;; amdgpu-corpus repo=ROCm/rocSOLVER kind=compiled arch=gfx906 opt=O3
	.amdgcn_target "amdgcn-amd-amdhsa--gfx906"
	.amdhsa_code_object_version 6
	.section	.text._ZN9rocsolver6v33100L18getf2_small_kernelILi1E19rocblas_complex_numIdEiiPS3_EEvT1_T3_lS5_lPS5_llPT2_S5_S5_S7_l,"axG",@progbits,_ZN9rocsolver6v33100L18getf2_small_kernelILi1E19rocblas_complex_numIdEiiPS3_EEvT1_T3_lS5_lPS5_llPT2_S5_S5_S7_l,comdat
	.globl	_ZN9rocsolver6v33100L18getf2_small_kernelILi1E19rocblas_complex_numIdEiiPS3_EEvT1_T3_lS5_lPS5_llPT2_S5_S5_S7_l ; -- Begin function _ZN9rocsolver6v33100L18getf2_small_kernelILi1E19rocblas_complex_numIdEiiPS3_EEvT1_T3_lS5_lPS5_llPT2_S5_S5_S7_l
	.p2align	8
	.type	_ZN9rocsolver6v33100L18getf2_small_kernelILi1E19rocblas_complex_numIdEiiPS3_EEvT1_T3_lS5_lPS5_llPT2_S5_S5_S7_l,@function
_ZN9rocsolver6v33100L18getf2_small_kernelILi1E19rocblas_complex_numIdEiiPS3_EEvT1_T3_lS5_lPS5_llPT2_S5_S5_S7_l: ; @_ZN9rocsolver6v33100L18getf2_small_kernelILi1E19rocblas_complex_numIdEiiPS3_EEvT1_T3_lS5_lPS5_llPT2_S5_S5_S7_l
; %bb.0:
	s_load_dword s0, s[4:5], 0x6c
	s_load_dwordx2 s[16:17], s[4:5], 0x48
	s_waitcnt lgkmcnt(0)
	s_lshr_b32 s0, s0, 16
	s_mul_i32 s7, s7, s0
	v_add_u32_e32 v10, s7, v1
	v_cmp_gt_i32_e32 vcc, s16, v10
	s_and_saveexec_b64 s[0:1], vcc
	s_cbranch_execz .LBB0_27
; %bb.1:
	s_load_dwordx4 s[0:3], s[4:5], 0x50
	v_ashrrev_i32_e32 v11, 31, v10
	s_waitcnt lgkmcnt(0)
	s_cmp_lg_u64 s[0:1], 0
	s_cselect_b64 s[6:7], -1, 0
	s_cmp_eq_u64 s[0:1], 0
	s_cbranch_scc1 .LBB0_3
; %bb.2:
	v_mul_lo_u32 v4, s3, v10
	v_mul_lo_u32 v5, s2, v11
	v_mad_u64_u32 v[2:3], s[2:3], s2, v10, 0
	v_add3_u32 v3, v3, v5, v4
	v_lshlrev_b64 v[2:3], 2, v[2:3]
	v_mov_b32_e32 v4, s1
	v_add_co_u32_e32 v12, vcc, s0, v2
	v_addc_co_u32_e32 v13, vcc, v4, v3, vcc
	s_branch .LBB0_4
.LBB0_3:
	v_mov_b32_e32 v12, 0
	v_mov_b32_e32 v13, 0
.LBB0_4:
	s_load_dwordx8 s[8:15], s[4:5], 0x20
	s_load_dwordx4 s[0:3], s[4:5], 0x8
	v_mov_b32_e32 v14, 0
	s_waitcnt lgkmcnt(0)
	v_mul_lo_u32 v4, s9, v10
	v_mul_lo_u32 v5, s8, v11
	v_mad_u64_u32 v[2:3], s[8:9], s8, v10, 0
	v_mov_b32_e32 v6, s1
	s_load_dword s8, s[4:5], 0x0
	v_add3_u32 v3, v3, v5, v4
	v_lshlrev_b64 v[2:3], 4, v[2:3]
	v_add_co_u32_e32 v2, vcc, s0, v2
	v_addc_co_u32_e32 v3, vcc, v6, v3, vcc
	s_lshl_b64 s[0:1], s[2:3], 4
	v_mov_b32_e32 v4, s1
	v_add_co_u32_e32 v17, vcc, s0, v2
	v_addc_co_u32_e32 v18, vcc, v3, v4, vcc
	v_lshlrev_b32_e32 v6, 4, v0
	v_add_co_u32_e32 v2, vcc, v17, v6
	v_addc_co_u32_e32 v3, vcc, 0, v18, vcc
	global_load_dwordx4 v[2:5], v[2:3], off
	s_load_dwordx2 s[2:3], s[4:5], 0x40
	s_waitcnt lgkmcnt(0)
	s_max_i32 s0, s8, 1
	v_mul_lo_u32 v1, s0, v1
	s_mov_b32 s4, 1
	s_cmp_lt_i32 s8, 2
	v_lshl_add_u32 v7, v1, 4, 0
	v_add_u32_e32 v6, v7, v6
	s_waitcnt vmcnt(0)
	ds_write2_b64 v6, v[2:3], v[4:5] offset1:1
	s_waitcnt lgkmcnt(0)
	s_barrier
	ds_read2_b64 v[6:9], v7 offset1:1
	s_cbranch_scc1 .LBB0_7
; %bb.5:
	v_lshlrev_b32_e32 v1, 4, v1
	v_add3_u32 v1, v1, 0, 16
	v_mov_b32_e32 v14, 0
.LBB0_6:                                ; =>This Inner Loop Header: Depth=1
	s_waitcnt lgkmcnt(0)
	v_cmp_gt_f64_e32 vcc, 0, v[8:9]
	v_cmp_gt_f64_e64 s[0:1], 0, v[6:7]
	ds_read2_b64 v[19:22], v1 offset1:1
	v_xor_b32_e32 v16, 0x80000000, v7
	v_xor_b32_e32 v24, 0x80000000, v9
	v_mov_b32_e32 v15, v6
	v_mov_b32_e32 v23, v8
	s_waitcnt lgkmcnt(0)
	v_xor_b32_e32 v26, 0x80000000, v22
	v_cndmask_b32_e32 v24, v9, v24, vcc
	v_cndmask_b32_e64 v16, v7, v16, s[0:1]
	v_cmp_gt_f64_e32 vcc, 0, v[21:22]
	v_cmp_gt_f64_e64 s[0:1], 0, v[19:20]
	v_add_f64 v[15:16], v[15:16], v[23:24]
	v_xor_b32_e32 v24, 0x80000000, v20
	v_mov_b32_e32 v23, v19
	v_mov_b32_e32 v25, v21
	v_add_u32_e32 v1, 16, v1
	v_cndmask_b32_e32 v26, v22, v26, vcc
	v_cndmask_b32_e64 v24, v20, v24, s[0:1]
	v_add_f64 v[23:24], v[23:24], v[25:26]
	v_mov_b32_e32 v25, s4
	s_add_i32 s4, s4, 1
	s_cmp_eq_u32 s8, s4
	v_cmp_lt_f64_e32 vcc, v[15:16], v[23:24]
	v_cndmask_b32_e32 v7, v7, v20, vcc
	v_cndmask_b32_e32 v6, v6, v19, vcc
	;; [unrolled: 1-line block ×5, first 2 shown]
	s_cbranch_scc0 .LBB0_6
.LBB0_7:
	s_waitcnt lgkmcnt(0)
	v_cmp_eq_f64_e32 vcc, 0, v[6:7]
	v_cmp_eq_f64_e64 s[0:1], 0, v[8:9]
	s_and_b64 s[0:1], vcc, s[0:1]
	s_xor_b64 s[8:9], s[0:1], -1
	s_and_saveexec_b64 s[4:5], s[8:9]
	s_cbranch_execz .LBB0_13
; %bb.8:
	v_cmp_ngt_f64_e64 s[8:9], |v[6:7]|, |v[8:9]|
	s_and_saveexec_b64 s[18:19], s[8:9]
	s_xor_b64 s[8:9], exec, s[18:19]
	s_cbranch_execz .LBB0_10
; %bb.9:
	v_div_scale_f64 v[15:16], s[18:19], v[8:9], v[8:9], v[6:7]
	v_rcp_f64_e32 v[19:20], v[15:16]
	v_fma_f64 v[21:22], -v[15:16], v[19:20], 1.0
	v_fma_f64 v[19:20], v[19:20], v[21:22], v[19:20]
	v_div_scale_f64 v[21:22], vcc, v[6:7], v[8:9], v[6:7]
	v_fma_f64 v[23:24], -v[15:16], v[19:20], 1.0
	v_fma_f64 v[19:20], v[19:20], v[23:24], v[19:20]
	v_mul_f64 v[23:24], v[21:22], v[19:20]
	v_fma_f64 v[15:16], -v[15:16], v[23:24], v[21:22]
	v_div_fmas_f64 v[15:16], v[15:16], v[19:20], v[23:24]
	v_div_fixup_f64 v[15:16], v[15:16], v[8:9], v[6:7]
	v_fma_f64 v[6:7], v[6:7], v[15:16], v[8:9]
	v_div_scale_f64 v[8:9], s[18:19], v[6:7], v[6:7], 1.0
	v_div_scale_f64 v[23:24], vcc, 1.0, v[6:7], 1.0
	v_rcp_f64_e32 v[19:20], v[8:9]
	v_fma_f64 v[21:22], -v[8:9], v[19:20], 1.0
	v_fma_f64 v[19:20], v[19:20], v[21:22], v[19:20]
	v_fma_f64 v[21:22], -v[8:9], v[19:20], 1.0
	v_fma_f64 v[19:20], v[19:20], v[21:22], v[19:20]
	v_mul_f64 v[21:22], v[23:24], v[19:20]
	v_fma_f64 v[8:9], -v[8:9], v[21:22], v[23:24]
	v_div_fmas_f64 v[8:9], v[8:9], v[19:20], v[21:22]
	v_div_fixup_f64 v[8:9], v[8:9], v[6:7], 1.0
	v_mul_f64 v[6:7], v[15:16], v[8:9]
	v_xor_b32_e32 v9, 0x80000000, v9
.LBB0_10:
	s_andn2_saveexec_b64 s[8:9], s[8:9]
	s_cbranch_execz .LBB0_12
; %bb.11:
	v_div_scale_f64 v[15:16], s[18:19], v[6:7], v[6:7], v[8:9]
	v_rcp_f64_e32 v[19:20], v[15:16]
	v_fma_f64 v[21:22], -v[15:16], v[19:20], 1.0
	v_fma_f64 v[19:20], v[19:20], v[21:22], v[19:20]
	v_div_scale_f64 v[21:22], vcc, v[8:9], v[6:7], v[8:9]
	v_fma_f64 v[23:24], -v[15:16], v[19:20], 1.0
	v_fma_f64 v[19:20], v[19:20], v[23:24], v[19:20]
	v_mul_f64 v[23:24], v[21:22], v[19:20]
	v_fma_f64 v[15:16], -v[15:16], v[23:24], v[21:22]
	v_div_fmas_f64 v[15:16], v[15:16], v[19:20], v[23:24]
	v_div_fixup_f64 v[15:16], v[15:16], v[6:7], v[8:9]
	v_fma_f64 v[6:7], v[8:9], v[15:16], v[6:7]
	v_div_scale_f64 v[8:9], s[18:19], v[6:7], v[6:7], 1.0
	v_div_scale_f64 v[23:24], vcc, 1.0, v[6:7], 1.0
	v_rcp_f64_e32 v[19:20], v[8:9]
	v_fma_f64 v[21:22], -v[8:9], v[19:20], 1.0
	v_fma_f64 v[19:20], v[19:20], v[21:22], v[19:20]
	v_fma_f64 v[21:22], -v[8:9], v[19:20], 1.0
	v_fma_f64 v[19:20], v[19:20], v[21:22], v[19:20]
	v_mul_f64 v[21:22], v[23:24], v[19:20]
	v_fma_f64 v[8:9], -v[8:9], v[21:22], v[23:24]
	v_div_fmas_f64 v[8:9], v[8:9], v[19:20], v[21:22]
	v_div_fixup_f64 v[6:7], v[8:9], v[6:7], 1.0
	v_mul_f64 v[8:9], v[15:16], -v[6:7]
.LBB0_12:
	s_or_b64 exec, exec, s[8:9]
.LBB0_13:
	s_or_b64 exec, exec, s[4:5]
	v_add_u32_e32 v1, 1, v0
	v_cmp_ne_u32_e32 vcc, v0, v14
	v_mov_b32_e32 v15, 0
	s_and_saveexec_b64 s[4:5], vcc
	s_cbranch_execz .LBB0_21
; %bb.14:
	v_cmp_eq_u32_e32 vcc, 0, v0
	s_and_saveexec_b64 s[8:9], vcc
	s_cbranch_execz .LBB0_20
; %bb.15:
	s_andn2_b64 vcc, exec, s[6:7]
	v_add_u32_e32 v1, 1, v14
	s_cbranch_vccnz .LBB0_19
; %bb.16:
	v_mov_b32_e32 v0, 0
	v_cmp_ne_u32_e32 vcc, 0, v14
	v_mov_b32_e32 v15, 1
	s_and_saveexec_b64 s[6:7], vcc
	s_cbranch_execz .LBB0_18
; %bb.17:
	v_mov_b32_e32 v15, 0
	v_lshlrev_b64 v[15:16], 2, v[14:15]
	v_mov_b32_e32 v0, v14
	v_add_co_u32_e32 v15, vcc, v12, v15
	v_addc_co_u32_e32 v16, vcc, v13, v16, vcc
	global_load_dword v19, v[15:16], off
	global_load_dword v20, v[12:13], off
	s_waitcnt vmcnt(1)
	global_store_dword v[12:13], v19, off
	s_waitcnt vmcnt(1)
	global_store_dword v[15:16], v20, off
	v_mov_b32_e32 v15, v1
.LBB0_18:
	s_or_b64 exec, exec, s[6:7]
	v_mov_b32_e32 v14, v0
	v_mov_b32_e32 v1, v15
.LBB0_19:
	v_mov_b32_e32 v0, v14
.LBB0_20:
	s_or_b64 exec, exec, s[8:9]
	v_mov_b32_e32 v15, v0
.LBB0_21:
	s_or_b64 exec, exec, s[4:5]
	v_cmp_gt_i32_e32 vcc, 1, v15
	v_ashrrev_i32_e32 v16, 31, v15
	s_waitcnt vmcnt(0)
	s_barrier
	s_barrier
	s_and_saveexec_b64 s[4:5], vcc
	s_cbranch_execz .LBB0_23
; %bb.22:
	v_mul_lo_u32 v0, s15, v10
	v_mul_lo_u32 v14, s14, v11
	v_mad_u64_u32 v[12:13], s[6:7], s14, v10, 0
	s_lshl_b64 s[6:7], s[12:13], 2
	v_add3_u32 v13, v13, v14, v0
	v_lshlrev_b64 v[12:13], 2, v[12:13]
	v_mov_b32_e32 v0, s11
	v_add_co_u32_e32 v12, vcc, s10, v12
	v_addc_co_u32_e32 v0, vcc, v0, v13, vcc
	v_mov_b32_e32 v13, s7
	v_add_co_u32_e32 v14, vcc, s6, v12
	v_addc_co_u32_e32 v0, vcc, v0, v13, vcc
	v_lshlrev_b64 v[12:13], 2, v[15:16]
	v_add_co_u32_e32 v12, vcc, v14, v12
	v_addc_co_u32_e32 v13, vcc, v0, v13, vcc
	v_add_u32_e32 v0, s17, v1
	global_store_dword v[12:13], v0, off
.LBB0_23:
	s_or_b64 exec, exec, s[4:5]
	v_cmp_eq_u32_e32 vcc, 0, v15
	s_and_saveexec_b64 s[4:5], vcc
	s_cbranch_execz .LBB0_26
; %bb.24:
	v_lshlrev_b64 v[0:1], 2, v[10:11]
	v_mov_b32_e32 v10, s3
	v_add_co_u32_e32 v0, vcc, s2, v0
	v_addc_co_u32_e32 v1, vcc, v10, v1, vcc
	global_load_dword v10, v[0:1], off
	s_waitcnt vmcnt(0)
	v_cmp_eq_u32_e32 vcc, 0, v10
	s_and_b64 s[0:1], vcc, s[0:1]
	s_and_b64 exec, exec, s[0:1]
	s_cbranch_execz .LBB0_26
; %bb.25:
	s_add_i32 s0, s17, 1
	v_mov_b32_e32 v10, s0
	global_store_dword v[0:1], v10, off
.LBB0_26:
	s_or_b64 exec, exec, s[4:5]
	v_mul_f64 v[0:1], v[4:5], v[8:9]
	v_mul_f64 v[8:9], v[2:3], v[8:9]
	v_cmp_lt_i32_e32 vcc, 0, v15
	v_fma_f64 v[0:1], v[2:3], v[6:7], -v[0:1]
	v_fma_f64 v[6:7], v[4:5], v[6:7], v[8:9]
	v_lshlrev_b64 v[8:9], 4, v[15:16]
	v_cndmask_b32_e32 v1, v3, v1, vcc
	v_cndmask_b32_e32 v0, v2, v0, vcc
	;; [unrolled: 1-line block ×4, first 2 shown]
	v_add_co_u32_e32 v4, vcc, v17, v8
	v_addc_co_u32_e32 v5, vcc, v18, v9, vcc
	global_store_dwordx4 v[4:5], v[0:3], off
.LBB0_27:
	s_endpgm
	.section	.rodata,"a",@progbits
	.p2align	6, 0x0
	.amdhsa_kernel _ZN9rocsolver6v33100L18getf2_small_kernelILi1E19rocblas_complex_numIdEiiPS3_EEvT1_T3_lS5_lPS5_llPT2_S5_S5_S7_l
		.amdhsa_group_segment_fixed_size 0
		.amdhsa_private_segment_fixed_size 0
		.amdhsa_kernarg_size 352
		.amdhsa_user_sgpr_count 6
		.amdhsa_user_sgpr_private_segment_buffer 1
		.amdhsa_user_sgpr_dispatch_ptr 0
		.amdhsa_user_sgpr_queue_ptr 0
		.amdhsa_user_sgpr_kernarg_segment_ptr 1
		.amdhsa_user_sgpr_dispatch_id 0
		.amdhsa_user_sgpr_flat_scratch_init 0
		.amdhsa_user_sgpr_private_segment_size 0
		.amdhsa_uses_dynamic_stack 0
		.amdhsa_system_sgpr_private_segment_wavefront_offset 0
		.amdhsa_system_sgpr_workgroup_id_x 1
		.amdhsa_system_sgpr_workgroup_id_y 1
		.amdhsa_system_sgpr_workgroup_id_z 0
		.amdhsa_system_sgpr_workgroup_info 0
		.amdhsa_system_vgpr_workitem_id 1
		.amdhsa_next_free_vgpr 27
		.amdhsa_next_free_sgpr 20
		.amdhsa_reserve_vcc 1
		.amdhsa_reserve_flat_scratch 0
		.amdhsa_float_round_mode_32 0
		.amdhsa_float_round_mode_16_64 0
		.amdhsa_float_denorm_mode_32 3
		.amdhsa_float_denorm_mode_16_64 3
		.amdhsa_dx10_clamp 1
		.amdhsa_ieee_mode 1
		.amdhsa_fp16_overflow 0
		.amdhsa_exception_fp_ieee_invalid_op 0
		.amdhsa_exception_fp_denorm_src 0
		.amdhsa_exception_fp_ieee_div_zero 0
		.amdhsa_exception_fp_ieee_overflow 0
		.amdhsa_exception_fp_ieee_underflow 0
		.amdhsa_exception_fp_ieee_inexact 0
		.amdhsa_exception_int_div_zero 0
	.end_amdhsa_kernel
	.section	.text._ZN9rocsolver6v33100L18getf2_small_kernelILi1E19rocblas_complex_numIdEiiPS3_EEvT1_T3_lS5_lPS5_llPT2_S5_S5_S7_l,"axG",@progbits,_ZN9rocsolver6v33100L18getf2_small_kernelILi1E19rocblas_complex_numIdEiiPS3_EEvT1_T3_lS5_lPS5_llPT2_S5_S5_S7_l,comdat
.Lfunc_end0:
	.size	_ZN9rocsolver6v33100L18getf2_small_kernelILi1E19rocblas_complex_numIdEiiPS3_EEvT1_T3_lS5_lPS5_llPT2_S5_S5_S7_l, .Lfunc_end0-_ZN9rocsolver6v33100L18getf2_small_kernelILi1E19rocblas_complex_numIdEiiPS3_EEvT1_T3_lS5_lPS5_llPT2_S5_S5_S7_l
                                        ; -- End function
	.set _ZN9rocsolver6v33100L18getf2_small_kernelILi1E19rocblas_complex_numIdEiiPS3_EEvT1_T3_lS5_lPS5_llPT2_S5_S5_S7_l.num_vgpr, 27
	.set _ZN9rocsolver6v33100L18getf2_small_kernelILi1E19rocblas_complex_numIdEiiPS3_EEvT1_T3_lS5_lPS5_llPT2_S5_S5_S7_l.num_agpr, 0
	.set _ZN9rocsolver6v33100L18getf2_small_kernelILi1E19rocblas_complex_numIdEiiPS3_EEvT1_T3_lS5_lPS5_llPT2_S5_S5_S7_l.numbered_sgpr, 20
	.set _ZN9rocsolver6v33100L18getf2_small_kernelILi1E19rocblas_complex_numIdEiiPS3_EEvT1_T3_lS5_lPS5_llPT2_S5_S5_S7_l.num_named_barrier, 0
	.set _ZN9rocsolver6v33100L18getf2_small_kernelILi1E19rocblas_complex_numIdEiiPS3_EEvT1_T3_lS5_lPS5_llPT2_S5_S5_S7_l.private_seg_size, 0
	.set _ZN9rocsolver6v33100L18getf2_small_kernelILi1E19rocblas_complex_numIdEiiPS3_EEvT1_T3_lS5_lPS5_llPT2_S5_S5_S7_l.uses_vcc, 1
	.set _ZN9rocsolver6v33100L18getf2_small_kernelILi1E19rocblas_complex_numIdEiiPS3_EEvT1_T3_lS5_lPS5_llPT2_S5_S5_S7_l.uses_flat_scratch, 0
	.set _ZN9rocsolver6v33100L18getf2_small_kernelILi1E19rocblas_complex_numIdEiiPS3_EEvT1_T3_lS5_lPS5_llPT2_S5_S5_S7_l.has_dyn_sized_stack, 0
	.set _ZN9rocsolver6v33100L18getf2_small_kernelILi1E19rocblas_complex_numIdEiiPS3_EEvT1_T3_lS5_lPS5_llPT2_S5_S5_S7_l.has_recursion, 0
	.set _ZN9rocsolver6v33100L18getf2_small_kernelILi1E19rocblas_complex_numIdEiiPS3_EEvT1_T3_lS5_lPS5_llPT2_S5_S5_S7_l.has_indirect_call, 0
	.section	.AMDGPU.csdata,"",@progbits
; Kernel info:
; codeLenInByte = 1416
; TotalNumSgprs: 24
; NumVgprs: 27
; ScratchSize: 0
; MemoryBound: 0
; FloatMode: 240
; IeeeMode: 1
; LDSByteSize: 0 bytes/workgroup (compile time only)
; SGPRBlocks: 2
; VGPRBlocks: 6
; NumSGPRsForWavesPerEU: 24
; NumVGPRsForWavesPerEU: 27
; Occupancy: 9
; WaveLimiterHint : 0
; COMPUTE_PGM_RSRC2:SCRATCH_EN: 0
; COMPUTE_PGM_RSRC2:USER_SGPR: 6
; COMPUTE_PGM_RSRC2:TRAP_HANDLER: 0
; COMPUTE_PGM_RSRC2:TGID_X_EN: 1
; COMPUTE_PGM_RSRC2:TGID_Y_EN: 1
; COMPUTE_PGM_RSRC2:TGID_Z_EN: 0
; COMPUTE_PGM_RSRC2:TIDIG_COMP_CNT: 1
	.section	.text._ZN9rocsolver6v33100L23getf2_npvt_small_kernelILi1E19rocblas_complex_numIdEiiPS3_EEvT1_T3_lS5_lPT2_S5_S5_,"axG",@progbits,_ZN9rocsolver6v33100L23getf2_npvt_small_kernelILi1E19rocblas_complex_numIdEiiPS3_EEvT1_T3_lS5_lPT2_S5_S5_,comdat
	.globl	_ZN9rocsolver6v33100L23getf2_npvt_small_kernelILi1E19rocblas_complex_numIdEiiPS3_EEvT1_T3_lS5_lPT2_S5_S5_ ; -- Begin function _ZN9rocsolver6v33100L23getf2_npvt_small_kernelILi1E19rocblas_complex_numIdEiiPS3_EEvT1_T3_lS5_lPT2_S5_S5_
	.p2align	8
	.type	_ZN9rocsolver6v33100L23getf2_npvt_small_kernelILi1E19rocblas_complex_numIdEiiPS3_EEvT1_T3_lS5_lPT2_S5_S5_,@function
_ZN9rocsolver6v33100L23getf2_npvt_small_kernelILi1E19rocblas_complex_numIdEiiPS3_EEvT1_T3_lS5_lPT2_S5_S5_: ; @_ZN9rocsolver6v33100L23getf2_npvt_small_kernelILi1E19rocblas_complex_numIdEiiPS3_EEvT1_T3_lS5_lPT2_S5_S5_
; %bb.0:
	s_load_dword s0, s[4:5], 0x44
	s_load_dwordx2 s[12:13], s[4:5], 0x30
	s_waitcnt lgkmcnt(0)
	s_lshr_b32 s0, s0, 16
	s_mul_i32 s7, s7, s0
	v_add_u32_e32 v12, s7, v1
	v_cmp_gt_i32_e32 vcc, s12, v12
	s_and_saveexec_b64 s[2:3], vcc
	s_cbranch_execz .LBB1_12
; %bb.1:
	s_load_dwordx4 s[8:11], s[4:5], 0x20
	s_load_dwordx4 s[16:19], s[4:5], 0x8
	v_ashrrev_i32_e32 v13, 31, v12
	s_lshl_b32 s0, s0, 4
	s_waitcnt lgkmcnt(0)
	v_mul_lo_u32 v4, s9, v12
	v_mul_lo_u32 v5, s8, v13
	v_mad_u64_u32 v[2:3], s[2:3], s8, v12, 0
	v_mov_b32_e32 v6, s17
	s_lshl_b64 s[2:3], s[18:19], 4
	v_add3_u32 v3, v3, v5, v4
	v_lshlrev_b64 v[2:3], 4, v[2:3]
	v_mov_b32_e32 v4, s3
	v_add_co_u32_e32 v2, vcc, s16, v2
	v_addc_co_u32_e32 v3, vcc, v6, v3, vcc
	v_add_co_u32_e32 v2, vcc, s2, v2
	v_addc_co_u32_e32 v3, vcc, v3, v4, vcc
	v_lshlrev_b32_e32 v4, 4, v0
	v_add_co_u32_e32 v10, vcc, v2, v4
	v_addc_co_u32_e32 v11, vcc, 0, v3, vcc
	global_load_dwordx4 v[2:5], v[10:11], off
	s_add_i32 s2, s0, 0
	v_cmp_eq_u32_e64 s[0:1], 0, v0
	v_lshl_add_u32 v8, v1, 4, s2
	s_and_saveexec_b64 s[4:5], s[0:1]
	s_cbranch_execz .LBB1_8
; %bb.2:
	s_waitcnt vmcnt(0)
	v_cmp_neq_f64_e32 vcc, 0, v[2:3]
	v_cmp_neq_f64_e64 s[2:3], 0, v[4:5]
	ds_write2_b64 v8, v[2:3], v[4:5] offset1:1
	s_or_b64 s[2:3], vcc, s[2:3]
	s_and_b64 exec, exec, s[2:3]
	s_cbranch_execz .LBB1_8
; %bb.3:
	v_cmp_ngt_f64_e64 s[2:3], |v[2:3]|, |v[4:5]|
                                        ; implicit-def: $vgpr0_vgpr1
	s_and_saveexec_b64 s[6:7], s[2:3]
	s_xor_b64 s[2:3], exec, s[6:7]
                                        ; implicit-def: $vgpr6_vgpr7
	s_cbranch_execz .LBB1_5
; %bb.4:
	v_div_scale_f64 v[0:1], s[6:7], v[4:5], v[4:5], v[2:3]
	v_rcp_f64_e32 v[6:7], v[0:1]
	v_fma_f64 v[14:15], -v[0:1], v[6:7], 1.0
	v_fma_f64 v[6:7], v[6:7], v[14:15], v[6:7]
	v_div_scale_f64 v[14:15], vcc, v[2:3], v[4:5], v[2:3]
	v_fma_f64 v[16:17], -v[0:1], v[6:7], 1.0
	v_fma_f64 v[6:7], v[6:7], v[16:17], v[6:7]
	v_mul_f64 v[16:17], v[14:15], v[6:7]
	v_fma_f64 v[0:1], -v[0:1], v[16:17], v[14:15]
	v_div_fmas_f64 v[0:1], v[0:1], v[6:7], v[16:17]
	v_div_fixup_f64 v[0:1], v[0:1], v[4:5], v[2:3]
	v_fma_f64 v[6:7], v[2:3], v[0:1], v[4:5]
	v_div_scale_f64 v[14:15], s[6:7], v[6:7], v[6:7], 1.0
	v_div_scale_f64 v[20:21], vcc, 1.0, v[6:7], 1.0
	v_rcp_f64_e32 v[16:17], v[14:15]
	v_fma_f64 v[18:19], -v[14:15], v[16:17], 1.0
	v_fma_f64 v[16:17], v[16:17], v[18:19], v[16:17]
	v_fma_f64 v[18:19], -v[14:15], v[16:17], 1.0
	v_fma_f64 v[16:17], v[16:17], v[18:19], v[16:17]
	v_mul_f64 v[18:19], v[20:21], v[16:17]
	v_fma_f64 v[14:15], -v[14:15], v[18:19], v[20:21]
	v_div_fmas_f64 v[14:15], v[14:15], v[16:17], v[18:19]
	v_div_fixup_f64 v[6:7], v[14:15], v[6:7], 1.0
	v_mul_f64 v[0:1], v[0:1], v[6:7]
	v_xor_b32_e32 v7, 0x80000000, v7
.LBB1_5:
	s_andn2_saveexec_b64 s[2:3], s[2:3]
	s_cbranch_execz .LBB1_7
; %bb.6:
	v_div_scale_f64 v[0:1], s[6:7], v[2:3], v[2:3], v[4:5]
	v_rcp_f64_e32 v[6:7], v[0:1]
	v_fma_f64 v[14:15], -v[0:1], v[6:7], 1.0
	v_fma_f64 v[6:7], v[6:7], v[14:15], v[6:7]
	v_div_scale_f64 v[14:15], vcc, v[4:5], v[2:3], v[4:5]
	v_fma_f64 v[16:17], -v[0:1], v[6:7], 1.0
	v_fma_f64 v[6:7], v[6:7], v[16:17], v[6:7]
	v_mul_f64 v[16:17], v[14:15], v[6:7]
	v_fma_f64 v[0:1], -v[0:1], v[16:17], v[14:15]
	v_div_fmas_f64 v[0:1], v[0:1], v[6:7], v[16:17]
	v_div_fixup_f64 v[6:7], v[0:1], v[2:3], v[4:5]
	v_fma_f64 v[0:1], v[4:5], v[6:7], v[2:3]
	v_div_scale_f64 v[14:15], s[6:7], v[0:1], v[0:1], 1.0
	v_div_scale_f64 v[20:21], vcc, 1.0, v[0:1], 1.0
	v_rcp_f64_e32 v[16:17], v[14:15]
	v_fma_f64 v[18:19], -v[14:15], v[16:17], 1.0
	v_fma_f64 v[16:17], v[16:17], v[18:19], v[16:17]
	v_fma_f64 v[18:19], -v[14:15], v[16:17], 1.0
	v_fma_f64 v[16:17], v[16:17], v[18:19], v[16:17]
	v_mul_f64 v[18:19], v[20:21], v[16:17]
	v_fma_f64 v[14:15], -v[14:15], v[18:19], v[20:21]
	v_div_fmas_f64 v[14:15], v[14:15], v[16:17], v[18:19]
	v_div_fixup_f64 v[0:1], v[14:15], v[0:1], 1.0
	v_mul_f64 v[6:7], v[6:7], -v[0:1]
.LBB1_7:
	s_or_b64 exec, exec, s[2:3]
	ds_write2_b64 v8, v[0:1], v[6:7] offset1:1
.LBB1_8:
	s_or_b64 exec, exec, s[4:5]
	s_waitcnt vmcnt(0) lgkmcnt(0)
	s_barrier
	ds_read2_b64 v[6:9], v8 offset1:1
	s_waitcnt lgkmcnt(0)
	s_barrier
	s_and_saveexec_b64 s[6:7], s[0:1]
	s_cbranch_execz .LBB1_11
; %bb.9:
	v_lshlrev_b64 v[0:1], 2, v[12:13]
	v_mov_b32_e32 v12, s11
	v_add_co_u32_e32 v0, vcc, s10, v0
	v_addc_co_u32_e32 v1, vcc, v12, v1, vcc
	global_load_dword v12, v[0:1], off
	v_cmp_eq_f64_e32 vcc, 0, v[6:7]
	v_cmp_eq_f64_e64 s[2:3], 0, v[8:9]
	s_and_b64 s[2:3], vcc, s[2:3]
	s_waitcnt vmcnt(0)
	v_cmp_eq_u32_e64 s[4:5], 0, v12
	s_and_b64 s[2:3], s[2:3], s[4:5]
	s_and_b64 exec, exec, s[2:3]
	s_cbranch_execz .LBB1_11
; %bb.10:
	s_add_i32 s2, s13, 1
	v_mov_b32_e32 v12, s2
	global_store_dword v[0:1], v12, off
.LBB1_11:
	s_or_b64 exec, exec, s[6:7]
	v_mul_f64 v[0:1], v[4:5], v[8:9]
	v_mul_f64 v[8:9], v[2:3], v[8:9]
	v_fma_f64 v[0:1], v[2:3], v[6:7], -v[0:1]
	v_fma_f64 v[6:7], v[4:5], v[6:7], v[8:9]
	v_cndmask_b32_e64 v1, v1, v3, s[0:1]
	v_cndmask_b32_e64 v0, v0, v2, s[0:1]
	;; [unrolled: 1-line block ×4, first 2 shown]
	global_store_dwordx4 v[10:11], v[0:3], off
.LBB1_12:
	s_endpgm
	.section	.rodata,"a",@progbits
	.p2align	6, 0x0
	.amdhsa_kernel _ZN9rocsolver6v33100L23getf2_npvt_small_kernelILi1E19rocblas_complex_numIdEiiPS3_EEvT1_T3_lS5_lPT2_S5_S5_
		.amdhsa_group_segment_fixed_size 0
		.amdhsa_private_segment_fixed_size 0
		.amdhsa_kernarg_size 312
		.amdhsa_user_sgpr_count 6
		.amdhsa_user_sgpr_private_segment_buffer 1
		.amdhsa_user_sgpr_dispatch_ptr 0
		.amdhsa_user_sgpr_queue_ptr 0
		.amdhsa_user_sgpr_kernarg_segment_ptr 1
		.amdhsa_user_sgpr_dispatch_id 0
		.amdhsa_user_sgpr_flat_scratch_init 0
		.amdhsa_user_sgpr_private_segment_size 0
		.amdhsa_uses_dynamic_stack 0
		.amdhsa_system_sgpr_private_segment_wavefront_offset 0
		.amdhsa_system_sgpr_workgroup_id_x 1
		.amdhsa_system_sgpr_workgroup_id_y 1
		.amdhsa_system_sgpr_workgroup_id_z 0
		.amdhsa_system_sgpr_workgroup_info 0
		.amdhsa_system_vgpr_workitem_id 1
		.amdhsa_next_free_vgpr 22
		.amdhsa_next_free_sgpr 20
		.amdhsa_reserve_vcc 1
		.amdhsa_reserve_flat_scratch 0
		.amdhsa_float_round_mode_32 0
		.amdhsa_float_round_mode_16_64 0
		.amdhsa_float_denorm_mode_32 3
		.amdhsa_float_denorm_mode_16_64 3
		.amdhsa_dx10_clamp 1
		.amdhsa_ieee_mode 1
		.amdhsa_fp16_overflow 0
		.amdhsa_exception_fp_ieee_invalid_op 0
		.amdhsa_exception_fp_denorm_src 0
		.amdhsa_exception_fp_ieee_div_zero 0
		.amdhsa_exception_fp_ieee_overflow 0
		.amdhsa_exception_fp_ieee_underflow 0
		.amdhsa_exception_fp_ieee_inexact 0
		.amdhsa_exception_int_div_zero 0
	.end_amdhsa_kernel
	.section	.text._ZN9rocsolver6v33100L23getf2_npvt_small_kernelILi1E19rocblas_complex_numIdEiiPS3_EEvT1_T3_lS5_lPT2_S5_S5_,"axG",@progbits,_ZN9rocsolver6v33100L23getf2_npvt_small_kernelILi1E19rocblas_complex_numIdEiiPS3_EEvT1_T3_lS5_lPT2_S5_S5_,comdat
.Lfunc_end1:
	.size	_ZN9rocsolver6v33100L23getf2_npvt_small_kernelILi1E19rocblas_complex_numIdEiiPS3_EEvT1_T3_lS5_lPT2_S5_S5_, .Lfunc_end1-_ZN9rocsolver6v33100L23getf2_npvt_small_kernelILi1E19rocblas_complex_numIdEiiPS3_EEvT1_T3_lS5_lPT2_S5_S5_
                                        ; -- End function
	.set _ZN9rocsolver6v33100L23getf2_npvt_small_kernelILi1E19rocblas_complex_numIdEiiPS3_EEvT1_T3_lS5_lPT2_S5_S5_.num_vgpr, 22
	.set _ZN9rocsolver6v33100L23getf2_npvt_small_kernelILi1E19rocblas_complex_numIdEiiPS3_EEvT1_T3_lS5_lPT2_S5_S5_.num_agpr, 0
	.set _ZN9rocsolver6v33100L23getf2_npvt_small_kernelILi1E19rocblas_complex_numIdEiiPS3_EEvT1_T3_lS5_lPT2_S5_S5_.numbered_sgpr, 20
	.set _ZN9rocsolver6v33100L23getf2_npvt_small_kernelILi1E19rocblas_complex_numIdEiiPS3_EEvT1_T3_lS5_lPT2_S5_S5_.num_named_barrier, 0
	.set _ZN9rocsolver6v33100L23getf2_npvt_small_kernelILi1E19rocblas_complex_numIdEiiPS3_EEvT1_T3_lS5_lPT2_S5_S5_.private_seg_size, 0
	.set _ZN9rocsolver6v33100L23getf2_npvt_small_kernelILi1E19rocblas_complex_numIdEiiPS3_EEvT1_T3_lS5_lPT2_S5_S5_.uses_vcc, 1
	.set _ZN9rocsolver6v33100L23getf2_npvt_small_kernelILi1E19rocblas_complex_numIdEiiPS3_EEvT1_T3_lS5_lPT2_S5_S5_.uses_flat_scratch, 0
	.set _ZN9rocsolver6v33100L23getf2_npvt_small_kernelILi1E19rocblas_complex_numIdEiiPS3_EEvT1_T3_lS5_lPT2_S5_S5_.has_dyn_sized_stack, 0
	.set _ZN9rocsolver6v33100L23getf2_npvt_small_kernelILi1E19rocblas_complex_numIdEiiPS3_EEvT1_T3_lS5_lPT2_S5_S5_.has_recursion, 0
	.set _ZN9rocsolver6v33100L23getf2_npvt_small_kernelILi1E19rocblas_complex_numIdEiiPS3_EEvT1_T3_lS5_lPT2_S5_S5_.has_indirect_call, 0
	.section	.AMDGPU.csdata,"",@progbits
; Kernel info:
; codeLenInByte = 840
; TotalNumSgprs: 24
; NumVgprs: 22
; ScratchSize: 0
; MemoryBound: 0
; FloatMode: 240
; IeeeMode: 1
; LDSByteSize: 0 bytes/workgroup (compile time only)
; SGPRBlocks: 2
; VGPRBlocks: 5
; NumSGPRsForWavesPerEU: 24
; NumVGPRsForWavesPerEU: 22
; Occupancy: 10
; WaveLimiterHint : 0
; COMPUTE_PGM_RSRC2:SCRATCH_EN: 0
; COMPUTE_PGM_RSRC2:USER_SGPR: 6
; COMPUTE_PGM_RSRC2:TRAP_HANDLER: 0
; COMPUTE_PGM_RSRC2:TGID_X_EN: 1
; COMPUTE_PGM_RSRC2:TGID_Y_EN: 1
; COMPUTE_PGM_RSRC2:TGID_Z_EN: 0
; COMPUTE_PGM_RSRC2:TIDIG_COMP_CNT: 1
	.section	.text._ZN9rocsolver6v33100L18getf2_small_kernelILi2E19rocblas_complex_numIdEiiPS3_EEvT1_T3_lS5_lPS5_llPT2_S5_S5_S7_l,"axG",@progbits,_ZN9rocsolver6v33100L18getf2_small_kernelILi2E19rocblas_complex_numIdEiiPS3_EEvT1_T3_lS5_lPS5_llPT2_S5_S5_S7_l,comdat
	.globl	_ZN9rocsolver6v33100L18getf2_small_kernelILi2E19rocblas_complex_numIdEiiPS3_EEvT1_T3_lS5_lPS5_llPT2_S5_S5_S7_l ; -- Begin function _ZN9rocsolver6v33100L18getf2_small_kernelILi2E19rocblas_complex_numIdEiiPS3_EEvT1_T3_lS5_lPS5_llPT2_S5_S5_S7_l
	.p2align	8
	.type	_ZN9rocsolver6v33100L18getf2_small_kernelILi2E19rocblas_complex_numIdEiiPS3_EEvT1_T3_lS5_lPS5_llPT2_S5_S5_S7_l,@function
_ZN9rocsolver6v33100L18getf2_small_kernelILi2E19rocblas_complex_numIdEiiPS3_EEvT1_T3_lS5_lPS5_llPT2_S5_S5_S7_l: ; @_ZN9rocsolver6v33100L18getf2_small_kernelILi2E19rocblas_complex_numIdEiiPS3_EEvT1_T3_lS5_lPS5_llPT2_S5_S5_S7_l
; %bb.0:
	s_load_dword s0, s[4:5], 0x6c
	s_load_dwordx2 s[16:17], s[4:5], 0x48
	s_waitcnt lgkmcnt(0)
	s_lshr_b32 s0, s0, 16
	s_mul_i32 s7, s7, s0
	v_add_u32_e32 v14, s7, v1
	v_cmp_gt_i32_e32 vcc, s16, v14
	s_and_saveexec_b64 s[0:1], vcc
	s_cbranch_execz .LBB2_43
; %bb.1:
	s_load_dwordx4 s[0:3], s[4:5], 0x50
	v_mov_b32_e32 v16, 0
	v_ashrrev_i32_e32 v15, 31, v14
	v_mov_b32_e32 v17, 0
	s_waitcnt lgkmcnt(0)
	s_cmp_eq_u64 s[0:1], 0
	s_cselect_b64 s[6:7], -1, 0
	s_and_b64 vcc, exec, s[6:7]
	s_cbranch_vccnz .LBB2_3
; %bb.2:
	v_mul_lo_u32 v4, s3, v14
	v_mul_lo_u32 v5, s2, v15
	v_mad_u64_u32 v[2:3], s[2:3], s2, v14, 0
	v_add3_u32 v3, v3, v5, v4
	v_lshlrev_b64 v[2:3], 2, v[2:3]
	v_mov_b32_e32 v4, s1
	v_add_co_u32_e32 v16, vcc, s0, v2
	v_addc_co_u32_e32 v17, vcc, v4, v3, vcc
.LBB2_3:
	s_load_dwordx8 s[8:15], s[4:5], 0x20
	s_load_dwordx4 s[0:3], s[4:5], 0x8
	v_lshlrev_b32_e32 v10, 4, v0
	s_waitcnt lgkmcnt(0)
	v_mul_lo_u32 v4, s9, v14
	v_mul_lo_u32 v5, s8, v15
	v_mad_u64_u32 v[2:3], s[8:9], s8, v14, 0
	v_mov_b32_e32 v6, s1
	s_load_dword s8, s[4:5], 0x18
	s_load_dword s16, s[4:5], 0x0
	v_add3_u32 v3, v3, v5, v4
	v_lshlrev_b64 v[2:3], 4, v[2:3]
	s_load_dwordx2 s[4:5], s[4:5], 0x40
	v_add_co_u32_e32 v2, vcc, s0, v2
	v_addc_co_u32_e32 v3, vcc, v6, v3, vcc
	s_lshl_b64 s[0:1], s[2:3], 4
	v_mov_b32_e32 v4, s1
	v_add_co_u32_e32 v21, vcc, s0, v2
	v_addc_co_u32_e32 v22, vcc, v3, v4, vcc
	v_add_co_u32_e32 v6, vcc, v21, v10
	v_addc_co_u32_e32 v7, vcc, 0, v22, vcc
	global_load_dwordx4 v[2:5], v[6:7], off
	s_waitcnt lgkmcnt(0)
	s_ashr_i32 s9, s8, 31
	s_lshl_b64 s[2:3], s[8:9], 4
	v_mov_b32_e32 v8, s3
	v_add_co_u32_e32 v6, vcc, s2, v6
	v_addc_co_u32_e32 v7, vcc, v7, v8, vcc
	global_load_dwordx4 v[6:9], v[6:7], off
	s_max_i32 s0, s16, 2
	v_mul_lo_u32 v18, s0, v1
	s_cmp_lt_i32 s16, 2
	v_lshl_add_u32 v1, v18, 4, 0
	v_add_u32_e32 v10, v1, v10
	v_lshlrev_b32_e32 v20, 4, v18
	v_mov_b32_e32 v18, 0
	s_waitcnt vmcnt(1)
	ds_write2_b64 v10, v[2:3], v[4:5] offset1:1
	s_waitcnt vmcnt(0) lgkmcnt(0)
	s_barrier
	ds_read2_b64 v[10:13], v1 offset1:1
	s_cbranch_scc1 .LBB2_6
; %bb.4:
	v_add3_u32 v19, v20, 0, 16
	s_mov_b32 s8, 1
	v_mov_b32_e32 v18, 0
.LBB2_5:                                ; =>This Inner Loop Header: Depth=1
	s_waitcnt lgkmcnt(0)
	v_cmp_gt_f64_e32 vcc, 0, v[12:13]
	v_cmp_gt_f64_e64 s[0:1], 0, v[10:11]
	ds_read2_b64 v[23:26], v19 offset1:1
	v_xor_b32_e32 v28, 0x80000000, v11
	v_xor_b32_e32 v30, 0x80000000, v13
	v_mov_b32_e32 v27, v10
	v_mov_b32_e32 v29, v12
	s_waitcnt lgkmcnt(0)
	v_xor_b32_e32 v32, 0x80000000, v26
	v_cndmask_b32_e32 v30, v13, v30, vcc
	v_cndmask_b32_e64 v28, v11, v28, s[0:1]
	v_cmp_gt_f64_e32 vcc, 0, v[25:26]
	v_cmp_gt_f64_e64 s[0:1], 0, v[23:24]
	v_add_f64 v[27:28], v[27:28], v[29:30]
	v_xor_b32_e32 v30, 0x80000000, v24
	v_mov_b32_e32 v29, v23
	v_mov_b32_e32 v31, v25
	v_add_u32_e32 v19, 16, v19
	v_cndmask_b32_e32 v32, v26, v32, vcc
	v_cndmask_b32_e64 v30, v24, v30, s[0:1]
	v_add_f64 v[29:30], v[29:30], v[31:32]
	v_mov_b32_e32 v31, s8
	s_add_i32 s8, s8, 1
	s_cmp_eq_u32 s16, s8
	v_cmp_lt_f64_e32 vcc, v[27:28], v[29:30]
	v_cndmask_b32_e32 v11, v11, v24, vcc
	v_cndmask_b32_e32 v10, v10, v23, vcc
	;; [unrolled: 1-line block ×5, first 2 shown]
	s_cbranch_scc0 .LBB2_5
.LBB2_6:
	s_waitcnt lgkmcnt(0)
	v_cmp_neq_f64_e32 vcc, 0, v[10:11]
	v_cmp_neq_f64_e64 s[0:1], 0, v[12:13]
	v_mov_b32_e32 v23, 1
	v_mov_b32_e32 v24, 1
	s_or_b64 s[8:9], vcc, s[0:1]
	s_and_saveexec_b64 s[0:1], s[8:9]
	s_cbranch_execz .LBB2_12
; %bb.7:
	v_cmp_ngt_f64_e64 s[8:9], |v[10:11]|, |v[12:13]|
	s_and_saveexec_b64 s[18:19], s[8:9]
	s_xor_b64 s[8:9], exec, s[18:19]
	s_cbranch_execz .LBB2_9
; %bb.8:
	v_div_scale_f64 v[23:24], s[18:19], v[12:13], v[12:13], v[10:11]
	v_rcp_f64_e32 v[25:26], v[23:24]
	v_fma_f64 v[27:28], -v[23:24], v[25:26], 1.0
	v_fma_f64 v[25:26], v[25:26], v[27:28], v[25:26]
	v_div_scale_f64 v[27:28], vcc, v[10:11], v[12:13], v[10:11]
	v_fma_f64 v[29:30], -v[23:24], v[25:26], 1.0
	v_fma_f64 v[25:26], v[25:26], v[29:30], v[25:26]
	v_mul_f64 v[29:30], v[27:28], v[25:26]
	v_fma_f64 v[23:24], -v[23:24], v[29:30], v[27:28]
	v_div_fmas_f64 v[23:24], v[23:24], v[25:26], v[29:30]
	v_div_fixup_f64 v[23:24], v[23:24], v[12:13], v[10:11]
	v_fma_f64 v[10:11], v[10:11], v[23:24], v[12:13]
	v_div_scale_f64 v[12:13], s[18:19], v[10:11], v[10:11], 1.0
	v_div_scale_f64 v[29:30], vcc, 1.0, v[10:11], 1.0
	v_rcp_f64_e32 v[25:26], v[12:13]
	v_fma_f64 v[27:28], -v[12:13], v[25:26], 1.0
	v_fma_f64 v[25:26], v[25:26], v[27:28], v[25:26]
	v_fma_f64 v[27:28], -v[12:13], v[25:26], 1.0
	v_fma_f64 v[25:26], v[25:26], v[27:28], v[25:26]
	v_mul_f64 v[27:28], v[29:30], v[25:26]
	v_fma_f64 v[12:13], -v[12:13], v[27:28], v[29:30]
	v_div_fmas_f64 v[12:13], v[12:13], v[25:26], v[27:28]
	v_div_fixup_f64 v[12:13], v[12:13], v[10:11], 1.0
	v_mul_f64 v[10:11], v[23:24], v[12:13]
	v_xor_b32_e32 v13, 0x80000000, v13
.LBB2_9:
	s_andn2_saveexec_b64 s[8:9], s[8:9]
	s_cbranch_execz .LBB2_11
; %bb.10:
	v_div_scale_f64 v[23:24], s[18:19], v[10:11], v[10:11], v[12:13]
	v_rcp_f64_e32 v[25:26], v[23:24]
	v_fma_f64 v[27:28], -v[23:24], v[25:26], 1.0
	v_fma_f64 v[25:26], v[25:26], v[27:28], v[25:26]
	v_div_scale_f64 v[27:28], vcc, v[12:13], v[10:11], v[12:13]
	v_fma_f64 v[29:30], -v[23:24], v[25:26], 1.0
	v_fma_f64 v[25:26], v[25:26], v[29:30], v[25:26]
	v_mul_f64 v[29:30], v[27:28], v[25:26]
	v_fma_f64 v[23:24], -v[23:24], v[29:30], v[27:28]
	v_div_fmas_f64 v[23:24], v[23:24], v[25:26], v[29:30]
	v_div_fixup_f64 v[23:24], v[23:24], v[10:11], v[12:13]
	v_fma_f64 v[10:11], v[12:13], v[23:24], v[10:11]
	v_div_scale_f64 v[12:13], s[18:19], v[10:11], v[10:11], 1.0
	v_div_scale_f64 v[29:30], vcc, 1.0, v[10:11], 1.0
	v_rcp_f64_e32 v[25:26], v[12:13]
	v_fma_f64 v[27:28], -v[12:13], v[25:26], 1.0
	v_fma_f64 v[25:26], v[25:26], v[27:28], v[25:26]
	v_fma_f64 v[27:28], -v[12:13], v[25:26], 1.0
	v_fma_f64 v[25:26], v[25:26], v[27:28], v[25:26]
	v_mul_f64 v[27:28], v[29:30], v[25:26]
	v_fma_f64 v[12:13], -v[12:13], v[27:28], v[29:30]
	v_div_fmas_f64 v[12:13], v[12:13], v[25:26], v[27:28]
	v_div_fixup_f64 v[10:11], v[12:13], v[10:11], 1.0
	v_mul_f64 v[12:13], v[23:24], -v[10:11]
.LBB2_11:
	s_or_b64 exec, exec, s[8:9]
	v_mov_b32_e32 v24, 0
	v_mov_b32_e32 v23, 2
.LBB2_12:
	s_or_b64 exec, exec, s[0:1]
	v_cmp_ne_u32_e32 vcc, v0, v18
	s_and_saveexec_b64 s[0:1], vcc
	s_xor_b64 s[0:1], exec, s[0:1]
	s_cbranch_execz .LBB2_18
; %bb.13:
	v_cmp_eq_u32_e32 vcc, 0, v0
	s_and_saveexec_b64 s[8:9], vcc
	s_cbranch_execz .LBB2_17
; %bb.14:
	v_cmp_ne_u32_e32 vcc, 0, v18
	s_xor_b64 s[18:19], s[6:7], -1
	s_and_b64 s[20:21], s[18:19], vcc
	s_and_saveexec_b64 s[18:19], s[20:21]
	s_cbranch_execz .LBB2_16
; %bb.15:
	v_ashrrev_i32_e32 v19, 31, v18
	v_lshlrev_b64 v[25:26], 2, v[18:19]
	v_add_co_u32_e32 v25, vcc, v16, v25
	v_addc_co_u32_e32 v26, vcc, v17, v26, vcc
	global_load_dword v0, v[25:26], off
	global_load_dword v19, v[16:17], off
	s_waitcnt vmcnt(1)
	global_store_dword v[16:17], v0, off
	s_waitcnt vmcnt(1)
	global_store_dword v[25:26], v19, off
.LBB2_16:
	s_or_b64 exec, exec, s[18:19]
	v_mov_b32_e32 v0, v18
.LBB2_17:
	s_or_b64 exec, exec, s[8:9]
.LBB2_18:
	s_or_saveexec_b64 s[0:1], s[0:1]
	v_mov_b32_e32 v25, v0
	s_xor_b64 exec, exec, s[0:1]
; %bb.19:
	v_mov_b32_e32 v25, 0
	ds_write2_b64 v1, v[6:7], v[8:9] offset0:2 offset1:3
; %bb.20:
	s_or_b64 exec, exec, s[0:1]
	v_cmp_lt_i32_e32 vcc, 0, v25
	s_waitcnt vmcnt(0) lgkmcnt(0)
	s_barrier
	s_and_saveexec_b64 s[0:1], vcc
	s_cbranch_execz .LBB2_22
; %bb.21:
	v_mul_f64 v[18:19], v[10:11], v[4:5]
	v_mul_f64 v[4:5], v[12:13], v[4:5]
	ds_read2_b64 v[26:29], v1 offset0:2 offset1:3
	v_fma_f64 v[12:13], v[12:13], v[2:3], v[18:19]
	v_fma_f64 v[2:3], v[10:11], v[2:3], -v[4:5]
	s_waitcnt lgkmcnt(0)
	v_mul_f64 v[4:5], v[28:29], v[12:13]
	v_mul_f64 v[10:11], v[26:27], v[12:13]
	v_fma_f64 v[4:5], v[26:27], v[2:3], -v[4:5]
	v_fma_f64 v[10:11], v[28:29], v[2:3], v[10:11]
	v_add_f64 v[6:7], v[6:7], -v[4:5]
	v_add_f64 v[8:9], v[8:9], -v[10:11]
	v_mov_b32_e32 v4, v12
	v_mov_b32_e32 v5, v13
.LBB2_22:
	s_or_b64 exec, exec, s[0:1]
	v_lshl_add_u32 v10, v25, 4, v1
	s_barrier
	ds_write2_b64 v10, v[6:7], v[8:9] offset1:1
	s_waitcnt lgkmcnt(0)
	s_barrier
	ds_read2_b64 v[10:13], v1 offset0:2 offset1:3
	s_cmp_lt_i32 s16, 3
	v_mov_b32_e32 v18, 1
	s_cbranch_scc1 .LBB2_25
; %bb.23:
	v_add3_u32 v1, v20, 0, 32
	s_mov_b32 s8, 2
	v_mov_b32_e32 v18, 1
.LBB2_24:                               ; =>This Inner Loop Header: Depth=1
	s_waitcnt lgkmcnt(0)
	v_cmp_gt_f64_e32 vcc, 0, v[12:13]
	v_cmp_gt_f64_e64 s[0:1], 0, v[10:11]
	ds_read2_b64 v[26:29], v1 offset1:1
	v_xor_b32_e32 v20, 0x80000000, v11
	v_xor_b32_e32 v31, 0x80000000, v13
	v_mov_b32_e32 v19, v10
	v_mov_b32_e32 v30, v12
	s_waitcnt lgkmcnt(0)
	v_xor_b32_e32 v33, 0x80000000, v29
	v_cndmask_b32_e32 v31, v13, v31, vcc
	v_cndmask_b32_e64 v20, v11, v20, s[0:1]
	v_cmp_gt_f64_e32 vcc, 0, v[28:29]
	v_cmp_gt_f64_e64 s[0:1], 0, v[26:27]
	v_add_f64 v[19:20], v[19:20], v[30:31]
	v_xor_b32_e32 v31, 0x80000000, v27
	v_mov_b32_e32 v30, v26
	v_mov_b32_e32 v32, v28
	v_add_u32_e32 v1, 16, v1
	v_cndmask_b32_e32 v33, v29, v33, vcc
	v_cndmask_b32_e64 v31, v27, v31, s[0:1]
	v_add_f64 v[30:31], v[30:31], v[32:33]
	v_mov_b32_e32 v32, s8
	s_add_i32 s8, s8, 1
	s_cmp_lg_u32 s16, s8
	v_cmp_lt_f64_e32 vcc, v[19:20], v[30:31]
	v_cndmask_b32_e32 v11, v11, v27, vcc
	v_cndmask_b32_e32 v10, v10, v26, vcc
	;; [unrolled: 1-line block ×5, first 2 shown]
	s_cbranch_scc1 .LBB2_24
.LBB2_25:
	s_waitcnt lgkmcnt(0)
	v_cmp_neq_f64_e32 vcc, 0, v[10:11]
	v_cmp_neq_f64_e64 s[0:1], 0, v[12:13]
	s_or_b64 s[8:9], vcc, s[0:1]
	s_and_saveexec_b64 s[0:1], s[8:9]
	s_cbranch_execz .LBB2_31
; %bb.26:
	v_cmp_ngt_f64_e64 s[8:9], |v[10:11]|, |v[12:13]|
	s_and_saveexec_b64 s[18:19], s[8:9]
	s_xor_b64 s[8:9], exec, s[18:19]
	s_cbranch_execz .LBB2_28
; %bb.27:
	v_div_scale_f64 v[19:20], s[18:19], v[12:13], v[12:13], v[10:11]
	v_rcp_f64_e32 v[26:27], v[19:20]
	v_fma_f64 v[28:29], -v[19:20], v[26:27], 1.0
	v_fma_f64 v[26:27], v[26:27], v[28:29], v[26:27]
	v_div_scale_f64 v[28:29], vcc, v[10:11], v[12:13], v[10:11]
	v_fma_f64 v[30:31], -v[19:20], v[26:27], 1.0
	v_fma_f64 v[26:27], v[26:27], v[30:31], v[26:27]
	v_mul_f64 v[30:31], v[28:29], v[26:27]
	v_fma_f64 v[19:20], -v[19:20], v[30:31], v[28:29]
	v_div_fmas_f64 v[19:20], v[19:20], v[26:27], v[30:31]
	v_div_fixup_f64 v[19:20], v[19:20], v[12:13], v[10:11]
	v_fma_f64 v[10:11], v[10:11], v[19:20], v[12:13]
	v_div_scale_f64 v[12:13], s[18:19], v[10:11], v[10:11], 1.0
	v_div_scale_f64 v[30:31], vcc, 1.0, v[10:11], 1.0
	v_rcp_f64_e32 v[26:27], v[12:13]
	v_fma_f64 v[28:29], -v[12:13], v[26:27], 1.0
	v_fma_f64 v[26:27], v[26:27], v[28:29], v[26:27]
	v_fma_f64 v[28:29], -v[12:13], v[26:27], 1.0
	v_fma_f64 v[26:27], v[26:27], v[28:29], v[26:27]
	v_mul_f64 v[28:29], v[30:31], v[26:27]
	v_fma_f64 v[12:13], -v[12:13], v[28:29], v[30:31]
	v_div_fmas_f64 v[12:13], v[12:13], v[26:27], v[28:29]
	v_div_fixup_f64 v[12:13], v[12:13], v[10:11], 1.0
	v_mul_f64 v[10:11], v[19:20], v[12:13]
	v_xor_b32_e32 v13, 0x80000000, v13
.LBB2_28:
	s_andn2_saveexec_b64 s[8:9], s[8:9]
	s_cbranch_execz .LBB2_30
; %bb.29:
	v_div_scale_f64 v[19:20], s[18:19], v[10:11], v[10:11], v[12:13]
	v_rcp_f64_e32 v[26:27], v[19:20]
	v_fma_f64 v[28:29], -v[19:20], v[26:27], 1.0
	v_fma_f64 v[26:27], v[26:27], v[28:29], v[26:27]
	v_div_scale_f64 v[28:29], vcc, v[12:13], v[10:11], v[12:13]
	v_fma_f64 v[30:31], -v[19:20], v[26:27], 1.0
	v_fma_f64 v[26:27], v[26:27], v[30:31], v[26:27]
	v_mul_f64 v[30:31], v[28:29], v[26:27]
	v_fma_f64 v[19:20], -v[19:20], v[30:31], v[28:29]
	v_div_fmas_f64 v[19:20], v[19:20], v[26:27], v[30:31]
	v_div_fixup_f64 v[19:20], v[19:20], v[10:11], v[12:13]
	v_fma_f64 v[10:11], v[12:13], v[19:20], v[10:11]
	v_div_scale_f64 v[12:13], s[18:19], v[10:11], v[10:11], 1.0
	v_div_scale_f64 v[30:31], vcc, 1.0, v[10:11], 1.0
	v_rcp_f64_e32 v[26:27], v[12:13]
	v_fma_f64 v[28:29], -v[12:13], v[26:27], 1.0
	v_fma_f64 v[26:27], v[26:27], v[28:29], v[26:27]
	v_fma_f64 v[28:29], -v[12:13], v[26:27], 1.0
	v_fma_f64 v[26:27], v[26:27], v[28:29], v[26:27]
	v_mul_f64 v[28:29], v[30:31], v[26:27]
	v_fma_f64 v[12:13], -v[12:13], v[28:29], v[30:31]
	v_div_fmas_f64 v[12:13], v[12:13], v[26:27], v[28:29]
	v_div_fixup_f64 v[10:11], v[12:13], v[10:11], 1.0
	v_mul_f64 v[12:13], v[19:20], -v[10:11]
.LBB2_30:
	s_or_b64 exec, exec, s[8:9]
	v_mov_b32_e32 v23, v24
.LBB2_31:
	s_or_b64 exec, exec, s[0:1]
	v_cmp_ne_u32_e32 vcc, v25, v18
	v_mov_b32_e32 v19, 1
	s_and_saveexec_b64 s[0:1], vcc
	s_cbranch_execz .LBB2_37
; %bb.32:
	v_cmp_eq_u32_e32 vcc, 1, v25
	s_and_saveexec_b64 s[8:9], vcc
	s_cbranch_execz .LBB2_36
; %bb.33:
	v_cmp_ne_u32_e32 vcc, 1, v18
	s_xor_b64 s[6:7], s[6:7], -1
	s_and_b64 s[18:19], s[6:7], vcc
	s_and_saveexec_b64 s[6:7], s[18:19]
	s_cbranch_execz .LBB2_35
; %bb.34:
	v_ashrrev_i32_e32 v19, 31, v18
	v_lshlrev_b64 v[0:1], 2, v[18:19]
	v_add_co_u32_e32 v0, vcc, v16, v0
	v_addc_co_u32_e32 v1, vcc, v17, v1, vcc
	global_load_dword v19, v[0:1], off
	global_load_dword v20, v[16:17], off offset:4
	s_waitcnt vmcnt(1)
	global_store_dword v[16:17], v19, off offset:4
	s_waitcnt vmcnt(1)
	global_store_dword v[0:1], v20, off
.LBB2_35:
	s_or_b64 exec, exec, s[6:7]
	v_mov_b32_e32 v25, v18
	v_mov_b32_e32 v0, v18
.LBB2_36:
	s_or_b64 exec, exec, s[8:9]
	v_mov_b32_e32 v19, v25
.LBB2_37:
	s_or_b64 exec, exec, s[0:1]
	v_cmp_gt_i32_e32 vcc, 2, v19
	v_ashrrev_i32_e32 v20, 31, v19
	s_waitcnt vmcnt(0)
	s_barrier
	s_barrier
	s_and_saveexec_b64 s[0:1], vcc
	s_cbranch_execz .LBB2_39
; %bb.38:
	v_mul_lo_u32 v1, s15, v14
	v_mul_lo_u32 v18, s14, v15
	v_mad_u64_u32 v[16:17], s[6:7], s14, v14, 0
	s_lshl_b64 s[6:7], s[12:13], 2
	v_add3_u32 v0, v0, s17, 1
	v_add3_u32 v17, v17, v18, v1
	v_lshlrev_b64 v[16:17], 2, v[16:17]
	v_mov_b32_e32 v1, s11
	v_add_co_u32_e32 v16, vcc, s10, v16
	v_addc_co_u32_e32 v1, vcc, v1, v17, vcc
	v_mov_b32_e32 v17, s7
	v_add_co_u32_e32 v18, vcc, s6, v16
	v_addc_co_u32_e32 v1, vcc, v1, v17, vcc
	v_lshlrev_b64 v[16:17], 2, v[19:20]
	v_add_co_u32_e32 v16, vcc, v18, v16
	v_addc_co_u32_e32 v17, vcc, v1, v17, vcc
	global_store_dword v[16:17], v0, off
.LBB2_39:
	s_or_b64 exec, exec, s[0:1]
	v_cmp_eq_u32_e32 vcc, 0, v19
	s_and_saveexec_b64 s[6:7], vcc
	s_cbranch_execz .LBB2_42
; %bb.40:
	v_lshlrev_b64 v[0:1], 2, v[14:15]
	v_mov_b32_e32 v14, s5
	v_add_co_u32_e32 v0, vcc, s4, v0
	v_addc_co_u32_e32 v1, vcc, v14, v1, vcc
	global_load_dword v14, v[0:1], off
	v_cmp_ne_u32_e64 s[0:1], 0, v23
	s_waitcnt vmcnt(0)
	v_cmp_eq_u32_e32 vcc, 0, v14
	s_and_b64 s[0:1], vcc, s[0:1]
	s_and_b64 exec, exec, s[0:1]
	s_cbranch_execz .LBB2_42
; %bb.41:
	v_add_u32_e32 v14, s17, v23
	global_store_dword v[0:1], v14, off
.LBB2_42:
	s_or_b64 exec, exec, s[6:7]
	v_mul_f64 v[0:1], v[10:11], v[8:9]
	v_mul_f64 v[14:15], v[12:13], v[8:9]
	v_lshlrev_b64 v[16:17], 4, v[19:20]
	v_mov_b32_e32 v18, s3
	v_fma_f64 v[0:1], v[12:13], v[6:7], v[0:1]
	v_fma_f64 v[10:11], v[10:11], v[6:7], -v[14:15]
	v_add_co_u32_e32 v12, vcc, v21, v16
	v_addc_co_u32_e32 v13, vcc, v22, v17, vcc
	v_cmp_lt_i32_e32 vcc, 1, v19
	global_store_dwordx4 v[12:13], v[2:5], off
	s_nop 0
	v_cndmask_b32_e32 v3, v9, v1, vcc
	v_cndmask_b32_e32 v2, v8, v0, vcc
	;; [unrolled: 1-line block ×4, first 2 shown]
	v_add_co_u32_e32 v4, vcc, s2, v12
	v_addc_co_u32_e32 v5, vcc, v13, v18, vcc
	global_store_dwordx4 v[4:5], v[0:3], off
.LBB2_43:
	s_endpgm
	.section	.rodata,"a",@progbits
	.p2align	6, 0x0
	.amdhsa_kernel _ZN9rocsolver6v33100L18getf2_small_kernelILi2E19rocblas_complex_numIdEiiPS3_EEvT1_T3_lS5_lPS5_llPT2_S5_S5_S7_l
		.amdhsa_group_segment_fixed_size 0
		.amdhsa_private_segment_fixed_size 0
		.amdhsa_kernarg_size 352
		.amdhsa_user_sgpr_count 6
		.amdhsa_user_sgpr_private_segment_buffer 1
		.amdhsa_user_sgpr_dispatch_ptr 0
		.amdhsa_user_sgpr_queue_ptr 0
		.amdhsa_user_sgpr_kernarg_segment_ptr 1
		.amdhsa_user_sgpr_dispatch_id 0
		.amdhsa_user_sgpr_flat_scratch_init 0
		.amdhsa_user_sgpr_private_segment_size 0
		.amdhsa_uses_dynamic_stack 0
		.amdhsa_system_sgpr_private_segment_wavefront_offset 0
		.amdhsa_system_sgpr_workgroup_id_x 1
		.amdhsa_system_sgpr_workgroup_id_y 1
		.amdhsa_system_sgpr_workgroup_id_z 0
		.amdhsa_system_sgpr_workgroup_info 0
		.amdhsa_system_vgpr_workitem_id 1
		.amdhsa_next_free_vgpr 34
		.amdhsa_next_free_sgpr 22
		.amdhsa_reserve_vcc 1
		.amdhsa_reserve_flat_scratch 0
		.amdhsa_float_round_mode_32 0
		.amdhsa_float_round_mode_16_64 0
		.amdhsa_float_denorm_mode_32 3
		.amdhsa_float_denorm_mode_16_64 3
		.amdhsa_dx10_clamp 1
		.amdhsa_ieee_mode 1
		.amdhsa_fp16_overflow 0
		.amdhsa_exception_fp_ieee_invalid_op 0
		.amdhsa_exception_fp_denorm_src 0
		.amdhsa_exception_fp_ieee_div_zero 0
		.amdhsa_exception_fp_ieee_overflow 0
		.amdhsa_exception_fp_ieee_underflow 0
		.amdhsa_exception_fp_ieee_inexact 0
		.amdhsa_exception_int_div_zero 0
	.end_amdhsa_kernel
	.section	.text._ZN9rocsolver6v33100L18getf2_small_kernelILi2E19rocblas_complex_numIdEiiPS3_EEvT1_T3_lS5_lPS5_llPT2_S5_S5_S7_l,"axG",@progbits,_ZN9rocsolver6v33100L18getf2_small_kernelILi2E19rocblas_complex_numIdEiiPS3_EEvT1_T3_lS5_lPS5_llPT2_S5_S5_S7_l,comdat
.Lfunc_end2:
	.size	_ZN9rocsolver6v33100L18getf2_small_kernelILi2E19rocblas_complex_numIdEiiPS3_EEvT1_T3_lS5_lPS5_llPT2_S5_S5_S7_l, .Lfunc_end2-_ZN9rocsolver6v33100L18getf2_small_kernelILi2E19rocblas_complex_numIdEiiPS3_EEvT1_T3_lS5_lPS5_llPT2_S5_S5_S7_l
                                        ; -- End function
	.set _ZN9rocsolver6v33100L18getf2_small_kernelILi2E19rocblas_complex_numIdEiiPS3_EEvT1_T3_lS5_lPS5_llPT2_S5_S5_S7_l.num_vgpr, 34
	.set _ZN9rocsolver6v33100L18getf2_small_kernelILi2E19rocblas_complex_numIdEiiPS3_EEvT1_T3_lS5_lPS5_llPT2_S5_S5_S7_l.num_agpr, 0
	.set _ZN9rocsolver6v33100L18getf2_small_kernelILi2E19rocblas_complex_numIdEiiPS3_EEvT1_T3_lS5_lPS5_llPT2_S5_S5_S7_l.numbered_sgpr, 22
	.set _ZN9rocsolver6v33100L18getf2_small_kernelILi2E19rocblas_complex_numIdEiiPS3_EEvT1_T3_lS5_lPS5_llPT2_S5_S5_S7_l.num_named_barrier, 0
	.set _ZN9rocsolver6v33100L18getf2_small_kernelILi2E19rocblas_complex_numIdEiiPS3_EEvT1_T3_lS5_lPS5_llPT2_S5_S5_S7_l.private_seg_size, 0
	.set _ZN9rocsolver6v33100L18getf2_small_kernelILi2E19rocblas_complex_numIdEiiPS3_EEvT1_T3_lS5_lPS5_llPT2_S5_S5_S7_l.uses_vcc, 1
	.set _ZN9rocsolver6v33100L18getf2_small_kernelILi2E19rocblas_complex_numIdEiiPS3_EEvT1_T3_lS5_lPS5_llPT2_S5_S5_S7_l.uses_flat_scratch, 0
	.set _ZN9rocsolver6v33100L18getf2_small_kernelILi2E19rocblas_complex_numIdEiiPS3_EEvT1_T3_lS5_lPS5_llPT2_S5_S5_S7_l.has_dyn_sized_stack, 0
	.set _ZN9rocsolver6v33100L18getf2_small_kernelILi2E19rocblas_complex_numIdEiiPS3_EEvT1_T3_lS5_lPS5_llPT2_S5_S5_S7_l.has_recursion, 0
	.set _ZN9rocsolver6v33100L18getf2_small_kernelILi2E19rocblas_complex_numIdEiiPS3_EEvT1_T3_lS5_lPS5_llPT2_S5_S5_S7_l.has_indirect_call, 0
	.section	.AMDGPU.csdata,"",@progbits
; Kernel info:
; codeLenInByte = 2416
; TotalNumSgprs: 26
; NumVgprs: 34
; ScratchSize: 0
; MemoryBound: 0
; FloatMode: 240
; IeeeMode: 1
; LDSByteSize: 0 bytes/workgroup (compile time only)
; SGPRBlocks: 3
; VGPRBlocks: 8
; NumSGPRsForWavesPerEU: 26
; NumVGPRsForWavesPerEU: 34
; Occupancy: 7
; WaveLimiterHint : 0
; COMPUTE_PGM_RSRC2:SCRATCH_EN: 0
; COMPUTE_PGM_RSRC2:USER_SGPR: 6
; COMPUTE_PGM_RSRC2:TRAP_HANDLER: 0
; COMPUTE_PGM_RSRC2:TGID_X_EN: 1
; COMPUTE_PGM_RSRC2:TGID_Y_EN: 1
; COMPUTE_PGM_RSRC2:TGID_Z_EN: 0
; COMPUTE_PGM_RSRC2:TIDIG_COMP_CNT: 1
	.section	.text._ZN9rocsolver6v33100L23getf2_npvt_small_kernelILi2E19rocblas_complex_numIdEiiPS3_EEvT1_T3_lS5_lPT2_S5_S5_,"axG",@progbits,_ZN9rocsolver6v33100L23getf2_npvt_small_kernelILi2E19rocblas_complex_numIdEiiPS3_EEvT1_T3_lS5_lPT2_S5_S5_,comdat
	.globl	_ZN9rocsolver6v33100L23getf2_npvt_small_kernelILi2E19rocblas_complex_numIdEiiPS3_EEvT1_T3_lS5_lPT2_S5_S5_ ; -- Begin function _ZN9rocsolver6v33100L23getf2_npvt_small_kernelILi2E19rocblas_complex_numIdEiiPS3_EEvT1_T3_lS5_lPT2_S5_S5_
	.p2align	8
	.type	_ZN9rocsolver6v33100L23getf2_npvt_small_kernelILi2E19rocblas_complex_numIdEiiPS3_EEvT1_T3_lS5_lPT2_S5_S5_,@function
_ZN9rocsolver6v33100L23getf2_npvt_small_kernelILi2E19rocblas_complex_numIdEiiPS3_EEvT1_T3_lS5_lPT2_S5_S5_: ; @_ZN9rocsolver6v33100L23getf2_npvt_small_kernelILi2E19rocblas_complex_numIdEiiPS3_EEvT1_T3_lS5_lPT2_S5_S5_
; %bb.0:
	s_load_dword s0, s[4:5], 0x44
	s_load_dwordx2 s[12:13], s[4:5], 0x30
	s_waitcnt lgkmcnt(0)
	s_lshr_b32 s0, s0, 16
	s_mul_i32 s7, s7, s0
	v_add_u32_e32 v20, s7, v1
	v_cmp_gt_i32_e32 vcc, s12, v20
	s_and_saveexec_b64 s[2:3], vcc
	s_cbranch_execz .LBB3_21
; %bb.1:
	s_load_dwordx4 s[8:11], s[4:5], 0x20
	s_load_dword s2, s[4:5], 0x18
	v_ashrrev_i32_e32 v21, 31, v20
	s_load_dwordx4 s[16:19], s[4:5], 0x8
	s_lshl_b32 s0, s0, 5
	s_waitcnt lgkmcnt(0)
	v_mul_lo_u32 v4, s9, v20
	v_mul_lo_u32 v5, s8, v21
	v_mad_u64_u32 v[2:3], s[6:7], s8, v20, 0
	s_lshl_b64 s[4:5], s[18:19], 4
	s_ashr_i32 s3, s2, 31
	v_add3_u32 v3, v3, v5, v4
	v_lshlrev_b64 v[2:3], 4, v[2:3]
	v_mov_b32_e32 v4, s17
	v_add_co_u32_e32 v2, vcc, s16, v2
	v_addc_co_u32_e32 v3, vcc, v4, v3, vcc
	v_mov_b32_e32 v4, s5
	v_add_co_u32_e32 v2, vcc, s4, v2
	v_addc_co_u32_e32 v3, vcc, v3, v4, vcc
	v_lshlrev_b32_e32 v4, 4, v0
	v_add_co_u32_e32 v18, vcc, v2, v4
	v_addc_co_u32_e32 v19, vcc, 0, v3, vcc
	s_lshl_b64 s[2:3], s[2:3], 4
	v_mov_b32_e32 v2, s3
	v_add_co_u32_e32 v22, vcc, s2, v18
	v_addc_co_u32_e32 v23, vcc, v19, v2, vcc
	global_load_dwordx4 v[2:5], v[18:19], off
	global_load_dwordx4 v[6:9], v[22:23], off
	v_lshlrev_b32_e32 v10, 5, v1
	s_add_i32 s0, s0, 0
	v_lshl_add_u32 v1, v1, 4, s0
	v_cmp_ne_u32_e64 s[2:3], 0, v0
	v_cmp_eq_u32_e64 s[0:1], 0, v0
	v_add_u32_e32 v24, 0, v10
	s_and_saveexec_b64 s[6:7], s[0:1]
	s_cbranch_execz .LBB3_8
; %bb.2:
	s_waitcnt vmcnt(1)
	ds_write2_b64 v1, v[2:3], v[4:5] offset1:1
	s_waitcnt vmcnt(0)
	ds_write2_b64 v24, v[6:7], v[8:9] offset0:2 offset1:3
	ds_read2_b64 v[10:13], v1 offset1:1
	s_waitcnt lgkmcnt(0)
	v_cmp_neq_f64_e32 vcc, 0, v[10:11]
	v_cmp_neq_f64_e64 s[4:5], 0, v[12:13]
	s_or_b64 s[4:5], vcc, s[4:5]
	s_and_b64 exec, exec, s[4:5]
	s_cbranch_execz .LBB3_8
; %bb.3:
	v_cmp_ngt_f64_e64 s[4:5], |v[10:11]|, |v[12:13]|
                                        ; implicit-def: $vgpr14_vgpr15
	s_and_saveexec_b64 s[8:9], s[4:5]
	s_xor_b64 s[4:5], exec, s[8:9]
                                        ; implicit-def: $vgpr16_vgpr17
	s_cbranch_execz .LBB3_5
; %bb.4:
	v_div_scale_f64 v[14:15], s[8:9], v[12:13], v[12:13], v[10:11]
	v_rcp_f64_e32 v[16:17], v[14:15]
	v_fma_f64 v[25:26], -v[14:15], v[16:17], 1.0
	v_fma_f64 v[16:17], v[16:17], v[25:26], v[16:17]
	v_div_scale_f64 v[25:26], vcc, v[10:11], v[12:13], v[10:11]
	v_fma_f64 v[27:28], -v[14:15], v[16:17], 1.0
	v_fma_f64 v[16:17], v[16:17], v[27:28], v[16:17]
	v_mul_f64 v[27:28], v[25:26], v[16:17]
	v_fma_f64 v[14:15], -v[14:15], v[27:28], v[25:26]
	v_div_fmas_f64 v[14:15], v[14:15], v[16:17], v[27:28]
	v_div_fixup_f64 v[14:15], v[14:15], v[12:13], v[10:11]
	v_fma_f64 v[10:11], v[10:11], v[14:15], v[12:13]
	v_div_scale_f64 v[12:13], s[8:9], v[10:11], v[10:11], 1.0
	v_div_scale_f64 v[27:28], vcc, 1.0, v[10:11], 1.0
	v_rcp_f64_e32 v[16:17], v[12:13]
	v_fma_f64 v[25:26], -v[12:13], v[16:17], 1.0
	v_fma_f64 v[16:17], v[16:17], v[25:26], v[16:17]
	v_fma_f64 v[25:26], -v[12:13], v[16:17], 1.0
	v_fma_f64 v[16:17], v[16:17], v[25:26], v[16:17]
	v_mul_f64 v[25:26], v[27:28], v[16:17]
	v_fma_f64 v[12:13], -v[12:13], v[25:26], v[27:28]
	v_div_fmas_f64 v[12:13], v[12:13], v[16:17], v[25:26]
	v_div_fixup_f64 v[16:17], v[12:13], v[10:11], 1.0
                                        ; implicit-def: $vgpr10_vgpr11
	v_mul_f64 v[14:15], v[14:15], v[16:17]
	v_xor_b32_e32 v17, 0x80000000, v17
.LBB3_5:
	s_andn2_saveexec_b64 s[4:5], s[4:5]
	s_cbranch_execz .LBB3_7
; %bb.6:
	v_div_scale_f64 v[14:15], s[8:9], v[10:11], v[10:11], v[12:13]
	v_rcp_f64_e32 v[16:17], v[14:15]
	v_fma_f64 v[25:26], -v[14:15], v[16:17], 1.0
	v_fma_f64 v[16:17], v[16:17], v[25:26], v[16:17]
	v_div_scale_f64 v[25:26], vcc, v[12:13], v[10:11], v[12:13]
	v_fma_f64 v[27:28], -v[14:15], v[16:17], 1.0
	v_fma_f64 v[16:17], v[16:17], v[27:28], v[16:17]
	v_mul_f64 v[27:28], v[25:26], v[16:17]
	v_fma_f64 v[14:15], -v[14:15], v[27:28], v[25:26]
	v_div_fmas_f64 v[14:15], v[14:15], v[16:17], v[27:28]
	v_div_fixup_f64 v[16:17], v[14:15], v[10:11], v[12:13]
	v_fma_f64 v[10:11], v[12:13], v[16:17], v[10:11]
	v_div_scale_f64 v[12:13], s[8:9], v[10:11], v[10:11], 1.0
	v_div_scale_f64 v[27:28], vcc, 1.0, v[10:11], 1.0
	v_rcp_f64_e32 v[14:15], v[12:13]
	v_fma_f64 v[25:26], -v[12:13], v[14:15], 1.0
	v_fma_f64 v[14:15], v[14:15], v[25:26], v[14:15]
	v_fma_f64 v[25:26], -v[12:13], v[14:15], 1.0
	v_fma_f64 v[14:15], v[14:15], v[25:26], v[14:15]
	v_mul_f64 v[25:26], v[27:28], v[14:15]
	v_fma_f64 v[12:13], -v[12:13], v[25:26], v[27:28]
	v_div_fmas_f64 v[12:13], v[12:13], v[14:15], v[25:26]
	v_div_fixup_f64 v[14:15], v[12:13], v[10:11], 1.0
	v_mul_f64 v[16:17], v[16:17], -v[14:15]
.LBB3_7:
	s_or_b64 exec, exec, s[4:5]
	ds_write2_b64 v1, v[14:15], v[16:17] offset1:1
.LBB3_8:
	s_or_b64 exec, exec, s[6:7]
	s_waitcnt vmcnt(0) lgkmcnt(0)
	s_barrier
	ds_read2_b64 v[10:13], v1 offset1:1
	s_and_saveexec_b64 s[4:5], s[2:3]
	s_cbranch_execz .LBB3_10
; %bb.9:
	s_waitcnt lgkmcnt(0)
	v_mul_f64 v[14:15], v[10:11], v[4:5]
	v_mul_f64 v[4:5], v[12:13], v[4:5]
	v_fma_f64 v[25:26], v[12:13], v[2:3], v[14:15]
	ds_read2_b64 v[14:17], v24 offset0:2 offset1:3
	v_fma_f64 v[2:3], v[10:11], v[2:3], -v[4:5]
	s_waitcnt lgkmcnt(0)
	v_mul_f64 v[4:5], v[16:17], v[25:26]
	v_mul_f64 v[27:28], v[14:15], v[25:26]
	v_fma_f64 v[4:5], v[14:15], v[2:3], -v[4:5]
	v_fma_f64 v[14:15], v[16:17], v[2:3], v[27:28]
	v_add_f64 v[6:7], v[6:7], -v[4:5]
	v_add_f64 v[8:9], v[8:9], -v[14:15]
	v_mov_b32_e32 v4, v25
	v_mov_b32_e32 v5, v26
.LBB3_10:
	s_or_b64 exec, exec, s[4:5]
	v_cmp_eq_u32_e32 vcc, 1, v0
	s_waitcnt lgkmcnt(0)
	s_barrier
	s_and_saveexec_b64 s[4:5], vcc
	s_cbranch_execz .LBB3_17
; %bb.11:
	v_cmp_neq_f64_e32 vcc, 0, v[6:7]
	v_cmp_neq_f64_e64 s[2:3], 0, v[8:9]
	ds_write2_b64 v1, v[6:7], v[8:9] offset1:1
	s_or_b64 s[2:3], vcc, s[2:3]
	s_and_b64 exec, exec, s[2:3]
	s_cbranch_execz .LBB3_17
; %bb.12:
	v_cmp_ngt_f64_e64 s[2:3], |v[6:7]|, |v[8:9]|
                                        ; implicit-def: $vgpr14_vgpr15
	s_and_saveexec_b64 s[6:7], s[2:3]
	s_xor_b64 s[2:3], exec, s[6:7]
                                        ; implicit-def: $vgpr16_vgpr17
	s_cbranch_execz .LBB3_14
; %bb.13:
	v_div_scale_f64 v[14:15], s[6:7], v[8:9], v[8:9], v[6:7]
	v_rcp_f64_e32 v[16:17], v[14:15]
	v_fma_f64 v[24:25], -v[14:15], v[16:17], 1.0
	v_fma_f64 v[16:17], v[16:17], v[24:25], v[16:17]
	v_div_scale_f64 v[24:25], vcc, v[6:7], v[8:9], v[6:7]
	v_fma_f64 v[26:27], -v[14:15], v[16:17], 1.0
	v_fma_f64 v[16:17], v[16:17], v[26:27], v[16:17]
	v_mul_f64 v[26:27], v[24:25], v[16:17]
	v_fma_f64 v[14:15], -v[14:15], v[26:27], v[24:25]
	v_div_fmas_f64 v[14:15], v[14:15], v[16:17], v[26:27]
	v_div_fixup_f64 v[14:15], v[14:15], v[8:9], v[6:7]
	v_fma_f64 v[16:17], v[6:7], v[14:15], v[8:9]
	v_div_scale_f64 v[24:25], s[6:7], v[16:17], v[16:17], 1.0
	v_div_scale_f64 v[30:31], vcc, 1.0, v[16:17], 1.0
	v_rcp_f64_e32 v[26:27], v[24:25]
	v_fma_f64 v[28:29], -v[24:25], v[26:27], 1.0
	v_fma_f64 v[26:27], v[26:27], v[28:29], v[26:27]
	v_fma_f64 v[28:29], -v[24:25], v[26:27], 1.0
	v_fma_f64 v[26:27], v[26:27], v[28:29], v[26:27]
	v_mul_f64 v[28:29], v[30:31], v[26:27]
	v_fma_f64 v[24:25], -v[24:25], v[28:29], v[30:31]
	v_div_fmas_f64 v[24:25], v[24:25], v[26:27], v[28:29]
	v_div_fixup_f64 v[16:17], v[24:25], v[16:17], 1.0
	v_mul_f64 v[14:15], v[14:15], v[16:17]
	v_xor_b32_e32 v17, 0x80000000, v17
.LBB3_14:
	s_andn2_saveexec_b64 s[2:3], s[2:3]
	s_cbranch_execz .LBB3_16
; %bb.15:
	v_div_scale_f64 v[14:15], s[6:7], v[6:7], v[6:7], v[8:9]
	v_rcp_f64_e32 v[16:17], v[14:15]
	v_fma_f64 v[24:25], -v[14:15], v[16:17], 1.0
	v_fma_f64 v[16:17], v[16:17], v[24:25], v[16:17]
	v_div_scale_f64 v[24:25], vcc, v[8:9], v[6:7], v[8:9]
	v_fma_f64 v[26:27], -v[14:15], v[16:17], 1.0
	v_fma_f64 v[16:17], v[16:17], v[26:27], v[16:17]
	v_mul_f64 v[26:27], v[24:25], v[16:17]
	v_fma_f64 v[14:15], -v[14:15], v[26:27], v[24:25]
	v_div_fmas_f64 v[14:15], v[14:15], v[16:17], v[26:27]
	v_div_fixup_f64 v[16:17], v[14:15], v[6:7], v[8:9]
	v_fma_f64 v[14:15], v[8:9], v[16:17], v[6:7]
	v_div_scale_f64 v[24:25], s[6:7], v[14:15], v[14:15], 1.0
	v_div_scale_f64 v[30:31], vcc, 1.0, v[14:15], 1.0
	v_rcp_f64_e32 v[26:27], v[24:25]
	v_fma_f64 v[28:29], -v[24:25], v[26:27], 1.0
	v_fma_f64 v[26:27], v[26:27], v[28:29], v[26:27]
	v_fma_f64 v[28:29], -v[24:25], v[26:27], 1.0
	v_fma_f64 v[26:27], v[26:27], v[28:29], v[26:27]
	v_mul_f64 v[28:29], v[30:31], v[26:27]
	v_fma_f64 v[24:25], -v[24:25], v[28:29], v[30:31]
	v_div_fmas_f64 v[24:25], v[24:25], v[26:27], v[28:29]
	v_div_fixup_f64 v[14:15], v[24:25], v[14:15], 1.0
	v_mul_f64 v[16:17], v[16:17], -v[14:15]
.LBB3_16:
	s_or_b64 exec, exec, s[2:3]
	ds_write2_b64 v1, v[14:15], v[16:17] offset1:1
.LBB3_17:
	s_or_b64 exec, exec, s[4:5]
	s_waitcnt lgkmcnt(0)
	s_barrier
	ds_read2_b64 v[14:17], v1 offset1:1
	s_waitcnt lgkmcnt(0)
	s_barrier
	s_and_saveexec_b64 s[6:7], s[0:1]
	s_cbranch_execz .LBB3_20
; %bb.18:
	v_lshlrev_b64 v[20:21], 2, v[20:21]
	v_mov_b32_e32 v1, s11
	v_add_co_u32_e32 v20, vcc, s10, v20
	v_addc_co_u32_e32 v21, vcc, v1, v21, vcc
	global_load_dword v1, v[20:21], off
	v_cmp_eq_f64_e32 vcc, 0, v[10:11]
	v_cmp_eq_f64_e64 s[0:1], 0, v[12:13]
	v_cmp_neq_f64_e64 s[2:3], 0, v[14:15]
	v_cmp_neq_f64_e64 s[4:5], 0, v[16:17]
	s_and_b64 s[8:9], vcc, s[0:1]
	s_or_b64 s[0:1], s[2:3], s[4:5]
	s_or_b64 vcc, s[0:1], s[8:9]
	s_xor_b64 s[2:3], vcc, -1
	s_or_b64 s[2:3], s[2:3], s[8:9]
	s_waitcnt vmcnt(0)
	v_cmp_eq_u32_e64 s[0:1], 0, v1
	s_and_b64 s[0:1], s[0:1], s[2:3]
	s_and_b64 exec, exec, s[0:1]
	s_cbranch_execz .LBB3_20
; %bb.19:
	v_cndmask_b32_e64 v1, 0, 1, s[8:9]
	v_cndmask_b32_e32 v1, 2, v1, vcc
	v_add_u32_e32 v1, s13, v1
	global_store_dword v[20:21], v1, off
.LBB3_20:
	s_or_b64 exec, exec, s[6:7]
	v_mul_f64 v[10:11], v[14:15], v[8:9]
	v_mul_f64 v[12:13], v[16:17], v[8:9]
	v_cmp_lt_u32_e32 vcc, 1, v0
	v_fma_f64 v[10:11], v[16:17], v[6:7], v[10:11]
	v_fma_f64 v[12:13], v[14:15], v[6:7], -v[12:13]
	v_cndmask_b32_e32 v9, v9, v11, vcc
	v_cndmask_b32_e32 v8, v8, v10, vcc
	;; [unrolled: 1-line block ×4, first 2 shown]
	global_store_dwordx4 v[18:19], v[2:5], off
	global_store_dwordx4 v[22:23], v[6:9], off
.LBB3_21:
	s_endpgm
	.section	.rodata,"a",@progbits
	.p2align	6, 0x0
	.amdhsa_kernel _ZN9rocsolver6v33100L23getf2_npvt_small_kernelILi2E19rocblas_complex_numIdEiiPS3_EEvT1_T3_lS5_lPT2_S5_S5_
		.amdhsa_group_segment_fixed_size 0
		.amdhsa_private_segment_fixed_size 0
		.amdhsa_kernarg_size 312
		.amdhsa_user_sgpr_count 6
		.amdhsa_user_sgpr_private_segment_buffer 1
		.amdhsa_user_sgpr_dispatch_ptr 0
		.amdhsa_user_sgpr_queue_ptr 0
		.amdhsa_user_sgpr_kernarg_segment_ptr 1
		.amdhsa_user_sgpr_dispatch_id 0
		.amdhsa_user_sgpr_flat_scratch_init 0
		.amdhsa_user_sgpr_private_segment_size 0
		.amdhsa_uses_dynamic_stack 0
		.amdhsa_system_sgpr_private_segment_wavefront_offset 0
		.amdhsa_system_sgpr_workgroup_id_x 1
		.amdhsa_system_sgpr_workgroup_id_y 1
		.amdhsa_system_sgpr_workgroup_id_z 0
		.amdhsa_system_sgpr_workgroup_info 0
		.amdhsa_system_vgpr_workitem_id 1
		.amdhsa_next_free_vgpr 32
		.amdhsa_next_free_sgpr 20
		.amdhsa_reserve_vcc 1
		.amdhsa_reserve_flat_scratch 0
		.amdhsa_float_round_mode_32 0
		.amdhsa_float_round_mode_16_64 0
		.amdhsa_float_denorm_mode_32 3
		.amdhsa_float_denorm_mode_16_64 3
		.amdhsa_dx10_clamp 1
		.amdhsa_ieee_mode 1
		.amdhsa_fp16_overflow 0
		.amdhsa_exception_fp_ieee_invalid_op 0
		.amdhsa_exception_fp_denorm_src 0
		.amdhsa_exception_fp_ieee_div_zero 0
		.amdhsa_exception_fp_ieee_overflow 0
		.amdhsa_exception_fp_ieee_underflow 0
		.amdhsa_exception_fp_ieee_inexact 0
		.amdhsa_exception_int_div_zero 0
	.end_amdhsa_kernel
	.section	.text._ZN9rocsolver6v33100L23getf2_npvt_small_kernelILi2E19rocblas_complex_numIdEiiPS3_EEvT1_T3_lS5_lPT2_S5_S5_,"axG",@progbits,_ZN9rocsolver6v33100L23getf2_npvt_small_kernelILi2E19rocblas_complex_numIdEiiPS3_EEvT1_T3_lS5_lPT2_S5_S5_,comdat
.Lfunc_end3:
	.size	_ZN9rocsolver6v33100L23getf2_npvt_small_kernelILi2E19rocblas_complex_numIdEiiPS3_EEvT1_T3_lS5_lPT2_S5_S5_, .Lfunc_end3-_ZN9rocsolver6v33100L23getf2_npvt_small_kernelILi2E19rocblas_complex_numIdEiiPS3_EEvT1_T3_lS5_lPT2_S5_S5_
                                        ; -- End function
	.set _ZN9rocsolver6v33100L23getf2_npvt_small_kernelILi2E19rocblas_complex_numIdEiiPS3_EEvT1_T3_lS5_lPT2_S5_S5_.num_vgpr, 32
	.set _ZN9rocsolver6v33100L23getf2_npvt_small_kernelILi2E19rocblas_complex_numIdEiiPS3_EEvT1_T3_lS5_lPT2_S5_S5_.num_agpr, 0
	.set _ZN9rocsolver6v33100L23getf2_npvt_small_kernelILi2E19rocblas_complex_numIdEiiPS3_EEvT1_T3_lS5_lPT2_S5_S5_.numbered_sgpr, 20
	.set _ZN9rocsolver6v33100L23getf2_npvt_small_kernelILi2E19rocblas_complex_numIdEiiPS3_EEvT1_T3_lS5_lPT2_S5_S5_.num_named_barrier, 0
	.set _ZN9rocsolver6v33100L23getf2_npvt_small_kernelILi2E19rocblas_complex_numIdEiiPS3_EEvT1_T3_lS5_lPT2_S5_S5_.private_seg_size, 0
	.set _ZN9rocsolver6v33100L23getf2_npvt_small_kernelILi2E19rocblas_complex_numIdEiiPS3_EEvT1_T3_lS5_lPT2_S5_S5_.uses_vcc, 1
	.set _ZN9rocsolver6v33100L23getf2_npvt_small_kernelILi2E19rocblas_complex_numIdEiiPS3_EEvT1_T3_lS5_lPT2_S5_S5_.uses_flat_scratch, 0
	.set _ZN9rocsolver6v33100L23getf2_npvt_small_kernelILi2E19rocblas_complex_numIdEiiPS3_EEvT1_T3_lS5_lPT2_S5_S5_.has_dyn_sized_stack, 0
	.set _ZN9rocsolver6v33100L23getf2_npvt_small_kernelILi2E19rocblas_complex_numIdEiiPS3_EEvT1_T3_lS5_lPT2_S5_S5_.has_recursion, 0
	.set _ZN9rocsolver6v33100L23getf2_npvt_small_kernelILi2E19rocblas_complex_numIdEiiPS3_EEvT1_T3_lS5_lPT2_S5_S5_.has_indirect_call, 0
	.section	.AMDGPU.csdata,"",@progbits
; Kernel info:
; codeLenInByte = 1556
; TotalNumSgprs: 24
; NumVgprs: 32
; ScratchSize: 0
; MemoryBound: 0
; FloatMode: 240
; IeeeMode: 1
; LDSByteSize: 0 bytes/workgroup (compile time only)
; SGPRBlocks: 2
; VGPRBlocks: 7
; NumSGPRsForWavesPerEU: 24
; NumVGPRsForWavesPerEU: 32
; Occupancy: 8
; WaveLimiterHint : 0
; COMPUTE_PGM_RSRC2:SCRATCH_EN: 0
; COMPUTE_PGM_RSRC2:USER_SGPR: 6
; COMPUTE_PGM_RSRC2:TRAP_HANDLER: 0
; COMPUTE_PGM_RSRC2:TGID_X_EN: 1
; COMPUTE_PGM_RSRC2:TGID_Y_EN: 1
; COMPUTE_PGM_RSRC2:TGID_Z_EN: 0
; COMPUTE_PGM_RSRC2:TIDIG_COMP_CNT: 1
	.section	.text._ZN9rocsolver6v33100L18getf2_small_kernelILi3E19rocblas_complex_numIdEiiPS3_EEvT1_T3_lS5_lPS5_llPT2_S5_S5_S7_l,"axG",@progbits,_ZN9rocsolver6v33100L18getf2_small_kernelILi3E19rocblas_complex_numIdEiiPS3_EEvT1_T3_lS5_lPS5_llPT2_S5_S5_S7_l,comdat
	.globl	_ZN9rocsolver6v33100L18getf2_small_kernelILi3E19rocblas_complex_numIdEiiPS3_EEvT1_T3_lS5_lPS5_llPT2_S5_S5_S7_l ; -- Begin function _ZN9rocsolver6v33100L18getf2_small_kernelILi3E19rocblas_complex_numIdEiiPS3_EEvT1_T3_lS5_lPS5_llPT2_S5_S5_S7_l
	.p2align	8
	.type	_ZN9rocsolver6v33100L18getf2_small_kernelILi3E19rocblas_complex_numIdEiiPS3_EEvT1_T3_lS5_lPS5_llPT2_S5_S5_S7_l,@function
_ZN9rocsolver6v33100L18getf2_small_kernelILi3E19rocblas_complex_numIdEiiPS3_EEvT1_T3_lS5_lPS5_llPT2_S5_S5_S7_l: ; @_ZN9rocsolver6v33100L18getf2_small_kernelILi3E19rocblas_complex_numIdEiiPS3_EEvT1_T3_lS5_lPS5_llPT2_S5_S5_S7_l
; %bb.0:
	s_load_dword s0, s[4:5], 0x6c
	s_load_dwordx2 s[16:17], s[4:5], 0x48
	s_waitcnt lgkmcnt(0)
	s_lshr_b32 s0, s0, 16
	s_mul_i32 s7, s7, s0
	v_add_u32_e32 v18, s7, v1
	v_cmp_gt_i32_e32 vcc, s16, v18
	s_and_saveexec_b64 s[0:1], vcc
	s_cbranch_execz .LBB4_64
; %bb.1:
	s_load_dwordx4 s[0:3], s[4:5], 0x50
	v_mov_b32_e32 v20, 0
	v_ashrrev_i32_e32 v19, 31, v18
	v_mov_b32_e32 v21, 0
	s_waitcnt lgkmcnt(0)
	s_cmp_eq_u64 s[0:1], 0
	s_cselect_b64 s[18:19], -1, 0
	s_and_b64 vcc, exec, s[18:19]
	s_cbranch_vccnz .LBB4_3
; %bb.2:
	v_mul_lo_u32 v4, s3, v18
	v_mul_lo_u32 v5, s2, v19
	v_mad_u64_u32 v[2:3], s[2:3], s2, v18, 0
	v_add3_u32 v3, v3, v5, v4
	v_lshlrev_b64 v[2:3], 2, v[2:3]
	v_mov_b32_e32 v4, s1
	v_add_co_u32_e32 v20, vcc, s0, v2
	v_addc_co_u32_e32 v21, vcc, v4, v3, vcc
.LBB4_3:
	s_load_dwordx8 s[8:15], s[4:5], 0x20
	s_load_dwordx4 s[0:3], s[4:5], 0x8
	v_lshlrev_b32_e32 v22, 4, v0
	s_waitcnt lgkmcnt(0)
	v_mul_lo_u32 v4, s9, v18
	v_mul_lo_u32 v5, s8, v19
	v_mad_u64_u32 v[2:3], s[6:7], s8, v18, 0
	s_load_dword s8, s[4:5], 0x18
	s_load_dword s20, s[4:5], 0x0
	v_mov_b32_e32 v6, s1
	v_add3_u32 v3, v3, v5, v4
	v_lshlrev_b64 v[2:3], 4, v[2:3]
	s_waitcnt lgkmcnt(0)
	s_ashr_i32 s9, s8, 31
	v_add_co_u32_e32 v2, vcc, s0, v2
	v_addc_co_u32_e32 v3, vcc, v6, v3, vcc
	s_lshl_b64 s[0:1], s[2:3], 4
	v_mov_b32_e32 v4, s1
	v_add_co_u32_e32 v25, vcc, s0, v2
	v_addc_co_u32_e32 v26, vcc, v3, v4, vcc
	v_add_co_u32_e32 v2, vcc, v25, v22
	v_addc_co_u32_e32 v3, vcc, 0, v26, vcc
	s_lshl_b64 s[6:7], s[8:9], 4
	s_add_i32 s16, s8, s8
	global_load_dwordx4 v[6:9], v[2:3], off
	v_mov_b32_e32 v4, s7
	v_add_co_u32_e32 v14, vcc, s6, v2
	v_add_u32_e32 v2, s16, v0
	v_addc_co_u32_e32 v15, vcc, v3, v4, vcc
	v_ashrrev_i32_e32 v3, 31, v2
	v_lshlrev_b64 v[2:3], 4, v[2:3]
	s_max_i32 s0, s20, 3
	v_add_co_u32_e32 v16, vcc, v25, v2
	v_addc_co_u32_e32 v17, vcc, v26, v3, vcc
	global_load_dwordx4 v[10:13], v[16:17], off
	global_load_dwordx4 v[2:5], v[14:15], off
	v_mul_lo_u32 v23, s0, v1
	s_load_dwordx2 s[8:9], s[4:5], 0x40
	s_cmp_lt_i32 s20, 2
	v_lshl_add_u32 v1, v23, 4, 0
	v_add_u32_e32 v14, v1, v22
	v_lshlrev_b32_e32 v24, 4, v23
	v_mov_b32_e32 v22, 0
	s_waitcnt vmcnt(2)
	ds_write2_b64 v14, v[6:7], v[8:9] offset1:1
	s_waitcnt vmcnt(0) lgkmcnt(0)
	s_barrier
	ds_read2_b64 v[14:17], v1 offset1:1
	s_cbranch_scc1 .LBB4_6
; %bb.4:
	v_add3_u32 v23, v24, 0, 16
	s_mov_b32 s2, 1
	v_mov_b32_e32 v22, 0
.LBB4_5:                                ; =>This Inner Loop Header: Depth=1
	s_waitcnt lgkmcnt(0)
	v_cmp_gt_f64_e32 vcc, 0, v[16:17]
	v_cmp_gt_f64_e64 s[0:1], 0, v[14:15]
	ds_read2_b64 v[27:30], v23 offset1:1
	v_xor_b32_e32 v32, 0x80000000, v15
	v_xor_b32_e32 v34, 0x80000000, v17
	v_mov_b32_e32 v31, v14
	v_mov_b32_e32 v33, v16
	s_waitcnt lgkmcnt(0)
	v_xor_b32_e32 v36, 0x80000000, v30
	v_cndmask_b32_e32 v34, v17, v34, vcc
	v_cndmask_b32_e64 v32, v15, v32, s[0:1]
	v_cmp_gt_f64_e32 vcc, 0, v[29:30]
	v_cmp_gt_f64_e64 s[0:1], 0, v[27:28]
	v_add_f64 v[31:32], v[31:32], v[33:34]
	v_xor_b32_e32 v34, 0x80000000, v28
	v_mov_b32_e32 v33, v27
	v_mov_b32_e32 v35, v29
	v_add_u32_e32 v23, 16, v23
	v_cndmask_b32_e32 v36, v30, v36, vcc
	v_cndmask_b32_e64 v34, v28, v34, s[0:1]
	v_add_f64 v[33:34], v[33:34], v[35:36]
	v_mov_b32_e32 v35, s2
	s_add_i32 s2, s2, 1
	s_cmp_eq_u32 s20, s2
	v_cmp_lt_f64_e32 vcc, v[31:32], v[33:34]
	v_cndmask_b32_e32 v15, v15, v28, vcc
	v_cndmask_b32_e32 v14, v14, v27, vcc
	;; [unrolled: 1-line block ×5, first 2 shown]
	s_cbranch_scc0 .LBB4_5
.LBB4_6:
	s_waitcnt lgkmcnt(0)
	v_cmp_neq_f64_e32 vcc, 0, v[14:15]
	v_cmp_neq_f64_e64 s[0:1], 0, v[16:17]
	v_mov_b32_e32 v27, 1
	v_mov_b32_e32 v29, 1
	s_or_b64 s[2:3], vcc, s[0:1]
	s_and_saveexec_b64 s[0:1], s[2:3]
	s_cbranch_execz .LBB4_12
; %bb.7:
	v_cmp_ngt_f64_e64 s[2:3], |v[14:15]|, |v[16:17]|
	s_and_saveexec_b64 s[4:5], s[2:3]
	s_xor_b64 s[2:3], exec, s[4:5]
	s_cbranch_execz .LBB4_9
; %bb.8:
	v_div_scale_f64 v[27:28], s[4:5], v[16:17], v[16:17], v[14:15]
	v_rcp_f64_e32 v[29:30], v[27:28]
	v_fma_f64 v[31:32], -v[27:28], v[29:30], 1.0
	v_fma_f64 v[29:30], v[29:30], v[31:32], v[29:30]
	v_div_scale_f64 v[31:32], vcc, v[14:15], v[16:17], v[14:15]
	v_fma_f64 v[33:34], -v[27:28], v[29:30], 1.0
	v_fma_f64 v[29:30], v[29:30], v[33:34], v[29:30]
	v_mul_f64 v[33:34], v[31:32], v[29:30]
	v_fma_f64 v[27:28], -v[27:28], v[33:34], v[31:32]
	v_div_fmas_f64 v[27:28], v[27:28], v[29:30], v[33:34]
	v_div_fixup_f64 v[27:28], v[27:28], v[16:17], v[14:15]
	v_fma_f64 v[14:15], v[14:15], v[27:28], v[16:17]
	v_div_scale_f64 v[16:17], s[4:5], v[14:15], v[14:15], 1.0
	v_div_scale_f64 v[33:34], vcc, 1.0, v[14:15], 1.0
	v_rcp_f64_e32 v[29:30], v[16:17]
	v_fma_f64 v[31:32], -v[16:17], v[29:30], 1.0
	v_fma_f64 v[29:30], v[29:30], v[31:32], v[29:30]
	v_fma_f64 v[31:32], -v[16:17], v[29:30], 1.0
	v_fma_f64 v[29:30], v[29:30], v[31:32], v[29:30]
	v_mul_f64 v[31:32], v[33:34], v[29:30]
	v_fma_f64 v[16:17], -v[16:17], v[31:32], v[33:34]
	v_div_fmas_f64 v[16:17], v[16:17], v[29:30], v[31:32]
	v_div_fixup_f64 v[16:17], v[16:17], v[14:15], 1.0
	v_mul_f64 v[14:15], v[27:28], v[16:17]
	v_xor_b32_e32 v17, 0x80000000, v17
.LBB4_9:
	s_andn2_saveexec_b64 s[2:3], s[2:3]
	s_cbranch_execz .LBB4_11
; %bb.10:
	v_div_scale_f64 v[27:28], s[4:5], v[14:15], v[14:15], v[16:17]
	v_rcp_f64_e32 v[29:30], v[27:28]
	v_fma_f64 v[31:32], -v[27:28], v[29:30], 1.0
	v_fma_f64 v[29:30], v[29:30], v[31:32], v[29:30]
	v_div_scale_f64 v[31:32], vcc, v[16:17], v[14:15], v[16:17]
	v_fma_f64 v[33:34], -v[27:28], v[29:30], 1.0
	v_fma_f64 v[29:30], v[29:30], v[33:34], v[29:30]
	v_mul_f64 v[33:34], v[31:32], v[29:30]
	v_fma_f64 v[27:28], -v[27:28], v[33:34], v[31:32]
	v_div_fmas_f64 v[27:28], v[27:28], v[29:30], v[33:34]
	v_div_fixup_f64 v[27:28], v[27:28], v[14:15], v[16:17]
	v_fma_f64 v[14:15], v[16:17], v[27:28], v[14:15]
	v_div_scale_f64 v[16:17], s[4:5], v[14:15], v[14:15], 1.0
	v_div_scale_f64 v[33:34], vcc, 1.0, v[14:15], 1.0
	v_rcp_f64_e32 v[29:30], v[16:17]
	v_fma_f64 v[31:32], -v[16:17], v[29:30], 1.0
	v_fma_f64 v[29:30], v[29:30], v[31:32], v[29:30]
	v_fma_f64 v[31:32], -v[16:17], v[29:30], 1.0
	v_fma_f64 v[29:30], v[29:30], v[31:32], v[29:30]
	v_mul_f64 v[31:32], v[33:34], v[29:30]
	v_fma_f64 v[16:17], -v[16:17], v[31:32], v[33:34]
	v_div_fmas_f64 v[16:17], v[16:17], v[29:30], v[31:32]
	v_div_fixup_f64 v[14:15], v[16:17], v[14:15], 1.0
	v_mul_f64 v[16:17], v[27:28], -v[14:15]
.LBB4_11:
	s_or_b64 exec, exec, s[2:3]
	v_mov_b32_e32 v29, 0
	v_mov_b32_e32 v27, 2
.LBB4_12:
	s_or_b64 exec, exec, s[0:1]
	v_cmp_ne_u32_e32 vcc, v0, v22
	s_and_saveexec_b64 s[0:1], vcc
	s_xor_b64 s[0:1], exec, s[0:1]
	s_cbranch_execz .LBB4_18
; %bb.13:
	v_cmp_eq_u32_e32 vcc, 0, v0
	s_and_saveexec_b64 s[2:3], vcc
	s_cbranch_execz .LBB4_17
; %bb.14:
	v_cmp_ne_u32_e32 vcc, 0, v22
	s_xor_b64 s[4:5], s[18:19], -1
	s_and_b64 s[22:23], s[4:5], vcc
	s_and_saveexec_b64 s[4:5], s[22:23]
	s_cbranch_execz .LBB4_16
; %bb.15:
	v_ashrrev_i32_e32 v23, 31, v22
	v_lshlrev_b64 v[30:31], 2, v[22:23]
	v_add_co_u32_e32 v30, vcc, v20, v30
	v_addc_co_u32_e32 v31, vcc, v21, v31, vcc
	global_load_dword v0, v[30:31], off
	global_load_dword v23, v[20:21], off
	s_waitcnt vmcnt(1)
	global_store_dword v[20:21], v0, off
	s_waitcnt vmcnt(1)
	global_store_dword v[30:31], v23, off
.LBB4_16:
	s_or_b64 exec, exec, s[4:5]
	v_mov_b32_e32 v0, v22
.LBB4_17:
	s_or_b64 exec, exec, s[2:3]
.LBB4_18:
	s_or_saveexec_b64 s[0:1], s[0:1]
	v_mov_b32_e32 v28, v0
	s_xor_b64 exec, exec, s[0:1]
	s_cbranch_execz .LBB4_20
; %bb.19:
	v_mov_b32_e32 v28, 0
	ds_write2_b64 v1, v[2:3], v[4:5] offset0:2 offset1:3
	ds_write2_b64 v1, v[10:11], v[12:13] offset0:4 offset1:5
.LBB4_20:
	s_or_b64 exec, exec, s[0:1]
	v_cmp_lt_i32_e32 vcc, 0, v28
	s_waitcnt vmcnt(0) lgkmcnt(0)
	s_barrier
	s_and_saveexec_b64 s[0:1], vcc
	s_cbranch_execz .LBB4_22
; %bb.21:
	v_mul_f64 v[22:23], v[14:15], v[8:9]
	v_mul_f64 v[8:9], v[16:17], v[8:9]
	ds_read2_b64 v[30:33], v1 offset0:2 offset1:3
	ds_read2_b64 v[34:37], v1 offset0:4 offset1:5
	v_fma_f64 v[16:17], v[16:17], v[6:7], v[22:23]
	v_fma_f64 v[6:7], v[14:15], v[6:7], -v[8:9]
	s_waitcnt lgkmcnt(1)
	v_mul_f64 v[8:9], v[32:33], v[16:17]
	v_mul_f64 v[14:15], v[30:31], v[16:17]
	s_waitcnt lgkmcnt(0)
	v_mul_f64 v[22:23], v[36:37], v[16:17]
	v_mul_f64 v[38:39], v[34:35], v[16:17]
	v_fma_f64 v[8:9], v[30:31], v[6:7], -v[8:9]
	v_fma_f64 v[14:15], v[32:33], v[6:7], v[14:15]
	v_fma_f64 v[22:23], v[34:35], v[6:7], -v[22:23]
	v_fma_f64 v[30:31], v[36:37], v[6:7], v[38:39]
	v_add_f64 v[2:3], v[2:3], -v[8:9]
	v_add_f64 v[4:5], v[4:5], -v[14:15]
	v_add_f64 v[10:11], v[10:11], -v[22:23]
	v_add_f64 v[12:13], v[12:13], -v[30:31]
	v_mov_b32_e32 v8, v16
	v_mov_b32_e32 v9, v17
.LBB4_22:
	s_or_b64 exec, exec, s[0:1]
	v_lshl_add_u32 v14, v28, 4, v1
	s_barrier
	ds_write2_b64 v14, v[2:3], v[4:5] offset1:1
	s_waitcnt lgkmcnt(0)
	s_barrier
	ds_read2_b64 v[14:17], v1 offset0:2 offset1:3
	s_cmp_lt_i32 s20, 3
	v_mov_b32_e32 v22, 1
	s_cbranch_scc1 .LBB4_25
; %bb.23:
	v_add3_u32 v23, v24, 0, 32
	s_mov_b32 s21, 2
	v_mov_b32_e32 v22, 1
.LBB4_24:                               ; =>This Inner Loop Header: Depth=1
	ds_read2_b64 v[30:33], v23 offset1:1
	s_waitcnt lgkmcnt(1)
	v_cmp_gt_f64_e32 vcc, 0, v[16:17]
	v_cmp_gt_f64_e64 s[0:1], 0, v[14:15]
	v_xor_b32_e32 v35, 0x80000000, v15
	v_xor_b32_e32 v37, 0x80000000, v17
	s_waitcnt lgkmcnt(0)
	v_cmp_gt_f64_e64 s[2:3], 0, v[30:31]
	v_cmp_gt_f64_e64 s[4:5], 0, v[32:33]
	v_xor_b32_e32 v39, 0x80000000, v31
	v_xor_b32_e32 v41, 0x80000000, v33
	v_mov_b32_e32 v34, v14
	v_mov_b32_e32 v36, v16
	;; [unrolled: 1-line block ×4, first 2 shown]
	v_cndmask_b32_e64 v35, v15, v35, s[0:1]
	v_cndmask_b32_e32 v37, v17, v37, vcc
	v_cndmask_b32_e64 v39, v31, v39, s[2:3]
	v_cndmask_b32_e64 v41, v33, v41, s[4:5]
	v_add_f64 v[34:35], v[34:35], v[36:37]
	v_add_f64 v[36:37], v[38:39], v[40:41]
	v_mov_b32_e32 v38, s21
	s_add_i32 s21, s21, 1
	v_add_u32_e32 v23, 16, v23
	s_cmp_lg_u32 s20, s21
	v_cmp_lt_f64_e32 vcc, v[34:35], v[36:37]
	v_cndmask_b32_e32 v15, v15, v31, vcc
	v_cndmask_b32_e32 v14, v14, v30, vcc
	;; [unrolled: 1-line block ×5, first 2 shown]
	s_cbranch_scc1 .LBB4_24
.LBB4_25:
	s_waitcnt lgkmcnt(0)
	v_cmp_neq_f64_e32 vcc, 0, v[14:15]
	v_cmp_neq_f64_e64 s[0:1], 0, v[16:17]
	s_or_b64 s[2:3], vcc, s[0:1]
	s_and_saveexec_b64 s[0:1], s[2:3]
	s_cbranch_execz .LBB4_31
; %bb.26:
	v_cmp_ngt_f64_e64 s[2:3], |v[14:15]|, |v[16:17]|
	s_and_saveexec_b64 s[4:5], s[2:3]
	s_xor_b64 s[2:3], exec, s[4:5]
	s_cbranch_execz .LBB4_28
; %bb.27:
	v_div_scale_f64 v[30:31], s[4:5], v[16:17], v[16:17], v[14:15]
	v_rcp_f64_e32 v[32:33], v[30:31]
	v_fma_f64 v[34:35], -v[30:31], v[32:33], 1.0
	v_fma_f64 v[32:33], v[32:33], v[34:35], v[32:33]
	v_div_scale_f64 v[34:35], vcc, v[14:15], v[16:17], v[14:15]
	v_fma_f64 v[36:37], -v[30:31], v[32:33], 1.0
	v_fma_f64 v[32:33], v[32:33], v[36:37], v[32:33]
	v_mul_f64 v[36:37], v[34:35], v[32:33]
	v_fma_f64 v[30:31], -v[30:31], v[36:37], v[34:35]
	v_div_fmas_f64 v[30:31], v[30:31], v[32:33], v[36:37]
	v_div_fixup_f64 v[30:31], v[30:31], v[16:17], v[14:15]
	v_fma_f64 v[14:15], v[14:15], v[30:31], v[16:17]
	v_div_scale_f64 v[16:17], s[4:5], v[14:15], v[14:15], 1.0
	v_div_scale_f64 v[36:37], vcc, 1.0, v[14:15], 1.0
	v_rcp_f64_e32 v[32:33], v[16:17]
	v_fma_f64 v[34:35], -v[16:17], v[32:33], 1.0
	v_fma_f64 v[32:33], v[32:33], v[34:35], v[32:33]
	v_fma_f64 v[34:35], -v[16:17], v[32:33], 1.0
	v_fma_f64 v[32:33], v[32:33], v[34:35], v[32:33]
	v_mul_f64 v[34:35], v[36:37], v[32:33]
	v_fma_f64 v[16:17], -v[16:17], v[34:35], v[36:37]
	v_div_fmas_f64 v[16:17], v[16:17], v[32:33], v[34:35]
	v_div_fixup_f64 v[16:17], v[16:17], v[14:15], 1.0
	v_mul_f64 v[14:15], v[30:31], v[16:17]
	v_xor_b32_e32 v17, 0x80000000, v17
.LBB4_28:
	s_andn2_saveexec_b64 s[2:3], s[2:3]
	s_cbranch_execz .LBB4_30
; %bb.29:
	v_div_scale_f64 v[30:31], s[4:5], v[14:15], v[14:15], v[16:17]
	v_rcp_f64_e32 v[32:33], v[30:31]
	v_fma_f64 v[34:35], -v[30:31], v[32:33], 1.0
	v_fma_f64 v[32:33], v[32:33], v[34:35], v[32:33]
	v_div_scale_f64 v[34:35], vcc, v[16:17], v[14:15], v[16:17]
	v_fma_f64 v[36:37], -v[30:31], v[32:33], 1.0
	v_fma_f64 v[32:33], v[32:33], v[36:37], v[32:33]
	v_mul_f64 v[36:37], v[34:35], v[32:33]
	v_fma_f64 v[30:31], -v[30:31], v[36:37], v[34:35]
	v_div_fmas_f64 v[30:31], v[30:31], v[32:33], v[36:37]
	v_div_fixup_f64 v[30:31], v[30:31], v[14:15], v[16:17]
	v_fma_f64 v[14:15], v[16:17], v[30:31], v[14:15]
	v_div_scale_f64 v[16:17], s[4:5], v[14:15], v[14:15], 1.0
	v_div_scale_f64 v[36:37], vcc, 1.0, v[14:15], 1.0
	v_rcp_f64_e32 v[32:33], v[16:17]
	v_fma_f64 v[34:35], -v[16:17], v[32:33], 1.0
	v_fma_f64 v[32:33], v[32:33], v[34:35], v[32:33]
	v_fma_f64 v[34:35], -v[16:17], v[32:33], 1.0
	v_fma_f64 v[32:33], v[32:33], v[34:35], v[32:33]
	v_mul_f64 v[34:35], v[36:37], v[32:33]
	v_fma_f64 v[16:17], -v[16:17], v[34:35], v[36:37]
	v_div_fmas_f64 v[16:17], v[16:17], v[32:33], v[34:35]
	v_div_fixup_f64 v[14:15], v[16:17], v[14:15], 1.0
	v_mul_f64 v[16:17], v[30:31], -v[14:15]
.LBB4_30:
	s_or_b64 exec, exec, s[2:3]
	v_mov_b32_e32 v27, v29
.LBB4_31:
	s_or_b64 exec, exec, s[0:1]
	v_cmp_ne_u32_e32 vcc, v28, v22
	s_and_saveexec_b64 s[0:1], vcc
	s_xor_b64 s[0:1], exec, s[0:1]
	s_cbranch_execz .LBB4_37
; %bb.32:
	v_cmp_eq_u32_e32 vcc, 1, v28
	s_and_saveexec_b64 s[2:3], vcc
	s_cbranch_execz .LBB4_36
; %bb.33:
	v_cmp_ne_u32_e32 vcc, 1, v22
	s_xor_b64 s[4:5], s[18:19], -1
	s_and_b64 s[22:23], s[4:5], vcc
	s_and_saveexec_b64 s[4:5], s[22:23]
	s_cbranch_execz .LBB4_35
; %bb.34:
	v_ashrrev_i32_e32 v23, 31, v22
	v_lshlrev_b64 v[28:29], 2, v[22:23]
	v_add_co_u32_e32 v28, vcc, v20, v28
	v_addc_co_u32_e32 v29, vcc, v21, v29, vcc
	global_load_dword v0, v[28:29], off
	global_load_dword v23, v[20:21], off offset:4
	s_waitcnt vmcnt(1)
	global_store_dword v[20:21], v0, off offset:4
	s_waitcnt vmcnt(1)
	global_store_dword v[28:29], v23, off
.LBB4_35:
	s_or_b64 exec, exec, s[4:5]
	v_mov_b32_e32 v28, v22
	v_mov_b32_e32 v0, v22
.LBB4_36:
	s_or_b64 exec, exec, s[2:3]
.LBB4_37:
	s_andn2_saveexec_b64 s[0:1], s[0:1]
; %bb.38:
	v_mov_b32_e32 v28, 1
	ds_write2_b64 v1, v[10:11], v[12:13] offset0:4 offset1:5
; %bb.39:
	s_or_b64 exec, exec, s[0:1]
	v_cmp_lt_i32_e32 vcc, 1, v28
	s_waitcnt vmcnt(0) lgkmcnt(0)
	s_barrier
	s_and_saveexec_b64 s[0:1], vcc
	s_cbranch_execz .LBB4_41
; %bb.40:
	v_mul_f64 v[22:23], v[14:15], v[4:5]
	v_mul_f64 v[4:5], v[16:17], v[4:5]
	ds_read2_b64 v[29:32], v1 offset0:4 offset1:5
	v_fma_f64 v[16:17], v[16:17], v[2:3], v[22:23]
	v_fma_f64 v[2:3], v[14:15], v[2:3], -v[4:5]
	s_waitcnt lgkmcnt(0)
	v_mul_f64 v[4:5], v[31:32], v[16:17]
	v_mul_f64 v[14:15], v[29:30], v[16:17]
	v_fma_f64 v[4:5], v[29:30], v[2:3], -v[4:5]
	v_fma_f64 v[14:15], v[31:32], v[2:3], v[14:15]
	v_add_f64 v[10:11], v[10:11], -v[4:5]
	v_add_f64 v[12:13], v[12:13], -v[14:15]
	v_mov_b32_e32 v4, v16
	v_mov_b32_e32 v5, v17
.LBB4_41:
	s_or_b64 exec, exec, s[0:1]
	v_lshl_add_u32 v14, v28, 4, v1
	s_barrier
	ds_write2_b64 v14, v[10:11], v[12:13] offset1:1
	s_waitcnt lgkmcnt(0)
	s_barrier
	ds_read2_b64 v[14:17], v1 offset0:4 offset1:5
	s_cmp_lt_i32 s20, 4
	v_mov_b32_e32 v22, 2
	s_cbranch_scc1 .LBB4_44
; %bb.42:
	v_add3_u32 v1, v24, 0, 48
	s_mov_b32 s2, 3
	v_mov_b32_e32 v22, 2
.LBB4_43:                               ; =>This Inner Loop Header: Depth=1
	s_waitcnt lgkmcnt(0)
	v_cmp_gt_f64_e32 vcc, 0, v[16:17]
	v_cmp_gt_f64_e64 s[0:1], 0, v[14:15]
	ds_read2_b64 v[29:32], v1 offset1:1
	v_xor_b32_e32 v24, 0x80000000, v15
	v_xor_b32_e32 v34, 0x80000000, v17
	v_mov_b32_e32 v23, v14
	v_mov_b32_e32 v33, v16
	s_waitcnt lgkmcnt(0)
	v_xor_b32_e32 v36, 0x80000000, v32
	v_cndmask_b32_e32 v34, v17, v34, vcc
	v_cndmask_b32_e64 v24, v15, v24, s[0:1]
	v_cmp_gt_f64_e32 vcc, 0, v[31:32]
	v_cmp_gt_f64_e64 s[0:1], 0, v[29:30]
	v_add_f64 v[23:24], v[23:24], v[33:34]
	v_xor_b32_e32 v34, 0x80000000, v30
	v_mov_b32_e32 v33, v29
	v_mov_b32_e32 v35, v31
	v_add_u32_e32 v1, 16, v1
	v_cndmask_b32_e32 v36, v32, v36, vcc
	v_cndmask_b32_e64 v34, v30, v34, s[0:1]
	v_add_f64 v[33:34], v[33:34], v[35:36]
	v_mov_b32_e32 v35, s2
	s_add_i32 s2, s2, 1
	s_cmp_lg_u32 s20, s2
	v_cmp_lt_f64_e32 vcc, v[23:24], v[33:34]
	v_cndmask_b32_e32 v15, v15, v30, vcc
	v_cndmask_b32_e32 v14, v14, v29, vcc
	v_cndmask_b32_e32 v17, v17, v32, vcc
	v_cndmask_b32_e32 v16, v16, v31, vcc
	v_cndmask_b32_e32 v22, v22, v35, vcc
	s_cbranch_scc1 .LBB4_43
.LBB4_44:
	s_waitcnt lgkmcnt(0)
	v_cmp_eq_f64_e32 vcc, 0, v[14:15]
	v_cmp_eq_f64_e64 s[0:1], 0, v[16:17]
	s_and_b64 s[0:1], vcc, s[0:1]
	s_and_saveexec_b64 s[2:3], s[0:1]
	s_xor_b64 s[0:1], exec, s[2:3]
; %bb.45:
	v_cmp_ne_u32_e32 vcc, 0, v27
	v_cndmask_b32_e32 v27, 3, v27, vcc
; %bb.46:
	s_andn2_saveexec_b64 s[0:1], s[0:1]
	s_cbranch_execz .LBB4_52
; %bb.47:
	v_cmp_ngt_f64_e64 s[2:3], |v[14:15]|, |v[16:17]|
	s_and_saveexec_b64 s[4:5], s[2:3]
	s_xor_b64 s[2:3], exec, s[4:5]
	s_cbranch_execz .LBB4_49
; %bb.48:
	v_div_scale_f64 v[23:24], s[4:5], v[16:17], v[16:17], v[14:15]
	v_rcp_f64_e32 v[29:30], v[23:24]
	v_fma_f64 v[31:32], -v[23:24], v[29:30], 1.0
	v_fma_f64 v[29:30], v[29:30], v[31:32], v[29:30]
	v_div_scale_f64 v[31:32], vcc, v[14:15], v[16:17], v[14:15]
	v_fma_f64 v[33:34], -v[23:24], v[29:30], 1.0
	v_fma_f64 v[29:30], v[29:30], v[33:34], v[29:30]
	v_mul_f64 v[33:34], v[31:32], v[29:30]
	v_fma_f64 v[23:24], -v[23:24], v[33:34], v[31:32]
	v_div_fmas_f64 v[23:24], v[23:24], v[29:30], v[33:34]
	v_div_fixup_f64 v[23:24], v[23:24], v[16:17], v[14:15]
	v_fma_f64 v[14:15], v[14:15], v[23:24], v[16:17]
	v_div_scale_f64 v[16:17], s[4:5], v[14:15], v[14:15], 1.0
	v_div_scale_f64 v[33:34], vcc, 1.0, v[14:15], 1.0
	v_rcp_f64_e32 v[29:30], v[16:17]
	v_fma_f64 v[31:32], -v[16:17], v[29:30], 1.0
	v_fma_f64 v[29:30], v[29:30], v[31:32], v[29:30]
	v_fma_f64 v[31:32], -v[16:17], v[29:30], 1.0
	v_fma_f64 v[29:30], v[29:30], v[31:32], v[29:30]
	v_mul_f64 v[31:32], v[33:34], v[29:30]
	v_fma_f64 v[16:17], -v[16:17], v[31:32], v[33:34]
	v_div_fmas_f64 v[16:17], v[16:17], v[29:30], v[31:32]
	v_div_fixup_f64 v[16:17], v[16:17], v[14:15], 1.0
	v_mul_f64 v[14:15], v[23:24], v[16:17]
	v_xor_b32_e32 v17, 0x80000000, v17
.LBB4_49:
	s_andn2_saveexec_b64 s[2:3], s[2:3]
	s_cbranch_execz .LBB4_51
; %bb.50:
	v_div_scale_f64 v[23:24], s[4:5], v[14:15], v[14:15], v[16:17]
	v_rcp_f64_e32 v[29:30], v[23:24]
	v_fma_f64 v[31:32], -v[23:24], v[29:30], 1.0
	v_fma_f64 v[29:30], v[29:30], v[31:32], v[29:30]
	v_div_scale_f64 v[31:32], vcc, v[16:17], v[14:15], v[16:17]
	v_fma_f64 v[33:34], -v[23:24], v[29:30], 1.0
	v_fma_f64 v[29:30], v[29:30], v[33:34], v[29:30]
	v_mul_f64 v[33:34], v[31:32], v[29:30]
	v_fma_f64 v[23:24], -v[23:24], v[33:34], v[31:32]
	v_div_fmas_f64 v[23:24], v[23:24], v[29:30], v[33:34]
	v_div_fixup_f64 v[23:24], v[23:24], v[14:15], v[16:17]
	v_fma_f64 v[14:15], v[16:17], v[23:24], v[14:15]
	v_div_scale_f64 v[16:17], s[4:5], v[14:15], v[14:15], 1.0
	v_div_scale_f64 v[33:34], vcc, 1.0, v[14:15], 1.0
	v_rcp_f64_e32 v[29:30], v[16:17]
	v_fma_f64 v[31:32], -v[16:17], v[29:30], 1.0
	v_fma_f64 v[29:30], v[29:30], v[31:32], v[29:30]
	v_fma_f64 v[31:32], -v[16:17], v[29:30], 1.0
	v_fma_f64 v[29:30], v[29:30], v[31:32], v[29:30]
	v_mul_f64 v[31:32], v[33:34], v[29:30]
	v_fma_f64 v[16:17], -v[16:17], v[31:32], v[33:34]
	v_div_fmas_f64 v[16:17], v[16:17], v[29:30], v[31:32]
	v_div_fixup_f64 v[14:15], v[16:17], v[14:15], 1.0
	v_mul_f64 v[16:17], v[23:24], -v[14:15]
.LBB4_51:
	s_or_b64 exec, exec, s[2:3]
.LBB4_52:
	s_or_b64 exec, exec, s[0:1]
	v_cmp_ne_u32_e32 vcc, v28, v22
	v_mov_b32_e32 v23, 2
	s_and_saveexec_b64 s[0:1], vcc
	s_cbranch_execz .LBB4_58
; %bb.53:
	v_cmp_eq_u32_e32 vcc, 2, v28
	s_and_saveexec_b64 s[2:3], vcc
	s_cbranch_execz .LBB4_57
; %bb.54:
	v_cmp_ne_u32_e32 vcc, 2, v22
	s_xor_b64 s[4:5], s[18:19], -1
	s_and_b64 s[18:19], s[4:5], vcc
	s_and_saveexec_b64 s[4:5], s[18:19]
	s_cbranch_execz .LBB4_56
; %bb.55:
	v_ashrrev_i32_e32 v23, 31, v22
	v_lshlrev_b64 v[0:1], 2, v[22:23]
	v_add_co_u32_e32 v0, vcc, v20, v0
	v_addc_co_u32_e32 v1, vcc, v21, v1, vcc
	global_load_dword v23, v[0:1], off
	global_load_dword v24, v[20:21], off offset:8
	s_waitcnt vmcnt(1)
	global_store_dword v[20:21], v23, off offset:8
	s_waitcnt vmcnt(1)
	global_store_dword v[0:1], v24, off
.LBB4_56:
	s_or_b64 exec, exec, s[4:5]
	v_mov_b32_e32 v28, v22
	v_mov_b32_e32 v0, v22
.LBB4_57:
	s_or_b64 exec, exec, s[2:3]
	v_mov_b32_e32 v23, v28
.LBB4_58:
	s_or_b64 exec, exec, s[0:1]
	v_cmp_gt_i32_e32 vcc, 3, v23
	v_ashrrev_i32_e32 v24, 31, v23
	s_waitcnt vmcnt(0)
	s_barrier
	s_barrier
	s_and_saveexec_b64 s[0:1], vcc
	s_cbranch_execz .LBB4_60
; %bb.59:
	v_mul_lo_u32 v1, s15, v18
	v_mul_lo_u32 v22, s14, v19
	v_mad_u64_u32 v[20:21], s[2:3], s14, v18, 0
	s_lshl_b64 s[2:3], s[12:13], 2
	v_add3_u32 v0, v0, s17, 1
	v_add3_u32 v21, v21, v22, v1
	v_lshlrev_b64 v[20:21], 2, v[20:21]
	v_mov_b32_e32 v1, s11
	v_add_co_u32_e32 v20, vcc, s10, v20
	v_addc_co_u32_e32 v1, vcc, v1, v21, vcc
	v_mov_b32_e32 v21, s3
	v_add_co_u32_e32 v22, vcc, s2, v20
	v_addc_co_u32_e32 v1, vcc, v1, v21, vcc
	v_lshlrev_b64 v[20:21], 2, v[23:24]
	v_add_co_u32_e32 v20, vcc, v22, v20
	v_addc_co_u32_e32 v21, vcc, v1, v21, vcc
	global_store_dword v[20:21], v0, off
.LBB4_60:
	s_or_b64 exec, exec, s[0:1]
	v_cmp_eq_u32_e32 vcc, 0, v23
	s_and_saveexec_b64 s[2:3], vcc
	s_cbranch_execz .LBB4_63
; %bb.61:
	v_lshlrev_b64 v[0:1], 2, v[18:19]
	v_mov_b32_e32 v18, s9
	v_add_co_u32_e32 v0, vcc, s8, v0
	v_addc_co_u32_e32 v1, vcc, v18, v1, vcc
	global_load_dword v18, v[0:1], off
	v_cmp_ne_u32_e64 s[0:1], 0, v27
	s_waitcnt vmcnt(0)
	v_cmp_eq_u32_e32 vcc, 0, v18
	s_and_b64 s[0:1], vcc, s[0:1]
	s_and_b64 exec, exec, s[0:1]
	s_cbranch_execz .LBB4_63
; %bb.62:
	v_add_u32_e32 v18, s17, v27
	global_store_dword v[0:1], v18, off
.LBB4_63:
	s_or_b64 exec, exec, s[2:3]
	v_mul_f64 v[0:1], v[14:15], v[12:13]
	v_mul_f64 v[18:19], v[16:17], v[12:13]
	v_lshlrev_b64 v[20:21], 4, v[23:24]
	v_mov_b32_e32 v22, s7
	v_fma_f64 v[0:1], v[16:17], v[10:11], v[0:1]
	v_fma_f64 v[14:15], v[14:15], v[10:11], -v[18:19]
	v_add_co_u32_e32 v16, vcc, v25, v20
	v_addc_co_u32_e32 v17, vcc, v26, v21, vcc
	v_cmp_lt_i32_e32 vcc, 2, v23
	global_store_dwordx4 v[16:17], v[6:9], off
	s_nop 0
	v_cndmask_b32_e32 v9, v13, v1, vcc
	v_cndmask_b32_e32 v8, v12, v0, vcc
	;; [unrolled: 1-line block ×4, first 2 shown]
	v_add_co_u32_e32 v0, vcc, s6, v16
	v_addc_co_u32_e32 v1, vcc, v17, v22, vcc
	global_store_dwordx4 v[0:1], v[2:5], off
	v_add_u32_e32 v0, s16, v23
	v_ashrrev_i32_e32 v1, 31, v0
	v_lshlrev_b64 v[0:1], 4, v[0:1]
	v_add_co_u32_e32 v0, vcc, v25, v0
	v_addc_co_u32_e32 v1, vcc, v26, v1, vcc
	global_store_dwordx4 v[0:1], v[6:9], off
.LBB4_64:
	s_endpgm
	.section	.rodata,"a",@progbits
	.p2align	6, 0x0
	.amdhsa_kernel _ZN9rocsolver6v33100L18getf2_small_kernelILi3E19rocblas_complex_numIdEiiPS3_EEvT1_T3_lS5_lPS5_llPT2_S5_S5_S7_l
		.amdhsa_group_segment_fixed_size 0
		.amdhsa_private_segment_fixed_size 0
		.amdhsa_kernarg_size 352
		.amdhsa_user_sgpr_count 6
		.amdhsa_user_sgpr_private_segment_buffer 1
		.amdhsa_user_sgpr_dispatch_ptr 0
		.amdhsa_user_sgpr_queue_ptr 0
		.amdhsa_user_sgpr_kernarg_segment_ptr 1
		.amdhsa_user_sgpr_dispatch_id 0
		.amdhsa_user_sgpr_flat_scratch_init 0
		.amdhsa_user_sgpr_private_segment_size 0
		.amdhsa_uses_dynamic_stack 0
		.amdhsa_system_sgpr_private_segment_wavefront_offset 0
		.amdhsa_system_sgpr_workgroup_id_x 1
		.amdhsa_system_sgpr_workgroup_id_y 1
		.amdhsa_system_sgpr_workgroup_id_z 0
		.amdhsa_system_sgpr_workgroup_info 0
		.amdhsa_system_vgpr_workitem_id 1
		.amdhsa_next_free_vgpr 42
		.amdhsa_next_free_sgpr 24
		.amdhsa_reserve_vcc 1
		.amdhsa_reserve_flat_scratch 0
		.amdhsa_float_round_mode_32 0
		.amdhsa_float_round_mode_16_64 0
		.amdhsa_float_denorm_mode_32 3
		.amdhsa_float_denorm_mode_16_64 3
		.amdhsa_dx10_clamp 1
		.amdhsa_ieee_mode 1
		.amdhsa_fp16_overflow 0
		.amdhsa_exception_fp_ieee_invalid_op 0
		.amdhsa_exception_fp_denorm_src 0
		.amdhsa_exception_fp_ieee_div_zero 0
		.amdhsa_exception_fp_ieee_overflow 0
		.amdhsa_exception_fp_ieee_underflow 0
		.amdhsa_exception_fp_ieee_inexact 0
		.amdhsa_exception_int_div_zero 0
	.end_amdhsa_kernel
	.section	.text._ZN9rocsolver6v33100L18getf2_small_kernelILi3E19rocblas_complex_numIdEiiPS3_EEvT1_T3_lS5_lPS5_llPT2_S5_S5_S7_l,"axG",@progbits,_ZN9rocsolver6v33100L18getf2_small_kernelILi3E19rocblas_complex_numIdEiiPS3_EEvT1_T3_lS5_lPS5_llPT2_S5_S5_S7_l,comdat
.Lfunc_end4:
	.size	_ZN9rocsolver6v33100L18getf2_small_kernelILi3E19rocblas_complex_numIdEiiPS3_EEvT1_T3_lS5_lPS5_llPT2_S5_S5_S7_l, .Lfunc_end4-_ZN9rocsolver6v33100L18getf2_small_kernelILi3E19rocblas_complex_numIdEiiPS3_EEvT1_T3_lS5_lPS5_llPT2_S5_S5_S7_l
                                        ; -- End function
	.set _ZN9rocsolver6v33100L18getf2_small_kernelILi3E19rocblas_complex_numIdEiiPS3_EEvT1_T3_lS5_lPS5_llPT2_S5_S5_S7_l.num_vgpr, 42
	.set _ZN9rocsolver6v33100L18getf2_small_kernelILi3E19rocblas_complex_numIdEiiPS3_EEvT1_T3_lS5_lPS5_llPT2_S5_S5_S7_l.num_agpr, 0
	.set _ZN9rocsolver6v33100L18getf2_small_kernelILi3E19rocblas_complex_numIdEiiPS3_EEvT1_T3_lS5_lPS5_llPT2_S5_S5_S7_l.numbered_sgpr, 24
	.set _ZN9rocsolver6v33100L18getf2_small_kernelILi3E19rocblas_complex_numIdEiiPS3_EEvT1_T3_lS5_lPS5_llPT2_S5_S5_S7_l.num_named_barrier, 0
	.set _ZN9rocsolver6v33100L18getf2_small_kernelILi3E19rocblas_complex_numIdEiiPS3_EEvT1_T3_lS5_lPS5_llPT2_S5_S5_S7_l.private_seg_size, 0
	.set _ZN9rocsolver6v33100L18getf2_small_kernelILi3E19rocblas_complex_numIdEiiPS3_EEvT1_T3_lS5_lPS5_llPT2_S5_S5_S7_l.uses_vcc, 1
	.set _ZN9rocsolver6v33100L18getf2_small_kernelILi3E19rocblas_complex_numIdEiiPS3_EEvT1_T3_lS5_lPS5_llPT2_S5_S5_S7_l.uses_flat_scratch, 0
	.set _ZN9rocsolver6v33100L18getf2_small_kernelILi3E19rocblas_complex_numIdEiiPS3_EEvT1_T3_lS5_lPS5_llPT2_S5_S5_S7_l.has_dyn_sized_stack, 0
	.set _ZN9rocsolver6v33100L18getf2_small_kernelILi3E19rocblas_complex_numIdEiiPS3_EEvT1_T3_lS5_lPS5_llPT2_S5_S5_S7_l.has_recursion, 0
	.set _ZN9rocsolver6v33100L18getf2_small_kernelILi3E19rocblas_complex_numIdEiiPS3_EEvT1_T3_lS5_lPS5_llPT2_S5_S5_S7_l.has_indirect_call, 0
	.section	.AMDGPU.csdata,"",@progbits
; Kernel info:
; codeLenInByte = 3524
; TotalNumSgprs: 28
; NumVgprs: 42
; ScratchSize: 0
; MemoryBound: 0
; FloatMode: 240
; IeeeMode: 1
; LDSByteSize: 0 bytes/workgroup (compile time only)
; SGPRBlocks: 3
; VGPRBlocks: 10
; NumSGPRsForWavesPerEU: 28
; NumVGPRsForWavesPerEU: 42
; Occupancy: 5
; WaveLimiterHint : 0
; COMPUTE_PGM_RSRC2:SCRATCH_EN: 0
; COMPUTE_PGM_RSRC2:USER_SGPR: 6
; COMPUTE_PGM_RSRC2:TRAP_HANDLER: 0
; COMPUTE_PGM_RSRC2:TGID_X_EN: 1
; COMPUTE_PGM_RSRC2:TGID_Y_EN: 1
; COMPUTE_PGM_RSRC2:TGID_Z_EN: 0
; COMPUTE_PGM_RSRC2:TIDIG_COMP_CNT: 1
	.section	.text._ZN9rocsolver6v33100L23getf2_npvt_small_kernelILi3E19rocblas_complex_numIdEiiPS3_EEvT1_T3_lS5_lPT2_S5_S5_,"axG",@progbits,_ZN9rocsolver6v33100L23getf2_npvt_small_kernelILi3E19rocblas_complex_numIdEiiPS3_EEvT1_T3_lS5_lPT2_S5_S5_,comdat
	.globl	_ZN9rocsolver6v33100L23getf2_npvt_small_kernelILi3E19rocblas_complex_numIdEiiPS3_EEvT1_T3_lS5_lPT2_S5_S5_ ; -- Begin function _ZN9rocsolver6v33100L23getf2_npvt_small_kernelILi3E19rocblas_complex_numIdEiiPS3_EEvT1_T3_lS5_lPT2_S5_S5_
	.p2align	8
	.type	_ZN9rocsolver6v33100L23getf2_npvt_small_kernelILi3E19rocblas_complex_numIdEiiPS3_EEvT1_T3_lS5_lPT2_S5_S5_,@function
_ZN9rocsolver6v33100L23getf2_npvt_small_kernelILi3E19rocblas_complex_numIdEiiPS3_EEvT1_T3_lS5_lPT2_S5_S5_: ; @_ZN9rocsolver6v33100L23getf2_npvt_small_kernelILi3E19rocblas_complex_numIdEiiPS3_EEvT1_T3_lS5_lPT2_S5_S5_
; %bb.0:
	s_load_dword s0, s[4:5], 0x44
	s_load_dwordx2 s[12:13], s[4:5], 0x30
	s_waitcnt lgkmcnt(0)
	s_lshr_b32 s0, s0, 16
	s_mul_i32 s7, s7, s0
	v_add_u32_e32 v30, s7, v1
	v_cmp_gt_i32_e32 vcc, s12, v30
	s_and_saveexec_b64 s[2:3], vcc
	s_cbranch_execz .LBB5_30
; %bb.1:
	s_load_dwordx4 s[8:11], s[4:5], 0x20
	s_load_dword s2, s[4:5], 0x18
	v_ashrrev_i32_e32 v31, 31, v30
	s_load_dwordx4 s[16:19], s[4:5], 0x8
	s_mul_i32 s0, s0, 48
	s_waitcnt lgkmcnt(0)
	v_mul_lo_u32 v4, s9, v30
	v_mul_lo_u32 v5, s8, v31
	v_mad_u64_u32 v[2:3], s[6:7], s8, v30, 0
	s_lshl_b64 s[4:5], s[18:19], 4
	s_ashr_i32 s3, s2, 31
	v_add3_u32 v3, v3, v5, v4
	v_lshlrev_b64 v[2:3], 4, v[2:3]
	v_mov_b32_e32 v4, s17
	v_add_co_u32_e32 v2, vcc, s16, v2
	v_addc_co_u32_e32 v3, vcc, v4, v3, vcc
	v_mov_b32_e32 v4, s5
	v_add_co_u32_e32 v5, vcc, s4, v2
	v_addc_co_u32_e32 v4, vcc, v3, v4, vcc
	v_lshlrev_b32_e32 v2, 4, v0
	v_add_co_u32_e32 v26, vcc, v5, v2
	v_addc_co_u32_e32 v27, vcc, 0, v4, vcc
	s_lshl_b64 s[4:5], s[2:3], 4
	v_mov_b32_e32 v2, s5
	v_add_co_u32_e32 v28, vcc, s4, v26
	s_add_i32 s1, s2, s2
	v_addc_co_u32_e32 v29, vcc, v27, v2, vcc
	v_add_u32_e32 v2, s1, v0
	v_ashrrev_i32_e32 v3, 31, v2
	v_lshlrev_b64 v[2:3], 4, v[2:3]
	v_mul_u32_u24_e32 v14, 48, v1
	v_add_co_u32_e32 v32, vcc, v5, v2
	v_addc_co_u32_e32 v33, vcc, v4, v3, vcc
	global_load_dwordx4 v[6:9], v[26:27], off
	global_load_dwordx4 v[2:5], v[28:29], off
	;; [unrolled: 1-line block ×3, first 2 shown]
	s_add_i32 s0, s0, 0
	v_lshl_add_u32 v1, v1, 4, s0
	v_cmp_ne_u32_e64 s[2:3], 0, v0
	v_cmp_eq_u32_e64 s[0:1], 0, v0
	v_add_u32_e32 v34, 0, v14
	s_and_saveexec_b64 s[6:7], s[0:1]
	s_cbranch_execz .LBB5_8
; %bb.2:
	s_waitcnt vmcnt(2)
	ds_write2_b64 v1, v[6:7], v[8:9] offset1:1
	s_waitcnt vmcnt(1)
	ds_write2_b64 v34, v[2:3], v[4:5] offset0:2 offset1:3
	s_waitcnt vmcnt(0)
	ds_write2_b64 v34, v[10:11], v[12:13] offset0:4 offset1:5
	ds_read2_b64 v[14:17], v1 offset1:1
	s_waitcnt lgkmcnt(0)
	v_cmp_neq_f64_e32 vcc, 0, v[14:15]
	v_cmp_neq_f64_e64 s[4:5], 0, v[16:17]
	s_or_b64 s[4:5], vcc, s[4:5]
	s_and_b64 exec, exec, s[4:5]
	s_cbranch_execz .LBB5_8
; %bb.3:
	v_cmp_ngt_f64_e64 s[4:5], |v[14:15]|, |v[16:17]|
                                        ; implicit-def: $vgpr18_vgpr19
	s_and_saveexec_b64 s[8:9], s[4:5]
	s_xor_b64 s[4:5], exec, s[8:9]
                                        ; implicit-def: $vgpr20_vgpr21
	s_cbranch_execz .LBB5_5
; %bb.4:
	v_div_scale_f64 v[18:19], s[8:9], v[16:17], v[16:17], v[14:15]
	v_rcp_f64_e32 v[20:21], v[18:19]
	v_fma_f64 v[22:23], -v[18:19], v[20:21], 1.0
	v_fma_f64 v[20:21], v[20:21], v[22:23], v[20:21]
	v_div_scale_f64 v[22:23], vcc, v[14:15], v[16:17], v[14:15]
	v_fma_f64 v[24:25], -v[18:19], v[20:21], 1.0
	v_fma_f64 v[20:21], v[20:21], v[24:25], v[20:21]
	v_mul_f64 v[24:25], v[22:23], v[20:21]
	v_fma_f64 v[18:19], -v[18:19], v[24:25], v[22:23]
	v_div_fmas_f64 v[18:19], v[18:19], v[20:21], v[24:25]
	v_div_fixup_f64 v[18:19], v[18:19], v[16:17], v[14:15]
	v_fma_f64 v[14:15], v[14:15], v[18:19], v[16:17]
	v_div_scale_f64 v[16:17], s[8:9], v[14:15], v[14:15], 1.0
	v_div_scale_f64 v[24:25], vcc, 1.0, v[14:15], 1.0
	v_rcp_f64_e32 v[20:21], v[16:17]
	v_fma_f64 v[22:23], -v[16:17], v[20:21], 1.0
	v_fma_f64 v[20:21], v[20:21], v[22:23], v[20:21]
	v_fma_f64 v[22:23], -v[16:17], v[20:21], 1.0
	v_fma_f64 v[20:21], v[20:21], v[22:23], v[20:21]
	v_mul_f64 v[22:23], v[24:25], v[20:21]
	v_fma_f64 v[16:17], -v[16:17], v[22:23], v[24:25]
	v_div_fmas_f64 v[16:17], v[16:17], v[20:21], v[22:23]
	v_div_fixup_f64 v[20:21], v[16:17], v[14:15], 1.0
                                        ; implicit-def: $vgpr14_vgpr15
	v_mul_f64 v[18:19], v[18:19], v[20:21]
	v_xor_b32_e32 v21, 0x80000000, v21
.LBB5_5:
	s_andn2_saveexec_b64 s[4:5], s[4:5]
	s_cbranch_execz .LBB5_7
; %bb.6:
	v_div_scale_f64 v[18:19], s[8:9], v[14:15], v[14:15], v[16:17]
	v_rcp_f64_e32 v[20:21], v[18:19]
	v_fma_f64 v[22:23], -v[18:19], v[20:21], 1.0
	v_fma_f64 v[20:21], v[20:21], v[22:23], v[20:21]
	v_div_scale_f64 v[22:23], vcc, v[16:17], v[14:15], v[16:17]
	v_fma_f64 v[24:25], -v[18:19], v[20:21], 1.0
	v_fma_f64 v[20:21], v[20:21], v[24:25], v[20:21]
	v_mul_f64 v[24:25], v[22:23], v[20:21]
	v_fma_f64 v[18:19], -v[18:19], v[24:25], v[22:23]
	v_div_fmas_f64 v[18:19], v[18:19], v[20:21], v[24:25]
	v_div_fixup_f64 v[20:21], v[18:19], v[14:15], v[16:17]
	v_fma_f64 v[14:15], v[16:17], v[20:21], v[14:15]
	v_div_scale_f64 v[16:17], s[8:9], v[14:15], v[14:15], 1.0
	v_div_scale_f64 v[24:25], vcc, 1.0, v[14:15], 1.0
	v_rcp_f64_e32 v[18:19], v[16:17]
	v_fma_f64 v[22:23], -v[16:17], v[18:19], 1.0
	v_fma_f64 v[18:19], v[18:19], v[22:23], v[18:19]
	v_fma_f64 v[22:23], -v[16:17], v[18:19], 1.0
	v_fma_f64 v[18:19], v[18:19], v[22:23], v[18:19]
	v_mul_f64 v[22:23], v[24:25], v[18:19]
	v_fma_f64 v[16:17], -v[16:17], v[22:23], v[24:25]
	v_div_fmas_f64 v[16:17], v[16:17], v[18:19], v[22:23]
	v_div_fixup_f64 v[18:19], v[16:17], v[14:15], 1.0
	v_mul_f64 v[20:21], v[20:21], -v[18:19]
.LBB5_7:
	s_or_b64 exec, exec, s[4:5]
	ds_write2_b64 v1, v[18:19], v[20:21] offset1:1
.LBB5_8:
	s_or_b64 exec, exec, s[6:7]
	s_waitcnt vmcnt(0) lgkmcnt(0)
	s_barrier
	ds_read2_b64 v[14:17], v1 offset1:1
	s_and_saveexec_b64 s[4:5], s[2:3]
	s_cbranch_execz .LBB5_10
; %bb.9:
	s_waitcnt lgkmcnt(0)
	v_mul_f64 v[18:19], v[14:15], v[8:9]
	v_mul_f64 v[8:9], v[16:17], v[8:9]
	v_fma_f64 v[35:36], v[16:17], v[6:7], v[18:19]
	ds_read2_b64 v[18:21], v34 offset0:2 offset1:3
	ds_read2_b64 v[22:25], v34 offset0:4 offset1:5
	v_fma_f64 v[6:7], v[14:15], v[6:7], -v[8:9]
	s_waitcnt lgkmcnt(1)
	v_mul_f64 v[8:9], v[20:21], v[35:36]
	v_mul_f64 v[37:38], v[18:19], v[35:36]
	s_waitcnt lgkmcnt(0)
	v_mul_f64 v[39:40], v[24:25], v[35:36]
	v_mul_f64 v[41:42], v[22:23], v[35:36]
	v_fma_f64 v[8:9], v[18:19], v[6:7], -v[8:9]
	v_fma_f64 v[18:19], v[20:21], v[6:7], v[37:38]
	v_fma_f64 v[20:21], v[22:23], v[6:7], -v[39:40]
	v_fma_f64 v[22:23], v[24:25], v[6:7], v[41:42]
	v_add_f64 v[2:3], v[2:3], -v[8:9]
	v_add_f64 v[4:5], v[4:5], -v[18:19]
	;; [unrolled: 1-line block ×4, first 2 shown]
	v_mov_b32_e32 v8, v35
	v_mov_b32_e32 v9, v36
.LBB5_10:
	s_or_b64 exec, exec, s[4:5]
	v_cmp_eq_u32_e32 vcc, 1, v0
	s_waitcnt lgkmcnt(0)
	s_barrier
	s_and_saveexec_b64 s[4:5], vcc
	s_cbranch_execz .LBB5_17
; %bb.11:
	ds_write2_b64 v1, v[2:3], v[4:5] offset1:1
	ds_write2_b64 v34, v[10:11], v[12:13] offset0:4 offset1:5
	ds_read2_b64 v[18:21], v1 offset1:1
	s_waitcnt lgkmcnt(0)
	v_cmp_neq_f64_e32 vcc, 0, v[18:19]
	v_cmp_neq_f64_e64 s[2:3], 0, v[20:21]
	s_or_b64 s[2:3], vcc, s[2:3]
	s_and_b64 exec, exec, s[2:3]
	s_cbranch_execz .LBB5_17
; %bb.12:
	v_cmp_ngt_f64_e64 s[2:3], |v[18:19]|, |v[20:21]|
                                        ; implicit-def: $vgpr22_vgpr23
	s_and_saveexec_b64 s[6:7], s[2:3]
	s_xor_b64 s[2:3], exec, s[6:7]
                                        ; implicit-def: $vgpr24_vgpr25
	s_cbranch_execz .LBB5_14
; %bb.13:
	v_div_scale_f64 v[22:23], s[6:7], v[20:21], v[20:21], v[18:19]
	v_rcp_f64_e32 v[24:25], v[22:23]
	v_fma_f64 v[35:36], -v[22:23], v[24:25], 1.0
	v_fma_f64 v[24:25], v[24:25], v[35:36], v[24:25]
	v_div_scale_f64 v[35:36], vcc, v[18:19], v[20:21], v[18:19]
	v_fma_f64 v[37:38], -v[22:23], v[24:25], 1.0
	v_fma_f64 v[24:25], v[24:25], v[37:38], v[24:25]
	v_mul_f64 v[37:38], v[35:36], v[24:25]
	v_fma_f64 v[22:23], -v[22:23], v[37:38], v[35:36]
	v_div_fmas_f64 v[22:23], v[22:23], v[24:25], v[37:38]
	v_div_fixup_f64 v[22:23], v[22:23], v[20:21], v[18:19]
	v_fma_f64 v[18:19], v[18:19], v[22:23], v[20:21]
	v_div_scale_f64 v[20:21], s[6:7], v[18:19], v[18:19], 1.0
	v_div_scale_f64 v[37:38], vcc, 1.0, v[18:19], 1.0
	v_rcp_f64_e32 v[24:25], v[20:21]
	v_fma_f64 v[35:36], -v[20:21], v[24:25], 1.0
	v_fma_f64 v[24:25], v[24:25], v[35:36], v[24:25]
	v_fma_f64 v[35:36], -v[20:21], v[24:25], 1.0
	v_fma_f64 v[24:25], v[24:25], v[35:36], v[24:25]
	v_mul_f64 v[35:36], v[37:38], v[24:25]
	v_fma_f64 v[20:21], -v[20:21], v[35:36], v[37:38]
	v_div_fmas_f64 v[20:21], v[20:21], v[24:25], v[35:36]
	v_div_fixup_f64 v[24:25], v[20:21], v[18:19], 1.0
                                        ; implicit-def: $vgpr18_vgpr19
	v_mul_f64 v[22:23], v[22:23], v[24:25]
	v_xor_b32_e32 v25, 0x80000000, v25
.LBB5_14:
	s_andn2_saveexec_b64 s[2:3], s[2:3]
	s_cbranch_execz .LBB5_16
; %bb.15:
	v_div_scale_f64 v[22:23], s[6:7], v[18:19], v[18:19], v[20:21]
	v_rcp_f64_e32 v[24:25], v[22:23]
	v_fma_f64 v[35:36], -v[22:23], v[24:25], 1.0
	v_fma_f64 v[24:25], v[24:25], v[35:36], v[24:25]
	v_div_scale_f64 v[35:36], vcc, v[20:21], v[18:19], v[20:21]
	v_fma_f64 v[37:38], -v[22:23], v[24:25], 1.0
	v_fma_f64 v[24:25], v[24:25], v[37:38], v[24:25]
	v_mul_f64 v[37:38], v[35:36], v[24:25]
	v_fma_f64 v[22:23], -v[22:23], v[37:38], v[35:36]
	v_div_fmas_f64 v[22:23], v[22:23], v[24:25], v[37:38]
	v_div_fixup_f64 v[24:25], v[22:23], v[18:19], v[20:21]
	v_fma_f64 v[18:19], v[20:21], v[24:25], v[18:19]
	v_div_scale_f64 v[20:21], s[6:7], v[18:19], v[18:19], 1.0
	v_div_scale_f64 v[37:38], vcc, 1.0, v[18:19], 1.0
	v_rcp_f64_e32 v[22:23], v[20:21]
	v_fma_f64 v[35:36], -v[20:21], v[22:23], 1.0
	v_fma_f64 v[22:23], v[22:23], v[35:36], v[22:23]
	v_fma_f64 v[35:36], -v[20:21], v[22:23], 1.0
	v_fma_f64 v[22:23], v[22:23], v[35:36], v[22:23]
	v_mul_f64 v[35:36], v[37:38], v[22:23]
	v_fma_f64 v[20:21], -v[20:21], v[35:36], v[37:38]
	v_div_fmas_f64 v[20:21], v[20:21], v[22:23], v[35:36]
	v_div_fixup_f64 v[22:23], v[20:21], v[18:19], 1.0
	v_mul_f64 v[24:25], v[24:25], -v[22:23]
.LBB5_16:
	s_or_b64 exec, exec, s[2:3]
	ds_write2_b64 v1, v[22:23], v[24:25] offset1:1
.LBB5_17:
	s_or_b64 exec, exec, s[4:5]
	s_waitcnt lgkmcnt(0)
	s_barrier
	ds_read2_b64 v[18:21], v1 offset1:1
	v_cmp_lt_u32_e32 vcc, 1, v0
	s_and_saveexec_b64 s[2:3], vcc
	s_cbranch_execz .LBB5_19
; %bb.18:
	s_waitcnt lgkmcnt(0)
	v_mul_f64 v[22:23], v[18:19], v[4:5]
	v_mul_f64 v[4:5], v[20:21], v[4:5]
	v_fma_f64 v[35:36], v[20:21], v[2:3], v[22:23]
	ds_read2_b64 v[22:25], v34 offset0:4 offset1:5
	v_fma_f64 v[2:3], v[18:19], v[2:3], -v[4:5]
	s_waitcnt lgkmcnt(0)
	v_mul_f64 v[4:5], v[24:25], v[35:36]
	v_mul_f64 v[37:38], v[22:23], v[35:36]
	v_fma_f64 v[4:5], v[22:23], v[2:3], -v[4:5]
	v_fma_f64 v[22:23], v[24:25], v[2:3], v[37:38]
	v_add_f64 v[10:11], v[10:11], -v[4:5]
	v_add_f64 v[12:13], v[12:13], -v[22:23]
	v_mov_b32_e32 v4, v35
	v_mov_b32_e32 v5, v36
.LBB5_19:
	s_or_b64 exec, exec, s[2:3]
	v_cmp_eq_u32_e32 vcc, 2, v0
	s_waitcnt lgkmcnt(0)
	s_barrier
	s_and_saveexec_b64 s[4:5], vcc
	s_cbranch_execz .LBB5_26
; %bb.20:
	v_cmp_neq_f64_e32 vcc, 0, v[10:11]
	v_cmp_neq_f64_e64 s[2:3], 0, v[12:13]
	ds_write2_b64 v1, v[10:11], v[12:13] offset1:1
	s_or_b64 s[2:3], vcc, s[2:3]
	s_and_b64 exec, exec, s[2:3]
	s_cbranch_execz .LBB5_26
; %bb.21:
	v_cmp_ngt_f64_e64 s[2:3], |v[10:11]|, |v[12:13]|
                                        ; implicit-def: $vgpr22_vgpr23
	s_and_saveexec_b64 s[6:7], s[2:3]
	s_xor_b64 s[2:3], exec, s[6:7]
                                        ; implicit-def: $vgpr24_vgpr25
	s_cbranch_execz .LBB5_23
; %bb.22:
	v_div_scale_f64 v[22:23], s[6:7], v[12:13], v[12:13], v[10:11]
	v_rcp_f64_e32 v[24:25], v[22:23]
	v_fma_f64 v[34:35], -v[22:23], v[24:25], 1.0
	v_fma_f64 v[24:25], v[24:25], v[34:35], v[24:25]
	v_div_scale_f64 v[34:35], vcc, v[10:11], v[12:13], v[10:11]
	v_fma_f64 v[36:37], -v[22:23], v[24:25], 1.0
	v_fma_f64 v[24:25], v[24:25], v[36:37], v[24:25]
	v_mul_f64 v[36:37], v[34:35], v[24:25]
	v_fma_f64 v[22:23], -v[22:23], v[36:37], v[34:35]
	v_div_fmas_f64 v[22:23], v[22:23], v[24:25], v[36:37]
	v_div_fixup_f64 v[22:23], v[22:23], v[12:13], v[10:11]
	v_fma_f64 v[24:25], v[10:11], v[22:23], v[12:13]
	v_div_scale_f64 v[34:35], s[6:7], v[24:25], v[24:25], 1.0
	v_div_scale_f64 v[40:41], vcc, 1.0, v[24:25], 1.0
	v_rcp_f64_e32 v[36:37], v[34:35]
	v_fma_f64 v[38:39], -v[34:35], v[36:37], 1.0
	v_fma_f64 v[36:37], v[36:37], v[38:39], v[36:37]
	v_fma_f64 v[38:39], -v[34:35], v[36:37], 1.0
	v_fma_f64 v[36:37], v[36:37], v[38:39], v[36:37]
	v_mul_f64 v[38:39], v[40:41], v[36:37]
	v_fma_f64 v[34:35], -v[34:35], v[38:39], v[40:41]
	v_div_fmas_f64 v[34:35], v[34:35], v[36:37], v[38:39]
	v_div_fixup_f64 v[24:25], v[34:35], v[24:25], 1.0
	v_mul_f64 v[22:23], v[22:23], v[24:25]
	v_xor_b32_e32 v25, 0x80000000, v25
.LBB5_23:
	s_andn2_saveexec_b64 s[2:3], s[2:3]
	s_cbranch_execz .LBB5_25
; %bb.24:
	v_div_scale_f64 v[22:23], s[6:7], v[10:11], v[10:11], v[12:13]
	v_rcp_f64_e32 v[24:25], v[22:23]
	v_fma_f64 v[34:35], -v[22:23], v[24:25], 1.0
	v_fma_f64 v[24:25], v[24:25], v[34:35], v[24:25]
	v_div_scale_f64 v[34:35], vcc, v[12:13], v[10:11], v[12:13]
	v_fma_f64 v[36:37], -v[22:23], v[24:25], 1.0
	v_fma_f64 v[24:25], v[24:25], v[36:37], v[24:25]
	v_mul_f64 v[36:37], v[34:35], v[24:25]
	v_fma_f64 v[22:23], -v[22:23], v[36:37], v[34:35]
	v_div_fmas_f64 v[22:23], v[22:23], v[24:25], v[36:37]
	v_div_fixup_f64 v[24:25], v[22:23], v[10:11], v[12:13]
	v_fma_f64 v[22:23], v[12:13], v[24:25], v[10:11]
	v_div_scale_f64 v[34:35], s[6:7], v[22:23], v[22:23], 1.0
	v_div_scale_f64 v[40:41], vcc, 1.0, v[22:23], 1.0
	v_rcp_f64_e32 v[36:37], v[34:35]
	v_fma_f64 v[38:39], -v[34:35], v[36:37], 1.0
	v_fma_f64 v[36:37], v[36:37], v[38:39], v[36:37]
	v_fma_f64 v[38:39], -v[34:35], v[36:37], 1.0
	v_fma_f64 v[36:37], v[36:37], v[38:39], v[36:37]
	v_mul_f64 v[38:39], v[40:41], v[36:37]
	v_fma_f64 v[34:35], -v[34:35], v[38:39], v[40:41]
	v_div_fmas_f64 v[34:35], v[34:35], v[36:37], v[38:39]
	v_div_fixup_f64 v[22:23], v[34:35], v[22:23], 1.0
	v_mul_f64 v[24:25], v[24:25], -v[22:23]
.LBB5_25:
	s_or_b64 exec, exec, s[2:3]
	ds_write2_b64 v1, v[22:23], v[24:25] offset1:1
.LBB5_26:
	s_or_b64 exec, exec, s[4:5]
	s_waitcnt lgkmcnt(0)
	s_barrier
	ds_read2_b64 v[22:25], v1 offset1:1
	s_waitcnt lgkmcnt(0)
	s_barrier
	s_and_saveexec_b64 s[14:15], s[0:1]
	s_cbranch_execz .LBB5_29
; %bb.27:
	v_lshlrev_b64 v[30:31], 2, v[30:31]
	v_mov_b32_e32 v1, s11
	v_add_co_u32_e32 v30, vcc, s10, v30
	v_addc_co_u32_e32 v31, vcc, v1, v31, vcc
	global_load_dword v34, v[30:31], off
	v_cmp_eq_f64_e32 vcc, 0, v[14:15]
	v_cmp_eq_f64_e64 s[0:1], 0, v[16:17]
	v_cmp_neq_f64_e64 s[2:3], 0, v[18:19]
	v_cmp_neq_f64_e64 s[4:5], 0, v[20:21]
	v_cmp_eq_f64_e64 s[6:7], 0, v[22:23]
	v_cmp_eq_f64_e64 s[8:9], 0, v[24:25]
	s_and_b64 s[0:1], vcc, s[0:1]
	v_cndmask_b32_e64 v1, 0, 1, s[0:1]
	s_or_b64 s[2:3], s[2:3], s[4:5]
	s_or_b64 vcc, s[2:3], s[0:1]
	v_cndmask_b32_e32 v1, 2, v1, vcc
	s_and_b64 s[4:5], s[6:7], s[8:9]
	v_cmp_eq_u32_e32 vcc, 0, v1
	s_and_b64 s[0:1], s[4:5], vcc
	v_cndmask_b32_e64 v1, v1, 3, s[0:1]
	v_cmp_ne_u32_e64 s[0:1], 0, v1
	s_waitcnt vmcnt(0)
	v_cmp_eq_u32_e32 vcc, 0, v34
	s_and_b64 s[0:1], vcc, s[0:1]
	s_and_b64 exec, exec, s[0:1]
	s_cbranch_execz .LBB5_29
; %bb.28:
	v_add_u32_e32 v1, s13, v1
	global_store_dword v[30:31], v1, off
.LBB5_29:
	s_or_b64 exec, exec, s[14:15]
	v_mul_f64 v[14:15], v[22:23], v[12:13]
	v_mul_f64 v[16:17], v[24:25], v[12:13]
	v_cmp_lt_u32_e32 vcc, 2, v0
	global_store_dwordx4 v[26:27], v[6:9], off
	v_fma_f64 v[14:15], v[24:25], v[10:11], v[14:15]
	v_fma_f64 v[16:17], v[22:23], v[10:11], -v[16:17]
	v_cndmask_b32_e32 v9, v13, v15, vcc
	v_cndmask_b32_e32 v8, v12, v14, vcc
	;; [unrolled: 1-line block ×4, first 2 shown]
	global_store_dwordx4 v[28:29], v[2:5], off
	global_store_dwordx4 v[32:33], v[6:9], off
.LBB5_30:
	s_endpgm
	.section	.rodata,"a",@progbits
	.p2align	6, 0x0
	.amdhsa_kernel _ZN9rocsolver6v33100L23getf2_npvt_small_kernelILi3E19rocblas_complex_numIdEiiPS3_EEvT1_T3_lS5_lPT2_S5_S5_
		.amdhsa_group_segment_fixed_size 0
		.amdhsa_private_segment_fixed_size 0
		.amdhsa_kernarg_size 312
		.amdhsa_user_sgpr_count 6
		.amdhsa_user_sgpr_private_segment_buffer 1
		.amdhsa_user_sgpr_dispatch_ptr 0
		.amdhsa_user_sgpr_queue_ptr 0
		.amdhsa_user_sgpr_kernarg_segment_ptr 1
		.amdhsa_user_sgpr_dispatch_id 0
		.amdhsa_user_sgpr_flat_scratch_init 0
		.amdhsa_user_sgpr_private_segment_size 0
		.amdhsa_uses_dynamic_stack 0
		.amdhsa_system_sgpr_private_segment_wavefront_offset 0
		.amdhsa_system_sgpr_workgroup_id_x 1
		.amdhsa_system_sgpr_workgroup_id_y 1
		.amdhsa_system_sgpr_workgroup_id_z 0
		.amdhsa_system_sgpr_workgroup_info 0
		.amdhsa_system_vgpr_workitem_id 1
		.amdhsa_next_free_vgpr 43
		.amdhsa_next_free_sgpr 20
		.amdhsa_reserve_vcc 1
		.amdhsa_reserve_flat_scratch 0
		.amdhsa_float_round_mode_32 0
		.amdhsa_float_round_mode_16_64 0
		.amdhsa_float_denorm_mode_32 3
		.amdhsa_float_denorm_mode_16_64 3
		.amdhsa_dx10_clamp 1
		.amdhsa_ieee_mode 1
		.amdhsa_fp16_overflow 0
		.amdhsa_exception_fp_ieee_invalid_op 0
		.amdhsa_exception_fp_denorm_src 0
		.amdhsa_exception_fp_ieee_div_zero 0
		.amdhsa_exception_fp_ieee_overflow 0
		.amdhsa_exception_fp_ieee_underflow 0
		.amdhsa_exception_fp_ieee_inexact 0
		.amdhsa_exception_int_div_zero 0
	.end_amdhsa_kernel
	.section	.text._ZN9rocsolver6v33100L23getf2_npvt_small_kernelILi3E19rocblas_complex_numIdEiiPS3_EEvT1_T3_lS5_lPT2_S5_S5_,"axG",@progbits,_ZN9rocsolver6v33100L23getf2_npvt_small_kernelILi3E19rocblas_complex_numIdEiiPS3_EEvT1_T3_lS5_lPT2_S5_S5_,comdat
.Lfunc_end5:
	.size	_ZN9rocsolver6v33100L23getf2_npvt_small_kernelILi3E19rocblas_complex_numIdEiiPS3_EEvT1_T3_lS5_lPT2_S5_S5_, .Lfunc_end5-_ZN9rocsolver6v33100L23getf2_npvt_small_kernelILi3E19rocblas_complex_numIdEiiPS3_EEvT1_T3_lS5_lPT2_S5_S5_
                                        ; -- End function
	.set _ZN9rocsolver6v33100L23getf2_npvt_small_kernelILi3E19rocblas_complex_numIdEiiPS3_EEvT1_T3_lS5_lPT2_S5_S5_.num_vgpr, 43
	.set _ZN9rocsolver6v33100L23getf2_npvt_small_kernelILi3E19rocblas_complex_numIdEiiPS3_EEvT1_T3_lS5_lPT2_S5_S5_.num_agpr, 0
	.set _ZN9rocsolver6v33100L23getf2_npvt_small_kernelILi3E19rocblas_complex_numIdEiiPS3_EEvT1_T3_lS5_lPT2_S5_S5_.numbered_sgpr, 20
	.set _ZN9rocsolver6v33100L23getf2_npvt_small_kernelILi3E19rocblas_complex_numIdEiiPS3_EEvT1_T3_lS5_lPT2_S5_S5_.num_named_barrier, 0
	.set _ZN9rocsolver6v33100L23getf2_npvt_small_kernelILi3E19rocblas_complex_numIdEiiPS3_EEvT1_T3_lS5_lPT2_S5_S5_.private_seg_size, 0
	.set _ZN9rocsolver6v33100L23getf2_npvt_small_kernelILi3E19rocblas_complex_numIdEiiPS3_EEvT1_T3_lS5_lPT2_S5_S5_.uses_vcc, 1
	.set _ZN9rocsolver6v33100L23getf2_npvt_small_kernelILi3E19rocblas_complex_numIdEiiPS3_EEvT1_T3_lS5_lPT2_S5_S5_.uses_flat_scratch, 0
	.set _ZN9rocsolver6v33100L23getf2_npvt_small_kernelILi3E19rocblas_complex_numIdEiiPS3_EEvT1_T3_lS5_lPT2_S5_S5_.has_dyn_sized_stack, 0
	.set _ZN9rocsolver6v33100L23getf2_npvt_small_kernelILi3E19rocblas_complex_numIdEiiPS3_EEvT1_T3_lS5_lPT2_S5_S5_.has_recursion, 0
	.set _ZN9rocsolver6v33100L23getf2_npvt_small_kernelILi3E19rocblas_complex_numIdEiiPS3_EEvT1_T3_lS5_lPT2_S5_S5_.has_indirect_call, 0
	.section	.AMDGPU.csdata,"",@progbits
; Kernel info:
; codeLenInByte = 2332
; TotalNumSgprs: 24
; NumVgprs: 43
; ScratchSize: 0
; MemoryBound: 0
; FloatMode: 240
; IeeeMode: 1
; LDSByteSize: 0 bytes/workgroup (compile time only)
; SGPRBlocks: 2
; VGPRBlocks: 10
; NumSGPRsForWavesPerEU: 24
; NumVGPRsForWavesPerEU: 43
; Occupancy: 5
; WaveLimiterHint : 0
; COMPUTE_PGM_RSRC2:SCRATCH_EN: 0
; COMPUTE_PGM_RSRC2:USER_SGPR: 6
; COMPUTE_PGM_RSRC2:TRAP_HANDLER: 0
; COMPUTE_PGM_RSRC2:TGID_X_EN: 1
; COMPUTE_PGM_RSRC2:TGID_Y_EN: 1
; COMPUTE_PGM_RSRC2:TGID_Z_EN: 0
; COMPUTE_PGM_RSRC2:TIDIG_COMP_CNT: 1
	.section	.text._ZN9rocsolver6v33100L18getf2_small_kernelILi4E19rocblas_complex_numIdEiiPS3_EEvT1_T3_lS5_lPS5_llPT2_S5_S5_S7_l,"axG",@progbits,_ZN9rocsolver6v33100L18getf2_small_kernelILi4E19rocblas_complex_numIdEiiPS3_EEvT1_T3_lS5_lPS5_llPT2_S5_S5_S7_l,comdat
	.globl	_ZN9rocsolver6v33100L18getf2_small_kernelILi4E19rocblas_complex_numIdEiiPS3_EEvT1_T3_lS5_lPS5_llPT2_S5_S5_S7_l ; -- Begin function _ZN9rocsolver6v33100L18getf2_small_kernelILi4E19rocblas_complex_numIdEiiPS3_EEvT1_T3_lS5_lPS5_llPT2_S5_S5_S7_l
	.p2align	8
	.type	_ZN9rocsolver6v33100L18getf2_small_kernelILi4E19rocblas_complex_numIdEiiPS3_EEvT1_T3_lS5_lPS5_llPT2_S5_S5_S7_l,@function
_ZN9rocsolver6v33100L18getf2_small_kernelILi4E19rocblas_complex_numIdEiiPS3_EEvT1_T3_lS5_lPS5_llPT2_S5_S5_S7_l: ; @_ZN9rocsolver6v33100L18getf2_small_kernelILi4E19rocblas_complex_numIdEiiPS3_EEvT1_T3_lS5_lPS5_llPT2_S5_S5_S7_l
; %bb.0:
	s_load_dword s0, s[4:5], 0x6c
	s_load_dwordx2 s[16:17], s[4:5], 0x48
	s_waitcnt lgkmcnt(0)
	s_lshr_b32 s0, s0, 16
	s_mul_i32 s7, s7, s0
	v_add_u32_e32 v22, s7, v1
	v_cmp_gt_i32_e32 vcc, s16, v22
	s_and_saveexec_b64 s[0:1], vcc
	s_cbranch_execz .LBB6_85
; %bb.1:
	s_load_dwordx4 s[0:3], s[4:5], 0x50
	v_mov_b32_e32 v24, 0
	v_ashrrev_i32_e32 v23, 31, v22
	v_mov_b32_e32 v25, 0
	s_waitcnt lgkmcnt(0)
	s_cmp_eq_u64 s[0:1], 0
	s_cselect_b64 s[18:19], -1, 0
	s_and_b64 vcc, exec, s[18:19]
	s_cbranch_vccnz .LBB6_3
; %bb.2:
	v_mul_lo_u32 v4, s3, v22
	v_mul_lo_u32 v5, s2, v23
	v_mad_u64_u32 v[2:3], s[2:3], s2, v22, 0
	v_add3_u32 v3, v3, v5, v4
	v_lshlrev_b64 v[2:3], 2, v[2:3]
	v_mov_b32_e32 v4, s1
	v_add_co_u32_e32 v24, vcc, s0, v2
	v_addc_co_u32_e32 v25, vcc, v4, v3, vcc
.LBB6_3:
	s_load_dwordx8 s[8:15], s[4:5], 0x20
	s_load_dwordx4 s[0:3], s[4:5], 0x8
	v_lshlrev_b32_e32 v31, 4, v0
	s_load_dwordx2 s[20:21], s[4:5], 0x40
	s_waitcnt lgkmcnt(0)
	v_mul_lo_u32 v4, s9, v22
	v_mul_lo_u32 v5, s8, v23
	v_mad_u64_u32 v[2:3], s[6:7], s8, v22, 0
	s_load_dword s6, s[4:5], 0x18
	s_load_dword s22, s[4:5], 0x0
	v_mov_b32_e32 v6, s1
	v_add3_u32 v3, v3, v5, v4
	v_lshlrev_b64 v[2:3], 4, v[2:3]
	s_waitcnt lgkmcnt(0)
	s_add_i32 s16, s6, s6
	v_add_co_u32_e32 v2, vcc, s0, v2
	v_addc_co_u32_e32 v3, vcc, v6, v3, vcc
	s_lshl_b64 s[0:1], s[2:3], 4
	v_mov_b32_e32 v4, s1
	v_add_co_u32_e32 v29, vcc, s0, v2
	v_addc_co_u32_e32 v30, vcc, v3, v4, vcc
	v_add_co_u32_e32 v6, vcc, v29, v31
	s_ashr_i32 s7, s6, 31
	v_add_u32_e32 v8, s16, v0
	v_addc_co_u32_e32 v7, vcc, 0, v30, vcc
	s_lshl_b64 s[8:9], s[6:7], 4
	v_ashrrev_i32_e32 v9, 31, v8
	v_mov_b32_e32 v12, s9
	v_add_u32_e32 v10, s6, v8
	v_lshlrev_b64 v[8:9], 4, v[8:9]
	v_add_co_u32_e32 v18, vcc, s8, v6
	global_load_dwordx4 v[2:5], v[6:7], off
	v_ashrrev_i32_e32 v11, 31, v10
	v_addc_co_u32_e32 v19, vcc, v7, v12, vcc
	v_lshlrev_b64 v[10:11], 4, v[10:11]
	v_add_co_u32_e32 v20, vcc, v29, v8
	v_addc_co_u32_e32 v21, vcc, v30, v9, vcc
	v_add_co_u32_e32 v26, vcc, v29, v10
	v_addc_co_u32_e32 v27, vcc, v30, v11, vcc
	global_load_dwordx4 v[6:9], v[20:21], off
	global_load_dwordx4 v[14:17], v[26:27], off
	;; [unrolled: 1-line block ×3, first 2 shown]
	s_max_i32 s0, s22, 4
	v_mul_lo_u32 v1, s0, v1
	s_cmp_lt_i32 s22, 2
	v_mov_b32_e32 v26, 0
	v_lshl_add_u32 v28, v1, 4, 0
	v_add_u32_e32 v18, v28, v31
	v_lshlrev_b32_e32 v1, 4, v1
	s_waitcnt vmcnt(3)
	ds_write2_b64 v18, v[2:3], v[4:5] offset1:1
	s_waitcnt vmcnt(0) lgkmcnt(0)
	s_barrier
	ds_read2_b64 v[18:21], v28 offset1:1
	s_cbranch_scc1 .LBB6_6
; %bb.4:
	v_add3_u32 v27, v1, 0, 16
	s_mov_b32 s7, 1
	v_mov_b32_e32 v26, 0
.LBB6_5:                                ; =>This Inner Loop Header: Depth=1
	ds_read2_b64 v[31:34], v27 offset1:1
	s_waitcnt lgkmcnt(1)
	v_cmp_gt_f64_e32 vcc, 0, v[20:21]
	v_cmp_gt_f64_e64 s[0:1], 0, v[18:19]
	v_xor_b32_e32 v36, 0x80000000, v19
	v_xor_b32_e32 v38, 0x80000000, v21
	s_waitcnt lgkmcnt(0)
	v_cmp_gt_f64_e64 s[2:3], 0, v[31:32]
	v_cmp_gt_f64_e64 s[4:5], 0, v[33:34]
	v_xor_b32_e32 v40, 0x80000000, v32
	v_xor_b32_e32 v42, 0x80000000, v34
	v_mov_b32_e32 v35, v18
	v_mov_b32_e32 v37, v20
	;; [unrolled: 1-line block ×4, first 2 shown]
	v_cndmask_b32_e64 v36, v19, v36, s[0:1]
	v_cndmask_b32_e32 v38, v21, v38, vcc
	v_cndmask_b32_e64 v40, v32, v40, s[2:3]
	v_cndmask_b32_e64 v42, v34, v42, s[4:5]
	v_add_f64 v[35:36], v[35:36], v[37:38]
	v_add_f64 v[37:38], v[39:40], v[41:42]
	v_mov_b32_e32 v39, s7
	s_add_i32 s7, s7, 1
	v_add_u32_e32 v27, 16, v27
	s_cmp_eq_u32 s22, s7
	v_cmp_lt_f64_e32 vcc, v[35:36], v[37:38]
	v_cndmask_b32_e32 v19, v19, v32, vcc
	v_cndmask_b32_e32 v18, v18, v31, vcc
	;; [unrolled: 1-line block ×5, first 2 shown]
	s_cbranch_scc0 .LBB6_5
.LBB6_6:
	s_waitcnt lgkmcnt(0)
	v_cmp_neq_f64_e32 vcc, 0, v[18:19]
	v_cmp_neq_f64_e64 s[0:1], 0, v[20:21]
	v_mov_b32_e32 v31, 1
	v_mov_b32_e32 v33, 1
	s_or_b64 s[2:3], vcc, s[0:1]
	s_and_saveexec_b64 s[0:1], s[2:3]
	s_cbranch_execz .LBB6_12
; %bb.7:
	v_cmp_ngt_f64_e64 s[2:3], |v[18:19]|, |v[20:21]|
	s_and_saveexec_b64 s[4:5], s[2:3]
	s_xor_b64 s[2:3], exec, s[4:5]
	s_cbranch_execz .LBB6_9
; %bb.8:
	v_div_scale_f64 v[31:32], s[4:5], v[20:21], v[20:21], v[18:19]
	v_rcp_f64_e32 v[33:34], v[31:32]
	v_fma_f64 v[35:36], -v[31:32], v[33:34], 1.0
	v_fma_f64 v[33:34], v[33:34], v[35:36], v[33:34]
	v_div_scale_f64 v[35:36], vcc, v[18:19], v[20:21], v[18:19]
	v_fma_f64 v[37:38], -v[31:32], v[33:34], 1.0
	v_fma_f64 v[33:34], v[33:34], v[37:38], v[33:34]
	v_mul_f64 v[37:38], v[35:36], v[33:34]
	v_fma_f64 v[31:32], -v[31:32], v[37:38], v[35:36]
	v_div_fmas_f64 v[31:32], v[31:32], v[33:34], v[37:38]
	v_div_fixup_f64 v[31:32], v[31:32], v[20:21], v[18:19]
	v_fma_f64 v[18:19], v[18:19], v[31:32], v[20:21]
	v_div_scale_f64 v[20:21], s[4:5], v[18:19], v[18:19], 1.0
	v_div_scale_f64 v[37:38], vcc, 1.0, v[18:19], 1.0
	v_rcp_f64_e32 v[33:34], v[20:21]
	v_fma_f64 v[35:36], -v[20:21], v[33:34], 1.0
	v_fma_f64 v[33:34], v[33:34], v[35:36], v[33:34]
	v_fma_f64 v[35:36], -v[20:21], v[33:34], 1.0
	v_fma_f64 v[33:34], v[33:34], v[35:36], v[33:34]
	v_mul_f64 v[35:36], v[37:38], v[33:34]
	v_fma_f64 v[20:21], -v[20:21], v[35:36], v[37:38]
	v_div_fmas_f64 v[20:21], v[20:21], v[33:34], v[35:36]
	v_div_fixup_f64 v[20:21], v[20:21], v[18:19], 1.0
	v_mul_f64 v[18:19], v[31:32], v[20:21]
	v_xor_b32_e32 v21, 0x80000000, v21
.LBB6_9:
	s_andn2_saveexec_b64 s[2:3], s[2:3]
	s_cbranch_execz .LBB6_11
; %bb.10:
	v_div_scale_f64 v[31:32], s[4:5], v[18:19], v[18:19], v[20:21]
	v_rcp_f64_e32 v[33:34], v[31:32]
	v_fma_f64 v[35:36], -v[31:32], v[33:34], 1.0
	v_fma_f64 v[33:34], v[33:34], v[35:36], v[33:34]
	v_div_scale_f64 v[35:36], vcc, v[20:21], v[18:19], v[20:21]
	v_fma_f64 v[37:38], -v[31:32], v[33:34], 1.0
	v_fma_f64 v[33:34], v[33:34], v[37:38], v[33:34]
	v_mul_f64 v[37:38], v[35:36], v[33:34]
	v_fma_f64 v[31:32], -v[31:32], v[37:38], v[35:36]
	v_div_fmas_f64 v[31:32], v[31:32], v[33:34], v[37:38]
	v_div_fixup_f64 v[31:32], v[31:32], v[18:19], v[20:21]
	v_fma_f64 v[18:19], v[20:21], v[31:32], v[18:19]
	v_div_scale_f64 v[20:21], s[4:5], v[18:19], v[18:19], 1.0
	v_div_scale_f64 v[37:38], vcc, 1.0, v[18:19], 1.0
	v_rcp_f64_e32 v[33:34], v[20:21]
	v_fma_f64 v[35:36], -v[20:21], v[33:34], 1.0
	v_fma_f64 v[33:34], v[33:34], v[35:36], v[33:34]
	v_fma_f64 v[35:36], -v[20:21], v[33:34], 1.0
	v_fma_f64 v[33:34], v[33:34], v[35:36], v[33:34]
	v_mul_f64 v[35:36], v[37:38], v[33:34]
	v_fma_f64 v[20:21], -v[20:21], v[35:36], v[37:38]
	v_div_fmas_f64 v[20:21], v[20:21], v[33:34], v[35:36]
	v_div_fixup_f64 v[18:19], v[20:21], v[18:19], 1.0
	v_mul_f64 v[20:21], v[31:32], -v[18:19]
.LBB6_11:
	s_or_b64 exec, exec, s[2:3]
	v_mov_b32_e32 v33, 0
	v_mov_b32_e32 v31, 2
.LBB6_12:
	s_or_b64 exec, exec, s[0:1]
	v_cmp_ne_u32_e32 vcc, v0, v26
	s_and_saveexec_b64 s[0:1], vcc
	s_xor_b64 s[0:1], exec, s[0:1]
	s_cbranch_execz .LBB6_18
; %bb.13:
	v_cmp_eq_u32_e32 vcc, 0, v0
	s_and_saveexec_b64 s[2:3], vcc
	s_cbranch_execz .LBB6_17
; %bb.14:
	v_cmp_ne_u32_e32 vcc, 0, v26
	s_xor_b64 s[4:5], s[18:19], -1
	s_and_b64 s[24:25], s[4:5], vcc
	s_and_saveexec_b64 s[4:5], s[24:25]
	s_cbranch_execz .LBB6_16
; %bb.15:
	v_ashrrev_i32_e32 v27, 31, v26
	v_lshlrev_b64 v[34:35], 2, v[26:27]
	v_add_co_u32_e32 v34, vcc, v24, v34
	v_addc_co_u32_e32 v35, vcc, v25, v35, vcc
	global_load_dword v0, v[34:35], off
	global_load_dword v27, v[24:25], off
	s_waitcnt vmcnt(1)
	global_store_dword v[24:25], v0, off
	s_waitcnt vmcnt(1)
	global_store_dword v[34:35], v27, off
.LBB6_16:
	s_or_b64 exec, exec, s[4:5]
	v_mov_b32_e32 v0, v26
.LBB6_17:
	s_or_b64 exec, exec, s[2:3]
.LBB6_18:
	s_or_saveexec_b64 s[0:1], s[0:1]
	v_mov_b32_e32 v32, v0
	s_xor_b64 exec, exec, s[0:1]
	s_cbranch_execz .LBB6_20
; %bb.19:
	v_mov_b32_e32 v32, 0
	ds_write2_b64 v28, v[10:11], v[12:13] offset0:2 offset1:3
	ds_write2_b64 v28, v[6:7], v[8:9] offset0:4 offset1:5
	;; [unrolled: 1-line block ×3, first 2 shown]
.LBB6_20:
	s_or_b64 exec, exec, s[0:1]
	v_cmp_lt_i32_e32 vcc, 0, v32
	s_waitcnt vmcnt(0) lgkmcnt(0)
	s_barrier
	s_and_saveexec_b64 s[0:1], vcc
	s_cbranch_execz .LBB6_22
; %bb.21:
	v_mul_f64 v[26:27], v[18:19], v[4:5]
	v_mul_f64 v[4:5], v[20:21], v[4:5]
	v_fma_f64 v[26:27], v[20:21], v[2:3], v[26:27]
	v_fma_f64 v[2:3], v[18:19], v[2:3], -v[4:5]
	ds_read2_b64 v[18:21], v28 offset0:2 offset1:3
	s_waitcnt lgkmcnt(0)
	v_mul_f64 v[4:5], v[20:21], v[26:27]
	v_fma_f64 v[4:5], v[18:19], v[2:3], -v[4:5]
	v_mul_f64 v[18:19], v[18:19], v[26:27]
	v_add_f64 v[10:11], v[10:11], -v[4:5]
	v_fma_f64 v[18:19], v[20:21], v[2:3], v[18:19]
	v_add_f64 v[12:13], v[12:13], -v[18:19]
	ds_read2_b64 v[18:21], v28 offset0:4 offset1:5
	s_waitcnt lgkmcnt(0)
	v_mul_f64 v[4:5], v[20:21], v[26:27]
	v_fma_f64 v[4:5], v[18:19], v[2:3], -v[4:5]
	v_mul_f64 v[18:19], v[18:19], v[26:27]
	v_add_f64 v[6:7], v[6:7], -v[4:5]
	v_fma_f64 v[18:19], v[20:21], v[2:3], v[18:19]
	v_add_f64 v[8:9], v[8:9], -v[18:19]
	ds_read2_b64 v[18:21], v28 offset0:6 offset1:7
	s_waitcnt lgkmcnt(0)
	v_mul_f64 v[4:5], v[20:21], v[26:27]
	v_fma_f64 v[4:5], v[18:19], v[2:3], -v[4:5]
	v_mul_f64 v[18:19], v[18:19], v[26:27]
	v_add_f64 v[14:15], v[14:15], -v[4:5]
	v_fma_f64 v[18:19], v[20:21], v[2:3], v[18:19]
	v_mov_b32_e32 v4, v26
	v_mov_b32_e32 v5, v27
	v_add_f64 v[16:17], v[16:17], -v[18:19]
.LBB6_22:
	s_or_b64 exec, exec, s[0:1]
	v_lshl_add_u32 v18, v32, 4, v28
	s_barrier
	ds_write2_b64 v18, v[10:11], v[12:13] offset1:1
	s_waitcnt lgkmcnt(0)
	s_barrier
	ds_read2_b64 v[18:21], v28 offset0:2 offset1:3
	s_cmp_lt_i32 s22, 3
	v_mov_b32_e32 v26, 1
	s_cbranch_scc1 .LBB6_25
; %bb.23:
	v_add3_u32 v27, v1, 0, 32
	s_mov_b32 s2, 2
	v_mov_b32_e32 v26, 1
.LBB6_24:                               ; =>This Inner Loop Header: Depth=1
	s_waitcnt lgkmcnt(0)
	v_cmp_gt_f64_e32 vcc, 0, v[20:21]
	v_cmp_gt_f64_e64 s[0:1], 0, v[18:19]
	ds_read2_b64 v[34:37], v27 offset1:1
	v_xor_b32_e32 v39, 0x80000000, v19
	v_xor_b32_e32 v41, 0x80000000, v21
	v_mov_b32_e32 v38, v18
	v_mov_b32_e32 v40, v20
	s_waitcnt lgkmcnt(0)
	v_xor_b32_e32 v43, 0x80000000, v37
	v_cndmask_b32_e32 v41, v21, v41, vcc
	v_cndmask_b32_e64 v39, v19, v39, s[0:1]
	v_cmp_gt_f64_e32 vcc, 0, v[36:37]
	v_cmp_gt_f64_e64 s[0:1], 0, v[34:35]
	v_add_f64 v[38:39], v[38:39], v[40:41]
	v_xor_b32_e32 v41, 0x80000000, v35
	v_mov_b32_e32 v40, v34
	v_mov_b32_e32 v42, v36
	v_add_u32_e32 v27, 16, v27
	v_cndmask_b32_e32 v43, v37, v43, vcc
	v_cndmask_b32_e64 v41, v35, v41, s[0:1]
	v_add_f64 v[40:41], v[40:41], v[42:43]
	v_mov_b32_e32 v42, s2
	s_add_i32 s2, s2, 1
	s_cmp_lg_u32 s22, s2
	v_cmp_lt_f64_e32 vcc, v[38:39], v[40:41]
	v_cndmask_b32_e32 v19, v19, v35, vcc
	v_cndmask_b32_e32 v18, v18, v34, vcc
	;; [unrolled: 1-line block ×5, first 2 shown]
	s_cbranch_scc1 .LBB6_24
.LBB6_25:
	s_waitcnt lgkmcnt(0)
	v_cmp_neq_f64_e32 vcc, 0, v[18:19]
	v_cmp_neq_f64_e64 s[0:1], 0, v[20:21]
	s_or_b64 s[2:3], vcc, s[0:1]
	s_and_saveexec_b64 s[0:1], s[2:3]
	s_cbranch_execz .LBB6_31
; %bb.26:
	v_cmp_ngt_f64_e64 s[2:3], |v[18:19]|, |v[20:21]|
	s_and_saveexec_b64 s[4:5], s[2:3]
	s_xor_b64 s[2:3], exec, s[4:5]
	s_cbranch_execz .LBB6_28
; %bb.27:
	v_div_scale_f64 v[34:35], s[4:5], v[20:21], v[20:21], v[18:19]
	v_rcp_f64_e32 v[36:37], v[34:35]
	v_fma_f64 v[38:39], -v[34:35], v[36:37], 1.0
	v_fma_f64 v[36:37], v[36:37], v[38:39], v[36:37]
	v_div_scale_f64 v[38:39], vcc, v[18:19], v[20:21], v[18:19]
	v_fma_f64 v[40:41], -v[34:35], v[36:37], 1.0
	v_fma_f64 v[36:37], v[36:37], v[40:41], v[36:37]
	v_mul_f64 v[40:41], v[38:39], v[36:37]
	v_fma_f64 v[34:35], -v[34:35], v[40:41], v[38:39]
	v_div_fmas_f64 v[34:35], v[34:35], v[36:37], v[40:41]
	v_div_fixup_f64 v[34:35], v[34:35], v[20:21], v[18:19]
	v_fma_f64 v[18:19], v[18:19], v[34:35], v[20:21]
	v_div_scale_f64 v[20:21], s[4:5], v[18:19], v[18:19], 1.0
	v_div_scale_f64 v[40:41], vcc, 1.0, v[18:19], 1.0
	v_rcp_f64_e32 v[36:37], v[20:21]
	v_fma_f64 v[38:39], -v[20:21], v[36:37], 1.0
	v_fma_f64 v[36:37], v[36:37], v[38:39], v[36:37]
	v_fma_f64 v[38:39], -v[20:21], v[36:37], 1.0
	v_fma_f64 v[36:37], v[36:37], v[38:39], v[36:37]
	v_mul_f64 v[38:39], v[40:41], v[36:37]
	v_fma_f64 v[20:21], -v[20:21], v[38:39], v[40:41]
	v_div_fmas_f64 v[20:21], v[20:21], v[36:37], v[38:39]
	v_div_fixup_f64 v[20:21], v[20:21], v[18:19], 1.0
	v_mul_f64 v[18:19], v[34:35], v[20:21]
	v_xor_b32_e32 v21, 0x80000000, v21
.LBB6_28:
	s_andn2_saveexec_b64 s[2:3], s[2:3]
	s_cbranch_execz .LBB6_30
; %bb.29:
	v_div_scale_f64 v[34:35], s[4:5], v[18:19], v[18:19], v[20:21]
	v_rcp_f64_e32 v[36:37], v[34:35]
	v_fma_f64 v[38:39], -v[34:35], v[36:37], 1.0
	v_fma_f64 v[36:37], v[36:37], v[38:39], v[36:37]
	v_div_scale_f64 v[38:39], vcc, v[20:21], v[18:19], v[20:21]
	v_fma_f64 v[40:41], -v[34:35], v[36:37], 1.0
	v_fma_f64 v[36:37], v[36:37], v[40:41], v[36:37]
	v_mul_f64 v[40:41], v[38:39], v[36:37]
	v_fma_f64 v[34:35], -v[34:35], v[40:41], v[38:39]
	v_div_fmas_f64 v[34:35], v[34:35], v[36:37], v[40:41]
	v_div_fixup_f64 v[34:35], v[34:35], v[18:19], v[20:21]
	v_fma_f64 v[18:19], v[20:21], v[34:35], v[18:19]
	v_div_scale_f64 v[20:21], s[4:5], v[18:19], v[18:19], 1.0
	v_div_scale_f64 v[40:41], vcc, 1.0, v[18:19], 1.0
	v_rcp_f64_e32 v[36:37], v[20:21]
	v_fma_f64 v[38:39], -v[20:21], v[36:37], 1.0
	v_fma_f64 v[36:37], v[36:37], v[38:39], v[36:37]
	v_fma_f64 v[38:39], -v[20:21], v[36:37], 1.0
	v_fma_f64 v[36:37], v[36:37], v[38:39], v[36:37]
	v_mul_f64 v[38:39], v[40:41], v[36:37]
	v_fma_f64 v[20:21], -v[20:21], v[38:39], v[40:41]
	v_div_fmas_f64 v[20:21], v[20:21], v[36:37], v[38:39]
	v_div_fixup_f64 v[18:19], v[20:21], v[18:19], 1.0
	v_mul_f64 v[20:21], v[34:35], -v[18:19]
.LBB6_30:
	s_or_b64 exec, exec, s[2:3]
	v_mov_b32_e32 v31, v33
.LBB6_31:
	s_or_b64 exec, exec, s[0:1]
	v_cmp_ne_u32_e32 vcc, v32, v26
	s_and_saveexec_b64 s[0:1], vcc
	s_xor_b64 s[0:1], exec, s[0:1]
	s_cbranch_execz .LBB6_37
; %bb.32:
	v_cmp_eq_u32_e32 vcc, 1, v32
	s_and_saveexec_b64 s[2:3], vcc
	s_cbranch_execz .LBB6_36
; %bb.33:
	v_cmp_ne_u32_e32 vcc, 1, v26
	s_xor_b64 s[4:5], s[18:19], -1
	s_and_b64 s[24:25], s[4:5], vcc
	s_and_saveexec_b64 s[4:5], s[24:25]
	s_cbranch_execz .LBB6_35
; %bb.34:
	v_ashrrev_i32_e32 v27, 31, v26
	v_lshlrev_b64 v[32:33], 2, v[26:27]
	v_add_co_u32_e32 v32, vcc, v24, v32
	v_addc_co_u32_e32 v33, vcc, v25, v33, vcc
	global_load_dword v0, v[32:33], off
	global_load_dword v27, v[24:25], off offset:4
	s_waitcnt vmcnt(1)
	global_store_dword v[24:25], v0, off offset:4
	s_waitcnt vmcnt(1)
	global_store_dword v[32:33], v27, off
.LBB6_35:
	s_or_b64 exec, exec, s[4:5]
	v_mov_b32_e32 v32, v26
	v_mov_b32_e32 v0, v26
.LBB6_36:
	s_or_b64 exec, exec, s[2:3]
.LBB6_37:
	s_andn2_saveexec_b64 s[0:1], s[0:1]
	s_cbranch_execz .LBB6_39
; %bb.38:
	v_mov_b32_e32 v32, 1
	ds_write2_b64 v28, v[6:7], v[8:9] offset0:4 offset1:5
	ds_write2_b64 v28, v[14:15], v[16:17] offset0:6 offset1:7
.LBB6_39:
	s_or_b64 exec, exec, s[0:1]
	v_cmp_lt_i32_e32 vcc, 1, v32
	s_waitcnt vmcnt(0) lgkmcnt(0)
	s_barrier
	s_and_saveexec_b64 s[0:1], vcc
	s_cbranch_execz .LBB6_41
; %bb.40:
	v_mul_f64 v[26:27], v[18:19], v[12:13]
	v_mul_f64 v[12:13], v[20:21], v[12:13]
	ds_read2_b64 v[33:36], v28 offset0:4 offset1:5
	ds_read2_b64 v[37:40], v28 offset0:6 offset1:7
	v_fma_f64 v[20:21], v[20:21], v[10:11], v[26:27]
	v_fma_f64 v[10:11], v[18:19], v[10:11], -v[12:13]
	s_waitcnt lgkmcnt(1)
	v_mul_f64 v[12:13], v[35:36], v[20:21]
	v_mul_f64 v[18:19], v[33:34], v[20:21]
	s_waitcnt lgkmcnt(0)
	v_mul_f64 v[26:27], v[39:40], v[20:21]
	v_mul_f64 v[41:42], v[37:38], v[20:21]
	v_fma_f64 v[12:13], v[33:34], v[10:11], -v[12:13]
	v_fma_f64 v[18:19], v[35:36], v[10:11], v[18:19]
	v_fma_f64 v[26:27], v[37:38], v[10:11], -v[26:27]
	v_fma_f64 v[33:34], v[39:40], v[10:11], v[41:42]
	v_add_f64 v[6:7], v[6:7], -v[12:13]
	v_add_f64 v[8:9], v[8:9], -v[18:19]
	;; [unrolled: 1-line block ×4, first 2 shown]
	v_mov_b32_e32 v12, v20
	v_mov_b32_e32 v13, v21
.LBB6_41:
	s_or_b64 exec, exec, s[0:1]
	v_lshl_add_u32 v18, v32, 4, v28
	s_barrier
	ds_write2_b64 v18, v[6:7], v[8:9] offset1:1
	s_waitcnt lgkmcnt(0)
	s_barrier
	ds_read2_b64 v[18:21], v28 offset0:4 offset1:5
	s_cmp_lt_i32 s22, 4
	v_mov_b32_e32 v26, 2
	s_cbranch_scc1 .LBB6_44
; %bb.42:
	v_add3_u32 v27, v1, 0, 48
	s_mov_b32 s2, 3
	v_mov_b32_e32 v26, 2
.LBB6_43:                               ; =>This Inner Loop Header: Depth=1
	s_waitcnt lgkmcnt(0)
	v_cmp_gt_f64_e32 vcc, 0, v[20:21]
	v_cmp_gt_f64_e64 s[0:1], 0, v[18:19]
	ds_read2_b64 v[33:36], v27 offset1:1
	v_xor_b32_e32 v38, 0x80000000, v19
	v_xor_b32_e32 v40, 0x80000000, v21
	v_mov_b32_e32 v37, v18
	v_mov_b32_e32 v39, v20
	s_waitcnt lgkmcnt(0)
	v_xor_b32_e32 v42, 0x80000000, v36
	v_cndmask_b32_e32 v40, v21, v40, vcc
	v_cndmask_b32_e64 v38, v19, v38, s[0:1]
	v_cmp_gt_f64_e32 vcc, 0, v[35:36]
	v_cmp_gt_f64_e64 s[0:1], 0, v[33:34]
	v_add_f64 v[37:38], v[37:38], v[39:40]
	v_xor_b32_e32 v40, 0x80000000, v34
	v_mov_b32_e32 v39, v33
	v_mov_b32_e32 v41, v35
	v_add_u32_e32 v27, 16, v27
	v_cndmask_b32_e32 v42, v36, v42, vcc
	v_cndmask_b32_e64 v40, v34, v40, s[0:1]
	v_add_f64 v[39:40], v[39:40], v[41:42]
	v_mov_b32_e32 v41, s2
	s_add_i32 s2, s2, 1
	s_cmp_lg_u32 s22, s2
	v_cmp_lt_f64_e32 vcc, v[37:38], v[39:40]
	v_cndmask_b32_e32 v19, v19, v34, vcc
	v_cndmask_b32_e32 v18, v18, v33, vcc
	;; [unrolled: 1-line block ×5, first 2 shown]
	s_cbranch_scc1 .LBB6_43
.LBB6_44:
	s_waitcnt lgkmcnt(0)
	v_cmp_eq_f64_e32 vcc, 0, v[18:19]
	v_cmp_eq_f64_e64 s[0:1], 0, v[20:21]
	s_and_b64 s[0:1], vcc, s[0:1]
	s_and_saveexec_b64 s[2:3], s[0:1]
	s_xor_b64 s[0:1], exec, s[2:3]
; %bb.45:
	v_cmp_ne_u32_e32 vcc, 0, v31
	v_cndmask_b32_e32 v31, 3, v31, vcc
; %bb.46:
	s_andn2_saveexec_b64 s[0:1], s[0:1]
	s_cbranch_execz .LBB6_52
; %bb.47:
	v_cmp_ngt_f64_e64 s[2:3], |v[18:19]|, |v[20:21]|
	s_and_saveexec_b64 s[4:5], s[2:3]
	s_xor_b64 s[2:3], exec, s[4:5]
	s_cbranch_execz .LBB6_49
; %bb.48:
	v_div_scale_f64 v[33:34], s[4:5], v[20:21], v[20:21], v[18:19]
	v_rcp_f64_e32 v[35:36], v[33:34]
	v_fma_f64 v[37:38], -v[33:34], v[35:36], 1.0
	v_fma_f64 v[35:36], v[35:36], v[37:38], v[35:36]
	v_div_scale_f64 v[37:38], vcc, v[18:19], v[20:21], v[18:19]
	v_fma_f64 v[39:40], -v[33:34], v[35:36], 1.0
	v_fma_f64 v[35:36], v[35:36], v[39:40], v[35:36]
	v_mul_f64 v[39:40], v[37:38], v[35:36]
	v_fma_f64 v[33:34], -v[33:34], v[39:40], v[37:38]
	v_div_fmas_f64 v[33:34], v[33:34], v[35:36], v[39:40]
	v_div_fixup_f64 v[33:34], v[33:34], v[20:21], v[18:19]
	v_fma_f64 v[18:19], v[18:19], v[33:34], v[20:21]
	v_div_scale_f64 v[20:21], s[4:5], v[18:19], v[18:19], 1.0
	v_div_scale_f64 v[39:40], vcc, 1.0, v[18:19], 1.0
	v_rcp_f64_e32 v[35:36], v[20:21]
	v_fma_f64 v[37:38], -v[20:21], v[35:36], 1.0
	v_fma_f64 v[35:36], v[35:36], v[37:38], v[35:36]
	v_fma_f64 v[37:38], -v[20:21], v[35:36], 1.0
	v_fma_f64 v[35:36], v[35:36], v[37:38], v[35:36]
	v_mul_f64 v[37:38], v[39:40], v[35:36]
	v_fma_f64 v[20:21], -v[20:21], v[37:38], v[39:40]
	v_div_fmas_f64 v[20:21], v[20:21], v[35:36], v[37:38]
	v_div_fixup_f64 v[20:21], v[20:21], v[18:19], 1.0
	v_mul_f64 v[18:19], v[33:34], v[20:21]
	v_xor_b32_e32 v21, 0x80000000, v21
.LBB6_49:
	s_andn2_saveexec_b64 s[2:3], s[2:3]
	s_cbranch_execz .LBB6_51
; %bb.50:
	v_div_scale_f64 v[33:34], s[4:5], v[18:19], v[18:19], v[20:21]
	v_rcp_f64_e32 v[35:36], v[33:34]
	v_fma_f64 v[37:38], -v[33:34], v[35:36], 1.0
	v_fma_f64 v[35:36], v[35:36], v[37:38], v[35:36]
	v_div_scale_f64 v[37:38], vcc, v[20:21], v[18:19], v[20:21]
	v_fma_f64 v[39:40], -v[33:34], v[35:36], 1.0
	v_fma_f64 v[35:36], v[35:36], v[39:40], v[35:36]
	v_mul_f64 v[39:40], v[37:38], v[35:36]
	v_fma_f64 v[33:34], -v[33:34], v[39:40], v[37:38]
	v_div_fmas_f64 v[33:34], v[33:34], v[35:36], v[39:40]
	v_div_fixup_f64 v[33:34], v[33:34], v[18:19], v[20:21]
	v_fma_f64 v[18:19], v[20:21], v[33:34], v[18:19]
	v_div_scale_f64 v[20:21], s[4:5], v[18:19], v[18:19], 1.0
	v_div_scale_f64 v[39:40], vcc, 1.0, v[18:19], 1.0
	v_rcp_f64_e32 v[35:36], v[20:21]
	v_fma_f64 v[37:38], -v[20:21], v[35:36], 1.0
	v_fma_f64 v[35:36], v[35:36], v[37:38], v[35:36]
	v_fma_f64 v[37:38], -v[20:21], v[35:36], 1.0
	v_fma_f64 v[35:36], v[35:36], v[37:38], v[35:36]
	v_mul_f64 v[37:38], v[39:40], v[35:36]
	v_fma_f64 v[20:21], -v[20:21], v[37:38], v[39:40]
	v_div_fmas_f64 v[20:21], v[20:21], v[35:36], v[37:38]
	v_div_fixup_f64 v[18:19], v[20:21], v[18:19], 1.0
	v_mul_f64 v[20:21], v[33:34], -v[18:19]
.LBB6_51:
	s_or_b64 exec, exec, s[2:3]
.LBB6_52:
	s_or_b64 exec, exec, s[0:1]
	v_cmp_ne_u32_e32 vcc, v32, v26
	s_and_saveexec_b64 s[0:1], vcc
	s_xor_b64 s[0:1], exec, s[0:1]
	s_cbranch_execz .LBB6_58
; %bb.53:
	v_cmp_eq_u32_e32 vcc, 2, v32
	s_and_saveexec_b64 s[2:3], vcc
	s_cbranch_execz .LBB6_57
; %bb.54:
	v_cmp_ne_u32_e32 vcc, 2, v26
	s_xor_b64 s[4:5], s[18:19], -1
	s_and_b64 s[24:25], s[4:5], vcc
	s_and_saveexec_b64 s[4:5], s[24:25]
	s_cbranch_execz .LBB6_56
; %bb.55:
	v_ashrrev_i32_e32 v27, 31, v26
	v_lshlrev_b64 v[32:33], 2, v[26:27]
	v_add_co_u32_e32 v32, vcc, v24, v32
	v_addc_co_u32_e32 v33, vcc, v25, v33, vcc
	global_load_dword v0, v[32:33], off
	global_load_dword v27, v[24:25], off offset:8
	s_waitcnt vmcnt(1)
	global_store_dword v[24:25], v0, off offset:8
	s_waitcnt vmcnt(1)
	global_store_dword v[32:33], v27, off
.LBB6_56:
	s_or_b64 exec, exec, s[4:5]
	v_mov_b32_e32 v32, v26
	v_mov_b32_e32 v0, v26
.LBB6_57:
	s_or_b64 exec, exec, s[2:3]
.LBB6_58:
	s_andn2_saveexec_b64 s[0:1], s[0:1]
; %bb.59:
	v_mov_b32_e32 v32, 2
	ds_write2_b64 v28, v[14:15], v[16:17] offset0:6 offset1:7
; %bb.60:
	s_or_b64 exec, exec, s[0:1]
	v_cmp_lt_i32_e32 vcc, 2, v32
	s_waitcnt vmcnt(0) lgkmcnt(0)
	s_barrier
	s_and_saveexec_b64 s[0:1], vcc
	s_cbranch_execz .LBB6_62
; %bb.61:
	v_mul_f64 v[26:27], v[18:19], v[8:9]
	v_mul_f64 v[8:9], v[20:21], v[8:9]
	ds_read2_b64 v[33:36], v28 offset0:6 offset1:7
	v_fma_f64 v[20:21], v[20:21], v[6:7], v[26:27]
	v_fma_f64 v[6:7], v[18:19], v[6:7], -v[8:9]
	s_waitcnt lgkmcnt(0)
	v_mul_f64 v[8:9], v[35:36], v[20:21]
	v_mul_f64 v[18:19], v[33:34], v[20:21]
	v_fma_f64 v[8:9], v[33:34], v[6:7], -v[8:9]
	v_fma_f64 v[18:19], v[35:36], v[6:7], v[18:19]
	v_add_f64 v[14:15], v[14:15], -v[8:9]
	v_add_f64 v[16:17], v[16:17], -v[18:19]
	v_mov_b32_e32 v8, v20
	v_mov_b32_e32 v9, v21
.LBB6_62:
	s_or_b64 exec, exec, s[0:1]
	v_lshl_add_u32 v18, v32, 4, v28
	s_barrier
	ds_write2_b64 v18, v[14:15], v[16:17] offset1:1
	s_waitcnt lgkmcnt(0)
	s_barrier
	ds_read2_b64 v[18:21], v28 offset0:6 offset1:7
	s_mov_b32 s2, 4
	s_cmp_lt_i32 s22, 5
	v_mov_b32_e32 v26, 3
	s_cbranch_scc1 .LBB6_65
; %bb.63:
	v_add3_u32 v1, v1, 0, 64
	v_mov_b32_e32 v26, 3
.LBB6_64:                               ; =>This Inner Loop Header: Depth=1
	s_waitcnt lgkmcnt(0)
	v_cmp_gt_f64_e32 vcc, 0, v[20:21]
	v_cmp_gt_f64_e64 s[0:1], 0, v[18:19]
	ds_read2_b64 v[33:36], v1 offset1:1
	v_xor_b32_e32 v28, 0x80000000, v19
	v_xor_b32_e32 v38, 0x80000000, v21
	v_mov_b32_e32 v27, v18
	v_mov_b32_e32 v37, v20
	s_waitcnt lgkmcnt(0)
	v_xor_b32_e32 v40, 0x80000000, v36
	v_cndmask_b32_e32 v38, v21, v38, vcc
	v_cndmask_b32_e64 v28, v19, v28, s[0:1]
	v_cmp_gt_f64_e32 vcc, 0, v[35:36]
	v_cmp_gt_f64_e64 s[0:1], 0, v[33:34]
	v_add_f64 v[27:28], v[27:28], v[37:38]
	v_xor_b32_e32 v38, 0x80000000, v34
	v_mov_b32_e32 v37, v33
	v_mov_b32_e32 v39, v35
	v_add_u32_e32 v1, 16, v1
	v_cndmask_b32_e32 v40, v36, v40, vcc
	v_cndmask_b32_e64 v38, v34, v38, s[0:1]
	v_add_f64 v[37:38], v[37:38], v[39:40]
	v_mov_b32_e32 v39, s2
	s_add_i32 s2, s2, 1
	s_cmp_lg_u32 s22, s2
	v_cmp_lt_f64_e32 vcc, v[27:28], v[37:38]
	v_cndmask_b32_e32 v19, v19, v34, vcc
	v_cndmask_b32_e32 v18, v18, v33, vcc
	;; [unrolled: 1-line block ×5, first 2 shown]
	s_cbranch_scc1 .LBB6_64
.LBB6_65:
	s_waitcnt lgkmcnt(0)
	v_cmp_eq_f64_e32 vcc, 0, v[18:19]
	v_cmp_eq_f64_e64 s[0:1], 0, v[20:21]
	s_and_b64 s[0:1], vcc, s[0:1]
	s_and_saveexec_b64 s[2:3], s[0:1]
	s_xor_b64 s[0:1], exec, s[2:3]
; %bb.66:
	v_cmp_ne_u32_e32 vcc, 0, v31
	v_cndmask_b32_e32 v31, 4, v31, vcc
; %bb.67:
	s_andn2_saveexec_b64 s[0:1], s[0:1]
	s_cbranch_execz .LBB6_73
; %bb.68:
	v_cmp_ngt_f64_e64 s[2:3], |v[18:19]|, |v[20:21]|
	s_and_saveexec_b64 s[4:5], s[2:3]
	s_xor_b64 s[2:3], exec, s[4:5]
	s_cbranch_execz .LBB6_70
; %bb.69:
	v_div_scale_f64 v[27:28], s[4:5], v[20:21], v[20:21], v[18:19]
	v_rcp_f64_e32 v[33:34], v[27:28]
	v_fma_f64 v[35:36], -v[27:28], v[33:34], 1.0
	v_fma_f64 v[33:34], v[33:34], v[35:36], v[33:34]
	v_div_scale_f64 v[35:36], vcc, v[18:19], v[20:21], v[18:19]
	v_fma_f64 v[37:38], -v[27:28], v[33:34], 1.0
	v_fma_f64 v[33:34], v[33:34], v[37:38], v[33:34]
	v_mul_f64 v[37:38], v[35:36], v[33:34]
	v_fma_f64 v[27:28], -v[27:28], v[37:38], v[35:36]
	v_div_fmas_f64 v[27:28], v[27:28], v[33:34], v[37:38]
	v_div_fixup_f64 v[27:28], v[27:28], v[20:21], v[18:19]
	v_fma_f64 v[18:19], v[18:19], v[27:28], v[20:21]
	v_div_scale_f64 v[20:21], s[4:5], v[18:19], v[18:19], 1.0
	v_div_scale_f64 v[37:38], vcc, 1.0, v[18:19], 1.0
	v_rcp_f64_e32 v[33:34], v[20:21]
	v_fma_f64 v[35:36], -v[20:21], v[33:34], 1.0
	v_fma_f64 v[33:34], v[33:34], v[35:36], v[33:34]
	v_fma_f64 v[35:36], -v[20:21], v[33:34], 1.0
	v_fma_f64 v[33:34], v[33:34], v[35:36], v[33:34]
	v_mul_f64 v[35:36], v[37:38], v[33:34]
	v_fma_f64 v[20:21], -v[20:21], v[35:36], v[37:38]
	v_div_fmas_f64 v[20:21], v[20:21], v[33:34], v[35:36]
	v_div_fixup_f64 v[20:21], v[20:21], v[18:19], 1.0
	v_mul_f64 v[18:19], v[27:28], v[20:21]
	v_xor_b32_e32 v21, 0x80000000, v21
.LBB6_70:
	s_andn2_saveexec_b64 s[2:3], s[2:3]
	s_cbranch_execz .LBB6_72
; %bb.71:
	v_div_scale_f64 v[27:28], s[4:5], v[18:19], v[18:19], v[20:21]
	v_rcp_f64_e32 v[33:34], v[27:28]
	v_fma_f64 v[35:36], -v[27:28], v[33:34], 1.0
	v_fma_f64 v[33:34], v[33:34], v[35:36], v[33:34]
	v_div_scale_f64 v[35:36], vcc, v[20:21], v[18:19], v[20:21]
	v_fma_f64 v[37:38], -v[27:28], v[33:34], 1.0
	v_fma_f64 v[33:34], v[33:34], v[37:38], v[33:34]
	v_mul_f64 v[37:38], v[35:36], v[33:34]
	v_fma_f64 v[27:28], -v[27:28], v[37:38], v[35:36]
	v_div_fmas_f64 v[27:28], v[27:28], v[33:34], v[37:38]
	v_div_fixup_f64 v[27:28], v[27:28], v[18:19], v[20:21]
	v_fma_f64 v[18:19], v[20:21], v[27:28], v[18:19]
	v_div_scale_f64 v[20:21], s[4:5], v[18:19], v[18:19], 1.0
	v_div_scale_f64 v[37:38], vcc, 1.0, v[18:19], 1.0
	v_rcp_f64_e32 v[33:34], v[20:21]
	v_fma_f64 v[35:36], -v[20:21], v[33:34], 1.0
	v_fma_f64 v[33:34], v[33:34], v[35:36], v[33:34]
	v_fma_f64 v[35:36], -v[20:21], v[33:34], 1.0
	v_fma_f64 v[33:34], v[33:34], v[35:36], v[33:34]
	v_mul_f64 v[35:36], v[37:38], v[33:34]
	v_fma_f64 v[20:21], -v[20:21], v[35:36], v[37:38]
	v_div_fmas_f64 v[20:21], v[20:21], v[33:34], v[35:36]
	v_div_fixup_f64 v[18:19], v[20:21], v[18:19], 1.0
	v_mul_f64 v[20:21], v[27:28], -v[18:19]
.LBB6_72:
	s_or_b64 exec, exec, s[2:3]
.LBB6_73:
	s_or_b64 exec, exec, s[0:1]
	v_cmp_ne_u32_e32 vcc, v32, v26
	v_mov_b32_e32 v27, 3
	s_and_saveexec_b64 s[0:1], vcc
	s_cbranch_execz .LBB6_79
; %bb.74:
	v_cmp_eq_u32_e32 vcc, 3, v32
	s_and_saveexec_b64 s[2:3], vcc
	s_cbranch_execz .LBB6_78
; %bb.75:
	v_cmp_ne_u32_e32 vcc, 3, v26
	s_xor_b64 s[4:5], s[18:19], -1
	s_and_b64 s[18:19], s[4:5], vcc
	s_and_saveexec_b64 s[4:5], s[18:19]
	s_cbranch_execz .LBB6_77
; %bb.76:
	v_ashrrev_i32_e32 v27, 31, v26
	v_lshlrev_b64 v[0:1], 2, v[26:27]
	v_add_co_u32_e32 v0, vcc, v24, v0
	v_addc_co_u32_e32 v1, vcc, v25, v1, vcc
	global_load_dword v27, v[0:1], off
	global_load_dword v28, v[24:25], off offset:12
	s_waitcnt vmcnt(1)
	global_store_dword v[24:25], v27, off offset:12
	s_waitcnt vmcnt(1)
	global_store_dword v[0:1], v28, off
.LBB6_77:
	s_or_b64 exec, exec, s[4:5]
	v_mov_b32_e32 v32, v26
	v_mov_b32_e32 v0, v26
.LBB6_78:
	s_or_b64 exec, exec, s[2:3]
	v_mov_b32_e32 v27, v32
.LBB6_79:
	s_or_b64 exec, exec, s[0:1]
	v_cmp_gt_i32_e32 vcc, 4, v27
	v_ashrrev_i32_e32 v28, 31, v27
	s_waitcnt vmcnt(0)
	s_barrier
	s_barrier
	s_and_saveexec_b64 s[0:1], vcc
	s_cbranch_execz .LBB6_81
; %bb.80:
	v_mul_lo_u32 v1, s15, v22
	v_mul_lo_u32 v26, s14, v23
	v_mad_u64_u32 v[24:25], s[2:3], s14, v22, 0
	s_lshl_b64 s[2:3], s[12:13], 2
	v_add3_u32 v0, v0, s17, 1
	v_add3_u32 v25, v25, v26, v1
	v_lshlrev_b64 v[24:25], 2, v[24:25]
	v_mov_b32_e32 v1, s11
	v_add_co_u32_e32 v24, vcc, s10, v24
	v_addc_co_u32_e32 v1, vcc, v1, v25, vcc
	v_mov_b32_e32 v25, s3
	v_add_co_u32_e32 v26, vcc, s2, v24
	v_addc_co_u32_e32 v1, vcc, v1, v25, vcc
	v_lshlrev_b64 v[24:25], 2, v[27:28]
	v_add_co_u32_e32 v24, vcc, v26, v24
	v_addc_co_u32_e32 v25, vcc, v1, v25, vcc
	global_store_dword v[24:25], v0, off
.LBB6_81:
	s_or_b64 exec, exec, s[0:1]
	v_cmp_eq_u32_e32 vcc, 0, v27
	s_and_saveexec_b64 s[2:3], vcc
	s_cbranch_execz .LBB6_84
; %bb.82:
	v_lshlrev_b64 v[0:1], 2, v[22:23]
	v_mov_b32_e32 v22, s21
	v_add_co_u32_e32 v0, vcc, s20, v0
	v_addc_co_u32_e32 v1, vcc, v22, v1, vcc
	global_load_dword v22, v[0:1], off
	v_cmp_ne_u32_e64 s[0:1], 0, v31
	s_waitcnt vmcnt(0)
	v_cmp_eq_u32_e32 vcc, 0, v22
	s_and_b64 s[0:1], vcc, s[0:1]
	s_and_b64 exec, exec, s[0:1]
	s_cbranch_execz .LBB6_84
; %bb.83:
	v_add_u32_e32 v22, s17, v31
	global_store_dword v[0:1], v22, off
.LBB6_84:
	s_or_b64 exec, exec, s[2:3]
	v_mul_f64 v[0:1], v[18:19], v[16:17]
	v_mul_f64 v[22:23], v[20:21], v[16:17]
	v_lshlrev_b64 v[24:25], 4, v[27:28]
	v_mov_b32_e32 v26, s9
	v_fma_f64 v[0:1], v[20:21], v[14:15], v[0:1]
	v_fma_f64 v[18:19], v[18:19], v[14:15], -v[22:23]
	v_add_co_u32_e32 v20, vcc, v29, v24
	v_addc_co_u32_e32 v21, vcc, v30, v25, vcc
	v_cmp_lt_i32_e32 vcc, 3, v27
	global_store_dwordx4 v[20:21], v[2:5], off
	s_nop 0
	v_cndmask_b32_e32 v3, v17, v1, vcc
	v_cndmask_b32_e32 v2, v16, v0, vcc
	;; [unrolled: 1-line block ×4, first 2 shown]
	v_add_co_u32_e32 v4, vcc, s8, v20
	v_addc_co_u32_e32 v5, vcc, v21, v26, vcc
	global_store_dwordx4 v[4:5], v[10:13], off
	v_add_u32_e32 v4, s16, v27
	v_ashrrev_i32_e32 v5, 31, v4
	v_lshlrev_b64 v[10:11], 4, v[4:5]
	v_add_u32_e32 v4, s6, v4
	v_ashrrev_i32_e32 v5, 31, v4
	v_add_co_u32_e32 v10, vcc, v29, v10
	v_lshlrev_b64 v[4:5], 4, v[4:5]
	v_addc_co_u32_e32 v11, vcc, v30, v11, vcc
	v_add_co_u32_e32 v4, vcc, v29, v4
	v_addc_co_u32_e32 v5, vcc, v30, v5, vcc
	global_store_dwordx4 v[10:11], v[6:9], off
	global_store_dwordx4 v[4:5], v[0:3], off
.LBB6_85:
	s_endpgm
	.section	.rodata,"a",@progbits
	.p2align	6, 0x0
	.amdhsa_kernel _ZN9rocsolver6v33100L18getf2_small_kernelILi4E19rocblas_complex_numIdEiiPS3_EEvT1_T3_lS5_lPS5_llPT2_S5_S5_S7_l
		.amdhsa_group_segment_fixed_size 0
		.amdhsa_private_segment_fixed_size 0
		.amdhsa_kernarg_size 352
		.amdhsa_user_sgpr_count 6
		.amdhsa_user_sgpr_private_segment_buffer 1
		.amdhsa_user_sgpr_dispatch_ptr 0
		.amdhsa_user_sgpr_queue_ptr 0
		.amdhsa_user_sgpr_kernarg_segment_ptr 1
		.amdhsa_user_sgpr_dispatch_id 0
		.amdhsa_user_sgpr_flat_scratch_init 0
		.amdhsa_user_sgpr_private_segment_size 0
		.amdhsa_uses_dynamic_stack 0
		.amdhsa_system_sgpr_private_segment_wavefront_offset 0
		.amdhsa_system_sgpr_workgroup_id_x 1
		.amdhsa_system_sgpr_workgroup_id_y 1
		.amdhsa_system_sgpr_workgroup_id_z 0
		.amdhsa_system_sgpr_workgroup_info 0
		.amdhsa_system_vgpr_workitem_id 1
		.amdhsa_next_free_vgpr 44
		.amdhsa_next_free_sgpr 26
		.amdhsa_reserve_vcc 1
		.amdhsa_reserve_flat_scratch 0
		.amdhsa_float_round_mode_32 0
		.amdhsa_float_round_mode_16_64 0
		.amdhsa_float_denorm_mode_32 3
		.amdhsa_float_denorm_mode_16_64 3
		.amdhsa_dx10_clamp 1
		.amdhsa_ieee_mode 1
		.amdhsa_fp16_overflow 0
		.amdhsa_exception_fp_ieee_invalid_op 0
		.amdhsa_exception_fp_denorm_src 0
		.amdhsa_exception_fp_ieee_div_zero 0
		.amdhsa_exception_fp_ieee_overflow 0
		.amdhsa_exception_fp_ieee_underflow 0
		.amdhsa_exception_fp_ieee_inexact 0
		.amdhsa_exception_int_div_zero 0
	.end_amdhsa_kernel
	.section	.text._ZN9rocsolver6v33100L18getf2_small_kernelILi4E19rocblas_complex_numIdEiiPS3_EEvT1_T3_lS5_lPS5_llPT2_S5_S5_S7_l,"axG",@progbits,_ZN9rocsolver6v33100L18getf2_small_kernelILi4E19rocblas_complex_numIdEiiPS3_EEvT1_T3_lS5_lPS5_llPT2_S5_S5_S7_l,comdat
.Lfunc_end6:
	.size	_ZN9rocsolver6v33100L18getf2_small_kernelILi4E19rocblas_complex_numIdEiiPS3_EEvT1_T3_lS5_lPS5_llPT2_S5_S5_S7_l, .Lfunc_end6-_ZN9rocsolver6v33100L18getf2_small_kernelILi4E19rocblas_complex_numIdEiiPS3_EEvT1_T3_lS5_lPS5_llPT2_S5_S5_S7_l
                                        ; -- End function
	.set _ZN9rocsolver6v33100L18getf2_small_kernelILi4E19rocblas_complex_numIdEiiPS3_EEvT1_T3_lS5_lPS5_llPT2_S5_S5_S7_l.num_vgpr, 44
	.set _ZN9rocsolver6v33100L18getf2_small_kernelILi4E19rocblas_complex_numIdEiiPS3_EEvT1_T3_lS5_lPS5_llPT2_S5_S5_S7_l.num_agpr, 0
	.set _ZN9rocsolver6v33100L18getf2_small_kernelILi4E19rocblas_complex_numIdEiiPS3_EEvT1_T3_lS5_lPS5_llPT2_S5_S5_S7_l.numbered_sgpr, 26
	.set _ZN9rocsolver6v33100L18getf2_small_kernelILi4E19rocblas_complex_numIdEiiPS3_EEvT1_T3_lS5_lPS5_llPT2_S5_S5_S7_l.num_named_barrier, 0
	.set _ZN9rocsolver6v33100L18getf2_small_kernelILi4E19rocblas_complex_numIdEiiPS3_EEvT1_T3_lS5_lPS5_llPT2_S5_S5_S7_l.private_seg_size, 0
	.set _ZN9rocsolver6v33100L18getf2_small_kernelILi4E19rocblas_complex_numIdEiiPS3_EEvT1_T3_lS5_lPS5_llPT2_S5_S5_S7_l.uses_vcc, 1
	.set _ZN9rocsolver6v33100L18getf2_small_kernelILi4E19rocblas_complex_numIdEiiPS3_EEvT1_T3_lS5_lPS5_llPT2_S5_S5_S7_l.uses_flat_scratch, 0
	.set _ZN9rocsolver6v33100L18getf2_small_kernelILi4E19rocblas_complex_numIdEiiPS3_EEvT1_T3_lS5_lPS5_llPT2_S5_S5_S7_l.has_dyn_sized_stack, 0
	.set _ZN9rocsolver6v33100L18getf2_small_kernelILi4E19rocblas_complex_numIdEiiPS3_EEvT1_T3_lS5_lPS5_llPT2_S5_S5_S7_l.has_recursion, 0
	.set _ZN9rocsolver6v33100L18getf2_small_kernelILi4E19rocblas_complex_numIdEiiPS3_EEvT1_T3_lS5_lPS5_llPT2_S5_S5_S7_l.has_indirect_call, 0
	.section	.AMDGPU.csdata,"",@progbits
; Kernel info:
; codeLenInByte = 4688
; TotalNumSgprs: 30
; NumVgprs: 44
; ScratchSize: 0
; MemoryBound: 0
; FloatMode: 240
; IeeeMode: 1
; LDSByteSize: 0 bytes/workgroup (compile time only)
; SGPRBlocks: 3
; VGPRBlocks: 10
; NumSGPRsForWavesPerEU: 30
; NumVGPRsForWavesPerEU: 44
; Occupancy: 5
; WaveLimiterHint : 0
; COMPUTE_PGM_RSRC2:SCRATCH_EN: 0
; COMPUTE_PGM_RSRC2:USER_SGPR: 6
; COMPUTE_PGM_RSRC2:TRAP_HANDLER: 0
; COMPUTE_PGM_RSRC2:TGID_X_EN: 1
; COMPUTE_PGM_RSRC2:TGID_Y_EN: 1
; COMPUTE_PGM_RSRC2:TGID_Z_EN: 0
; COMPUTE_PGM_RSRC2:TIDIG_COMP_CNT: 1
	.section	.text._ZN9rocsolver6v33100L23getf2_npvt_small_kernelILi4E19rocblas_complex_numIdEiiPS3_EEvT1_T3_lS5_lPT2_S5_S5_,"axG",@progbits,_ZN9rocsolver6v33100L23getf2_npvt_small_kernelILi4E19rocblas_complex_numIdEiiPS3_EEvT1_T3_lS5_lPT2_S5_S5_,comdat
	.globl	_ZN9rocsolver6v33100L23getf2_npvt_small_kernelILi4E19rocblas_complex_numIdEiiPS3_EEvT1_T3_lS5_lPT2_S5_S5_ ; -- Begin function _ZN9rocsolver6v33100L23getf2_npvt_small_kernelILi4E19rocblas_complex_numIdEiiPS3_EEvT1_T3_lS5_lPT2_S5_S5_
	.p2align	8
	.type	_ZN9rocsolver6v33100L23getf2_npvt_small_kernelILi4E19rocblas_complex_numIdEiiPS3_EEvT1_T3_lS5_lPT2_S5_S5_,@function
_ZN9rocsolver6v33100L23getf2_npvt_small_kernelILi4E19rocblas_complex_numIdEiiPS3_EEvT1_T3_lS5_lPT2_S5_S5_: ; @_ZN9rocsolver6v33100L23getf2_npvt_small_kernelILi4E19rocblas_complex_numIdEiiPS3_EEvT1_T3_lS5_lPT2_S5_S5_
; %bb.0:
	s_load_dword s0, s[4:5], 0x44
	s_load_dwordx2 s[14:15], s[4:5], 0x30
	s_waitcnt lgkmcnt(0)
	s_lshr_b32 s0, s0, 16
	s_mul_i32 s7, s7, s0
	v_add_u32_e32 v40, s7, v1
	v_cmp_gt_i32_e32 vcc, s14, v40
	s_and_saveexec_b64 s[2:3], vcc
	s_cbranch_execz .LBB7_39
; %bb.1:
	s_load_dwordx4 s[8:11], s[4:5], 0x20
	s_load_dword s2, s[4:5], 0x18
	v_ashrrev_i32_e32 v41, 31, v40
	s_load_dwordx4 s[16:19], s[4:5], 0x8
	s_lshl_b32 s0, s0, 6
	s_waitcnt lgkmcnt(0)
	v_mul_lo_u32 v4, s9, v40
	v_mul_lo_u32 v5, s8, v41
	v_mad_u64_u32 v[2:3], s[6:7], s8, v40, 0
	s_lshl_b64 s[4:5], s[18:19], 4
	s_ashr_i32 s3, s2, 31
	v_add3_u32 v3, v3, v5, v4
	v_lshlrev_b64 v[2:3], 4, v[2:3]
	v_mov_b32_e32 v4, s17
	v_add_co_u32_e32 v2, vcc, s16, v2
	v_addc_co_u32_e32 v3, vcc, v4, v3, vcc
	v_mov_b32_e32 v4, s5
	v_add_co_u32_e32 v5, vcc, s4, v2
	v_addc_co_u32_e32 v6, vcc, v3, v4, vcc
	v_lshlrev_b32_e32 v2, 4, v0
	v_add_co_u32_e32 v34, vcc, v5, v2
	v_addc_co_u32_e32 v35, vcc, 0, v6, vcc
	s_lshl_b64 s[4:5], s[2:3], 4
	v_mov_b32_e32 v2, s5
	v_add_co_u32_e32 v36, vcc, s4, v34
	s_add_i32 s1, s2, s2
	v_addc_co_u32_e32 v37, vcc, v35, v2, vcc
	v_add_u32_e32 v2, s1, v0
	v_ashrrev_i32_e32 v3, 31, v2
	v_lshlrev_b64 v[3:4], 4, v[2:3]
	v_add_u32_e32 v2, s2, v2
	v_add_co_u32_e32 v38, vcc, v5, v3
	v_ashrrev_i32_e32 v3, 31, v2
	v_lshlrev_b64 v[2:3], 4, v[2:3]
	v_addc_co_u32_e32 v39, vcc, v6, v4, vcc
	v_add_co_u32_e32 v42, vcc, v5, v2
	v_addc_co_u32_e32 v43, vcc, v6, v3, vcc
	global_load_dwordx4 v[14:17], v[34:35], off
	global_load_dwordx4 v[10:13], v[36:37], off
	;; [unrolled: 1-line block ×4, first 2 shown]
	v_lshlrev_b32_e32 v18, 6, v1
	s_add_i32 s0, s0, 0
	v_lshl_add_u32 v1, v1, 4, s0
	v_cmp_ne_u32_e64 s[2:3], 0, v0
	v_cmp_eq_u32_e64 s[0:1], 0, v0
	v_add_u32_e32 v44, 0, v18
	s_and_saveexec_b64 s[6:7], s[0:1]
	s_cbranch_execz .LBB7_8
; %bb.2:
	s_waitcnt vmcnt(3)
	ds_write2_b64 v1, v[14:15], v[16:17] offset1:1
	s_waitcnt vmcnt(2)
	ds_write2_b64 v44, v[10:11], v[12:13] offset0:2 offset1:3
	s_waitcnt vmcnt(1)
	ds_write2_b64 v44, v[2:3], v[4:5] offset0:4 offset1:5
	;; [unrolled: 2-line block ×3, first 2 shown]
	ds_read2_b64 v[18:21], v1 offset1:1
	s_waitcnt lgkmcnt(0)
	v_cmp_neq_f64_e32 vcc, 0, v[18:19]
	v_cmp_neq_f64_e64 s[4:5], 0, v[20:21]
	s_or_b64 s[4:5], vcc, s[4:5]
	s_and_b64 exec, exec, s[4:5]
	s_cbranch_execz .LBB7_8
; %bb.3:
	v_cmp_ngt_f64_e64 s[4:5], |v[18:19]|, |v[20:21]|
                                        ; implicit-def: $vgpr22_vgpr23
	s_and_saveexec_b64 s[8:9], s[4:5]
	s_xor_b64 s[4:5], exec, s[8:9]
                                        ; implicit-def: $vgpr24_vgpr25
	s_cbranch_execz .LBB7_5
; %bb.4:
	v_div_scale_f64 v[22:23], s[8:9], v[20:21], v[20:21], v[18:19]
	v_rcp_f64_e32 v[24:25], v[22:23]
	v_fma_f64 v[26:27], -v[22:23], v[24:25], 1.0
	v_fma_f64 v[24:25], v[24:25], v[26:27], v[24:25]
	v_div_scale_f64 v[26:27], vcc, v[18:19], v[20:21], v[18:19]
	v_fma_f64 v[28:29], -v[22:23], v[24:25], 1.0
	v_fma_f64 v[24:25], v[24:25], v[28:29], v[24:25]
	v_mul_f64 v[28:29], v[26:27], v[24:25]
	v_fma_f64 v[22:23], -v[22:23], v[28:29], v[26:27]
	v_div_fmas_f64 v[22:23], v[22:23], v[24:25], v[28:29]
	v_div_fixup_f64 v[22:23], v[22:23], v[20:21], v[18:19]
	v_fma_f64 v[18:19], v[18:19], v[22:23], v[20:21]
	v_div_scale_f64 v[20:21], s[8:9], v[18:19], v[18:19], 1.0
	v_div_scale_f64 v[28:29], vcc, 1.0, v[18:19], 1.0
	v_rcp_f64_e32 v[24:25], v[20:21]
	v_fma_f64 v[26:27], -v[20:21], v[24:25], 1.0
	v_fma_f64 v[24:25], v[24:25], v[26:27], v[24:25]
	v_fma_f64 v[26:27], -v[20:21], v[24:25], 1.0
	v_fma_f64 v[24:25], v[24:25], v[26:27], v[24:25]
	v_mul_f64 v[26:27], v[28:29], v[24:25]
	v_fma_f64 v[20:21], -v[20:21], v[26:27], v[28:29]
	v_div_fmas_f64 v[20:21], v[20:21], v[24:25], v[26:27]
	v_div_fixup_f64 v[24:25], v[20:21], v[18:19], 1.0
                                        ; implicit-def: $vgpr18_vgpr19
	v_mul_f64 v[22:23], v[22:23], v[24:25]
	v_xor_b32_e32 v25, 0x80000000, v25
.LBB7_5:
	s_andn2_saveexec_b64 s[4:5], s[4:5]
	s_cbranch_execz .LBB7_7
; %bb.6:
	v_div_scale_f64 v[22:23], s[8:9], v[18:19], v[18:19], v[20:21]
	v_rcp_f64_e32 v[24:25], v[22:23]
	v_fma_f64 v[26:27], -v[22:23], v[24:25], 1.0
	v_fma_f64 v[24:25], v[24:25], v[26:27], v[24:25]
	v_div_scale_f64 v[26:27], vcc, v[20:21], v[18:19], v[20:21]
	v_fma_f64 v[28:29], -v[22:23], v[24:25], 1.0
	v_fma_f64 v[24:25], v[24:25], v[28:29], v[24:25]
	v_mul_f64 v[28:29], v[26:27], v[24:25]
	v_fma_f64 v[22:23], -v[22:23], v[28:29], v[26:27]
	v_div_fmas_f64 v[22:23], v[22:23], v[24:25], v[28:29]
	v_div_fixup_f64 v[24:25], v[22:23], v[18:19], v[20:21]
	v_fma_f64 v[18:19], v[20:21], v[24:25], v[18:19]
	v_div_scale_f64 v[20:21], s[8:9], v[18:19], v[18:19], 1.0
	v_div_scale_f64 v[28:29], vcc, 1.0, v[18:19], 1.0
	v_rcp_f64_e32 v[22:23], v[20:21]
	v_fma_f64 v[26:27], -v[20:21], v[22:23], 1.0
	v_fma_f64 v[22:23], v[22:23], v[26:27], v[22:23]
	v_fma_f64 v[26:27], -v[20:21], v[22:23], 1.0
	v_fma_f64 v[22:23], v[22:23], v[26:27], v[22:23]
	v_mul_f64 v[26:27], v[28:29], v[22:23]
	v_fma_f64 v[20:21], -v[20:21], v[26:27], v[28:29]
	v_div_fmas_f64 v[20:21], v[20:21], v[22:23], v[26:27]
	v_div_fixup_f64 v[22:23], v[20:21], v[18:19], 1.0
	v_mul_f64 v[24:25], v[24:25], -v[22:23]
.LBB7_7:
	s_or_b64 exec, exec, s[4:5]
	ds_write2_b64 v1, v[22:23], v[24:25] offset1:1
.LBB7_8:
	s_or_b64 exec, exec, s[6:7]
	s_waitcnt vmcnt(0) lgkmcnt(0)
	s_barrier
	ds_read2_b64 v[18:21], v1 offset1:1
	s_and_saveexec_b64 s[4:5], s[2:3]
	s_cbranch_execz .LBB7_10
; %bb.9:
	s_waitcnt lgkmcnt(0)
	v_mul_f64 v[22:23], v[18:19], v[16:17]
	v_mul_f64 v[16:17], v[20:21], v[16:17]
	v_fma_f64 v[45:46], v[20:21], v[14:15], v[22:23]
	ds_read2_b64 v[22:25], v44 offset0:2 offset1:3
	ds_read2_b64 v[26:29], v44 offset0:4 offset1:5
	ds_read2_b64 v[30:33], v44 offset0:6 offset1:7
	v_fma_f64 v[14:15], v[18:19], v[14:15], -v[16:17]
	s_waitcnt lgkmcnt(2)
	v_mul_f64 v[16:17], v[24:25], v[45:46]
	v_mul_f64 v[47:48], v[22:23], v[45:46]
	s_waitcnt lgkmcnt(1)
	v_mul_f64 v[49:50], v[28:29], v[45:46]
	v_mul_f64 v[51:52], v[26:27], v[45:46]
	;; [unrolled: 3-line block ×3, first 2 shown]
	v_fma_f64 v[16:17], v[22:23], v[14:15], -v[16:17]
	v_fma_f64 v[22:23], v[24:25], v[14:15], v[47:48]
	v_fma_f64 v[24:25], v[26:27], v[14:15], -v[49:50]
	v_fma_f64 v[26:27], v[28:29], v[14:15], v[51:52]
	;; [unrolled: 2-line block ×3, first 2 shown]
	v_add_f64 v[10:11], v[10:11], -v[16:17]
	v_add_f64 v[12:13], v[12:13], -v[22:23]
	;; [unrolled: 1-line block ×6, first 2 shown]
	v_mov_b32_e32 v16, v45
	v_mov_b32_e32 v17, v46
.LBB7_10:
	s_or_b64 exec, exec, s[4:5]
	v_cmp_eq_u32_e32 vcc, 1, v0
	s_waitcnt lgkmcnt(0)
	s_barrier
	s_and_saveexec_b64 s[4:5], vcc
	s_cbranch_execz .LBB7_17
; %bb.11:
	ds_write2_b64 v1, v[10:11], v[12:13] offset1:1
	ds_write2_b64 v44, v[2:3], v[4:5] offset0:4 offset1:5
	ds_write2_b64 v44, v[6:7], v[8:9] offset0:6 offset1:7
	ds_read2_b64 v[22:25], v1 offset1:1
	s_waitcnt lgkmcnt(0)
	v_cmp_neq_f64_e32 vcc, 0, v[22:23]
	v_cmp_neq_f64_e64 s[2:3], 0, v[24:25]
	s_or_b64 s[2:3], vcc, s[2:3]
	s_and_b64 exec, exec, s[2:3]
	s_cbranch_execz .LBB7_17
; %bb.12:
	v_cmp_ngt_f64_e64 s[2:3], |v[22:23]|, |v[24:25]|
                                        ; implicit-def: $vgpr26_vgpr27
	s_and_saveexec_b64 s[6:7], s[2:3]
	s_xor_b64 s[2:3], exec, s[6:7]
                                        ; implicit-def: $vgpr28_vgpr29
	s_cbranch_execz .LBB7_14
; %bb.13:
	v_div_scale_f64 v[26:27], s[6:7], v[24:25], v[24:25], v[22:23]
	v_rcp_f64_e32 v[28:29], v[26:27]
	v_fma_f64 v[30:31], -v[26:27], v[28:29], 1.0
	v_fma_f64 v[28:29], v[28:29], v[30:31], v[28:29]
	v_div_scale_f64 v[30:31], vcc, v[22:23], v[24:25], v[22:23]
	v_fma_f64 v[32:33], -v[26:27], v[28:29], 1.0
	v_fma_f64 v[28:29], v[28:29], v[32:33], v[28:29]
	v_mul_f64 v[32:33], v[30:31], v[28:29]
	v_fma_f64 v[26:27], -v[26:27], v[32:33], v[30:31]
	v_div_fmas_f64 v[26:27], v[26:27], v[28:29], v[32:33]
	v_div_fixup_f64 v[26:27], v[26:27], v[24:25], v[22:23]
	v_fma_f64 v[22:23], v[22:23], v[26:27], v[24:25]
	v_div_scale_f64 v[24:25], s[6:7], v[22:23], v[22:23], 1.0
	v_div_scale_f64 v[32:33], vcc, 1.0, v[22:23], 1.0
	v_rcp_f64_e32 v[28:29], v[24:25]
	v_fma_f64 v[30:31], -v[24:25], v[28:29], 1.0
	v_fma_f64 v[28:29], v[28:29], v[30:31], v[28:29]
	v_fma_f64 v[30:31], -v[24:25], v[28:29], 1.0
	v_fma_f64 v[28:29], v[28:29], v[30:31], v[28:29]
	v_mul_f64 v[30:31], v[32:33], v[28:29]
	v_fma_f64 v[24:25], -v[24:25], v[30:31], v[32:33]
	v_div_fmas_f64 v[24:25], v[24:25], v[28:29], v[30:31]
	v_div_fixup_f64 v[28:29], v[24:25], v[22:23], 1.0
                                        ; implicit-def: $vgpr22_vgpr23
	v_mul_f64 v[26:27], v[26:27], v[28:29]
	v_xor_b32_e32 v29, 0x80000000, v29
.LBB7_14:
	s_andn2_saveexec_b64 s[2:3], s[2:3]
	s_cbranch_execz .LBB7_16
; %bb.15:
	v_div_scale_f64 v[26:27], s[6:7], v[22:23], v[22:23], v[24:25]
	v_rcp_f64_e32 v[28:29], v[26:27]
	v_fma_f64 v[30:31], -v[26:27], v[28:29], 1.0
	v_fma_f64 v[28:29], v[28:29], v[30:31], v[28:29]
	v_div_scale_f64 v[30:31], vcc, v[24:25], v[22:23], v[24:25]
	v_fma_f64 v[32:33], -v[26:27], v[28:29], 1.0
	v_fma_f64 v[28:29], v[28:29], v[32:33], v[28:29]
	v_mul_f64 v[32:33], v[30:31], v[28:29]
	v_fma_f64 v[26:27], -v[26:27], v[32:33], v[30:31]
	v_div_fmas_f64 v[26:27], v[26:27], v[28:29], v[32:33]
	v_div_fixup_f64 v[28:29], v[26:27], v[22:23], v[24:25]
	v_fma_f64 v[22:23], v[24:25], v[28:29], v[22:23]
	v_div_scale_f64 v[24:25], s[6:7], v[22:23], v[22:23], 1.0
	v_div_scale_f64 v[32:33], vcc, 1.0, v[22:23], 1.0
	v_rcp_f64_e32 v[26:27], v[24:25]
	v_fma_f64 v[30:31], -v[24:25], v[26:27], 1.0
	v_fma_f64 v[26:27], v[26:27], v[30:31], v[26:27]
	v_fma_f64 v[30:31], -v[24:25], v[26:27], 1.0
	v_fma_f64 v[26:27], v[26:27], v[30:31], v[26:27]
	v_mul_f64 v[30:31], v[32:33], v[26:27]
	v_fma_f64 v[24:25], -v[24:25], v[30:31], v[32:33]
	v_div_fmas_f64 v[24:25], v[24:25], v[26:27], v[30:31]
	v_div_fixup_f64 v[26:27], v[24:25], v[22:23], 1.0
	v_mul_f64 v[28:29], v[28:29], -v[26:27]
.LBB7_16:
	s_or_b64 exec, exec, s[2:3]
	ds_write2_b64 v1, v[26:27], v[28:29] offset1:1
.LBB7_17:
	s_or_b64 exec, exec, s[4:5]
	s_waitcnt lgkmcnt(0)
	s_barrier
	ds_read2_b64 v[22:25], v1 offset1:1
	v_cmp_lt_u32_e32 vcc, 1, v0
	s_and_saveexec_b64 s[2:3], vcc
	s_cbranch_execz .LBB7_19
; %bb.18:
	s_waitcnt lgkmcnt(0)
	v_mul_f64 v[26:27], v[22:23], v[12:13]
	v_mul_f64 v[12:13], v[24:25], v[12:13]
	v_fma_f64 v[30:31], v[24:25], v[10:11], v[26:27]
	ds_read2_b64 v[26:29], v44 offset0:4 offset1:5
	v_fma_f64 v[10:11], v[22:23], v[10:11], -v[12:13]
	s_waitcnt lgkmcnt(0)
	v_mul_f64 v[12:13], v[28:29], v[30:31]
	v_fma_f64 v[12:13], v[26:27], v[10:11], -v[12:13]
	v_mul_f64 v[26:27], v[26:27], v[30:31]
	v_add_f64 v[2:3], v[2:3], -v[12:13]
	v_fma_f64 v[26:27], v[28:29], v[10:11], v[26:27]
	v_add_f64 v[4:5], v[4:5], -v[26:27]
	ds_read2_b64 v[26:29], v44 offset0:6 offset1:7
	s_waitcnt lgkmcnt(0)
	v_mul_f64 v[12:13], v[28:29], v[30:31]
	v_fma_f64 v[12:13], v[26:27], v[10:11], -v[12:13]
	v_mul_f64 v[26:27], v[26:27], v[30:31]
	v_add_f64 v[6:7], v[6:7], -v[12:13]
	v_fma_f64 v[26:27], v[28:29], v[10:11], v[26:27]
	v_mov_b32_e32 v12, v30
	v_mov_b32_e32 v13, v31
	v_add_f64 v[8:9], v[8:9], -v[26:27]
.LBB7_19:
	s_or_b64 exec, exec, s[2:3]
	v_cmp_eq_u32_e32 vcc, 2, v0
	s_waitcnt lgkmcnt(0)
	s_barrier
	s_and_saveexec_b64 s[4:5], vcc
	s_cbranch_execz .LBB7_26
; %bb.20:
	ds_write2_b64 v1, v[2:3], v[4:5] offset1:1
	ds_write2_b64 v44, v[6:7], v[8:9] offset0:6 offset1:7
	ds_read2_b64 v[26:29], v1 offset1:1
	s_waitcnt lgkmcnt(0)
	v_cmp_neq_f64_e32 vcc, 0, v[26:27]
	v_cmp_neq_f64_e64 s[2:3], 0, v[28:29]
	s_or_b64 s[2:3], vcc, s[2:3]
	s_and_b64 exec, exec, s[2:3]
	s_cbranch_execz .LBB7_26
; %bb.21:
	v_cmp_ngt_f64_e64 s[2:3], |v[26:27]|, |v[28:29]|
                                        ; implicit-def: $vgpr30_vgpr31
	s_and_saveexec_b64 s[6:7], s[2:3]
	s_xor_b64 s[2:3], exec, s[6:7]
                                        ; implicit-def: $vgpr32_vgpr33
	s_cbranch_execz .LBB7_23
; %bb.22:
	v_div_scale_f64 v[30:31], s[6:7], v[28:29], v[28:29], v[26:27]
	v_rcp_f64_e32 v[32:33], v[30:31]
	v_fma_f64 v[45:46], -v[30:31], v[32:33], 1.0
	v_fma_f64 v[32:33], v[32:33], v[45:46], v[32:33]
	v_div_scale_f64 v[45:46], vcc, v[26:27], v[28:29], v[26:27]
	v_fma_f64 v[47:48], -v[30:31], v[32:33], 1.0
	v_fma_f64 v[32:33], v[32:33], v[47:48], v[32:33]
	v_mul_f64 v[47:48], v[45:46], v[32:33]
	v_fma_f64 v[30:31], -v[30:31], v[47:48], v[45:46]
	v_div_fmas_f64 v[30:31], v[30:31], v[32:33], v[47:48]
	v_div_fixup_f64 v[30:31], v[30:31], v[28:29], v[26:27]
	v_fma_f64 v[26:27], v[26:27], v[30:31], v[28:29]
	v_div_scale_f64 v[28:29], s[6:7], v[26:27], v[26:27], 1.0
	v_div_scale_f64 v[47:48], vcc, 1.0, v[26:27], 1.0
	v_rcp_f64_e32 v[32:33], v[28:29]
	v_fma_f64 v[45:46], -v[28:29], v[32:33], 1.0
	v_fma_f64 v[32:33], v[32:33], v[45:46], v[32:33]
	v_fma_f64 v[45:46], -v[28:29], v[32:33], 1.0
	v_fma_f64 v[32:33], v[32:33], v[45:46], v[32:33]
	v_mul_f64 v[45:46], v[47:48], v[32:33]
	v_fma_f64 v[28:29], -v[28:29], v[45:46], v[47:48]
	v_div_fmas_f64 v[28:29], v[28:29], v[32:33], v[45:46]
	v_div_fixup_f64 v[32:33], v[28:29], v[26:27], 1.0
                                        ; implicit-def: $vgpr26_vgpr27
	v_mul_f64 v[30:31], v[30:31], v[32:33]
	v_xor_b32_e32 v33, 0x80000000, v33
.LBB7_23:
	s_andn2_saveexec_b64 s[2:3], s[2:3]
	s_cbranch_execz .LBB7_25
; %bb.24:
	v_div_scale_f64 v[30:31], s[6:7], v[26:27], v[26:27], v[28:29]
	v_rcp_f64_e32 v[32:33], v[30:31]
	v_fma_f64 v[45:46], -v[30:31], v[32:33], 1.0
	v_fma_f64 v[32:33], v[32:33], v[45:46], v[32:33]
	v_div_scale_f64 v[45:46], vcc, v[28:29], v[26:27], v[28:29]
	v_fma_f64 v[47:48], -v[30:31], v[32:33], 1.0
	v_fma_f64 v[32:33], v[32:33], v[47:48], v[32:33]
	v_mul_f64 v[47:48], v[45:46], v[32:33]
	v_fma_f64 v[30:31], -v[30:31], v[47:48], v[45:46]
	v_div_fmas_f64 v[30:31], v[30:31], v[32:33], v[47:48]
	v_div_fixup_f64 v[32:33], v[30:31], v[26:27], v[28:29]
	v_fma_f64 v[26:27], v[28:29], v[32:33], v[26:27]
	v_div_scale_f64 v[28:29], s[6:7], v[26:27], v[26:27], 1.0
	v_div_scale_f64 v[47:48], vcc, 1.0, v[26:27], 1.0
	v_rcp_f64_e32 v[30:31], v[28:29]
	v_fma_f64 v[45:46], -v[28:29], v[30:31], 1.0
	v_fma_f64 v[30:31], v[30:31], v[45:46], v[30:31]
	v_fma_f64 v[45:46], -v[28:29], v[30:31], 1.0
	v_fma_f64 v[30:31], v[30:31], v[45:46], v[30:31]
	v_mul_f64 v[45:46], v[47:48], v[30:31]
	v_fma_f64 v[28:29], -v[28:29], v[45:46], v[47:48]
	v_div_fmas_f64 v[28:29], v[28:29], v[30:31], v[45:46]
	v_div_fixup_f64 v[30:31], v[28:29], v[26:27], 1.0
	v_mul_f64 v[32:33], v[32:33], -v[30:31]
.LBB7_25:
	s_or_b64 exec, exec, s[2:3]
	ds_write2_b64 v1, v[30:31], v[32:33] offset1:1
.LBB7_26:
	s_or_b64 exec, exec, s[4:5]
	s_waitcnt lgkmcnt(0)
	s_barrier
	ds_read2_b64 v[26:29], v1 offset1:1
	v_cmp_lt_u32_e32 vcc, 2, v0
	s_and_saveexec_b64 s[2:3], vcc
	s_cbranch_execz .LBB7_28
; %bb.27:
	s_waitcnt lgkmcnt(0)
	v_mul_f64 v[30:31], v[26:27], v[4:5]
	v_mul_f64 v[4:5], v[28:29], v[4:5]
	v_fma_f64 v[45:46], v[28:29], v[2:3], v[30:31]
	ds_read2_b64 v[30:33], v44 offset0:6 offset1:7
	v_fma_f64 v[2:3], v[26:27], v[2:3], -v[4:5]
	s_waitcnt lgkmcnt(0)
	v_mul_f64 v[4:5], v[32:33], v[45:46]
	v_mul_f64 v[47:48], v[30:31], v[45:46]
	v_fma_f64 v[4:5], v[30:31], v[2:3], -v[4:5]
	v_fma_f64 v[30:31], v[32:33], v[2:3], v[47:48]
	v_add_f64 v[6:7], v[6:7], -v[4:5]
	v_add_f64 v[8:9], v[8:9], -v[30:31]
	v_mov_b32_e32 v4, v45
	v_mov_b32_e32 v5, v46
.LBB7_28:
	s_or_b64 exec, exec, s[2:3]
	v_cmp_eq_u32_e32 vcc, 3, v0
	s_waitcnt lgkmcnt(0)
	s_barrier
	s_and_saveexec_b64 s[4:5], vcc
	s_cbranch_execz .LBB7_35
; %bb.29:
	v_cmp_neq_f64_e32 vcc, 0, v[6:7]
	v_cmp_neq_f64_e64 s[2:3], 0, v[8:9]
	ds_write2_b64 v1, v[6:7], v[8:9] offset1:1
	s_or_b64 s[2:3], vcc, s[2:3]
	s_and_b64 exec, exec, s[2:3]
	s_cbranch_execz .LBB7_35
; %bb.30:
	v_cmp_ngt_f64_e64 s[2:3], |v[6:7]|, |v[8:9]|
                                        ; implicit-def: $vgpr30_vgpr31
	s_and_saveexec_b64 s[6:7], s[2:3]
	s_xor_b64 s[2:3], exec, s[6:7]
                                        ; implicit-def: $vgpr32_vgpr33
	s_cbranch_execz .LBB7_32
; %bb.31:
	v_div_scale_f64 v[30:31], s[6:7], v[8:9], v[8:9], v[6:7]
	v_rcp_f64_e32 v[32:33], v[30:31]
	v_fma_f64 v[44:45], -v[30:31], v[32:33], 1.0
	v_fma_f64 v[32:33], v[32:33], v[44:45], v[32:33]
	v_div_scale_f64 v[44:45], vcc, v[6:7], v[8:9], v[6:7]
	v_fma_f64 v[46:47], -v[30:31], v[32:33], 1.0
	v_fma_f64 v[32:33], v[32:33], v[46:47], v[32:33]
	v_mul_f64 v[46:47], v[44:45], v[32:33]
	v_fma_f64 v[30:31], -v[30:31], v[46:47], v[44:45]
	v_div_fmas_f64 v[30:31], v[30:31], v[32:33], v[46:47]
	v_div_fixup_f64 v[30:31], v[30:31], v[8:9], v[6:7]
	v_fma_f64 v[32:33], v[6:7], v[30:31], v[8:9]
	v_div_scale_f64 v[44:45], s[6:7], v[32:33], v[32:33], 1.0
	v_div_scale_f64 v[50:51], vcc, 1.0, v[32:33], 1.0
	v_rcp_f64_e32 v[46:47], v[44:45]
	v_fma_f64 v[48:49], -v[44:45], v[46:47], 1.0
	v_fma_f64 v[46:47], v[46:47], v[48:49], v[46:47]
	v_fma_f64 v[48:49], -v[44:45], v[46:47], 1.0
	v_fma_f64 v[46:47], v[46:47], v[48:49], v[46:47]
	v_mul_f64 v[48:49], v[50:51], v[46:47]
	v_fma_f64 v[44:45], -v[44:45], v[48:49], v[50:51]
	v_div_fmas_f64 v[44:45], v[44:45], v[46:47], v[48:49]
	v_div_fixup_f64 v[32:33], v[44:45], v[32:33], 1.0
	v_mul_f64 v[30:31], v[30:31], v[32:33]
	v_xor_b32_e32 v33, 0x80000000, v33
.LBB7_32:
	s_andn2_saveexec_b64 s[2:3], s[2:3]
	s_cbranch_execz .LBB7_34
; %bb.33:
	v_div_scale_f64 v[30:31], s[6:7], v[6:7], v[6:7], v[8:9]
	v_rcp_f64_e32 v[32:33], v[30:31]
	v_fma_f64 v[44:45], -v[30:31], v[32:33], 1.0
	v_fma_f64 v[32:33], v[32:33], v[44:45], v[32:33]
	v_div_scale_f64 v[44:45], vcc, v[8:9], v[6:7], v[8:9]
	v_fma_f64 v[46:47], -v[30:31], v[32:33], 1.0
	v_fma_f64 v[32:33], v[32:33], v[46:47], v[32:33]
	v_mul_f64 v[46:47], v[44:45], v[32:33]
	v_fma_f64 v[30:31], -v[30:31], v[46:47], v[44:45]
	v_div_fmas_f64 v[30:31], v[30:31], v[32:33], v[46:47]
	v_div_fixup_f64 v[32:33], v[30:31], v[6:7], v[8:9]
	v_fma_f64 v[30:31], v[8:9], v[32:33], v[6:7]
	v_div_scale_f64 v[44:45], s[6:7], v[30:31], v[30:31], 1.0
	v_div_scale_f64 v[50:51], vcc, 1.0, v[30:31], 1.0
	v_rcp_f64_e32 v[46:47], v[44:45]
	v_fma_f64 v[48:49], -v[44:45], v[46:47], 1.0
	v_fma_f64 v[46:47], v[46:47], v[48:49], v[46:47]
	v_fma_f64 v[48:49], -v[44:45], v[46:47], 1.0
	v_fma_f64 v[46:47], v[46:47], v[48:49], v[46:47]
	v_mul_f64 v[48:49], v[50:51], v[46:47]
	v_fma_f64 v[44:45], -v[44:45], v[48:49], v[50:51]
	v_div_fmas_f64 v[44:45], v[44:45], v[46:47], v[48:49]
	v_div_fixup_f64 v[30:31], v[44:45], v[30:31], 1.0
	v_mul_f64 v[32:33], v[32:33], -v[30:31]
.LBB7_34:
	s_or_b64 exec, exec, s[2:3]
	ds_write2_b64 v1, v[30:31], v[32:33] offset1:1
.LBB7_35:
	s_or_b64 exec, exec, s[4:5]
	s_waitcnt lgkmcnt(0)
	s_barrier
	ds_read2_b64 v[30:33], v1 offset1:1
	s_waitcnt lgkmcnt(0)
	s_barrier
	s_and_saveexec_b64 s[16:17], s[0:1]
	s_cbranch_execz .LBB7_38
; %bb.36:
	v_lshlrev_b64 v[40:41], 2, v[40:41]
	v_mov_b32_e32 v1, s11
	v_add_co_u32_e32 v40, vcc, s10, v40
	v_addc_co_u32_e32 v41, vcc, v1, v41, vcc
	global_load_dword v44, v[40:41], off
	v_cmp_eq_f64_e32 vcc, 0, v[18:19]
	v_cmp_eq_f64_e64 s[0:1], 0, v[20:21]
	v_cmp_neq_f64_e64 s[2:3], 0, v[22:23]
	v_cmp_neq_f64_e64 s[4:5], 0, v[24:25]
	v_cmp_eq_f64_e64 s[6:7], 0, v[26:27]
	v_cmp_eq_f64_e64 s[8:9], 0, v[28:29]
	;; [unrolled: 1-line block ×4, first 2 shown]
	s_and_b64 s[0:1], vcc, s[0:1]
	v_cndmask_b32_e64 v1, 0, 1, s[0:1]
	s_or_b64 s[2:3], s[2:3], s[4:5]
	s_or_b64 vcc, s[2:3], s[0:1]
	v_cndmask_b32_e32 v1, 2, v1, vcc
	s_and_b64 s[4:5], s[6:7], s[8:9]
	v_cmp_eq_u32_e32 vcc, 0, v1
	s_and_b64 s[0:1], s[4:5], vcc
	v_cndmask_b32_e64 v1, v1, 3, s[0:1]
	s_and_b64 s[6:7], s[10:11], s[12:13]
	v_cmp_eq_u32_e32 vcc, 0, v1
	s_and_b64 s[0:1], s[6:7], vcc
	v_cndmask_b32_e64 v1, v1, 4, s[0:1]
	v_cmp_ne_u32_e64 s[0:1], 0, v1
	s_waitcnt vmcnt(0)
	v_cmp_eq_u32_e32 vcc, 0, v44
	s_and_b64 s[0:1], vcc, s[0:1]
	s_and_b64 exec, exec, s[0:1]
	s_cbranch_execz .LBB7_38
; %bb.37:
	v_add_u32_e32 v1, s15, v1
	global_store_dword v[40:41], v1, off
.LBB7_38:
	s_or_b64 exec, exec, s[16:17]
	v_mul_f64 v[18:19], v[30:31], v[8:9]
	v_mul_f64 v[20:21], v[32:33], v[8:9]
	v_cmp_lt_u32_e32 vcc, 3, v0
	global_store_dwordx4 v[34:35], v[14:17], off
	global_store_dwordx4 v[36:37], v[10:13], off
	v_fma_f64 v[18:19], v[32:33], v[6:7], v[18:19]
	v_fma_f64 v[20:21], v[30:31], v[6:7], -v[20:21]
	v_cndmask_b32_e32 v9, v9, v19, vcc
	v_cndmask_b32_e32 v8, v8, v18, vcc
	;; [unrolled: 1-line block ×4, first 2 shown]
	global_store_dwordx4 v[38:39], v[2:5], off
	global_store_dwordx4 v[42:43], v[6:9], off
.LBB7_39:
	s_endpgm
	.section	.rodata,"a",@progbits
	.p2align	6, 0x0
	.amdhsa_kernel _ZN9rocsolver6v33100L23getf2_npvt_small_kernelILi4E19rocblas_complex_numIdEiiPS3_EEvT1_T3_lS5_lPT2_S5_S5_
		.amdhsa_group_segment_fixed_size 0
		.amdhsa_private_segment_fixed_size 0
		.amdhsa_kernarg_size 312
		.amdhsa_user_sgpr_count 6
		.amdhsa_user_sgpr_private_segment_buffer 1
		.amdhsa_user_sgpr_dispatch_ptr 0
		.amdhsa_user_sgpr_queue_ptr 0
		.amdhsa_user_sgpr_kernarg_segment_ptr 1
		.amdhsa_user_sgpr_dispatch_id 0
		.amdhsa_user_sgpr_flat_scratch_init 0
		.amdhsa_user_sgpr_private_segment_size 0
		.amdhsa_uses_dynamic_stack 0
		.amdhsa_system_sgpr_private_segment_wavefront_offset 0
		.amdhsa_system_sgpr_workgroup_id_x 1
		.amdhsa_system_sgpr_workgroup_id_y 1
		.amdhsa_system_sgpr_workgroup_id_z 0
		.amdhsa_system_sgpr_workgroup_info 0
		.amdhsa_system_vgpr_workitem_id 1
		.amdhsa_next_free_vgpr 57
		.amdhsa_next_free_sgpr 20
		.amdhsa_reserve_vcc 1
		.amdhsa_reserve_flat_scratch 0
		.amdhsa_float_round_mode_32 0
		.amdhsa_float_round_mode_16_64 0
		.amdhsa_float_denorm_mode_32 3
		.amdhsa_float_denorm_mode_16_64 3
		.amdhsa_dx10_clamp 1
		.amdhsa_ieee_mode 1
		.amdhsa_fp16_overflow 0
		.amdhsa_exception_fp_ieee_invalid_op 0
		.amdhsa_exception_fp_denorm_src 0
		.amdhsa_exception_fp_ieee_div_zero 0
		.amdhsa_exception_fp_ieee_overflow 0
		.amdhsa_exception_fp_ieee_underflow 0
		.amdhsa_exception_fp_ieee_inexact 0
		.amdhsa_exception_int_div_zero 0
	.end_amdhsa_kernel
	.section	.text._ZN9rocsolver6v33100L23getf2_npvt_small_kernelILi4E19rocblas_complex_numIdEiiPS3_EEvT1_T3_lS5_lPT2_S5_S5_,"axG",@progbits,_ZN9rocsolver6v33100L23getf2_npvt_small_kernelILi4E19rocblas_complex_numIdEiiPS3_EEvT1_T3_lS5_lPT2_S5_S5_,comdat
.Lfunc_end7:
	.size	_ZN9rocsolver6v33100L23getf2_npvt_small_kernelILi4E19rocblas_complex_numIdEiiPS3_EEvT1_T3_lS5_lPT2_S5_S5_, .Lfunc_end7-_ZN9rocsolver6v33100L23getf2_npvt_small_kernelILi4E19rocblas_complex_numIdEiiPS3_EEvT1_T3_lS5_lPT2_S5_S5_
                                        ; -- End function
	.set _ZN9rocsolver6v33100L23getf2_npvt_small_kernelILi4E19rocblas_complex_numIdEiiPS3_EEvT1_T3_lS5_lPT2_S5_S5_.num_vgpr, 57
	.set _ZN9rocsolver6v33100L23getf2_npvt_small_kernelILi4E19rocblas_complex_numIdEiiPS3_EEvT1_T3_lS5_lPT2_S5_S5_.num_agpr, 0
	.set _ZN9rocsolver6v33100L23getf2_npvt_small_kernelILi4E19rocblas_complex_numIdEiiPS3_EEvT1_T3_lS5_lPT2_S5_S5_.numbered_sgpr, 20
	.set _ZN9rocsolver6v33100L23getf2_npvt_small_kernelILi4E19rocblas_complex_numIdEiiPS3_EEvT1_T3_lS5_lPT2_S5_S5_.num_named_barrier, 0
	.set _ZN9rocsolver6v33100L23getf2_npvt_small_kernelILi4E19rocblas_complex_numIdEiiPS3_EEvT1_T3_lS5_lPT2_S5_S5_.private_seg_size, 0
	.set _ZN9rocsolver6v33100L23getf2_npvt_small_kernelILi4E19rocblas_complex_numIdEiiPS3_EEvT1_T3_lS5_lPT2_S5_S5_.uses_vcc, 1
	.set _ZN9rocsolver6v33100L23getf2_npvt_small_kernelILi4E19rocblas_complex_numIdEiiPS3_EEvT1_T3_lS5_lPT2_S5_S5_.uses_flat_scratch, 0
	.set _ZN9rocsolver6v33100L23getf2_npvt_small_kernelILi4E19rocblas_complex_numIdEiiPS3_EEvT1_T3_lS5_lPT2_S5_S5_.has_dyn_sized_stack, 0
	.set _ZN9rocsolver6v33100L23getf2_npvt_small_kernelILi4E19rocblas_complex_numIdEiiPS3_EEvT1_T3_lS5_lPT2_S5_S5_.has_recursion, 0
	.set _ZN9rocsolver6v33100L23getf2_npvt_small_kernelILi4E19rocblas_complex_numIdEiiPS3_EEvT1_T3_lS5_lPT2_S5_S5_.has_indirect_call, 0
	.section	.AMDGPU.csdata,"",@progbits
; Kernel info:
; codeLenInByte = 3176
; TotalNumSgprs: 24
; NumVgprs: 57
; ScratchSize: 0
; MemoryBound: 0
; FloatMode: 240
; IeeeMode: 1
; LDSByteSize: 0 bytes/workgroup (compile time only)
; SGPRBlocks: 2
; VGPRBlocks: 14
; NumSGPRsForWavesPerEU: 24
; NumVGPRsForWavesPerEU: 57
; Occupancy: 4
; WaveLimiterHint : 0
; COMPUTE_PGM_RSRC2:SCRATCH_EN: 0
; COMPUTE_PGM_RSRC2:USER_SGPR: 6
; COMPUTE_PGM_RSRC2:TRAP_HANDLER: 0
; COMPUTE_PGM_RSRC2:TGID_X_EN: 1
; COMPUTE_PGM_RSRC2:TGID_Y_EN: 1
; COMPUTE_PGM_RSRC2:TGID_Z_EN: 0
; COMPUTE_PGM_RSRC2:TIDIG_COMP_CNT: 1
	.section	.text._ZN9rocsolver6v33100L18getf2_small_kernelILi5E19rocblas_complex_numIdEiiPS3_EEvT1_T3_lS5_lPS5_llPT2_S5_S5_S7_l,"axG",@progbits,_ZN9rocsolver6v33100L18getf2_small_kernelILi5E19rocblas_complex_numIdEiiPS3_EEvT1_T3_lS5_lPS5_llPT2_S5_S5_S7_l,comdat
	.globl	_ZN9rocsolver6v33100L18getf2_small_kernelILi5E19rocblas_complex_numIdEiiPS3_EEvT1_T3_lS5_lPS5_llPT2_S5_S5_S7_l ; -- Begin function _ZN9rocsolver6v33100L18getf2_small_kernelILi5E19rocblas_complex_numIdEiiPS3_EEvT1_T3_lS5_lPS5_llPT2_S5_S5_S7_l
	.p2align	8
	.type	_ZN9rocsolver6v33100L18getf2_small_kernelILi5E19rocblas_complex_numIdEiiPS3_EEvT1_T3_lS5_lPS5_llPT2_S5_S5_S7_l,@function
_ZN9rocsolver6v33100L18getf2_small_kernelILi5E19rocblas_complex_numIdEiiPS3_EEvT1_T3_lS5_lPS5_llPT2_S5_S5_S7_l: ; @_ZN9rocsolver6v33100L18getf2_small_kernelILi5E19rocblas_complex_numIdEiiPS3_EEvT1_T3_lS5_lPS5_llPT2_S5_S5_S7_l
; %bb.0:
	s_load_dword s0, s[4:5], 0x6c
	s_load_dwordx2 s[16:17], s[4:5], 0x48
	s_waitcnt lgkmcnt(0)
	s_lshr_b32 s0, s0, 16
	s_mul_i32 s7, s7, s0
	v_add_u32_e32 v26, s7, v1
	v_cmp_gt_i32_e32 vcc, s16, v26
	s_and_saveexec_b64 s[0:1], vcc
	s_cbranch_execz .LBB8_106
; %bb.1:
	s_load_dwordx4 s[0:3], s[4:5], 0x50
	v_mov_b32_e32 v28, 0
	v_ashrrev_i32_e32 v27, 31, v26
	v_mov_b32_e32 v29, 0
	s_waitcnt lgkmcnt(0)
	s_cmp_eq_u64 s[0:1], 0
	s_cselect_b64 s[18:19], -1, 0
	s_and_b64 vcc, exec, s[18:19]
	s_cbranch_vccnz .LBB8_3
; %bb.2:
	v_mul_lo_u32 v4, s3, v26
	v_mul_lo_u32 v5, s2, v27
	v_mad_u64_u32 v[2:3], s[2:3], s2, v26, 0
	v_add3_u32 v3, v3, v5, v4
	v_lshlrev_b64 v[2:3], 2, v[2:3]
	v_mov_b32_e32 v4, s1
	v_add_co_u32_e32 v28, vcc, s0, v2
	v_addc_co_u32_e32 v29, vcc, v4, v3, vcc
.LBB8_3:
	s_load_dwordx8 s[8:15], s[4:5], 0x20
	s_load_dwordx4 s[0:3], s[4:5], 0x8
	v_lshlrev_b32_e32 v32, 4, v0
	s_load_dwordx2 s[20:21], s[4:5], 0x40
	s_waitcnt lgkmcnt(0)
	v_mul_lo_u32 v4, s9, v26
	v_mul_lo_u32 v5, s8, v27
	v_mad_u64_u32 v[2:3], s[6:7], s8, v26, 0
	s_load_dword s6, s[4:5], 0x18
	s_load_dword s16, s[4:5], 0x0
	v_mov_b32_e32 v6, s1
	v_add3_u32 v3, v3, v5, v4
	v_lshlrev_b64 v[2:3], 4, v[2:3]
	s_waitcnt lgkmcnt(0)
	s_ashr_i32 s7, s6, 31
	v_add_co_u32_e32 v2, vcc, s0, v2
	v_addc_co_u32_e32 v3, vcc, v6, v3, vcc
	s_lshl_b64 s[0:1], s[2:3], 4
	v_mov_b32_e32 v4, s1
	v_add_co_u32_e32 v33, vcc, s0, v2
	v_addc_co_u32_e32 v34, vcc, v3, v4, vcc
	v_add_co_u32_e32 v2, vcc, v33, v32
	v_addc_co_u32_e32 v3, vcc, 0, v34, vcc
	s_lshl_b64 s[8:9], s[6:7], 4
	v_mov_b32_e32 v4, s9
	v_add_co_u32_e32 v22, vcc, s8, v2
	s_add_i32 s7, s6, s6
	v_addc_co_u32_e32 v23, vcc, v3, v4, vcc
	v_add_u32_e32 v4, s7, v0
	v_ashrrev_i32_e32 v5, 31, v4
	v_lshlrev_b64 v[5:6], 4, v[4:5]
	v_add_u32_e32 v4, s6, v4
	v_add_co_u32_e32 v24, vcc, v33, v5
	v_ashrrev_i32_e32 v5, 31, v4
	v_addc_co_u32_e32 v25, vcc, v34, v6, vcc
	v_lshlrev_b64 v[5:6], 4, v[4:5]
	v_add_u32_e32 v4, s6, v4
	v_add_co_u32_e32 v30, vcc, v33, v5
	v_ashrrev_i32_e32 v5, 31, v4
	global_load_dwordx4 v[10:13], v[2:3], off
	v_lshlrev_b64 v[2:3], 4, v[4:5]
	v_addc_co_u32_e32 v31, vcc, v34, v6, vcc
	v_add_co_u32_e32 v35, vcc, v33, v2
	v_addc_co_u32_e32 v36, vcc, v34, v3, vcc
	global_load_dwordx4 v[6:9], v[24:25], off
	global_load_dwordx4 v[2:5], v[30:31], off
	;; [unrolled: 1-line block ×4, first 2 shown]
	s_max_i32 s0, s16, 5
	v_mul_lo_u32 v30, s0, v1
	s_cmp_lt_i32 s16, 2
	v_lshl_add_u32 v1, v30, 4, 0
	v_add_u32_e32 v22, v1, v32
	v_lshlrev_b32_e32 v36, 4, v30
	v_mov_b32_e32 v30, 0
	s_waitcnt vmcnt(4)
	ds_write2_b64 v22, v[10:11], v[12:13] offset1:1
	s_waitcnt vmcnt(0) lgkmcnt(0)
	s_barrier
	ds_read2_b64 v[22:25], v1 offset1:1
	s_cbranch_scc1 .LBB8_6
; %bb.4:
	v_add3_u32 v31, v36, 0, 16
	s_mov_b32 s2, 1
	v_mov_b32_e32 v30, 0
.LBB8_5:                                ; =>This Inner Loop Header: Depth=1
	s_waitcnt lgkmcnt(0)
	v_cmp_gt_f64_e32 vcc, 0, v[24:25]
	v_cmp_gt_f64_e64 s[0:1], 0, v[22:23]
	ds_read2_b64 v[37:40], v31 offset1:1
	v_xor_b32_e32 v32, 0x80000000, v23
	v_xor_b32_e32 v35, 0x80000000, v25
	v_mov_b32_e32 v41, v22
	v_mov_b32_e32 v43, v24
	s_waitcnt lgkmcnt(0)
	v_mov_b32_e32 v45, v39
	v_cndmask_b32_e32 v44, v25, v35, vcc
	v_cndmask_b32_e64 v42, v23, v32, s[0:1]
	v_cmp_gt_f64_e32 vcc, 0, v[39:40]
	v_cmp_gt_f64_e64 s[0:1], 0, v[37:38]
	v_xor_b32_e32 v32, 0x80000000, v38
	v_xor_b32_e32 v35, 0x80000000, v40
	v_add_f64 v[41:42], v[41:42], v[43:44]
	v_mov_b32_e32 v43, v37
	v_add_u32_e32 v31, 16, v31
	v_cndmask_b32_e32 v46, v40, v35, vcc
	v_cndmask_b32_e64 v44, v38, v32, s[0:1]
	v_add_f64 v[43:44], v[43:44], v[45:46]
	v_mov_b32_e32 v32, s2
	s_add_i32 s2, s2, 1
	s_cmp_eq_u32 s16, s2
	v_cmp_lt_f64_e32 vcc, v[41:42], v[43:44]
	v_cndmask_b32_e32 v23, v23, v38, vcc
	v_cndmask_b32_e32 v22, v22, v37, vcc
	;; [unrolled: 1-line block ×5, first 2 shown]
	s_cbranch_scc0 .LBB8_5
.LBB8_6:
	s_waitcnt lgkmcnt(0)
	v_cmp_neq_f64_e32 vcc, 0, v[22:23]
	v_cmp_neq_f64_e64 s[0:1], 0, v[24:25]
	v_mov_b32_e32 v35, 1
	v_mov_b32_e32 v37, 1
	s_or_b64 s[2:3], vcc, s[0:1]
	s_and_saveexec_b64 s[0:1], s[2:3]
	s_cbranch_execz .LBB8_12
; %bb.7:
	v_cmp_ngt_f64_e64 s[2:3], |v[22:23]|, |v[24:25]|
	s_and_saveexec_b64 s[4:5], s[2:3]
	s_xor_b64 s[2:3], exec, s[4:5]
	s_cbranch_execz .LBB8_9
; %bb.8:
	v_div_scale_f64 v[31:32], s[4:5], v[24:25], v[24:25], v[22:23]
	v_rcp_f64_e32 v[37:38], v[31:32]
	v_fma_f64 v[39:40], -v[31:32], v[37:38], 1.0
	v_fma_f64 v[37:38], v[37:38], v[39:40], v[37:38]
	v_div_scale_f64 v[39:40], vcc, v[22:23], v[24:25], v[22:23]
	v_fma_f64 v[41:42], -v[31:32], v[37:38], 1.0
	v_fma_f64 v[37:38], v[37:38], v[41:42], v[37:38]
	v_mul_f64 v[41:42], v[39:40], v[37:38]
	v_fma_f64 v[31:32], -v[31:32], v[41:42], v[39:40]
	v_div_fmas_f64 v[31:32], v[31:32], v[37:38], v[41:42]
	v_div_fixup_f64 v[31:32], v[31:32], v[24:25], v[22:23]
	v_fma_f64 v[22:23], v[22:23], v[31:32], v[24:25]
	v_div_scale_f64 v[24:25], s[4:5], v[22:23], v[22:23], 1.0
	v_div_scale_f64 v[41:42], vcc, 1.0, v[22:23], 1.0
	v_rcp_f64_e32 v[37:38], v[24:25]
	v_fma_f64 v[39:40], -v[24:25], v[37:38], 1.0
	v_fma_f64 v[37:38], v[37:38], v[39:40], v[37:38]
	v_fma_f64 v[39:40], -v[24:25], v[37:38], 1.0
	v_fma_f64 v[37:38], v[37:38], v[39:40], v[37:38]
	v_mul_f64 v[39:40], v[41:42], v[37:38]
	v_fma_f64 v[24:25], -v[24:25], v[39:40], v[41:42]
	v_div_fmas_f64 v[24:25], v[24:25], v[37:38], v[39:40]
	v_div_fixup_f64 v[24:25], v[24:25], v[22:23], 1.0
	v_mul_f64 v[22:23], v[31:32], v[24:25]
	v_xor_b32_e32 v25, 0x80000000, v25
.LBB8_9:
	s_andn2_saveexec_b64 s[2:3], s[2:3]
	s_cbranch_execz .LBB8_11
; %bb.10:
	v_div_scale_f64 v[31:32], s[4:5], v[22:23], v[22:23], v[24:25]
	v_rcp_f64_e32 v[37:38], v[31:32]
	v_fma_f64 v[39:40], -v[31:32], v[37:38], 1.0
	v_fma_f64 v[37:38], v[37:38], v[39:40], v[37:38]
	v_div_scale_f64 v[39:40], vcc, v[24:25], v[22:23], v[24:25]
	v_fma_f64 v[41:42], -v[31:32], v[37:38], 1.0
	v_fma_f64 v[37:38], v[37:38], v[41:42], v[37:38]
	v_mul_f64 v[41:42], v[39:40], v[37:38]
	v_fma_f64 v[31:32], -v[31:32], v[41:42], v[39:40]
	v_div_fmas_f64 v[31:32], v[31:32], v[37:38], v[41:42]
	v_div_fixup_f64 v[31:32], v[31:32], v[22:23], v[24:25]
	v_fma_f64 v[22:23], v[24:25], v[31:32], v[22:23]
	v_div_scale_f64 v[24:25], s[4:5], v[22:23], v[22:23], 1.0
	v_div_scale_f64 v[41:42], vcc, 1.0, v[22:23], 1.0
	v_rcp_f64_e32 v[37:38], v[24:25]
	v_fma_f64 v[39:40], -v[24:25], v[37:38], 1.0
	v_fma_f64 v[37:38], v[37:38], v[39:40], v[37:38]
	v_fma_f64 v[39:40], -v[24:25], v[37:38], 1.0
	v_fma_f64 v[37:38], v[37:38], v[39:40], v[37:38]
	v_mul_f64 v[39:40], v[41:42], v[37:38]
	v_fma_f64 v[24:25], -v[24:25], v[39:40], v[41:42]
	v_div_fmas_f64 v[24:25], v[24:25], v[37:38], v[39:40]
	v_div_fixup_f64 v[22:23], v[24:25], v[22:23], 1.0
	v_mul_f64 v[24:25], v[31:32], -v[22:23]
.LBB8_11:
	s_or_b64 exec, exec, s[2:3]
	v_mov_b32_e32 v37, 0
	v_mov_b32_e32 v35, 2
.LBB8_12:
	s_or_b64 exec, exec, s[0:1]
	v_cmp_ne_u32_e32 vcc, v0, v30
	s_and_saveexec_b64 s[0:1], vcc
	s_xor_b64 s[0:1], exec, s[0:1]
	s_cbranch_execz .LBB8_18
; %bb.13:
	v_cmp_eq_u32_e32 vcc, 0, v0
	s_and_saveexec_b64 s[2:3], vcc
	s_cbranch_execz .LBB8_17
; %bb.14:
	v_cmp_ne_u32_e32 vcc, 0, v30
	s_xor_b64 s[4:5], s[18:19], -1
	s_and_b64 s[22:23], s[4:5], vcc
	s_and_saveexec_b64 s[4:5], s[22:23]
	s_cbranch_execz .LBB8_16
; %bb.15:
	v_ashrrev_i32_e32 v31, 31, v30
	v_lshlrev_b64 v[31:32], 2, v[30:31]
	v_add_co_u32_e32 v31, vcc, v28, v31
	v_addc_co_u32_e32 v32, vcc, v29, v32, vcc
	global_load_dword v0, v[31:32], off
	global_load_dword v38, v[28:29], off
	s_waitcnt vmcnt(1)
	global_store_dword v[28:29], v0, off
	s_waitcnt vmcnt(1)
	global_store_dword v[31:32], v38, off
.LBB8_16:
	s_or_b64 exec, exec, s[4:5]
	v_mov_b32_e32 v0, v30
.LBB8_17:
	s_or_b64 exec, exec, s[2:3]
.LBB8_18:
	s_or_saveexec_b64 s[0:1], s[0:1]
	v_mov_b32_e32 v32, v0
	s_xor_b64 exec, exec, s[0:1]
	s_cbranch_execz .LBB8_20
; %bb.19:
	v_mov_b32_e32 v32, 0
	ds_write2_b64 v1, v[14:15], v[16:17] offset0:2 offset1:3
	ds_write2_b64 v1, v[6:7], v[8:9] offset0:4 offset1:5
	;; [unrolled: 1-line block ×4, first 2 shown]
.LBB8_20:
	s_or_b64 exec, exec, s[0:1]
	v_cmp_lt_i32_e32 vcc, 0, v32
	s_waitcnt vmcnt(0) lgkmcnt(0)
	s_barrier
	s_and_saveexec_b64 s[0:1], vcc
	s_cbranch_execz .LBB8_22
; %bb.21:
	v_mul_f64 v[30:31], v[22:23], v[12:13]
	v_mul_f64 v[12:13], v[24:25], v[12:13]
	v_fma_f64 v[30:31], v[24:25], v[10:11], v[30:31]
	v_fma_f64 v[10:11], v[22:23], v[10:11], -v[12:13]
	ds_read2_b64 v[22:25], v1 offset0:2 offset1:3
	s_waitcnt lgkmcnt(0)
	v_mul_f64 v[12:13], v[24:25], v[30:31]
	v_fma_f64 v[12:13], v[22:23], v[10:11], -v[12:13]
	v_mul_f64 v[22:23], v[22:23], v[30:31]
	v_add_f64 v[14:15], v[14:15], -v[12:13]
	v_fma_f64 v[22:23], v[24:25], v[10:11], v[22:23]
	v_add_f64 v[16:17], v[16:17], -v[22:23]
	ds_read2_b64 v[22:25], v1 offset0:4 offset1:5
	s_waitcnt lgkmcnt(0)
	v_mul_f64 v[12:13], v[24:25], v[30:31]
	v_fma_f64 v[12:13], v[22:23], v[10:11], -v[12:13]
	v_mul_f64 v[22:23], v[22:23], v[30:31]
	v_add_f64 v[6:7], v[6:7], -v[12:13]
	v_fma_f64 v[22:23], v[24:25], v[10:11], v[22:23]
	v_add_f64 v[8:9], v[8:9], -v[22:23]
	;; [unrolled: 8-line block ×3, first 2 shown]
	ds_read2_b64 v[22:25], v1 offset0:8 offset1:9
	s_waitcnt lgkmcnt(0)
	v_mul_f64 v[12:13], v[24:25], v[30:31]
	v_fma_f64 v[12:13], v[22:23], v[10:11], -v[12:13]
	v_mul_f64 v[22:23], v[22:23], v[30:31]
	v_add_f64 v[18:19], v[18:19], -v[12:13]
	v_fma_f64 v[22:23], v[24:25], v[10:11], v[22:23]
	v_mov_b32_e32 v12, v30
	v_mov_b32_e32 v13, v31
	v_add_f64 v[20:21], v[20:21], -v[22:23]
.LBB8_22:
	s_or_b64 exec, exec, s[0:1]
	v_lshl_add_u32 v22, v32, 4, v1
	s_barrier
	ds_write2_b64 v22, v[14:15], v[16:17] offset1:1
	s_waitcnt lgkmcnt(0)
	s_barrier
	ds_read2_b64 v[22:25], v1 offset0:2 offset1:3
	s_cmp_lt_i32 s16, 3
	v_mov_b32_e32 v30, 1
	s_cbranch_scc1 .LBB8_25
; %bb.23:
	v_add3_u32 v31, v36, 0, 32
	s_mov_b32 s22, 2
	v_mov_b32_e32 v30, 1
.LBB8_24:                               ; =>This Inner Loop Header: Depth=1
	ds_read2_b64 v[38:41], v31 offset1:1
	s_waitcnt lgkmcnt(1)
	v_cmp_gt_f64_e32 vcc, 0, v[24:25]
	v_cmp_gt_f64_e64 s[0:1], 0, v[22:23]
	v_xor_b32_e32 v43, 0x80000000, v23
	v_xor_b32_e32 v45, 0x80000000, v25
	s_waitcnt lgkmcnt(0)
	v_cmp_gt_f64_e64 s[2:3], 0, v[38:39]
	v_cmp_gt_f64_e64 s[4:5], 0, v[40:41]
	v_xor_b32_e32 v47, 0x80000000, v39
	v_xor_b32_e32 v49, 0x80000000, v41
	v_mov_b32_e32 v42, v22
	v_mov_b32_e32 v44, v24
	;; [unrolled: 1-line block ×4, first 2 shown]
	v_cndmask_b32_e64 v43, v23, v43, s[0:1]
	v_cndmask_b32_e32 v45, v25, v45, vcc
	v_cndmask_b32_e64 v47, v39, v47, s[2:3]
	v_cndmask_b32_e64 v49, v41, v49, s[4:5]
	v_add_f64 v[42:43], v[42:43], v[44:45]
	v_add_f64 v[44:45], v[46:47], v[48:49]
	v_mov_b32_e32 v46, s22
	s_add_i32 s22, s22, 1
	v_add_u32_e32 v31, 16, v31
	s_cmp_lg_u32 s16, s22
	v_cmp_lt_f64_e32 vcc, v[42:43], v[44:45]
	v_cndmask_b32_e32 v23, v23, v39, vcc
	v_cndmask_b32_e32 v22, v22, v38, vcc
	;; [unrolled: 1-line block ×5, first 2 shown]
	s_cbranch_scc1 .LBB8_24
.LBB8_25:
	s_waitcnt lgkmcnt(0)
	v_cmp_neq_f64_e32 vcc, 0, v[22:23]
	v_cmp_neq_f64_e64 s[0:1], 0, v[24:25]
	s_or_b64 s[2:3], vcc, s[0:1]
	s_and_saveexec_b64 s[0:1], s[2:3]
	s_cbranch_execz .LBB8_31
; %bb.26:
	v_cmp_ngt_f64_e64 s[2:3], |v[22:23]|, |v[24:25]|
	s_and_saveexec_b64 s[4:5], s[2:3]
	s_xor_b64 s[2:3], exec, s[4:5]
	s_cbranch_execz .LBB8_28
; %bb.27:
	v_div_scale_f64 v[38:39], s[4:5], v[24:25], v[24:25], v[22:23]
	v_rcp_f64_e32 v[40:41], v[38:39]
	v_fma_f64 v[42:43], -v[38:39], v[40:41], 1.0
	v_fma_f64 v[40:41], v[40:41], v[42:43], v[40:41]
	v_div_scale_f64 v[42:43], vcc, v[22:23], v[24:25], v[22:23]
	v_fma_f64 v[44:45], -v[38:39], v[40:41], 1.0
	v_fma_f64 v[40:41], v[40:41], v[44:45], v[40:41]
	v_mul_f64 v[44:45], v[42:43], v[40:41]
	v_fma_f64 v[38:39], -v[38:39], v[44:45], v[42:43]
	v_div_fmas_f64 v[38:39], v[38:39], v[40:41], v[44:45]
	v_div_fixup_f64 v[38:39], v[38:39], v[24:25], v[22:23]
	v_fma_f64 v[22:23], v[22:23], v[38:39], v[24:25]
	v_div_scale_f64 v[24:25], s[4:5], v[22:23], v[22:23], 1.0
	v_div_scale_f64 v[44:45], vcc, 1.0, v[22:23], 1.0
	v_rcp_f64_e32 v[40:41], v[24:25]
	v_fma_f64 v[42:43], -v[24:25], v[40:41], 1.0
	v_fma_f64 v[40:41], v[40:41], v[42:43], v[40:41]
	v_fma_f64 v[42:43], -v[24:25], v[40:41], 1.0
	v_fma_f64 v[40:41], v[40:41], v[42:43], v[40:41]
	v_mul_f64 v[42:43], v[44:45], v[40:41]
	v_fma_f64 v[24:25], -v[24:25], v[42:43], v[44:45]
	v_div_fmas_f64 v[24:25], v[24:25], v[40:41], v[42:43]
	v_div_fixup_f64 v[24:25], v[24:25], v[22:23], 1.0
	v_mul_f64 v[22:23], v[38:39], v[24:25]
	v_xor_b32_e32 v25, 0x80000000, v25
.LBB8_28:
	s_andn2_saveexec_b64 s[2:3], s[2:3]
	s_cbranch_execz .LBB8_30
; %bb.29:
	v_div_scale_f64 v[38:39], s[4:5], v[22:23], v[22:23], v[24:25]
	v_rcp_f64_e32 v[40:41], v[38:39]
	v_fma_f64 v[42:43], -v[38:39], v[40:41], 1.0
	v_fma_f64 v[40:41], v[40:41], v[42:43], v[40:41]
	v_div_scale_f64 v[42:43], vcc, v[24:25], v[22:23], v[24:25]
	v_fma_f64 v[44:45], -v[38:39], v[40:41], 1.0
	v_fma_f64 v[40:41], v[40:41], v[44:45], v[40:41]
	v_mul_f64 v[44:45], v[42:43], v[40:41]
	v_fma_f64 v[38:39], -v[38:39], v[44:45], v[42:43]
	v_div_fmas_f64 v[38:39], v[38:39], v[40:41], v[44:45]
	v_div_fixup_f64 v[38:39], v[38:39], v[22:23], v[24:25]
	v_fma_f64 v[22:23], v[24:25], v[38:39], v[22:23]
	v_div_scale_f64 v[24:25], s[4:5], v[22:23], v[22:23], 1.0
	v_div_scale_f64 v[44:45], vcc, 1.0, v[22:23], 1.0
	v_rcp_f64_e32 v[40:41], v[24:25]
	v_fma_f64 v[42:43], -v[24:25], v[40:41], 1.0
	v_fma_f64 v[40:41], v[40:41], v[42:43], v[40:41]
	v_fma_f64 v[42:43], -v[24:25], v[40:41], 1.0
	v_fma_f64 v[40:41], v[40:41], v[42:43], v[40:41]
	v_mul_f64 v[42:43], v[44:45], v[40:41]
	v_fma_f64 v[24:25], -v[24:25], v[42:43], v[44:45]
	v_div_fmas_f64 v[24:25], v[24:25], v[40:41], v[42:43]
	v_div_fixup_f64 v[22:23], v[24:25], v[22:23], 1.0
	v_mul_f64 v[24:25], v[38:39], -v[22:23]
.LBB8_30:
	s_or_b64 exec, exec, s[2:3]
	v_mov_b32_e32 v35, v37
.LBB8_31:
	s_or_b64 exec, exec, s[0:1]
	v_cmp_ne_u32_e32 vcc, v32, v30
	s_and_saveexec_b64 s[0:1], vcc
	s_xor_b64 s[0:1], exec, s[0:1]
	s_cbranch_execz .LBB8_37
; %bb.32:
	v_cmp_eq_u32_e32 vcc, 1, v32
	s_and_saveexec_b64 s[2:3], vcc
	s_cbranch_execz .LBB8_36
; %bb.33:
	v_cmp_ne_u32_e32 vcc, 1, v30
	s_xor_b64 s[4:5], s[18:19], -1
	s_and_b64 s[22:23], s[4:5], vcc
	s_and_saveexec_b64 s[4:5], s[22:23]
	s_cbranch_execz .LBB8_35
; %bb.34:
	v_ashrrev_i32_e32 v31, 31, v30
	v_lshlrev_b64 v[31:32], 2, v[30:31]
	v_add_co_u32_e32 v31, vcc, v28, v31
	v_addc_co_u32_e32 v32, vcc, v29, v32, vcc
	global_load_dword v0, v[31:32], off
	global_load_dword v37, v[28:29], off offset:4
	s_waitcnt vmcnt(1)
	global_store_dword v[28:29], v0, off offset:4
	s_waitcnt vmcnt(1)
	global_store_dword v[31:32], v37, off
.LBB8_35:
	s_or_b64 exec, exec, s[4:5]
	v_mov_b32_e32 v32, v30
	v_mov_b32_e32 v0, v30
.LBB8_36:
	s_or_b64 exec, exec, s[2:3]
.LBB8_37:
	s_andn2_saveexec_b64 s[0:1], s[0:1]
	s_cbranch_execz .LBB8_39
; %bb.38:
	v_mov_b32_e32 v32, 1
	ds_write2_b64 v1, v[6:7], v[8:9] offset0:4 offset1:5
	ds_write2_b64 v1, v[2:3], v[4:5] offset0:6 offset1:7
	;; [unrolled: 1-line block ×3, first 2 shown]
.LBB8_39:
	s_or_b64 exec, exec, s[0:1]
	v_cmp_lt_i32_e32 vcc, 1, v32
	s_waitcnt vmcnt(0) lgkmcnt(0)
	s_barrier
	s_and_saveexec_b64 s[0:1], vcc
	s_cbranch_execz .LBB8_41
; %bb.40:
	v_mul_f64 v[30:31], v[22:23], v[16:17]
	v_mul_f64 v[16:17], v[24:25], v[16:17]
	ds_read2_b64 v[37:40], v1 offset0:4 offset1:5
	ds_read2_b64 v[41:44], v1 offset0:6 offset1:7
	;; [unrolled: 1-line block ×3, first 2 shown]
	v_fma_f64 v[24:25], v[24:25], v[14:15], v[30:31]
	v_fma_f64 v[14:15], v[22:23], v[14:15], -v[16:17]
	s_waitcnt lgkmcnt(2)
	v_mul_f64 v[16:17], v[39:40], v[24:25]
	v_mul_f64 v[22:23], v[37:38], v[24:25]
	s_waitcnt lgkmcnt(1)
	v_mul_f64 v[30:31], v[43:44], v[24:25]
	v_mul_f64 v[49:50], v[41:42], v[24:25]
	;; [unrolled: 3-line block ×3, first 2 shown]
	v_fma_f64 v[16:17], v[37:38], v[14:15], -v[16:17]
	v_fma_f64 v[22:23], v[39:40], v[14:15], v[22:23]
	v_fma_f64 v[30:31], v[41:42], v[14:15], -v[30:31]
	v_fma_f64 v[37:38], v[43:44], v[14:15], v[49:50]
	;; [unrolled: 2-line block ×3, first 2 shown]
	v_add_f64 v[6:7], v[6:7], -v[16:17]
	v_add_f64 v[8:9], v[8:9], -v[22:23]
	;; [unrolled: 1-line block ×6, first 2 shown]
	v_mov_b32_e32 v16, v24
	v_mov_b32_e32 v17, v25
.LBB8_41:
	s_or_b64 exec, exec, s[0:1]
	v_lshl_add_u32 v22, v32, 4, v1
	s_barrier
	ds_write2_b64 v22, v[6:7], v[8:9] offset1:1
	s_waitcnt lgkmcnt(0)
	s_barrier
	ds_read2_b64 v[22:25], v1 offset0:4 offset1:5
	s_cmp_lt_i32 s16, 4
	v_mov_b32_e32 v30, 2
	s_cbranch_scc1 .LBB8_44
; %bb.42:
	v_add3_u32 v31, v36, 0, 48
	s_mov_b32 s2, 3
	v_mov_b32_e32 v30, 2
.LBB8_43:                               ; =>This Inner Loop Header: Depth=1
	s_waitcnt lgkmcnt(0)
	v_cmp_gt_f64_e32 vcc, 0, v[24:25]
	v_cmp_gt_f64_e64 s[0:1], 0, v[22:23]
	ds_read2_b64 v[37:40], v31 offset1:1
	v_xor_b32_e32 v42, 0x80000000, v23
	v_xor_b32_e32 v44, 0x80000000, v25
	v_mov_b32_e32 v41, v22
	v_mov_b32_e32 v43, v24
	s_waitcnt lgkmcnt(0)
	v_xor_b32_e32 v46, 0x80000000, v40
	v_cndmask_b32_e32 v44, v25, v44, vcc
	v_cndmask_b32_e64 v42, v23, v42, s[0:1]
	v_cmp_gt_f64_e32 vcc, 0, v[39:40]
	v_cmp_gt_f64_e64 s[0:1], 0, v[37:38]
	v_add_f64 v[41:42], v[41:42], v[43:44]
	v_xor_b32_e32 v44, 0x80000000, v38
	v_mov_b32_e32 v43, v37
	v_mov_b32_e32 v45, v39
	v_add_u32_e32 v31, 16, v31
	v_cndmask_b32_e32 v46, v40, v46, vcc
	v_cndmask_b32_e64 v44, v38, v44, s[0:1]
	v_add_f64 v[43:44], v[43:44], v[45:46]
	v_mov_b32_e32 v45, s2
	s_add_i32 s2, s2, 1
	s_cmp_lg_u32 s16, s2
	v_cmp_lt_f64_e32 vcc, v[41:42], v[43:44]
	v_cndmask_b32_e32 v23, v23, v38, vcc
	v_cndmask_b32_e32 v22, v22, v37, vcc
	;; [unrolled: 1-line block ×5, first 2 shown]
	s_cbranch_scc1 .LBB8_43
.LBB8_44:
	s_waitcnt lgkmcnt(0)
	v_cmp_eq_f64_e32 vcc, 0, v[22:23]
	v_cmp_eq_f64_e64 s[0:1], 0, v[24:25]
	s_and_b64 s[0:1], vcc, s[0:1]
	s_and_saveexec_b64 s[2:3], s[0:1]
	s_xor_b64 s[0:1], exec, s[2:3]
; %bb.45:
	v_cmp_ne_u32_e32 vcc, 0, v35
	v_cndmask_b32_e32 v35, 3, v35, vcc
; %bb.46:
	s_andn2_saveexec_b64 s[0:1], s[0:1]
	s_cbranch_execz .LBB8_52
; %bb.47:
	v_cmp_ngt_f64_e64 s[2:3], |v[22:23]|, |v[24:25]|
	s_and_saveexec_b64 s[4:5], s[2:3]
	s_xor_b64 s[2:3], exec, s[4:5]
	s_cbranch_execz .LBB8_49
; %bb.48:
	v_div_scale_f64 v[37:38], s[4:5], v[24:25], v[24:25], v[22:23]
	v_rcp_f64_e32 v[39:40], v[37:38]
	v_fma_f64 v[41:42], -v[37:38], v[39:40], 1.0
	v_fma_f64 v[39:40], v[39:40], v[41:42], v[39:40]
	v_div_scale_f64 v[41:42], vcc, v[22:23], v[24:25], v[22:23]
	v_fma_f64 v[43:44], -v[37:38], v[39:40], 1.0
	v_fma_f64 v[39:40], v[39:40], v[43:44], v[39:40]
	v_mul_f64 v[43:44], v[41:42], v[39:40]
	v_fma_f64 v[37:38], -v[37:38], v[43:44], v[41:42]
	v_div_fmas_f64 v[37:38], v[37:38], v[39:40], v[43:44]
	v_div_fixup_f64 v[37:38], v[37:38], v[24:25], v[22:23]
	v_fma_f64 v[22:23], v[22:23], v[37:38], v[24:25]
	v_div_scale_f64 v[24:25], s[4:5], v[22:23], v[22:23], 1.0
	v_div_scale_f64 v[43:44], vcc, 1.0, v[22:23], 1.0
	v_rcp_f64_e32 v[39:40], v[24:25]
	v_fma_f64 v[41:42], -v[24:25], v[39:40], 1.0
	v_fma_f64 v[39:40], v[39:40], v[41:42], v[39:40]
	v_fma_f64 v[41:42], -v[24:25], v[39:40], 1.0
	v_fma_f64 v[39:40], v[39:40], v[41:42], v[39:40]
	v_mul_f64 v[41:42], v[43:44], v[39:40]
	v_fma_f64 v[24:25], -v[24:25], v[41:42], v[43:44]
	v_div_fmas_f64 v[24:25], v[24:25], v[39:40], v[41:42]
	v_div_fixup_f64 v[24:25], v[24:25], v[22:23], 1.0
	v_mul_f64 v[22:23], v[37:38], v[24:25]
	v_xor_b32_e32 v25, 0x80000000, v25
.LBB8_49:
	s_andn2_saveexec_b64 s[2:3], s[2:3]
	s_cbranch_execz .LBB8_51
; %bb.50:
	v_div_scale_f64 v[37:38], s[4:5], v[22:23], v[22:23], v[24:25]
	v_rcp_f64_e32 v[39:40], v[37:38]
	v_fma_f64 v[41:42], -v[37:38], v[39:40], 1.0
	v_fma_f64 v[39:40], v[39:40], v[41:42], v[39:40]
	v_div_scale_f64 v[41:42], vcc, v[24:25], v[22:23], v[24:25]
	v_fma_f64 v[43:44], -v[37:38], v[39:40], 1.0
	v_fma_f64 v[39:40], v[39:40], v[43:44], v[39:40]
	v_mul_f64 v[43:44], v[41:42], v[39:40]
	v_fma_f64 v[37:38], -v[37:38], v[43:44], v[41:42]
	v_div_fmas_f64 v[37:38], v[37:38], v[39:40], v[43:44]
	v_div_fixup_f64 v[37:38], v[37:38], v[22:23], v[24:25]
	v_fma_f64 v[22:23], v[24:25], v[37:38], v[22:23]
	v_div_scale_f64 v[24:25], s[4:5], v[22:23], v[22:23], 1.0
	v_div_scale_f64 v[43:44], vcc, 1.0, v[22:23], 1.0
	v_rcp_f64_e32 v[39:40], v[24:25]
	v_fma_f64 v[41:42], -v[24:25], v[39:40], 1.0
	v_fma_f64 v[39:40], v[39:40], v[41:42], v[39:40]
	v_fma_f64 v[41:42], -v[24:25], v[39:40], 1.0
	v_fma_f64 v[39:40], v[39:40], v[41:42], v[39:40]
	v_mul_f64 v[41:42], v[43:44], v[39:40]
	v_fma_f64 v[24:25], -v[24:25], v[41:42], v[43:44]
	v_div_fmas_f64 v[24:25], v[24:25], v[39:40], v[41:42]
	v_div_fixup_f64 v[22:23], v[24:25], v[22:23], 1.0
	v_mul_f64 v[24:25], v[37:38], -v[22:23]
.LBB8_51:
	s_or_b64 exec, exec, s[2:3]
.LBB8_52:
	s_or_b64 exec, exec, s[0:1]
	v_cmp_ne_u32_e32 vcc, v32, v30
	s_and_saveexec_b64 s[0:1], vcc
	s_xor_b64 s[0:1], exec, s[0:1]
	s_cbranch_execz .LBB8_58
; %bb.53:
	v_cmp_eq_u32_e32 vcc, 2, v32
	s_and_saveexec_b64 s[2:3], vcc
	s_cbranch_execz .LBB8_57
; %bb.54:
	v_cmp_ne_u32_e32 vcc, 2, v30
	s_xor_b64 s[4:5], s[18:19], -1
	s_and_b64 s[22:23], s[4:5], vcc
	s_and_saveexec_b64 s[4:5], s[22:23]
	s_cbranch_execz .LBB8_56
; %bb.55:
	v_ashrrev_i32_e32 v31, 31, v30
	v_lshlrev_b64 v[31:32], 2, v[30:31]
	v_add_co_u32_e32 v31, vcc, v28, v31
	v_addc_co_u32_e32 v32, vcc, v29, v32, vcc
	global_load_dword v0, v[31:32], off
	global_load_dword v37, v[28:29], off offset:8
	s_waitcnt vmcnt(1)
	global_store_dword v[28:29], v0, off offset:8
	s_waitcnt vmcnt(1)
	global_store_dword v[31:32], v37, off
.LBB8_56:
	s_or_b64 exec, exec, s[4:5]
	v_mov_b32_e32 v32, v30
	v_mov_b32_e32 v0, v30
.LBB8_57:
	s_or_b64 exec, exec, s[2:3]
.LBB8_58:
	s_andn2_saveexec_b64 s[0:1], s[0:1]
	s_cbranch_execz .LBB8_60
; %bb.59:
	v_mov_b32_e32 v32, 2
	ds_write2_b64 v1, v[2:3], v[4:5] offset0:6 offset1:7
	ds_write2_b64 v1, v[18:19], v[20:21] offset0:8 offset1:9
.LBB8_60:
	s_or_b64 exec, exec, s[0:1]
	v_cmp_lt_i32_e32 vcc, 2, v32
	s_waitcnt vmcnt(0) lgkmcnt(0)
	s_barrier
	s_and_saveexec_b64 s[0:1], vcc
	s_cbranch_execz .LBB8_62
; %bb.61:
	v_mul_f64 v[30:31], v[22:23], v[8:9]
	v_mul_f64 v[8:9], v[24:25], v[8:9]
	ds_read2_b64 v[37:40], v1 offset0:6 offset1:7
	ds_read2_b64 v[41:44], v1 offset0:8 offset1:9
	v_fma_f64 v[24:25], v[24:25], v[6:7], v[30:31]
	v_fma_f64 v[6:7], v[22:23], v[6:7], -v[8:9]
	s_waitcnt lgkmcnt(1)
	v_mul_f64 v[8:9], v[39:40], v[24:25]
	v_mul_f64 v[22:23], v[37:38], v[24:25]
	s_waitcnt lgkmcnt(0)
	v_mul_f64 v[30:31], v[43:44], v[24:25]
	v_mul_f64 v[45:46], v[41:42], v[24:25]
	v_fma_f64 v[8:9], v[37:38], v[6:7], -v[8:9]
	v_fma_f64 v[22:23], v[39:40], v[6:7], v[22:23]
	v_fma_f64 v[30:31], v[41:42], v[6:7], -v[30:31]
	v_fma_f64 v[37:38], v[43:44], v[6:7], v[45:46]
	v_add_f64 v[2:3], v[2:3], -v[8:9]
	v_add_f64 v[4:5], v[4:5], -v[22:23]
	;; [unrolled: 1-line block ×4, first 2 shown]
	v_mov_b32_e32 v8, v24
	v_mov_b32_e32 v9, v25
.LBB8_62:
	s_or_b64 exec, exec, s[0:1]
	v_lshl_add_u32 v22, v32, 4, v1
	s_barrier
	ds_write2_b64 v22, v[2:3], v[4:5] offset1:1
	s_waitcnt lgkmcnt(0)
	s_barrier
	ds_read2_b64 v[22:25], v1 offset0:6 offset1:7
	s_mov_b32 s2, 4
	s_cmp_lt_i32 s16, 5
	v_mov_b32_e32 v30, 3
	s_cbranch_scc1 .LBB8_65
; %bb.63:
	v_add3_u32 v31, v36, 0, 64
	v_mov_b32_e32 v30, 3
.LBB8_64:                               ; =>This Inner Loop Header: Depth=1
	s_waitcnt lgkmcnt(0)
	v_cmp_gt_f64_e32 vcc, 0, v[24:25]
	v_cmp_gt_f64_e64 s[0:1], 0, v[22:23]
	ds_read2_b64 v[36:39], v31 offset1:1
	v_xor_b32_e32 v41, 0x80000000, v23
	v_xor_b32_e32 v43, 0x80000000, v25
	v_mov_b32_e32 v40, v22
	v_mov_b32_e32 v42, v24
	s_waitcnt lgkmcnt(0)
	v_xor_b32_e32 v45, 0x80000000, v39
	v_cndmask_b32_e32 v43, v25, v43, vcc
	v_cndmask_b32_e64 v41, v23, v41, s[0:1]
	v_cmp_gt_f64_e32 vcc, 0, v[38:39]
	v_cmp_gt_f64_e64 s[0:1], 0, v[36:37]
	v_add_f64 v[40:41], v[40:41], v[42:43]
	v_xor_b32_e32 v43, 0x80000000, v37
	v_mov_b32_e32 v42, v36
	v_mov_b32_e32 v44, v38
	v_add_u32_e32 v31, 16, v31
	v_cndmask_b32_e32 v45, v39, v45, vcc
	v_cndmask_b32_e64 v43, v37, v43, s[0:1]
	v_add_f64 v[42:43], v[42:43], v[44:45]
	v_mov_b32_e32 v44, s2
	s_add_i32 s2, s2, 1
	s_cmp_lg_u32 s16, s2
	v_cmp_lt_f64_e32 vcc, v[40:41], v[42:43]
	v_cndmask_b32_e32 v23, v23, v37, vcc
	v_cndmask_b32_e32 v22, v22, v36, vcc
	;; [unrolled: 1-line block ×5, first 2 shown]
	s_cbranch_scc1 .LBB8_64
.LBB8_65:
	s_waitcnt lgkmcnt(0)
	v_cmp_eq_f64_e32 vcc, 0, v[22:23]
	v_cmp_eq_f64_e64 s[0:1], 0, v[24:25]
	s_and_b64 s[0:1], vcc, s[0:1]
	s_and_saveexec_b64 s[2:3], s[0:1]
	s_xor_b64 s[0:1], exec, s[2:3]
; %bb.66:
	v_cmp_ne_u32_e32 vcc, 0, v35
	v_cndmask_b32_e32 v35, 4, v35, vcc
; %bb.67:
	s_andn2_saveexec_b64 s[0:1], s[0:1]
	s_cbranch_execz .LBB8_73
; %bb.68:
	v_cmp_ngt_f64_e64 s[2:3], |v[22:23]|, |v[24:25]|
	s_and_saveexec_b64 s[4:5], s[2:3]
	s_xor_b64 s[2:3], exec, s[4:5]
	s_cbranch_execz .LBB8_70
; %bb.69:
	v_div_scale_f64 v[36:37], s[4:5], v[24:25], v[24:25], v[22:23]
	v_rcp_f64_e32 v[38:39], v[36:37]
	v_fma_f64 v[40:41], -v[36:37], v[38:39], 1.0
	v_fma_f64 v[38:39], v[38:39], v[40:41], v[38:39]
	v_div_scale_f64 v[40:41], vcc, v[22:23], v[24:25], v[22:23]
	v_fma_f64 v[42:43], -v[36:37], v[38:39], 1.0
	v_fma_f64 v[38:39], v[38:39], v[42:43], v[38:39]
	v_mul_f64 v[42:43], v[40:41], v[38:39]
	v_fma_f64 v[36:37], -v[36:37], v[42:43], v[40:41]
	v_div_fmas_f64 v[36:37], v[36:37], v[38:39], v[42:43]
	v_div_fixup_f64 v[36:37], v[36:37], v[24:25], v[22:23]
	v_fma_f64 v[22:23], v[22:23], v[36:37], v[24:25]
	v_div_scale_f64 v[24:25], s[4:5], v[22:23], v[22:23], 1.0
	v_div_scale_f64 v[42:43], vcc, 1.0, v[22:23], 1.0
	v_rcp_f64_e32 v[38:39], v[24:25]
	v_fma_f64 v[40:41], -v[24:25], v[38:39], 1.0
	v_fma_f64 v[38:39], v[38:39], v[40:41], v[38:39]
	v_fma_f64 v[40:41], -v[24:25], v[38:39], 1.0
	v_fma_f64 v[38:39], v[38:39], v[40:41], v[38:39]
	v_mul_f64 v[40:41], v[42:43], v[38:39]
	v_fma_f64 v[24:25], -v[24:25], v[40:41], v[42:43]
	v_div_fmas_f64 v[24:25], v[24:25], v[38:39], v[40:41]
	v_div_fixup_f64 v[24:25], v[24:25], v[22:23], 1.0
	v_mul_f64 v[22:23], v[36:37], v[24:25]
	v_xor_b32_e32 v25, 0x80000000, v25
.LBB8_70:
	s_andn2_saveexec_b64 s[2:3], s[2:3]
	s_cbranch_execz .LBB8_72
; %bb.71:
	v_div_scale_f64 v[36:37], s[4:5], v[22:23], v[22:23], v[24:25]
	v_rcp_f64_e32 v[38:39], v[36:37]
	v_fma_f64 v[40:41], -v[36:37], v[38:39], 1.0
	v_fma_f64 v[38:39], v[38:39], v[40:41], v[38:39]
	v_div_scale_f64 v[40:41], vcc, v[24:25], v[22:23], v[24:25]
	v_fma_f64 v[42:43], -v[36:37], v[38:39], 1.0
	v_fma_f64 v[38:39], v[38:39], v[42:43], v[38:39]
	v_mul_f64 v[42:43], v[40:41], v[38:39]
	v_fma_f64 v[36:37], -v[36:37], v[42:43], v[40:41]
	v_div_fmas_f64 v[36:37], v[36:37], v[38:39], v[42:43]
	v_div_fixup_f64 v[36:37], v[36:37], v[22:23], v[24:25]
	v_fma_f64 v[22:23], v[24:25], v[36:37], v[22:23]
	v_div_scale_f64 v[24:25], s[4:5], v[22:23], v[22:23], 1.0
	v_div_scale_f64 v[42:43], vcc, 1.0, v[22:23], 1.0
	v_rcp_f64_e32 v[38:39], v[24:25]
	v_fma_f64 v[40:41], -v[24:25], v[38:39], 1.0
	v_fma_f64 v[38:39], v[38:39], v[40:41], v[38:39]
	v_fma_f64 v[40:41], -v[24:25], v[38:39], 1.0
	v_fma_f64 v[38:39], v[38:39], v[40:41], v[38:39]
	v_mul_f64 v[40:41], v[42:43], v[38:39]
	v_fma_f64 v[24:25], -v[24:25], v[40:41], v[42:43]
	v_div_fmas_f64 v[24:25], v[24:25], v[38:39], v[40:41]
	v_div_fixup_f64 v[22:23], v[24:25], v[22:23], 1.0
	v_mul_f64 v[24:25], v[36:37], -v[22:23]
.LBB8_72:
	s_or_b64 exec, exec, s[2:3]
.LBB8_73:
	s_or_b64 exec, exec, s[0:1]
	v_cmp_ne_u32_e32 vcc, v32, v30
	s_and_saveexec_b64 s[0:1], vcc
	s_xor_b64 s[0:1], exec, s[0:1]
	s_cbranch_execz .LBB8_79
; %bb.74:
	v_cmp_eq_u32_e32 vcc, 3, v32
	s_and_saveexec_b64 s[2:3], vcc
	s_cbranch_execz .LBB8_78
; %bb.75:
	v_cmp_ne_u32_e32 vcc, 3, v30
	s_xor_b64 s[4:5], s[18:19], -1
	s_and_b64 s[22:23], s[4:5], vcc
	s_and_saveexec_b64 s[4:5], s[22:23]
	s_cbranch_execz .LBB8_77
; %bb.76:
	v_ashrrev_i32_e32 v31, 31, v30
	v_lshlrev_b64 v[31:32], 2, v[30:31]
	v_add_co_u32_e32 v31, vcc, v28, v31
	v_addc_co_u32_e32 v32, vcc, v29, v32, vcc
	global_load_dword v0, v[31:32], off
	global_load_dword v36, v[28:29], off offset:12
	s_waitcnt vmcnt(1)
	global_store_dword v[28:29], v0, off offset:12
	s_waitcnt vmcnt(1)
	global_store_dword v[31:32], v36, off
.LBB8_77:
	s_or_b64 exec, exec, s[4:5]
	v_mov_b32_e32 v32, v30
	v_mov_b32_e32 v0, v30
.LBB8_78:
	s_or_b64 exec, exec, s[2:3]
.LBB8_79:
	s_andn2_saveexec_b64 s[0:1], s[0:1]
; %bb.80:
	v_mov_b32_e32 v32, 3
	ds_write2_b64 v1, v[18:19], v[20:21] offset0:8 offset1:9
; %bb.81:
	s_or_b64 exec, exec, s[0:1]
	v_cmp_lt_i32_e32 vcc, 3, v32
	s_waitcnt vmcnt(0) lgkmcnt(0)
	s_barrier
	s_and_saveexec_b64 s[0:1], vcc
	s_cbranch_execz .LBB8_83
; %bb.82:
	v_mul_f64 v[30:31], v[22:23], v[4:5]
	v_mul_f64 v[4:5], v[24:25], v[4:5]
	ds_read2_b64 v[36:39], v1 offset0:8 offset1:9
	v_fma_f64 v[24:25], v[24:25], v[2:3], v[30:31]
	v_fma_f64 v[2:3], v[22:23], v[2:3], -v[4:5]
	s_waitcnt lgkmcnt(0)
	v_mul_f64 v[4:5], v[38:39], v[24:25]
	v_mul_f64 v[22:23], v[36:37], v[24:25]
	v_fma_f64 v[4:5], v[36:37], v[2:3], -v[4:5]
	v_fma_f64 v[22:23], v[38:39], v[2:3], v[22:23]
	v_add_f64 v[18:19], v[18:19], -v[4:5]
	v_add_f64 v[20:21], v[20:21], -v[22:23]
	v_mov_b32_e32 v4, v24
	v_mov_b32_e32 v5, v25
.LBB8_83:
	s_or_b64 exec, exec, s[0:1]
	v_lshl_add_u32 v22, v32, 4, v1
	s_barrier
	ds_write2_b64 v22, v[18:19], v[20:21] offset1:1
	s_waitcnt lgkmcnt(0)
	s_barrier
	ds_read2_b64 v[22:25], v1 offset0:8 offset1:9
	s_cmp_lt_i32 s16, 6
	v_mov_b32_e32 v30, 4
	s_cbranch_scc1 .LBB8_86
; %bb.84:
	v_mov_b32_e32 v30, 4
	v_add_u32_e32 v1, 0x50, v1
	s_mov_b32 s2, 5
.LBB8_85:                               ; =>This Inner Loop Header: Depth=1
	s_waitcnt lgkmcnt(0)
	v_cmp_gt_f64_e32 vcc, 0, v[24:25]
	v_cmp_gt_f64_e64 s[0:1], 0, v[22:23]
	ds_read2_b64 v[36:39], v1 offset1:1
	v_xor_b32_e32 v31, 0x80000000, v23
	v_xor_b32_e32 v43, 0x80000000, v25
	v_mov_b32_e32 v40, v22
	v_mov_b32_e32 v42, v24
	s_waitcnt lgkmcnt(0)
	v_xor_b32_e32 v45, 0x80000000, v39
	v_cndmask_b32_e32 v43, v25, v43, vcc
	v_cndmask_b32_e64 v41, v23, v31, s[0:1]
	v_cmp_gt_f64_e32 vcc, 0, v[38:39]
	v_cmp_gt_f64_e64 s[0:1], 0, v[36:37]
	v_xor_b32_e32 v31, 0x80000000, v37
	v_add_f64 v[40:41], v[40:41], v[42:43]
	v_mov_b32_e32 v42, v36
	v_mov_b32_e32 v44, v38
	v_add_u32_e32 v1, 16, v1
	v_cndmask_b32_e32 v45, v39, v45, vcc
	v_cndmask_b32_e64 v43, v37, v31, s[0:1]
	v_add_f64 v[42:43], v[42:43], v[44:45]
	v_mov_b32_e32 v31, s2
	s_add_i32 s2, s2, 1
	s_cmp_lg_u32 s16, s2
	v_cmp_lt_f64_e32 vcc, v[40:41], v[42:43]
	v_cndmask_b32_e32 v23, v23, v37, vcc
	v_cndmask_b32_e32 v22, v22, v36, vcc
	;; [unrolled: 1-line block ×5, first 2 shown]
	s_cbranch_scc1 .LBB8_85
.LBB8_86:
	s_waitcnt lgkmcnt(0)
	v_cmp_eq_f64_e32 vcc, 0, v[22:23]
	v_cmp_eq_f64_e64 s[0:1], 0, v[24:25]
	s_and_b64 s[0:1], vcc, s[0:1]
	s_and_saveexec_b64 s[2:3], s[0:1]
	s_xor_b64 s[0:1], exec, s[2:3]
; %bb.87:
	v_cmp_ne_u32_e32 vcc, 0, v35
	v_cndmask_b32_e32 v35, 5, v35, vcc
; %bb.88:
	s_andn2_saveexec_b64 s[0:1], s[0:1]
	s_cbranch_execz .LBB8_94
; %bb.89:
	v_cmp_ngt_f64_e64 s[2:3], |v[22:23]|, |v[24:25]|
	s_and_saveexec_b64 s[4:5], s[2:3]
	s_xor_b64 s[2:3], exec, s[4:5]
	s_cbranch_execz .LBB8_91
; %bb.90:
	v_div_scale_f64 v[36:37], s[4:5], v[24:25], v[24:25], v[22:23]
	v_rcp_f64_e32 v[38:39], v[36:37]
	v_fma_f64 v[40:41], -v[36:37], v[38:39], 1.0
	v_fma_f64 v[38:39], v[38:39], v[40:41], v[38:39]
	v_div_scale_f64 v[40:41], vcc, v[22:23], v[24:25], v[22:23]
	v_fma_f64 v[42:43], -v[36:37], v[38:39], 1.0
	v_fma_f64 v[38:39], v[38:39], v[42:43], v[38:39]
	v_mul_f64 v[42:43], v[40:41], v[38:39]
	v_fma_f64 v[36:37], -v[36:37], v[42:43], v[40:41]
	v_div_fmas_f64 v[36:37], v[36:37], v[38:39], v[42:43]
	v_div_fixup_f64 v[36:37], v[36:37], v[24:25], v[22:23]
	v_fma_f64 v[22:23], v[22:23], v[36:37], v[24:25]
	v_div_scale_f64 v[24:25], s[4:5], v[22:23], v[22:23], 1.0
	v_div_scale_f64 v[42:43], vcc, 1.0, v[22:23], 1.0
	v_rcp_f64_e32 v[38:39], v[24:25]
	v_fma_f64 v[40:41], -v[24:25], v[38:39], 1.0
	v_fma_f64 v[38:39], v[38:39], v[40:41], v[38:39]
	v_fma_f64 v[40:41], -v[24:25], v[38:39], 1.0
	v_fma_f64 v[38:39], v[38:39], v[40:41], v[38:39]
	v_mul_f64 v[40:41], v[42:43], v[38:39]
	v_fma_f64 v[24:25], -v[24:25], v[40:41], v[42:43]
	v_div_fmas_f64 v[24:25], v[24:25], v[38:39], v[40:41]
	v_div_fixup_f64 v[24:25], v[24:25], v[22:23], 1.0
	v_mul_f64 v[22:23], v[36:37], v[24:25]
	v_xor_b32_e32 v25, 0x80000000, v25
.LBB8_91:
	s_andn2_saveexec_b64 s[2:3], s[2:3]
	s_cbranch_execz .LBB8_93
; %bb.92:
	v_div_scale_f64 v[36:37], s[4:5], v[22:23], v[22:23], v[24:25]
	v_rcp_f64_e32 v[38:39], v[36:37]
	v_fma_f64 v[40:41], -v[36:37], v[38:39], 1.0
	v_fma_f64 v[38:39], v[38:39], v[40:41], v[38:39]
	v_div_scale_f64 v[40:41], vcc, v[24:25], v[22:23], v[24:25]
	v_fma_f64 v[42:43], -v[36:37], v[38:39], 1.0
	v_fma_f64 v[38:39], v[38:39], v[42:43], v[38:39]
	v_mul_f64 v[42:43], v[40:41], v[38:39]
	v_fma_f64 v[36:37], -v[36:37], v[42:43], v[40:41]
	v_div_fmas_f64 v[36:37], v[36:37], v[38:39], v[42:43]
	v_div_fixup_f64 v[36:37], v[36:37], v[22:23], v[24:25]
	v_fma_f64 v[22:23], v[24:25], v[36:37], v[22:23]
	v_div_scale_f64 v[24:25], s[4:5], v[22:23], v[22:23], 1.0
	v_div_scale_f64 v[42:43], vcc, 1.0, v[22:23], 1.0
	v_rcp_f64_e32 v[38:39], v[24:25]
	v_fma_f64 v[40:41], -v[24:25], v[38:39], 1.0
	v_fma_f64 v[38:39], v[38:39], v[40:41], v[38:39]
	v_fma_f64 v[40:41], -v[24:25], v[38:39], 1.0
	v_fma_f64 v[38:39], v[38:39], v[40:41], v[38:39]
	v_mul_f64 v[40:41], v[42:43], v[38:39]
	v_fma_f64 v[24:25], -v[24:25], v[40:41], v[42:43]
	v_div_fmas_f64 v[24:25], v[24:25], v[38:39], v[40:41]
	v_div_fixup_f64 v[22:23], v[24:25], v[22:23], 1.0
	v_mul_f64 v[24:25], v[36:37], -v[22:23]
.LBB8_93:
	s_or_b64 exec, exec, s[2:3]
.LBB8_94:
	s_or_b64 exec, exec, s[0:1]
	v_cmp_ne_u32_e32 vcc, v32, v30
	v_mov_b32_e32 v31, 4
	s_and_saveexec_b64 s[0:1], vcc
	s_cbranch_execz .LBB8_100
; %bb.95:
	v_cmp_eq_u32_e32 vcc, 4, v32
	s_and_saveexec_b64 s[2:3], vcc
	s_cbranch_execz .LBB8_99
; %bb.96:
	v_cmp_ne_u32_e32 vcc, 4, v30
	s_xor_b64 s[4:5], s[18:19], -1
	s_and_b64 s[18:19], s[4:5], vcc
	s_and_saveexec_b64 s[4:5], s[18:19]
	s_cbranch_execz .LBB8_98
; %bb.97:
	v_ashrrev_i32_e32 v31, 31, v30
	v_lshlrev_b64 v[0:1], 2, v[30:31]
	v_add_co_u32_e32 v0, vcc, v28, v0
	v_addc_co_u32_e32 v1, vcc, v29, v1, vcc
	global_load_dword v31, v[0:1], off
	global_load_dword v32, v[28:29], off offset:16
	s_waitcnt vmcnt(1)
	global_store_dword v[28:29], v31, off offset:16
	s_waitcnt vmcnt(1)
	global_store_dword v[0:1], v32, off
.LBB8_98:
	s_or_b64 exec, exec, s[4:5]
	v_mov_b32_e32 v32, v30
	v_mov_b32_e32 v0, v30
.LBB8_99:
	s_or_b64 exec, exec, s[2:3]
	v_mov_b32_e32 v31, v32
.LBB8_100:
	s_or_b64 exec, exec, s[0:1]
	v_cmp_gt_i32_e32 vcc, 5, v31
	v_ashrrev_i32_e32 v32, 31, v31
	s_waitcnt vmcnt(0)
	s_barrier
	s_barrier
	s_and_saveexec_b64 s[0:1], vcc
	s_cbranch_execz .LBB8_102
; %bb.101:
	v_mul_lo_u32 v1, s15, v26
	v_mul_lo_u32 v30, s14, v27
	v_mad_u64_u32 v[28:29], s[2:3], s14, v26, 0
	s_lshl_b64 s[2:3], s[12:13], 2
	v_add3_u32 v0, v0, s17, 1
	v_add3_u32 v29, v29, v30, v1
	v_lshlrev_b64 v[28:29], 2, v[28:29]
	v_mov_b32_e32 v1, s11
	v_add_co_u32_e32 v28, vcc, s10, v28
	v_addc_co_u32_e32 v1, vcc, v1, v29, vcc
	v_mov_b32_e32 v29, s3
	v_add_co_u32_e32 v30, vcc, s2, v28
	v_addc_co_u32_e32 v1, vcc, v1, v29, vcc
	v_lshlrev_b64 v[28:29], 2, v[31:32]
	v_add_co_u32_e32 v28, vcc, v30, v28
	v_addc_co_u32_e32 v29, vcc, v1, v29, vcc
	global_store_dword v[28:29], v0, off
.LBB8_102:
	s_or_b64 exec, exec, s[0:1]
	v_cmp_eq_u32_e32 vcc, 0, v31
	s_and_saveexec_b64 s[2:3], vcc
	s_cbranch_execz .LBB8_105
; %bb.103:
	v_lshlrev_b64 v[0:1], 2, v[26:27]
	v_mov_b32_e32 v26, s21
	v_add_co_u32_e32 v0, vcc, s20, v0
	v_addc_co_u32_e32 v1, vcc, v26, v1, vcc
	global_load_dword v26, v[0:1], off
	v_cmp_ne_u32_e64 s[0:1], 0, v35
	s_waitcnt vmcnt(0)
	v_cmp_eq_u32_e32 vcc, 0, v26
	s_and_b64 s[0:1], vcc, s[0:1]
	s_and_b64 exec, exec, s[0:1]
	s_cbranch_execz .LBB8_105
; %bb.104:
	v_add_u32_e32 v26, s17, v35
	global_store_dword v[0:1], v26, off
.LBB8_105:
	s_or_b64 exec, exec, s[2:3]
	v_mul_f64 v[0:1], v[22:23], v[20:21]
	v_mul_f64 v[26:27], v[24:25], v[20:21]
	v_lshlrev_b64 v[28:29], 4, v[31:32]
	v_mov_b32_e32 v30, s9
	v_fma_f64 v[0:1], v[24:25], v[18:19], v[0:1]
	v_fma_f64 v[22:23], v[22:23], v[18:19], -v[26:27]
	v_add_co_u32_e32 v24, vcc, v33, v28
	v_addc_co_u32_e32 v25, vcc, v34, v29, vcc
	v_cmp_lt_i32_e32 vcc, 4, v31
	global_store_dwordx4 v[24:25], v[10:13], off
	s_nop 0
	v_cndmask_b32_e32 v13, v21, v1, vcc
	v_cndmask_b32_e32 v12, v20, v0, vcc
	;; [unrolled: 1-line block ×4, first 2 shown]
	v_add_co_u32_e32 v0, vcc, s8, v24
	v_addc_co_u32_e32 v1, vcc, v25, v30, vcc
	global_store_dwordx4 v[0:1], v[14:17], off
	v_add_u32_e32 v0, s7, v31
	v_ashrrev_i32_e32 v1, 31, v0
	v_lshlrev_b64 v[14:15], 4, v[0:1]
	v_add_u32_e32 v0, s6, v0
	v_add_co_u32_e32 v14, vcc, v33, v14
	v_addc_co_u32_e32 v15, vcc, v34, v15, vcc
	v_ashrrev_i32_e32 v1, 31, v0
	global_store_dwordx4 v[14:15], v[6:9], off
	s_nop 0
	v_lshlrev_b64 v[6:7], 4, v[0:1]
	v_add_u32_e32 v0, s6, v0
	v_ashrrev_i32_e32 v1, 31, v0
	v_add_co_u32_e32 v6, vcc, v33, v6
	v_lshlrev_b64 v[0:1], 4, v[0:1]
	v_addc_co_u32_e32 v7, vcc, v34, v7, vcc
	v_add_co_u32_e32 v0, vcc, v33, v0
	v_addc_co_u32_e32 v1, vcc, v34, v1, vcc
	global_store_dwordx4 v[6:7], v[2:5], off
	global_store_dwordx4 v[0:1], v[10:13], off
.LBB8_106:
	s_endpgm
	.section	.rodata,"a",@progbits
	.p2align	6, 0x0
	.amdhsa_kernel _ZN9rocsolver6v33100L18getf2_small_kernelILi5E19rocblas_complex_numIdEiiPS3_EEvT1_T3_lS5_lPS5_llPT2_S5_S5_S7_l
		.amdhsa_group_segment_fixed_size 0
		.amdhsa_private_segment_fixed_size 0
		.amdhsa_kernarg_size 352
		.amdhsa_user_sgpr_count 6
		.amdhsa_user_sgpr_private_segment_buffer 1
		.amdhsa_user_sgpr_dispatch_ptr 0
		.amdhsa_user_sgpr_queue_ptr 0
		.amdhsa_user_sgpr_kernarg_segment_ptr 1
		.amdhsa_user_sgpr_dispatch_id 0
		.amdhsa_user_sgpr_flat_scratch_init 0
		.amdhsa_user_sgpr_private_segment_size 0
		.amdhsa_uses_dynamic_stack 0
		.amdhsa_system_sgpr_private_segment_wavefront_offset 0
		.amdhsa_system_sgpr_workgroup_id_x 1
		.amdhsa_system_sgpr_workgroup_id_y 1
		.amdhsa_system_sgpr_workgroup_id_z 0
		.amdhsa_system_sgpr_workgroup_info 0
		.amdhsa_system_vgpr_workitem_id 1
		.amdhsa_next_free_vgpr 55
		.amdhsa_next_free_sgpr 24
		.amdhsa_reserve_vcc 1
		.amdhsa_reserve_flat_scratch 0
		.amdhsa_float_round_mode_32 0
		.amdhsa_float_round_mode_16_64 0
		.amdhsa_float_denorm_mode_32 3
		.amdhsa_float_denorm_mode_16_64 3
		.amdhsa_dx10_clamp 1
		.amdhsa_ieee_mode 1
		.amdhsa_fp16_overflow 0
		.amdhsa_exception_fp_ieee_invalid_op 0
		.amdhsa_exception_fp_denorm_src 0
		.amdhsa_exception_fp_ieee_div_zero 0
		.amdhsa_exception_fp_ieee_overflow 0
		.amdhsa_exception_fp_ieee_underflow 0
		.amdhsa_exception_fp_ieee_inexact 0
		.amdhsa_exception_int_div_zero 0
	.end_amdhsa_kernel
	.section	.text._ZN9rocsolver6v33100L18getf2_small_kernelILi5E19rocblas_complex_numIdEiiPS3_EEvT1_T3_lS5_lPS5_llPT2_S5_S5_S7_l,"axG",@progbits,_ZN9rocsolver6v33100L18getf2_small_kernelILi5E19rocblas_complex_numIdEiiPS3_EEvT1_T3_lS5_lPS5_llPT2_S5_S5_S7_l,comdat
.Lfunc_end8:
	.size	_ZN9rocsolver6v33100L18getf2_small_kernelILi5E19rocblas_complex_numIdEiiPS3_EEvT1_T3_lS5_lPS5_llPT2_S5_S5_S7_l, .Lfunc_end8-_ZN9rocsolver6v33100L18getf2_small_kernelILi5E19rocblas_complex_numIdEiiPS3_EEvT1_T3_lS5_lPS5_llPT2_S5_S5_S7_l
                                        ; -- End function
	.set _ZN9rocsolver6v33100L18getf2_small_kernelILi5E19rocblas_complex_numIdEiiPS3_EEvT1_T3_lS5_lPS5_llPT2_S5_S5_S7_l.num_vgpr, 55
	.set _ZN9rocsolver6v33100L18getf2_small_kernelILi5E19rocblas_complex_numIdEiiPS3_EEvT1_T3_lS5_lPS5_llPT2_S5_S5_S7_l.num_agpr, 0
	.set _ZN9rocsolver6v33100L18getf2_small_kernelILi5E19rocblas_complex_numIdEiiPS3_EEvT1_T3_lS5_lPS5_llPT2_S5_S5_S7_l.numbered_sgpr, 24
	.set _ZN9rocsolver6v33100L18getf2_small_kernelILi5E19rocblas_complex_numIdEiiPS3_EEvT1_T3_lS5_lPS5_llPT2_S5_S5_S7_l.num_named_barrier, 0
	.set _ZN9rocsolver6v33100L18getf2_small_kernelILi5E19rocblas_complex_numIdEiiPS3_EEvT1_T3_lS5_lPS5_llPT2_S5_S5_S7_l.private_seg_size, 0
	.set _ZN9rocsolver6v33100L18getf2_small_kernelILi5E19rocblas_complex_numIdEiiPS3_EEvT1_T3_lS5_lPS5_llPT2_S5_S5_S7_l.uses_vcc, 1
	.set _ZN9rocsolver6v33100L18getf2_small_kernelILi5E19rocblas_complex_numIdEiiPS3_EEvT1_T3_lS5_lPS5_llPT2_S5_S5_S7_l.uses_flat_scratch, 0
	.set _ZN9rocsolver6v33100L18getf2_small_kernelILi5E19rocblas_complex_numIdEiiPS3_EEvT1_T3_lS5_lPS5_llPT2_S5_S5_S7_l.has_dyn_sized_stack, 0
	.set _ZN9rocsolver6v33100L18getf2_small_kernelILi5E19rocblas_complex_numIdEiiPS3_EEvT1_T3_lS5_lPS5_llPT2_S5_S5_S7_l.has_recursion, 0
	.set _ZN9rocsolver6v33100L18getf2_small_kernelILi5E19rocblas_complex_numIdEiiPS3_EEvT1_T3_lS5_lPS5_llPT2_S5_S5_S7_l.has_indirect_call, 0
	.section	.AMDGPU.csdata,"",@progbits
; Kernel info:
; codeLenInByte = 5924
; TotalNumSgprs: 28
; NumVgprs: 55
; ScratchSize: 0
; MemoryBound: 0
; FloatMode: 240
; IeeeMode: 1
; LDSByteSize: 0 bytes/workgroup (compile time only)
; SGPRBlocks: 3
; VGPRBlocks: 13
; NumSGPRsForWavesPerEU: 28
; NumVGPRsForWavesPerEU: 55
; Occupancy: 4
; WaveLimiterHint : 0
; COMPUTE_PGM_RSRC2:SCRATCH_EN: 0
; COMPUTE_PGM_RSRC2:USER_SGPR: 6
; COMPUTE_PGM_RSRC2:TRAP_HANDLER: 0
; COMPUTE_PGM_RSRC2:TGID_X_EN: 1
; COMPUTE_PGM_RSRC2:TGID_Y_EN: 1
; COMPUTE_PGM_RSRC2:TGID_Z_EN: 0
; COMPUTE_PGM_RSRC2:TIDIG_COMP_CNT: 1
	.section	.text._ZN9rocsolver6v33100L23getf2_npvt_small_kernelILi5E19rocblas_complex_numIdEiiPS3_EEvT1_T3_lS5_lPT2_S5_S5_,"axG",@progbits,_ZN9rocsolver6v33100L23getf2_npvt_small_kernelILi5E19rocblas_complex_numIdEiiPS3_EEvT1_T3_lS5_lPT2_S5_S5_,comdat
	.globl	_ZN9rocsolver6v33100L23getf2_npvt_small_kernelILi5E19rocblas_complex_numIdEiiPS3_EEvT1_T3_lS5_lPT2_S5_S5_ ; -- Begin function _ZN9rocsolver6v33100L23getf2_npvt_small_kernelILi5E19rocblas_complex_numIdEiiPS3_EEvT1_T3_lS5_lPT2_S5_S5_
	.p2align	8
	.type	_ZN9rocsolver6v33100L23getf2_npvt_small_kernelILi5E19rocblas_complex_numIdEiiPS3_EEvT1_T3_lS5_lPT2_S5_S5_,@function
_ZN9rocsolver6v33100L23getf2_npvt_small_kernelILi5E19rocblas_complex_numIdEiiPS3_EEvT1_T3_lS5_lPT2_S5_S5_: ; @_ZN9rocsolver6v33100L23getf2_npvt_small_kernelILi5E19rocblas_complex_numIdEiiPS3_EEvT1_T3_lS5_lPT2_S5_S5_
; %bb.0:
	s_load_dword s0, s[4:5], 0x44
	s_load_dwordx2 s[18:19], s[4:5], 0x30
	s_waitcnt lgkmcnt(0)
	s_lshr_b32 s0, s0, 16
	s_mul_i32 s7, s7, s0
	v_add_u32_e32 v48, s7, v1
	v_cmp_gt_i32_e32 vcc, s18, v48
	s_and_saveexec_b64 s[2:3], vcc
	s_cbranch_execz .LBB9_48
; %bb.1:
	s_load_dwordx4 s[8:11], s[4:5], 0x20
	s_load_dword s2, s[4:5], 0x18
	v_ashrrev_i32_e32 v49, 31, v48
	s_load_dwordx4 s[12:15], s[4:5], 0x8
	s_mulk_i32 s0, 0x50
	s_waitcnt lgkmcnt(0)
	v_mul_lo_u32 v4, s9, v48
	v_mul_lo_u32 v5, s8, v49
	v_mad_u64_u32 v[2:3], s[6:7], s8, v48, 0
	s_lshl_b64 s[4:5], s[14:15], 4
	s_ashr_i32 s3, s2, 31
	v_add3_u32 v3, v3, v5, v4
	v_lshlrev_b64 v[2:3], 4, v[2:3]
	v_mov_b32_e32 v4, s13
	v_add_co_u32_e32 v2, vcc, s12, v2
	v_addc_co_u32_e32 v3, vcc, v4, v3, vcc
	v_mov_b32_e32 v4, s5
	v_add_co_u32_e32 v5, vcc, s4, v2
	v_addc_co_u32_e32 v6, vcc, v3, v4, vcc
	v_lshlrev_b32_e32 v2, 4, v0
	v_add_co_u32_e32 v42, vcc, v5, v2
	v_addc_co_u32_e32 v43, vcc, 0, v6, vcc
	s_lshl_b64 s[4:5], s[2:3], 4
	v_mov_b32_e32 v2, s5
	v_add_co_u32_e32 v44, vcc, s4, v42
	s_add_i32 s1, s2, s2
	v_addc_co_u32_e32 v45, vcc, v43, v2, vcc
	v_add_u32_e32 v2, s1, v0
	v_ashrrev_i32_e32 v3, 31, v2
	v_lshlrev_b64 v[3:4], 4, v[2:3]
	v_add_u32_e32 v2, s2, v2
	v_add_co_u32_e32 v46, vcc, v5, v3
	v_ashrrev_i32_e32 v3, 31, v2
	v_addc_co_u32_e32 v47, vcc, v6, v4, vcc
	v_lshlrev_b64 v[3:4], 4, v[2:3]
	v_add_u32_e32 v2, s2, v2
	v_add_co_u32_e32 v50, vcc, v5, v3
	v_ashrrev_i32_e32 v3, 31, v2
	v_lshlrev_b64 v[2:3], 4, v[2:3]
	v_addc_co_u32_e32 v51, vcc, v6, v4, vcc
	v_add_co_u32_e32 v52, vcc, v5, v2
	v_addc_co_u32_e32 v53, vcc, v6, v3, vcc
	global_load_dwordx4 v[18:21], v[42:43], off
	global_load_dwordx4 v[14:17], v[44:45], off
	;; [unrolled: 1-line block ×5, first 2 shown]
	v_mul_u32_u24_e32 v22, 0x50, v1
	s_add_i32 s0, s0, 0
	v_lshl_add_u32 v1, v1, 4, s0
	v_cmp_ne_u32_e64 s[2:3], 0, v0
	v_cmp_eq_u32_e64 s[0:1], 0, v0
	v_add_u32_e32 v54, 0, v22
	s_and_saveexec_b64 s[6:7], s[0:1]
	s_cbranch_execz .LBB9_8
; %bb.2:
	s_waitcnt vmcnt(4)
	ds_write2_b64 v1, v[18:19], v[20:21] offset1:1
	s_waitcnt vmcnt(3)
	ds_write2_b64 v54, v[14:15], v[16:17] offset0:2 offset1:3
	s_waitcnt vmcnt(2)
	ds_write2_b64 v54, v[10:11], v[12:13] offset0:4 offset1:5
	;; [unrolled: 2-line block ×4, first 2 shown]
	ds_read2_b64 v[22:25], v1 offset1:1
	s_waitcnt lgkmcnt(0)
	v_cmp_neq_f64_e32 vcc, 0, v[22:23]
	v_cmp_neq_f64_e64 s[4:5], 0, v[24:25]
	s_or_b64 s[4:5], vcc, s[4:5]
	s_and_b64 exec, exec, s[4:5]
	s_cbranch_execz .LBB9_8
; %bb.3:
	v_cmp_ngt_f64_e64 s[4:5], |v[22:23]|, |v[24:25]|
                                        ; implicit-def: $vgpr26_vgpr27
	s_and_saveexec_b64 s[8:9], s[4:5]
	s_xor_b64 s[4:5], exec, s[8:9]
                                        ; implicit-def: $vgpr28_vgpr29
	s_cbranch_execz .LBB9_5
; %bb.4:
	v_div_scale_f64 v[26:27], s[8:9], v[24:25], v[24:25], v[22:23]
	v_rcp_f64_e32 v[28:29], v[26:27]
	v_fma_f64 v[30:31], -v[26:27], v[28:29], 1.0
	v_fma_f64 v[28:29], v[28:29], v[30:31], v[28:29]
	v_div_scale_f64 v[30:31], vcc, v[22:23], v[24:25], v[22:23]
	v_fma_f64 v[32:33], -v[26:27], v[28:29], 1.0
	v_fma_f64 v[28:29], v[28:29], v[32:33], v[28:29]
	v_mul_f64 v[32:33], v[30:31], v[28:29]
	v_fma_f64 v[26:27], -v[26:27], v[32:33], v[30:31]
	v_div_fmas_f64 v[26:27], v[26:27], v[28:29], v[32:33]
	v_div_fixup_f64 v[26:27], v[26:27], v[24:25], v[22:23]
	v_fma_f64 v[22:23], v[22:23], v[26:27], v[24:25]
	v_div_scale_f64 v[24:25], s[8:9], v[22:23], v[22:23], 1.0
	v_div_scale_f64 v[32:33], vcc, 1.0, v[22:23], 1.0
	v_rcp_f64_e32 v[28:29], v[24:25]
	v_fma_f64 v[30:31], -v[24:25], v[28:29], 1.0
	v_fma_f64 v[28:29], v[28:29], v[30:31], v[28:29]
	v_fma_f64 v[30:31], -v[24:25], v[28:29], 1.0
	v_fma_f64 v[28:29], v[28:29], v[30:31], v[28:29]
	v_mul_f64 v[30:31], v[32:33], v[28:29]
	v_fma_f64 v[24:25], -v[24:25], v[30:31], v[32:33]
	v_div_fmas_f64 v[24:25], v[24:25], v[28:29], v[30:31]
	v_div_fixup_f64 v[28:29], v[24:25], v[22:23], 1.0
                                        ; implicit-def: $vgpr22_vgpr23
	v_mul_f64 v[26:27], v[26:27], v[28:29]
	v_xor_b32_e32 v29, 0x80000000, v29
.LBB9_5:
	s_andn2_saveexec_b64 s[4:5], s[4:5]
	s_cbranch_execz .LBB9_7
; %bb.6:
	v_div_scale_f64 v[26:27], s[8:9], v[22:23], v[22:23], v[24:25]
	v_rcp_f64_e32 v[28:29], v[26:27]
	v_fma_f64 v[30:31], -v[26:27], v[28:29], 1.0
	v_fma_f64 v[28:29], v[28:29], v[30:31], v[28:29]
	v_div_scale_f64 v[30:31], vcc, v[24:25], v[22:23], v[24:25]
	v_fma_f64 v[32:33], -v[26:27], v[28:29], 1.0
	v_fma_f64 v[28:29], v[28:29], v[32:33], v[28:29]
	v_mul_f64 v[32:33], v[30:31], v[28:29]
	v_fma_f64 v[26:27], -v[26:27], v[32:33], v[30:31]
	v_div_fmas_f64 v[26:27], v[26:27], v[28:29], v[32:33]
	v_div_fixup_f64 v[28:29], v[26:27], v[22:23], v[24:25]
	v_fma_f64 v[22:23], v[24:25], v[28:29], v[22:23]
	v_div_scale_f64 v[24:25], s[8:9], v[22:23], v[22:23], 1.0
	v_div_scale_f64 v[32:33], vcc, 1.0, v[22:23], 1.0
	v_rcp_f64_e32 v[26:27], v[24:25]
	v_fma_f64 v[30:31], -v[24:25], v[26:27], 1.0
	v_fma_f64 v[26:27], v[26:27], v[30:31], v[26:27]
	v_fma_f64 v[30:31], -v[24:25], v[26:27], 1.0
	v_fma_f64 v[26:27], v[26:27], v[30:31], v[26:27]
	v_mul_f64 v[30:31], v[32:33], v[26:27]
	v_fma_f64 v[24:25], -v[24:25], v[30:31], v[32:33]
	v_div_fmas_f64 v[24:25], v[24:25], v[26:27], v[30:31]
	v_div_fixup_f64 v[26:27], v[24:25], v[22:23], 1.0
	v_mul_f64 v[28:29], v[28:29], -v[26:27]
.LBB9_7:
	s_or_b64 exec, exec, s[4:5]
	ds_write2_b64 v1, v[26:27], v[28:29] offset1:1
.LBB9_8:
	s_or_b64 exec, exec, s[6:7]
	s_waitcnt vmcnt(0) lgkmcnt(0)
	s_barrier
	ds_read2_b64 v[22:25], v1 offset1:1
	s_and_saveexec_b64 s[4:5], s[2:3]
	s_cbranch_execz .LBB9_10
; %bb.9:
	s_waitcnt lgkmcnt(0)
	v_mul_f64 v[26:27], v[22:23], v[20:21]
	v_mul_f64 v[20:21], v[24:25], v[20:21]
	v_fma_f64 v[30:31], v[24:25], v[18:19], v[26:27]
	ds_read2_b64 v[26:29], v54 offset0:2 offset1:3
	v_fma_f64 v[18:19], v[22:23], v[18:19], -v[20:21]
	s_waitcnt lgkmcnt(0)
	v_mul_f64 v[20:21], v[28:29], v[30:31]
	v_fma_f64 v[20:21], v[26:27], v[18:19], -v[20:21]
	v_mul_f64 v[26:27], v[26:27], v[30:31]
	v_add_f64 v[14:15], v[14:15], -v[20:21]
	v_fma_f64 v[26:27], v[28:29], v[18:19], v[26:27]
	v_add_f64 v[16:17], v[16:17], -v[26:27]
	ds_read2_b64 v[26:29], v54 offset0:4 offset1:5
	s_waitcnt lgkmcnt(0)
	v_mul_f64 v[20:21], v[28:29], v[30:31]
	v_fma_f64 v[20:21], v[26:27], v[18:19], -v[20:21]
	v_mul_f64 v[26:27], v[26:27], v[30:31]
	v_add_f64 v[10:11], v[10:11], -v[20:21]
	v_fma_f64 v[26:27], v[28:29], v[18:19], v[26:27]
	v_add_f64 v[12:13], v[12:13], -v[26:27]
	ds_read2_b64 v[26:29], v54 offset0:6 offset1:7
	;; [unrolled: 8-line block ×3, first 2 shown]
	s_waitcnt lgkmcnt(0)
	v_mul_f64 v[20:21], v[28:29], v[30:31]
	v_fma_f64 v[20:21], v[26:27], v[18:19], -v[20:21]
	v_mul_f64 v[26:27], v[26:27], v[30:31]
	v_add_f64 v[6:7], v[6:7], -v[20:21]
	v_fma_f64 v[26:27], v[28:29], v[18:19], v[26:27]
	v_mov_b32_e32 v20, v30
	v_mov_b32_e32 v21, v31
	v_add_f64 v[8:9], v[8:9], -v[26:27]
.LBB9_10:
	s_or_b64 exec, exec, s[4:5]
	v_cmp_eq_u32_e32 vcc, 1, v0
	s_waitcnt lgkmcnt(0)
	s_barrier
	s_and_saveexec_b64 s[4:5], vcc
	s_cbranch_execz .LBB9_17
; %bb.11:
	ds_write2_b64 v1, v[14:15], v[16:17] offset1:1
	ds_write2_b64 v54, v[10:11], v[12:13] offset0:4 offset1:5
	ds_write2_b64 v54, v[2:3], v[4:5] offset0:6 offset1:7
	;; [unrolled: 1-line block ×3, first 2 shown]
	ds_read2_b64 v[26:29], v1 offset1:1
	s_waitcnt lgkmcnt(0)
	v_cmp_neq_f64_e32 vcc, 0, v[26:27]
	v_cmp_neq_f64_e64 s[2:3], 0, v[28:29]
	s_or_b64 s[2:3], vcc, s[2:3]
	s_and_b64 exec, exec, s[2:3]
	s_cbranch_execz .LBB9_17
; %bb.12:
	v_cmp_ngt_f64_e64 s[2:3], |v[26:27]|, |v[28:29]|
                                        ; implicit-def: $vgpr30_vgpr31
	s_and_saveexec_b64 s[6:7], s[2:3]
	s_xor_b64 s[2:3], exec, s[6:7]
                                        ; implicit-def: $vgpr32_vgpr33
	s_cbranch_execz .LBB9_14
; %bb.13:
	v_div_scale_f64 v[30:31], s[6:7], v[28:29], v[28:29], v[26:27]
	v_rcp_f64_e32 v[32:33], v[30:31]
	v_fma_f64 v[34:35], -v[30:31], v[32:33], 1.0
	v_fma_f64 v[32:33], v[32:33], v[34:35], v[32:33]
	v_div_scale_f64 v[34:35], vcc, v[26:27], v[28:29], v[26:27]
	v_fma_f64 v[36:37], -v[30:31], v[32:33], 1.0
	v_fma_f64 v[32:33], v[32:33], v[36:37], v[32:33]
	v_mul_f64 v[36:37], v[34:35], v[32:33]
	v_fma_f64 v[30:31], -v[30:31], v[36:37], v[34:35]
	v_div_fmas_f64 v[30:31], v[30:31], v[32:33], v[36:37]
	v_div_fixup_f64 v[30:31], v[30:31], v[28:29], v[26:27]
	v_fma_f64 v[26:27], v[26:27], v[30:31], v[28:29]
	v_div_scale_f64 v[28:29], s[6:7], v[26:27], v[26:27], 1.0
	v_div_scale_f64 v[36:37], vcc, 1.0, v[26:27], 1.0
	v_rcp_f64_e32 v[32:33], v[28:29]
	v_fma_f64 v[34:35], -v[28:29], v[32:33], 1.0
	v_fma_f64 v[32:33], v[32:33], v[34:35], v[32:33]
	v_fma_f64 v[34:35], -v[28:29], v[32:33], 1.0
	v_fma_f64 v[32:33], v[32:33], v[34:35], v[32:33]
	v_mul_f64 v[34:35], v[36:37], v[32:33]
	v_fma_f64 v[28:29], -v[28:29], v[34:35], v[36:37]
	v_div_fmas_f64 v[28:29], v[28:29], v[32:33], v[34:35]
	v_div_fixup_f64 v[32:33], v[28:29], v[26:27], 1.0
                                        ; implicit-def: $vgpr26_vgpr27
	v_mul_f64 v[30:31], v[30:31], v[32:33]
	v_xor_b32_e32 v33, 0x80000000, v33
.LBB9_14:
	s_andn2_saveexec_b64 s[2:3], s[2:3]
	s_cbranch_execz .LBB9_16
; %bb.15:
	v_div_scale_f64 v[30:31], s[6:7], v[26:27], v[26:27], v[28:29]
	v_rcp_f64_e32 v[32:33], v[30:31]
	v_fma_f64 v[34:35], -v[30:31], v[32:33], 1.0
	v_fma_f64 v[32:33], v[32:33], v[34:35], v[32:33]
	v_div_scale_f64 v[34:35], vcc, v[28:29], v[26:27], v[28:29]
	v_fma_f64 v[36:37], -v[30:31], v[32:33], 1.0
	v_fma_f64 v[32:33], v[32:33], v[36:37], v[32:33]
	v_mul_f64 v[36:37], v[34:35], v[32:33]
	v_fma_f64 v[30:31], -v[30:31], v[36:37], v[34:35]
	v_div_fmas_f64 v[30:31], v[30:31], v[32:33], v[36:37]
	v_div_fixup_f64 v[32:33], v[30:31], v[26:27], v[28:29]
	v_fma_f64 v[26:27], v[28:29], v[32:33], v[26:27]
	v_div_scale_f64 v[28:29], s[6:7], v[26:27], v[26:27], 1.0
	v_div_scale_f64 v[36:37], vcc, 1.0, v[26:27], 1.0
	v_rcp_f64_e32 v[30:31], v[28:29]
	v_fma_f64 v[34:35], -v[28:29], v[30:31], 1.0
	v_fma_f64 v[30:31], v[30:31], v[34:35], v[30:31]
	v_fma_f64 v[34:35], -v[28:29], v[30:31], 1.0
	v_fma_f64 v[30:31], v[30:31], v[34:35], v[30:31]
	v_mul_f64 v[34:35], v[36:37], v[30:31]
	v_fma_f64 v[28:29], -v[28:29], v[34:35], v[36:37]
	v_div_fmas_f64 v[28:29], v[28:29], v[30:31], v[34:35]
	v_div_fixup_f64 v[30:31], v[28:29], v[26:27], 1.0
	v_mul_f64 v[32:33], v[32:33], -v[30:31]
.LBB9_16:
	s_or_b64 exec, exec, s[2:3]
	ds_write2_b64 v1, v[30:31], v[32:33] offset1:1
.LBB9_17:
	s_or_b64 exec, exec, s[4:5]
	s_waitcnt lgkmcnt(0)
	s_barrier
	ds_read2_b64 v[26:29], v1 offset1:1
	v_cmp_lt_u32_e32 vcc, 1, v0
	s_and_saveexec_b64 s[2:3], vcc
	s_cbranch_execz .LBB9_19
; %bb.18:
	s_waitcnt lgkmcnt(0)
	v_mul_f64 v[30:31], v[26:27], v[16:17]
	v_mul_f64 v[16:17], v[28:29], v[16:17]
	v_fma_f64 v[34:35], v[28:29], v[14:15], v[30:31]
	ds_read2_b64 v[30:33], v54 offset0:4 offset1:5
	v_fma_f64 v[14:15], v[26:27], v[14:15], -v[16:17]
	s_waitcnt lgkmcnt(0)
	v_mul_f64 v[16:17], v[32:33], v[34:35]
	v_fma_f64 v[16:17], v[30:31], v[14:15], -v[16:17]
	v_mul_f64 v[30:31], v[30:31], v[34:35]
	v_add_f64 v[10:11], v[10:11], -v[16:17]
	v_fma_f64 v[30:31], v[32:33], v[14:15], v[30:31]
	v_add_f64 v[12:13], v[12:13], -v[30:31]
	ds_read2_b64 v[30:33], v54 offset0:6 offset1:7
	s_waitcnt lgkmcnt(0)
	v_mul_f64 v[16:17], v[32:33], v[34:35]
	v_fma_f64 v[16:17], v[30:31], v[14:15], -v[16:17]
	v_mul_f64 v[30:31], v[30:31], v[34:35]
	v_add_f64 v[2:3], v[2:3], -v[16:17]
	v_fma_f64 v[30:31], v[32:33], v[14:15], v[30:31]
	v_add_f64 v[4:5], v[4:5], -v[30:31]
	ds_read2_b64 v[30:33], v54 offset0:8 offset1:9
	s_waitcnt lgkmcnt(0)
	v_mul_f64 v[16:17], v[32:33], v[34:35]
	v_fma_f64 v[16:17], v[30:31], v[14:15], -v[16:17]
	v_mul_f64 v[30:31], v[30:31], v[34:35]
	v_add_f64 v[6:7], v[6:7], -v[16:17]
	v_fma_f64 v[30:31], v[32:33], v[14:15], v[30:31]
	v_mov_b32_e32 v16, v34
	v_mov_b32_e32 v17, v35
	v_add_f64 v[8:9], v[8:9], -v[30:31]
.LBB9_19:
	s_or_b64 exec, exec, s[2:3]
	v_cmp_eq_u32_e32 vcc, 2, v0
	s_waitcnt lgkmcnt(0)
	s_barrier
	s_and_saveexec_b64 s[4:5], vcc
	s_cbranch_execz .LBB9_26
; %bb.20:
	ds_write2_b64 v1, v[10:11], v[12:13] offset1:1
	ds_write2_b64 v54, v[2:3], v[4:5] offset0:6 offset1:7
	ds_write2_b64 v54, v[6:7], v[8:9] offset0:8 offset1:9
	ds_read2_b64 v[30:33], v1 offset1:1
	s_waitcnt lgkmcnt(0)
	v_cmp_neq_f64_e32 vcc, 0, v[30:31]
	v_cmp_neq_f64_e64 s[2:3], 0, v[32:33]
	s_or_b64 s[2:3], vcc, s[2:3]
	s_and_b64 exec, exec, s[2:3]
	s_cbranch_execz .LBB9_26
; %bb.21:
	v_cmp_ngt_f64_e64 s[2:3], |v[30:31]|, |v[32:33]|
                                        ; implicit-def: $vgpr34_vgpr35
	s_and_saveexec_b64 s[6:7], s[2:3]
	s_xor_b64 s[2:3], exec, s[6:7]
                                        ; implicit-def: $vgpr36_vgpr37
	s_cbranch_execz .LBB9_23
; %bb.22:
	v_div_scale_f64 v[34:35], s[6:7], v[32:33], v[32:33], v[30:31]
	v_rcp_f64_e32 v[36:37], v[34:35]
	v_fma_f64 v[38:39], -v[34:35], v[36:37], 1.0
	v_fma_f64 v[36:37], v[36:37], v[38:39], v[36:37]
	v_div_scale_f64 v[38:39], vcc, v[30:31], v[32:33], v[30:31]
	v_fma_f64 v[40:41], -v[34:35], v[36:37], 1.0
	v_fma_f64 v[36:37], v[36:37], v[40:41], v[36:37]
	v_mul_f64 v[40:41], v[38:39], v[36:37]
	v_fma_f64 v[34:35], -v[34:35], v[40:41], v[38:39]
	v_div_fmas_f64 v[34:35], v[34:35], v[36:37], v[40:41]
	v_div_fixup_f64 v[34:35], v[34:35], v[32:33], v[30:31]
	v_fma_f64 v[30:31], v[30:31], v[34:35], v[32:33]
	v_div_scale_f64 v[32:33], s[6:7], v[30:31], v[30:31], 1.0
	v_div_scale_f64 v[40:41], vcc, 1.0, v[30:31], 1.0
	v_rcp_f64_e32 v[36:37], v[32:33]
	v_fma_f64 v[38:39], -v[32:33], v[36:37], 1.0
	v_fma_f64 v[36:37], v[36:37], v[38:39], v[36:37]
	v_fma_f64 v[38:39], -v[32:33], v[36:37], 1.0
	v_fma_f64 v[36:37], v[36:37], v[38:39], v[36:37]
	v_mul_f64 v[38:39], v[40:41], v[36:37]
	v_fma_f64 v[32:33], -v[32:33], v[38:39], v[40:41]
	v_div_fmas_f64 v[32:33], v[32:33], v[36:37], v[38:39]
	v_div_fixup_f64 v[36:37], v[32:33], v[30:31], 1.0
                                        ; implicit-def: $vgpr30_vgpr31
	v_mul_f64 v[34:35], v[34:35], v[36:37]
	v_xor_b32_e32 v37, 0x80000000, v37
.LBB9_23:
	s_andn2_saveexec_b64 s[2:3], s[2:3]
	s_cbranch_execz .LBB9_25
; %bb.24:
	v_div_scale_f64 v[34:35], s[6:7], v[30:31], v[30:31], v[32:33]
	v_rcp_f64_e32 v[36:37], v[34:35]
	v_fma_f64 v[38:39], -v[34:35], v[36:37], 1.0
	v_fma_f64 v[36:37], v[36:37], v[38:39], v[36:37]
	v_div_scale_f64 v[38:39], vcc, v[32:33], v[30:31], v[32:33]
	v_fma_f64 v[40:41], -v[34:35], v[36:37], 1.0
	v_fma_f64 v[36:37], v[36:37], v[40:41], v[36:37]
	v_mul_f64 v[40:41], v[38:39], v[36:37]
	v_fma_f64 v[34:35], -v[34:35], v[40:41], v[38:39]
	v_div_fmas_f64 v[34:35], v[34:35], v[36:37], v[40:41]
	v_div_fixup_f64 v[36:37], v[34:35], v[30:31], v[32:33]
	v_fma_f64 v[30:31], v[32:33], v[36:37], v[30:31]
	v_div_scale_f64 v[32:33], s[6:7], v[30:31], v[30:31], 1.0
	v_div_scale_f64 v[40:41], vcc, 1.0, v[30:31], 1.0
	v_rcp_f64_e32 v[34:35], v[32:33]
	v_fma_f64 v[38:39], -v[32:33], v[34:35], 1.0
	v_fma_f64 v[34:35], v[34:35], v[38:39], v[34:35]
	v_fma_f64 v[38:39], -v[32:33], v[34:35], 1.0
	v_fma_f64 v[34:35], v[34:35], v[38:39], v[34:35]
	v_mul_f64 v[38:39], v[40:41], v[34:35]
	v_fma_f64 v[32:33], -v[32:33], v[38:39], v[40:41]
	v_div_fmas_f64 v[32:33], v[32:33], v[34:35], v[38:39]
	v_div_fixup_f64 v[34:35], v[32:33], v[30:31], 1.0
	v_mul_f64 v[36:37], v[36:37], -v[34:35]
.LBB9_25:
	s_or_b64 exec, exec, s[2:3]
	ds_write2_b64 v1, v[34:35], v[36:37] offset1:1
.LBB9_26:
	s_or_b64 exec, exec, s[4:5]
	s_waitcnt lgkmcnt(0)
	s_barrier
	ds_read2_b64 v[30:33], v1 offset1:1
	v_cmp_lt_u32_e32 vcc, 2, v0
	s_and_saveexec_b64 s[2:3], vcc
	s_cbranch_execz .LBB9_28
; %bb.27:
	s_waitcnt lgkmcnt(0)
	v_mul_f64 v[34:35], v[30:31], v[12:13]
	v_mul_f64 v[12:13], v[32:33], v[12:13]
	v_fma_f64 v[38:39], v[32:33], v[10:11], v[34:35]
	ds_read2_b64 v[34:37], v54 offset0:6 offset1:7
	v_fma_f64 v[10:11], v[30:31], v[10:11], -v[12:13]
	s_waitcnt lgkmcnt(0)
	v_mul_f64 v[12:13], v[36:37], v[38:39]
	v_fma_f64 v[12:13], v[34:35], v[10:11], -v[12:13]
	v_mul_f64 v[34:35], v[34:35], v[38:39]
	v_add_f64 v[2:3], v[2:3], -v[12:13]
	v_fma_f64 v[34:35], v[36:37], v[10:11], v[34:35]
	v_add_f64 v[4:5], v[4:5], -v[34:35]
	ds_read2_b64 v[34:37], v54 offset0:8 offset1:9
	s_waitcnt lgkmcnt(0)
	v_mul_f64 v[12:13], v[36:37], v[38:39]
	v_fma_f64 v[12:13], v[34:35], v[10:11], -v[12:13]
	v_mul_f64 v[34:35], v[34:35], v[38:39]
	v_add_f64 v[6:7], v[6:7], -v[12:13]
	v_fma_f64 v[34:35], v[36:37], v[10:11], v[34:35]
	v_mov_b32_e32 v12, v38
	v_mov_b32_e32 v13, v39
	v_add_f64 v[8:9], v[8:9], -v[34:35]
.LBB9_28:
	s_or_b64 exec, exec, s[2:3]
	v_cmp_eq_u32_e32 vcc, 3, v0
	s_waitcnt lgkmcnt(0)
	s_barrier
	s_and_saveexec_b64 s[4:5], vcc
	s_cbranch_execz .LBB9_35
; %bb.29:
	ds_write2_b64 v1, v[2:3], v[4:5] offset1:1
	ds_write2_b64 v54, v[6:7], v[8:9] offset0:8 offset1:9
	ds_read2_b64 v[34:37], v1 offset1:1
	s_waitcnt lgkmcnt(0)
	v_cmp_neq_f64_e32 vcc, 0, v[34:35]
	v_cmp_neq_f64_e64 s[2:3], 0, v[36:37]
	s_or_b64 s[2:3], vcc, s[2:3]
	s_and_b64 exec, exec, s[2:3]
	s_cbranch_execz .LBB9_35
; %bb.30:
	v_cmp_ngt_f64_e64 s[2:3], |v[34:35]|, |v[36:37]|
                                        ; implicit-def: $vgpr38_vgpr39
	s_and_saveexec_b64 s[6:7], s[2:3]
	s_xor_b64 s[2:3], exec, s[6:7]
                                        ; implicit-def: $vgpr40_vgpr41
	s_cbranch_execz .LBB9_32
; %bb.31:
	v_div_scale_f64 v[38:39], s[6:7], v[36:37], v[36:37], v[34:35]
	v_rcp_f64_e32 v[40:41], v[38:39]
	v_fma_f64 v[55:56], -v[38:39], v[40:41], 1.0
	v_fma_f64 v[40:41], v[40:41], v[55:56], v[40:41]
	v_div_scale_f64 v[55:56], vcc, v[34:35], v[36:37], v[34:35]
	v_fma_f64 v[57:58], -v[38:39], v[40:41], 1.0
	v_fma_f64 v[40:41], v[40:41], v[57:58], v[40:41]
	v_mul_f64 v[57:58], v[55:56], v[40:41]
	v_fma_f64 v[38:39], -v[38:39], v[57:58], v[55:56]
	v_div_fmas_f64 v[38:39], v[38:39], v[40:41], v[57:58]
	v_div_fixup_f64 v[38:39], v[38:39], v[36:37], v[34:35]
	v_fma_f64 v[34:35], v[34:35], v[38:39], v[36:37]
	v_div_scale_f64 v[36:37], s[6:7], v[34:35], v[34:35], 1.0
	v_div_scale_f64 v[57:58], vcc, 1.0, v[34:35], 1.0
	v_rcp_f64_e32 v[40:41], v[36:37]
	v_fma_f64 v[55:56], -v[36:37], v[40:41], 1.0
	v_fma_f64 v[40:41], v[40:41], v[55:56], v[40:41]
	v_fma_f64 v[55:56], -v[36:37], v[40:41], 1.0
	v_fma_f64 v[40:41], v[40:41], v[55:56], v[40:41]
	v_mul_f64 v[55:56], v[57:58], v[40:41]
	v_fma_f64 v[36:37], -v[36:37], v[55:56], v[57:58]
	v_div_fmas_f64 v[36:37], v[36:37], v[40:41], v[55:56]
	v_div_fixup_f64 v[40:41], v[36:37], v[34:35], 1.0
                                        ; implicit-def: $vgpr34_vgpr35
	v_mul_f64 v[38:39], v[38:39], v[40:41]
	v_xor_b32_e32 v41, 0x80000000, v41
.LBB9_32:
	s_andn2_saveexec_b64 s[2:3], s[2:3]
	s_cbranch_execz .LBB9_34
; %bb.33:
	v_div_scale_f64 v[38:39], s[6:7], v[34:35], v[34:35], v[36:37]
	v_rcp_f64_e32 v[40:41], v[38:39]
	v_fma_f64 v[55:56], -v[38:39], v[40:41], 1.0
	v_fma_f64 v[40:41], v[40:41], v[55:56], v[40:41]
	v_div_scale_f64 v[55:56], vcc, v[36:37], v[34:35], v[36:37]
	v_fma_f64 v[57:58], -v[38:39], v[40:41], 1.0
	v_fma_f64 v[40:41], v[40:41], v[57:58], v[40:41]
	v_mul_f64 v[57:58], v[55:56], v[40:41]
	v_fma_f64 v[38:39], -v[38:39], v[57:58], v[55:56]
	v_div_fmas_f64 v[38:39], v[38:39], v[40:41], v[57:58]
	v_div_fixup_f64 v[40:41], v[38:39], v[34:35], v[36:37]
	v_fma_f64 v[34:35], v[36:37], v[40:41], v[34:35]
	v_div_scale_f64 v[36:37], s[6:7], v[34:35], v[34:35], 1.0
	v_div_scale_f64 v[57:58], vcc, 1.0, v[34:35], 1.0
	v_rcp_f64_e32 v[38:39], v[36:37]
	v_fma_f64 v[55:56], -v[36:37], v[38:39], 1.0
	v_fma_f64 v[38:39], v[38:39], v[55:56], v[38:39]
	v_fma_f64 v[55:56], -v[36:37], v[38:39], 1.0
	v_fma_f64 v[38:39], v[38:39], v[55:56], v[38:39]
	v_mul_f64 v[55:56], v[57:58], v[38:39]
	v_fma_f64 v[36:37], -v[36:37], v[55:56], v[57:58]
	v_div_fmas_f64 v[36:37], v[36:37], v[38:39], v[55:56]
	v_div_fixup_f64 v[38:39], v[36:37], v[34:35], 1.0
	v_mul_f64 v[40:41], v[40:41], -v[38:39]
.LBB9_34:
	s_or_b64 exec, exec, s[2:3]
	ds_write2_b64 v1, v[38:39], v[40:41] offset1:1
.LBB9_35:
	s_or_b64 exec, exec, s[4:5]
	s_waitcnt lgkmcnt(0)
	s_barrier
	ds_read2_b64 v[34:37], v1 offset1:1
	v_cmp_lt_u32_e32 vcc, 3, v0
	s_and_saveexec_b64 s[2:3], vcc
	s_cbranch_execz .LBB9_37
; %bb.36:
	s_waitcnt lgkmcnt(0)
	v_mul_f64 v[38:39], v[34:35], v[4:5]
	v_mul_f64 v[4:5], v[36:37], v[4:5]
	v_fma_f64 v[55:56], v[36:37], v[2:3], v[38:39]
	ds_read2_b64 v[38:41], v54 offset0:8 offset1:9
	v_fma_f64 v[2:3], v[34:35], v[2:3], -v[4:5]
	s_waitcnt lgkmcnt(0)
	v_mul_f64 v[4:5], v[40:41], v[55:56]
	v_mul_f64 v[57:58], v[38:39], v[55:56]
	v_fma_f64 v[4:5], v[38:39], v[2:3], -v[4:5]
	v_fma_f64 v[38:39], v[40:41], v[2:3], v[57:58]
	v_add_f64 v[6:7], v[6:7], -v[4:5]
	v_add_f64 v[8:9], v[8:9], -v[38:39]
	v_mov_b32_e32 v4, v55
	v_mov_b32_e32 v5, v56
.LBB9_37:
	s_or_b64 exec, exec, s[2:3]
	v_cmp_eq_u32_e32 vcc, 4, v0
	s_waitcnt lgkmcnt(0)
	s_barrier
	s_and_saveexec_b64 s[4:5], vcc
	s_cbranch_execz .LBB9_44
; %bb.38:
	v_cmp_neq_f64_e32 vcc, 0, v[6:7]
	v_cmp_neq_f64_e64 s[2:3], 0, v[8:9]
	ds_write2_b64 v1, v[6:7], v[8:9] offset1:1
	s_or_b64 s[2:3], vcc, s[2:3]
	s_and_b64 exec, exec, s[2:3]
	s_cbranch_execz .LBB9_44
; %bb.39:
	v_cmp_ngt_f64_e64 s[2:3], |v[6:7]|, |v[8:9]|
                                        ; implicit-def: $vgpr38_vgpr39
	s_and_saveexec_b64 s[6:7], s[2:3]
	s_xor_b64 s[2:3], exec, s[6:7]
                                        ; implicit-def: $vgpr40_vgpr41
	s_cbranch_execz .LBB9_41
; %bb.40:
	v_div_scale_f64 v[38:39], s[6:7], v[8:9], v[8:9], v[6:7]
	v_rcp_f64_e32 v[40:41], v[38:39]
	v_fma_f64 v[54:55], -v[38:39], v[40:41], 1.0
	v_fma_f64 v[40:41], v[40:41], v[54:55], v[40:41]
	v_div_scale_f64 v[54:55], vcc, v[6:7], v[8:9], v[6:7]
	v_fma_f64 v[56:57], -v[38:39], v[40:41], 1.0
	v_fma_f64 v[40:41], v[40:41], v[56:57], v[40:41]
	v_mul_f64 v[56:57], v[54:55], v[40:41]
	v_fma_f64 v[38:39], -v[38:39], v[56:57], v[54:55]
	v_div_fmas_f64 v[38:39], v[38:39], v[40:41], v[56:57]
	v_div_fixup_f64 v[38:39], v[38:39], v[8:9], v[6:7]
	v_fma_f64 v[40:41], v[6:7], v[38:39], v[8:9]
	v_div_scale_f64 v[54:55], s[6:7], v[40:41], v[40:41], 1.0
	v_div_scale_f64 v[60:61], vcc, 1.0, v[40:41], 1.0
	v_rcp_f64_e32 v[56:57], v[54:55]
	v_fma_f64 v[58:59], -v[54:55], v[56:57], 1.0
	v_fma_f64 v[56:57], v[56:57], v[58:59], v[56:57]
	v_fma_f64 v[58:59], -v[54:55], v[56:57], 1.0
	v_fma_f64 v[56:57], v[56:57], v[58:59], v[56:57]
	v_mul_f64 v[58:59], v[60:61], v[56:57]
	v_fma_f64 v[54:55], -v[54:55], v[58:59], v[60:61]
	v_div_fmas_f64 v[54:55], v[54:55], v[56:57], v[58:59]
	v_div_fixup_f64 v[40:41], v[54:55], v[40:41], 1.0
	v_mul_f64 v[38:39], v[38:39], v[40:41]
	v_xor_b32_e32 v41, 0x80000000, v41
.LBB9_41:
	s_andn2_saveexec_b64 s[2:3], s[2:3]
	s_cbranch_execz .LBB9_43
; %bb.42:
	v_div_scale_f64 v[38:39], s[6:7], v[6:7], v[6:7], v[8:9]
	v_rcp_f64_e32 v[40:41], v[38:39]
	v_fma_f64 v[54:55], -v[38:39], v[40:41], 1.0
	v_fma_f64 v[40:41], v[40:41], v[54:55], v[40:41]
	v_div_scale_f64 v[54:55], vcc, v[8:9], v[6:7], v[8:9]
	v_fma_f64 v[56:57], -v[38:39], v[40:41], 1.0
	v_fma_f64 v[40:41], v[40:41], v[56:57], v[40:41]
	v_mul_f64 v[56:57], v[54:55], v[40:41]
	v_fma_f64 v[38:39], -v[38:39], v[56:57], v[54:55]
	v_div_fmas_f64 v[38:39], v[38:39], v[40:41], v[56:57]
	v_div_fixup_f64 v[40:41], v[38:39], v[6:7], v[8:9]
	v_fma_f64 v[38:39], v[8:9], v[40:41], v[6:7]
	v_div_scale_f64 v[54:55], s[6:7], v[38:39], v[38:39], 1.0
	v_div_scale_f64 v[60:61], vcc, 1.0, v[38:39], 1.0
	v_rcp_f64_e32 v[56:57], v[54:55]
	v_fma_f64 v[58:59], -v[54:55], v[56:57], 1.0
	v_fma_f64 v[56:57], v[56:57], v[58:59], v[56:57]
	v_fma_f64 v[58:59], -v[54:55], v[56:57], 1.0
	v_fma_f64 v[56:57], v[56:57], v[58:59], v[56:57]
	v_mul_f64 v[58:59], v[60:61], v[56:57]
	v_fma_f64 v[54:55], -v[54:55], v[58:59], v[60:61]
	v_div_fmas_f64 v[54:55], v[54:55], v[56:57], v[58:59]
	v_div_fixup_f64 v[38:39], v[54:55], v[38:39], 1.0
	v_mul_f64 v[40:41], v[40:41], -v[38:39]
.LBB9_43:
	s_or_b64 exec, exec, s[2:3]
	ds_write2_b64 v1, v[38:39], v[40:41] offset1:1
.LBB9_44:
	s_or_b64 exec, exec, s[4:5]
	s_waitcnt lgkmcnt(0)
	s_barrier
	ds_read2_b64 v[38:41], v1 offset1:1
	s_waitcnt lgkmcnt(0)
	s_barrier
	s_and_saveexec_b64 s[20:21], s[0:1]
	s_cbranch_execz .LBB9_47
; %bb.45:
	v_lshlrev_b64 v[48:49], 2, v[48:49]
	v_mov_b32_e32 v1, s11
	v_add_co_u32_e32 v48, vcc, s10, v48
	v_addc_co_u32_e32 v49, vcc, v1, v49, vcc
	global_load_dword v54, v[48:49], off
	v_cmp_eq_f64_e32 vcc, 0, v[22:23]
	v_cmp_eq_f64_e64 s[0:1], 0, v[24:25]
	v_cmp_neq_f64_e64 s[2:3], 0, v[26:27]
	v_cmp_neq_f64_e64 s[4:5], 0, v[28:29]
	v_cmp_eq_f64_e64 s[6:7], 0, v[30:31]
	v_cmp_eq_f64_e64 s[8:9], 0, v[32:33]
	;; [unrolled: 1-line block ×5, first 2 shown]
	s_and_b64 s[0:1], vcc, s[0:1]
	v_cmp_eq_f64_e64 s[16:17], 0, v[40:41]
	s_or_b64 s[2:3], s[2:3], s[4:5]
	v_cndmask_b32_e64 v1, 0, 1, s[0:1]
	s_or_b64 vcc, s[2:3], s[0:1]
	v_cndmask_b32_e32 v1, 2, v1, vcc
	s_and_b64 s[4:5], s[6:7], s[8:9]
	v_cmp_eq_u32_e32 vcc, 0, v1
	s_and_b64 s[0:1], s[4:5], vcc
	v_cndmask_b32_e64 v1, v1, 3, s[0:1]
	s_and_b64 s[6:7], s[10:11], s[12:13]
	v_cmp_eq_u32_e32 vcc, 0, v1
	s_and_b64 s[0:1], s[6:7], vcc
	v_cndmask_b32_e64 v1, v1, 4, s[0:1]
	s_and_b64 s[8:9], s[14:15], s[16:17]
	v_cmp_eq_u32_e32 vcc, 0, v1
	s_and_b64 s[0:1], s[8:9], vcc
	v_cndmask_b32_e64 v1, v1, 5, s[0:1]
	v_cmp_ne_u32_e64 s[0:1], 0, v1
	s_waitcnt vmcnt(0)
	v_cmp_eq_u32_e32 vcc, 0, v54
	s_and_b64 s[0:1], vcc, s[0:1]
	s_and_b64 exec, exec, s[0:1]
	s_cbranch_execz .LBB9_47
; %bb.46:
	v_add_u32_e32 v1, s19, v1
	global_store_dword v[48:49], v1, off
.LBB9_47:
	s_or_b64 exec, exec, s[20:21]
	v_mul_f64 v[22:23], v[38:39], v[8:9]
	v_mul_f64 v[24:25], v[40:41], v[8:9]
	v_cmp_lt_u32_e32 vcc, 4, v0
	global_store_dwordx4 v[42:43], v[18:21], off
	global_store_dwordx4 v[44:45], v[14:17], off
	;; [unrolled: 1-line block ×3, first 2 shown]
	v_fma_f64 v[22:23], v[40:41], v[6:7], v[22:23]
	v_fma_f64 v[24:25], v[38:39], v[6:7], -v[24:25]
	v_cndmask_b32_e32 v9, v9, v23, vcc
	v_cndmask_b32_e32 v8, v8, v22, vcc
	;; [unrolled: 1-line block ×4, first 2 shown]
	global_store_dwordx4 v[50:51], v[2:5], off
	global_store_dwordx4 v[52:53], v[6:9], off
.LBB9_48:
	s_endpgm
	.section	.rodata,"a",@progbits
	.p2align	6, 0x0
	.amdhsa_kernel _ZN9rocsolver6v33100L23getf2_npvt_small_kernelILi5E19rocblas_complex_numIdEiiPS3_EEvT1_T3_lS5_lPT2_S5_S5_
		.amdhsa_group_segment_fixed_size 0
		.amdhsa_private_segment_fixed_size 0
		.amdhsa_kernarg_size 312
		.amdhsa_user_sgpr_count 6
		.amdhsa_user_sgpr_private_segment_buffer 1
		.amdhsa_user_sgpr_dispatch_ptr 0
		.amdhsa_user_sgpr_queue_ptr 0
		.amdhsa_user_sgpr_kernarg_segment_ptr 1
		.amdhsa_user_sgpr_dispatch_id 0
		.amdhsa_user_sgpr_flat_scratch_init 0
		.amdhsa_user_sgpr_private_segment_size 0
		.amdhsa_uses_dynamic_stack 0
		.amdhsa_system_sgpr_private_segment_wavefront_offset 0
		.amdhsa_system_sgpr_workgroup_id_x 1
		.amdhsa_system_sgpr_workgroup_id_y 1
		.amdhsa_system_sgpr_workgroup_id_z 0
		.amdhsa_system_sgpr_workgroup_info 0
		.amdhsa_system_vgpr_workitem_id 1
		.amdhsa_next_free_vgpr 62
		.amdhsa_next_free_sgpr 22
		.amdhsa_reserve_vcc 1
		.amdhsa_reserve_flat_scratch 0
		.amdhsa_float_round_mode_32 0
		.amdhsa_float_round_mode_16_64 0
		.amdhsa_float_denorm_mode_32 3
		.amdhsa_float_denorm_mode_16_64 3
		.amdhsa_dx10_clamp 1
		.amdhsa_ieee_mode 1
		.amdhsa_fp16_overflow 0
		.amdhsa_exception_fp_ieee_invalid_op 0
		.amdhsa_exception_fp_denorm_src 0
		.amdhsa_exception_fp_ieee_div_zero 0
		.amdhsa_exception_fp_ieee_overflow 0
		.amdhsa_exception_fp_ieee_underflow 0
		.amdhsa_exception_fp_ieee_inexact 0
		.amdhsa_exception_int_div_zero 0
	.end_amdhsa_kernel
	.section	.text._ZN9rocsolver6v33100L23getf2_npvt_small_kernelILi5E19rocblas_complex_numIdEiiPS3_EEvT1_T3_lS5_lPT2_S5_S5_,"axG",@progbits,_ZN9rocsolver6v33100L23getf2_npvt_small_kernelILi5E19rocblas_complex_numIdEiiPS3_EEvT1_T3_lS5_lPT2_S5_S5_,comdat
.Lfunc_end9:
	.size	_ZN9rocsolver6v33100L23getf2_npvt_small_kernelILi5E19rocblas_complex_numIdEiiPS3_EEvT1_T3_lS5_lPT2_S5_S5_, .Lfunc_end9-_ZN9rocsolver6v33100L23getf2_npvt_small_kernelILi5E19rocblas_complex_numIdEiiPS3_EEvT1_T3_lS5_lPT2_S5_S5_
                                        ; -- End function
	.set _ZN9rocsolver6v33100L23getf2_npvt_small_kernelILi5E19rocblas_complex_numIdEiiPS3_EEvT1_T3_lS5_lPT2_S5_S5_.num_vgpr, 62
	.set _ZN9rocsolver6v33100L23getf2_npvt_small_kernelILi5E19rocblas_complex_numIdEiiPS3_EEvT1_T3_lS5_lPT2_S5_S5_.num_agpr, 0
	.set _ZN9rocsolver6v33100L23getf2_npvt_small_kernelILi5E19rocblas_complex_numIdEiiPS3_EEvT1_T3_lS5_lPT2_S5_S5_.numbered_sgpr, 22
	.set _ZN9rocsolver6v33100L23getf2_npvt_small_kernelILi5E19rocblas_complex_numIdEiiPS3_EEvT1_T3_lS5_lPT2_S5_S5_.num_named_barrier, 0
	.set _ZN9rocsolver6v33100L23getf2_npvt_small_kernelILi5E19rocblas_complex_numIdEiiPS3_EEvT1_T3_lS5_lPT2_S5_S5_.private_seg_size, 0
	.set _ZN9rocsolver6v33100L23getf2_npvt_small_kernelILi5E19rocblas_complex_numIdEiiPS3_EEvT1_T3_lS5_lPT2_S5_S5_.uses_vcc, 1
	.set _ZN9rocsolver6v33100L23getf2_npvt_small_kernelILi5E19rocblas_complex_numIdEiiPS3_EEvT1_T3_lS5_lPT2_S5_S5_.uses_flat_scratch, 0
	.set _ZN9rocsolver6v33100L23getf2_npvt_small_kernelILi5E19rocblas_complex_numIdEiiPS3_EEvT1_T3_lS5_lPT2_S5_S5_.has_dyn_sized_stack, 0
	.set _ZN9rocsolver6v33100L23getf2_npvt_small_kernelILi5E19rocblas_complex_numIdEiiPS3_EEvT1_T3_lS5_lPT2_S5_S5_.has_recursion, 0
	.set _ZN9rocsolver6v33100L23getf2_npvt_small_kernelILi5E19rocblas_complex_numIdEiiPS3_EEvT1_T3_lS5_lPT2_S5_S5_.has_indirect_call, 0
	.section	.AMDGPU.csdata,"",@progbits
; Kernel info:
; codeLenInByte = 4092
; TotalNumSgprs: 26
; NumVgprs: 62
; ScratchSize: 0
; MemoryBound: 0
; FloatMode: 240
; IeeeMode: 1
; LDSByteSize: 0 bytes/workgroup (compile time only)
; SGPRBlocks: 3
; VGPRBlocks: 15
; NumSGPRsForWavesPerEU: 26
; NumVGPRsForWavesPerEU: 62
; Occupancy: 4
; WaveLimiterHint : 0
; COMPUTE_PGM_RSRC2:SCRATCH_EN: 0
; COMPUTE_PGM_RSRC2:USER_SGPR: 6
; COMPUTE_PGM_RSRC2:TRAP_HANDLER: 0
; COMPUTE_PGM_RSRC2:TGID_X_EN: 1
; COMPUTE_PGM_RSRC2:TGID_Y_EN: 1
; COMPUTE_PGM_RSRC2:TGID_Z_EN: 0
; COMPUTE_PGM_RSRC2:TIDIG_COMP_CNT: 1
	.section	.text._ZN9rocsolver6v33100L18getf2_small_kernelILi6E19rocblas_complex_numIdEiiPS3_EEvT1_T3_lS5_lPS5_llPT2_S5_S5_S7_l,"axG",@progbits,_ZN9rocsolver6v33100L18getf2_small_kernelILi6E19rocblas_complex_numIdEiiPS3_EEvT1_T3_lS5_lPS5_llPT2_S5_S5_S7_l,comdat
	.globl	_ZN9rocsolver6v33100L18getf2_small_kernelILi6E19rocblas_complex_numIdEiiPS3_EEvT1_T3_lS5_lPS5_llPT2_S5_S5_S7_l ; -- Begin function _ZN9rocsolver6v33100L18getf2_small_kernelILi6E19rocblas_complex_numIdEiiPS3_EEvT1_T3_lS5_lPS5_llPT2_S5_S5_S7_l
	.p2align	8
	.type	_ZN9rocsolver6v33100L18getf2_small_kernelILi6E19rocblas_complex_numIdEiiPS3_EEvT1_T3_lS5_lPS5_llPT2_S5_S5_S7_l,@function
_ZN9rocsolver6v33100L18getf2_small_kernelILi6E19rocblas_complex_numIdEiiPS3_EEvT1_T3_lS5_lPS5_llPT2_S5_S5_S7_l: ; @_ZN9rocsolver6v33100L18getf2_small_kernelILi6E19rocblas_complex_numIdEiiPS3_EEvT1_T3_lS5_lPS5_llPT2_S5_S5_S7_l
; %bb.0:
	s_load_dword s0, s[4:5], 0x6c
	s_load_dwordx2 s[16:17], s[4:5], 0x48
	s_waitcnt lgkmcnt(0)
	s_lshr_b32 s0, s0, 16
	s_mul_i32 s7, s7, s0
	v_add_u32_e32 v30, s7, v1
	v_cmp_gt_i32_e32 vcc, s16, v30
	s_and_saveexec_b64 s[0:1], vcc
	s_cbranch_execz .LBB10_127
; %bb.1:
	s_load_dwordx4 s[0:3], s[4:5], 0x50
	v_mov_b32_e32 v32, 0
	v_ashrrev_i32_e32 v31, 31, v30
	v_mov_b32_e32 v33, 0
	s_waitcnt lgkmcnt(0)
	s_cmp_eq_u64 s[0:1], 0
	s_cselect_b64 s[18:19], -1, 0
	s_and_b64 vcc, exec, s[18:19]
	s_cbranch_vccnz .LBB10_3
; %bb.2:
	v_mul_lo_u32 v4, s3, v30
	v_mul_lo_u32 v5, s2, v31
	v_mad_u64_u32 v[2:3], s[2:3], s2, v30, 0
	v_add3_u32 v3, v3, v5, v4
	v_lshlrev_b64 v[2:3], 2, v[2:3]
	v_mov_b32_e32 v4, s1
	v_add_co_u32_e32 v32, vcc, s0, v2
	v_addc_co_u32_e32 v33, vcc, v4, v3, vcc
.LBB10_3:
	s_load_dwordx8 s[8:15], s[4:5], 0x20
	s_load_dwordx4 s[0:3], s[4:5], 0x8
	v_lshlrev_b32_e32 v36, 4, v0
	s_load_dwordx2 s[20:21], s[4:5], 0x40
	s_waitcnt lgkmcnt(0)
	v_mul_lo_u32 v4, s9, v30
	v_mul_lo_u32 v5, s8, v31
	v_mad_u64_u32 v[2:3], s[6:7], s8, v30, 0
	s_load_dword s6, s[4:5], 0x18
	s_load_dword s16, s[4:5], 0x0
	v_mov_b32_e32 v6, s1
	v_add3_u32 v3, v3, v5, v4
	v_lshlrev_b64 v[2:3], 4, v[2:3]
	s_waitcnt lgkmcnt(0)
	s_ashr_i32 s7, s6, 31
	v_add_co_u32_e32 v2, vcc, s0, v2
	v_addc_co_u32_e32 v3, vcc, v6, v3, vcc
	s_lshl_b64 s[0:1], s[2:3], 4
	v_mov_b32_e32 v4, s1
	v_add_co_u32_e32 v37, vcc, s0, v2
	s_lshl_b64 s[8:9], s[6:7], 4
	s_add_i32 s7, s6, s6
	v_addc_co_u32_e32 v38, vcc, v3, v4, vcc
	v_add_u32_e32 v4, s7, v0
	v_ashrrev_i32_e32 v5, 31, v4
	v_add_co_u32_e32 v2, vcc, v37, v36
	v_lshlrev_b64 v[5:6], 4, v[4:5]
	v_addc_co_u32_e32 v3, vcc, 0, v38, vcc
	v_add_u32_e32 v4, s6, v4
	v_add_co_u32_e32 v26, vcc, v37, v5
	v_ashrrev_i32_e32 v5, 31, v4
	v_addc_co_u32_e32 v27, vcc, v38, v6, vcc
	v_lshlrev_b64 v[5:6], 4, v[4:5]
	v_add_u32_e32 v4, s6, v4
	v_add_co_u32_e32 v28, vcc, v37, v5
	v_ashrrev_i32_e32 v5, 31, v4
	v_addc_co_u32_e32 v29, vcc, v38, v6, vcc
	v_lshlrev_b64 v[5:6], 4, v[4:5]
	v_add_u32_e32 v4, s6, v4
	v_add_co_u32_e32 v34, vcc, v37, v5
	v_ashrrev_i32_e32 v5, 31, v4
	v_lshlrev_b64 v[4:5], 4, v[4:5]
	v_addc_co_u32_e32 v35, vcc, v38, v6, vcc
	v_add_co_u32_e32 v39, vcc, v37, v4
	v_addc_co_u32_e32 v40, vcc, v38, v5, vcc
	global_load_dwordx4 v[14:17], v[2:3], off
	v_mov_b32_e32 v7, s9
	v_add_co_u32_e32 v41, vcc, s8, v2
	v_addc_co_u32_e32 v42, vcc, v3, v7, vcc
	global_load_dwordx4 v[10:13], v[26:27], off
	global_load_dwordx4 v[6:9], v[28:29], off
	;; [unrolled: 1-line block ×5, first 2 shown]
	s_max_i32 s0, s16, 6
	v_mul_lo_u32 v34, s0, v1
	s_cmp_lt_i32 s16, 2
	v_lshl_add_u32 v1, v34, 4, 0
	v_add_u32_e32 v26, v1, v36
	v_lshlrev_b32_e32 v40, 4, v34
	v_mov_b32_e32 v34, 0
	s_waitcnt vmcnt(5)
	ds_write2_b64 v26, v[14:15], v[16:17] offset1:1
	s_waitcnt vmcnt(0) lgkmcnt(0)
	s_barrier
	ds_read2_b64 v[26:29], v1 offset1:1
	s_cbranch_scc1 .LBB10_6
; %bb.4:
	v_add3_u32 v35, v40, 0, 16
	s_mov_b32 s22, 1
	v_mov_b32_e32 v34, 0
.LBB10_5:                               ; =>This Inner Loop Header: Depth=1
	ds_read2_b64 v[41:44], v35 offset1:1
	s_waitcnt lgkmcnt(1)
	v_cmp_gt_f64_e32 vcc, 0, v[28:29]
	v_cmp_gt_f64_e64 s[0:1], 0, v[26:27]
	v_xor_b32_e32 v36, 0x80000000, v27
	v_xor_b32_e32 v39, 0x80000000, v29
	s_waitcnt lgkmcnt(0)
	v_cmp_gt_f64_e64 s[2:3], 0, v[41:42]
	v_cmp_gt_f64_e64 s[4:5], 0, v[43:44]
	v_xor_b32_e32 v50, 0x80000000, v42
	v_xor_b32_e32 v52, 0x80000000, v44
	v_mov_b32_e32 v45, v26
	v_mov_b32_e32 v47, v28
	;; [unrolled: 1-line block ×4, first 2 shown]
	v_cndmask_b32_e64 v46, v27, v36, s[0:1]
	v_cndmask_b32_e32 v48, v29, v39, vcc
	v_cndmask_b32_e64 v50, v42, v50, s[2:3]
	v_cndmask_b32_e64 v52, v44, v52, s[4:5]
	v_add_f64 v[45:46], v[45:46], v[47:48]
	v_add_f64 v[47:48], v[49:50], v[51:52]
	v_mov_b32_e32 v36, s22
	s_add_i32 s22, s22, 1
	v_add_u32_e32 v35, 16, v35
	s_cmp_eq_u32 s16, s22
	v_cmp_lt_f64_e32 vcc, v[45:46], v[47:48]
	v_cndmask_b32_e32 v27, v27, v42, vcc
	v_cndmask_b32_e32 v26, v26, v41, vcc
	;; [unrolled: 1-line block ×5, first 2 shown]
	s_cbranch_scc0 .LBB10_5
.LBB10_6:
	s_waitcnt lgkmcnt(0)
	v_cmp_neq_f64_e32 vcc, 0, v[26:27]
	v_cmp_neq_f64_e64 s[0:1], 0, v[28:29]
	v_mov_b32_e32 v39, 1
	v_mov_b32_e32 v41, 1
	s_or_b64 s[2:3], vcc, s[0:1]
	s_and_saveexec_b64 s[0:1], s[2:3]
	s_cbranch_execz .LBB10_12
; %bb.7:
	v_cmp_ngt_f64_e64 s[2:3], |v[26:27]|, |v[28:29]|
	s_and_saveexec_b64 s[4:5], s[2:3]
	s_xor_b64 s[2:3], exec, s[4:5]
	s_cbranch_execz .LBB10_9
; %bb.8:
	v_div_scale_f64 v[35:36], s[4:5], v[28:29], v[28:29], v[26:27]
	v_rcp_f64_e32 v[41:42], v[35:36]
	v_fma_f64 v[43:44], -v[35:36], v[41:42], 1.0
	v_fma_f64 v[41:42], v[41:42], v[43:44], v[41:42]
	v_div_scale_f64 v[43:44], vcc, v[26:27], v[28:29], v[26:27]
	v_fma_f64 v[45:46], -v[35:36], v[41:42], 1.0
	v_fma_f64 v[41:42], v[41:42], v[45:46], v[41:42]
	v_mul_f64 v[45:46], v[43:44], v[41:42]
	v_fma_f64 v[35:36], -v[35:36], v[45:46], v[43:44]
	v_div_fmas_f64 v[35:36], v[35:36], v[41:42], v[45:46]
	v_div_fixup_f64 v[35:36], v[35:36], v[28:29], v[26:27]
	v_fma_f64 v[26:27], v[26:27], v[35:36], v[28:29]
	v_div_scale_f64 v[28:29], s[4:5], v[26:27], v[26:27], 1.0
	v_div_scale_f64 v[45:46], vcc, 1.0, v[26:27], 1.0
	v_rcp_f64_e32 v[41:42], v[28:29]
	v_fma_f64 v[43:44], -v[28:29], v[41:42], 1.0
	v_fma_f64 v[41:42], v[41:42], v[43:44], v[41:42]
	v_fma_f64 v[43:44], -v[28:29], v[41:42], 1.0
	v_fma_f64 v[41:42], v[41:42], v[43:44], v[41:42]
	v_mul_f64 v[43:44], v[45:46], v[41:42]
	v_fma_f64 v[28:29], -v[28:29], v[43:44], v[45:46]
	v_div_fmas_f64 v[28:29], v[28:29], v[41:42], v[43:44]
	v_div_fixup_f64 v[28:29], v[28:29], v[26:27], 1.0
	v_mul_f64 v[26:27], v[35:36], v[28:29]
	v_xor_b32_e32 v29, 0x80000000, v29
.LBB10_9:
	s_andn2_saveexec_b64 s[2:3], s[2:3]
	s_cbranch_execz .LBB10_11
; %bb.10:
	v_div_scale_f64 v[35:36], s[4:5], v[26:27], v[26:27], v[28:29]
	v_rcp_f64_e32 v[41:42], v[35:36]
	v_fma_f64 v[43:44], -v[35:36], v[41:42], 1.0
	v_fma_f64 v[41:42], v[41:42], v[43:44], v[41:42]
	v_div_scale_f64 v[43:44], vcc, v[28:29], v[26:27], v[28:29]
	v_fma_f64 v[45:46], -v[35:36], v[41:42], 1.0
	v_fma_f64 v[41:42], v[41:42], v[45:46], v[41:42]
	v_mul_f64 v[45:46], v[43:44], v[41:42]
	v_fma_f64 v[35:36], -v[35:36], v[45:46], v[43:44]
	v_div_fmas_f64 v[35:36], v[35:36], v[41:42], v[45:46]
	v_div_fixup_f64 v[35:36], v[35:36], v[26:27], v[28:29]
	v_fma_f64 v[26:27], v[28:29], v[35:36], v[26:27]
	v_div_scale_f64 v[28:29], s[4:5], v[26:27], v[26:27], 1.0
	v_div_scale_f64 v[45:46], vcc, 1.0, v[26:27], 1.0
	v_rcp_f64_e32 v[41:42], v[28:29]
	v_fma_f64 v[43:44], -v[28:29], v[41:42], 1.0
	v_fma_f64 v[41:42], v[41:42], v[43:44], v[41:42]
	v_fma_f64 v[43:44], -v[28:29], v[41:42], 1.0
	v_fma_f64 v[41:42], v[41:42], v[43:44], v[41:42]
	v_mul_f64 v[43:44], v[45:46], v[41:42]
	v_fma_f64 v[28:29], -v[28:29], v[43:44], v[45:46]
	v_div_fmas_f64 v[28:29], v[28:29], v[41:42], v[43:44]
	v_div_fixup_f64 v[26:27], v[28:29], v[26:27], 1.0
	v_mul_f64 v[28:29], v[35:36], -v[26:27]
.LBB10_11:
	s_or_b64 exec, exec, s[2:3]
	v_mov_b32_e32 v41, 0
	v_mov_b32_e32 v39, 2
.LBB10_12:
	s_or_b64 exec, exec, s[0:1]
	v_cmp_ne_u32_e32 vcc, v0, v34
	s_and_saveexec_b64 s[0:1], vcc
	s_xor_b64 s[0:1], exec, s[0:1]
	s_cbranch_execz .LBB10_18
; %bb.13:
	v_cmp_eq_u32_e32 vcc, 0, v0
	s_and_saveexec_b64 s[2:3], vcc
	s_cbranch_execz .LBB10_17
; %bb.14:
	v_cmp_ne_u32_e32 vcc, 0, v34
	s_xor_b64 s[4:5], s[18:19], -1
	s_and_b64 s[22:23], s[4:5], vcc
	s_and_saveexec_b64 s[4:5], s[22:23]
	s_cbranch_execz .LBB10_16
; %bb.15:
	v_ashrrev_i32_e32 v35, 31, v34
	v_lshlrev_b64 v[35:36], 2, v[34:35]
	v_add_co_u32_e32 v35, vcc, v32, v35
	v_addc_co_u32_e32 v36, vcc, v33, v36, vcc
	global_load_dword v0, v[35:36], off
	global_load_dword v42, v[32:33], off
	s_waitcnt vmcnt(1)
	global_store_dword v[32:33], v0, off
	s_waitcnt vmcnt(1)
	global_store_dword v[35:36], v42, off
.LBB10_16:
	s_or_b64 exec, exec, s[4:5]
	v_mov_b32_e32 v0, v34
.LBB10_17:
	s_or_b64 exec, exec, s[2:3]
.LBB10_18:
	s_or_saveexec_b64 s[0:1], s[0:1]
	v_mov_b32_e32 v36, v0
	s_xor_b64 exec, exec, s[0:1]
	s_cbranch_execz .LBB10_20
; %bb.19:
	v_mov_b32_e32 v36, 0
	ds_write2_b64 v1, v[18:19], v[20:21] offset0:2 offset1:3
	ds_write2_b64 v1, v[10:11], v[12:13] offset0:4 offset1:5
	;; [unrolled: 1-line block ×5, first 2 shown]
.LBB10_20:
	s_or_b64 exec, exec, s[0:1]
	v_cmp_lt_i32_e32 vcc, 0, v36
	s_waitcnt vmcnt(0) lgkmcnt(0)
	s_barrier
	s_and_saveexec_b64 s[0:1], vcc
	s_cbranch_execz .LBB10_22
; %bb.21:
	v_mul_f64 v[34:35], v[26:27], v[16:17]
	v_mul_f64 v[16:17], v[28:29], v[16:17]
	v_fma_f64 v[34:35], v[28:29], v[14:15], v[34:35]
	v_fma_f64 v[14:15], v[26:27], v[14:15], -v[16:17]
	ds_read2_b64 v[26:29], v1 offset0:2 offset1:3
	s_waitcnt lgkmcnt(0)
	v_mul_f64 v[16:17], v[28:29], v[34:35]
	v_fma_f64 v[16:17], v[26:27], v[14:15], -v[16:17]
	v_mul_f64 v[26:27], v[26:27], v[34:35]
	v_add_f64 v[18:19], v[18:19], -v[16:17]
	v_fma_f64 v[26:27], v[28:29], v[14:15], v[26:27]
	v_add_f64 v[20:21], v[20:21], -v[26:27]
	ds_read2_b64 v[26:29], v1 offset0:4 offset1:5
	s_waitcnt lgkmcnt(0)
	v_mul_f64 v[16:17], v[28:29], v[34:35]
	v_fma_f64 v[16:17], v[26:27], v[14:15], -v[16:17]
	v_mul_f64 v[26:27], v[26:27], v[34:35]
	v_add_f64 v[10:11], v[10:11], -v[16:17]
	v_fma_f64 v[26:27], v[28:29], v[14:15], v[26:27]
	v_add_f64 v[12:13], v[12:13], -v[26:27]
	;; [unrolled: 8-line block ×4, first 2 shown]
	ds_read2_b64 v[26:29], v1 offset0:10 offset1:11
	s_waitcnt lgkmcnt(0)
	v_mul_f64 v[16:17], v[28:29], v[34:35]
	v_fma_f64 v[16:17], v[26:27], v[14:15], -v[16:17]
	v_mul_f64 v[26:27], v[26:27], v[34:35]
	v_add_f64 v[22:23], v[22:23], -v[16:17]
	v_fma_f64 v[26:27], v[28:29], v[14:15], v[26:27]
	v_mov_b32_e32 v16, v34
	v_mov_b32_e32 v17, v35
	v_add_f64 v[24:25], v[24:25], -v[26:27]
.LBB10_22:
	s_or_b64 exec, exec, s[0:1]
	v_lshl_add_u32 v26, v36, 4, v1
	s_barrier
	ds_write2_b64 v26, v[18:19], v[20:21] offset1:1
	s_waitcnt lgkmcnt(0)
	s_barrier
	ds_read2_b64 v[26:29], v1 offset0:2 offset1:3
	s_cmp_lt_i32 s16, 3
	v_mov_b32_e32 v34, 1
	s_cbranch_scc1 .LBB10_25
; %bb.23:
	v_add3_u32 v35, v40, 0, 32
	s_mov_b32 s2, 2
	v_mov_b32_e32 v34, 1
.LBB10_24:                              ; =>This Inner Loop Header: Depth=1
	s_waitcnt lgkmcnt(0)
	v_cmp_gt_f64_e32 vcc, 0, v[28:29]
	v_cmp_gt_f64_e64 s[0:1], 0, v[26:27]
	ds_read2_b64 v[42:45], v35 offset1:1
	v_xor_b32_e32 v47, 0x80000000, v27
	v_xor_b32_e32 v49, 0x80000000, v29
	v_mov_b32_e32 v46, v26
	v_mov_b32_e32 v48, v28
	s_waitcnt lgkmcnt(0)
	v_xor_b32_e32 v51, 0x80000000, v45
	v_cndmask_b32_e32 v49, v29, v49, vcc
	v_cndmask_b32_e64 v47, v27, v47, s[0:1]
	v_cmp_gt_f64_e32 vcc, 0, v[44:45]
	v_cmp_gt_f64_e64 s[0:1], 0, v[42:43]
	v_add_f64 v[46:47], v[46:47], v[48:49]
	v_xor_b32_e32 v49, 0x80000000, v43
	v_mov_b32_e32 v48, v42
	v_mov_b32_e32 v50, v44
	v_add_u32_e32 v35, 16, v35
	v_cndmask_b32_e32 v51, v45, v51, vcc
	v_cndmask_b32_e64 v49, v43, v49, s[0:1]
	v_add_f64 v[48:49], v[48:49], v[50:51]
	v_mov_b32_e32 v50, s2
	s_add_i32 s2, s2, 1
	s_cmp_lg_u32 s16, s2
	v_cmp_lt_f64_e32 vcc, v[46:47], v[48:49]
	v_cndmask_b32_e32 v27, v27, v43, vcc
	v_cndmask_b32_e32 v26, v26, v42, vcc
	;; [unrolled: 1-line block ×5, first 2 shown]
	s_cbranch_scc1 .LBB10_24
.LBB10_25:
	s_waitcnt lgkmcnt(0)
	v_cmp_neq_f64_e32 vcc, 0, v[26:27]
	v_cmp_neq_f64_e64 s[0:1], 0, v[28:29]
	s_or_b64 s[2:3], vcc, s[0:1]
	s_and_saveexec_b64 s[0:1], s[2:3]
	s_cbranch_execz .LBB10_31
; %bb.26:
	v_cmp_ngt_f64_e64 s[2:3], |v[26:27]|, |v[28:29]|
	s_and_saveexec_b64 s[4:5], s[2:3]
	s_xor_b64 s[2:3], exec, s[4:5]
	s_cbranch_execz .LBB10_28
; %bb.27:
	v_div_scale_f64 v[42:43], s[4:5], v[28:29], v[28:29], v[26:27]
	v_rcp_f64_e32 v[44:45], v[42:43]
	v_fma_f64 v[46:47], -v[42:43], v[44:45], 1.0
	v_fma_f64 v[44:45], v[44:45], v[46:47], v[44:45]
	v_div_scale_f64 v[46:47], vcc, v[26:27], v[28:29], v[26:27]
	v_fma_f64 v[48:49], -v[42:43], v[44:45], 1.0
	v_fma_f64 v[44:45], v[44:45], v[48:49], v[44:45]
	v_mul_f64 v[48:49], v[46:47], v[44:45]
	v_fma_f64 v[42:43], -v[42:43], v[48:49], v[46:47]
	v_div_fmas_f64 v[42:43], v[42:43], v[44:45], v[48:49]
	v_div_fixup_f64 v[42:43], v[42:43], v[28:29], v[26:27]
	v_fma_f64 v[26:27], v[26:27], v[42:43], v[28:29]
	v_div_scale_f64 v[28:29], s[4:5], v[26:27], v[26:27], 1.0
	v_div_scale_f64 v[48:49], vcc, 1.0, v[26:27], 1.0
	v_rcp_f64_e32 v[44:45], v[28:29]
	v_fma_f64 v[46:47], -v[28:29], v[44:45], 1.0
	v_fma_f64 v[44:45], v[44:45], v[46:47], v[44:45]
	v_fma_f64 v[46:47], -v[28:29], v[44:45], 1.0
	v_fma_f64 v[44:45], v[44:45], v[46:47], v[44:45]
	v_mul_f64 v[46:47], v[48:49], v[44:45]
	v_fma_f64 v[28:29], -v[28:29], v[46:47], v[48:49]
	v_div_fmas_f64 v[28:29], v[28:29], v[44:45], v[46:47]
	v_div_fixup_f64 v[28:29], v[28:29], v[26:27], 1.0
	v_mul_f64 v[26:27], v[42:43], v[28:29]
	v_xor_b32_e32 v29, 0x80000000, v29
.LBB10_28:
	s_andn2_saveexec_b64 s[2:3], s[2:3]
	s_cbranch_execz .LBB10_30
; %bb.29:
	v_div_scale_f64 v[42:43], s[4:5], v[26:27], v[26:27], v[28:29]
	v_rcp_f64_e32 v[44:45], v[42:43]
	v_fma_f64 v[46:47], -v[42:43], v[44:45], 1.0
	v_fma_f64 v[44:45], v[44:45], v[46:47], v[44:45]
	v_div_scale_f64 v[46:47], vcc, v[28:29], v[26:27], v[28:29]
	v_fma_f64 v[48:49], -v[42:43], v[44:45], 1.0
	v_fma_f64 v[44:45], v[44:45], v[48:49], v[44:45]
	v_mul_f64 v[48:49], v[46:47], v[44:45]
	v_fma_f64 v[42:43], -v[42:43], v[48:49], v[46:47]
	v_div_fmas_f64 v[42:43], v[42:43], v[44:45], v[48:49]
	v_div_fixup_f64 v[42:43], v[42:43], v[26:27], v[28:29]
	v_fma_f64 v[26:27], v[28:29], v[42:43], v[26:27]
	v_div_scale_f64 v[28:29], s[4:5], v[26:27], v[26:27], 1.0
	v_div_scale_f64 v[48:49], vcc, 1.0, v[26:27], 1.0
	v_rcp_f64_e32 v[44:45], v[28:29]
	v_fma_f64 v[46:47], -v[28:29], v[44:45], 1.0
	v_fma_f64 v[44:45], v[44:45], v[46:47], v[44:45]
	v_fma_f64 v[46:47], -v[28:29], v[44:45], 1.0
	v_fma_f64 v[44:45], v[44:45], v[46:47], v[44:45]
	v_mul_f64 v[46:47], v[48:49], v[44:45]
	v_fma_f64 v[28:29], -v[28:29], v[46:47], v[48:49]
	v_div_fmas_f64 v[28:29], v[28:29], v[44:45], v[46:47]
	v_div_fixup_f64 v[26:27], v[28:29], v[26:27], 1.0
	v_mul_f64 v[28:29], v[42:43], -v[26:27]
.LBB10_30:
	s_or_b64 exec, exec, s[2:3]
	v_mov_b32_e32 v39, v41
.LBB10_31:
	s_or_b64 exec, exec, s[0:1]
	v_cmp_ne_u32_e32 vcc, v36, v34
	s_and_saveexec_b64 s[0:1], vcc
	s_xor_b64 s[0:1], exec, s[0:1]
	s_cbranch_execz .LBB10_37
; %bb.32:
	v_cmp_eq_u32_e32 vcc, 1, v36
	s_and_saveexec_b64 s[2:3], vcc
	s_cbranch_execz .LBB10_36
; %bb.33:
	v_cmp_ne_u32_e32 vcc, 1, v34
	s_xor_b64 s[4:5], s[18:19], -1
	s_and_b64 s[22:23], s[4:5], vcc
	s_and_saveexec_b64 s[4:5], s[22:23]
	s_cbranch_execz .LBB10_35
; %bb.34:
	v_ashrrev_i32_e32 v35, 31, v34
	v_lshlrev_b64 v[35:36], 2, v[34:35]
	v_add_co_u32_e32 v35, vcc, v32, v35
	v_addc_co_u32_e32 v36, vcc, v33, v36, vcc
	global_load_dword v0, v[35:36], off
	global_load_dword v41, v[32:33], off offset:4
	s_waitcnt vmcnt(1)
	global_store_dword v[32:33], v0, off offset:4
	s_waitcnt vmcnt(1)
	global_store_dword v[35:36], v41, off
.LBB10_35:
	s_or_b64 exec, exec, s[4:5]
	v_mov_b32_e32 v36, v34
	v_mov_b32_e32 v0, v34
.LBB10_36:
	s_or_b64 exec, exec, s[2:3]
.LBB10_37:
	s_andn2_saveexec_b64 s[0:1], s[0:1]
	s_cbranch_execz .LBB10_39
; %bb.38:
	v_mov_b32_e32 v36, 1
	ds_write2_b64 v1, v[10:11], v[12:13] offset0:4 offset1:5
	ds_write2_b64 v1, v[6:7], v[8:9] offset0:6 offset1:7
	;; [unrolled: 1-line block ×4, first 2 shown]
.LBB10_39:
	s_or_b64 exec, exec, s[0:1]
	v_cmp_lt_i32_e32 vcc, 1, v36
	s_waitcnt vmcnt(0) lgkmcnt(0)
	s_barrier
	s_and_saveexec_b64 s[0:1], vcc
	s_cbranch_execz .LBB10_41
; %bb.40:
	v_mul_f64 v[34:35], v[26:27], v[20:21]
	v_mul_f64 v[20:21], v[28:29], v[20:21]
	v_fma_f64 v[34:35], v[28:29], v[18:19], v[34:35]
	v_fma_f64 v[18:19], v[26:27], v[18:19], -v[20:21]
	ds_read2_b64 v[26:29], v1 offset0:4 offset1:5
	s_waitcnt lgkmcnt(0)
	v_mul_f64 v[20:21], v[28:29], v[34:35]
	v_fma_f64 v[20:21], v[26:27], v[18:19], -v[20:21]
	v_mul_f64 v[26:27], v[26:27], v[34:35]
	v_add_f64 v[10:11], v[10:11], -v[20:21]
	v_fma_f64 v[26:27], v[28:29], v[18:19], v[26:27]
	v_add_f64 v[12:13], v[12:13], -v[26:27]
	ds_read2_b64 v[26:29], v1 offset0:6 offset1:7
	s_waitcnt lgkmcnt(0)
	v_mul_f64 v[20:21], v[28:29], v[34:35]
	v_fma_f64 v[20:21], v[26:27], v[18:19], -v[20:21]
	v_mul_f64 v[26:27], v[26:27], v[34:35]
	v_add_f64 v[6:7], v[6:7], -v[20:21]
	v_fma_f64 v[26:27], v[28:29], v[18:19], v[26:27]
	v_add_f64 v[8:9], v[8:9], -v[26:27]
	;; [unrolled: 8-line block ×3, first 2 shown]
	ds_read2_b64 v[26:29], v1 offset0:10 offset1:11
	s_waitcnt lgkmcnt(0)
	v_mul_f64 v[20:21], v[28:29], v[34:35]
	v_fma_f64 v[20:21], v[26:27], v[18:19], -v[20:21]
	v_mul_f64 v[26:27], v[26:27], v[34:35]
	v_add_f64 v[22:23], v[22:23], -v[20:21]
	v_fma_f64 v[26:27], v[28:29], v[18:19], v[26:27]
	v_mov_b32_e32 v20, v34
	v_mov_b32_e32 v21, v35
	v_add_f64 v[24:25], v[24:25], -v[26:27]
.LBB10_41:
	s_or_b64 exec, exec, s[0:1]
	v_lshl_add_u32 v26, v36, 4, v1
	s_barrier
	ds_write2_b64 v26, v[10:11], v[12:13] offset1:1
	s_waitcnt lgkmcnt(0)
	s_barrier
	ds_read2_b64 v[26:29], v1 offset0:4 offset1:5
	s_cmp_lt_i32 s16, 4
	v_mov_b32_e32 v34, 2
	s_cbranch_scc1 .LBB10_44
; %bb.42:
	v_add3_u32 v35, v40, 0, 48
	s_mov_b32 s2, 3
	v_mov_b32_e32 v34, 2
.LBB10_43:                              ; =>This Inner Loop Header: Depth=1
	s_waitcnt lgkmcnt(0)
	v_cmp_gt_f64_e32 vcc, 0, v[28:29]
	v_cmp_gt_f64_e64 s[0:1], 0, v[26:27]
	ds_read2_b64 v[41:44], v35 offset1:1
	v_xor_b32_e32 v46, 0x80000000, v27
	v_xor_b32_e32 v48, 0x80000000, v29
	v_mov_b32_e32 v45, v26
	v_mov_b32_e32 v47, v28
	s_waitcnt lgkmcnt(0)
	v_xor_b32_e32 v50, 0x80000000, v44
	v_cndmask_b32_e32 v48, v29, v48, vcc
	v_cndmask_b32_e64 v46, v27, v46, s[0:1]
	v_cmp_gt_f64_e32 vcc, 0, v[43:44]
	v_cmp_gt_f64_e64 s[0:1], 0, v[41:42]
	v_add_f64 v[45:46], v[45:46], v[47:48]
	v_xor_b32_e32 v48, 0x80000000, v42
	v_mov_b32_e32 v47, v41
	v_mov_b32_e32 v49, v43
	v_add_u32_e32 v35, 16, v35
	v_cndmask_b32_e32 v50, v44, v50, vcc
	v_cndmask_b32_e64 v48, v42, v48, s[0:1]
	v_add_f64 v[47:48], v[47:48], v[49:50]
	v_mov_b32_e32 v49, s2
	s_add_i32 s2, s2, 1
	s_cmp_lg_u32 s16, s2
	v_cmp_lt_f64_e32 vcc, v[45:46], v[47:48]
	v_cndmask_b32_e32 v27, v27, v42, vcc
	v_cndmask_b32_e32 v26, v26, v41, vcc
	v_cndmask_b32_e32 v29, v29, v44, vcc
	v_cndmask_b32_e32 v28, v28, v43, vcc
	v_cndmask_b32_e32 v34, v34, v49, vcc
	s_cbranch_scc1 .LBB10_43
.LBB10_44:
	s_waitcnt lgkmcnt(0)
	v_cmp_eq_f64_e32 vcc, 0, v[26:27]
	v_cmp_eq_f64_e64 s[0:1], 0, v[28:29]
	s_and_b64 s[0:1], vcc, s[0:1]
	s_and_saveexec_b64 s[2:3], s[0:1]
	s_xor_b64 s[0:1], exec, s[2:3]
; %bb.45:
	v_cmp_ne_u32_e32 vcc, 0, v39
	v_cndmask_b32_e32 v39, 3, v39, vcc
; %bb.46:
	s_andn2_saveexec_b64 s[0:1], s[0:1]
	s_cbranch_execz .LBB10_52
; %bb.47:
	v_cmp_ngt_f64_e64 s[2:3], |v[26:27]|, |v[28:29]|
	s_and_saveexec_b64 s[4:5], s[2:3]
	s_xor_b64 s[2:3], exec, s[4:5]
	s_cbranch_execz .LBB10_49
; %bb.48:
	v_div_scale_f64 v[41:42], s[4:5], v[28:29], v[28:29], v[26:27]
	v_rcp_f64_e32 v[43:44], v[41:42]
	v_fma_f64 v[45:46], -v[41:42], v[43:44], 1.0
	v_fma_f64 v[43:44], v[43:44], v[45:46], v[43:44]
	v_div_scale_f64 v[45:46], vcc, v[26:27], v[28:29], v[26:27]
	v_fma_f64 v[47:48], -v[41:42], v[43:44], 1.0
	v_fma_f64 v[43:44], v[43:44], v[47:48], v[43:44]
	v_mul_f64 v[47:48], v[45:46], v[43:44]
	v_fma_f64 v[41:42], -v[41:42], v[47:48], v[45:46]
	v_div_fmas_f64 v[41:42], v[41:42], v[43:44], v[47:48]
	v_div_fixup_f64 v[41:42], v[41:42], v[28:29], v[26:27]
	v_fma_f64 v[26:27], v[26:27], v[41:42], v[28:29]
	v_div_scale_f64 v[28:29], s[4:5], v[26:27], v[26:27], 1.0
	v_div_scale_f64 v[47:48], vcc, 1.0, v[26:27], 1.0
	v_rcp_f64_e32 v[43:44], v[28:29]
	v_fma_f64 v[45:46], -v[28:29], v[43:44], 1.0
	v_fma_f64 v[43:44], v[43:44], v[45:46], v[43:44]
	v_fma_f64 v[45:46], -v[28:29], v[43:44], 1.0
	v_fma_f64 v[43:44], v[43:44], v[45:46], v[43:44]
	v_mul_f64 v[45:46], v[47:48], v[43:44]
	v_fma_f64 v[28:29], -v[28:29], v[45:46], v[47:48]
	v_div_fmas_f64 v[28:29], v[28:29], v[43:44], v[45:46]
	v_div_fixup_f64 v[28:29], v[28:29], v[26:27], 1.0
	v_mul_f64 v[26:27], v[41:42], v[28:29]
	v_xor_b32_e32 v29, 0x80000000, v29
.LBB10_49:
	s_andn2_saveexec_b64 s[2:3], s[2:3]
	s_cbranch_execz .LBB10_51
; %bb.50:
	v_div_scale_f64 v[41:42], s[4:5], v[26:27], v[26:27], v[28:29]
	v_rcp_f64_e32 v[43:44], v[41:42]
	v_fma_f64 v[45:46], -v[41:42], v[43:44], 1.0
	v_fma_f64 v[43:44], v[43:44], v[45:46], v[43:44]
	v_div_scale_f64 v[45:46], vcc, v[28:29], v[26:27], v[28:29]
	v_fma_f64 v[47:48], -v[41:42], v[43:44], 1.0
	v_fma_f64 v[43:44], v[43:44], v[47:48], v[43:44]
	v_mul_f64 v[47:48], v[45:46], v[43:44]
	v_fma_f64 v[41:42], -v[41:42], v[47:48], v[45:46]
	v_div_fmas_f64 v[41:42], v[41:42], v[43:44], v[47:48]
	v_div_fixup_f64 v[41:42], v[41:42], v[26:27], v[28:29]
	v_fma_f64 v[26:27], v[28:29], v[41:42], v[26:27]
	v_div_scale_f64 v[28:29], s[4:5], v[26:27], v[26:27], 1.0
	v_div_scale_f64 v[47:48], vcc, 1.0, v[26:27], 1.0
	v_rcp_f64_e32 v[43:44], v[28:29]
	v_fma_f64 v[45:46], -v[28:29], v[43:44], 1.0
	v_fma_f64 v[43:44], v[43:44], v[45:46], v[43:44]
	v_fma_f64 v[45:46], -v[28:29], v[43:44], 1.0
	v_fma_f64 v[43:44], v[43:44], v[45:46], v[43:44]
	v_mul_f64 v[45:46], v[47:48], v[43:44]
	v_fma_f64 v[28:29], -v[28:29], v[45:46], v[47:48]
	v_div_fmas_f64 v[28:29], v[28:29], v[43:44], v[45:46]
	v_div_fixup_f64 v[26:27], v[28:29], v[26:27], 1.0
	v_mul_f64 v[28:29], v[41:42], -v[26:27]
.LBB10_51:
	s_or_b64 exec, exec, s[2:3]
.LBB10_52:
	s_or_b64 exec, exec, s[0:1]
	v_cmp_ne_u32_e32 vcc, v36, v34
	s_and_saveexec_b64 s[0:1], vcc
	s_xor_b64 s[0:1], exec, s[0:1]
	s_cbranch_execz .LBB10_58
; %bb.53:
	v_cmp_eq_u32_e32 vcc, 2, v36
	s_and_saveexec_b64 s[2:3], vcc
	s_cbranch_execz .LBB10_57
; %bb.54:
	v_cmp_ne_u32_e32 vcc, 2, v34
	s_xor_b64 s[4:5], s[18:19], -1
	s_and_b64 s[22:23], s[4:5], vcc
	s_and_saveexec_b64 s[4:5], s[22:23]
	s_cbranch_execz .LBB10_56
; %bb.55:
	v_ashrrev_i32_e32 v35, 31, v34
	v_lshlrev_b64 v[35:36], 2, v[34:35]
	v_add_co_u32_e32 v35, vcc, v32, v35
	v_addc_co_u32_e32 v36, vcc, v33, v36, vcc
	global_load_dword v0, v[35:36], off
	global_load_dword v41, v[32:33], off offset:8
	s_waitcnt vmcnt(1)
	global_store_dword v[32:33], v0, off offset:8
	s_waitcnt vmcnt(1)
	global_store_dword v[35:36], v41, off
.LBB10_56:
	s_or_b64 exec, exec, s[4:5]
	v_mov_b32_e32 v36, v34
	v_mov_b32_e32 v0, v34
.LBB10_57:
	s_or_b64 exec, exec, s[2:3]
.LBB10_58:
	s_andn2_saveexec_b64 s[0:1], s[0:1]
	s_cbranch_execz .LBB10_60
; %bb.59:
	v_mov_b32_e32 v36, 2
	ds_write2_b64 v1, v[6:7], v[8:9] offset0:6 offset1:7
	ds_write2_b64 v1, v[2:3], v[4:5] offset0:8 offset1:9
	;; [unrolled: 1-line block ×3, first 2 shown]
.LBB10_60:
	s_or_b64 exec, exec, s[0:1]
	v_cmp_lt_i32_e32 vcc, 2, v36
	s_waitcnt vmcnt(0) lgkmcnt(0)
	s_barrier
	s_and_saveexec_b64 s[0:1], vcc
	s_cbranch_execz .LBB10_62
; %bb.61:
	v_mul_f64 v[34:35], v[26:27], v[12:13]
	v_mul_f64 v[12:13], v[28:29], v[12:13]
	ds_read2_b64 v[41:44], v1 offset0:6 offset1:7
	ds_read2_b64 v[45:48], v1 offset0:8 offset1:9
	;; [unrolled: 1-line block ×3, first 2 shown]
	v_fma_f64 v[28:29], v[28:29], v[10:11], v[34:35]
	v_fma_f64 v[10:11], v[26:27], v[10:11], -v[12:13]
	s_waitcnt lgkmcnt(2)
	v_mul_f64 v[12:13], v[43:44], v[28:29]
	v_mul_f64 v[26:27], v[41:42], v[28:29]
	s_waitcnt lgkmcnt(1)
	v_mul_f64 v[34:35], v[47:48], v[28:29]
	v_mul_f64 v[53:54], v[45:46], v[28:29]
	;; [unrolled: 3-line block ×3, first 2 shown]
	v_fma_f64 v[12:13], v[41:42], v[10:11], -v[12:13]
	v_fma_f64 v[26:27], v[43:44], v[10:11], v[26:27]
	v_fma_f64 v[34:35], v[45:46], v[10:11], -v[34:35]
	v_fma_f64 v[41:42], v[47:48], v[10:11], v[53:54]
	v_fma_f64 v[43:44], v[49:50], v[10:11], -v[55:56]
	v_fma_f64 v[45:46], v[51:52], v[10:11], v[57:58]
	v_add_f64 v[6:7], v[6:7], -v[12:13]
	v_add_f64 v[8:9], v[8:9], -v[26:27]
	;; [unrolled: 1-line block ×6, first 2 shown]
	v_mov_b32_e32 v12, v28
	v_mov_b32_e32 v13, v29
.LBB10_62:
	s_or_b64 exec, exec, s[0:1]
	v_lshl_add_u32 v26, v36, 4, v1
	s_barrier
	ds_write2_b64 v26, v[6:7], v[8:9] offset1:1
	s_waitcnt lgkmcnt(0)
	s_barrier
	ds_read2_b64 v[26:29], v1 offset0:6 offset1:7
	s_mov_b32 s2, 4
	s_cmp_lt_i32 s16, 5
	v_mov_b32_e32 v34, 3
	s_cbranch_scc1 .LBB10_65
; %bb.63:
	v_add3_u32 v35, v40, 0, 64
	v_mov_b32_e32 v34, 3
.LBB10_64:                              ; =>This Inner Loop Header: Depth=1
	s_waitcnt lgkmcnt(0)
	v_cmp_gt_f64_e32 vcc, 0, v[28:29]
	v_cmp_gt_f64_e64 s[0:1], 0, v[26:27]
	ds_read2_b64 v[40:43], v35 offset1:1
	v_xor_b32_e32 v45, 0x80000000, v27
	v_xor_b32_e32 v47, 0x80000000, v29
	v_mov_b32_e32 v44, v26
	v_mov_b32_e32 v46, v28
	s_waitcnt lgkmcnt(0)
	v_xor_b32_e32 v49, 0x80000000, v43
	v_cndmask_b32_e32 v47, v29, v47, vcc
	v_cndmask_b32_e64 v45, v27, v45, s[0:1]
	v_cmp_gt_f64_e32 vcc, 0, v[42:43]
	v_cmp_gt_f64_e64 s[0:1], 0, v[40:41]
	v_add_f64 v[44:45], v[44:45], v[46:47]
	v_xor_b32_e32 v47, 0x80000000, v41
	v_mov_b32_e32 v46, v40
	v_mov_b32_e32 v48, v42
	v_add_u32_e32 v35, 16, v35
	v_cndmask_b32_e32 v49, v43, v49, vcc
	v_cndmask_b32_e64 v47, v41, v47, s[0:1]
	v_add_f64 v[46:47], v[46:47], v[48:49]
	v_mov_b32_e32 v48, s2
	s_add_i32 s2, s2, 1
	s_cmp_lg_u32 s16, s2
	v_cmp_lt_f64_e32 vcc, v[44:45], v[46:47]
	v_cndmask_b32_e32 v27, v27, v41, vcc
	v_cndmask_b32_e32 v26, v26, v40, vcc
	;; [unrolled: 1-line block ×5, first 2 shown]
	s_cbranch_scc1 .LBB10_64
.LBB10_65:
	s_waitcnt lgkmcnt(0)
	v_cmp_eq_f64_e32 vcc, 0, v[26:27]
	v_cmp_eq_f64_e64 s[0:1], 0, v[28:29]
	s_and_b64 s[0:1], vcc, s[0:1]
	s_and_saveexec_b64 s[2:3], s[0:1]
	s_xor_b64 s[0:1], exec, s[2:3]
; %bb.66:
	v_cmp_ne_u32_e32 vcc, 0, v39
	v_cndmask_b32_e32 v39, 4, v39, vcc
; %bb.67:
	s_andn2_saveexec_b64 s[0:1], s[0:1]
	s_cbranch_execz .LBB10_73
; %bb.68:
	v_cmp_ngt_f64_e64 s[2:3], |v[26:27]|, |v[28:29]|
	s_and_saveexec_b64 s[4:5], s[2:3]
	s_xor_b64 s[2:3], exec, s[4:5]
	s_cbranch_execz .LBB10_70
; %bb.69:
	v_div_scale_f64 v[40:41], s[4:5], v[28:29], v[28:29], v[26:27]
	v_rcp_f64_e32 v[42:43], v[40:41]
	v_fma_f64 v[44:45], -v[40:41], v[42:43], 1.0
	v_fma_f64 v[42:43], v[42:43], v[44:45], v[42:43]
	v_div_scale_f64 v[44:45], vcc, v[26:27], v[28:29], v[26:27]
	v_fma_f64 v[46:47], -v[40:41], v[42:43], 1.0
	v_fma_f64 v[42:43], v[42:43], v[46:47], v[42:43]
	v_mul_f64 v[46:47], v[44:45], v[42:43]
	v_fma_f64 v[40:41], -v[40:41], v[46:47], v[44:45]
	v_div_fmas_f64 v[40:41], v[40:41], v[42:43], v[46:47]
	v_div_fixup_f64 v[40:41], v[40:41], v[28:29], v[26:27]
	v_fma_f64 v[26:27], v[26:27], v[40:41], v[28:29]
	v_div_scale_f64 v[28:29], s[4:5], v[26:27], v[26:27], 1.0
	v_div_scale_f64 v[46:47], vcc, 1.0, v[26:27], 1.0
	v_rcp_f64_e32 v[42:43], v[28:29]
	v_fma_f64 v[44:45], -v[28:29], v[42:43], 1.0
	v_fma_f64 v[42:43], v[42:43], v[44:45], v[42:43]
	v_fma_f64 v[44:45], -v[28:29], v[42:43], 1.0
	v_fma_f64 v[42:43], v[42:43], v[44:45], v[42:43]
	v_mul_f64 v[44:45], v[46:47], v[42:43]
	v_fma_f64 v[28:29], -v[28:29], v[44:45], v[46:47]
	v_div_fmas_f64 v[28:29], v[28:29], v[42:43], v[44:45]
	v_div_fixup_f64 v[28:29], v[28:29], v[26:27], 1.0
	v_mul_f64 v[26:27], v[40:41], v[28:29]
	v_xor_b32_e32 v29, 0x80000000, v29
.LBB10_70:
	s_andn2_saveexec_b64 s[2:3], s[2:3]
	s_cbranch_execz .LBB10_72
; %bb.71:
	v_div_scale_f64 v[40:41], s[4:5], v[26:27], v[26:27], v[28:29]
	v_rcp_f64_e32 v[42:43], v[40:41]
	v_fma_f64 v[44:45], -v[40:41], v[42:43], 1.0
	v_fma_f64 v[42:43], v[42:43], v[44:45], v[42:43]
	v_div_scale_f64 v[44:45], vcc, v[28:29], v[26:27], v[28:29]
	v_fma_f64 v[46:47], -v[40:41], v[42:43], 1.0
	v_fma_f64 v[42:43], v[42:43], v[46:47], v[42:43]
	v_mul_f64 v[46:47], v[44:45], v[42:43]
	v_fma_f64 v[40:41], -v[40:41], v[46:47], v[44:45]
	v_div_fmas_f64 v[40:41], v[40:41], v[42:43], v[46:47]
	v_div_fixup_f64 v[40:41], v[40:41], v[26:27], v[28:29]
	v_fma_f64 v[26:27], v[28:29], v[40:41], v[26:27]
	v_div_scale_f64 v[28:29], s[4:5], v[26:27], v[26:27], 1.0
	v_div_scale_f64 v[46:47], vcc, 1.0, v[26:27], 1.0
	v_rcp_f64_e32 v[42:43], v[28:29]
	v_fma_f64 v[44:45], -v[28:29], v[42:43], 1.0
	v_fma_f64 v[42:43], v[42:43], v[44:45], v[42:43]
	v_fma_f64 v[44:45], -v[28:29], v[42:43], 1.0
	v_fma_f64 v[42:43], v[42:43], v[44:45], v[42:43]
	v_mul_f64 v[44:45], v[46:47], v[42:43]
	v_fma_f64 v[28:29], -v[28:29], v[44:45], v[46:47]
	v_div_fmas_f64 v[28:29], v[28:29], v[42:43], v[44:45]
	v_div_fixup_f64 v[26:27], v[28:29], v[26:27], 1.0
	v_mul_f64 v[28:29], v[40:41], -v[26:27]
.LBB10_72:
	s_or_b64 exec, exec, s[2:3]
.LBB10_73:
	s_or_b64 exec, exec, s[0:1]
	v_cmp_ne_u32_e32 vcc, v36, v34
	s_and_saveexec_b64 s[0:1], vcc
	s_xor_b64 s[0:1], exec, s[0:1]
	s_cbranch_execz .LBB10_79
; %bb.74:
	v_cmp_eq_u32_e32 vcc, 3, v36
	s_and_saveexec_b64 s[2:3], vcc
	s_cbranch_execz .LBB10_78
; %bb.75:
	v_cmp_ne_u32_e32 vcc, 3, v34
	s_xor_b64 s[4:5], s[18:19], -1
	s_and_b64 s[22:23], s[4:5], vcc
	s_and_saveexec_b64 s[4:5], s[22:23]
	s_cbranch_execz .LBB10_77
; %bb.76:
	v_ashrrev_i32_e32 v35, 31, v34
	v_lshlrev_b64 v[35:36], 2, v[34:35]
	v_add_co_u32_e32 v35, vcc, v32, v35
	v_addc_co_u32_e32 v36, vcc, v33, v36, vcc
	global_load_dword v0, v[35:36], off
	global_load_dword v40, v[32:33], off offset:12
	s_waitcnt vmcnt(1)
	global_store_dword v[32:33], v0, off offset:12
	s_waitcnt vmcnt(1)
	global_store_dword v[35:36], v40, off
.LBB10_77:
	s_or_b64 exec, exec, s[4:5]
	v_mov_b32_e32 v36, v34
	v_mov_b32_e32 v0, v34
.LBB10_78:
	s_or_b64 exec, exec, s[2:3]
.LBB10_79:
	s_andn2_saveexec_b64 s[0:1], s[0:1]
	s_cbranch_execz .LBB10_81
; %bb.80:
	v_mov_b32_e32 v36, 3
	ds_write2_b64 v1, v[2:3], v[4:5] offset0:8 offset1:9
	ds_write2_b64 v1, v[22:23], v[24:25] offset0:10 offset1:11
.LBB10_81:
	s_or_b64 exec, exec, s[0:1]
	v_cmp_lt_i32_e32 vcc, 3, v36
	s_waitcnt vmcnt(0) lgkmcnt(0)
	s_barrier
	s_and_saveexec_b64 s[0:1], vcc
	s_cbranch_execz .LBB10_83
; %bb.82:
	v_mul_f64 v[34:35], v[26:27], v[8:9]
	v_mul_f64 v[8:9], v[28:29], v[8:9]
	ds_read2_b64 v[40:43], v1 offset0:8 offset1:9
	ds_read2_b64 v[44:47], v1 offset0:10 offset1:11
	v_fma_f64 v[28:29], v[28:29], v[6:7], v[34:35]
	v_fma_f64 v[6:7], v[26:27], v[6:7], -v[8:9]
	s_waitcnt lgkmcnt(1)
	v_mul_f64 v[8:9], v[42:43], v[28:29]
	v_mul_f64 v[26:27], v[40:41], v[28:29]
	s_waitcnt lgkmcnt(0)
	v_mul_f64 v[34:35], v[46:47], v[28:29]
	v_mul_f64 v[48:49], v[44:45], v[28:29]
	v_fma_f64 v[8:9], v[40:41], v[6:7], -v[8:9]
	v_fma_f64 v[26:27], v[42:43], v[6:7], v[26:27]
	v_fma_f64 v[34:35], v[44:45], v[6:7], -v[34:35]
	v_fma_f64 v[40:41], v[46:47], v[6:7], v[48:49]
	v_add_f64 v[2:3], v[2:3], -v[8:9]
	v_add_f64 v[4:5], v[4:5], -v[26:27]
	;; [unrolled: 1-line block ×4, first 2 shown]
	v_mov_b32_e32 v8, v28
	v_mov_b32_e32 v9, v29
.LBB10_83:
	s_or_b64 exec, exec, s[0:1]
	v_lshl_add_u32 v26, v36, 4, v1
	s_barrier
	ds_write2_b64 v26, v[2:3], v[4:5] offset1:1
	s_waitcnt lgkmcnt(0)
	s_barrier
	ds_read2_b64 v[26:29], v1 offset0:8 offset1:9
	s_cmp_lt_i32 s16, 6
	v_mov_b32_e32 v34, 4
	s_cbranch_scc1 .LBB10_86
; %bb.84:
	v_mov_b32_e32 v34, 4
	v_add_u32_e32 v35, 0x50, v1
	s_mov_b32 s2, 5
.LBB10_85:                              ; =>This Inner Loop Header: Depth=1
	s_waitcnt lgkmcnt(0)
	v_cmp_gt_f64_e32 vcc, 0, v[28:29]
	v_cmp_gt_f64_e64 s[0:1], 0, v[26:27]
	ds_read2_b64 v[40:43], v35 offset1:1
	v_xor_b32_e32 v45, 0x80000000, v27
	v_xor_b32_e32 v47, 0x80000000, v29
	v_mov_b32_e32 v44, v26
	v_mov_b32_e32 v46, v28
	s_waitcnt lgkmcnt(0)
	v_xor_b32_e32 v49, 0x80000000, v43
	v_cndmask_b32_e32 v47, v29, v47, vcc
	v_cndmask_b32_e64 v45, v27, v45, s[0:1]
	v_cmp_gt_f64_e32 vcc, 0, v[42:43]
	v_cmp_gt_f64_e64 s[0:1], 0, v[40:41]
	v_add_f64 v[44:45], v[44:45], v[46:47]
	v_xor_b32_e32 v47, 0x80000000, v41
	v_mov_b32_e32 v46, v40
	v_mov_b32_e32 v48, v42
	v_add_u32_e32 v35, 16, v35
	v_cndmask_b32_e32 v49, v43, v49, vcc
	v_cndmask_b32_e64 v47, v41, v47, s[0:1]
	v_add_f64 v[46:47], v[46:47], v[48:49]
	v_mov_b32_e32 v48, s2
	s_add_i32 s2, s2, 1
	s_cmp_lg_u32 s16, s2
	v_cmp_lt_f64_e32 vcc, v[44:45], v[46:47]
	v_cndmask_b32_e32 v27, v27, v41, vcc
	v_cndmask_b32_e32 v26, v26, v40, vcc
	;; [unrolled: 1-line block ×5, first 2 shown]
	s_cbranch_scc1 .LBB10_85
.LBB10_86:
	s_waitcnt lgkmcnt(0)
	v_cmp_eq_f64_e32 vcc, 0, v[26:27]
	v_cmp_eq_f64_e64 s[0:1], 0, v[28:29]
	s_and_b64 s[0:1], vcc, s[0:1]
	s_and_saveexec_b64 s[2:3], s[0:1]
	s_xor_b64 s[0:1], exec, s[2:3]
; %bb.87:
	v_cmp_ne_u32_e32 vcc, 0, v39
	v_cndmask_b32_e32 v39, 5, v39, vcc
; %bb.88:
	s_andn2_saveexec_b64 s[0:1], s[0:1]
	s_cbranch_execz .LBB10_94
; %bb.89:
	v_cmp_ngt_f64_e64 s[2:3], |v[26:27]|, |v[28:29]|
	s_and_saveexec_b64 s[4:5], s[2:3]
	s_xor_b64 s[2:3], exec, s[4:5]
	s_cbranch_execz .LBB10_91
; %bb.90:
	v_div_scale_f64 v[40:41], s[4:5], v[28:29], v[28:29], v[26:27]
	v_rcp_f64_e32 v[42:43], v[40:41]
	v_fma_f64 v[44:45], -v[40:41], v[42:43], 1.0
	v_fma_f64 v[42:43], v[42:43], v[44:45], v[42:43]
	v_div_scale_f64 v[44:45], vcc, v[26:27], v[28:29], v[26:27]
	v_fma_f64 v[46:47], -v[40:41], v[42:43], 1.0
	v_fma_f64 v[42:43], v[42:43], v[46:47], v[42:43]
	v_mul_f64 v[46:47], v[44:45], v[42:43]
	v_fma_f64 v[40:41], -v[40:41], v[46:47], v[44:45]
	v_div_fmas_f64 v[40:41], v[40:41], v[42:43], v[46:47]
	v_div_fixup_f64 v[40:41], v[40:41], v[28:29], v[26:27]
	v_fma_f64 v[26:27], v[26:27], v[40:41], v[28:29]
	v_div_scale_f64 v[28:29], s[4:5], v[26:27], v[26:27], 1.0
	v_div_scale_f64 v[46:47], vcc, 1.0, v[26:27], 1.0
	v_rcp_f64_e32 v[42:43], v[28:29]
	v_fma_f64 v[44:45], -v[28:29], v[42:43], 1.0
	v_fma_f64 v[42:43], v[42:43], v[44:45], v[42:43]
	v_fma_f64 v[44:45], -v[28:29], v[42:43], 1.0
	v_fma_f64 v[42:43], v[42:43], v[44:45], v[42:43]
	v_mul_f64 v[44:45], v[46:47], v[42:43]
	v_fma_f64 v[28:29], -v[28:29], v[44:45], v[46:47]
	v_div_fmas_f64 v[28:29], v[28:29], v[42:43], v[44:45]
	v_div_fixup_f64 v[28:29], v[28:29], v[26:27], 1.0
	v_mul_f64 v[26:27], v[40:41], v[28:29]
	v_xor_b32_e32 v29, 0x80000000, v29
.LBB10_91:
	s_andn2_saveexec_b64 s[2:3], s[2:3]
	s_cbranch_execz .LBB10_93
; %bb.92:
	v_div_scale_f64 v[40:41], s[4:5], v[26:27], v[26:27], v[28:29]
	v_rcp_f64_e32 v[42:43], v[40:41]
	v_fma_f64 v[44:45], -v[40:41], v[42:43], 1.0
	v_fma_f64 v[42:43], v[42:43], v[44:45], v[42:43]
	v_div_scale_f64 v[44:45], vcc, v[28:29], v[26:27], v[28:29]
	v_fma_f64 v[46:47], -v[40:41], v[42:43], 1.0
	v_fma_f64 v[42:43], v[42:43], v[46:47], v[42:43]
	v_mul_f64 v[46:47], v[44:45], v[42:43]
	v_fma_f64 v[40:41], -v[40:41], v[46:47], v[44:45]
	v_div_fmas_f64 v[40:41], v[40:41], v[42:43], v[46:47]
	v_div_fixup_f64 v[40:41], v[40:41], v[26:27], v[28:29]
	v_fma_f64 v[26:27], v[28:29], v[40:41], v[26:27]
	v_div_scale_f64 v[28:29], s[4:5], v[26:27], v[26:27], 1.0
	v_div_scale_f64 v[46:47], vcc, 1.0, v[26:27], 1.0
	v_rcp_f64_e32 v[42:43], v[28:29]
	v_fma_f64 v[44:45], -v[28:29], v[42:43], 1.0
	v_fma_f64 v[42:43], v[42:43], v[44:45], v[42:43]
	v_fma_f64 v[44:45], -v[28:29], v[42:43], 1.0
	v_fma_f64 v[42:43], v[42:43], v[44:45], v[42:43]
	v_mul_f64 v[44:45], v[46:47], v[42:43]
	v_fma_f64 v[28:29], -v[28:29], v[44:45], v[46:47]
	v_div_fmas_f64 v[28:29], v[28:29], v[42:43], v[44:45]
	v_div_fixup_f64 v[26:27], v[28:29], v[26:27], 1.0
	v_mul_f64 v[28:29], v[40:41], -v[26:27]
.LBB10_93:
	s_or_b64 exec, exec, s[2:3]
.LBB10_94:
	s_or_b64 exec, exec, s[0:1]
	v_cmp_ne_u32_e32 vcc, v36, v34
	s_and_saveexec_b64 s[0:1], vcc
	s_xor_b64 s[0:1], exec, s[0:1]
	s_cbranch_execz .LBB10_100
; %bb.95:
	v_cmp_eq_u32_e32 vcc, 4, v36
	s_and_saveexec_b64 s[2:3], vcc
	s_cbranch_execz .LBB10_99
; %bb.96:
	v_cmp_ne_u32_e32 vcc, 4, v34
	s_xor_b64 s[4:5], s[18:19], -1
	s_and_b64 s[22:23], s[4:5], vcc
	s_and_saveexec_b64 s[4:5], s[22:23]
	s_cbranch_execz .LBB10_98
; %bb.97:
	v_ashrrev_i32_e32 v35, 31, v34
	v_lshlrev_b64 v[35:36], 2, v[34:35]
	v_add_co_u32_e32 v35, vcc, v32, v35
	v_addc_co_u32_e32 v36, vcc, v33, v36, vcc
	global_load_dword v0, v[35:36], off
	global_load_dword v40, v[32:33], off offset:16
	s_waitcnt vmcnt(1)
	global_store_dword v[32:33], v0, off offset:16
	s_waitcnt vmcnt(1)
	global_store_dword v[35:36], v40, off
.LBB10_98:
	s_or_b64 exec, exec, s[4:5]
	v_mov_b32_e32 v36, v34
	v_mov_b32_e32 v0, v34
.LBB10_99:
	s_or_b64 exec, exec, s[2:3]
.LBB10_100:
	s_andn2_saveexec_b64 s[0:1], s[0:1]
; %bb.101:
	v_mov_b32_e32 v36, 4
	ds_write2_b64 v1, v[22:23], v[24:25] offset0:10 offset1:11
; %bb.102:
	s_or_b64 exec, exec, s[0:1]
	v_cmp_lt_i32_e32 vcc, 4, v36
	s_waitcnt vmcnt(0) lgkmcnt(0)
	s_barrier
	s_and_saveexec_b64 s[0:1], vcc
	s_cbranch_execz .LBB10_104
; %bb.103:
	v_mul_f64 v[34:35], v[26:27], v[4:5]
	v_mul_f64 v[4:5], v[28:29], v[4:5]
	ds_read2_b64 v[40:43], v1 offset0:10 offset1:11
	v_fma_f64 v[28:29], v[28:29], v[2:3], v[34:35]
	v_fma_f64 v[2:3], v[26:27], v[2:3], -v[4:5]
	s_waitcnt lgkmcnt(0)
	v_mul_f64 v[4:5], v[42:43], v[28:29]
	v_mul_f64 v[26:27], v[40:41], v[28:29]
	v_fma_f64 v[4:5], v[40:41], v[2:3], -v[4:5]
	v_fma_f64 v[26:27], v[42:43], v[2:3], v[26:27]
	v_add_f64 v[22:23], v[22:23], -v[4:5]
	v_add_f64 v[24:25], v[24:25], -v[26:27]
	v_mov_b32_e32 v4, v28
	v_mov_b32_e32 v5, v29
.LBB10_104:
	s_or_b64 exec, exec, s[0:1]
	v_lshl_add_u32 v26, v36, 4, v1
	s_barrier
	ds_write2_b64 v26, v[22:23], v[24:25] offset1:1
	s_waitcnt lgkmcnt(0)
	s_barrier
	ds_read2_b64 v[26:29], v1 offset0:10 offset1:11
	s_cmp_lt_i32 s16, 7
	v_mov_b32_e32 v34, 5
	s_cbranch_scc1 .LBB10_107
; %bb.105:
	v_add_u32_e32 v1, 0x60, v1
	s_mov_b32 s2, 6
	v_mov_b32_e32 v34, 5
.LBB10_106:                             ; =>This Inner Loop Header: Depth=1
	s_waitcnt lgkmcnt(0)
	v_cmp_gt_f64_e32 vcc, 0, v[28:29]
	v_cmp_gt_f64_e64 s[0:1], 0, v[26:27]
	ds_read2_b64 v[40:43], v1 offset1:1
	v_xor_b32_e32 v35, 0x80000000, v27
	v_xor_b32_e32 v47, 0x80000000, v29
	v_mov_b32_e32 v44, v26
	v_mov_b32_e32 v46, v28
	s_waitcnt lgkmcnt(0)
	v_xor_b32_e32 v49, 0x80000000, v43
	v_cndmask_b32_e32 v47, v29, v47, vcc
	v_cndmask_b32_e64 v45, v27, v35, s[0:1]
	v_cmp_gt_f64_e32 vcc, 0, v[42:43]
	v_cmp_gt_f64_e64 s[0:1], 0, v[40:41]
	v_xor_b32_e32 v35, 0x80000000, v41
	v_add_f64 v[44:45], v[44:45], v[46:47]
	v_mov_b32_e32 v46, v40
	v_mov_b32_e32 v48, v42
	v_add_u32_e32 v1, 16, v1
	v_cndmask_b32_e32 v49, v43, v49, vcc
	v_cndmask_b32_e64 v47, v41, v35, s[0:1]
	v_add_f64 v[46:47], v[46:47], v[48:49]
	v_mov_b32_e32 v35, s2
	s_add_i32 s2, s2, 1
	s_cmp_lg_u32 s16, s2
	v_cmp_lt_f64_e32 vcc, v[44:45], v[46:47]
	v_cndmask_b32_e32 v27, v27, v41, vcc
	v_cndmask_b32_e32 v26, v26, v40, vcc
	;; [unrolled: 1-line block ×5, first 2 shown]
	s_cbranch_scc1 .LBB10_106
.LBB10_107:
	s_waitcnt lgkmcnt(0)
	v_cmp_eq_f64_e32 vcc, 0, v[26:27]
	v_cmp_eq_f64_e64 s[0:1], 0, v[28:29]
	s_and_b64 s[0:1], vcc, s[0:1]
	s_and_saveexec_b64 s[2:3], s[0:1]
	s_xor_b64 s[0:1], exec, s[2:3]
; %bb.108:
	v_cmp_ne_u32_e32 vcc, 0, v39
	v_cndmask_b32_e32 v39, 6, v39, vcc
; %bb.109:
	s_andn2_saveexec_b64 s[0:1], s[0:1]
	s_cbranch_execz .LBB10_115
; %bb.110:
	v_cmp_ngt_f64_e64 s[2:3], |v[26:27]|, |v[28:29]|
	s_and_saveexec_b64 s[4:5], s[2:3]
	s_xor_b64 s[2:3], exec, s[4:5]
	s_cbranch_execz .LBB10_112
; %bb.111:
	v_div_scale_f64 v[40:41], s[4:5], v[28:29], v[28:29], v[26:27]
	v_rcp_f64_e32 v[42:43], v[40:41]
	v_fma_f64 v[44:45], -v[40:41], v[42:43], 1.0
	v_fma_f64 v[42:43], v[42:43], v[44:45], v[42:43]
	v_div_scale_f64 v[44:45], vcc, v[26:27], v[28:29], v[26:27]
	v_fma_f64 v[46:47], -v[40:41], v[42:43], 1.0
	v_fma_f64 v[42:43], v[42:43], v[46:47], v[42:43]
	v_mul_f64 v[46:47], v[44:45], v[42:43]
	v_fma_f64 v[40:41], -v[40:41], v[46:47], v[44:45]
	v_div_fmas_f64 v[40:41], v[40:41], v[42:43], v[46:47]
	v_div_fixup_f64 v[40:41], v[40:41], v[28:29], v[26:27]
	v_fma_f64 v[26:27], v[26:27], v[40:41], v[28:29]
	v_div_scale_f64 v[28:29], s[4:5], v[26:27], v[26:27], 1.0
	v_div_scale_f64 v[46:47], vcc, 1.0, v[26:27], 1.0
	v_rcp_f64_e32 v[42:43], v[28:29]
	v_fma_f64 v[44:45], -v[28:29], v[42:43], 1.0
	v_fma_f64 v[42:43], v[42:43], v[44:45], v[42:43]
	v_fma_f64 v[44:45], -v[28:29], v[42:43], 1.0
	v_fma_f64 v[42:43], v[42:43], v[44:45], v[42:43]
	v_mul_f64 v[44:45], v[46:47], v[42:43]
	v_fma_f64 v[28:29], -v[28:29], v[44:45], v[46:47]
	v_div_fmas_f64 v[28:29], v[28:29], v[42:43], v[44:45]
	v_div_fixup_f64 v[28:29], v[28:29], v[26:27], 1.0
	v_mul_f64 v[26:27], v[40:41], v[28:29]
	v_xor_b32_e32 v29, 0x80000000, v29
.LBB10_112:
	s_andn2_saveexec_b64 s[2:3], s[2:3]
	s_cbranch_execz .LBB10_114
; %bb.113:
	v_div_scale_f64 v[40:41], s[4:5], v[26:27], v[26:27], v[28:29]
	v_rcp_f64_e32 v[42:43], v[40:41]
	v_fma_f64 v[44:45], -v[40:41], v[42:43], 1.0
	v_fma_f64 v[42:43], v[42:43], v[44:45], v[42:43]
	v_div_scale_f64 v[44:45], vcc, v[28:29], v[26:27], v[28:29]
	v_fma_f64 v[46:47], -v[40:41], v[42:43], 1.0
	v_fma_f64 v[42:43], v[42:43], v[46:47], v[42:43]
	v_mul_f64 v[46:47], v[44:45], v[42:43]
	v_fma_f64 v[40:41], -v[40:41], v[46:47], v[44:45]
	v_div_fmas_f64 v[40:41], v[40:41], v[42:43], v[46:47]
	v_div_fixup_f64 v[40:41], v[40:41], v[26:27], v[28:29]
	v_fma_f64 v[26:27], v[28:29], v[40:41], v[26:27]
	v_div_scale_f64 v[28:29], s[4:5], v[26:27], v[26:27], 1.0
	v_div_scale_f64 v[46:47], vcc, 1.0, v[26:27], 1.0
	v_rcp_f64_e32 v[42:43], v[28:29]
	v_fma_f64 v[44:45], -v[28:29], v[42:43], 1.0
	v_fma_f64 v[42:43], v[42:43], v[44:45], v[42:43]
	v_fma_f64 v[44:45], -v[28:29], v[42:43], 1.0
	v_fma_f64 v[42:43], v[42:43], v[44:45], v[42:43]
	v_mul_f64 v[44:45], v[46:47], v[42:43]
	v_fma_f64 v[28:29], -v[28:29], v[44:45], v[46:47]
	v_div_fmas_f64 v[28:29], v[28:29], v[42:43], v[44:45]
	v_div_fixup_f64 v[26:27], v[28:29], v[26:27], 1.0
	v_mul_f64 v[28:29], v[40:41], -v[26:27]
.LBB10_114:
	s_or_b64 exec, exec, s[2:3]
.LBB10_115:
	s_or_b64 exec, exec, s[0:1]
	v_cmp_ne_u32_e32 vcc, v36, v34
	v_mov_b32_e32 v35, 5
	s_and_saveexec_b64 s[0:1], vcc
	s_cbranch_execz .LBB10_121
; %bb.116:
	v_cmp_eq_u32_e32 vcc, 5, v36
	s_and_saveexec_b64 s[2:3], vcc
	s_cbranch_execz .LBB10_120
; %bb.117:
	v_cmp_ne_u32_e32 vcc, 5, v34
	s_xor_b64 s[4:5], s[18:19], -1
	s_and_b64 s[18:19], s[4:5], vcc
	s_and_saveexec_b64 s[4:5], s[18:19]
	s_cbranch_execz .LBB10_119
; %bb.118:
	v_ashrrev_i32_e32 v35, 31, v34
	v_lshlrev_b64 v[0:1], 2, v[34:35]
	v_add_co_u32_e32 v0, vcc, v32, v0
	v_addc_co_u32_e32 v1, vcc, v33, v1, vcc
	global_load_dword v35, v[0:1], off
	global_load_dword v36, v[32:33], off offset:20
	s_waitcnt vmcnt(1)
	global_store_dword v[32:33], v35, off offset:20
	s_waitcnt vmcnt(1)
	global_store_dword v[0:1], v36, off
.LBB10_119:
	s_or_b64 exec, exec, s[4:5]
	v_mov_b32_e32 v36, v34
	v_mov_b32_e32 v0, v34
.LBB10_120:
	s_or_b64 exec, exec, s[2:3]
	v_mov_b32_e32 v35, v36
.LBB10_121:
	s_or_b64 exec, exec, s[0:1]
	v_cmp_gt_i32_e32 vcc, 6, v35
	v_ashrrev_i32_e32 v36, 31, v35
	s_waitcnt vmcnt(0)
	s_barrier
	s_barrier
	s_and_saveexec_b64 s[0:1], vcc
	s_cbranch_execz .LBB10_123
; %bb.122:
	v_mul_lo_u32 v1, s15, v30
	v_mul_lo_u32 v34, s14, v31
	v_mad_u64_u32 v[32:33], s[2:3], s14, v30, 0
	s_lshl_b64 s[2:3], s[12:13], 2
	v_add3_u32 v0, v0, s17, 1
	v_add3_u32 v33, v33, v34, v1
	v_lshlrev_b64 v[32:33], 2, v[32:33]
	v_mov_b32_e32 v1, s11
	v_add_co_u32_e32 v32, vcc, s10, v32
	v_addc_co_u32_e32 v1, vcc, v1, v33, vcc
	v_mov_b32_e32 v33, s3
	v_add_co_u32_e32 v34, vcc, s2, v32
	v_addc_co_u32_e32 v1, vcc, v1, v33, vcc
	v_lshlrev_b64 v[32:33], 2, v[35:36]
	v_add_co_u32_e32 v32, vcc, v34, v32
	v_addc_co_u32_e32 v33, vcc, v1, v33, vcc
	global_store_dword v[32:33], v0, off
.LBB10_123:
	s_or_b64 exec, exec, s[0:1]
	v_cmp_eq_u32_e32 vcc, 0, v35
	s_and_saveexec_b64 s[2:3], vcc
	s_cbranch_execz .LBB10_126
; %bb.124:
	v_lshlrev_b64 v[0:1], 2, v[30:31]
	v_mov_b32_e32 v30, s21
	v_add_co_u32_e32 v0, vcc, s20, v0
	v_addc_co_u32_e32 v1, vcc, v30, v1, vcc
	global_load_dword v30, v[0:1], off
	v_cmp_ne_u32_e64 s[0:1], 0, v39
	s_waitcnt vmcnt(0)
	v_cmp_eq_u32_e32 vcc, 0, v30
	s_and_b64 s[0:1], vcc, s[0:1]
	s_and_b64 exec, exec, s[0:1]
	s_cbranch_execz .LBB10_126
; %bb.125:
	v_add_u32_e32 v30, s17, v39
	global_store_dword v[0:1], v30, off
.LBB10_126:
	s_or_b64 exec, exec, s[2:3]
	v_mul_f64 v[0:1], v[26:27], v[24:25]
	v_mul_f64 v[30:31], v[28:29], v[24:25]
	v_lshlrev_b64 v[32:33], 4, v[35:36]
	v_mov_b32_e32 v34, s9
	v_fma_f64 v[0:1], v[28:29], v[22:23], v[0:1]
	v_fma_f64 v[26:27], v[26:27], v[22:23], -v[30:31]
	v_add_co_u32_e32 v28, vcc, v37, v32
	v_addc_co_u32_e32 v29, vcc, v38, v33, vcc
	v_cmp_lt_i32_e32 vcc, 5, v35
	global_store_dwordx4 v[28:29], v[14:17], off
	s_nop 0
	v_cndmask_b32_e32 v17, v25, v1, vcc
	v_cndmask_b32_e32 v16, v24, v0, vcc
	;; [unrolled: 1-line block ×4, first 2 shown]
	v_add_co_u32_e32 v0, vcc, s8, v28
	v_addc_co_u32_e32 v1, vcc, v29, v34, vcc
	global_store_dwordx4 v[0:1], v[18:21], off
	v_add_u32_e32 v0, s7, v35
	v_ashrrev_i32_e32 v1, 31, v0
	v_lshlrev_b64 v[18:19], 4, v[0:1]
	v_add_u32_e32 v0, s6, v0
	v_add_co_u32_e32 v18, vcc, v37, v18
	v_addc_co_u32_e32 v19, vcc, v38, v19, vcc
	v_ashrrev_i32_e32 v1, 31, v0
	global_store_dwordx4 v[18:19], v[10:13], off
	s_nop 0
	v_lshlrev_b64 v[10:11], 4, v[0:1]
	v_add_u32_e32 v0, s6, v0
	v_add_co_u32_e32 v10, vcc, v37, v10
	v_addc_co_u32_e32 v11, vcc, v38, v11, vcc
	v_ashrrev_i32_e32 v1, 31, v0
	global_store_dwordx4 v[10:11], v[6:9], off
	s_nop 0
	v_lshlrev_b64 v[6:7], 4, v[0:1]
	v_add_u32_e32 v0, s6, v0
	v_ashrrev_i32_e32 v1, 31, v0
	v_add_co_u32_e32 v6, vcc, v37, v6
	v_lshlrev_b64 v[0:1], 4, v[0:1]
	v_addc_co_u32_e32 v7, vcc, v38, v7, vcc
	v_add_co_u32_e32 v0, vcc, v37, v0
	v_addc_co_u32_e32 v1, vcc, v38, v1, vcc
	global_store_dwordx4 v[6:7], v[2:5], off
	global_store_dwordx4 v[0:1], v[14:17], off
.LBB10_127:
	s_endpgm
	.section	.rodata,"a",@progbits
	.p2align	6, 0x0
	.amdhsa_kernel _ZN9rocsolver6v33100L18getf2_small_kernelILi6E19rocblas_complex_numIdEiiPS3_EEvT1_T3_lS5_lPS5_llPT2_S5_S5_S7_l
		.amdhsa_group_segment_fixed_size 0
		.amdhsa_private_segment_fixed_size 0
		.amdhsa_kernarg_size 352
		.amdhsa_user_sgpr_count 6
		.amdhsa_user_sgpr_private_segment_buffer 1
		.amdhsa_user_sgpr_dispatch_ptr 0
		.amdhsa_user_sgpr_queue_ptr 0
		.amdhsa_user_sgpr_kernarg_segment_ptr 1
		.amdhsa_user_sgpr_dispatch_id 0
		.amdhsa_user_sgpr_flat_scratch_init 0
		.amdhsa_user_sgpr_private_segment_size 0
		.amdhsa_uses_dynamic_stack 0
		.amdhsa_system_sgpr_private_segment_wavefront_offset 0
		.amdhsa_system_sgpr_workgroup_id_x 1
		.amdhsa_system_sgpr_workgroup_id_y 1
		.amdhsa_system_sgpr_workgroup_id_z 0
		.amdhsa_system_sgpr_workgroup_info 0
		.amdhsa_system_vgpr_workitem_id 1
		.amdhsa_next_free_vgpr 59
		.amdhsa_next_free_sgpr 24
		.amdhsa_reserve_vcc 1
		.amdhsa_reserve_flat_scratch 0
		.amdhsa_float_round_mode_32 0
		.amdhsa_float_round_mode_16_64 0
		.amdhsa_float_denorm_mode_32 3
		.amdhsa_float_denorm_mode_16_64 3
		.amdhsa_dx10_clamp 1
		.amdhsa_ieee_mode 1
		.amdhsa_fp16_overflow 0
		.amdhsa_exception_fp_ieee_invalid_op 0
		.amdhsa_exception_fp_denorm_src 0
		.amdhsa_exception_fp_ieee_div_zero 0
		.amdhsa_exception_fp_ieee_overflow 0
		.amdhsa_exception_fp_ieee_underflow 0
		.amdhsa_exception_fp_ieee_inexact 0
		.amdhsa_exception_int_div_zero 0
	.end_amdhsa_kernel
	.section	.text._ZN9rocsolver6v33100L18getf2_small_kernelILi6E19rocblas_complex_numIdEiiPS3_EEvT1_T3_lS5_lPS5_llPT2_S5_S5_S7_l,"axG",@progbits,_ZN9rocsolver6v33100L18getf2_small_kernelILi6E19rocblas_complex_numIdEiiPS3_EEvT1_T3_lS5_lPS5_llPT2_S5_S5_S7_l,comdat
.Lfunc_end10:
	.size	_ZN9rocsolver6v33100L18getf2_small_kernelILi6E19rocblas_complex_numIdEiiPS3_EEvT1_T3_lS5_lPS5_llPT2_S5_S5_S7_l, .Lfunc_end10-_ZN9rocsolver6v33100L18getf2_small_kernelILi6E19rocblas_complex_numIdEiiPS3_EEvT1_T3_lS5_lPS5_llPT2_S5_S5_S7_l
                                        ; -- End function
	.set _ZN9rocsolver6v33100L18getf2_small_kernelILi6E19rocblas_complex_numIdEiiPS3_EEvT1_T3_lS5_lPS5_llPT2_S5_S5_S7_l.num_vgpr, 59
	.set _ZN9rocsolver6v33100L18getf2_small_kernelILi6E19rocblas_complex_numIdEiiPS3_EEvT1_T3_lS5_lPS5_llPT2_S5_S5_S7_l.num_agpr, 0
	.set _ZN9rocsolver6v33100L18getf2_small_kernelILi6E19rocblas_complex_numIdEiiPS3_EEvT1_T3_lS5_lPS5_llPT2_S5_S5_S7_l.numbered_sgpr, 24
	.set _ZN9rocsolver6v33100L18getf2_small_kernelILi6E19rocblas_complex_numIdEiiPS3_EEvT1_T3_lS5_lPS5_llPT2_S5_S5_S7_l.num_named_barrier, 0
	.set _ZN9rocsolver6v33100L18getf2_small_kernelILi6E19rocblas_complex_numIdEiiPS3_EEvT1_T3_lS5_lPS5_llPT2_S5_S5_S7_l.private_seg_size, 0
	.set _ZN9rocsolver6v33100L18getf2_small_kernelILi6E19rocblas_complex_numIdEiiPS3_EEvT1_T3_lS5_lPS5_llPT2_S5_S5_S7_l.uses_vcc, 1
	.set _ZN9rocsolver6v33100L18getf2_small_kernelILi6E19rocblas_complex_numIdEiiPS3_EEvT1_T3_lS5_lPS5_llPT2_S5_S5_S7_l.uses_flat_scratch, 0
	.set _ZN9rocsolver6v33100L18getf2_small_kernelILi6E19rocblas_complex_numIdEiiPS3_EEvT1_T3_lS5_lPS5_llPT2_S5_S5_S7_l.has_dyn_sized_stack, 0
	.set _ZN9rocsolver6v33100L18getf2_small_kernelILi6E19rocblas_complex_numIdEiiPS3_EEvT1_T3_lS5_lPS5_llPT2_S5_S5_S7_l.has_recursion, 0
	.set _ZN9rocsolver6v33100L18getf2_small_kernelILi6E19rocblas_complex_numIdEiiPS3_EEvT1_T3_lS5_lPS5_llPT2_S5_S5_S7_l.has_indirect_call, 0
	.section	.AMDGPU.csdata,"",@progbits
; Kernel info:
; codeLenInByte = 7228
; TotalNumSgprs: 28
; NumVgprs: 59
; ScratchSize: 0
; MemoryBound: 0
; FloatMode: 240
; IeeeMode: 1
; LDSByteSize: 0 bytes/workgroup (compile time only)
; SGPRBlocks: 3
; VGPRBlocks: 14
; NumSGPRsForWavesPerEU: 28
; NumVGPRsForWavesPerEU: 59
; Occupancy: 4
; WaveLimiterHint : 0
; COMPUTE_PGM_RSRC2:SCRATCH_EN: 0
; COMPUTE_PGM_RSRC2:USER_SGPR: 6
; COMPUTE_PGM_RSRC2:TRAP_HANDLER: 0
; COMPUTE_PGM_RSRC2:TGID_X_EN: 1
; COMPUTE_PGM_RSRC2:TGID_Y_EN: 1
; COMPUTE_PGM_RSRC2:TGID_Z_EN: 0
; COMPUTE_PGM_RSRC2:TIDIG_COMP_CNT: 1
	.section	.text._ZN9rocsolver6v33100L23getf2_npvt_small_kernelILi6E19rocblas_complex_numIdEiiPS3_EEvT1_T3_lS5_lPT2_S5_S5_,"axG",@progbits,_ZN9rocsolver6v33100L23getf2_npvt_small_kernelILi6E19rocblas_complex_numIdEiiPS3_EEvT1_T3_lS5_lPT2_S5_S5_,comdat
	.globl	_ZN9rocsolver6v33100L23getf2_npvt_small_kernelILi6E19rocblas_complex_numIdEiiPS3_EEvT1_T3_lS5_lPT2_S5_S5_ ; -- Begin function _ZN9rocsolver6v33100L23getf2_npvt_small_kernelILi6E19rocblas_complex_numIdEiiPS3_EEvT1_T3_lS5_lPT2_S5_S5_
	.p2align	8
	.type	_ZN9rocsolver6v33100L23getf2_npvt_small_kernelILi6E19rocblas_complex_numIdEiiPS3_EEvT1_T3_lS5_lPT2_S5_S5_,@function
_ZN9rocsolver6v33100L23getf2_npvt_small_kernelILi6E19rocblas_complex_numIdEiiPS3_EEvT1_T3_lS5_lPT2_S5_S5_: ; @_ZN9rocsolver6v33100L23getf2_npvt_small_kernelILi6E19rocblas_complex_numIdEiiPS3_EEvT1_T3_lS5_lPT2_S5_S5_
; %bb.0:
	s_load_dword s0, s[4:5], 0x44
	s_load_dwordx2 s[22:23], s[4:5], 0x30
	s_waitcnt lgkmcnt(0)
	s_lshr_b32 s2, s0, 16
	s_mul_i32 s7, s7, s2
	v_add_u32_e32 v56, s7, v1
	v_cmp_gt_i32_e32 vcc, s22, v56
	s_and_saveexec_b64 s[0:1], vcc
	s_cbranch_execz .LBB11_57
; %bb.1:
	s_load_dwordx4 s[8:11], s[4:5], 0x20
	s_load_dword s0, s[4:5], 0x18
	v_ashrrev_i32_e32 v57, 31, v56
	s_load_dwordx4 s[12:15], s[4:5], 0x8
	s_mulk_i32 s2, 0x60
	s_waitcnt lgkmcnt(0)
	v_mul_lo_u32 v4, s9, v56
	v_mul_lo_u32 v5, s8, v57
	v_mad_u64_u32 v[2:3], s[6:7], s8, v56, 0
	s_lshl_b64 s[4:5], s[14:15], 4
	s_ashr_i32 s1, s0, 31
	v_add3_u32 v3, v3, v5, v4
	v_lshlrev_b64 v[2:3], 4, v[2:3]
	v_mov_b32_e32 v4, s13
	v_add_co_u32_e32 v2, vcc, s12, v2
	v_addc_co_u32_e32 v3, vcc, v4, v3, vcc
	v_mov_b32_e32 v4, s5
	v_add_co_u32_e32 v5, vcc, s4, v2
	v_addc_co_u32_e32 v6, vcc, v3, v4, vcc
	v_lshlrev_b32_e32 v2, 4, v0
	v_add_co_u32_e32 v50, vcc, v5, v2
	v_addc_co_u32_e32 v51, vcc, 0, v6, vcc
	s_lshl_b64 s[4:5], s[0:1], 4
	v_mov_b32_e32 v2, s5
	v_add_co_u32_e32 v52, vcc, s4, v50
	s_add_i32 s1, s0, s0
	v_addc_co_u32_e32 v53, vcc, v51, v2, vcc
	v_add_u32_e32 v2, s1, v0
	v_ashrrev_i32_e32 v3, 31, v2
	v_lshlrev_b64 v[3:4], 4, v[2:3]
	v_add_u32_e32 v2, s0, v2
	v_add_co_u32_e32 v54, vcc, v5, v3
	v_ashrrev_i32_e32 v3, 31, v2
	v_addc_co_u32_e32 v55, vcc, v6, v4, vcc
	v_lshlrev_b64 v[3:4], 4, v[2:3]
	v_add_u32_e32 v2, s0, v2
	v_add_co_u32_e32 v58, vcc, v5, v3
	v_ashrrev_i32_e32 v3, 31, v2
	v_addc_co_u32_e32 v59, vcc, v6, v4, vcc
	v_lshlrev_b64 v[3:4], 4, v[2:3]
	v_add_u32_e32 v2, s0, v2
	v_add_co_u32_e32 v60, vcc, v5, v3
	v_ashrrev_i32_e32 v3, 31, v2
	v_lshlrev_b64 v[2:3], 4, v[2:3]
	v_addc_co_u32_e32 v61, vcc, v6, v4, vcc
	v_add_co_u32_e32 v62, vcc, v5, v2
	v_addc_co_u32_e32 v63, vcc, v6, v3, vcc
	global_load_dwordx4 v[22:25], v[50:51], off
	global_load_dwordx4 v[18:21], v[52:53], off
	;; [unrolled: 1-line block ×6, first 2 shown]
	s_movk_i32 s0, 0x60
	s_add_i32 s1, s2, 0
	v_mad_u32_u24 v64, v1, s0, 0
	v_lshl_add_u32 v1, v1, 4, s1
	v_cmp_ne_u32_e64 s[2:3], 0, v0
	v_cmp_eq_u32_e64 s[0:1], 0, v0
	s_and_saveexec_b64 s[6:7], s[0:1]
	s_cbranch_execz .LBB11_8
; %bb.2:
	s_waitcnt vmcnt(5)
	ds_write2_b64 v1, v[22:23], v[24:25] offset1:1
	s_waitcnt vmcnt(4)
	ds_write2_b64 v64, v[18:19], v[20:21] offset0:2 offset1:3
	s_waitcnt vmcnt(3)
	ds_write2_b64 v64, v[14:15], v[16:17] offset0:4 offset1:5
	;; [unrolled: 2-line block ×5, first 2 shown]
	ds_read2_b64 v[26:29], v1 offset1:1
	s_waitcnt lgkmcnt(0)
	v_cmp_neq_f64_e32 vcc, 0, v[26:27]
	v_cmp_neq_f64_e64 s[4:5], 0, v[28:29]
	s_or_b64 s[4:5], vcc, s[4:5]
	s_and_b64 exec, exec, s[4:5]
	s_cbranch_execz .LBB11_8
; %bb.3:
	v_cmp_ngt_f64_e64 s[4:5], |v[26:27]|, |v[28:29]|
                                        ; implicit-def: $vgpr30_vgpr31
	s_and_saveexec_b64 s[8:9], s[4:5]
	s_xor_b64 s[4:5], exec, s[8:9]
                                        ; implicit-def: $vgpr32_vgpr33
	s_cbranch_execz .LBB11_5
; %bb.4:
	v_div_scale_f64 v[30:31], s[8:9], v[28:29], v[28:29], v[26:27]
	v_rcp_f64_e32 v[32:33], v[30:31]
	v_fma_f64 v[34:35], -v[30:31], v[32:33], 1.0
	v_fma_f64 v[32:33], v[32:33], v[34:35], v[32:33]
	v_div_scale_f64 v[34:35], vcc, v[26:27], v[28:29], v[26:27]
	v_fma_f64 v[36:37], -v[30:31], v[32:33], 1.0
	v_fma_f64 v[32:33], v[32:33], v[36:37], v[32:33]
	v_mul_f64 v[36:37], v[34:35], v[32:33]
	v_fma_f64 v[30:31], -v[30:31], v[36:37], v[34:35]
	v_div_fmas_f64 v[30:31], v[30:31], v[32:33], v[36:37]
	v_div_fixup_f64 v[30:31], v[30:31], v[28:29], v[26:27]
	v_fma_f64 v[26:27], v[26:27], v[30:31], v[28:29]
	v_div_scale_f64 v[28:29], s[8:9], v[26:27], v[26:27], 1.0
	v_div_scale_f64 v[36:37], vcc, 1.0, v[26:27], 1.0
	v_rcp_f64_e32 v[32:33], v[28:29]
	v_fma_f64 v[34:35], -v[28:29], v[32:33], 1.0
	v_fma_f64 v[32:33], v[32:33], v[34:35], v[32:33]
	v_fma_f64 v[34:35], -v[28:29], v[32:33], 1.0
	v_fma_f64 v[32:33], v[32:33], v[34:35], v[32:33]
	v_mul_f64 v[34:35], v[36:37], v[32:33]
	v_fma_f64 v[28:29], -v[28:29], v[34:35], v[36:37]
	v_div_fmas_f64 v[28:29], v[28:29], v[32:33], v[34:35]
	v_div_fixup_f64 v[32:33], v[28:29], v[26:27], 1.0
                                        ; implicit-def: $vgpr26_vgpr27
	v_mul_f64 v[30:31], v[30:31], v[32:33]
	v_xor_b32_e32 v33, 0x80000000, v33
.LBB11_5:
	s_andn2_saveexec_b64 s[4:5], s[4:5]
	s_cbranch_execz .LBB11_7
; %bb.6:
	v_div_scale_f64 v[30:31], s[8:9], v[26:27], v[26:27], v[28:29]
	v_rcp_f64_e32 v[32:33], v[30:31]
	v_fma_f64 v[34:35], -v[30:31], v[32:33], 1.0
	v_fma_f64 v[32:33], v[32:33], v[34:35], v[32:33]
	v_div_scale_f64 v[34:35], vcc, v[28:29], v[26:27], v[28:29]
	v_fma_f64 v[36:37], -v[30:31], v[32:33], 1.0
	v_fma_f64 v[32:33], v[32:33], v[36:37], v[32:33]
	v_mul_f64 v[36:37], v[34:35], v[32:33]
	v_fma_f64 v[30:31], -v[30:31], v[36:37], v[34:35]
	v_div_fmas_f64 v[30:31], v[30:31], v[32:33], v[36:37]
	v_div_fixup_f64 v[32:33], v[30:31], v[26:27], v[28:29]
	v_fma_f64 v[26:27], v[28:29], v[32:33], v[26:27]
	v_div_scale_f64 v[28:29], s[8:9], v[26:27], v[26:27], 1.0
	v_div_scale_f64 v[36:37], vcc, 1.0, v[26:27], 1.0
	v_rcp_f64_e32 v[30:31], v[28:29]
	v_fma_f64 v[34:35], -v[28:29], v[30:31], 1.0
	v_fma_f64 v[30:31], v[30:31], v[34:35], v[30:31]
	v_fma_f64 v[34:35], -v[28:29], v[30:31], 1.0
	v_fma_f64 v[30:31], v[30:31], v[34:35], v[30:31]
	v_mul_f64 v[34:35], v[36:37], v[30:31]
	v_fma_f64 v[28:29], -v[28:29], v[34:35], v[36:37]
	v_div_fmas_f64 v[28:29], v[28:29], v[30:31], v[34:35]
	v_div_fixup_f64 v[30:31], v[28:29], v[26:27], 1.0
	v_mul_f64 v[32:33], v[32:33], -v[30:31]
.LBB11_7:
	s_or_b64 exec, exec, s[4:5]
	ds_write2_b64 v1, v[30:31], v[32:33] offset1:1
.LBB11_8:
	s_or_b64 exec, exec, s[6:7]
	s_waitcnt vmcnt(0) lgkmcnt(0)
	s_barrier
	ds_read2_b64 v[26:29], v1 offset1:1
	s_and_saveexec_b64 s[4:5], s[2:3]
	s_cbranch_execz .LBB11_10
; %bb.9:
	s_waitcnt lgkmcnt(0)
	v_mul_f64 v[30:31], v[26:27], v[24:25]
	v_mul_f64 v[24:25], v[28:29], v[24:25]
	v_fma_f64 v[34:35], v[28:29], v[22:23], v[30:31]
	ds_read2_b64 v[30:33], v64 offset0:2 offset1:3
	v_fma_f64 v[22:23], v[26:27], v[22:23], -v[24:25]
	s_waitcnt lgkmcnt(0)
	v_mul_f64 v[24:25], v[32:33], v[34:35]
	v_fma_f64 v[24:25], v[30:31], v[22:23], -v[24:25]
	v_mul_f64 v[30:31], v[30:31], v[34:35]
	v_add_f64 v[18:19], v[18:19], -v[24:25]
	v_fma_f64 v[30:31], v[32:33], v[22:23], v[30:31]
	v_add_f64 v[20:21], v[20:21], -v[30:31]
	ds_read2_b64 v[30:33], v64 offset0:4 offset1:5
	s_waitcnt lgkmcnt(0)
	v_mul_f64 v[24:25], v[32:33], v[34:35]
	v_fma_f64 v[24:25], v[30:31], v[22:23], -v[24:25]
	v_mul_f64 v[30:31], v[30:31], v[34:35]
	v_add_f64 v[14:15], v[14:15], -v[24:25]
	v_fma_f64 v[30:31], v[32:33], v[22:23], v[30:31]
	v_add_f64 v[16:17], v[16:17], -v[30:31]
	ds_read2_b64 v[30:33], v64 offset0:6 offset1:7
	;; [unrolled: 8-line block ×4, first 2 shown]
	s_waitcnt lgkmcnt(0)
	v_mul_f64 v[24:25], v[32:33], v[34:35]
	v_fma_f64 v[24:25], v[30:31], v[22:23], -v[24:25]
	v_mul_f64 v[30:31], v[30:31], v[34:35]
	v_add_f64 v[6:7], v[6:7], -v[24:25]
	v_fma_f64 v[30:31], v[32:33], v[22:23], v[30:31]
	v_mov_b32_e32 v24, v34
	v_mov_b32_e32 v25, v35
	v_add_f64 v[8:9], v[8:9], -v[30:31]
.LBB11_10:
	s_or_b64 exec, exec, s[4:5]
	v_cmp_eq_u32_e32 vcc, 1, v0
	s_waitcnt lgkmcnt(0)
	s_barrier
	s_and_saveexec_b64 s[4:5], vcc
	s_cbranch_execz .LBB11_17
; %bb.11:
	ds_write2_b64 v1, v[18:19], v[20:21] offset1:1
	ds_write2_b64 v64, v[14:15], v[16:17] offset0:4 offset1:5
	ds_write2_b64 v64, v[10:11], v[12:13] offset0:6 offset1:7
	;; [unrolled: 1-line block ×4, first 2 shown]
	ds_read2_b64 v[30:33], v1 offset1:1
	s_waitcnt lgkmcnt(0)
	v_cmp_neq_f64_e32 vcc, 0, v[30:31]
	v_cmp_neq_f64_e64 s[2:3], 0, v[32:33]
	s_or_b64 s[2:3], vcc, s[2:3]
	s_and_b64 exec, exec, s[2:3]
	s_cbranch_execz .LBB11_17
; %bb.12:
	v_cmp_ngt_f64_e64 s[2:3], |v[30:31]|, |v[32:33]|
                                        ; implicit-def: $vgpr34_vgpr35
	s_and_saveexec_b64 s[6:7], s[2:3]
	s_xor_b64 s[2:3], exec, s[6:7]
                                        ; implicit-def: $vgpr36_vgpr37
	s_cbranch_execz .LBB11_14
; %bb.13:
	v_div_scale_f64 v[34:35], s[6:7], v[32:33], v[32:33], v[30:31]
	v_rcp_f64_e32 v[36:37], v[34:35]
	v_fma_f64 v[38:39], -v[34:35], v[36:37], 1.0
	v_fma_f64 v[36:37], v[36:37], v[38:39], v[36:37]
	v_div_scale_f64 v[38:39], vcc, v[30:31], v[32:33], v[30:31]
	v_fma_f64 v[40:41], -v[34:35], v[36:37], 1.0
	v_fma_f64 v[36:37], v[36:37], v[40:41], v[36:37]
	v_mul_f64 v[40:41], v[38:39], v[36:37]
	v_fma_f64 v[34:35], -v[34:35], v[40:41], v[38:39]
	v_div_fmas_f64 v[34:35], v[34:35], v[36:37], v[40:41]
	v_div_fixup_f64 v[34:35], v[34:35], v[32:33], v[30:31]
	v_fma_f64 v[30:31], v[30:31], v[34:35], v[32:33]
	v_div_scale_f64 v[32:33], s[6:7], v[30:31], v[30:31], 1.0
	v_div_scale_f64 v[40:41], vcc, 1.0, v[30:31], 1.0
	v_rcp_f64_e32 v[36:37], v[32:33]
	v_fma_f64 v[38:39], -v[32:33], v[36:37], 1.0
	v_fma_f64 v[36:37], v[36:37], v[38:39], v[36:37]
	v_fma_f64 v[38:39], -v[32:33], v[36:37], 1.0
	v_fma_f64 v[36:37], v[36:37], v[38:39], v[36:37]
	v_mul_f64 v[38:39], v[40:41], v[36:37]
	v_fma_f64 v[32:33], -v[32:33], v[38:39], v[40:41]
	v_div_fmas_f64 v[32:33], v[32:33], v[36:37], v[38:39]
	v_div_fixup_f64 v[36:37], v[32:33], v[30:31], 1.0
                                        ; implicit-def: $vgpr30_vgpr31
	v_mul_f64 v[34:35], v[34:35], v[36:37]
	v_xor_b32_e32 v37, 0x80000000, v37
.LBB11_14:
	s_andn2_saveexec_b64 s[2:3], s[2:3]
	s_cbranch_execz .LBB11_16
; %bb.15:
	v_div_scale_f64 v[34:35], s[6:7], v[30:31], v[30:31], v[32:33]
	v_rcp_f64_e32 v[36:37], v[34:35]
	v_fma_f64 v[38:39], -v[34:35], v[36:37], 1.0
	v_fma_f64 v[36:37], v[36:37], v[38:39], v[36:37]
	v_div_scale_f64 v[38:39], vcc, v[32:33], v[30:31], v[32:33]
	v_fma_f64 v[40:41], -v[34:35], v[36:37], 1.0
	v_fma_f64 v[36:37], v[36:37], v[40:41], v[36:37]
	v_mul_f64 v[40:41], v[38:39], v[36:37]
	v_fma_f64 v[34:35], -v[34:35], v[40:41], v[38:39]
	v_div_fmas_f64 v[34:35], v[34:35], v[36:37], v[40:41]
	v_div_fixup_f64 v[36:37], v[34:35], v[30:31], v[32:33]
	v_fma_f64 v[30:31], v[32:33], v[36:37], v[30:31]
	v_div_scale_f64 v[32:33], s[6:7], v[30:31], v[30:31], 1.0
	v_div_scale_f64 v[40:41], vcc, 1.0, v[30:31], 1.0
	v_rcp_f64_e32 v[34:35], v[32:33]
	v_fma_f64 v[38:39], -v[32:33], v[34:35], 1.0
	v_fma_f64 v[34:35], v[34:35], v[38:39], v[34:35]
	v_fma_f64 v[38:39], -v[32:33], v[34:35], 1.0
	v_fma_f64 v[34:35], v[34:35], v[38:39], v[34:35]
	v_mul_f64 v[38:39], v[40:41], v[34:35]
	v_fma_f64 v[32:33], -v[32:33], v[38:39], v[40:41]
	v_div_fmas_f64 v[32:33], v[32:33], v[34:35], v[38:39]
	v_div_fixup_f64 v[34:35], v[32:33], v[30:31], 1.0
	v_mul_f64 v[36:37], v[36:37], -v[34:35]
.LBB11_16:
	s_or_b64 exec, exec, s[2:3]
	ds_write2_b64 v1, v[34:35], v[36:37] offset1:1
.LBB11_17:
	s_or_b64 exec, exec, s[4:5]
	s_waitcnt lgkmcnt(0)
	s_barrier
	ds_read2_b64 v[30:33], v1 offset1:1
	v_cmp_lt_u32_e32 vcc, 1, v0
	s_and_saveexec_b64 s[2:3], vcc
	s_cbranch_execz .LBB11_19
; %bb.18:
	s_waitcnt lgkmcnt(0)
	v_mul_f64 v[34:35], v[30:31], v[20:21]
	v_mul_f64 v[20:21], v[32:33], v[20:21]
	v_fma_f64 v[65:66], v[32:33], v[18:19], v[34:35]
	ds_read2_b64 v[34:37], v64 offset0:4 offset1:5
	ds_read2_b64 v[38:41], v64 offset0:6 offset1:7
	;; [unrolled: 1-line block ×4, first 2 shown]
	v_fma_f64 v[18:19], v[30:31], v[18:19], -v[20:21]
	s_waitcnt lgkmcnt(3)
	v_mul_f64 v[20:21], v[36:37], v[65:66]
	v_mul_f64 v[67:68], v[34:35], v[65:66]
	s_waitcnt lgkmcnt(2)
	v_mul_f64 v[69:70], v[40:41], v[65:66]
	v_mul_f64 v[71:72], v[38:39], v[65:66]
	;; [unrolled: 3-line block ×4, first 2 shown]
	v_fma_f64 v[20:21], v[34:35], v[18:19], -v[20:21]
	v_fma_f64 v[34:35], v[36:37], v[18:19], v[67:68]
	v_fma_f64 v[36:37], v[38:39], v[18:19], -v[69:70]
	v_fma_f64 v[38:39], v[40:41], v[18:19], v[71:72]
	;; [unrolled: 2-line block ×4, first 2 shown]
	v_add_f64 v[14:15], v[14:15], -v[20:21]
	v_add_f64 v[16:17], v[16:17], -v[34:35]
	;; [unrolled: 1-line block ×8, first 2 shown]
	v_mov_b32_e32 v20, v65
	v_mov_b32_e32 v21, v66
.LBB11_19:
	s_or_b64 exec, exec, s[2:3]
	v_cmp_eq_u32_e32 vcc, 2, v0
	s_waitcnt lgkmcnt(0)
	s_barrier
	s_and_saveexec_b64 s[4:5], vcc
	s_cbranch_execz .LBB11_26
; %bb.20:
	ds_write2_b64 v1, v[14:15], v[16:17] offset1:1
	ds_write2_b64 v64, v[10:11], v[12:13] offset0:6 offset1:7
	ds_write2_b64 v64, v[2:3], v[4:5] offset0:8 offset1:9
	;; [unrolled: 1-line block ×3, first 2 shown]
	ds_read2_b64 v[34:37], v1 offset1:1
	s_waitcnt lgkmcnt(0)
	v_cmp_neq_f64_e32 vcc, 0, v[34:35]
	v_cmp_neq_f64_e64 s[2:3], 0, v[36:37]
	s_or_b64 s[2:3], vcc, s[2:3]
	s_and_b64 exec, exec, s[2:3]
	s_cbranch_execz .LBB11_26
; %bb.21:
	v_cmp_ngt_f64_e64 s[2:3], |v[34:35]|, |v[36:37]|
                                        ; implicit-def: $vgpr38_vgpr39
	s_and_saveexec_b64 s[6:7], s[2:3]
	s_xor_b64 s[2:3], exec, s[6:7]
                                        ; implicit-def: $vgpr40_vgpr41
	s_cbranch_execz .LBB11_23
; %bb.22:
	v_div_scale_f64 v[38:39], s[6:7], v[36:37], v[36:37], v[34:35]
	v_rcp_f64_e32 v[40:41], v[38:39]
	v_fma_f64 v[42:43], -v[38:39], v[40:41], 1.0
	v_fma_f64 v[40:41], v[40:41], v[42:43], v[40:41]
	v_div_scale_f64 v[42:43], vcc, v[34:35], v[36:37], v[34:35]
	v_fma_f64 v[44:45], -v[38:39], v[40:41], 1.0
	v_fma_f64 v[40:41], v[40:41], v[44:45], v[40:41]
	v_mul_f64 v[44:45], v[42:43], v[40:41]
	v_fma_f64 v[38:39], -v[38:39], v[44:45], v[42:43]
	v_div_fmas_f64 v[38:39], v[38:39], v[40:41], v[44:45]
	v_div_fixup_f64 v[38:39], v[38:39], v[36:37], v[34:35]
	v_fma_f64 v[34:35], v[34:35], v[38:39], v[36:37]
	v_div_scale_f64 v[36:37], s[6:7], v[34:35], v[34:35], 1.0
	v_div_scale_f64 v[44:45], vcc, 1.0, v[34:35], 1.0
	v_rcp_f64_e32 v[40:41], v[36:37]
	v_fma_f64 v[42:43], -v[36:37], v[40:41], 1.0
	v_fma_f64 v[40:41], v[40:41], v[42:43], v[40:41]
	v_fma_f64 v[42:43], -v[36:37], v[40:41], 1.0
	v_fma_f64 v[40:41], v[40:41], v[42:43], v[40:41]
	v_mul_f64 v[42:43], v[44:45], v[40:41]
	v_fma_f64 v[36:37], -v[36:37], v[42:43], v[44:45]
	v_div_fmas_f64 v[36:37], v[36:37], v[40:41], v[42:43]
	v_div_fixup_f64 v[40:41], v[36:37], v[34:35], 1.0
                                        ; implicit-def: $vgpr34_vgpr35
	v_mul_f64 v[38:39], v[38:39], v[40:41]
	v_xor_b32_e32 v41, 0x80000000, v41
.LBB11_23:
	s_andn2_saveexec_b64 s[2:3], s[2:3]
	s_cbranch_execz .LBB11_25
; %bb.24:
	v_div_scale_f64 v[38:39], s[6:7], v[34:35], v[34:35], v[36:37]
	v_rcp_f64_e32 v[40:41], v[38:39]
	v_fma_f64 v[42:43], -v[38:39], v[40:41], 1.0
	v_fma_f64 v[40:41], v[40:41], v[42:43], v[40:41]
	v_div_scale_f64 v[42:43], vcc, v[36:37], v[34:35], v[36:37]
	v_fma_f64 v[44:45], -v[38:39], v[40:41], 1.0
	v_fma_f64 v[40:41], v[40:41], v[44:45], v[40:41]
	v_mul_f64 v[44:45], v[42:43], v[40:41]
	v_fma_f64 v[38:39], -v[38:39], v[44:45], v[42:43]
	v_div_fmas_f64 v[38:39], v[38:39], v[40:41], v[44:45]
	v_div_fixup_f64 v[40:41], v[38:39], v[34:35], v[36:37]
	v_fma_f64 v[34:35], v[36:37], v[40:41], v[34:35]
	v_div_scale_f64 v[36:37], s[6:7], v[34:35], v[34:35], 1.0
	v_div_scale_f64 v[44:45], vcc, 1.0, v[34:35], 1.0
	v_rcp_f64_e32 v[38:39], v[36:37]
	v_fma_f64 v[42:43], -v[36:37], v[38:39], 1.0
	v_fma_f64 v[38:39], v[38:39], v[42:43], v[38:39]
	v_fma_f64 v[42:43], -v[36:37], v[38:39], 1.0
	v_fma_f64 v[38:39], v[38:39], v[42:43], v[38:39]
	v_mul_f64 v[42:43], v[44:45], v[38:39]
	v_fma_f64 v[36:37], -v[36:37], v[42:43], v[44:45]
	v_div_fmas_f64 v[36:37], v[36:37], v[38:39], v[42:43]
	v_div_fixup_f64 v[38:39], v[36:37], v[34:35], 1.0
	v_mul_f64 v[40:41], v[40:41], -v[38:39]
.LBB11_25:
	s_or_b64 exec, exec, s[2:3]
	ds_write2_b64 v1, v[38:39], v[40:41] offset1:1
.LBB11_26:
	s_or_b64 exec, exec, s[4:5]
	s_waitcnt lgkmcnt(0)
	s_barrier
	ds_read2_b64 v[34:37], v1 offset1:1
	v_cmp_lt_u32_e32 vcc, 2, v0
	s_and_saveexec_b64 s[2:3], vcc
	s_cbranch_execz .LBB11_28
; %bb.27:
	s_waitcnt lgkmcnt(0)
	v_mul_f64 v[38:39], v[34:35], v[16:17]
	v_mul_f64 v[16:17], v[36:37], v[16:17]
	v_fma_f64 v[42:43], v[36:37], v[14:15], v[38:39]
	ds_read2_b64 v[38:41], v64 offset0:6 offset1:7
	v_fma_f64 v[14:15], v[34:35], v[14:15], -v[16:17]
	s_waitcnt lgkmcnt(0)
	v_mul_f64 v[16:17], v[40:41], v[42:43]
	v_fma_f64 v[16:17], v[38:39], v[14:15], -v[16:17]
	v_mul_f64 v[38:39], v[38:39], v[42:43]
	v_add_f64 v[10:11], v[10:11], -v[16:17]
	v_fma_f64 v[38:39], v[40:41], v[14:15], v[38:39]
	v_add_f64 v[12:13], v[12:13], -v[38:39]
	ds_read2_b64 v[38:41], v64 offset0:8 offset1:9
	s_waitcnt lgkmcnt(0)
	v_mul_f64 v[16:17], v[40:41], v[42:43]
	v_fma_f64 v[16:17], v[38:39], v[14:15], -v[16:17]
	v_mul_f64 v[38:39], v[38:39], v[42:43]
	v_add_f64 v[2:3], v[2:3], -v[16:17]
	v_fma_f64 v[38:39], v[40:41], v[14:15], v[38:39]
	v_add_f64 v[4:5], v[4:5], -v[38:39]
	ds_read2_b64 v[38:41], v64 offset0:10 offset1:11
	s_waitcnt lgkmcnt(0)
	v_mul_f64 v[16:17], v[40:41], v[42:43]
	v_fma_f64 v[16:17], v[38:39], v[14:15], -v[16:17]
	v_mul_f64 v[38:39], v[38:39], v[42:43]
	v_add_f64 v[6:7], v[6:7], -v[16:17]
	v_fma_f64 v[38:39], v[40:41], v[14:15], v[38:39]
	v_mov_b32_e32 v16, v42
	v_mov_b32_e32 v17, v43
	v_add_f64 v[8:9], v[8:9], -v[38:39]
.LBB11_28:
	s_or_b64 exec, exec, s[2:3]
	v_cmp_eq_u32_e32 vcc, 3, v0
	s_waitcnt lgkmcnt(0)
	s_barrier
	s_and_saveexec_b64 s[4:5], vcc
	s_cbranch_execz .LBB11_35
; %bb.29:
	ds_write2_b64 v1, v[10:11], v[12:13] offset1:1
	ds_write2_b64 v64, v[2:3], v[4:5] offset0:8 offset1:9
	ds_write2_b64 v64, v[6:7], v[8:9] offset0:10 offset1:11
	ds_read2_b64 v[38:41], v1 offset1:1
	s_waitcnt lgkmcnt(0)
	v_cmp_neq_f64_e32 vcc, 0, v[38:39]
	v_cmp_neq_f64_e64 s[2:3], 0, v[40:41]
	s_or_b64 s[2:3], vcc, s[2:3]
	s_and_b64 exec, exec, s[2:3]
	s_cbranch_execz .LBB11_35
; %bb.30:
	v_cmp_ngt_f64_e64 s[2:3], |v[38:39]|, |v[40:41]|
                                        ; implicit-def: $vgpr42_vgpr43
	s_and_saveexec_b64 s[6:7], s[2:3]
	s_xor_b64 s[2:3], exec, s[6:7]
                                        ; implicit-def: $vgpr44_vgpr45
	s_cbranch_execz .LBB11_32
; %bb.31:
	v_div_scale_f64 v[42:43], s[6:7], v[40:41], v[40:41], v[38:39]
	v_rcp_f64_e32 v[44:45], v[42:43]
	v_fma_f64 v[46:47], -v[42:43], v[44:45], 1.0
	v_fma_f64 v[44:45], v[44:45], v[46:47], v[44:45]
	v_div_scale_f64 v[46:47], vcc, v[38:39], v[40:41], v[38:39]
	v_fma_f64 v[48:49], -v[42:43], v[44:45], 1.0
	v_fma_f64 v[44:45], v[44:45], v[48:49], v[44:45]
	v_mul_f64 v[48:49], v[46:47], v[44:45]
	v_fma_f64 v[42:43], -v[42:43], v[48:49], v[46:47]
	v_div_fmas_f64 v[42:43], v[42:43], v[44:45], v[48:49]
	v_div_fixup_f64 v[42:43], v[42:43], v[40:41], v[38:39]
	v_fma_f64 v[38:39], v[38:39], v[42:43], v[40:41]
	v_div_scale_f64 v[40:41], s[6:7], v[38:39], v[38:39], 1.0
	v_div_scale_f64 v[48:49], vcc, 1.0, v[38:39], 1.0
	v_rcp_f64_e32 v[44:45], v[40:41]
	v_fma_f64 v[46:47], -v[40:41], v[44:45], 1.0
	v_fma_f64 v[44:45], v[44:45], v[46:47], v[44:45]
	v_fma_f64 v[46:47], -v[40:41], v[44:45], 1.0
	v_fma_f64 v[44:45], v[44:45], v[46:47], v[44:45]
	v_mul_f64 v[46:47], v[48:49], v[44:45]
	v_fma_f64 v[40:41], -v[40:41], v[46:47], v[48:49]
	v_div_fmas_f64 v[40:41], v[40:41], v[44:45], v[46:47]
	v_div_fixup_f64 v[44:45], v[40:41], v[38:39], 1.0
                                        ; implicit-def: $vgpr38_vgpr39
	v_mul_f64 v[42:43], v[42:43], v[44:45]
	v_xor_b32_e32 v45, 0x80000000, v45
.LBB11_32:
	s_andn2_saveexec_b64 s[2:3], s[2:3]
	s_cbranch_execz .LBB11_34
; %bb.33:
	v_div_scale_f64 v[42:43], s[6:7], v[38:39], v[38:39], v[40:41]
	v_rcp_f64_e32 v[44:45], v[42:43]
	v_fma_f64 v[46:47], -v[42:43], v[44:45], 1.0
	v_fma_f64 v[44:45], v[44:45], v[46:47], v[44:45]
	v_div_scale_f64 v[46:47], vcc, v[40:41], v[38:39], v[40:41]
	v_fma_f64 v[48:49], -v[42:43], v[44:45], 1.0
	v_fma_f64 v[44:45], v[44:45], v[48:49], v[44:45]
	v_mul_f64 v[48:49], v[46:47], v[44:45]
	v_fma_f64 v[42:43], -v[42:43], v[48:49], v[46:47]
	v_div_fmas_f64 v[42:43], v[42:43], v[44:45], v[48:49]
	v_div_fixup_f64 v[44:45], v[42:43], v[38:39], v[40:41]
	v_fma_f64 v[38:39], v[40:41], v[44:45], v[38:39]
	v_div_scale_f64 v[40:41], s[6:7], v[38:39], v[38:39], 1.0
	v_div_scale_f64 v[48:49], vcc, 1.0, v[38:39], 1.0
	v_rcp_f64_e32 v[42:43], v[40:41]
	v_fma_f64 v[46:47], -v[40:41], v[42:43], 1.0
	v_fma_f64 v[42:43], v[42:43], v[46:47], v[42:43]
	v_fma_f64 v[46:47], -v[40:41], v[42:43], 1.0
	v_fma_f64 v[42:43], v[42:43], v[46:47], v[42:43]
	v_mul_f64 v[46:47], v[48:49], v[42:43]
	v_fma_f64 v[40:41], -v[40:41], v[46:47], v[48:49]
	v_div_fmas_f64 v[40:41], v[40:41], v[42:43], v[46:47]
	v_div_fixup_f64 v[42:43], v[40:41], v[38:39], 1.0
	v_mul_f64 v[44:45], v[44:45], -v[42:43]
.LBB11_34:
	s_or_b64 exec, exec, s[2:3]
	ds_write2_b64 v1, v[42:43], v[44:45] offset1:1
.LBB11_35:
	s_or_b64 exec, exec, s[4:5]
	s_waitcnt lgkmcnt(0)
	s_barrier
	ds_read2_b64 v[38:41], v1 offset1:1
	v_cmp_lt_u32_e32 vcc, 3, v0
	s_and_saveexec_b64 s[2:3], vcc
	s_cbranch_execz .LBB11_37
; %bb.36:
	s_waitcnt lgkmcnt(0)
	v_mul_f64 v[42:43], v[38:39], v[12:13]
	v_mul_f64 v[12:13], v[40:41], v[12:13]
	v_fma_f64 v[65:66], v[40:41], v[10:11], v[42:43]
	ds_read2_b64 v[42:45], v64 offset0:8 offset1:9
	ds_read2_b64 v[46:49], v64 offset0:10 offset1:11
	v_fma_f64 v[10:11], v[38:39], v[10:11], -v[12:13]
	s_waitcnt lgkmcnt(1)
	v_mul_f64 v[12:13], v[44:45], v[65:66]
	v_mul_f64 v[67:68], v[42:43], v[65:66]
	s_waitcnt lgkmcnt(0)
	v_mul_f64 v[69:70], v[48:49], v[65:66]
	v_mul_f64 v[71:72], v[46:47], v[65:66]
	v_fma_f64 v[12:13], v[42:43], v[10:11], -v[12:13]
	v_fma_f64 v[42:43], v[44:45], v[10:11], v[67:68]
	v_fma_f64 v[44:45], v[46:47], v[10:11], -v[69:70]
	v_fma_f64 v[46:47], v[48:49], v[10:11], v[71:72]
	v_add_f64 v[2:3], v[2:3], -v[12:13]
	v_add_f64 v[4:5], v[4:5], -v[42:43]
	;; [unrolled: 1-line block ×4, first 2 shown]
	v_mov_b32_e32 v12, v65
	v_mov_b32_e32 v13, v66
.LBB11_37:
	s_or_b64 exec, exec, s[2:3]
	v_cmp_eq_u32_e32 vcc, 4, v0
	s_waitcnt lgkmcnt(0)
	s_barrier
	s_and_saveexec_b64 s[4:5], vcc
	s_cbranch_execz .LBB11_44
; %bb.38:
	ds_write2_b64 v1, v[2:3], v[4:5] offset1:1
	ds_write2_b64 v64, v[6:7], v[8:9] offset0:10 offset1:11
	ds_read2_b64 v[42:45], v1 offset1:1
	s_waitcnt lgkmcnt(0)
	v_cmp_neq_f64_e32 vcc, 0, v[42:43]
	v_cmp_neq_f64_e64 s[2:3], 0, v[44:45]
	s_or_b64 s[2:3], vcc, s[2:3]
	s_and_b64 exec, exec, s[2:3]
	s_cbranch_execz .LBB11_44
; %bb.39:
	v_cmp_ngt_f64_e64 s[2:3], |v[42:43]|, |v[44:45]|
                                        ; implicit-def: $vgpr46_vgpr47
	s_and_saveexec_b64 s[6:7], s[2:3]
	s_xor_b64 s[2:3], exec, s[6:7]
                                        ; implicit-def: $vgpr48_vgpr49
	s_cbranch_execz .LBB11_41
; %bb.40:
	v_div_scale_f64 v[46:47], s[6:7], v[44:45], v[44:45], v[42:43]
	v_rcp_f64_e32 v[48:49], v[46:47]
	v_fma_f64 v[65:66], -v[46:47], v[48:49], 1.0
	v_fma_f64 v[48:49], v[48:49], v[65:66], v[48:49]
	v_div_scale_f64 v[65:66], vcc, v[42:43], v[44:45], v[42:43]
	v_fma_f64 v[67:68], -v[46:47], v[48:49], 1.0
	v_fma_f64 v[48:49], v[48:49], v[67:68], v[48:49]
	v_mul_f64 v[67:68], v[65:66], v[48:49]
	v_fma_f64 v[46:47], -v[46:47], v[67:68], v[65:66]
	v_div_fmas_f64 v[46:47], v[46:47], v[48:49], v[67:68]
	v_div_fixup_f64 v[46:47], v[46:47], v[44:45], v[42:43]
	v_fma_f64 v[42:43], v[42:43], v[46:47], v[44:45]
	v_div_scale_f64 v[44:45], s[6:7], v[42:43], v[42:43], 1.0
	v_div_scale_f64 v[67:68], vcc, 1.0, v[42:43], 1.0
	v_rcp_f64_e32 v[48:49], v[44:45]
	v_fma_f64 v[65:66], -v[44:45], v[48:49], 1.0
	v_fma_f64 v[48:49], v[48:49], v[65:66], v[48:49]
	v_fma_f64 v[65:66], -v[44:45], v[48:49], 1.0
	v_fma_f64 v[48:49], v[48:49], v[65:66], v[48:49]
	v_mul_f64 v[65:66], v[67:68], v[48:49]
	v_fma_f64 v[44:45], -v[44:45], v[65:66], v[67:68]
	v_div_fmas_f64 v[44:45], v[44:45], v[48:49], v[65:66]
	v_div_fixup_f64 v[48:49], v[44:45], v[42:43], 1.0
                                        ; implicit-def: $vgpr42_vgpr43
	v_mul_f64 v[46:47], v[46:47], v[48:49]
	v_xor_b32_e32 v49, 0x80000000, v49
.LBB11_41:
	s_andn2_saveexec_b64 s[2:3], s[2:3]
	s_cbranch_execz .LBB11_43
; %bb.42:
	v_div_scale_f64 v[46:47], s[6:7], v[42:43], v[42:43], v[44:45]
	v_rcp_f64_e32 v[48:49], v[46:47]
	v_fma_f64 v[65:66], -v[46:47], v[48:49], 1.0
	v_fma_f64 v[48:49], v[48:49], v[65:66], v[48:49]
	v_div_scale_f64 v[65:66], vcc, v[44:45], v[42:43], v[44:45]
	v_fma_f64 v[67:68], -v[46:47], v[48:49], 1.0
	v_fma_f64 v[48:49], v[48:49], v[67:68], v[48:49]
	v_mul_f64 v[67:68], v[65:66], v[48:49]
	v_fma_f64 v[46:47], -v[46:47], v[67:68], v[65:66]
	v_div_fmas_f64 v[46:47], v[46:47], v[48:49], v[67:68]
	v_div_fixup_f64 v[48:49], v[46:47], v[42:43], v[44:45]
	v_fma_f64 v[42:43], v[44:45], v[48:49], v[42:43]
	v_div_scale_f64 v[44:45], s[6:7], v[42:43], v[42:43], 1.0
	v_div_scale_f64 v[67:68], vcc, 1.0, v[42:43], 1.0
	v_rcp_f64_e32 v[46:47], v[44:45]
	v_fma_f64 v[65:66], -v[44:45], v[46:47], 1.0
	v_fma_f64 v[46:47], v[46:47], v[65:66], v[46:47]
	v_fma_f64 v[65:66], -v[44:45], v[46:47], 1.0
	v_fma_f64 v[46:47], v[46:47], v[65:66], v[46:47]
	v_mul_f64 v[65:66], v[67:68], v[46:47]
	v_fma_f64 v[44:45], -v[44:45], v[65:66], v[67:68]
	v_div_fmas_f64 v[44:45], v[44:45], v[46:47], v[65:66]
	v_div_fixup_f64 v[46:47], v[44:45], v[42:43], 1.0
	v_mul_f64 v[48:49], v[48:49], -v[46:47]
.LBB11_43:
	s_or_b64 exec, exec, s[2:3]
	ds_write2_b64 v1, v[46:47], v[48:49] offset1:1
.LBB11_44:
	s_or_b64 exec, exec, s[4:5]
	s_waitcnt lgkmcnt(0)
	s_barrier
	ds_read2_b64 v[42:45], v1 offset1:1
	v_cmp_lt_u32_e32 vcc, 4, v0
	s_and_saveexec_b64 s[2:3], vcc
	s_cbranch_execz .LBB11_46
; %bb.45:
	s_waitcnt lgkmcnt(0)
	v_mul_f64 v[46:47], v[42:43], v[4:5]
	v_mul_f64 v[4:5], v[44:45], v[4:5]
	v_fma_f64 v[65:66], v[44:45], v[2:3], v[46:47]
	ds_read2_b64 v[46:49], v64 offset0:10 offset1:11
	v_fma_f64 v[2:3], v[42:43], v[2:3], -v[4:5]
	s_waitcnt lgkmcnt(0)
	v_mul_f64 v[4:5], v[48:49], v[65:66]
	v_mul_f64 v[67:68], v[46:47], v[65:66]
	v_fma_f64 v[4:5], v[46:47], v[2:3], -v[4:5]
	v_fma_f64 v[46:47], v[48:49], v[2:3], v[67:68]
	v_add_f64 v[6:7], v[6:7], -v[4:5]
	v_add_f64 v[8:9], v[8:9], -v[46:47]
	v_mov_b32_e32 v4, v65
	v_mov_b32_e32 v5, v66
.LBB11_46:
	s_or_b64 exec, exec, s[2:3]
	v_cmp_eq_u32_e32 vcc, 5, v0
	s_waitcnt lgkmcnt(0)
	s_barrier
	s_and_saveexec_b64 s[4:5], vcc
	s_cbranch_execz .LBB11_53
; %bb.47:
	v_cmp_neq_f64_e32 vcc, 0, v[6:7]
	v_cmp_neq_f64_e64 s[2:3], 0, v[8:9]
	ds_write2_b64 v1, v[6:7], v[8:9] offset1:1
	s_or_b64 s[2:3], vcc, s[2:3]
	s_and_b64 exec, exec, s[2:3]
	s_cbranch_execz .LBB11_53
; %bb.48:
	v_cmp_ngt_f64_e64 s[2:3], |v[6:7]|, |v[8:9]|
                                        ; implicit-def: $vgpr46_vgpr47
	s_and_saveexec_b64 s[6:7], s[2:3]
	s_xor_b64 s[2:3], exec, s[6:7]
                                        ; implicit-def: $vgpr48_vgpr49
	s_cbranch_execz .LBB11_50
; %bb.49:
	v_div_scale_f64 v[46:47], s[6:7], v[8:9], v[8:9], v[6:7]
	v_rcp_f64_e32 v[48:49], v[46:47]
	v_fma_f64 v[64:65], -v[46:47], v[48:49], 1.0
	v_fma_f64 v[48:49], v[48:49], v[64:65], v[48:49]
	v_div_scale_f64 v[64:65], vcc, v[6:7], v[8:9], v[6:7]
	v_fma_f64 v[66:67], -v[46:47], v[48:49], 1.0
	v_fma_f64 v[48:49], v[48:49], v[66:67], v[48:49]
	v_mul_f64 v[66:67], v[64:65], v[48:49]
	v_fma_f64 v[46:47], -v[46:47], v[66:67], v[64:65]
	v_div_fmas_f64 v[46:47], v[46:47], v[48:49], v[66:67]
	v_div_fixup_f64 v[46:47], v[46:47], v[8:9], v[6:7]
	v_fma_f64 v[48:49], v[6:7], v[46:47], v[8:9]
	v_div_scale_f64 v[64:65], s[6:7], v[48:49], v[48:49], 1.0
	v_div_scale_f64 v[70:71], vcc, 1.0, v[48:49], 1.0
	v_rcp_f64_e32 v[66:67], v[64:65]
	v_fma_f64 v[68:69], -v[64:65], v[66:67], 1.0
	v_fma_f64 v[66:67], v[66:67], v[68:69], v[66:67]
	v_fma_f64 v[68:69], -v[64:65], v[66:67], 1.0
	v_fma_f64 v[66:67], v[66:67], v[68:69], v[66:67]
	v_mul_f64 v[68:69], v[70:71], v[66:67]
	v_fma_f64 v[64:65], -v[64:65], v[68:69], v[70:71]
	v_div_fmas_f64 v[64:65], v[64:65], v[66:67], v[68:69]
	v_div_fixup_f64 v[48:49], v[64:65], v[48:49], 1.0
	v_mul_f64 v[46:47], v[46:47], v[48:49]
	v_xor_b32_e32 v49, 0x80000000, v49
.LBB11_50:
	s_andn2_saveexec_b64 s[2:3], s[2:3]
	s_cbranch_execz .LBB11_52
; %bb.51:
	v_div_scale_f64 v[46:47], s[6:7], v[6:7], v[6:7], v[8:9]
	v_rcp_f64_e32 v[48:49], v[46:47]
	v_fma_f64 v[64:65], -v[46:47], v[48:49], 1.0
	v_fma_f64 v[48:49], v[48:49], v[64:65], v[48:49]
	v_div_scale_f64 v[64:65], vcc, v[8:9], v[6:7], v[8:9]
	v_fma_f64 v[66:67], -v[46:47], v[48:49], 1.0
	v_fma_f64 v[48:49], v[48:49], v[66:67], v[48:49]
	v_mul_f64 v[66:67], v[64:65], v[48:49]
	v_fma_f64 v[46:47], -v[46:47], v[66:67], v[64:65]
	v_div_fmas_f64 v[46:47], v[46:47], v[48:49], v[66:67]
	v_div_fixup_f64 v[48:49], v[46:47], v[6:7], v[8:9]
	v_fma_f64 v[46:47], v[8:9], v[48:49], v[6:7]
	v_div_scale_f64 v[64:65], s[6:7], v[46:47], v[46:47], 1.0
	v_div_scale_f64 v[70:71], vcc, 1.0, v[46:47], 1.0
	v_rcp_f64_e32 v[66:67], v[64:65]
	v_fma_f64 v[68:69], -v[64:65], v[66:67], 1.0
	v_fma_f64 v[66:67], v[66:67], v[68:69], v[66:67]
	v_fma_f64 v[68:69], -v[64:65], v[66:67], 1.0
	v_fma_f64 v[66:67], v[66:67], v[68:69], v[66:67]
	v_mul_f64 v[68:69], v[70:71], v[66:67]
	v_fma_f64 v[64:65], -v[64:65], v[68:69], v[70:71]
	v_div_fmas_f64 v[64:65], v[64:65], v[66:67], v[68:69]
	v_div_fixup_f64 v[46:47], v[64:65], v[46:47], 1.0
	v_mul_f64 v[48:49], v[48:49], -v[46:47]
.LBB11_52:
	s_or_b64 exec, exec, s[2:3]
	ds_write2_b64 v1, v[46:47], v[48:49] offset1:1
.LBB11_53:
	s_or_b64 exec, exec, s[4:5]
	s_waitcnt lgkmcnt(0)
	s_barrier
	ds_read2_b64 v[46:49], v1 offset1:1
	s_waitcnt lgkmcnt(0)
	s_barrier
	s_and_saveexec_b64 s[24:25], s[0:1]
	s_cbranch_execz .LBB11_56
; %bb.54:
	v_lshlrev_b64 v[56:57], 2, v[56:57]
	v_mov_b32_e32 v1, s11
	v_add_co_u32_e32 v56, vcc, s10, v56
	v_addc_co_u32_e32 v57, vcc, v1, v57, vcc
	global_load_dword v64, v[56:57], off
	v_cmp_eq_f64_e32 vcc, 0, v[26:27]
	v_cmp_eq_f64_e64 s[0:1], 0, v[28:29]
	v_cmp_neq_f64_e64 s[2:3], 0, v[30:31]
	v_cmp_neq_f64_e64 s[4:5], 0, v[32:33]
	v_cmp_eq_f64_e64 s[6:7], 0, v[34:35]
	v_cmp_eq_f64_e64 s[8:9], 0, v[36:37]
	;; [unrolled: 1-line block ×5, first 2 shown]
	s_and_b64 s[0:1], vcc, s[0:1]
	v_cmp_eq_f64_e64 s[16:17], 0, v[44:45]
	s_or_b64 s[2:3], s[2:3], s[4:5]
	v_cndmask_b32_e64 v1, 0, 1, s[0:1]
	s_or_b64 vcc, s[2:3], s[0:1]
	v_cndmask_b32_e32 v1, 2, v1, vcc
	s_and_b64 s[4:5], s[6:7], s[8:9]
	v_cmp_eq_u32_e32 vcc, 0, v1
	v_cmp_eq_f64_e64 s[18:19], 0, v[46:47]
	v_cmp_eq_f64_e64 s[20:21], 0, v[48:49]
	s_and_b64 s[0:1], s[4:5], vcc
	v_cndmask_b32_e64 v1, v1, 3, s[0:1]
	s_and_b64 s[6:7], s[10:11], s[12:13]
	v_cmp_eq_u32_e32 vcc, 0, v1
	s_and_b64 s[0:1], s[6:7], vcc
	v_cndmask_b32_e64 v1, v1, 4, s[0:1]
	s_and_b64 s[8:9], s[14:15], s[16:17]
	v_cmp_eq_u32_e32 vcc, 0, v1
	;; [unrolled: 4-line block ×3, first 2 shown]
	s_and_b64 s[0:1], s[10:11], vcc
	v_cndmask_b32_e64 v1, v1, 6, s[0:1]
	v_cmp_ne_u32_e64 s[0:1], 0, v1
	s_waitcnt vmcnt(0)
	v_cmp_eq_u32_e32 vcc, 0, v64
	s_and_b64 s[0:1], vcc, s[0:1]
	s_and_b64 exec, exec, s[0:1]
	s_cbranch_execz .LBB11_56
; %bb.55:
	v_add_u32_e32 v1, s23, v1
	global_store_dword v[56:57], v1, off
.LBB11_56:
	s_or_b64 exec, exec, s[24:25]
	v_mul_f64 v[26:27], v[46:47], v[8:9]
	v_mul_f64 v[28:29], v[48:49], v[8:9]
	v_cmp_lt_u32_e32 vcc, 5, v0
	global_store_dwordx4 v[50:51], v[22:25], off
	global_store_dwordx4 v[52:53], v[18:21], off
	global_store_dwordx4 v[54:55], v[14:17], off
	global_store_dwordx4 v[58:59], v[10:13], off
	v_fma_f64 v[26:27], v[48:49], v[6:7], v[26:27]
	v_fma_f64 v[28:29], v[46:47], v[6:7], -v[28:29]
	v_cndmask_b32_e32 v9, v9, v27, vcc
	v_cndmask_b32_e32 v8, v8, v26, vcc
	;; [unrolled: 1-line block ×4, first 2 shown]
	global_store_dwordx4 v[60:61], v[2:5], off
	global_store_dwordx4 v[62:63], v[6:9], off
.LBB11_57:
	s_endpgm
	.section	.rodata,"a",@progbits
	.p2align	6, 0x0
	.amdhsa_kernel _ZN9rocsolver6v33100L23getf2_npvt_small_kernelILi6E19rocblas_complex_numIdEiiPS3_EEvT1_T3_lS5_lPT2_S5_S5_
		.amdhsa_group_segment_fixed_size 0
		.amdhsa_private_segment_fixed_size 0
		.amdhsa_kernarg_size 312
		.amdhsa_user_sgpr_count 6
		.amdhsa_user_sgpr_private_segment_buffer 1
		.amdhsa_user_sgpr_dispatch_ptr 0
		.amdhsa_user_sgpr_queue_ptr 0
		.amdhsa_user_sgpr_kernarg_segment_ptr 1
		.amdhsa_user_sgpr_dispatch_id 0
		.amdhsa_user_sgpr_flat_scratch_init 0
		.amdhsa_user_sgpr_private_segment_size 0
		.amdhsa_uses_dynamic_stack 0
		.amdhsa_system_sgpr_private_segment_wavefront_offset 0
		.amdhsa_system_sgpr_workgroup_id_x 1
		.amdhsa_system_sgpr_workgroup_id_y 1
		.amdhsa_system_sgpr_workgroup_id_z 0
		.amdhsa_system_sgpr_workgroup_info 0
		.amdhsa_system_vgpr_workitem_id 1
		.amdhsa_next_free_vgpr 81
		.amdhsa_next_free_sgpr 26
		.amdhsa_reserve_vcc 1
		.amdhsa_reserve_flat_scratch 0
		.amdhsa_float_round_mode_32 0
		.amdhsa_float_round_mode_16_64 0
		.amdhsa_float_denorm_mode_32 3
		.amdhsa_float_denorm_mode_16_64 3
		.amdhsa_dx10_clamp 1
		.amdhsa_ieee_mode 1
		.amdhsa_fp16_overflow 0
		.amdhsa_exception_fp_ieee_invalid_op 0
		.amdhsa_exception_fp_denorm_src 0
		.amdhsa_exception_fp_ieee_div_zero 0
		.amdhsa_exception_fp_ieee_overflow 0
		.amdhsa_exception_fp_ieee_underflow 0
		.amdhsa_exception_fp_ieee_inexact 0
		.amdhsa_exception_int_div_zero 0
	.end_amdhsa_kernel
	.section	.text._ZN9rocsolver6v33100L23getf2_npvt_small_kernelILi6E19rocblas_complex_numIdEiiPS3_EEvT1_T3_lS5_lPT2_S5_S5_,"axG",@progbits,_ZN9rocsolver6v33100L23getf2_npvt_small_kernelILi6E19rocblas_complex_numIdEiiPS3_EEvT1_T3_lS5_lPT2_S5_S5_,comdat
.Lfunc_end11:
	.size	_ZN9rocsolver6v33100L23getf2_npvt_small_kernelILi6E19rocblas_complex_numIdEiiPS3_EEvT1_T3_lS5_lPT2_S5_S5_, .Lfunc_end11-_ZN9rocsolver6v33100L23getf2_npvt_small_kernelILi6E19rocblas_complex_numIdEiiPS3_EEvT1_T3_lS5_lPT2_S5_S5_
                                        ; -- End function
	.set _ZN9rocsolver6v33100L23getf2_npvt_small_kernelILi6E19rocblas_complex_numIdEiiPS3_EEvT1_T3_lS5_lPT2_S5_S5_.num_vgpr, 81
	.set _ZN9rocsolver6v33100L23getf2_npvt_small_kernelILi6E19rocblas_complex_numIdEiiPS3_EEvT1_T3_lS5_lPT2_S5_S5_.num_agpr, 0
	.set _ZN9rocsolver6v33100L23getf2_npvt_small_kernelILi6E19rocblas_complex_numIdEiiPS3_EEvT1_T3_lS5_lPT2_S5_S5_.numbered_sgpr, 26
	.set _ZN9rocsolver6v33100L23getf2_npvt_small_kernelILi6E19rocblas_complex_numIdEiiPS3_EEvT1_T3_lS5_lPT2_S5_S5_.num_named_barrier, 0
	.set _ZN9rocsolver6v33100L23getf2_npvt_small_kernelILi6E19rocblas_complex_numIdEiiPS3_EEvT1_T3_lS5_lPT2_S5_S5_.private_seg_size, 0
	.set _ZN9rocsolver6v33100L23getf2_npvt_small_kernelILi6E19rocblas_complex_numIdEiiPS3_EEvT1_T3_lS5_lPT2_S5_S5_.uses_vcc, 1
	.set _ZN9rocsolver6v33100L23getf2_npvt_small_kernelILi6E19rocblas_complex_numIdEiiPS3_EEvT1_T3_lS5_lPT2_S5_S5_.uses_flat_scratch, 0
	.set _ZN9rocsolver6v33100L23getf2_npvt_small_kernelILi6E19rocblas_complex_numIdEiiPS3_EEvT1_T3_lS5_lPT2_S5_S5_.has_dyn_sized_stack, 0
	.set _ZN9rocsolver6v33100L23getf2_npvt_small_kernelILi6E19rocblas_complex_numIdEiiPS3_EEvT1_T3_lS5_lPT2_S5_S5_.has_recursion, 0
	.set _ZN9rocsolver6v33100L23getf2_npvt_small_kernelILi6E19rocblas_complex_numIdEiiPS3_EEvT1_T3_lS5_lPT2_S5_S5_.has_indirect_call, 0
	.section	.AMDGPU.csdata,"",@progbits
; Kernel info:
; codeLenInByte = 5072
; TotalNumSgprs: 30
; NumVgprs: 81
; ScratchSize: 0
; MemoryBound: 0
; FloatMode: 240
; IeeeMode: 1
; LDSByteSize: 0 bytes/workgroup (compile time only)
; SGPRBlocks: 3
; VGPRBlocks: 20
; NumSGPRsForWavesPerEU: 30
; NumVGPRsForWavesPerEU: 81
; Occupancy: 3
; WaveLimiterHint : 0
; COMPUTE_PGM_RSRC2:SCRATCH_EN: 0
; COMPUTE_PGM_RSRC2:USER_SGPR: 6
; COMPUTE_PGM_RSRC2:TRAP_HANDLER: 0
; COMPUTE_PGM_RSRC2:TGID_X_EN: 1
; COMPUTE_PGM_RSRC2:TGID_Y_EN: 1
; COMPUTE_PGM_RSRC2:TGID_Z_EN: 0
; COMPUTE_PGM_RSRC2:TIDIG_COMP_CNT: 1
	.section	.text._ZN9rocsolver6v33100L18getf2_small_kernelILi7E19rocblas_complex_numIdEiiPS3_EEvT1_T3_lS5_lPS5_llPT2_S5_S5_S7_l,"axG",@progbits,_ZN9rocsolver6v33100L18getf2_small_kernelILi7E19rocblas_complex_numIdEiiPS3_EEvT1_T3_lS5_lPS5_llPT2_S5_S5_S7_l,comdat
	.globl	_ZN9rocsolver6v33100L18getf2_small_kernelILi7E19rocblas_complex_numIdEiiPS3_EEvT1_T3_lS5_lPS5_llPT2_S5_S5_S7_l ; -- Begin function _ZN9rocsolver6v33100L18getf2_small_kernelILi7E19rocblas_complex_numIdEiiPS3_EEvT1_T3_lS5_lPS5_llPT2_S5_S5_S7_l
	.p2align	8
	.type	_ZN9rocsolver6v33100L18getf2_small_kernelILi7E19rocblas_complex_numIdEiiPS3_EEvT1_T3_lS5_lPS5_llPT2_S5_S5_S7_l,@function
_ZN9rocsolver6v33100L18getf2_small_kernelILi7E19rocblas_complex_numIdEiiPS3_EEvT1_T3_lS5_lPS5_llPT2_S5_S5_S7_l: ; @_ZN9rocsolver6v33100L18getf2_small_kernelILi7E19rocblas_complex_numIdEiiPS3_EEvT1_T3_lS5_lPS5_llPT2_S5_S5_S7_l
; %bb.0:
	s_load_dword s0, s[4:5], 0x6c
	s_load_dwordx2 s[16:17], s[4:5], 0x48
	s_waitcnt lgkmcnt(0)
	s_lshr_b32 s0, s0, 16
	s_mul_i32 s7, s7, s0
	v_add_u32_e32 v34, s7, v1
	v_cmp_gt_i32_e32 vcc, s16, v34
	s_and_saveexec_b64 s[0:1], vcc
	s_cbranch_execz .LBB12_148
; %bb.1:
	s_load_dwordx4 s[0:3], s[4:5], 0x50
	v_mov_b32_e32 v36, 0
	v_ashrrev_i32_e32 v35, 31, v34
	v_mov_b32_e32 v37, 0
	s_waitcnt lgkmcnt(0)
	s_cmp_eq_u64 s[0:1], 0
	s_cselect_b64 s[18:19], -1, 0
	s_and_b64 vcc, exec, s[18:19]
	s_cbranch_vccnz .LBB12_3
; %bb.2:
	v_mul_lo_u32 v4, s3, v34
	v_mul_lo_u32 v5, s2, v35
	v_mad_u64_u32 v[2:3], s[2:3], s2, v34, 0
	v_add3_u32 v3, v3, v5, v4
	v_lshlrev_b64 v[2:3], 2, v[2:3]
	v_mov_b32_e32 v4, s1
	v_add_co_u32_e32 v36, vcc, s0, v2
	v_addc_co_u32_e32 v37, vcc, v4, v3, vcc
.LBB12_3:
	s_load_dwordx8 s[8:15], s[4:5], 0x20
	s_load_dwordx4 s[0:3], s[4:5], 0x8
	v_lshlrev_b32_e32 v40, 4, v0
	s_load_dwordx2 s[20:21], s[4:5], 0x40
	s_waitcnt lgkmcnt(0)
	v_mul_lo_u32 v4, s9, v34
	v_mul_lo_u32 v5, s8, v35
	v_mad_u64_u32 v[2:3], s[6:7], s8, v34, 0
	s_load_dword s6, s[4:5], 0x18
	s_load_dword s22, s[4:5], 0x0
	v_mov_b32_e32 v6, s1
	v_add3_u32 v3, v3, v5, v4
	v_lshlrev_b64 v[2:3], 4, v[2:3]
	s_waitcnt lgkmcnt(0)
	s_add_i32 s16, s6, s6
	v_add_co_u32_e32 v2, vcc, s0, v2
	v_addc_co_u32_e32 v3, vcc, v6, v3, vcc
	s_lshl_b64 s[0:1], s[2:3], 4
	v_mov_b32_e32 v4, s1
	v_add_co_u32_e32 v41, vcc, s0, v2
	v_add_u32_e32 v2, s16, v0
	v_addc_co_u32_e32 v42, vcc, v3, v4, vcc
	v_ashrrev_i32_e32 v3, 31, v2
	v_lshlrev_b64 v[3:4], 4, v[2:3]
	v_add_u32_e32 v2, s6, v2
	v_add_co_u32_e32 v30, vcc, v41, v3
	v_ashrrev_i32_e32 v3, 31, v2
	v_addc_co_u32_e32 v31, vcc, v42, v4, vcc
	v_lshlrev_b64 v[3:4], 4, v[2:3]
	v_add_u32_e32 v2, s6, v2
	v_add_co_u32_e32 v32, vcc, v41, v3
	v_ashrrev_i32_e32 v3, 31, v2
	v_addc_co_u32_e32 v33, vcc, v42, v4, vcc
	;; [unrolled: 5-line block ×3, first 2 shown]
	v_lshlrev_b64 v[3:4], 4, v[2:3]
	v_add_u32_e32 v2, s6, v2
	v_add_co_u32_e32 v43, vcc, v41, v3
	v_ashrrev_i32_e32 v3, 31, v2
	v_lshlrev_b64 v[2:3], 4, v[2:3]
	v_addc_co_u32_e32 v44, vcc, v42, v4, vcc
	v_add_co_u32_e32 v45, vcc, v41, v2
	v_addc_co_u32_e32 v46, vcc, v42, v3, vcc
	v_add_co_u32_e32 v2, vcc, v41, v40
	s_ashr_i32 s7, s6, 31
	v_addc_co_u32_e32 v3, vcc, 0, v42, vcc
	s_lshl_b64 s[8:9], s[6:7], 4
	v_mov_b32_e32 v4, s9
	global_load_dwordx4 v[18:21], v[2:3], off
	v_add_co_u32_e32 v47, vcc, s8, v2
	v_addc_co_u32_e32 v48, vcc, v3, v4, vcc
	global_load_dwordx4 v[14:17], v[30:31], off
	global_load_dwordx4 v[10:13], v[32:33], off
	;; [unrolled: 1-line block ×6, first 2 shown]
	s_max_i32 s0, s22, 7
	v_mul_lo_u32 v38, s0, v1
	s_cmp_lt_i32 s22, 2
	v_lshl_add_u32 v1, v38, 4, 0
	v_add_u32_e32 v30, v1, v40
	v_lshlrev_b32_e32 v44, 4, v38
	v_mov_b32_e32 v38, 0
	s_waitcnt vmcnt(6)
	ds_write2_b64 v30, v[18:19], v[20:21] offset1:1
	s_waitcnt vmcnt(0) lgkmcnt(0)
	s_barrier
	ds_read2_b64 v[30:33], v1 offset1:1
	s_cbranch_scc1 .LBB12_6
; %bb.4:
	v_add3_u32 v39, v44, 0, 16
	s_mov_b32 s7, 1
	v_mov_b32_e32 v38, 0
.LBB12_5:                               ; =>This Inner Loop Header: Depth=1
	ds_read2_b64 v[45:48], v39 offset1:1
	s_waitcnt lgkmcnt(1)
	v_cmp_gt_f64_e32 vcc, 0, v[32:33]
	v_cmp_gt_f64_e64 s[0:1], 0, v[30:31]
	v_xor_b32_e32 v40, 0x80000000, v31
	v_xor_b32_e32 v43, 0x80000000, v33
	s_waitcnt lgkmcnt(0)
	v_cmp_gt_f64_e64 s[2:3], 0, v[45:46]
	v_cmp_gt_f64_e64 s[4:5], 0, v[47:48]
	v_xor_b32_e32 v54, 0x80000000, v46
	v_xor_b32_e32 v56, 0x80000000, v48
	v_mov_b32_e32 v49, v30
	v_mov_b32_e32 v51, v32
	;; [unrolled: 1-line block ×4, first 2 shown]
	v_cndmask_b32_e64 v50, v31, v40, s[0:1]
	v_cndmask_b32_e32 v52, v33, v43, vcc
	v_cndmask_b32_e64 v54, v46, v54, s[2:3]
	v_cndmask_b32_e64 v56, v48, v56, s[4:5]
	v_add_f64 v[49:50], v[49:50], v[51:52]
	v_add_f64 v[51:52], v[53:54], v[55:56]
	v_mov_b32_e32 v40, s7
	s_add_i32 s7, s7, 1
	v_add_u32_e32 v39, 16, v39
	s_cmp_eq_u32 s22, s7
	v_cmp_lt_f64_e32 vcc, v[49:50], v[51:52]
	v_cndmask_b32_e32 v31, v31, v46, vcc
	v_cndmask_b32_e32 v30, v30, v45, vcc
	;; [unrolled: 1-line block ×5, first 2 shown]
	s_cbranch_scc0 .LBB12_5
.LBB12_6:
	s_waitcnt lgkmcnt(0)
	v_cmp_neq_f64_e32 vcc, 0, v[30:31]
	v_cmp_neq_f64_e64 s[0:1], 0, v[32:33]
	v_mov_b32_e32 v43, 1
	v_mov_b32_e32 v45, 1
	s_or_b64 s[2:3], vcc, s[0:1]
	s_and_saveexec_b64 s[0:1], s[2:3]
	s_cbranch_execz .LBB12_12
; %bb.7:
	v_cmp_ngt_f64_e64 s[2:3], |v[30:31]|, |v[32:33]|
	s_and_saveexec_b64 s[4:5], s[2:3]
	s_xor_b64 s[2:3], exec, s[4:5]
	s_cbranch_execz .LBB12_9
; %bb.8:
	v_div_scale_f64 v[39:40], s[4:5], v[32:33], v[32:33], v[30:31]
	v_rcp_f64_e32 v[45:46], v[39:40]
	v_fma_f64 v[47:48], -v[39:40], v[45:46], 1.0
	v_fma_f64 v[45:46], v[45:46], v[47:48], v[45:46]
	v_div_scale_f64 v[47:48], vcc, v[30:31], v[32:33], v[30:31]
	v_fma_f64 v[49:50], -v[39:40], v[45:46], 1.0
	v_fma_f64 v[45:46], v[45:46], v[49:50], v[45:46]
	v_mul_f64 v[49:50], v[47:48], v[45:46]
	v_fma_f64 v[39:40], -v[39:40], v[49:50], v[47:48]
	v_div_fmas_f64 v[39:40], v[39:40], v[45:46], v[49:50]
	v_div_fixup_f64 v[39:40], v[39:40], v[32:33], v[30:31]
	v_fma_f64 v[30:31], v[30:31], v[39:40], v[32:33]
	v_div_scale_f64 v[32:33], s[4:5], v[30:31], v[30:31], 1.0
	v_div_scale_f64 v[49:50], vcc, 1.0, v[30:31], 1.0
	v_rcp_f64_e32 v[45:46], v[32:33]
	v_fma_f64 v[47:48], -v[32:33], v[45:46], 1.0
	v_fma_f64 v[45:46], v[45:46], v[47:48], v[45:46]
	v_fma_f64 v[47:48], -v[32:33], v[45:46], 1.0
	v_fma_f64 v[45:46], v[45:46], v[47:48], v[45:46]
	v_mul_f64 v[47:48], v[49:50], v[45:46]
	v_fma_f64 v[32:33], -v[32:33], v[47:48], v[49:50]
	v_div_fmas_f64 v[32:33], v[32:33], v[45:46], v[47:48]
	v_div_fixup_f64 v[32:33], v[32:33], v[30:31], 1.0
	v_mul_f64 v[30:31], v[39:40], v[32:33]
	v_xor_b32_e32 v33, 0x80000000, v33
.LBB12_9:
	s_andn2_saveexec_b64 s[2:3], s[2:3]
	s_cbranch_execz .LBB12_11
; %bb.10:
	v_div_scale_f64 v[39:40], s[4:5], v[30:31], v[30:31], v[32:33]
	v_rcp_f64_e32 v[45:46], v[39:40]
	v_fma_f64 v[47:48], -v[39:40], v[45:46], 1.0
	v_fma_f64 v[45:46], v[45:46], v[47:48], v[45:46]
	v_div_scale_f64 v[47:48], vcc, v[32:33], v[30:31], v[32:33]
	v_fma_f64 v[49:50], -v[39:40], v[45:46], 1.0
	v_fma_f64 v[45:46], v[45:46], v[49:50], v[45:46]
	v_mul_f64 v[49:50], v[47:48], v[45:46]
	v_fma_f64 v[39:40], -v[39:40], v[49:50], v[47:48]
	v_div_fmas_f64 v[39:40], v[39:40], v[45:46], v[49:50]
	v_div_fixup_f64 v[39:40], v[39:40], v[30:31], v[32:33]
	v_fma_f64 v[30:31], v[32:33], v[39:40], v[30:31]
	v_div_scale_f64 v[32:33], s[4:5], v[30:31], v[30:31], 1.0
	v_div_scale_f64 v[49:50], vcc, 1.0, v[30:31], 1.0
	v_rcp_f64_e32 v[45:46], v[32:33]
	v_fma_f64 v[47:48], -v[32:33], v[45:46], 1.0
	v_fma_f64 v[45:46], v[45:46], v[47:48], v[45:46]
	v_fma_f64 v[47:48], -v[32:33], v[45:46], 1.0
	v_fma_f64 v[45:46], v[45:46], v[47:48], v[45:46]
	v_mul_f64 v[47:48], v[49:50], v[45:46]
	v_fma_f64 v[32:33], -v[32:33], v[47:48], v[49:50]
	v_div_fmas_f64 v[32:33], v[32:33], v[45:46], v[47:48]
	v_div_fixup_f64 v[30:31], v[32:33], v[30:31], 1.0
	v_mul_f64 v[32:33], v[39:40], -v[30:31]
.LBB12_11:
	s_or_b64 exec, exec, s[2:3]
	v_mov_b32_e32 v45, 0
	v_mov_b32_e32 v43, 2
.LBB12_12:
	s_or_b64 exec, exec, s[0:1]
	v_cmp_ne_u32_e32 vcc, v0, v38
	s_and_saveexec_b64 s[0:1], vcc
	s_xor_b64 s[0:1], exec, s[0:1]
	s_cbranch_execz .LBB12_18
; %bb.13:
	v_cmp_eq_u32_e32 vcc, 0, v0
	s_and_saveexec_b64 s[2:3], vcc
	s_cbranch_execz .LBB12_17
; %bb.14:
	v_cmp_ne_u32_e32 vcc, 0, v38
	s_xor_b64 s[4:5], s[18:19], -1
	s_and_b64 s[24:25], s[4:5], vcc
	s_and_saveexec_b64 s[4:5], s[24:25]
	s_cbranch_execz .LBB12_16
; %bb.15:
	v_ashrrev_i32_e32 v39, 31, v38
	v_lshlrev_b64 v[39:40], 2, v[38:39]
	v_add_co_u32_e32 v39, vcc, v36, v39
	v_addc_co_u32_e32 v40, vcc, v37, v40, vcc
	global_load_dword v0, v[39:40], off
	global_load_dword v46, v[36:37], off
	s_waitcnt vmcnt(1)
	global_store_dword v[36:37], v0, off
	s_waitcnt vmcnt(1)
	global_store_dword v[39:40], v46, off
.LBB12_16:
	s_or_b64 exec, exec, s[4:5]
	v_mov_b32_e32 v0, v38
.LBB12_17:
	s_or_b64 exec, exec, s[2:3]
.LBB12_18:
	s_or_saveexec_b64 s[0:1], s[0:1]
	v_mov_b32_e32 v40, v0
	s_xor_b64 exec, exec, s[0:1]
	s_cbranch_execz .LBB12_20
; %bb.19:
	v_mov_b32_e32 v40, 0
	ds_write2_b64 v1, v[22:23], v[24:25] offset0:2 offset1:3
	ds_write2_b64 v1, v[14:15], v[16:17] offset0:4 offset1:5
	;; [unrolled: 1-line block ×6, first 2 shown]
.LBB12_20:
	s_or_b64 exec, exec, s[0:1]
	v_cmp_lt_i32_e32 vcc, 0, v40
	s_waitcnt vmcnt(0) lgkmcnt(0)
	s_barrier
	s_and_saveexec_b64 s[0:1], vcc
	s_cbranch_execz .LBB12_22
; %bb.21:
	v_mul_f64 v[38:39], v[30:31], v[20:21]
	v_mul_f64 v[20:21], v[32:33], v[20:21]
	v_fma_f64 v[38:39], v[32:33], v[18:19], v[38:39]
	v_fma_f64 v[18:19], v[30:31], v[18:19], -v[20:21]
	ds_read2_b64 v[30:33], v1 offset0:2 offset1:3
	s_waitcnt lgkmcnt(0)
	v_mul_f64 v[20:21], v[32:33], v[38:39]
	v_fma_f64 v[20:21], v[30:31], v[18:19], -v[20:21]
	v_mul_f64 v[30:31], v[30:31], v[38:39]
	v_add_f64 v[22:23], v[22:23], -v[20:21]
	v_fma_f64 v[30:31], v[32:33], v[18:19], v[30:31]
	v_add_f64 v[24:25], v[24:25], -v[30:31]
	ds_read2_b64 v[30:33], v1 offset0:4 offset1:5
	s_waitcnt lgkmcnt(0)
	v_mul_f64 v[20:21], v[32:33], v[38:39]
	v_fma_f64 v[20:21], v[30:31], v[18:19], -v[20:21]
	v_mul_f64 v[30:31], v[30:31], v[38:39]
	v_add_f64 v[14:15], v[14:15], -v[20:21]
	v_fma_f64 v[30:31], v[32:33], v[18:19], v[30:31]
	v_add_f64 v[16:17], v[16:17], -v[30:31]
	;; [unrolled: 8-line block ×5, first 2 shown]
	ds_read2_b64 v[30:33], v1 offset0:12 offset1:13
	s_waitcnt lgkmcnt(0)
	v_mul_f64 v[20:21], v[32:33], v[38:39]
	v_fma_f64 v[20:21], v[30:31], v[18:19], -v[20:21]
	v_mul_f64 v[30:31], v[30:31], v[38:39]
	v_add_f64 v[26:27], v[26:27], -v[20:21]
	v_fma_f64 v[30:31], v[32:33], v[18:19], v[30:31]
	v_mov_b32_e32 v20, v38
	v_mov_b32_e32 v21, v39
	v_add_f64 v[28:29], v[28:29], -v[30:31]
.LBB12_22:
	s_or_b64 exec, exec, s[0:1]
	v_lshl_add_u32 v30, v40, 4, v1
	s_barrier
	ds_write2_b64 v30, v[22:23], v[24:25] offset1:1
	s_waitcnt lgkmcnt(0)
	s_barrier
	ds_read2_b64 v[30:33], v1 offset0:2 offset1:3
	s_cmp_lt_i32 s22, 3
	v_mov_b32_e32 v38, 1
	s_cbranch_scc1 .LBB12_25
; %bb.23:
	v_add3_u32 v39, v44, 0, 32
	s_mov_b32 s2, 2
	v_mov_b32_e32 v38, 1
.LBB12_24:                              ; =>This Inner Loop Header: Depth=1
	s_waitcnt lgkmcnt(0)
	v_cmp_gt_f64_e32 vcc, 0, v[32:33]
	v_cmp_gt_f64_e64 s[0:1], 0, v[30:31]
	ds_read2_b64 v[46:49], v39 offset1:1
	v_xor_b32_e32 v51, 0x80000000, v31
	v_xor_b32_e32 v53, 0x80000000, v33
	v_mov_b32_e32 v50, v30
	v_mov_b32_e32 v52, v32
	s_waitcnt lgkmcnt(0)
	v_xor_b32_e32 v55, 0x80000000, v49
	v_cndmask_b32_e32 v53, v33, v53, vcc
	v_cndmask_b32_e64 v51, v31, v51, s[0:1]
	v_cmp_gt_f64_e32 vcc, 0, v[48:49]
	v_cmp_gt_f64_e64 s[0:1], 0, v[46:47]
	v_add_f64 v[50:51], v[50:51], v[52:53]
	v_xor_b32_e32 v53, 0x80000000, v47
	v_mov_b32_e32 v52, v46
	v_mov_b32_e32 v54, v48
	v_add_u32_e32 v39, 16, v39
	v_cndmask_b32_e32 v55, v49, v55, vcc
	v_cndmask_b32_e64 v53, v47, v53, s[0:1]
	v_add_f64 v[52:53], v[52:53], v[54:55]
	v_mov_b32_e32 v54, s2
	s_add_i32 s2, s2, 1
	s_cmp_lg_u32 s22, s2
	v_cmp_lt_f64_e32 vcc, v[50:51], v[52:53]
	v_cndmask_b32_e32 v31, v31, v47, vcc
	v_cndmask_b32_e32 v30, v30, v46, vcc
	;; [unrolled: 1-line block ×5, first 2 shown]
	s_cbranch_scc1 .LBB12_24
.LBB12_25:
	s_waitcnt lgkmcnt(0)
	v_cmp_neq_f64_e32 vcc, 0, v[30:31]
	v_cmp_neq_f64_e64 s[0:1], 0, v[32:33]
	s_or_b64 s[2:3], vcc, s[0:1]
	s_and_saveexec_b64 s[0:1], s[2:3]
	s_cbranch_execz .LBB12_31
; %bb.26:
	v_cmp_ngt_f64_e64 s[2:3], |v[30:31]|, |v[32:33]|
	s_and_saveexec_b64 s[4:5], s[2:3]
	s_xor_b64 s[2:3], exec, s[4:5]
	s_cbranch_execz .LBB12_28
; %bb.27:
	v_div_scale_f64 v[46:47], s[4:5], v[32:33], v[32:33], v[30:31]
	v_rcp_f64_e32 v[48:49], v[46:47]
	v_fma_f64 v[50:51], -v[46:47], v[48:49], 1.0
	v_fma_f64 v[48:49], v[48:49], v[50:51], v[48:49]
	v_div_scale_f64 v[50:51], vcc, v[30:31], v[32:33], v[30:31]
	v_fma_f64 v[52:53], -v[46:47], v[48:49], 1.0
	v_fma_f64 v[48:49], v[48:49], v[52:53], v[48:49]
	v_mul_f64 v[52:53], v[50:51], v[48:49]
	v_fma_f64 v[46:47], -v[46:47], v[52:53], v[50:51]
	v_div_fmas_f64 v[46:47], v[46:47], v[48:49], v[52:53]
	v_div_fixup_f64 v[46:47], v[46:47], v[32:33], v[30:31]
	v_fma_f64 v[30:31], v[30:31], v[46:47], v[32:33]
	v_div_scale_f64 v[32:33], s[4:5], v[30:31], v[30:31], 1.0
	v_div_scale_f64 v[52:53], vcc, 1.0, v[30:31], 1.0
	v_rcp_f64_e32 v[48:49], v[32:33]
	v_fma_f64 v[50:51], -v[32:33], v[48:49], 1.0
	v_fma_f64 v[48:49], v[48:49], v[50:51], v[48:49]
	v_fma_f64 v[50:51], -v[32:33], v[48:49], 1.0
	v_fma_f64 v[48:49], v[48:49], v[50:51], v[48:49]
	v_mul_f64 v[50:51], v[52:53], v[48:49]
	v_fma_f64 v[32:33], -v[32:33], v[50:51], v[52:53]
	v_div_fmas_f64 v[32:33], v[32:33], v[48:49], v[50:51]
	v_div_fixup_f64 v[32:33], v[32:33], v[30:31], 1.0
	v_mul_f64 v[30:31], v[46:47], v[32:33]
	v_xor_b32_e32 v33, 0x80000000, v33
.LBB12_28:
	s_andn2_saveexec_b64 s[2:3], s[2:3]
	s_cbranch_execz .LBB12_30
; %bb.29:
	v_div_scale_f64 v[46:47], s[4:5], v[30:31], v[30:31], v[32:33]
	v_rcp_f64_e32 v[48:49], v[46:47]
	v_fma_f64 v[50:51], -v[46:47], v[48:49], 1.0
	v_fma_f64 v[48:49], v[48:49], v[50:51], v[48:49]
	v_div_scale_f64 v[50:51], vcc, v[32:33], v[30:31], v[32:33]
	v_fma_f64 v[52:53], -v[46:47], v[48:49], 1.0
	v_fma_f64 v[48:49], v[48:49], v[52:53], v[48:49]
	v_mul_f64 v[52:53], v[50:51], v[48:49]
	v_fma_f64 v[46:47], -v[46:47], v[52:53], v[50:51]
	v_div_fmas_f64 v[46:47], v[46:47], v[48:49], v[52:53]
	v_div_fixup_f64 v[46:47], v[46:47], v[30:31], v[32:33]
	v_fma_f64 v[30:31], v[32:33], v[46:47], v[30:31]
	v_div_scale_f64 v[32:33], s[4:5], v[30:31], v[30:31], 1.0
	v_div_scale_f64 v[52:53], vcc, 1.0, v[30:31], 1.0
	v_rcp_f64_e32 v[48:49], v[32:33]
	v_fma_f64 v[50:51], -v[32:33], v[48:49], 1.0
	v_fma_f64 v[48:49], v[48:49], v[50:51], v[48:49]
	v_fma_f64 v[50:51], -v[32:33], v[48:49], 1.0
	v_fma_f64 v[48:49], v[48:49], v[50:51], v[48:49]
	v_mul_f64 v[50:51], v[52:53], v[48:49]
	v_fma_f64 v[32:33], -v[32:33], v[50:51], v[52:53]
	v_div_fmas_f64 v[32:33], v[32:33], v[48:49], v[50:51]
	v_div_fixup_f64 v[30:31], v[32:33], v[30:31], 1.0
	v_mul_f64 v[32:33], v[46:47], -v[30:31]
.LBB12_30:
	s_or_b64 exec, exec, s[2:3]
	v_mov_b32_e32 v43, v45
.LBB12_31:
	s_or_b64 exec, exec, s[0:1]
	v_cmp_ne_u32_e32 vcc, v40, v38
	s_and_saveexec_b64 s[0:1], vcc
	s_xor_b64 s[0:1], exec, s[0:1]
	s_cbranch_execz .LBB12_37
; %bb.32:
	v_cmp_eq_u32_e32 vcc, 1, v40
	s_and_saveexec_b64 s[2:3], vcc
	s_cbranch_execz .LBB12_36
; %bb.33:
	v_cmp_ne_u32_e32 vcc, 1, v38
	s_xor_b64 s[4:5], s[18:19], -1
	s_and_b64 s[24:25], s[4:5], vcc
	s_and_saveexec_b64 s[4:5], s[24:25]
	s_cbranch_execz .LBB12_35
; %bb.34:
	v_ashrrev_i32_e32 v39, 31, v38
	v_lshlrev_b64 v[39:40], 2, v[38:39]
	v_add_co_u32_e32 v39, vcc, v36, v39
	v_addc_co_u32_e32 v40, vcc, v37, v40, vcc
	global_load_dword v0, v[39:40], off
	global_load_dword v45, v[36:37], off offset:4
	s_waitcnt vmcnt(1)
	global_store_dword v[36:37], v0, off offset:4
	s_waitcnt vmcnt(1)
	global_store_dword v[39:40], v45, off
.LBB12_35:
	s_or_b64 exec, exec, s[4:5]
	v_mov_b32_e32 v40, v38
	v_mov_b32_e32 v0, v38
.LBB12_36:
	s_or_b64 exec, exec, s[2:3]
.LBB12_37:
	s_andn2_saveexec_b64 s[0:1], s[0:1]
	s_cbranch_execz .LBB12_39
; %bb.38:
	v_mov_b32_e32 v40, 1
	ds_write2_b64 v1, v[14:15], v[16:17] offset0:4 offset1:5
	ds_write2_b64 v1, v[10:11], v[12:13] offset0:6 offset1:7
	;; [unrolled: 1-line block ×5, first 2 shown]
.LBB12_39:
	s_or_b64 exec, exec, s[0:1]
	v_cmp_lt_i32_e32 vcc, 1, v40
	s_waitcnt vmcnt(0) lgkmcnt(0)
	s_barrier
	s_and_saveexec_b64 s[0:1], vcc
	s_cbranch_execz .LBB12_41
; %bb.40:
	v_mul_f64 v[38:39], v[30:31], v[24:25]
	v_mul_f64 v[24:25], v[32:33], v[24:25]
	v_fma_f64 v[38:39], v[32:33], v[22:23], v[38:39]
	v_fma_f64 v[22:23], v[30:31], v[22:23], -v[24:25]
	ds_read2_b64 v[30:33], v1 offset0:4 offset1:5
	s_waitcnt lgkmcnt(0)
	v_mul_f64 v[24:25], v[32:33], v[38:39]
	v_fma_f64 v[24:25], v[30:31], v[22:23], -v[24:25]
	v_mul_f64 v[30:31], v[30:31], v[38:39]
	v_add_f64 v[14:15], v[14:15], -v[24:25]
	v_fma_f64 v[30:31], v[32:33], v[22:23], v[30:31]
	v_add_f64 v[16:17], v[16:17], -v[30:31]
	ds_read2_b64 v[30:33], v1 offset0:6 offset1:7
	s_waitcnt lgkmcnt(0)
	v_mul_f64 v[24:25], v[32:33], v[38:39]
	v_fma_f64 v[24:25], v[30:31], v[22:23], -v[24:25]
	v_mul_f64 v[30:31], v[30:31], v[38:39]
	v_add_f64 v[10:11], v[10:11], -v[24:25]
	v_fma_f64 v[30:31], v[32:33], v[22:23], v[30:31]
	v_add_f64 v[12:13], v[12:13], -v[30:31]
	;; [unrolled: 8-line block ×4, first 2 shown]
	ds_read2_b64 v[30:33], v1 offset0:12 offset1:13
	s_waitcnt lgkmcnt(0)
	v_mul_f64 v[24:25], v[32:33], v[38:39]
	v_fma_f64 v[24:25], v[30:31], v[22:23], -v[24:25]
	v_mul_f64 v[30:31], v[30:31], v[38:39]
	v_add_f64 v[26:27], v[26:27], -v[24:25]
	v_fma_f64 v[30:31], v[32:33], v[22:23], v[30:31]
	v_mov_b32_e32 v24, v38
	v_mov_b32_e32 v25, v39
	v_add_f64 v[28:29], v[28:29], -v[30:31]
.LBB12_41:
	s_or_b64 exec, exec, s[0:1]
	v_lshl_add_u32 v30, v40, 4, v1
	s_barrier
	ds_write2_b64 v30, v[14:15], v[16:17] offset1:1
	s_waitcnt lgkmcnt(0)
	s_barrier
	ds_read2_b64 v[30:33], v1 offset0:4 offset1:5
	s_cmp_lt_i32 s22, 4
	v_mov_b32_e32 v38, 2
	s_cbranch_scc1 .LBB12_44
; %bb.42:
	v_add3_u32 v39, v44, 0, 48
	s_mov_b32 s2, 3
	v_mov_b32_e32 v38, 2
.LBB12_43:                              ; =>This Inner Loop Header: Depth=1
	s_waitcnt lgkmcnt(0)
	v_cmp_gt_f64_e32 vcc, 0, v[32:33]
	v_cmp_gt_f64_e64 s[0:1], 0, v[30:31]
	ds_read2_b64 v[45:48], v39 offset1:1
	v_xor_b32_e32 v50, 0x80000000, v31
	v_xor_b32_e32 v52, 0x80000000, v33
	v_mov_b32_e32 v49, v30
	v_mov_b32_e32 v51, v32
	s_waitcnt lgkmcnt(0)
	v_xor_b32_e32 v54, 0x80000000, v48
	v_cndmask_b32_e32 v52, v33, v52, vcc
	v_cndmask_b32_e64 v50, v31, v50, s[0:1]
	v_cmp_gt_f64_e32 vcc, 0, v[47:48]
	v_cmp_gt_f64_e64 s[0:1], 0, v[45:46]
	v_add_f64 v[49:50], v[49:50], v[51:52]
	v_xor_b32_e32 v52, 0x80000000, v46
	v_mov_b32_e32 v51, v45
	v_mov_b32_e32 v53, v47
	v_add_u32_e32 v39, 16, v39
	v_cndmask_b32_e32 v54, v48, v54, vcc
	v_cndmask_b32_e64 v52, v46, v52, s[0:1]
	v_add_f64 v[51:52], v[51:52], v[53:54]
	v_mov_b32_e32 v53, s2
	s_add_i32 s2, s2, 1
	s_cmp_lg_u32 s22, s2
	v_cmp_lt_f64_e32 vcc, v[49:50], v[51:52]
	v_cndmask_b32_e32 v31, v31, v46, vcc
	v_cndmask_b32_e32 v30, v30, v45, vcc
	;; [unrolled: 1-line block ×5, first 2 shown]
	s_cbranch_scc1 .LBB12_43
.LBB12_44:
	s_waitcnt lgkmcnt(0)
	v_cmp_eq_f64_e32 vcc, 0, v[30:31]
	v_cmp_eq_f64_e64 s[0:1], 0, v[32:33]
	s_and_b64 s[0:1], vcc, s[0:1]
	s_and_saveexec_b64 s[2:3], s[0:1]
	s_xor_b64 s[0:1], exec, s[2:3]
; %bb.45:
	v_cmp_ne_u32_e32 vcc, 0, v43
	v_cndmask_b32_e32 v43, 3, v43, vcc
; %bb.46:
	s_andn2_saveexec_b64 s[0:1], s[0:1]
	s_cbranch_execz .LBB12_52
; %bb.47:
	v_cmp_ngt_f64_e64 s[2:3], |v[30:31]|, |v[32:33]|
	s_and_saveexec_b64 s[4:5], s[2:3]
	s_xor_b64 s[2:3], exec, s[4:5]
	s_cbranch_execz .LBB12_49
; %bb.48:
	v_div_scale_f64 v[45:46], s[4:5], v[32:33], v[32:33], v[30:31]
	v_rcp_f64_e32 v[47:48], v[45:46]
	v_fma_f64 v[49:50], -v[45:46], v[47:48], 1.0
	v_fma_f64 v[47:48], v[47:48], v[49:50], v[47:48]
	v_div_scale_f64 v[49:50], vcc, v[30:31], v[32:33], v[30:31]
	v_fma_f64 v[51:52], -v[45:46], v[47:48], 1.0
	v_fma_f64 v[47:48], v[47:48], v[51:52], v[47:48]
	v_mul_f64 v[51:52], v[49:50], v[47:48]
	v_fma_f64 v[45:46], -v[45:46], v[51:52], v[49:50]
	v_div_fmas_f64 v[45:46], v[45:46], v[47:48], v[51:52]
	v_div_fixup_f64 v[45:46], v[45:46], v[32:33], v[30:31]
	v_fma_f64 v[30:31], v[30:31], v[45:46], v[32:33]
	v_div_scale_f64 v[32:33], s[4:5], v[30:31], v[30:31], 1.0
	v_div_scale_f64 v[51:52], vcc, 1.0, v[30:31], 1.0
	v_rcp_f64_e32 v[47:48], v[32:33]
	v_fma_f64 v[49:50], -v[32:33], v[47:48], 1.0
	v_fma_f64 v[47:48], v[47:48], v[49:50], v[47:48]
	v_fma_f64 v[49:50], -v[32:33], v[47:48], 1.0
	v_fma_f64 v[47:48], v[47:48], v[49:50], v[47:48]
	v_mul_f64 v[49:50], v[51:52], v[47:48]
	v_fma_f64 v[32:33], -v[32:33], v[49:50], v[51:52]
	v_div_fmas_f64 v[32:33], v[32:33], v[47:48], v[49:50]
	v_div_fixup_f64 v[32:33], v[32:33], v[30:31], 1.0
	v_mul_f64 v[30:31], v[45:46], v[32:33]
	v_xor_b32_e32 v33, 0x80000000, v33
.LBB12_49:
	s_andn2_saveexec_b64 s[2:3], s[2:3]
	s_cbranch_execz .LBB12_51
; %bb.50:
	v_div_scale_f64 v[45:46], s[4:5], v[30:31], v[30:31], v[32:33]
	v_rcp_f64_e32 v[47:48], v[45:46]
	v_fma_f64 v[49:50], -v[45:46], v[47:48], 1.0
	v_fma_f64 v[47:48], v[47:48], v[49:50], v[47:48]
	v_div_scale_f64 v[49:50], vcc, v[32:33], v[30:31], v[32:33]
	v_fma_f64 v[51:52], -v[45:46], v[47:48], 1.0
	v_fma_f64 v[47:48], v[47:48], v[51:52], v[47:48]
	v_mul_f64 v[51:52], v[49:50], v[47:48]
	v_fma_f64 v[45:46], -v[45:46], v[51:52], v[49:50]
	v_div_fmas_f64 v[45:46], v[45:46], v[47:48], v[51:52]
	v_div_fixup_f64 v[45:46], v[45:46], v[30:31], v[32:33]
	v_fma_f64 v[30:31], v[32:33], v[45:46], v[30:31]
	v_div_scale_f64 v[32:33], s[4:5], v[30:31], v[30:31], 1.0
	v_div_scale_f64 v[51:52], vcc, 1.0, v[30:31], 1.0
	v_rcp_f64_e32 v[47:48], v[32:33]
	v_fma_f64 v[49:50], -v[32:33], v[47:48], 1.0
	v_fma_f64 v[47:48], v[47:48], v[49:50], v[47:48]
	v_fma_f64 v[49:50], -v[32:33], v[47:48], 1.0
	v_fma_f64 v[47:48], v[47:48], v[49:50], v[47:48]
	v_mul_f64 v[49:50], v[51:52], v[47:48]
	v_fma_f64 v[32:33], -v[32:33], v[49:50], v[51:52]
	v_div_fmas_f64 v[32:33], v[32:33], v[47:48], v[49:50]
	v_div_fixup_f64 v[30:31], v[32:33], v[30:31], 1.0
	v_mul_f64 v[32:33], v[45:46], -v[30:31]
.LBB12_51:
	s_or_b64 exec, exec, s[2:3]
.LBB12_52:
	s_or_b64 exec, exec, s[0:1]
	v_cmp_ne_u32_e32 vcc, v40, v38
	s_and_saveexec_b64 s[0:1], vcc
	s_xor_b64 s[0:1], exec, s[0:1]
	s_cbranch_execz .LBB12_58
; %bb.53:
	v_cmp_eq_u32_e32 vcc, 2, v40
	s_and_saveexec_b64 s[2:3], vcc
	s_cbranch_execz .LBB12_57
; %bb.54:
	v_cmp_ne_u32_e32 vcc, 2, v38
	s_xor_b64 s[4:5], s[18:19], -1
	s_and_b64 s[24:25], s[4:5], vcc
	s_and_saveexec_b64 s[4:5], s[24:25]
	s_cbranch_execz .LBB12_56
; %bb.55:
	v_ashrrev_i32_e32 v39, 31, v38
	v_lshlrev_b64 v[39:40], 2, v[38:39]
	v_add_co_u32_e32 v39, vcc, v36, v39
	v_addc_co_u32_e32 v40, vcc, v37, v40, vcc
	global_load_dword v0, v[39:40], off
	global_load_dword v45, v[36:37], off offset:8
	s_waitcnt vmcnt(1)
	global_store_dword v[36:37], v0, off offset:8
	s_waitcnt vmcnt(1)
	global_store_dword v[39:40], v45, off
.LBB12_56:
	s_or_b64 exec, exec, s[4:5]
	v_mov_b32_e32 v40, v38
	v_mov_b32_e32 v0, v38
.LBB12_57:
	s_or_b64 exec, exec, s[2:3]
.LBB12_58:
	s_andn2_saveexec_b64 s[0:1], s[0:1]
	s_cbranch_execz .LBB12_60
; %bb.59:
	v_mov_b32_e32 v40, 2
	ds_write2_b64 v1, v[10:11], v[12:13] offset0:6 offset1:7
	ds_write2_b64 v1, v[6:7], v[8:9] offset0:8 offset1:9
	;; [unrolled: 1-line block ×4, first 2 shown]
.LBB12_60:
	s_or_b64 exec, exec, s[0:1]
	v_cmp_lt_i32_e32 vcc, 2, v40
	s_waitcnt vmcnt(0) lgkmcnt(0)
	s_barrier
	s_and_saveexec_b64 s[0:1], vcc
	s_cbranch_execz .LBB12_62
; %bb.61:
	v_mul_f64 v[38:39], v[30:31], v[16:17]
	v_mul_f64 v[16:17], v[32:33], v[16:17]
	v_fma_f64 v[38:39], v[32:33], v[14:15], v[38:39]
	v_fma_f64 v[14:15], v[30:31], v[14:15], -v[16:17]
	ds_read2_b64 v[30:33], v1 offset0:6 offset1:7
	s_waitcnt lgkmcnt(0)
	v_mul_f64 v[16:17], v[32:33], v[38:39]
	v_fma_f64 v[16:17], v[30:31], v[14:15], -v[16:17]
	v_mul_f64 v[30:31], v[30:31], v[38:39]
	v_add_f64 v[10:11], v[10:11], -v[16:17]
	v_fma_f64 v[30:31], v[32:33], v[14:15], v[30:31]
	v_add_f64 v[12:13], v[12:13], -v[30:31]
	ds_read2_b64 v[30:33], v1 offset0:8 offset1:9
	s_waitcnt lgkmcnt(0)
	v_mul_f64 v[16:17], v[32:33], v[38:39]
	v_fma_f64 v[16:17], v[30:31], v[14:15], -v[16:17]
	v_mul_f64 v[30:31], v[30:31], v[38:39]
	v_add_f64 v[6:7], v[6:7], -v[16:17]
	v_fma_f64 v[30:31], v[32:33], v[14:15], v[30:31]
	v_add_f64 v[8:9], v[8:9], -v[30:31]
	ds_read2_b64 v[30:33], v1 offset0:10 offset1:11
	s_waitcnt lgkmcnt(0)
	v_mul_f64 v[16:17], v[32:33], v[38:39]
	v_fma_f64 v[16:17], v[30:31], v[14:15], -v[16:17]
	v_mul_f64 v[30:31], v[30:31], v[38:39]
	v_add_f64 v[2:3], v[2:3], -v[16:17]
	v_fma_f64 v[30:31], v[32:33], v[14:15], v[30:31]
	v_add_f64 v[4:5], v[4:5], -v[30:31]
	ds_read2_b64 v[30:33], v1 offset0:12 offset1:13
	s_waitcnt lgkmcnt(0)
	v_mul_f64 v[16:17], v[32:33], v[38:39]
	v_fma_f64 v[16:17], v[30:31], v[14:15], -v[16:17]
	v_mul_f64 v[30:31], v[30:31], v[38:39]
	v_add_f64 v[26:27], v[26:27], -v[16:17]
	v_fma_f64 v[30:31], v[32:33], v[14:15], v[30:31]
	v_mov_b32_e32 v16, v38
	v_mov_b32_e32 v17, v39
	v_add_f64 v[28:29], v[28:29], -v[30:31]
.LBB12_62:
	s_or_b64 exec, exec, s[0:1]
	v_lshl_add_u32 v30, v40, 4, v1
	s_barrier
	ds_write2_b64 v30, v[10:11], v[12:13] offset1:1
	s_waitcnt lgkmcnt(0)
	s_barrier
	ds_read2_b64 v[30:33], v1 offset0:6 offset1:7
	s_mov_b32 s2, 4
	s_cmp_lt_i32 s22, 5
	v_mov_b32_e32 v38, 3
	s_cbranch_scc1 .LBB12_65
; %bb.63:
	v_add3_u32 v39, v44, 0, 64
	v_mov_b32_e32 v38, 3
.LBB12_64:                              ; =>This Inner Loop Header: Depth=1
	s_waitcnt lgkmcnt(0)
	v_cmp_gt_f64_e32 vcc, 0, v[32:33]
	v_cmp_gt_f64_e64 s[0:1], 0, v[30:31]
	ds_read2_b64 v[44:47], v39 offset1:1
	v_xor_b32_e32 v49, 0x80000000, v31
	v_xor_b32_e32 v51, 0x80000000, v33
	v_mov_b32_e32 v48, v30
	v_mov_b32_e32 v50, v32
	s_waitcnt lgkmcnt(0)
	v_xor_b32_e32 v53, 0x80000000, v47
	v_cndmask_b32_e32 v51, v33, v51, vcc
	v_cndmask_b32_e64 v49, v31, v49, s[0:1]
	v_cmp_gt_f64_e32 vcc, 0, v[46:47]
	v_cmp_gt_f64_e64 s[0:1], 0, v[44:45]
	v_add_f64 v[48:49], v[48:49], v[50:51]
	v_xor_b32_e32 v51, 0x80000000, v45
	v_mov_b32_e32 v50, v44
	v_mov_b32_e32 v52, v46
	v_add_u32_e32 v39, 16, v39
	v_cndmask_b32_e32 v53, v47, v53, vcc
	v_cndmask_b32_e64 v51, v45, v51, s[0:1]
	v_add_f64 v[50:51], v[50:51], v[52:53]
	v_mov_b32_e32 v52, s2
	s_add_i32 s2, s2, 1
	s_cmp_lg_u32 s22, s2
	v_cmp_lt_f64_e32 vcc, v[48:49], v[50:51]
	v_cndmask_b32_e32 v31, v31, v45, vcc
	v_cndmask_b32_e32 v30, v30, v44, vcc
	;; [unrolled: 1-line block ×5, first 2 shown]
	s_cbranch_scc1 .LBB12_64
.LBB12_65:
	s_waitcnt lgkmcnt(0)
	v_cmp_eq_f64_e32 vcc, 0, v[30:31]
	v_cmp_eq_f64_e64 s[0:1], 0, v[32:33]
	s_and_b64 s[0:1], vcc, s[0:1]
	s_and_saveexec_b64 s[2:3], s[0:1]
	s_xor_b64 s[0:1], exec, s[2:3]
; %bb.66:
	v_cmp_ne_u32_e32 vcc, 0, v43
	v_cndmask_b32_e32 v43, 4, v43, vcc
; %bb.67:
	s_andn2_saveexec_b64 s[0:1], s[0:1]
	s_cbranch_execz .LBB12_73
; %bb.68:
	v_cmp_ngt_f64_e64 s[2:3], |v[30:31]|, |v[32:33]|
	s_and_saveexec_b64 s[4:5], s[2:3]
	s_xor_b64 s[2:3], exec, s[4:5]
	s_cbranch_execz .LBB12_70
; %bb.69:
	v_div_scale_f64 v[44:45], s[4:5], v[32:33], v[32:33], v[30:31]
	v_rcp_f64_e32 v[46:47], v[44:45]
	v_fma_f64 v[48:49], -v[44:45], v[46:47], 1.0
	v_fma_f64 v[46:47], v[46:47], v[48:49], v[46:47]
	v_div_scale_f64 v[48:49], vcc, v[30:31], v[32:33], v[30:31]
	v_fma_f64 v[50:51], -v[44:45], v[46:47], 1.0
	v_fma_f64 v[46:47], v[46:47], v[50:51], v[46:47]
	v_mul_f64 v[50:51], v[48:49], v[46:47]
	v_fma_f64 v[44:45], -v[44:45], v[50:51], v[48:49]
	v_div_fmas_f64 v[44:45], v[44:45], v[46:47], v[50:51]
	v_div_fixup_f64 v[44:45], v[44:45], v[32:33], v[30:31]
	v_fma_f64 v[30:31], v[30:31], v[44:45], v[32:33]
	v_div_scale_f64 v[32:33], s[4:5], v[30:31], v[30:31], 1.0
	v_div_scale_f64 v[50:51], vcc, 1.0, v[30:31], 1.0
	v_rcp_f64_e32 v[46:47], v[32:33]
	v_fma_f64 v[48:49], -v[32:33], v[46:47], 1.0
	v_fma_f64 v[46:47], v[46:47], v[48:49], v[46:47]
	v_fma_f64 v[48:49], -v[32:33], v[46:47], 1.0
	v_fma_f64 v[46:47], v[46:47], v[48:49], v[46:47]
	v_mul_f64 v[48:49], v[50:51], v[46:47]
	v_fma_f64 v[32:33], -v[32:33], v[48:49], v[50:51]
	v_div_fmas_f64 v[32:33], v[32:33], v[46:47], v[48:49]
	v_div_fixup_f64 v[32:33], v[32:33], v[30:31], 1.0
	v_mul_f64 v[30:31], v[44:45], v[32:33]
	v_xor_b32_e32 v33, 0x80000000, v33
.LBB12_70:
	s_andn2_saveexec_b64 s[2:3], s[2:3]
	s_cbranch_execz .LBB12_72
; %bb.71:
	v_div_scale_f64 v[44:45], s[4:5], v[30:31], v[30:31], v[32:33]
	v_rcp_f64_e32 v[46:47], v[44:45]
	v_fma_f64 v[48:49], -v[44:45], v[46:47], 1.0
	v_fma_f64 v[46:47], v[46:47], v[48:49], v[46:47]
	v_div_scale_f64 v[48:49], vcc, v[32:33], v[30:31], v[32:33]
	v_fma_f64 v[50:51], -v[44:45], v[46:47], 1.0
	v_fma_f64 v[46:47], v[46:47], v[50:51], v[46:47]
	v_mul_f64 v[50:51], v[48:49], v[46:47]
	v_fma_f64 v[44:45], -v[44:45], v[50:51], v[48:49]
	v_div_fmas_f64 v[44:45], v[44:45], v[46:47], v[50:51]
	v_div_fixup_f64 v[44:45], v[44:45], v[30:31], v[32:33]
	v_fma_f64 v[30:31], v[32:33], v[44:45], v[30:31]
	v_div_scale_f64 v[32:33], s[4:5], v[30:31], v[30:31], 1.0
	v_div_scale_f64 v[50:51], vcc, 1.0, v[30:31], 1.0
	v_rcp_f64_e32 v[46:47], v[32:33]
	v_fma_f64 v[48:49], -v[32:33], v[46:47], 1.0
	v_fma_f64 v[46:47], v[46:47], v[48:49], v[46:47]
	v_fma_f64 v[48:49], -v[32:33], v[46:47], 1.0
	v_fma_f64 v[46:47], v[46:47], v[48:49], v[46:47]
	v_mul_f64 v[48:49], v[50:51], v[46:47]
	v_fma_f64 v[32:33], -v[32:33], v[48:49], v[50:51]
	v_div_fmas_f64 v[32:33], v[32:33], v[46:47], v[48:49]
	v_div_fixup_f64 v[30:31], v[32:33], v[30:31], 1.0
	v_mul_f64 v[32:33], v[44:45], -v[30:31]
.LBB12_72:
	s_or_b64 exec, exec, s[2:3]
.LBB12_73:
	s_or_b64 exec, exec, s[0:1]
	v_cmp_ne_u32_e32 vcc, v40, v38
	s_and_saveexec_b64 s[0:1], vcc
	s_xor_b64 s[0:1], exec, s[0:1]
	s_cbranch_execz .LBB12_79
; %bb.74:
	v_cmp_eq_u32_e32 vcc, 3, v40
	s_and_saveexec_b64 s[2:3], vcc
	s_cbranch_execz .LBB12_78
; %bb.75:
	v_cmp_ne_u32_e32 vcc, 3, v38
	s_xor_b64 s[4:5], s[18:19], -1
	s_and_b64 s[24:25], s[4:5], vcc
	s_and_saveexec_b64 s[4:5], s[24:25]
	s_cbranch_execz .LBB12_77
; %bb.76:
	v_ashrrev_i32_e32 v39, 31, v38
	v_lshlrev_b64 v[39:40], 2, v[38:39]
	v_add_co_u32_e32 v39, vcc, v36, v39
	v_addc_co_u32_e32 v40, vcc, v37, v40, vcc
	global_load_dword v0, v[39:40], off
	global_load_dword v44, v[36:37], off offset:12
	s_waitcnt vmcnt(1)
	global_store_dword v[36:37], v0, off offset:12
	s_waitcnt vmcnt(1)
	global_store_dword v[39:40], v44, off
.LBB12_77:
	s_or_b64 exec, exec, s[4:5]
	v_mov_b32_e32 v40, v38
	v_mov_b32_e32 v0, v38
.LBB12_78:
	s_or_b64 exec, exec, s[2:3]
.LBB12_79:
	s_andn2_saveexec_b64 s[0:1], s[0:1]
	s_cbranch_execz .LBB12_81
; %bb.80:
	v_mov_b32_e32 v40, 3
	ds_write2_b64 v1, v[6:7], v[8:9] offset0:8 offset1:9
	ds_write2_b64 v1, v[2:3], v[4:5] offset0:10 offset1:11
	ds_write2_b64 v1, v[26:27], v[28:29] offset0:12 offset1:13
.LBB12_81:
	s_or_b64 exec, exec, s[0:1]
	v_cmp_lt_i32_e32 vcc, 3, v40
	s_waitcnt vmcnt(0) lgkmcnt(0)
	s_barrier
	s_and_saveexec_b64 s[0:1], vcc
	s_cbranch_execz .LBB12_83
; %bb.82:
	v_mul_f64 v[38:39], v[30:31], v[12:13]
	v_mul_f64 v[12:13], v[32:33], v[12:13]
	ds_read2_b64 v[44:47], v1 offset0:8 offset1:9
	ds_read2_b64 v[48:51], v1 offset0:10 offset1:11
	;; [unrolled: 1-line block ×3, first 2 shown]
	v_fma_f64 v[32:33], v[32:33], v[10:11], v[38:39]
	v_fma_f64 v[10:11], v[30:31], v[10:11], -v[12:13]
	s_waitcnt lgkmcnt(2)
	v_mul_f64 v[12:13], v[46:47], v[32:33]
	v_mul_f64 v[30:31], v[44:45], v[32:33]
	s_waitcnt lgkmcnt(1)
	v_mul_f64 v[38:39], v[50:51], v[32:33]
	v_mul_f64 v[56:57], v[48:49], v[32:33]
	;; [unrolled: 3-line block ×3, first 2 shown]
	v_fma_f64 v[12:13], v[44:45], v[10:11], -v[12:13]
	v_fma_f64 v[30:31], v[46:47], v[10:11], v[30:31]
	v_fma_f64 v[38:39], v[48:49], v[10:11], -v[38:39]
	v_fma_f64 v[44:45], v[50:51], v[10:11], v[56:57]
	;; [unrolled: 2-line block ×3, first 2 shown]
	v_add_f64 v[6:7], v[6:7], -v[12:13]
	v_add_f64 v[8:9], v[8:9], -v[30:31]
	;; [unrolled: 1-line block ×6, first 2 shown]
	v_mov_b32_e32 v12, v32
	v_mov_b32_e32 v13, v33
.LBB12_83:
	s_or_b64 exec, exec, s[0:1]
	v_lshl_add_u32 v30, v40, 4, v1
	s_barrier
	ds_write2_b64 v30, v[6:7], v[8:9] offset1:1
	s_waitcnt lgkmcnt(0)
	s_barrier
	ds_read2_b64 v[30:33], v1 offset0:8 offset1:9
	s_cmp_lt_i32 s22, 6
	v_mov_b32_e32 v38, 4
	s_cbranch_scc1 .LBB12_86
; %bb.84:
	v_mov_b32_e32 v38, 4
	v_add_u32_e32 v39, 0x50, v1
	s_mov_b32 s2, 5
.LBB12_85:                              ; =>This Inner Loop Header: Depth=1
	s_waitcnt lgkmcnt(0)
	v_cmp_gt_f64_e32 vcc, 0, v[32:33]
	v_cmp_gt_f64_e64 s[0:1], 0, v[30:31]
	ds_read2_b64 v[44:47], v39 offset1:1
	v_xor_b32_e32 v49, 0x80000000, v31
	v_xor_b32_e32 v51, 0x80000000, v33
	v_mov_b32_e32 v48, v30
	v_mov_b32_e32 v50, v32
	s_waitcnt lgkmcnt(0)
	v_xor_b32_e32 v53, 0x80000000, v47
	v_cndmask_b32_e32 v51, v33, v51, vcc
	v_cndmask_b32_e64 v49, v31, v49, s[0:1]
	v_cmp_gt_f64_e32 vcc, 0, v[46:47]
	v_cmp_gt_f64_e64 s[0:1], 0, v[44:45]
	v_add_f64 v[48:49], v[48:49], v[50:51]
	v_xor_b32_e32 v51, 0x80000000, v45
	v_mov_b32_e32 v50, v44
	v_mov_b32_e32 v52, v46
	v_add_u32_e32 v39, 16, v39
	v_cndmask_b32_e32 v53, v47, v53, vcc
	v_cndmask_b32_e64 v51, v45, v51, s[0:1]
	v_add_f64 v[50:51], v[50:51], v[52:53]
	v_mov_b32_e32 v52, s2
	s_add_i32 s2, s2, 1
	s_cmp_lg_u32 s22, s2
	v_cmp_lt_f64_e32 vcc, v[48:49], v[50:51]
	v_cndmask_b32_e32 v31, v31, v45, vcc
	v_cndmask_b32_e32 v30, v30, v44, vcc
	;; [unrolled: 1-line block ×5, first 2 shown]
	s_cbranch_scc1 .LBB12_85
.LBB12_86:
	s_waitcnt lgkmcnt(0)
	v_cmp_eq_f64_e32 vcc, 0, v[30:31]
	v_cmp_eq_f64_e64 s[0:1], 0, v[32:33]
	s_and_b64 s[0:1], vcc, s[0:1]
	s_and_saveexec_b64 s[2:3], s[0:1]
	s_xor_b64 s[0:1], exec, s[2:3]
; %bb.87:
	v_cmp_ne_u32_e32 vcc, 0, v43
	v_cndmask_b32_e32 v43, 5, v43, vcc
; %bb.88:
	s_andn2_saveexec_b64 s[0:1], s[0:1]
	s_cbranch_execz .LBB12_94
; %bb.89:
	v_cmp_ngt_f64_e64 s[2:3], |v[30:31]|, |v[32:33]|
	s_and_saveexec_b64 s[4:5], s[2:3]
	s_xor_b64 s[2:3], exec, s[4:5]
	s_cbranch_execz .LBB12_91
; %bb.90:
	v_div_scale_f64 v[44:45], s[4:5], v[32:33], v[32:33], v[30:31]
	v_rcp_f64_e32 v[46:47], v[44:45]
	v_fma_f64 v[48:49], -v[44:45], v[46:47], 1.0
	v_fma_f64 v[46:47], v[46:47], v[48:49], v[46:47]
	v_div_scale_f64 v[48:49], vcc, v[30:31], v[32:33], v[30:31]
	v_fma_f64 v[50:51], -v[44:45], v[46:47], 1.0
	v_fma_f64 v[46:47], v[46:47], v[50:51], v[46:47]
	v_mul_f64 v[50:51], v[48:49], v[46:47]
	v_fma_f64 v[44:45], -v[44:45], v[50:51], v[48:49]
	v_div_fmas_f64 v[44:45], v[44:45], v[46:47], v[50:51]
	v_div_fixup_f64 v[44:45], v[44:45], v[32:33], v[30:31]
	v_fma_f64 v[30:31], v[30:31], v[44:45], v[32:33]
	v_div_scale_f64 v[32:33], s[4:5], v[30:31], v[30:31], 1.0
	v_div_scale_f64 v[50:51], vcc, 1.0, v[30:31], 1.0
	v_rcp_f64_e32 v[46:47], v[32:33]
	v_fma_f64 v[48:49], -v[32:33], v[46:47], 1.0
	v_fma_f64 v[46:47], v[46:47], v[48:49], v[46:47]
	v_fma_f64 v[48:49], -v[32:33], v[46:47], 1.0
	v_fma_f64 v[46:47], v[46:47], v[48:49], v[46:47]
	v_mul_f64 v[48:49], v[50:51], v[46:47]
	v_fma_f64 v[32:33], -v[32:33], v[48:49], v[50:51]
	v_div_fmas_f64 v[32:33], v[32:33], v[46:47], v[48:49]
	v_div_fixup_f64 v[32:33], v[32:33], v[30:31], 1.0
	v_mul_f64 v[30:31], v[44:45], v[32:33]
	v_xor_b32_e32 v33, 0x80000000, v33
.LBB12_91:
	s_andn2_saveexec_b64 s[2:3], s[2:3]
	s_cbranch_execz .LBB12_93
; %bb.92:
	v_div_scale_f64 v[44:45], s[4:5], v[30:31], v[30:31], v[32:33]
	v_rcp_f64_e32 v[46:47], v[44:45]
	v_fma_f64 v[48:49], -v[44:45], v[46:47], 1.0
	v_fma_f64 v[46:47], v[46:47], v[48:49], v[46:47]
	v_div_scale_f64 v[48:49], vcc, v[32:33], v[30:31], v[32:33]
	v_fma_f64 v[50:51], -v[44:45], v[46:47], 1.0
	v_fma_f64 v[46:47], v[46:47], v[50:51], v[46:47]
	v_mul_f64 v[50:51], v[48:49], v[46:47]
	v_fma_f64 v[44:45], -v[44:45], v[50:51], v[48:49]
	v_div_fmas_f64 v[44:45], v[44:45], v[46:47], v[50:51]
	v_div_fixup_f64 v[44:45], v[44:45], v[30:31], v[32:33]
	v_fma_f64 v[30:31], v[32:33], v[44:45], v[30:31]
	v_div_scale_f64 v[32:33], s[4:5], v[30:31], v[30:31], 1.0
	v_div_scale_f64 v[50:51], vcc, 1.0, v[30:31], 1.0
	v_rcp_f64_e32 v[46:47], v[32:33]
	v_fma_f64 v[48:49], -v[32:33], v[46:47], 1.0
	v_fma_f64 v[46:47], v[46:47], v[48:49], v[46:47]
	v_fma_f64 v[48:49], -v[32:33], v[46:47], 1.0
	v_fma_f64 v[46:47], v[46:47], v[48:49], v[46:47]
	v_mul_f64 v[48:49], v[50:51], v[46:47]
	v_fma_f64 v[32:33], -v[32:33], v[48:49], v[50:51]
	v_div_fmas_f64 v[32:33], v[32:33], v[46:47], v[48:49]
	v_div_fixup_f64 v[30:31], v[32:33], v[30:31], 1.0
	v_mul_f64 v[32:33], v[44:45], -v[30:31]
.LBB12_93:
	s_or_b64 exec, exec, s[2:3]
.LBB12_94:
	s_or_b64 exec, exec, s[0:1]
	v_cmp_ne_u32_e32 vcc, v40, v38
	s_and_saveexec_b64 s[0:1], vcc
	s_xor_b64 s[0:1], exec, s[0:1]
	s_cbranch_execz .LBB12_100
; %bb.95:
	v_cmp_eq_u32_e32 vcc, 4, v40
	s_and_saveexec_b64 s[2:3], vcc
	s_cbranch_execz .LBB12_99
; %bb.96:
	v_cmp_ne_u32_e32 vcc, 4, v38
	s_xor_b64 s[4:5], s[18:19], -1
	s_and_b64 s[24:25], s[4:5], vcc
	s_and_saveexec_b64 s[4:5], s[24:25]
	s_cbranch_execz .LBB12_98
; %bb.97:
	v_ashrrev_i32_e32 v39, 31, v38
	v_lshlrev_b64 v[39:40], 2, v[38:39]
	v_add_co_u32_e32 v39, vcc, v36, v39
	v_addc_co_u32_e32 v40, vcc, v37, v40, vcc
	global_load_dword v0, v[39:40], off
	global_load_dword v44, v[36:37], off offset:16
	s_waitcnt vmcnt(1)
	global_store_dword v[36:37], v0, off offset:16
	s_waitcnt vmcnt(1)
	global_store_dword v[39:40], v44, off
.LBB12_98:
	s_or_b64 exec, exec, s[4:5]
	v_mov_b32_e32 v40, v38
	v_mov_b32_e32 v0, v38
.LBB12_99:
	s_or_b64 exec, exec, s[2:3]
.LBB12_100:
	s_andn2_saveexec_b64 s[0:1], s[0:1]
	s_cbranch_execz .LBB12_102
; %bb.101:
	v_mov_b32_e32 v40, 4
	ds_write2_b64 v1, v[2:3], v[4:5] offset0:10 offset1:11
	ds_write2_b64 v1, v[26:27], v[28:29] offset0:12 offset1:13
.LBB12_102:
	s_or_b64 exec, exec, s[0:1]
	v_cmp_lt_i32_e32 vcc, 4, v40
	s_waitcnt vmcnt(0) lgkmcnt(0)
	s_barrier
	s_and_saveexec_b64 s[0:1], vcc
	s_cbranch_execz .LBB12_104
; %bb.103:
	v_mul_f64 v[38:39], v[30:31], v[8:9]
	v_mul_f64 v[8:9], v[32:33], v[8:9]
	ds_read2_b64 v[44:47], v1 offset0:10 offset1:11
	ds_read2_b64 v[48:51], v1 offset0:12 offset1:13
	v_fma_f64 v[32:33], v[32:33], v[6:7], v[38:39]
	v_fma_f64 v[6:7], v[30:31], v[6:7], -v[8:9]
	s_waitcnt lgkmcnt(1)
	v_mul_f64 v[8:9], v[46:47], v[32:33]
	v_mul_f64 v[30:31], v[44:45], v[32:33]
	s_waitcnt lgkmcnt(0)
	v_mul_f64 v[38:39], v[50:51], v[32:33]
	v_mul_f64 v[52:53], v[48:49], v[32:33]
	v_fma_f64 v[8:9], v[44:45], v[6:7], -v[8:9]
	v_fma_f64 v[30:31], v[46:47], v[6:7], v[30:31]
	v_fma_f64 v[38:39], v[48:49], v[6:7], -v[38:39]
	v_fma_f64 v[44:45], v[50:51], v[6:7], v[52:53]
	v_add_f64 v[2:3], v[2:3], -v[8:9]
	v_add_f64 v[4:5], v[4:5], -v[30:31]
	;; [unrolled: 1-line block ×4, first 2 shown]
	v_mov_b32_e32 v8, v32
	v_mov_b32_e32 v9, v33
.LBB12_104:
	s_or_b64 exec, exec, s[0:1]
	v_lshl_add_u32 v30, v40, 4, v1
	s_barrier
	ds_write2_b64 v30, v[2:3], v[4:5] offset1:1
	s_waitcnt lgkmcnt(0)
	s_barrier
	ds_read2_b64 v[30:33], v1 offset0:10 offset1:11
	s_cmp_lt_i32 s22, 7
	v_mov_b32_e32 v38, 5
	s_cbranch_scc1 .LBB12_107
; %bb.105:
	v_add_u32_e32 v39, 0x60, v1
	s_mov_b32 s2, 6
	v_mov_b32_e32 v38, 5
.LBB12_106:                             ; =>This Inner Loop Header: Depth=1
	s_waitcnt lgkmcnt(0)
	v_cmp_gt_f64_e32 vcc, 0, v[32:33]
	v_cmp_gt_f64_e64 s[0:1], 0, v[30:31]
	ds_read2_b64 v[44:47], v39 offset1:1
	v_xor_b32_e32 v49, 0x80000000, v31
	v_xor_b32_e32 v51, 0x80000000, v33
	v_mov_b32_e32 v48, v30
	v_mov_b32_e32 v50, v32
	s_waitcnt lgkmcnt(0)
	v_xor_b32_e32 v53, 0x80000000, v47
	v_cndmask_b32_e32 v51, v33, v51, vcc
	v_cndmask_b32_e64 v49, v31, v49, s[0:1]
	v_cmp_gt_f64_e32 vcc, 0, v[46:47]
	v_cmp_gt_f64_e64 s[0:1], 0, v[44:45]
	v_add_f64 v[48:49], v[48:49], v[50:51]
	v_xor_b32_e32 v51, 0x80000000, v45
	v_mov_b32_e32 v50, v44
	v_mov_b32_e32 v52, v46
	v_add_u32_e32 v39, 16, v39
	v_cndmask_b32_e32 v53, v47, v53, vcc
	v_cndmask_b32_e64 v51, v45, v51, s[0:1]
	v_add_f64 v[50:51], v[50:51], v[52:53]
	v_mov_b32_e32 v52, s2
	s_add_i32 s2, s2, 1
	s_cmp_lg_u32 s22, s2
	v_cmp_lt_f64_e32 vcc, v[48:49], v[50:51]
	v_cndmask_b32_e32 v31, v31, v45, vcc
	v_cndmask_b32_e32 v30, v30, v44, vcc
	;; [unrolled: 1-line block ×5, first 2 shown]
	s_cbranch_scc1 .LBB12_106
.LBB12_107:
	s_waitcnt lgkmcnt(0)
	v_cmp_eq_f64_e32 vcc, 0, v[30:31]
	v_cmp_eq_f64_e64 s[0:1], 0, v[32:33]
	s_and_b64 s[0:1], vcc, s[0:1]
	s_and_saveexec_b64 s[2:3], s[0:1]
	s_xor_b64 s[0:1], exec, s[2:3]
; %bb.108:
	v_cmp_ne_u32_e32 vcc, 0, v43
	v_cndmask_b32_e32 v43, 6, v43, vcc
; %bb.109:
	s_andn2_saveexec_b64 s[0:1], s[0:1]
	s_cbranch_execz .LBB12_115
; %bb.110:
	v_cmp_ngt_f64_e64 s[2:3], |v[30:31]|, |v[32:33]|
	s_and_saveexec_b64 s[4:5], s[2:3]
	s_xor_b64 s[2:3], exec, s[4:5]
	s_cbranch_execz .LBB12_112
; %bb.111:
	v_div_scale_f64 v[44:45], s[4:5], v[32:33], v[32:33], v[30:31]
	v_rcp_f64_e32 v[46:47], v[44:45]
	v_fma_f64 v[48:49], -v[44:45], v[46:47], 1.0
	v_fma_f64 v[46:47], v[46:47], v[48:49], v[46:47]
	v_div_scale_f64 v[48:49], vcc, v[30:31], v[32:33], v[30:31]
	v_fma_f64 v[50:51], -v[44:45], v[46:47], 1.0
	v_fma_f64 v[46:47], v[46:47], v[50:51], v[46:47]
	v_mul_f64 v[50:51], v[48:49], v[46:47]
	v_fma_f64 v[44:45], -v[44:45], v[50:51], v[48:49]
	v_div_fmas_f64 v[44:45], v[44:45], v[46:47], v[50:51]
	v_div_fixup_f64 v[44:45], v[44:45], v[32:33], v[30:31]
	v_fma_f64 v[30:31], v[30:31], v[44:45], v[32:33]
	v_div_scale_f64 v[32:33], s[4:5], v[30:31], v[30:31], 1.0
	v_div_scale_f64 v[50:51], vcc, 1.0, v[30:31], 1.0
	v_rcp_f64_e32 v[46:47], v[32:33]
	v_fma_f64 v[48:49], -v[32:33], v[46:47], 1.0
	v_fma_f64 v[46:47], v[46:47], v[48:49], v[46:47]
	v_fma_f64 v[48:49], -v[32:33], v[46:47], 1.0
	v_fma_f64 v[46:47], v[46:47], v[48:49], v[46:47]
	v_mul_f64 v[48:49], v[50:51], v[46:47]
	v_fma_f64 v[32:33], -v[32:33], v[48:49], v[50:51]
	v_div_fmas_f64 v[32:33], v[32:33], v[46:47], v[48:49]
	v_div_fixup_f64 v[32:33], v[32:33], v[30:31], 1.0
	v_mul_f64 v[30:31], v[44:45], v[32:33]
	v_xor_b32_e32 v33, 0x80000000, v33
.LBB12_112:
	s_andn2_saveexec_b64 s[2:3], s[2:3]
	s_cbranch_execz .LBB12_114
; %bb.113:
	v_div_scale_f64 v[44:45], s[4:5], v[30:31], v[30:31], v[32:33]
	v_rcp_f64_e32 v[46:47], v[44:45]
	v_fma_f64 v[48:49], -v[44:45], v[46:47], 1.0
	v_fma_f64 v[46:47], v[46:47], v[48:49], v[46:47]
	v_div_scale_f64 v[48:49], vcc, v[32:33], v[30:31], v[32:33]
	v_fma_f64 v[50:51], -v[44:45], v[46:47], 1.0
	v_fma_f64 v[46:47], v[46:47], v[50:51], v[46:47]
	v_mul_f64 v[50:51], v[48:49], v[46:47]
	v_fma_f64 v[44:45], -v[44:45], v[50:51], v[48:49]
	v_div_fmas_f64 v[44:45], v[44:45], v[46:47], v[50:51]
	v_div_fixup_f64 v[44:45], v[44:45], v[30:31], v[32:33]
	v_fma_f64 v[30:31], v[32:33], v[44:45], v[30:31]
	v_div_scale_f64 v[32:33], s[4:5], v[30:31], v[30:31], 1.0
	v_div_scale_f64 v[50:51], vcc, 1.0, v[30:31], 1.0
	v_rcp_f64_e32 v[46:47], v[32:33]
	v_fma_f64 v[48:49], -v[32:33], v[46:47], 1.0
	v_fma_f64 v[46:47], v[46:47], v[48:49], v[46:47]
	v_fma_f64 v[48:49], -v[32:33], v[46:47], 1.0
	v_fma_f64 v[46:47], v[46:47], v[48:49], v[46:47]
	v_mul_f64 v[48:49], v[50:51], v[46:47]
	v_fma_f64 v[32:33], -v[32:33], v[48:49], v[50:51]
	v_div_fmas_f64 v[32:33], v[32:33], v[46:47], v[48:49]
	v_div_fixup_f64 v[30:31], v[32:33], v[30:31], 1.0
	v_mul_f64 v[32:33], v[44:45], -v[30:31]
.LBB12_114:
	s_or_b64 exec, exec, s[2:3]
.LBB12_115:
	s_or_b64 exec, exec, s[0:1]
	v_cmp_ne_u32_e32 vcc, v40, v38
	s_and_saveexec_b64 s[0:1], vcc
	s_xor_b64 s[0:1], exec, s[0:1]
	s_cbranch_execz .LBB12_121
; %bb.116:
	v_cmp_eq_u32_e32 vcc, 5, v40
	s_and_saveexec_b64 s[2:3], vcc
	s_cbranch_execz .LBB12_120
; %bb.117:
	v_cmp_ne_u32_e32 vcc, 5, v38
	s_xor_b64 s[4:5], s[18:19], -1
	s_and_b64 s[24:25], s[4:5], vcc
	s_and_saveexec_b64 s[4:5], s[24:25]
	s_cbranch_execz .LBB12_119
; %bb.118:
	v_ashrrev_i32_e32 v39, 31, v38
	v_lshlrev_b64 v[39:40], 2, v[38:39]
	v_add_co_u32_e32 v39, vcc, v36, v39
	v_addc_co_u32_e32 v40, vcc, v37, v40, vcc
	global_load_dword v0, v[39:40], off
	global_load_dword v44, v[36:37], off offset:20
	s_waitcnt vmcnt(1)
	global_store_dword v[36:37], v0, off offset:20
	s_waitcnt vmcnt(1)
	global_store_dword v[39:40], v44, off
.LBB12_119:
	s_or_b64 exec, exec, s[4:5]
	v_mov_b32_e32 v40, v38
	v_mov_b32_e32 v0, v38
.LBB12_120:
	s_or_b64 exec, exec, s[2:3]
.LBB12_121:
	s_andn2_saveexec_b64 s[0:1], s[0:1]
; %bb.122:
	v_mov_b32_e32 v40, 5
	ds_write2_b64 v1, v[26:27], v[28:29] offset0:12 offset1:13
; %bb.123:
	s_or_b64 exec, exec, s[0:1]
	v_cmp_lt_i32_e32 vcc, 5, v40
	s_waitcnt vmcnt(0) lgkmcnt(0)
	s_barrier
	s_and_saveexec_b64 s[0:1], vcc
	s_cbranch_execz .LBB12_125
; %bb.124:
	v_mul_f64 v[38:39], v[30:31], v[4:5]
	v_mul_f64 v[4:5], v[32:33], v[4:5]
	ds_read2_b64 v[44:47], v1 offset0:12 offset1:13
	v_fma_f64 v[32:33], v[32:33], v[2:3], v[38:39]
	v_fma_f64 v[2:3], v[30:31], v[2:3], -v[4:5]
	s_waitcnt lgkmcnt(0)
	v_mul_f64 v[4:5], v[46:47], v[32:33]
	v_mul_f64 v[30:31], v[44:45], v[32:33]
	v_fma_f64 v[4:5], v[44:45], v[2:3], -v[4:5]
	v_fma_f64 v[30:31], v[46:47], v[2:3], v[30:31]
	v_add_f64 v[26:27], v[26:27], -v[4:5]
	v_add_f64 v[28:29], v[28:29], -v[30:31]
	v_mov_b32_e32 v4, v32
	v_mov_b32_e32 v5, v33
.LBB12_125:
	s_or_b64 exec, exec, s[0:1]
	v_lshl_add_u32 v30, v40, 4, v1
	s_barrier
	ds_write2_b64 v30, v[26:27], v[28:29] offset1:1
	s_waitcnt lgkmcnt(0)
	s_barrier
	ds_read2_b64 v[30:33], v1 offset0:12 offset1:13
	s_cmp_lt_i32 s22, 8
	v_mov_b32_e32 v38, 6
	s_cbranch_scc1 .LBB12_128
; %bb.126:
	v_add_u32_e32 v1, 0x70, v1
	s_mov_b32 s2, 7
	v_mov_b32_e32 v38, 6
.LBB12_127:                             ; =>This Inner Loop Header: Depth=1
	s_waitcnt lgkmcnt(0)
	v_cmp_gt_f64_e32 vcc, 0, v[32:33]
	v_cmp_gt_f64_e64 s[0:1], 0, v[30:31]
	ds_read2_b64 v[44:47], v1 offset1:1
	v_xor_b32_e32 v39, 0x80000000, v31
	v_xor_b32_e32 v51, 0x80000000, v33
	v_mov_b32_e32 v48, v30
	v_mov_b32_e32 v50, v32
	s_waitcnt lgkmcnt(0)
	v_xor_b32_e32 v53, 0x80000000, v47
	v_cndmask_b32_e32 v51, v33, v51, vcc
	v_cndmask_b32_e64 v49, v31, v39, s[0:1]
	v_cmp_gt_f64_e32 vcc, 0, v[46:47]
	v_cmp_gt_f64_e64 s[0:1], 0, v[44:45]
	v_xor_b32_e32 v39, 0x80000000, v45
	v_add_f64 v[48:49], v[48:49], v[50:51]
	v_mov_b32_e32 v50, v44
	v_mov_b32_e32 v52, v46
	v_add_u32_e32 v1, 16, v1
	v_cndmask_b32_e32 v53, v47, v53, vcc
	v_cndmask_b32_e64 v51, v45, v39, s[0:1]
	v_add_f64 v[50:51], v[50:51], v[52:53]
	v_mov_b32_e32 v39, s2
	s_add_i32 s2, s2, 1
	s_cmp_lg_u32 s22, s2
	v_cmp_lt_f64_e32 vcc, v[48:49], v[50:51]
	v_cndmask_b32_e32 v31, v31, v45, vcc
	v_cndmask_b32_e32 v30, v30, v44, vcc
	;; [unrolled: 1-line block ×5, first 2 shown]
	s_cbranch_scc1 .LBB12_127
.LBB12_128:
	s_waitcnt lgkmcnt(0)
	v_cmp_eq_f64_e32 vcc, 0, v[30:31]
	v_cmp_eq_f64_e64 s[0:1], 0, v[32:33]
	s_and_b64 s[0:1], vcc, s[0:1]
	s_and_saveexec_b64 s[2:3], s[0:1]
	s_xor_b64 s[0:1], exec, s[2:3]
; %bb.129:
	v_cmp_ne_u32_e32 vcc, 0, v43
	v_cndmask_b32_e32 v43, 7, v43, vcc
; %bb.130:
	s_andn2_saveexec_b64 s[0:1], s[0:1]
	s_cbranch_execz .LBB12_136
; %bb.131:
	v_cmp_ngt_f64_e64 s[2:3], |v[30:31]|, |v[32:33]|
	s_and_saveexec_b64 s[4:5], s[2:3]
	s_xor_b64 s[2:3], exec, s[4:5]
	s_cbranch_execz .LBB12_133
; %bb.132:
	v_div_scale_f64 v[44:45], s[4:5], v[32:33], v[32:33], v[30:31]
	v_rcp_f64_e32 v[46:47], v[44:45]
	v_fma_f64 v[48:49], -v[44:45], v[46:47], 1.0
	v_fma_f64 v[46:47], v[46:47], v[48:49], v[46:47]
	v_div_scale_f64 v[48:49], vcc, v[30:31], v[32:33], v[30:31]
	v_fma_f64 v[50:51], -v[44:45], v[46:47], 1.0
	v_fma_f64 v[46:47], v[46:47], v[50:51], v[46:47]
	v_mul_f64 v[50:51], v[48:49], v[46:47]
	v_fma_f64 v[44:45], -v[44:45], v[50:51], v[48:49]
	v_div_fmas_f64 v[44:45], v[44:45], v[46:47], v[50:51]
	v_div_fixup_f64 v[44:45], v[44:45], v[32:33], v[30:31]
	v_fma_f64 v[30:31], v[30:31], v[44:45], v[32:33]
	v_div_scale_f64 v[32:33], s[4:5], v[30:31], v[30:31], 1.0
	v_div_scale_f64 v[50:51], vcc, 1.0, v[30:31], 1.0
	v_rcp_f64_e32 v[46:47], v[32:33]
	v_fma_f64 v[48:49], -v[32:33], v[46:47], 1.0
	v_fma_f64 v[46:47], v[46:47], v[48:49], v[46:47]
	v_fma_f64 v[48:49], -v[32:33], v[46:47], 1.0
	v_fma_f64 v[46:47], v[46:47], v[48:49], v[46:47]
	v_mul_f64 v[48:49], v[50:51], v[46:47]
	v_fma_f64 v[32:33], -v[32:33], v[48:49], v[50:51]
	v_div_fmas_f64 v[32:33], v[32:33], v[46:47], v[48:49]
	v_div_fixup_f64 v[32:33], v[32:33], v[30:31], 1.0
	v_mul_f64 v[30:31], v[44:45], v[32:33]
	v_xor_b32_e32 v33, 0x80000000, v33
.LBB12_133:
	s_andn2_saveexec_b64 s[2:3], s[2:3]
	s_cbranch_execz .LBB12_135
; %bb.134:
	v_div_scale_f64 v[44:45], s[4:5], v[30:31], v[30:31], v[32:33]
	v_rcp_f64_e32 v[46:47], v[44:45]
	v_fma_f64 v[48:49], -v[44:45], v[46:47], 1.0
	v_fma_f64 v[46:47], v[46:47], v[48:49], v[46:47]
	v_div_scale_f64 v[48:49], vcc, v[32:33], v[30:31], v[32:33]
	v_fma_f64 v[50:51], -v[44:45], v[46:47], 1.0
	v_fma_f64 v[46:47], v[46:47], v[50:51], v[46:47]
	v_mul_f64 v[50:51], v[48:49], v[46:47]
	v_fma_f64 v[44:45], -v[44:45], v[50:51], v[48:49]
	v_div_fmas_f64 v[44:45], v[44:45], v[46:47], v[50:51]
	v_div_fixup_f64 v[44:45], v[44:45], v[30:31], v[32:33]
	v_fma_f64 v[30:31], v[32:33], v[44:45], v[30:31]
	v_div_scale_f64 v[32:33], s[4:5], v[30:31], v[30:31], 1.0
	v_div_scale_f64 v[50:51], vcc, 1.0, v[30:31], 1.0
	v_rcp_f64_e32 v[46:47], v[32:33]
	v_fma_f64 v[48:49], -v[32:33], v[46:47], 1.0
	v_fma_f64 v[46:47], v[46:47], v[48:49], v[46:47]
	v_fma_f64 v[48:49], -v[32:33], v[46:47], 1.0
	v_fma_f64 v[46:47], v[46:47], v[48:49], v[46:47]
	v_mul_f64 v[48:49], v[50:51], v[46:47]
	v_fma_f64 v[32:33], -v[32:33], v[48:49], v[50:51]
	v_div_fmas_f64 v[32:33], v[32:33], v[46:47], v[48:49]
	v_div_fixup_f64 v[30:31], v[32:33], v[30:31], 1.0
	v_mul_f64 v[32:33], v[44:45], -v[30:31]
.LBB12_135:
	s_or_b64 exec, exec, s[2:3]
.LBB12_136:
	s_or_b64 exec, exec, s[0:1]
	v_cmp_ne_u32_e32 vcc, v40, v38
	v_mov_b32_e32 v39, 6
	s_and_saveexec_b64 s[0:1], vcc
	s_cbranch_execz .LBB12_142
; %bb.137:
	v_cmp_eq_u32_e32 vcc, 6, v40
	s_and_saveexec_b64 s[2:3], vcc
	s_cbranch_execz .LBB12_141
; %bb.138:
	v_cmp_ne_u32_e32 vcc, 6, v38
	s_xor_b64 s[4:5], s[18:19], -1
	s_and_b64 s[18:19], s[4:5], vcc
	s_and_saveexec_b64 s[4:5], s[18:19]
	s_cbranch_execz .LBB12_140
; %bb.139:
	v_ashrrev_i32_e32 v39, 31, v38
	v_lshlrev_b64 v[0:1], 2, v[38:39]
	v_add_co_u32_e32 v0, vcc, v36, v0
	v_addc_co_u32_e32 v1, vcc, v37, v1, vcc
	global_load_dword v39, v[0:1], off
	global_load_dword v40, v[36:37], off offset:24
	s_waitcnt vmcnt(1)
	global_store_dword v[36:37], v39, off offset:24
	s_waitcnt vmcnt(1)
	global_store_dword v[0:1], v40, off
.LBB12_140:
	s_or_b64 exec, exec, s[4:5]
	v_mov_b32_e32 v40, v38
	v_mov_b32_e32 v0, v38
.LBB12_141:
	s_or_b64 exec, exec, s[2:3]
	v_mov_b32_e32 v39, v40
.LBB12_142:
	s_or_b64 exec, exec, s[0:1]
	v_cmp_gt_i32_e32 vcc, 7, v39
	v_ashrrev_i32_e32 v40, 31, v39
	s_waitcnt vmcnt(0)
	s_barrier
	s_barrier
	s_and_saveexec_b64 s[0:1], vcc
	s_cbranch_execz .LBB12_144
; %bb.143:
	v_mul_lo_u32 v1, s15, v34
	v_mul_lo_u32 v38, s14, v35
	v_mad_u64_u32 v[36:37], s[2:3], s14, v34, 0
	s_lshl_b64 s[2:3], s[12:13], 2
	v_add3_u32 v0, v0, s17, 1
	v_add3_u32 v37, v37, v38, v1
	v_lshlrev_b64 v[36:37], 2, v[36:37]
	v_mov_b32_e32 v1, s11
	v_add_co_u32_e32 v36, vcc, s10, v36
	v_addc_co_u32_e32 v1, vcc, v1, v37, vcc
	v_mov_b32_e32 v37, s3
	v_add_co_u32_e32 v38, vcc, s2, v36
	v_addc_co_u32_e32 v1, vcc, v1, v37, vcc
	v_lshlrev_b64 v[36:37], 2, v[39:40]
	v_add_co_u32_e32 v36, vcc, v38, v36
	v_addc_co_u32_e32 v37, vcc, v1, v37, vcc
	global_store_dword v[36:37], v0, off
.LBB12_144:
	s_or_b64 exec, exec, s[0:1]
	v_cmp_eq_u32_e32 vcc, 0, v39
	s_and_saveexec_b64 s[2:3], vcc
	s_cbranch_execz .LBB12_147
; %bb.145:
	v_lshlrev_b64 v[0:1], 2, v[34:35]
	v_mov_b32_e32 v34, s21
	v_add_co_u32_e32 v0, vcc, s20, v0
	v_addc_co_u32_e32 v1, vcc, v34, v1, vcc
	global_load_dword v34, v[0:1], off
	v_cmp_ne_u32_e64 s[0:1], 0, v43
	s_waitcnt vmcnt(0)
	v_cmp_eq_u32_e32 vcc, 0, v34
	s_and_b64 s[0:1], vcc, s[0:1]
	s_and_b64 exec, exec, s[0:1]
	s_cbranch_execz .LBB12_147
; %bb.146:
	v_add_u32_e32 v34, s17, v43
	global_store_dword v[0:1], v34, off
.LBB12_147:
	s_or_b64 exec, exec, s[2:3]
	v_mul_f64 v[0:1], v[30:31], v[28:29]
	v_mul_f64 v[34:35], v[32:33], v[28:29]
	v_lshlrev_b64 v[36:37], 4, v[39:40]
	v_mov_b32_e32 v38, s9
	v_fma_f64 v[0:1], v[32:33], v[26:27], v[0:1]
	v_fma_f64 v[30:31], v[30:31], v[26:27], -v[34:35]
	v_add_co_u32_e32 v32, vcc, v41, v36
	v_addc_co_u32_e32 v33, vcc, v42, v37, vcc
	v_cmp_lt_i32_e32 vcc, 6, v39
	global_store_dwordx4 v[32:33], v[18:21], off
	s_nop 0
	v_cndmask_b32_e32 v21, v29, v1, vcc
	v_cndmask_b32_e32 v20, v28, v0, vcc
	;; [unrolled: 1-line block ×4, first 2 shown]
	v_add_co_u32_e32 v0, vcc, s8, v32
	v_addc_co_u32_e32 v1, vcc, v33, v38, vcc
	global_store_dwordx4 v[0:1], v[22:25], off
	v_add_u32_e32 v0, s16, v39
	v_ashrrev_i32_e32 v1, 31, v0
	v_lshlrev_b64 v[22:23], 4, v[0:1]
	v_add_u32_e32 v0, s6, v0
	v_add_co_u32_e32 v22, vcc, v41, v22
	v_addc_co_u32_e32 v23, vcc, v42, v23, vcc
	v_ashrrev_i32_e32 v1, 31, v0
	global_store_dwordx4 v[22:23], v[14:17], off
	s_nop 0
	v_lshlrev_b64 v[14:15], 4, v[0:1]
	v_add_u32_e32 v0, s6, v0
	v_add_co_u32_e32 v14, vcc, v41, v14
	v_addc_co_u32_e32 v15, vcc, v42, v15, vcc
	v_ashrrev_i32_e32 v1, 31, v0
	global_store_dwordx4 v[14:15], v[10:13], off
	s_nop 0
	;; [unrolled: 7-line block ×3, first 2 shown]
	v_lshlrev_b64 v[6:7], 4, v[0:1]
	v_add_u32_e32 v0, s6, v0
	v_ashrrev_i32_e32 v1, 31, v0
	v_add_co_u32_e32 v6, vcc, v41, v6
	v_lshlrev_b64 v[0:1], 4, v[0:1]
	v_addc_co_u32_e32 v7, vcc, v42, v7, vcc
	v_add_co_u32_e32 v0, vcc, v41, v0
	v_addc_co_u32_e32 v1, vcc, v42, v1, vcc
	global_store_dwordx4 v[6:7], v[2:5], off
	global_store_dwordx4 v[0:1], v[18:21], off
.LBB12_148:
	s_endpgm
	.section	.rodata,"a",@progbits
	.p2align	6, 0x0
	.amdhsa_kernel _ZN9rocsolver6v33100L18getf2_small_kernelILi7E19rocblas_complex_numIdEiiPS3_EEvT1_T3_lS5_lPS5_llPT2_S5_S5_S7_l
		.amdhsa_group_segment_fixed_size 0
		.amdhsa_private_segment_fixed_size 0
		.amdhsa_kernarg_size 352
		.amdhsa_user_sgpr_count 6
		.amdhsa_user_sgpr_private_segment_buffer 1
		.amdhsa_user_sgpr_dispatch_ptr 0
		.amdhsa_user_sgpr_queue_ptr 0
		.amdhsa_user_sgpr_kernarg_segment_ptr 1
		.amdhsa_user_sgpr_dispatch_id 0
		.amdhsa_user_sgpr_flat_scratch_init 0
		.amdhsa_user_sgpr_private_segment_size 0
		.amdhsa_uses_dynamic_stack 0
		.amdhsa_system_sgpr_private_segment_wavefront_offset 0
		.amdhsa_system_sgpr_workgroup_id_x 1
		.amdhsa_system_sgpr_workgroup_id_y 1
		.amdhsa_system_sgpr_workgroup_id_z 0
		.amdhsa_system_sgpr_workgroup_info 0
		.amdhsa_system_vgpr_workitem_id 1
		.amdhsa_next_free_vgpr 62
		.amdhsa_next_free_sgpr 26
		.amdhsa_reserve_vcc 1
		.amdhsa_reserve_flat_scratch 0
		.amdhsa_float_round_mode_32 0
		.amdhsa_float_round_mode_16_64 0
		.amdhsa_float_denorm_mode_32 3
		.amdhsa_float_denorm_mode_16_64 3
		.amdhsa_dx10_clamp 1
		.amdhsa_ieee_mode 1
		.amdhsa_fp16_overflow 0
		.amdhsa_exception_fp_ieee_invalid_op 0
		.amdhsa_exception_fp_denorm_src 0
		.amdhsa_exception_fp_ieee_div_zero 0
		.amdhsa_exception_fp_ieee_overflow 0
		.amdhsa_exception_fp_ieee_underflow 0
		.amdhsa_exception_fp_ieee_inexact 0
		.amdhsa_exception_int_div_zero 0
	.end_amdhsa_kernel
	.section	.text._ZN9rocsolver6v33100L18getf2_small_kernelILi7E19rocblas_complex_numIdEiiPS3_EEvT1_T3_lS5_lPS5_llPT2_S5_S5_S7_l,"axG",@progbits,_ZN9rocsolver6v33100L18getf2_small_kernelILi7E19rocblas_complex_numIdEiiPS3_EEvT1_T3_lS5_lPS5_llPT2_S5_S5_S7_l,comdat
.Lfunc_end12:
	.size	_ZN9rocsolver6v33100L18getf2_small_kernelILi7E19rocblas_complex_numIdEiiPS3_EEvT1_T3_lS5_lPS5_llPT2_S5_S5_S7_l, .Lfunc_end12-_ZN9rocsolver6v33100L18getf2_small_kernelILi7E19rocblas_complex_numIdEiiPS3_EEvT1_T3_lS5_lPS5_llPT2_S5_S5_S7_l
                                        ; -- End function
	.set _ZN9rocsolver6v33100L18getf2_small_kernelILi7E19rocblas_complex_numIdEiiPS3_EEvT1_T3_lS5_lPS5_llPT2_S5_S5_S7_l.num_vgpr, 62
	.set _ZN9rocsolver6v33100L18getf2_small_kernelILi7E19rocblas_complex_numIdEiiPS3_EEvT1_T3_lS5_lPS5_llPT2_S5_S5_S7_l.num_agpr, 0
	.set _ZN9rocsolver6v33100L18getf2_small_kernelILi7E19rocblas_complex_numIdEiiPS3_EEvT1_T3_lS5_lPS5_llPT2_S5_S5_S7_l.numbered_sgpr, 26
	.set _ZN9rocsolver6v33100L18getf2_small_kernelILi7E19rocblas_complex_numIdEiiPS3_EEvT1_T3_lS5_lPS5_llPT2_S5_S5_S7_l.num_named_barrier, 0
	.set _ZN9rocsolver6v33100L18getf2_small_kernelILi7E19rocblas_complex_numIdEiiPS3_EEvT1_T3_lS5_lPS5_llPT2_S5_S5_S7_l.private_seg_size, 0
	.set _ZN9rocsolver6v33100L18getf2_small_kernelILi7E19rocblas_complex_numIdEiiPS3_EEvT1_T3_lS5_lPS5_llPT2_S5_S5_S7_l.uses_vcc, 1
	.set _ZN9rocsolver6v33100L18getf2_small_kernelILi7E19rocblas_complex_numIdEiiPS3_EEvT1_T3_lS5_lPS5_llPT2_S5_S5_S7_l.uses_flat_scratch, 0
	.set _ZN9rocsolver6v33100L18getf2_small_kernelILi7E19rocblas_complex_numIdEiiPS3_EEvT1_T3_lS5_lPS5_llPT2_S5_S5_S7_l.has_dyn_sized_stack, 0
	.set _ZN9rocsolver6v33100L18getf2_small_kernelILi7E19rocblas_complex_numIdEiiPS3_EEvT1_T3_lS5_lPS5_llPT2_S5_S5_S7_l.has_recursion, 0
	.set _ZN9rocsolver6v33100L18getf2_small_kernelILi7E19rocblas_complex_numIdEiiPS3_EEvT1_T3_lS5_lPS5_llPT2_S5_S5_S7_l.has_indirect_call, 0
	.section	.AMDGPU.csdata,"",@progbits
; Kernel info:
; codeLenInByte = 8600
; TotalNumSgprs: 30
; NumVgprs: 62
; ScratchSize: 0
; MemoryBound: 0
; FloatMode: 240
; IeeeMode: 1
; LDSByteSize: 0 bytes/workgroup (compile time only)
; SGPRBlocks: 3
; VGPRBlocks: 15
; NumSGPRsForWavesPerEU: 30
; NumVGPRsForWavesPerEU: 62
; Occupancy: 4
; WaveLimiterHint : 0
; COMPUTE_PGM_RSRC2:SCRATCH_EN: 0
; COMPUTE_PGM_RSRC2:USER_SGPR: 6
; COMPUTE_PGM_RSRC2:TRAP_HANDLER: 0
; COMPUTE_PGM_RSRC2:TGID_X_EN: 1
; COMPUTE_PGM_RSRC2:TGID_Y_EN: 1
; COMPUTE_PGM_RSRC2:TGID_Z_EN: 0
; COMPUTE_PGM_RSRC2:TIDIG_COMP_CNT: 1
	.section	.text._ZN9rocsolver6v33100L23getf2_npvt_small_kernelILi7E19rocblas_complex_numIdEiiPS3_EEvT1_T3_lS5_lPT2_S5_S5_,"axG",@progbits,_ZN9rocsolver6v33100L23getf2_npvt_small_kernelILi7E19rocblas_complex_numIdEiiPS3_EEvT1_T3_lS5_lPT2_S5_S5_,comdat
	.globl	_ZN9rocsolver6v33100L23getf2_npvt_small_kernelILi7E19rocblas_complex_numIdEiiPS3_EEvT1_T3_lS5_lPT2_S5_S5_ ; -- Begin function _ZN9rocsolver6v33100L23getf2_npvt_small_kernelILi7E19rocblas_complex_numIdEiiPS3_EEvT1_T3_lS5_lPT2_S5_S5_
	.p2align	8
	.type	_ZN9rocsolver6v33100L23getf2_npvt_small_kernelILi7E19rocblas_complex_numIdEiiPS3_EEvT1_T3_lS5_lPT2_S5_S5_,@function
_ZN9rocsolver6v33100L23getf2_npvt_small_kernelILi7E19rocblas_complex_numIdEiiPS3_EEvT1_T3_lS5_lPT2_S5_S5_: ; @_ZN9rocsolver6v33100L23getf2_npvt_small_kernelILi7E19rocblas_complex_numIdEiiPS3_EEvT1_T3_lS5_lPT2_S5_S5_
; %bb.0:
	s_load_dword s0, s[4:5], 0x44
	s_load_dwordx2 s[26:27], s[4:5], 0x30
	s_waitcnt lgkmcnt(0)
	s_lshr_b32 s2, s0, 16
	s_mul_i32 s7, s7, s2
	v_add_u32_e32 v64, s7, v1
	v_cmp_gt_i32_e32 vcc, s26, v64
	s_and_saveexec_b64 s[0:1], vcc
	s_cbranch_execz .LBB13_66
; %bb.1:
	s_load_dwordx4 s[8:11], s[4:5], 0x20
	s_load_dword s0, s[4:5], 0x18
	v_ashrrev_i32_e32 v65, 31, v64
	s_load_dwordx4 s[12:15], s[4:5], 0x8
	s_mulk_i32 s2, 0x70
	s_waitcnt lgkmcnt(0)
	v_mul_lo_u32 v4, s9, v64
	v_mul_lo_u32 v5, s8, v65
	v_mad_u64_u32 v[2:3], s[6:7], s8, v64, 0
	s_lshl_b64 s[4:5], s[14:15], 4
	s_ashr_i32 s1, s0, 31
	v_add3_u32 v3, v3, v5, v4
	v_lshlrev_b64 v[2:3], 4, v[2:3]
	v_mov_b32_e32 v4, s13
	v_add_co_u32_e32 v2, vcc, s12, v2
	v_addc_co_u32_e32 v3, vcc, v4, v3, vcc
	v_mov_b32_e32 v4, s5
	v_add_co_u32_e32 v5, vcc, s4, v2
	v_addc_co_u32_e32 v6, vcc, v3, v4, vcc
	v_lshlrev_b32_e32 v2, 4, v0
	s_lshl_b64 s[4:5], s[0:1], 4
	s_add_i32 s1, s0, s0
	v_add_co_u32_e32 v58, vcc, v5, v2
	v_add_u32_e32 v2, s1, v0
	v_ashrrev_i32_e32 v3, 31, v2
	v_lshlrev_b64 v[3:4], 4, v[2:3]
	v_addc_co_u32_e32 v59, vcc, 0, v6, vcc
	v_add_u32_e32 v2, s0, v2
	v_add_co_u32_e32 v60, vcc, v5, v3
	v_ashrrev_i32_e32 v3, 31, v2
	v_addc_co_u32_e32 v61, vcc, v6, v4, vcc
	v_lshlrev_b64 v[3:4], 4, v[2:3]
	v_add_u32_e32 v2, s0, v2
	v_add_co_u32_e32 v62, vcc, v5, v3
	v_ashrrev_i32_e32 v3, 31, v2
	v_addc_co_u32_e32 v63, vcc, v6, v4, vcc
	v_lshlrev_b64 v[3:4], 4, v[2:3]
	;; [unrolled: 5-line block ×3, first 2 shown]
	v_add_u32_e32 v2, s0, v2
	v_add_co_u32_e32 v68, vcc, v5, v3
	v_ashrrev_i32_e32 v3, 31, v2
	v_lshlrev_b64 v[2:3], 4, v[2:3]
	v_addc_co_u32_e32 v69, vcc, v6, v4, vcc
	v_add_co_u32_e32 v70, vcc, v5, v2
	v_addc_co_u32_e32 v71, vcc, v6, v3, vcc
	v_mov_b32_e32 v4, s5
	v_add_co_u32_e32 v72, vcc, s4, v58
	v_addc_co_u32_e32 v73, vcc, v59, v4, vcc
	global_load_dwordx4 v[26:29], v[58:59], off
	global_load_dwordx4 v[22:25], v[72:73], off
	;; [unrolled: 1-line block ×7, first 2 shown]
	s_movk_i32 s0, 0x70
	s_add_i32 s1, s2, 0
	v_mad_u32_u24 v74, v1, s0, 0
	v_lshl_add_u32 v1, v1, 4, s1
	v_cmp_ne_u32_e64 s[2:3], 0, v0
	v_cmp_eq_u32_e64 s[0:1], 0, v0
	s_and_saveexec_b64 s[6:7], s[0:1]
	s_cbranch_execz .LBB13_8
; %bb.2:
	s_waitcnt vmcnt(6)
	ds_write2_b64 v1, v[26:27], v[28:29] offset1:1
	s_waitcnt vmcnt(5)
	ds_write2_b64 v74, v[22:23], v[24:25] offset0:2 offset1:3
	s_waitcnt vmcnt(4)
	ds_write2_b64 v74, v[18:19], v[20:21] offset0:4 offset1:5
	;; [unrolled: 2-line block ×6, first 2 shown]
	ds_read2_b64 v[30:33], v1 offset1:1
	s_waitcnt lgkmcnt(0)
	v_cmp_neq_f64_e32 vcc, 0, v[30:31]
	v_cmp_neq_f64_e64 s[4:5], 0, v[32:33]
	s_or_b64 s[4:5], vcc, s[4:5]
	s_and_b64 exec, exec, s[4:5]
	s_cbranch_execz .LBB13_8
; %bb.3:
	v_cmp_ngt_f64_e64 s[4:5], |v[30:31]|, |v[32:33]|
                                        ; implicit-def: $vgpr34_vgpr35
	s_and_saveexec_b64 s[8:9], s[4:5]
	s_xor_b64 s[4:5], exec, s[8:9]
                                        ; implicit-def: $vgpr36_vgpr37
	s_cbranch_execz .LBB13_5
; %bb.4:
	v_div_scale_f64 v[34:35], s[8:9], v[32:33], v[32:33], v[30:31]
	v_rcp_f64_e32 v[36:37], v[34:35]
	v_fma_f64 v[38:39], -v[34:35], v[36:37], 1.0
	v_fma_f64 v[36:37], v[36:37], v[38:39], v[36:37]
	v_div_scale_f64 v[38:39], vcc, v[30:31], v[32:33], v[30:31]
	v_fma_f64 v[40:41], -v[34:35], v[36:37], 1.0
	v_fma_f64 v[36:37], v[36:37], v[40:41], v[36:37]
	v_mul_f64 v[40:41], v[38:39], v[36:37]
	v_fma_f64 v[34:35], -v[34:35], v[40:41], v[38:39]
	v_div_fmas_f64 v[34:35], v[34:35], v[36:37], v[40:41]
	v_div_fixup_f64 v[34:35], v[34:35], v[32:33], v[30:31]
	v_fma_f64 v[30:31], v[30:31], v[34:35], v[32:33]
	v_div_scale_f64 v[32:33], s[8:9], v[30:31], v[30:31], 1.0
	v_div_scale_f64 v[40:41], vcc, 1.0, v[30:31], 1.0
	v_rcp_f64_e32 v[36:37], v[32:33]
	v_fma_f64 v[38:39], -v[32:33], v[36:37], 1.0
	v_fma_f64 v[36:37], v[36:37], v[38:39], v[36:37]
	v_fma_f64 v[38:39], -v[32:33], v[36:37], 1.0
	v_fma_f64 v[36:37], v[36:37], v[38:39], v[36:37]
	v_mul_f64 v[38:39], v[40:41], v[36:37]
	v_fma_f64 v[32:33], -v[32:33], v[38:39], v[40:41]
	v_div_fmas_f64 v[32:33], v[32:33], v[36:37], v[38:39]
	v_div_fixup_f64 v[36:37], v[32:33], v[30:31], 1.0
                                        ; implicit-def: $vgpr30_vgpr31
	v_mul_f64 v[34:35], v[34:35], v[36:37]
	v_xor_b32_e32 v37, 0x80000000, v37
.LBB13_5:
	s_andn2_saveexec_b64 s[4:5], s[4:5]
	s_cbranch_execz .LBB13_7
; %bb.6:
	v_div_scale_f64 v[34:35], s[8:9], v[30:31], v[30:31], v[32:33]
	v_rcp_f64_e32 v[36:37], v[34:35]
	v_fma_f64 v[38:39], -v[34:35], v[36:37], 1.0
	v_fma_f64 v[36:37], v[36:37], v[38:39], v[36:37]
	v_div_scale_f64 v[38:39], vcc, v[32:33], v[30:31], v[32:33]
	v_fma_f64 v[40:41], -v[34:35], v[36:37], 1.0
	v_fma_f64 v[36:37], v[36:37], v[40:41], v[36:37]
	v_mul_f64 v[40:41], v[38:39], v[36:37]
	v_fma_f64 v[34:35], -v[34:35], v[40:41], v[38:39]
	v_div_fmas_f64 v[34:35], v[34:35], v[36:37], v[40:41]
	v_div_fixup_f64 v[36:37], v[34:35], v[30:31], v[32:33]
	v_fma_f64 v[30:31], v[32:33], v[36:37], v[30:31]
	v_div_scale_f64 v[32:33], s[8:9], v[30:31], v[30:31], 1.0
	v_div_scale_f64 v[40:41], vcc, 1.0, v[30:31], 1.0
	v_rcp_f64_e32 v[34:35], v[32:33]
	v_fma_f64 v[38:39], -v[32:33], v[34:35], 1.0
	v_fma_f64 v[34:35], v[34:35], v[38:39], v[34:35]
	v_fma_f64 v[38:39], -v[32:33], v[34:35], 1.0
	v_fma_f64 v[34:35], v[34:35], v[38:39], v[34:35]
	v_mul_f64 v[38:39], v[40:41], v[34:35]
	v_fma_f64 v[32:33], -v[32:33], v[38:39], v[40:41]
	v_div_fmas_f64 v[32:33], v[32:33], v[34:35], v[38:39]
	v_div_fixup_f64 v[34:35], v[32:33], v[30:31], 1.0
	v_mul_f64 v[36:37], v[36:37], -v[34:35]
.LBB13_7:
	s_or_b64 exec, exec, s[4:5]
	ds_write2_b64 v1, v[34:35], v[36:37] offset1:1
.LBB13_8:
	s_or_b64 exec, exec, s[6:7]
	s_waitcnt vmcnt(0) lgkmcnt(0)
	s_barrier
	ds_read2_b64 v[30:33], v1 offset1:1
	s_and_saveexec_b64 s[4:5], s[2:3]
	s_cbranch_execz .LBB13_10
; %bb.9:
	s_waitcnt lgkmcnt(0)
	v_mul_f64 v[34:35], v[30:31], v[28:29]
	v_mul_f64 v[28:29], v[32:33], v[28:29]
	v_fma_f64 v[38:39], v[32:33], v[26:27], v[34:35]
	ds_read2_b64 v[34:37], v74 offset0:2 offset1:3
	v_fma_f64 v[26:27], v[30:31], v[26:27], -v[28:29]
	s_waitcnt lgkmcnt(0)
	v_mul_f64 v[28:29], v[36:37], v[38:39]
	v_fma_f64 v[28:29], v[34:35], v[26:27], -v[28:29]
	v_mul_f64 v[34:35], v[34:35], v[38:39]
	v_add_f64 v[22:23], v[22:23], -v[28:29]
	v_fma_f64 v[34:35], v[36:37], v[26:27], v[34:35]
	v_add_f64 v[24:25], v[24:25], -v[34:35]
	ds_read2_b64 v[34:37], v74 offset0:4 offset1:5
	s_waitcnt lgkmcnt(0)
	v_mul_f64 v[28:29], v[36:37], v[38:39]
	v_fma_f64 v[28:29], v[34:35], v[26:27], -v[28:29]
	v_mul_f64 v[34:35], v[34:35], v[38:39]
	v_add_f64 v[18:19], v[18:19], -v[28:29]
	v_fma_f64 v[34:35], v[36:37], v[26:27], v[34:35]
	v_add_f64 v[20:21], v[20:21], -v[34:35]
	ds_read2_b64 v[34:37], v74 offset0:6 offset1:7
	;; [unrolled: 8-line block ×5, first 2 shown]
	s_waitcnt lgkmcnt(0)
	v_mul_f64 v[28:29], v[36:37], v[38:39]
	v_fma_f64 v[28:29], v[34:35], v[26:27], -v[28:29]
	v_mul_f64 v[34:35], v[34:35], v[38:39]
	v_add_f64 v[6:7], v[6:7], -v[28:29]
	v_fma_f64 v[34:35], v[36:37], v[26:27], v[34:35]
	v_mov_b32_e32 v28, v38
	v_mov_b32_e32 v29, v39
	v_add_f64 v[8:9], v[8:9], -v[34:35]
.LBB13_10:
	s_or_b64 exec, exec, s[4:5]
	v_cmp_eq_u32_e32 vcc, 1, v0
	s_waitcnt lgkmcnt(0)
	s_barrier
	s_and_saveexec_b64 s[4:5], vcc
	s_cbranch_execz .LBB13_17
; %bb.11:
	ds_write2_b64 v1, v[22:23], v[24:25] offset1:1
	ds_write2_b64 v74, v[18:19], v[20:21] offset0:4 offset1:5
	ds_write2_b64 v74, v[14:15], v[16:17] offset0:6 offset1:7
	;; [unrolled: 1-line block ×5, first 2 shown]
	ds_read2_b64 v[34:37], v1 offset1:1
	s_waitcnt lgkmcnt(0)
	v_cmp_neq_f64_e32 vcc, 0, v[34:35]
	v_cmp_neq_f64_e64 s[2:3], 0, v[36:37]
	s_or_b64 s[2:3], vcc, s[2:3]
	s_and_b64 exec, exec, s[2:3]
	s_cbranch_execz .LBB13_17
; %bb.12:
	v_cmp_ngt_f64_e64 s[2:3], |v[34:35]|, |v[36:37]|
                                        ; implicit-def: $vgpr38_vgpr39
	s_and_saveexec_b64 s[6:7], s[2:3]
	s_xor_b64 s[2:3], exec, s[6:7]
                                        ; implicit-def: $vgpr40_vgpr41
	s_cbranch_execz .LBB13_14
; %bb.13:
	v_div_scale_f64 v[38:39], s[6:7], v[36:37], v[36:37], v[34:35]
	v_rcp_f64_e32 v[40:41], v[38:39]
	v_fma_f64 v[42:43], -v[38:39], v[40:41], 1.0
	v_fma_f64 v[40:41], v[40:41], v[42:43], v[40:41]
	v_div_scale_f64 v[42:43], vcc, v[34:35], v[36:37], v[34:35]
	v_fma_f64 v[44:45], -v[38:39], v[40:41], 1.0
	v_fma_f64 v[40:41], v[40:41], v[44:45], v[40:41]
	v_mul_f64 v[44:45], v[42:43], v[40:41]
	v_fma_f64 v[38:39], -v[38:39], v[44:45], v[42:43]
	v_div_fmas_f64 v[38:39], v[38:39], v[40:41], v[44:45]
	v_div_fixup_f64 v[38:39], v[38:39], v[36:37], v[34:35]
	v_fma_f64 v[34:35], v[34:35], v[38:39], v[36:37]
	v_div_scale_f64 v[36:37], s[6:7], v[34:35], v[34:35], 1.0
	v_div_scale_f64 v[44:45], vcc, 1.0, v[34:35], 1.0
	v_rcp_f64_e32 v[40:41], v[36:37]
	v_fma_f64 v[42:43], -v[36:37], v[40:41], 1.0
	v_fma_f64 v[40:41], v[40:41], v[42:43], v[40:41]
	v_fma_f64 v[42:43], -v[36:37], v[40:41], 1.0
	v_fma_f64 v[40:41], v[40:41], v[42:43], v[40:41]
	v_mul_f64 v[42:43], v[44:45], v[40:41]
	v_fma_f64 v[36:37], -v[36:37], v[42:43], v[44:45]
	v_div_fmas_f64 v[36:37], v[36:37], v[40:41], v[42:43]
	v_div_fixup_f64 v[40:41], v[36:37], v[34:35], 1.0
                                        ; implicit-def: $vgpr34_vgpr35
	v_mul_f64 v[38:39], v[38:39], v[40:41]
	v_xor_b32_e32 v41, 0x80000000, v41
.LBB13_14:
	s_andn2_saveexec_b64 s[2:3], s[2:3]
	s_cbranch_execz .LBB13_16
; %bb.15:
	v_div_scale_f64 v[38:39], s[6:7], v[34:35], v[34:35], v[36:37]
	v_rcp_f64_e32 v[40:41], v[38:39]
	v_fma_f64 v[42:43], -v[38:39], v[40:41], 1.0
	v_fma_f64 v[40:41], v[40:41], v[42:43], v[40:41]
	v_div_scale_f64 v[42:43], vcc, v[36:37], v[34:35], v[36:37]
	v_fma_f64 v[44:45], -v[38:39], v[40:41], 1.0
	v_fma_f64 v[40:41], v[40:41], v[44:45], v[40:41]
	v_mul_f64 v[44:45], v[42:43], v[40:41]
	v_fma_f64 v[38:39], -v[38:39], v[44:45], v[42:43]
	v_div_fmas_f64 v[38:39], v[38:39], v[40:41], v[44:45]
	v_div_fixup_f64 v[40:41], v[38:39], v[34:35], v[36:37]
	v_fma_f64 v[34:35], v[36:37], v[40:41], v[34:35]
	v_div_scale_f64 v[36:37], s[6:7], v[34:35], v[34:35], 1.0
	v_div_scale_f64 v[44:45], vcc, 1.0, v[34:35], 1.0
	v_rcp_f64_e32 v[38:39], v[36:37]
	v_fma_f64 v[42:43], -v[36:37], v[38:39], 1.0
	v_fma_f64 v[38:39], v[38:39], v[42:43], v[38:39]
	v_fma_f64 v[42:43], -v[36:37], v[38:39], 1.0
	v_fma_f64 v[38:39], v[38:39], v[42:43], v[38:39]
	v_mul_f64 v[42:43], v[44:45], v[38:39]
	v_fma_f64 v[36:37], -v[36:37], v[42:43], v[44:45]
	v_div_fmas_f64 v[36:37], v[36:37], v[38:39], v[42:43]
	v_div_fixup_f64 v[38:39], v[36:37], v[34:35], 1.0
	v_mul_f64 v[40:41], v[40:41], -v[38:39]
.LBB13_16:
	s_or_b64 exec, exec, s[2:3]
	ds_write2_b64 v1, v[38:39], v[40:41] offset1:1
.LBB13_17:
	s_or_b64 exec, exec, s[4:5]
	s_waitcnt lgkmcnt(0)
	s_barrier
	ds_read2_b64 v[34:37], v1 offset1:1
	v_cmp_lt_u32_e32 vcc, 1, v0
	s_and_saveexec_b64 s[2:3], vcc
	s_cbranch_execz .LBB13_19
; %bb.18:
	s_waitcnt lgkmcnt(0)
	v_mul_f64 v[38:39], v[34:35], v[24:25]
	v_mul_f64 v[24:25], v[36:37], v[24:25]
	v_fma_f64 v[42:43], v[36:37], v[22:23], v[38:39]
	ds_read2_b64 v[38:41], v74 offset0:4 offset1:5
	v_fma_f64 v[22:23], v[34:35], v[22:23], -v[24:25]
	s_waitcnt lgkmcnt(0)
	v_mul_f64 v[24:25], v[40:41], v[42:43]
	v_fma_f64 v[24:25], v[38:39], v[22:23], -v[24:25]
	v_mul_f64 v[38:39], v[38:39], v[42:43]
	v_add_f64 v[18:19], v[18:19], -v[24:25]
	v_fma_f64 v[38:39], v[40:41], v[22:23], v[38:39]
	v_add_f64 v[20:21], v[20:21], -v[38:39]
	ds_read2_b64 v[38:41], v74 offset0:6 offset1:7
	s_waitcnt lgkmcnt(0)
	v_mul_f64 v[24:25], v[40:41], v[42:43]
	v_fma_f64 v[24:25], v[38:39], v[22:23], -v[24:25]
	v_mul_f64 v[38:39], v[38:39], v[42:43]
	v_add_f64 v[14:15], v[14:15], -v[24:25]
	v_fma_f64 v[38:39], v[40:41], v[22:23], v[38:39]
	v_add_f64 v[16:17], v[16:17], -v[38:39]
	ds_read2_b64 v[38:41], v74 offset0:8 offset1:9
	;; [unrolled: 8-line block ×4, first 2 shown]
	s_waitcnt lgkmcnt(0)
	v_mul_f64 v[24:25], v[40:41], v[42:43]
	v_fma_f64 v[24:25], v[38:39], v[22:23], -v[24:25]
	v_mul_f64 v[38:39], v[38:39], v[42:43]
	v_add_f64 v[6:7], v[6:7], -v[24:25]
	v_fma_f64 v[38:39], v[40:41], v[22:23], v[38:39]
	v_mov_b32_e32 v24, v42
	v_mov_b32_e32 v25, v43
	v_add_f64 v[8:9], v[8:9], -v[38:39]
.LBB13_19:
	s_or_b64 exec, exec, s[2:3]
	v_cmp_eq_u32_e32 vcc, 2, v0
	s_waitcnt lgkmcnt(0)
	s_barrier
	s_and_saveexec_b64 s[4:5], vcc
	s_cbranch_execz .LBB13_26
; %bb.20:
	ds_write2_b64 v1, v[18:19], v[20:21] offset1:1
	ds_write2_b64 v74, v[14:15], v[16:17] offset0:6 offset1:7
	ds_write2_b64 v74, v[10:11], v[12:13] offset0:8 offset1:9
	;; [unrolled: 1-line block ×4, first 2 shown]
	ds_read2_b64 v[38:41], v1 offset1:1
	s_waitcnt lgkmcnt(0)
	v_cmp_neq_f64_e32 vcc, 0, v[38:39]
	v_cmp_neq_f64_e64 s[2:3], 0, v[40:41]
	s_or_b64 s[2:3], vcc, s[2:3]
	s_and_b64 exec, exec, s[2:3]
	s_cbranch_execz .LBB13_26
; %bb.21:
	v_cmp_ngt_f64_e64 s[2:3], |v[38:39]|, |v[40:41]|
                                        ; implicit-def: $vgpr42_vgpr43
	s_and_saveexec_b64 s[6:7], s[2:3]
	s_xor_b64 s[2:3], exec, s[6:7]
                                        ; implicit-def: $vgpr44_vgpr45
	s_cbranch_execz .LBB13_23
; %bb.22:
	v_div_scale_f64 v[42:43], s[6:7], v[40:41], v[40:41], v[38:39]
	v_rcp_f64_e32 v[44:45], v[42:43]
	v_fma_f64 v[46:47], -v[42:43], v[44:45], 1.0
	v_fma_f64 v[44:45], v[44:45], v[46:47], v[44:45]
	v_div_scale_f64 v[46:47], vcc, v[38:39], v[40:41], v[38:39]
	v_fma_f64 v[48:49], -v[42:43], v[44:45], 1.0
	v_fma_f64 v[44:45], v[44:45], v[48:49], v[44:45]
	v_mul_f64 v[48:49], v[46:47], v[44:45]
	v_fma_f64 v[42:43], -v[42:43], v[48:49], v[46:47]
	v_div_fmas_f64 v[42:43], v[42:43], v[44:45], v[48:49]
	v_div_fixup_f64 v[42:43], v[42:43], v[40:41], v[38:39]
	v_fma_f64 v[38:39], v[38:39], v[42:43], v[40:41]
	v_div_scale_f64 v[40:41], s[6:7], v[38:39], v[38:39], 1.0
	v_div_scale_f64 v[48:49], vcc, 1.0, v[38:39], 1.0
	v_rcp_f64_e32 v[44:45], v[40:41]
	v_fma_f64 v[46:47], -v[40:41], v[44:45], 1.0
	v_fma_f64 v[44:45], v[44:45], v[46:47], v[44:45]
	v_fma_f64 v[46:47], -v[40:41], v[44:45], 1.0
	v_fma_f64 v[44:45], v[44:45], v[46:47], v[44:45]
	v_mul_f64 v[46:47], v[48:49], v[44:45]
	v_fma_f64 v[40:41], -v[40:41], v[46:47], v[48:49]
	v_div_fmas_f64 v[40:41], v[40:41], v[44:45], v[46:47]
	v_div_fixup_f64 v[44:45], v[40:41], v[38:39], 1.0
                                        ; implicit-def: $vgpr38_vgpr39
	v_mul_f64 v[42:43], v[42:43], v[44:45]
	v_xor_b32_e32 v45, 0x80000000, v45
.LBB13_23:
	s_andn2_saveexec_b64 s[2:3], s[2:3]
	s_cbranch_execz .LBB13_25
; %bb.24:
	v_div_scale_f64 v[42:43], s[6:7], v[38:39], v[38:39], v[40:41]
	v_rcp_f64_e32 v[44:45], v[42:43]
	v_fma_f64 v[46:47], -v[42:43], v[44:45], 1.0
	v_fma_f64 v[44:45], v[44:45], v[46:47], v[44:45]
	v_div_scale_f64 v[46:47], vcc, v[40:41], v[38:39], v[40:41]
	v_fma_f64 v[48:49], -v[42:43], v[44:45], 1.0
	v_fma_f64 v[44:45], v[44:45], v[48:49], v[44:45]
	v_mul_f64 v[48:49], v[46:47], v[44:45]
	v_fma_f64 v[42:43], -v[42:43], v[48:49], v[46:47]
	v_div_fmas_f64 v[42:43], v[42:43], v[44:45], v[48:49]
	v_div_fixup_f64 v[44:45], v[42:43], v[38:39], v[40:41]
	v_fma_f64 v[38:39], v[40:41], v[44:45], v[38:39]
	v_div_scale_f64 v[40:41], s[6:7], v[38:39], v[38:39], 1.0
	v_div_scale_f64 v[48:49], vcc, 1.0, v[38:39], 1.0
	v_rcp_f64_e32 v[42:43], v[40:41]
	v_fma_f64 v[46:47], -v[40:41], v[42:43], 1.0
	v_fma_f64 v[42:43], v[42:43], v[46:47], v[42:43]
	v_fma_f64 v[46:47], -v[40:41], v[42:43], 1.0
	v_fma_f64 v[42:43], v[42:43], v[46:47], v[42:43]
	v_mul_f64 v[46:47], v[48:49], v[42:43]
	v_fma_f64 v[40:41], -v[40:41], v[46:47], v[48:49]
	v_div_fmas_f64 v[40:41], v[40:41], v[42:43], v[46:47]
	v_div_fixup_f64 v[42:43], v[40:41], v[38:39], 1.0
	v_mul_f64 v[44:45], v[44:45], -v[42:43]
.LBB13_25:
	s_or_b64 exec, exec, s[2:3]
	ds_write2_b64 v1, v[42:43], v[44:45] offset1:1
.LBB13_26:
	s_or_b64 exec, exec, s[4:5]
	s_waitcnt lgkmcnt(0)
	s_barrier
	ds_read2_b64 v[38:41], v1 offset1:1
	v_cmp_lt_u32_e32 vcc, 2, v0
	s_and_saveexec_b64 s[2:3], vcc
	s_cbranch_execz .LBB13_28
; %bb.27:
	s_waitcnt lgkmcnt(0)
	v_mul_f64 v[42:43], v[38:39], v[20:21]
	v_mul_f64 v[20:21], v[40:41], v[20:21]
	v_fma_f64 v[46:47], v[40:41], v[18:19], v[42:43]
	ds_read2_b64 v[42:45], v74 offset0:6 offset1:7
	v_fma_f64 v[18:19], v[38:39], v[18:19], -v[20:21]
	s_waitcnt lgkmcnt(0)
	v_mul_f64 v[20:21], v[44:45], v[46:47]
	v_fma_f64 v[20:21], v[42:43], v[18:19], -v[20:21]
	v_mul_f64 v[42:43], v[42:43], v[46:47]
	v_add_f64 v[14:15], v[14:15], -v[20:21]
	v_fma_f64 v[42:43], v[44:45], v[18:19], v[42:43]
	v_add_f64 v[16:17], v[16:17], -v[42:43]
	ds_read2_b64 v[42:45], v74 offset0:8 offset1:9
	s_waitcnt lgkmcnt(0)
	v_mul_f64 v[20:21], v[44:45], v[46:47]
	v_fma_f64 v[20:21], v[42:43], v[18:19], -v[20:21]
	v_mul_f64 v[42:43], v[42:43], v[46:47]
	v_add_f64 v[10:11], v[10:11], -v[20:21]
	v_fma_f64 v[42:43], v[44:45], v[18:19], v[42:43]
	v_add_f64 v[12:13], v[12:13], -v[42:43]
	ds_read2_b64 v[42:45], v74 offset0:10 offset1:11
	;; [unrolled: 8-line block ×3, first 2 shown]
	s_waitcnt lgkmcnt(0)
	v_mul_f64 v[20:21], v[44:45], v[46:47]
	v_fma_f64 v[20:21], v[42:43], v[18:19], -v[20:21]
	v_mul_f64 v[42:43], v[42:43], v[46:47]
	v_add_f64 v[6:7], v[6:7], -v[20:21]
	v_fma_f64 v[42:43], v[44:45], v[18:19], v[42:43]
	v_mov_b32_e32 v20, v46
	v_mov_b32_e32 v21, v47
	v_add_f64 v[8:9], v[8:9], -v[42:43]
.LBB13_28:
	s_or_b64 exec, exec, s[2:3]
	v_cmp_eq_u32_e32 vcc, 3, v0
	s_waitcnt lgkmcnt(0)
	s_barrier
	s_and_saveexec_b64 s[4:5], vcc
	s_cbranch_execz .LBB13_35
; %bb.29:
	ds_write2_b64 v1, v[14:15], v[16:17] offset1:1
	ds_write2_b64 v74, v[10:11], v[12:13] offset0:8 offset1:9
	ds_write2_b64 v74, v[2:3], v[4:5] offset0:10 offset1:11
	;; [unrolled: 1-line block ×3, first 2 shown]
	ds_read2_b64 v[42:45], v1 offset1:1
	s_waitcnt lgkmcnt(0)
	v_cmp_neq_f64_e32 vcc, 0, v[42:43]
	v_cmp_neq_f64_e64 s[2:3], 0, v[44:45]
	s_or_b64 s[2:3], vcc, s[2:3]
	s_and_b64 exec, exec, s[2:3]
	s_cbranch_execz .LBB13_35
; %bb.30:
	v_cmp_ngt_f64_e64 s[2:3], |v[42:43]|, |v[44:45]|
                                        ; implicit-def: $vgpr46_vgpr47
	s_and_saveexec_b64 s[6:7], s[2:3]
	s_xor_b64 s[2:3], exec, s[6:7]
                                        ; implicit-def: $vgpr48_vgpr49
	s_cbranch_execz .LBB13_32
; %bb.31:
	v_div_scale_f64 v[46:47], s[6:7], v[44:45], v[44:45], v[42:43]
	v_rcp_f64_e32 v[48:49], v[46:47]
	v_fma_f64 v[50:51], -v[46:47], v[48:49], 1.0
	v_fma_f64 v[48:49], v[48:49], v[50:51], v[48:49]
	v_div_scale_f64 v[50:51], vcc, v[42:43], v[44:45], v[42:43]
	v_fma_f64 v[52:53], -v[46:47], v[48:49], 1.0
	v_fma_f64 v[48:49], v[48:49], v[52:53], v[48:49]
	v_mul_f64 v[52:53], v[50:51], v[48:49]
	v_fma_f64 v[46:47], -v[46:47], v[52:53], v[50:51]
	v_div_fmas_f64 v[46:47], v[46:47], v[48:49], v[52:53]
	v_div_fixup_f64 v[46:47], v[46:47], v[44:45], v[42:43]
	v_fma_f64 v[42:43], v[42:43], v[46:47], v[44:45]
	v_div_scale_f64 v[44:45], s[6:7], v[42:43], v[42:43], 1.0
	v_div_scale_f64 v[52:53], vcc, 1.0, v[42:43], 1.0
	v_rcp_f64_e32 v[48:49], v[44:45]
	v_fma_f64 v[50:51], -v[44:45], v[48:49], 1.0
	v_fma_f64 v[48:49], v[48:49], v[50:51], v[48:49]
	v_fma_f64 v[50:51], -v[44:45], v[48:49], 1.0
	v_fma_f64 v[48:49], v[48:49], v[50:51], v[48:49]
	v_mul_f64 v[50:51], v[52:53], v[48:49]
	v_fma_f64 v[44:45], -v[44:45], v[50:51], v[52:53]
	v_div_fmas_f64 v[44:45], v[44:45], v[48:49], v[50:51]
	v_div_fixup_f64 v[48:49], v[44:45], v[42:43], 1.0
                                        ; implicit-def: $vgpr42_vgpr43
	v_mul_f64 v[46:47], v[46:47], v[48:49]
	v_xor_b32_e32 v49, 0x80000000, v49
.LBB13_32:
	s_andn2_saveexec_b64 s[2:3], s[2:3]
	s_cbranch_execz .LBB13_34
; %bb.33:
	v_div_scale_f64 v[46:47], s[6:7], v[42:43], v[42:43], v[44:45]
	v_rcp_f64_e32 v[48:49], v[46:47]
	v_fma_f64 v[50:51], -v[46:47], v[48:49], 1.0
	v_fma_f64 v[48:49], v[48:49], v[50:51], v[48:49]
	v_div_scale_f64 v[50:51], vcc, v[44:45], v[42:43], v[44:45]
	v_fma_f64 v[52:53], -v[46:47], v[48:49], 1.0
	v_fma_f64 v[48:49], v[48:49], v[52:53], v[48:49]
	v_mul_f64 v[52:53], v[50:51], v[48:49]
	v_fma_f64 v[46:47], -v[46:47], v[52:53], v[50:51]
	v_div_fmas_f64 v[46:47], v[46:47], v[48:49], v[52:53]
	v_div_fixup_f64 v[48:49], v[46:47], v[42:43], v[44:45]
	v_fma_f64 v[42:43], v[44:45], v[48:49], v[42:43]
	v_div_scale_f64 v[44:45], s[6:7], v[42:43], v[42:43], 1.0
	v_div_scale_f64 v[52:53], vcc, 1.0, v[42:43], 1.0
	v_rcp_f64_e32 v[46:47], v[44:45]
	v_fma_f64 v[50:51], -v[44:45], v[46:47], 1.0
	v_fma_f64 v[46:47], v[46:47], v[50:51], v[46:47]
	v_fma_f64 v[50:51], -v[44:45], v[46:47], 1.0
	v_fma_f64 v[46:47], v[46:47], v[50:51], v[46:47]
	v_mul_f64 v[50:51], v[52:53], v[46:47]
	v_fma_f64 v[44:45], -v[44:45], v[50:51], v[52:53]
	v_div_fmas_f64 v[44:45], v[44:45], v[46:47], v[50:51]
	v_div_fixup_f64 v[46:47], v[44:45], v[42:43], 1.0
	v_mul_f64 v[48:49], v[48:49], -v[46:47]
.LBB13_34:
	s_or_b64 exec, exec, s[2:3]
	ds_write2_b64 v1, v[46:47], v[48:49] offset1:1
.LBB13_35:
	s_or_b64 exec, exec, s[4:5]
	s_waitcnt lgkmcnt(0)
	s_barrier
	ds_read2_b64 v[42:45], v1 offset1:1
	v_cmp_lt_u32_e32 vcc, 3, v0
	s_and_saveexec_b64 s[2:3], vcc
	s_cbranch_execz .LBB13_37
; %bb.36:
	s_waitcnt lgkmcnt(0)
	v_mul_f64 v[46:47], v[42:43], v[16:17]
	v_mul_f64 v[16:17], v[44:45], v[16:17]
	v_fma_f64 v[50:51], v[44:45], v[14:15], v[46:47]
	ds_read2_b64 v[46:49], v74 offset0:8 offset1:9
	v_fma_f64 v[14:15], v[42:43], v[14:15], -v[16:17]
	s_waitcnt lgkmcnt(0)
	v_mul_f64 v[16:17], v[48:49], v[50:51]
	v_fma_f64 v[16:17], v[46:47], v[14:15], -v[16:17]
	v_mul_f64 v[46:47], v[46:47], v[50:51]
	v_add_f64 v[10:11], v[10:11], -v[16:17]
	v_fma_f64 v[46:47], v[48:49], v[14:15], v[46:47]
	v_add_f64 v[12:13], v[12:13], -v[46:47]
	ds_read2_b64 v[46:49], v74 offset0:10 offset1:11
	s_waitcnt lgkmcnt(0)
	v_mul_f64 v[16:17], v[48:49], v[50:51]
	v_fma_f64 v[16:17], v[46:47], v[14:15], -v[16:17]
	v_mul_f64 v[46:47], v[46:47], v[50:51]
	v_add_f64 v[2:3], v[2:3], -v[16:17]
	v_fma_f64 v[46:47], v[48:49], v[14:15], v[46:47]
	v_add_f64 v[4:5], v[4:5], -v[46:47]
	ds_read2_b64 v[46:49], v74 offset0:12 offset1:13
	s_waitcnt lgkmcnt(0)
	v_mul_f64 v[16:17], v[48:49], v[50:51]
	v_fma_f64 v[16:17], v[46:47], v[14:15], -v[16:17]
	v_mul_f64 v[46:47], v[46:47], v[50:51]
	v_add_f64 v[6:7], v[6:7], -v[16:17]
	v_fma_f64 v[46:47], v[48:49], v[14:15], v[46:47]
	v_mov_b32_e32 v16, v50
	v_mov_b32_e32 v17, v51
	v_add_f64 v[8:9], v[8:9], -v[46:47]
.LBB13_37:
	s_or_b64 exec, exec, s[2:3]
	v_cmp_eq_u32_e32 vcc, 4, v0
	s_waitcnt lgkmcnt(0)
	s_barrier
	s_and_saveexec_b64 s[4:5], vcc
	s_cbranch_execz .LBB13_44
; %bb.38:
	ds_write2_b64 v1, v[10:11], v[12:13] offset1:1
	ds_write2_b64 v74, v[2:3], v[4:5] offset0:10 offset1:11
	ds_write2_b64 v74, v[6:7], v[8:9] offset0:12 offset1:13
	ds_read2_b64 v[46:49], v1 offset1:1
	s_waitcnt lgkmcnt(0)
	v_cmp_neq_f64_e32 vcc, 0, v[46:47]
	v_cmp_neq_f64_e64 s[2:3], 0, v[48:49]
	s_or_b64 s[2:3], vcc, s[2:3]
	s_and_b64 exec, exec, s[2:3]
	s_cbranch_execz .LBB13_44
; %bb.39:
	v_cmp_ngt_f64_e64 s[2:3], |v[46:47]|, |v[48:49]|
                                        ; implicit-def: $vgpr50_vgpr51
	s_and_saveexec_b64 s[6:7], s[2:3]
	s_xor_b64 s[2:3], exec, s[6:7]
                                        ; implicit-def: $vgpr52_vgpr53
	s_cbranch_execz .LBB13_41
; %bb.40:
	v_div_scale_f64 v[50:51], s[6:7], v[48:49], v[48:49], v[46:47]
	v_rcp_f64_e32 v[52:53], v[50:51]
	v_fma_f64 v[54:55], -v[50:51], v[52:53], 1.0
	v_fma_f64 v[52:53], v[52:53], v[54:55], v[52:53]
	v_div_scale_f64 v[54:55], vcc, v[46:47], v[48:49], v[46:47]
	v_fma_f64 v[56:57], -v[50:51], v[52:53], 1.0
	v_fma_f64 v[52:53], v[52:53], v[56:57], v[52:53]
	v_mul_f64 v[56:57], v[54:55], v[52:53]
	v_fma_f64 v[50:51], -v[50:51], v[56:57], v[54:55]
	v_div_fmas_f64 v[50:51], v[50:51], v[52:53], v[56:57]
	v_div_fixup_f64 v[50:51], v[50:51], v[48:49], v[46:47]
	v_fma_f64 v[46:47], v[46:47], v[50:51], v[48:49]
	v_div_scale_f64 v[48:49], s[6:7], v[46:47], v[46:47], 1.0
	v_div_scale_f64 v[56:57], vcc, 1.0, v[46:47], 1.0
	v_rcp_f64_e32 v[52:53], v[48:49]
	v_fma_f64 v[54:55], -v[48:49], v[52:53], 1.0
	v_fma_f64 v[52:53], v[52:53], v[54:55], v[52:53]
	v_fma_f64 v[54:55], -v[48:49], v[52:53], 1.0
	v_fma_f64 v[52:53], v[52:53], v[54:55], v[52:53]
	v_mul_f64 v[54:55], v[56:57], v[52:53]
	v_fma_f64 v[48:49], -v[48:49], v[54:55], v[56:57]
	v_div_fmas_f64 v[48:49], v[48:49], v[52:53], v[54:55]
	v_div_fixup_f64 v[52:53], v[48:49], v[46:47], 1.0
                                        ; implicit-def: $vgpr46_vgpr47
	v_mul_f64 v[50:51], v[50:51], v[52:53]
	v_xor_b32_e32 v53, 0x80000000, v53
.LBB13_41:
	s_andn2_saveexec_b64 s[2:3], s[2:3]
	s_cbranch_execz .LBB13_43
; %bb.42:
	v_div_scale_f64 v[50:51], s[6:7], v[46:47], v[46:47], v[48:49]
	v_rcp_f64_e32 v[52:53], v[50:51]
	v_fma_f64 v[54:55], -v[50:51], v[52:53], 1.0
	v_fma_f64 v[52:53], v[52:53], v[54:55], v[52:53]
	v_div_scale_f64 v[54:55], vcc, v[48:49], v[46:47], v[48:49]
	v_fma_f64 v[56:57], -v[50:51], v[52:53], 1.0
	v_fma_f64 v[52:53], v[52:53], v[56:57], v[52:53]
	v_mul_f64 v[56:57], v[54:55], v[52:53]
	v_fma_f64 v[50:51], -v[50:51], v[56:57], v[54:55]
	v_div_fmas_f64 v[50:51], v[50:51], v[52:53], v[56:57]
	v_div_fixup_f64 v[52:53], v[50:51], v[46:47], v[48:49]
	v_fma_f64 v[46:47], v[48:49], v[52:53], v[46:47]
	v_div_scale_f64 v[48:49], s[6:7], v[46:47], v[46:47], 1.0
	v_div_scale_f64 v[56:57], vcc, 1.0, v[46:47], 1.0
	v_rcp_f64_e32 v[50:51], v[48:49]
	v_fma_f64 v[54:55], -v[48:49], v[50:51], 1.0
	v_fma_f64 v[50:51], v[50:51], v[54:55], v[50:51]
	v_fma_f64 v[54:55], -v[48:49], v[50:51], 1.0
	v_fma_f64 v[50:51], v[50:51], v[54:55], v[50:51]
	v_mul_f64 v[54:55], v[56:57], v[50:51]
	v_fma_f64 v[48:49], -v[48:49], v[54:55], v[56:57]
	v_div_fmas_f64 v[48:49], v[48:49], v[50:51], v[54:55]
	v_div_fixup_f64 v[50:51], v[48:49], v[46:47], 1.0
	v_mul_f64 v[52:53], v[52:53], -v[50:51]
.LBB13_43:
	s_or_b64 exec, exec, s[2:3]
	ds_write2_b64 v1, v[50:51], v[52:53] offset1:1
.LBB13_44:
	s_or_b64 exec, exec, s[4:5]
	s_waitcnt lgkmcnt(0)
	s_barrier
	ds_read2_b64 v[46:49], v1 offset1:1
	v_cmp_lt_u32_e32 vcc, 4, v0
	s_and_saveexec_b64 s[2:3], vcc
	s_cbranch_execz .LBB13_46
; %bb.45:
	s_waitcnt lgkmcnt(0)
	v_mul_f64 v[50:51], v[46:47], v[12:13]
	v_mul_f64 v[12:13], v[48:49], v[12:13]
	v_fma_f64 v[54:55], v[48:49], v[10:11], v[50:51]
	ds_read2_b64 v[50:53], v74 offset0:10 offset1:11
	v_fma_f64 v[10:11], v[46:47], v[10:11], -v[12:13]
	s_waitcnt lgkmcnt(0)
	v_mul_f64 v[12:13], v[52:53], v[54:55]
	v_fma_f64 v[12:13], v[50:51], v[10:11], -v[12:13]
	v_mul_f64 v[50:51], v[50:51], v[54:55]
	v_add_f64 v[2:3], v[2:3], -v[12:13]
	v_fma_f64 v[50:51], v[52:53], v[10:11], v[50:51]
	v_add_f64 v[4:5], v[4:5], -v[50:51]
	ds_read2_b64 v[50:53], v74 offset0:12 offset1:13
	s_waitcnt lgkmcnt(0)
	v_mul_f64 v[12:13], v[52:53], v[54:55]
	v_fma_f64 v[12:13], v[50:51], v[10:11], -v[12:13]
	v_mul_f64 v[50:51], v[50:51], v[54:55]
	v_add_f64 v[6:7], v[6:7], -v[12:13]
	v_fma_f64 v[50:51], v[52:53], v[10:11], v[50:51]
	v_mov_b32_e32 v12, v54
	v_mov_b32_e32 v13, v55
	v_add_f64 v[8:9], v[8:9], -v[50:51]
.LBB13_46:
	s_or_b64 exec, exec, s[2:3]
	v_cmp_eq_u32_e32 vcc, 5, v0
	s_waitcnt lgkmcnt(0)
	s_barrier
	s_and_saveexec_b64 s[4:5], vcc
	s_cbranch_execz .LBB13_53
; %bb.47:
	ds_write2_b64 v1, v[2:3], v[4:5] offset1:1
	ds_write2_b64 v74, v[6:7], v[8:9] offset0:12 offset1:13
	ds_read2_b64 v[50:53], v1 offset1:1
	s_waitcnt lgkmcnt(0)
	v_cmp_neq_f64_e32 vcc, 0, v[50:51]
	v_cmp_neq_f64_e64 s[2:3], 0, v[52:53]
	s_or_b64 s[2:3], vcc, s[2:3]
	s_and_b64 exec, exec, s[2:3]
	s_cbranch_execz .LBB13_53
; %bb.48:
	v_cmp_ngt_f64_e64 s[2:3], |v[50:51]|, |v[52:53]|
                                        ; implicit-def: $vgpr54_vgpr55
	s_and_saveexec_b64 s[6:7], s[2:3]
	s_xor_b64 s[2:3], exec, s[6:7]
                                        ; implicit-def: $vgpr56_vgpr57
	s_cbranch_execz .LBB13_50
; %bb.49:
	v_div_scale_f64 v[54:55], s[6:7], v[52:53], v[52:53], v[50:51]
	v_rcp_f64_e32 v[56:57], v[54:55]
	v_fma_f64 v[75:76], -v[54:55], v[56:57], 1.0
	v_fma_f64 v[56:57], v[56:57], v[75:76], v[56:57]
	v_div_scale_f64 v[75:76], vcc, v[50:51], v[52:53], v[50:51]
	v_fma_f64 v[77:78], -v[54:55], v[56:57], 1.0
	v_fma_f64 v[56:57], v[56:57], v[77:78], v[56:57]
	v_mul_f64 v[77:78], v[75:76], v[56:57]
	v_fma_f64 v[54:55], -v[54:55], v[77:78], v[75:76]
	v_div_fmas_f64 v[54:55], v[54:55], v[56:57], v[77:78]
	v_div_fixup_f64 v[54:55], v[54:55], v[52:53], v[50:51]
	v_fma_f64 v[50:51], v[50:51], v[54:55], v[52:53]
	v_div_scale_f64 v[52:53], s[6:7], v[50:51], v[50:51], 1.0
	v_div_scale_f64 v[77:78], vcc, 1.0, v[50:51], 1.0
	v_rcp_f64_e32 v[56:57], v[52:53]
	v_fma_f64 v[75:76], -v[52:53], v[56:57], 1.0
	v_fma_f64 v[56:57], v[56:57], v[75:76], v[56:57]
	v_fma_f64 v[75:76], -v[52:53], v[56:57], 1.0
	v_fma_f64 v[56:57], v[56:57], v[75:76], v[56:57]
	v_mul_f64 v[75:76], v[77:78], v[56:57]
	v_fma_f64 v[52:53], -v[52:53], v[75:76], v[77:78]
	v_div_fmas_f64 v[52:53], v[52:53], v[56:57], v[75:76]
	v_div_fixup_f64 v[56:57], v[52:53], v[50:51], 1.0
                                        ; implicit-def: $vgpr50_vgpr51
	v_mul_f64 v[54:55], v[54:55], v[56:57]
	v_xor_b32_e32 v57, 0x80000000, v57
.LBB13_50:
	s_andn2_saveexec_b64 s[2:3], s[2:3]
	s_cbranch_execz .LBB13_52
; %bb.51:
	v_div_scale_f64 v[54:55], s[6:7], v[50:51], v[50:51], v[52:53]
	v_rcp_f64_e32 v[56:57], v[54:55]
	v_fma_f64 v[75:76], -v[54:55], v[56:57], 1.0
	v_fma_f64 v[56:57], v[56:57], v[75:76], v[56:57]
	v_div_scale_f64 v[75:76], vcc, v[52:53], v[50:51], v[52:53]
	v_fma_f64 v[77:78], -v[54:55], v[56:57], 1.0
	v_fma_f64 v[56:57], v[56:57], v[77:78], v[56:57]
	v_mul_f64 v[77:78], v[75:76], v[56:57]
	v_fma_f64 v[54:55], -v[54:55], v[77:78], v[75:76]
	v_div_fmas_f64 v[54:55], v[54:55], v[56:57], v[77:78]
	v_div_fixup_f64 v[56:57], v[54:55], v[50:51], v[52:53]
	v_fma_f64 v[50:51], v[52:53], v[56:57], v[50:51]
	v_div_scale_f64 v[52:53], s[6:7], v[50:51], v[50:51], 1.0
	v_div_scale_f64 v[77:78], vcc, 1.0, v[50:51], 1.0
	v_rcp_f64_e32 v[54:55], v[52:53]
	v_fma_f64 v[75:76], -v[52:53], v[54:55], 1.0
	v_fma_f64 v[54:55], v[54:55], v[75:76], v[54:55]
	v_fma_f64 v[75:76], -v[52:53], v[54:55], 1.0
	v_fma_f64 v[54:55], v[54:55], v[75:76], v[54:55]
	v_mul_f64 v[75:76], v[77:78], v[54:55]
	v_fma_f64 v[52:53], -v[52:53], v[75:76], v[77:78]
	v_div_fmas_f64 v[52:53], v[52:53], v[54:55], v[75:76]
	v_div_fixup_f64 v[54:55], v[52:53], v[50:51], 1.0
	v_mul_f64 v[56:57], v[56:57], -v[54:55]
.LBB13_52:
	s_or_b64 exec, exec, s[2:3]
	ds_write2_b64 v1, v[54:55], v[56:57] offset1:1
.LBB13_53:
	s_or_b64 exec, exec, s[4:5]
	s_waitcnt lgkmcnt(0)
	s_barrier
	ds_read2_b64 v[50:53], v1 offset1:1
	v_cmp_lt_u32_e32 vcc, 5, v0
	s_and_saveexec_b64 s[2:3], vcc
	s_cbranch_execz .LBB13_55
; %bb.54:
	s_waitcnt lgkmcnt(0)
	v_mul_f64 v[54:55], v[50:51], v[4:5]
	v_mul_f64 v[4:5], v[52:53], v[4:5]
	v_fma_f64 v[75:76], v[52:53], v[2:3], v[54:55]
	ds_read2_b64 v[54:57], v74 offset0:12 offset1:13
	v_fma_f64 v[2:3], v[50:51], v[2:3], -v[4:5]
	s_waitcnt lgkmcnt(0)
	v_mul_f64 v[4:5], v[56:57], v[75:76]
	v_mul_f64 v[77:78], v[54:55], v[75:76]
	v_fma_f64 v[4:5], v[54:55], v[2:3], -v[4:5]
	v_fma_f64 v[54:55], v[56:57], v[2:3], v[77:78]
	v_add_f64 v[6:7], v[6:7], -v[4:5]
	v_add_f64 v[8:9], v[8:9], -v[54:55]
	v_mov_b32_e32 v4, v75
	v_mov_b32_e32 v5, v76
.LBB13_55:
	s_or_b64 exec, exec, s[2:3]
	v_cmp_eq_u32_e32 vcc, 6, v0
	s_waitcnt lgkmcnt(0)
	s_barrier
	s_and_saveexec_b64 s[4:5], vcc
	s_cbranch_execz .LBB13_62
; %bb.56:
	v_cmp_neq_f64_e32 vcc, 0, v[6:7]
	v_cmp_neq_f64_e64 s[2:3], 0, v[8:9]
	ds_write2_b64 v1, v[6:7], v[8:9] offset1:1
	s_or_b64 s[2:3], vcc, s[2:3]
	s_and_b64 exec, exec, s[2:3]
	s_cbranch_execz .LBB13_62
; %bb.57:
	v_cmp_ngt_f64_e64 s[2:3], |v[6:7]|, |v[8:9]|
                                        ; implicit-def: $vgpr54_vgpr55
	s_and_saveexec_b64 s[6:7], s[2:3]
	s_xor_b64 s[2:3], exec, s[6:7]
                                        ; implicit-def: $vgpr56_vgpr57
	s_cbranch_execz .LBB13_59
; %bb.58:
	v_div_scale_f64 v[54:55], s[6:7], v[8:9], v[8:9], v[6:7]
	v_rcp_f64_e32 v[56:57], v[54:55]
	v_fma_f64 v[74:75], -v[54:55], v[56:57], 1.0
	v_fma_f64 v[56:57], v[56:57], v[74:75], v[56:57]
	v_div_scale_f64 v[74:75], vcc, v[6:7], v[8:9], v[6:7]
	v_fma_f64 v[76:77], -v[54:55], v[56:57], 1.0
	v_fma_f64 v[56:57], v[56:57], v[76:77], v[56:57]
	v_mul_f64 v[76:77], v[74:75], v[56:57]
	v_fma_f64 v[54:55], -v[54:55], v[76:77], v[74:75]
	v_div_fmas_f64 v[54:55], v[54:55], v[56:57], v[76:77]
	v_div_fixup_f64 v[54:55], v[54:55], v[8:9], v[6:7]
	v_fma_f64 v[56:57], v[6:7], v[54:55], v[8:9]
	v_div_scale_f64 v[74:75], s[6:7], v[56:57], v[56:57], 1.0
	v_div_scale_f64 v[80:81], vcc, 1.0, v[56:57], 1.0
	v_rcp_f64_e32 v[76:77], v[74:75]
	v_fma_f64 v[78:79], -v[74:75], v[76:77], 1.0
	v_fma_f64 v[76:77], v[76:77], v[78:79], v[76:77]
	v_fma_f64 v[78:79], -v[74:75], v[76:77], 1.0
	v_fma_f64 v[76:77], v[76:77], v[78:79], v[76:77]
	v_mul_f64 v[78:79], v[80:81], v[76:77]
	v_fma_f64 v[74:75], -v[74:75], v[78:79], v[80:81]
	v_div_fmas_f64 v[74:75], v[74:75], v[76:77], v[78:79]
	v_div_fixup_f64 v[56:57], v[74:75], v[56:57], 1.0
	v_mul_f64 v[54:55], v[54:55], v[56:57]
	v_xor_b32_e32 v57, 0x80000000, v57
.LBB13_59:
	s_andn2_saveexec_b64 s[2:3], s[2:3]
	s_cbranch_execz .LBB13_61
; %bb.60:
	v_div_scale_f64 v[54:55], s[6:7], v[6:7], v[6:7], v[8:9]
	v_rcp_f64_e32 v[56:57], v[54:55]
	v_fma_f64 v[74:75], -v[54:55], v[56:57], 1.0
	v_fma_f64 v[56:57], v[56:57], v[74:75], v[56:57]
	v_div_scale_f64 v[74:75], vcc, v[8:9], v[6:7], v[8:9]
	v_fma_f64 v[76:77], -v[54:55], v[56:57], 1.0
	v_fma_f64 v[56:57], v[56:57], v[76:77], v[56:57]
	v_mul_f64 v[76:77], v[74:75], v[56:57]
	v_fma_f64 v[54:55], -v[54:55], v[76:77], v[74:75]
	v_div_fmas_f64 v[54:55], v[54:55], v[56:57], v[76:77]
	v_div_fixup_f64 v[56:57], v[54:55], v[6:7], v[8:9]
	v_fma_f64 v[54:55], v[8:9], v[56:57], v[6:7]
	v_div_scale_f64 v[74:75], s[6:7], v[54:55], v[54:55], 1.0
	v_div_scale_f64 v[80:81], vcc, 1.0, v[54:55], 1.0
	v_rcp_f64_e32 v[76:77], v[74:75]
	v_fma_f64 v[78:79], -v[74:75], v[76:77], 1.0
	v_fma_f64 v[76:77], v[76:77], v[78:79], v[76:77]
	v_fma_f64 v[78:79], -v[74:75], v[76:77], 1.0
	v_fma_f64 v[76:77], v[76:77], v[78:79], v[76:77]
	v_mul_f64 v[78:79], v[80:81], v[76:77]
	v_fma_f64 v[74:75], -v[74:75], v[78:79], v[80:81]
	v_div_fmas_f64 v[74:75], v[74:75], v[76:77], v[78:79]
	v_div_fixup_f64 v[54:55], v[74:75], v[54:55], 1.0
	v_mul_f64 v[56:57], v[56:57], -v[54:55]
.LBB13_61:
	s_or_b64 exec, exec, s[2:3]
	ds_write2_b64 v1, v[54:55], v[56:57] offset1:1
.LBB13_62:
	s_or_b64 exec, exec, s[4:5]
	s_waitcnt lgkmcnt(0)
	s_barrier
	ds_read2_b64 v[54:57], v1 offset1:1
	s_waitcnt lgkmcnt(0)
	s_barrier
	s_and_saveexec_b64 s[28:29], s[0:1]
	s_cbranch_execz .LBB13_65
; %bb.63:
	v_lshlrev_b64 v[64:65], 2, v[64:65]
	v_mov_b32_e32 v1, s11
	v_add_co_u32_e32 v64, vcc, s10, v64
	v_addc_co_u32_e32 v65, vcc, v1, v65, vcc
	global_load_dword v74, v[64:65], off
	v_cmp_eq_f64_e32 vcc, 0, v[30:31]
	v_cmp_eq_f64_e64 s[0:1], 0, v[32:33]
	v_cmp_neq_f64_e64 s[2:3], 0, v[34:35]
	v_cmp_neq_f64_e64 s[4:5], 0, v[36:37]
	v_cmp_eq_f64_e64 s[6:7], 0, v[38:39]
	v_cmp_eq_f64_e64 s[8:9], 0, v[40:41]
	;; [unrolled: 1-line block ×5, first 2 shown]
	s_and_b64 s[0:1], vcc, s[0:1]
	v_cmp_eq_f64_e64 s[16:17], 0, v[48:49]
	s_or_b64 s[2:3], s[2:3], s[4:5]
	v_cndmask_b32_e64 v1, 0, 1, s[0:1]
	s_or_b64 vcc, s[2:3], s[0:1]
	v_cndmask_b32_e32 v1, 2, v1, vcc
	s_and_b64 s[4:5], s[6:7], s[8:9]
	v_cmp_eq_u32_e32 vcc, 0, v1
	v_cmp_eq_f64_e64 s[18:19], 0, v[50:51]
	v_cmp_eq_f64_e64 s[20:21], 0, v[52:53]
	s_and_b64 s[0:1], s[4:5], vcc
	v_cndmask_b32_e64 v1, v1, 3, s[0:1]
	s_and_b64 s[6:7], s[10:11], s[12:13]
	v_cmp_eq_u32_e32 vcc, 0, v1
	v_cmp_eq_f64_e64 s[22:23], 0, v[54:55]
	v_cmp_eq_f64_e64 s[24:25], 0, v[56:57]
	s_and_b64 s[0:1], s[6:7], vcc
	v_cndmask_b32_e64 v1, v1, 4, s[0:1]
	s_and_b64 s[8:9], s[14:15], s[16:17]
	v_cmp_eq_u32_e32 vcc, 0, v1
	s_and_b64 s[0:1], s[8:9], vcc
	v_cndmask_b32_e64 v1, v1, 5, s[0:1]
	s_and_b64 s[10:11], s[18:19], s[20:21]
	v_cmp_eq_u32_e32 vcc, 0, v1
	;; [unrolled: 4-line block ×3, first 2 shown]
	s_and_b64 s[0:1], s[12:13], vcc
	v_cndmask_b32_e64 v1, v1, 7, s[0:1]
	v_cmp_ne_u32_e64 s[0:1], 0, v1
	s_waitcnt vmcnt(0)
	v_cmp_eq_u32_e32 vcc, 0, v74
	s_and_b64 s[0:1], vcc, s[0:1]
	s_and_b64 exec, exec, s[0:1]
	s_cbranch_execz .LBB13_65
; %bb.64:
	v_add_u32_e32 v1, s27, v1
	global_store_dword v[64:65], v1, off
.LBB13_65:
	s_or_b64 exec, exec, s[28:29]
	v_mul_f64 v[30:31], v[54:55], v[8:9]
	v_mul_f64 v[32:33], v[56:57], v[8:9]
	global_store_dwordx4 v[58:59], v[26:29], off
	v_cmp_lt_u32_e32 vcc, 6, v0
	global_store_dwordx4 v[72:73], v[22:25], off
	global_store_dwordx4 v[60:61], v[18:21], off
	;; [unrolled: 1-line block ×4, first 2 shown]
	v_fma_f64 v[30:31], v[56:57], v[6:7], v[30:31]
	v_fma_f64 v[26:27], v[54:55], v[6:7], -v[32:33]
	v_cndmask_b32_e32 v9, v9, v31, vcc
	v_cndmask_b32_e32 v8, v8, v30, vcc
	;; [unrolled: 1-line block ×4, first 2 shown]
	global_store_dwordx4 v[68:69], v[2:5], off
	global_store_dwordx4 v[70:71], v[6:9], off
.LBB13_66:
	s_endpgm
	.section	.rodata,"a",@progbits
	.p2align	6, 0x0
	.amdhsa_kernel _ZN9rocsolver6v33100L23getf2_npvt_small_kernelILi7E19rocblas_complex_numIdEiiPS3_EEvT1_T3_lS5_lPT2_S5_S5_
		.amdhsa_group_segment_fixed_size 0
		.amdhsa_private_segment_fixed_size 0
		.amdhsa_kernarg_size 312
		.amdhsa_user_sgpr_count 6
		.amdhsa_user_sgpr_private_segment_buffer 1
		.amdhsa_user_sgpr_dispatch_ptr 0
		.amdhsa_user_sgpr_queue_ptr 0
		.amdhsa_user_sgpr_kernarg_segment_ptr 1
		.amdhsa_user_sgpr_dispatch_id 0
		.amdhsa_user_sgpr_flat_scratch_init 0
		.amdhsa_user_sgpr_private_segment_size 0
		.amdhsa_uses_dynamic_stack 0
		.amdhsa_system_sgpr_private_segment_wavefront_offset 0
		.amdhsa_system_sgpr_workgroup_id_x 1
		.amdhsa_system_sgpr_workgroup_id_y 1
		.amdhsa_system_sgpr_workgroup_id_z 0
		.amdhsa_system_sgpr_workgroup_info 0
		.amdhsa_system_vgpr_workitem_id 1
		.amdhsa_next_free_vgpr 82
		.amdhsa_next_free_sgpr 30
		.amdhsa_reserve_vcc 1
		.amdhsa_reserve_flat_scratch 0
		.amdhsa_float_round_mode_32 0
		.amdhsa_float_round_mode_16_64 0
		.amdhsa_float_denorm_mode_32 3
		.amdhsa_float_denorm_mode_16_64 3
		.amdhsa_dx10_clamp 1
		.amdhsa_ieee_mode 1
		.amdhsa_fp16_overflow 0
		.amdhsa_exception_fp_ieee_invalid_op 0
		.amdhsa_exception_fp_denorm_src 0
		.amdhsa_exception_fp_ieee_div_zero 0
		.amdhsa_exception_fp_ieee_overflow 0
		.amdhsa_exception_fp_ieee_underflow 0
		.amdhsa_exception_fp_ieee_inexact 0
		.amdhsa_exception_int_div_zero 0
	.end_amdhsa_kernel
	.section	.text._ZN9rocsolver6v33100L23getf2_npvt_small_kernelILi7E19rocblas_complex_numIdEiiPS3_EEvT1_T3_lS5_lPT2_S5_S5_,"axG",@progbits,_ZN9rocsolver6v33100L23getf2_npvt_small_kernelILi7E19rocblas_complex_numIdEiiPS3_EEvT1_T3_lS5_lPT2_S5_S5_,comdat
.Lfunc_end13:
	.size	_ZN9rocsolver6v33100L23getf2_npvt_small_kernelILi7E19rocblas_complex_numIdEiiPS3_EEvT1_T3_lS5_lPT2_S5_S5_, .Lfunc_end13-_ZN9rocsolver6v33100L23getf2_npvt_small_kernelILi7E19rocblas_complex_numIdEiiPS3_EEvT1_T3_lS5_lPT2_S5_S5_
                                        ; -- End function
	.set _ZN9rocsolver6v33100L23getf2_npvt_small_kernelILi7E19rocblas_complex_numIdEiiPS3_EEvT1_T3_lS5_lPT2_S5_S5_.num_vgpr, 82
	.set _ZN9rocsolver6v33100L23getf2_npvt_small_kernelILi7E19rocblas_complex_numIdEiiPS3_EEvT1_T3_lS5_lPT2_S5_S5_.num_agpr, 0
	.set _ZN9rocsolver6v33100L23getf2_npvt_small_kernelILi7E19rocblas_complex_numIdEiiPS3_EEvT1_T3_lS5_lPT2_S5_S5_.numbered_sgpr, 30
	.set _ZN9rocsolver6v33100L23getf2_npvt_small_kernelILi7E19rocblas_complex_numIdEiiPS3_EEvT1_T3_lS5_lPT2_S5_S5_.num_named_barrier, 0
	.set _ZN9rocsolver6v33100L23getf2_npvt_small_kernelILi7E19rocblas_complex_numIdEiiPS3_EEvT1_T3_lS5_lPT2_S5_S5_.private_seg_size, 0
	.set _ZN9rocsolver6v33100L23getf2_npvt_small_kernelILi7E19rocblas_complex_numIdEiiPS3_EEvT1_T3_lS5_lPT2_S5_S5_.uses_vcc, 1
	.set _ZN9rocsolver6v33100L23getf2_npvt_small_kernelILi7E19rocblas_complex_numIdEiiPS3_EEvT1_T3_lS5_lPT2_S5_S5_.uses_flat_scratch, 0
	.set _ZN9rocsolver6v33100L23getf2_npvt_small_kernelILi7E19rocblas_complex_numIdEiiPS3_EEvT1_T3_lS5_lPT2_S5_S5_.has_dyn_sized_stack, 0
	.set _ZN9rocsolver6v33100L23getf2_npvt_small_kernelILi7E19rocblas_complex_numIdEiiPS3_EEvT1_T3_lS5_lPT2_S5_S5_.has_recursion, 0
	.set _ZN9rocsolver6v33100L23getf2_npvt_small_kernelILi7E19rocblas_complex_numIdEiiPS3_EEvT1_T3_lS5_lPT2_S5_S5_.has_indirect_call, 0
	.section	.AMDGPU.csdata,"",@progbits
; Kernel info:
; codeLenInByte = 6120
; TotalNumSgprs: 34
; NumVgprs: 82
; ScratchSize: 0
; MemoryBound: 0
; FloatMode: 240
; IeeeMode: 1
; LDSByteSize: 0 bytes/workgroup (compile time only)
; SGPRBlocks: 4
; VGPRBlocks: 20
; NumSGPRsForWavesPerEU: 34
; NumVGPRsForWavesPerEU: 82
; Occupancy: 3
; WaveLimiterHint : 0
; COMPUTE_PGM_RSRC2:SCRATCH_EN: 0
; COMPUTE_PGM_RSRC2:USER_SGPR: 6
; COMPUTE_PGM_RSRC2:TRAP_HANDLER: 0
; COMPUTE_PGM_RSRC2:TGID_X_EN: 1
; COMPUTE_PGM_RSRC2:TGID_Y_EN: 1
; COMPUTE_PGM_RSRC2:TGID_Z_EN: 0
; COMPUTE_PGM_RSRC2:TIDIG_COMP_CNT: 1
	.section	.text._ZN9rocsolver6v33100L18getf2_small_kernelILi8E19rocblas_complex_numIdEiiPS3_EEvT1_T3_lS5_lPS5_llPT2_S5_S5_S7_l,"axG",@progbits,_ZN9rocsolver6v33100L18getf2_small_kernelILi8E19rocblas_complex_numIdEiiPS3_EEvT1_T3_lS5_lPS5_llPT2_S5_S5_S7_l,comdat
	.globl	_ZN9rocsolver6v33100L18getf2_small_kernelILi8E19rocblas_complex_numIdEiiPS3_EEvT1_T3_lS5_lPS5_llPT2_S5_S5_S7_l ; -- Begin function _ZN9rocsolver6v33100L18getf2_small_kernelILi8E19rocblas_complex_numIdEiiPS3_EEvT1_T3_lS5_lPS5_llPT2_S5_S5_S7_l
	.p2align	8
	.type	_ZN9rocsolver6v33100L18getf2_small_kernelILi8E19rocblas_complex_numIdEiiPS3_EEvT1_T3_lS5_lPS5_llPT2_S5_S5_S7_l,@function
_ZN9rocsolver6v33100L18getf2_small_kernelILi8E19rocblas_complex_numIdEiiPS3_EEvT1_T3_lS5_lPS5_llPT2_S5_S5_S7_l: ; @_ZN9rocsolver6v33100L18getf2_small_kernelILi8E19rocblas_complex_numIdEiiPS3_EEvT1_T3_lS5_lPS5_llPT2_S5_S5_S7_l
; %bb.0:
	s_load_dword s0, s[4:5], 0x6c
	s_load_dwordx2 s[16:17], s[4:5], 0x48
	s_waitcnt lgkmcnt(0)
	s_lshr_b32 s0, s0, 16
	s_mul_i32 s7, s7, s0
	v_add_u32_e32 v38, s7, v1
	v_cmp_gt_i32_e32 vcc, s16, v38
	s_and_saveexec_b64 s[0:1], vcc
	s_cbranch_execz .LBB14_169
; %bb.1:
	s_load_dwordx4 s[0:3], s[4:5], 0x50
	v_mov_b32_e32 v40, 0
	v_ashrrev_i32_e32 v39, 31, v38
	v_mov_b32_e32 v41, 0
	s_waitcnt lgkmcnt(0)
	s_cmp_eq_u64 s[0:1], 0
	s_cselect_b64 s[18:19], -1, 0
	s_and_b64 vcc, exec, s[18:19]
	s_cbranch_vccnz .LBB14_3
; %bb.2:
	v_mul_lo_u32 v4, s3, v38
	v_mul_lo_u32 v5, s2, v39
	v_mad_u64_u32 v[2:3], s[2:3], s2, v38, 0
	v_add3_u32 v3, v3, v5, v4
	v_lshlrev_b64 v[2:3], 2, v[2:3]
	v_mov_b32_e32 v4, s1
	v_add_co_u32_e32 v40, vcc, s0, v2
	v_addc_co_u32_e32 v41, vcc, v4, v3, vcc
.LBB14_3:
	s_load_dwordx8 s[8:15], s[4:5], 0x20
	s_load_dwordx4 s[0:3], s[4:5], 0x8
	v_lshlrev_b32_e32 v44, 4, v0
	s_load_dwordx2 s[20:21], s[4:5], 0x40
	s_waitcnt lgkmcnt(0)
	v_mul_lo_u32 v4, s9, v38
	v_mul_lo_u32 v5, s8, v39
	v_mad_u64_u32 v[2:3], s[6:7], s8, v38, 0
	s_load_dword s6, s[4:5], 0x18
	s_load_dword s22, s[4:5], 0x0
	v_mov_b32_e32 v6, s1
	v_add3_u32 v3, v3, v5, v4
	v_lshlrev_b64 v[2:3], 4, v[2:3]
	s_waitcnt lgkmcnt(0)
	s_add_i32 s16, s6, s6
	v_add_co_u32_e32 v2, vcc, s0, v2
	v_addc_co_u32_e32 v3, vcc, v6, v3, vcc
	s_lshl_b64 s[0:1], s[2:3], 4
	v_mov_b32_e32 v4, s1
	v_add_co_u32_e32 v45, vcc, s0, v2
	v_add_u32_e32 v2, s16, v0
	v_addc_co_u32_e32 v46, vcc, v3, v4, vcc
	v_ashrrev_i32_e32 v3, 31, v2
	v_lshlrev_b64 v[3:4], 4, v[2:3]
	v_add_u32_e32 v2, s6, v2
	v_add_co_u32_e32 v34, vcc, v45, v3
	v_ashrrev_i32_e32 v3, 31, v2
	v_addc_co_u32_e32 v35, vcc, v46, v4, vcc
	v_lshlrev_b64 v[3:4], 4, v[2:3]
	v_add_u32_e32 v2, s6, v2
	v_add_co_u32_e32 v36, vcc, v45, v3
	v_ashrrev_i32_e32 v3, 31, v2
	v_addc_co_u32_e32 v37, vcc, v46, v4, vcc
	;; [unrolled: 5-line block ×4, first 2 shown]
	v_lshlrev_b64 v[3:4], 4, v[2:3]
	v_add_u32_e32 v2, s6, v2
	v_add_co_u32_e32 v49, vcc, v45, v3
	v_ashrrev_i32_e32 v3, 31, v2
	v_lshlrev_b64 v[2:3], 4, v[2:3]
	v_addc_co_u32_e32 v50, vcc, v46, v4, vcc
	v_add_co_u32_e32 v51, vcc, v45, v2
	v_addc_co_u32_e32 v52, vcc, v46, v3, vcc
	v_add_co_u32_e32 v2, vcc, v45, v44
	s_ashr_i32 s7, s6, 31
	v_addc_co_u32_e32 v3, vcc, 0, v46, vcc
	s_lshl_b64 s[8:9], s[6:7], 4
	v_mov_b32_e32 v4, s9
	v_add_co_u32_e32 v53, vcc, s8, v2
	v_addc_co_u32_e32 v54, vcc, v3, v4, vcc
	global_load_dwordx4 v[26:29], v[2:3], off
	global_load_dwordx4 v[22:25], v[53:54], off
	;; [unrolled: 1-line block ×8, first 2 shown]
	s_max_i32 s0, s22, 8
	v_mul_lo_u32 v42, s0, v1
	s_cmp_lt_i32 s22, 2
	v_lshl_add_u32 v1, v42, 4, 0
	v_add_u32_e32 v34, v1, v44
	v_lshlrev_b32_e32 v48, 4, v42
	v_mov_b32_e32 v42, 0
	s_waitcnt vmcnt(7)
	ds_write2_b64 v34, v[26:27], v[28:29] offset1:1
	s_waitcnt vmcnt(0) lgkmcnt(0)
	s_barrier
	ds_read2_b64 v[34:37], v1 offset1:1
	s_cbranch_scc1 .LBB14_6
; %bb.4:
	v_add3_u32 v43, v48, 0, 16
	s_mov_b32 s7, 1
	v_mov_b32_e32 v42, 0
.LBB14_5:                               ; =>This Inner Loop Header: Depth=1
	ds_read2_b64 v[49:52], v43 offset1:1
	s_waitcnt lgkmcnt(1)
	v_cmp_gt_f64_e32 vcc, 0, v[36:37]
	v_cmp_gt_f64_e64 s[0:1], 0, v[34:35]
	v_xor_b32_e32 v44, 0x80000000, v35
	v_xor_b32_e32 v47, 0x80000000, v37
	s_waitcnt lgkmcnt(0)
	v_cmp_gt_f64_e64 s[2:3], 0, v[49:50]
	v_cmp_gt_f64_e64 s[4:5], 0, v[51:52]
	v_xor_b32_e32 v58, 0x80000000, v50
	v_xor_b32_e32 v60, 0x80000000, v52
	v_mov_b32_e32 v53, v34
	v_mov_b32_e32 v55, v36
	;; [unrolled: 1-line block ×4, first 2 shown]
	v_cndmask_b32_e64 v54, v35, v44, s[0:1]
	v_cndmask_b32_e32 v56, v37, v47, vcc
	v_cndmask_b32_e64 v58, v50, v58, s[2:3]
	v_cndmask_b32_e64 v60, v52, v60, s[4:5]
	v_add_f64 v[53:54], v[53:54], v[55:56]
	v_add_f64 v[55:56], v[57:58], v[59:60]
	v_mov_b32_e32 v44, s7
	s_add_i32 s7, s7, 1
	v_add_u32_e32 v43, 16, v43
	s_cmp_eq_u32 s22, s7
	v_cmp_lt_f64_e32 vcc, v[53:54], v[55:56]
	v_cndmask_b32_e32 v35, v35, v50, vcc
	v_cndmask_b32_e32 v34, v34, v49, vcc
	;; [unrolled: 1-line block ×5, first 2 shown]
	s_cbranch_scc0 .LBB14_5
.LBB14_6:
	s_waitcnt lgkmcnt(0)
	v_cmp_neq_f64_e32 vcc, 0, v[34:35]
	v_cmp_neq_f64_e64 s[0:1], 0, v[36:37]
	v_mov_b32_e32 v47, 1
	v_mov_b32_e32 v49, 1
	s_or_b64 s[2:3], vcc, s[0:1]
	s_and_saveexec_b64 s[0:1], s[2:3]
	s_cbranch_execz .LBB14_12
; %bb.7:
	v_cmp_ngt_f64_e64 s[2:3], |v[34:35]|, |v[36:37]|
	s_and_saveexec_b64 s[4:5], s[2:3]
	s_xor_b64 s[2:3], exec, s[4:5]
	s_cbranch_execz .LBB14_9
; %bb.8:
	v_div_scale_f64 v[43:44], s[4:5], v[36:37], v[36:37], v[34:35]
	v_rcp_f64_e32 v[49:50], v[43:44]
	v_fma_f64 v[51:52], -v[43:44], v[49:50], 1.0
	v_fma_f64 v[49:50], v[49:50], v[51:52], v[49:50]
	v_div_scale_f64 v[51:52], vcc, v[34:35], v[36:37], v[34:35]
	v_fma_f64 v[53:54], -v[43:44], v[49:50], 1.0
	v_fma_f64 v[49:50], v[49:50], v[53:54], v[49:50]
	v_mul_f64 v[53:54], v[51:52], v[49:50]
	v_fma_f64 v[43:44], -v[43:44], v[53:54], v[51:52]
	v_div_fmas_f64 v[43:44], v[43:44], v[49:50], v[53:54]
	v_div_fixup_f64 v[43:44], v[43:44], v[36:37], v[34:35]
	v_fma_f64 v[34:35], v[34:35], v[43:44], v[36:37]
	v_div_scale_f64 v[36:37], s[4:5], v[34:35], v[34:35], 1.0
	v_div_scale_f64 v[53:54], vcc, 1.0, v[34:35], 1.0
	v_rcp_f64_e32 v[49:50], v[36:37]
	v_fma_f64 v[51:52], -v[36:37], v[49:50], 1.0
	v_fma_f64 v[49:50], v[49:50], v[51:52], v[49:50]
	v_fma_f64 v[51:52], -v[36:37], v[49:50], 1.0
	v_fma_f64 v[49:50], v[49:50], v[51:52], v[49:50]
	v_mul_f64 v[51:52], v[53:54], v[49:50]
	v_fma_f64 v[36:37], -v[36:37], v[51:52], v[53:54]
	v_div_fmas_f64 v[36:37], v[36:37], v[49:50], v[51:52]
	v_div_fixup_f64 v[36:37], v[36:37], v[34:35], 1.0
	v_mul_f64 v[34:35], v[43:44], v[36:37]
	v_xor_b32_e32 v37, 0x80000000, v37
.LBB14_9:
	s_andn2_saveexec_b64 s[2:3], s[2:3]
	s_cbranch_execz .LBB14_11
; %bb.10:
	v_div_scale_f64 v[43:44], s[4:5], v[34:35], v[34:35], v[36:37]
	v_rcp_f64_e32 v[49:50], v[43:44]
	v_fma_f64 v[51:52], -v[43:44], v[49:50], 1.0
	v_fma_f64 v[49:50], v[49:50], v[51:52], v[49:50]
	v_div_scale_f64 v[51:52], vcc, v[36:37], v[34:35], v[36:37]
	v_fma_f64 v[53:54], -v[43:44], v[49:50], 1.0
	v_fma_f64 v[49:50], v[49:50], v[53:54], v[49:50]
	v_mul_f64 v[53:54], v[51:52], v[49:50]
	v_fma_f64 v[43:44], -v[43:44], v[53:54], v[51:52]
	v_div_fmas_f64 v[43:44], v[43:44], v[49:50], v[53:54]
	v_div_fixup_f64 v[43:44], v[43:44], v[34:35], v[36:37]
	v_fma_f64 v[34:35], v[36:37], v[43:44], v[34:35]
	v_div_scale_f64 v[36:37], s[4:5], v[34:35], v[34:35], 1.0
	v_div_scale_f64 v[53:54], vcc, 1.0, v[34:35], 1.0
	v_rcp_f64_e32 v[49:50], v[36:37]
	v_fma_f64 v[51:52], -v[36:37], v[49:50], 1.0
	v_fma_f64 v[49:50], v[49:50], v[51:52], v[49:50]
	v_fma_f64 v[51:52], -v[36:37], v[49:50], 1.0
	v_fma_f64 v[49:50], v[49:50], v[51:52], v[49:50]
	v_mul_f64 v[51:52], v[53:54], v[49:50]
	v_fma_f64 v[36:37], -v[36:37], v[51:52], v[53:54]
	v_div_fmas_f64 v[36:37], v[36:37], v[49:50], v[51:52]
	v_div_fixup_f64 v[34:35], v[36:37], v[34:35], 1.0
	v_mul_f64 v[36:37], v[43:44], -v[34:35]
.LBB14_11:
	s_or_b64 exec, exec, s[2:3]
	v_mov_b32_e32 v49, 0
	v_mov_b32_e32 v47, 2
.LBB14_12:
	s_or_b64 exec, exec, s[0:1]
	v_cmp_ne_u32_e32 vcc, v0, v42
	s_and_saveexec_b64 s[0:1], vcc
	s_xor_b64 s[0:1], exec, s[0:1]
	s_cbranch_execz .LBB14_18
; %bb.13:
	v_cmp_eq_u32_e32 vcc, 0, v0
	s_and_saveexec_b64 s[2:3], vcc
	s_cbranch_execz .LBB14_17
; %bb.14:
	v_cmp_ne_u32_e32 vcc, 0, v42
	s_xor_b64 s[4:5], s[18:19], -1
	s_and_b64 s[24:25], s[4:5], vcc
	s_and_saveexec_b64 s[4:5], s[24:25]
	s_cbranch_execz .LBB14_16
; %bb.15:
	v_ashrrev_i32_e32 v43, 31, v42
	v_lshlrev_b64 v[43:44], 2, v[42:43]
	v_add_co_u32_e32 v43, vcc, v40, v43
	v_addc_co_u32_e32 v44, vcc, v41, v44, vcc
	global_load_dword v0, v[43:44], off
	global_load_dword v50, v[40:41], off
	s_waitcnt vmcnt(1)
	global_store_dword v[40:41], v0, off
	s_waitcnt vmcnt(1)
	global_store_dword v[43:44], v50, off
.LBB14_16:
	s_or_b64 exec, exec, s[4:5]
	v_mov_b32_e32 v0, v42
.LBB14_17:
	s_or_b64 exec, exec, s[2:3]
.LBB14_18:
	s_or_saveexec_b64 s[0:1], s[0:1]
	v_mov_b32_e32 v44, v0
	s_xor_b64 exec, exec, s[0:1]
	s_cbranch_execz .LBB14_20
; %bb.19:
	v_mov_b32_e32 v44, 0
	ds_write2_b64 v1, v[22:23], v[24:25] offset0:2 offset1:3
	ds_write2_b64 v1, v[18:19], v[20:21] offset0:4 offset1:5
	;; [unrolled: 1-line block ×7, first 2 shown]
.LBB14_20:
	s_or_b64 exec, exec, s[0:1]
	v_cmp_lt_i32_e32 vcc, 0, v44
	s_waitcnt vmcnt(0) lgkmcnt(0)
	s_barrier
	s_and_saveexec_b64 s[0:1], vcc
	s_cbranch_execz .LBB14_22
; %bb.21:
	v_mul_f64 v[42:43], v[34:35], v[28:29]
	v_mul_f64 v[28:29], v[36:37], v[28:29]
	v_fma_f64 v[42:43], v[36:37], v[26:27], v[42:43]
	v_fma_f64 v[26:27], v[34:35], v[26:27], -v[28:29]
	ds_read2_b64 v[34:37], v1 offset0:2 offset1:3
	s_waitcnt lgkmcnt(0)
	v_mul_f64 v[28:29], v[36:37], v[42:43]
	v_fma_f64 v[28:29], v[34:35], v[26:27], -v[28:29]
	v_mul_f64 v[34:35], v[34:35], v[42:43]
	v_add_f64 v[22:23], v[22:23], -v[28:29]
	v_fma_f64 v[34:35], v[36:37], v[26:27], v[34:35]
	v_add_f64 v[24:25], v[24:25], -v[34:35]
	ds_read2_b64 v[34:37], v1 offset0:4 offset1:5
	s_waitcnt lgkmcnt(0)
	v_mul_f64 v[28:29], v[36:37], v[42:43]
	v_fma_f64 v[28:29], v[34:35], v[26:27], -v[28:29]
	v_mul_f64 v[34:35], v[34:35], v[42:43]
	v_add_f64 v[18:19], v[18:19], -v[28:29]
	v_fma_f64 v[34:35], v[36:37], v[26:27], v[34:35]
	v_add_f64 v[20:21], v[20:21], -v[34:35]
	;; [unrolled: 8-line block ×6, first 2 shown]
	ds_read2_b64 v[34:37], v1 offset0:14 offset1:15
	s_waitcnt lgkmcnt(0)
	v_mul_f64 v[28:29], v[36:37], v[42:43]
	v_fma_f64 v[28:29], v[34:35], v[26:27], -v[28:29]
	v_mul_f64 v[34:35], v[34:35], v[42:43]
	v_add_f64 v[30:31], v[30:31], -v[28:29]
	v_fma_f64 v[34:35], v[36:37], v[26:27], v[34:35]
	v_mov_b32_e32 v28, v42
	v_mov_b32_e32 v29, v43
	v_add_f64 v[32:33], v[32:33], -v[34:35]
.LBB14_22:
	s_or_b64 exec, exec, s[0:1]
	v_lshl_add_u32 v34, v44, 4, v1
	s_barrier
	ds_write2_b64 v34, v[22:23], v[24:25] offset1:1
	s_waitcnt lgkmcnt(0)
	s_barrier
	ds_read2_b64 v[34:37], v1 offset0:2 offset1:3
	s_cmp_lt_i32 s22, 3
	v_mov_b32_e32 v42, 1
	s_cbranch_scc1 .LBB14_25
; %bb.23:
	v_add3_u32 v43, v48, 0, 32
	s_mov_b32 s2, 2
	v_mov_b32_e32 v42, 1
.LBB14_24:                              ; =>This Inner Loop Header: Depth=1
	s_waitcnt lgkmcnt(0)
	v_cmp_gt_f64_e32 vcc, 0, v[36:37]
	v_cmp_gt_f64_e64 s[0:1], 0, v[34:35]
	ds_read2_b64 v[50:53], v43 offset1:1
	v_xor_b32_e32 v55, 0x80000000, v35
	v_xor_b32_e32 v57, 0x80000000, v37
	v_mov_b32_e32 v54, v34
	v_mov_b32_e32 v56, v36
	s_waitcnt lgkmcnt(0)
	v_xor_b32_e32 v59, 0x80000000, v53
	v_cndmask_b32_e32 v57, v37, v57, vcc
	v_cndmask_b32_e64 v55, v35, v55, s[0:1]
	v_cmp_gt_f64_e32 vcc, 0, v[52:53]
	v_cmp_gt_f64_e64 s[0:1], 0, v[50:51]
	v_add_f64 v[54:55], v[54:55], v[56:57]
	v_xor_b32_e32 v57, 0x80000000, v51
	v_mov_b32_e32 v56, v50
	v_mov_b32_e32 v58, v52
	v_add_u32_e32 v43, 16, v43
	v_cndmask_b32_e32 v59, v53, v59, vcc
	v_cndmask_b32_e64 v57, v51, v57, s[0:1]
	v_add_f64 v[56:57], v[56:57], v[58:59]
	v_mov_b32_e32 v58, s2
	s_add_i32 s2, s2, 1
	s_cmp_lg_u32 s22, s2
	v_cmp_lt_f64_e32 vcc, v[54:55], v[56:57]
	v_cndmask_b32_e32 v35, v35, v51, vcc
	v_cndmask_b32_e32 v34, v34, v50, vcc
	;; [unrolled: 1-line block ×5, first 2 shown]
	s_cbranch_scc1 .LBB14_24
.LBB14_25:
	s_waitcnt lgkmcnt(0)
	v_cmp_neq_f64_e32 vcc, 0, v[34:35]
	v_cmp_neq_f64_e64 s[0:1], 0, v[36:37]
	s_or_b64 s[2:3], vcc, s[0:1]
	s_and_saveexec_b64 s[0:1], s[2:3]
	s_cbranch_execz .LBB14_31
; %bb.26:
	v_cmp_ngt_f64_e64 s[2:3], |v[34:35]|, |v[36:37]|
	s_and_saveexec_b64 s[4:5], s[2:3]
	s_xor_b64 s[2:3], exec, s[4:5]
	s_cbranch_execz .LBB14_28
; %bb.27:
	v_div_scale_f64 v[50:51], s[4:5], v[36:37], v[36:37], v[34:35]
	v_rcp_f64_e32 v[52:53], v[50:51]
	v_fma_f64 v[54:55], -v[50:51], v[52:53], 1.0
	v_fma_f64 v[52:53], v[52:53], v[54:55], v[52:53]
	v_div_scale_f64 v[54:55], vcc, v[34:35], v[36:37], v[34:35]
	v_fma_f64 v[56:57], -v[50:51], v[52:53], 1.0
	v_fma_f64 v[52:53], v[52:53], v[56:57], v[52:53]
	v_mul_f64 v[56:57], v[54:55], v[52:53]
	v_fma_f64 v[50:51], -v[50:51], v[56:57], v[54:55]
	v_div_fmas_f64 v[50:51], v[50:51], v[52:53], v[56:57]
	v_div_fixup_f64 v[50:51], v[50:51], v[36:37], v[34:35]
	v_fma_f64 v[34:35], v[34:35], v[50:51], v[36:37]
	v_div_scale_f64 v[36:37], s[4:5], v[34:35], v[34:35], 1.0
	v_div_scale_f64 v[56:57], vcc, 1.0, v[34:35], 1.0
	v_rcp_f64_e32 v[52:53], v[36:37]
	v_fma_f64 v[54:55], -v[36:37], v[52:53], 1.0
	v_fma_f64 v[52:53], v[52:53], v[54:55], v[52:53]
	v_fma_f64 v[54:55], -v[36:37], v[52:53], 1.0
	v_fma_f64 v[52:53], v[52:53], v[54:55], v[52:53]
	v_mul_f64 v[54:55], v[56:57], v[52:53]
	v_fma_f64 v[36:37], -v[36:37], v[54:55], v[56:57]
	v_div_fmas_f64 v[36:37], v[36:37], v[52:53], v[54:55]
	v_div_fixup_f64 v[36:37], v[36:37], v[34:35], 1.0
	v_mul_f64 v[34:35], v[50:51], v[36:37]
	v_xor_b32_e32 v37, 0x80000000, v37
.LBB14_28:
	s_andn2_saveexec_b64 s[2:3], s[2:3]
	s_cbranch_execz .LBB14_30
; %bb.29:
	v_div_scale_f64 v[50:51], s[4:5], v[34:35], v[34:35], v[36:37]
	v_rcp_f64_e32 v[52:53], v[50:51]
	v_fma_f64 v[54:55], -v[50:51], v[52:53], 1.0
	v_fma_f64 v[52:53], v[52:53], v[54:55], v[52:53]
	v_div_scale_f64 v[54:55], vcc, v[36:37], v[34:35], v[36:37]
	v_fma_f64 v[56:57], -v[50:51], v[52:53], 1.0
	v_fma_f64 v[52:53], v[52:53], v[56:57], v[52:53]
	v_mul_f64 v[56:57], v[54:55], v[52:53]
	v_fma_f64 v[50:51], -v[50:51], v[56:57], v[54:55]
	v_div_fmas_f64 v[50:51], v[50:51], v[52:53], v[56:57]
	v_div_fixup_f64 v[50:51], v[50:51], v[34:35], v[36:37]
	v_fma_f64 v[34:35], v[36:37], v[50:51], v[34:35]
	v_div_scale_f64 v[36:37], s[4:5], v[34:35], v[34:35], 1.0
	v_div_scale_f64 v[56:57], vcc, 1.0, v[34:35], 1.0
	v_rcp_f64_e32 v[52:53], v[36:37]
	v_fma_f64 v[54:55], -v[36:37], v[52:53], 1.0
	v_fma_f64 v[52:53], v[52:53], v[54:55], v[52:53]
	v_fma_f64 v[54:55], -v[36:37], v[52:53], 1.0
	v_fma_f64 v[52:53], v[52:53], v[54:55], v[52:53]
	v_mul_f64 v[54:55], v[56:57], v[52:53]
	v_fma_f64 v[36:37], -v[36:37], v[54:55], v[56:57]
	v_div_fmas_f64 v[36:37], v[36:37], v[52:53], v[54:55]
	v_div_fixup_f64 v[34:35], v[36:37], v[34:35], 1.0
	v_mul_f64 v[36:37], v[50:51], -v[34:35]
.LBB14_30:
	s_or_b64 exec, exec, s[2:3]
	v_mov_b32_e32 v47, v49
.LBB14_31:
	s_or_b64 exec, exec, s[0:1]
	v_cmp_ne_u32_e32 vcc, v44, v42
	s_and_saveexec_b64 s[0:1], vcc
	s_xor_b64 s[0:1], exec, s[0:1]
	s_cbranch_execz .LBB14_37
; %bb.32:
	v_cmp_eq_u32_e32 vcc, 1, v44
	s_and_saveexec_b64 s[2:3], vcc
	s_cbranch_execz .LBB14_36
; %bb.33:
	v_cmp_ne_u32_e32 vcc, 1, v42
	s_xor_b64 s[4:5], s[18:19], -1
	s_and_b64 s[24:25], s[4:5], vcc
	s_and_saveexec_b64 s[4:5], s[24:25]
	s_cbranch_execz .LBB14_35
; %bb.34:
	v_ashrrev_i32_e32 v43, 31, v42
	v_lshlrev_b64 v[43:44], 2, v[42:43]
	v_add_co_u32_e32 v43, vcc, v40, v43
	v_addc_co_u32_e32 v44, vcc, v41, v44, vcc
	global_load_dword v0, v[43:44], off
	global_load_dword v49, v[40:41], off offset:4
	s_waitcnt vmcnt(1)
	global_store_dword v[40:41], v0, off offset:4
	s_waitcnt vmcnt(1)
	global_store_dword v[43:44], v49, off
.LBB14_35:
	s_or_b64 exec, exec, s[4:5]
	v_mov_b32_e32 v44, v42
	v_mov_b32_e32 v0, v42
.LBB14_36:
	s_or_b64 exec, exec, s[2:3]
.LBB14_37:
	s_andn2_saveexec_b64 s[0:1], s[0:1]
	s_cbranch_execz .LBB14_39
; %bb.38:
	v_mov_b32_e32 v44, 1
	ds_write2_b64 v1, v[18:19], v[20:21] offset0:4 offset1:5
	ds_write2_b64 v1, v[14:15], v[16:17] offset0:6 offset1:7
	;; [unrolled: 1-line block ×6, first 2 shown]
.LBB14_39:
	s_or_b64 exec, exec, s[0:1]
	v_cmp_lt_i32_e32 vcc, 1, v44
	s_waitcnt vmcnt(0) lgkmcnt(0)
	s_barrier
	s_and_saveexec_b64 s[0:1], vcc
	s_cbranch_execz .LBB14_41
; %bb.40:
	v_mul_f64 v[42:43], v[34:35], v[24:25]
	v_mul_f64 v[24:25], v[36:37], v[24:25]
	v_fma_f64 v[42:43], v[36:37], v[22:23], v[42:43]
	v_fma_f64 v[22:23], v[34:35], v[22:23], -v[24:25]
	ds_read2_b64 v[34:37], v1 offset0:4 offset1:5
	s_waitcnt lgkmcnt(0)
	v_mul_f64 v[24:25], v[36:37], v[42:43]
	v_fma_f64 v[24:25], v[34:35], v[22:23], -v[24:25]
	v_mul_f64 v[34:35], v[34:35], v[42:43]
	v_add_f64 v[18:19], v[18:19], -v[24:25]
	v_fma_f64 v[34:35], v[36:37], v[22:23], v[34:35]
	v_add_f64 v[20:21], v[20:21], -v[34:35]
	ds_read2_b64 v[34:37], v1 offset0:6 offset1:7
	s_waitcnt lgkmcnt(0)
	v_mul_f64 v[24:25], v[36:37], v[42:43]
	v_fma_f64 v[24:25], v[34:35], v[22:23], -v[24:25]
	v_mul_f64 v[34:35], v[34:35], v[42:43]
	v_add_f64 v[14:15], v[14:15], -v[24:25]
	v_fma_f64 v[34:35], v[36:37], v[22:23], v[34:35]
	v_add_f64 v[16:17], v[16:17], -v[34:35]
	;; [unrolled: 8-line block ×5, first 2 shown]
	ds_read2_b64 v[34:37], v1 offset0:14 offset1:15
	s_waitcnt lgkmcnt(0)
	v_mul_f64 v[24:25], v[36:37], v[42:43]
	v_fma_f64 v[24:25], v[34:35], v[22:23], -v[24:25]
	v_mul_f64 v[34:35], v[34:35], v[42:43]
	v_add_f64 v[30:31], v[30:31], -v[24:25]
	v_fma_f64 v[34:35], v[36:37], v[22:23], v[34:35]
	v_mov_b32_e32 v24, v42
	v_mov_b32_e32 v25, v43
	v_add_f64 v[32:33], v[32:33], -v[34:35]
.LBB14_41:
	s_or_b64 exec, exec, s[0:1]
	v_lshl_add_u32 v34, v44, 4, v1
	s_barrier
	ds_write2_b64 v34, v[18:19], v[20:21] offset1:1
	s_waitcnt lgkmcnt(0)
	s_barrier
	ds_read2_b64 v[34:37], v1 offset0:4 offset1:5
	s_cmp_lt_i32 s22, 4
	v_mov_b32_e32 v42, 2
	s_cbranch_scc1 .LBB14_44
; %bb.42:
	v_add3_u32 v43, v48, 0, 48
	s_mov_b32 s2, 3
	v_mov_b32_e32 v42, 2
.LBB14_43:                              ; =>This Inner Loop Header: Depth=1
	s_waitcnt lgkmcnt(0)
	v_cmp_gt_f64_e32 vcc, 0, v[36:37]
	v_cmp_gt_f64_e64 s[0:1], 0, v[34:35]
	ds_read2_b64 v[49:52], v43 offset1:1
	v_xor_b32_e32 v54, 0x80000000, v35
	v_xor_b32_e32 v56, 0x80000000, v37
	v_mov_b32_e32 v53, v34
	v_mov_b32_e32 v55, v36
	s_waitcnt lgkmcnt(0)
	v_xor_b32_e32 v58, 0x80000000, v52
	v_cndmask_b32_e32 v56, v37, v56, vcc
	v_cndmask_b32_e64 v54, v35, v54, s[0:1]
	v_cmp_gt_f64_e32 vcc, 0, v[51:52]
	v_cmp_gt_f64_e64 s[0:1], 0, v[49:50]
	v_add_f64 v[53:54], v[53:54], v[55:56]
	v_xor_b32_e32 v56, 0x80000000, v50
	v_mov_b32_e32 v55, v49
	v_mov_b32_e32 v57, v51
	v_add_u32_e32 v43, 16, v43
	v_cndmask_b32_e32 v58, v52, v58, vcc
	v_cndmask_b32_e64 v56, v50, v56, s[0:1]
	v_add_f64 v[55:56], v[55:56], v[57:58]
	v_mov_b32_e32 v57, s2
	s_add_i32 s2, s2, 1
	s_cmp_lg_u32 s22, s2
	v_cmp_lt_f64_e32 vcc, v[53:54], v[55:56]
	v_cndmask_b32_e32 v35, v35, v50, vcc
	v_cndmask_b32_e32 v34, v34, v49, vcc
	;; [unrolled: 1-line block ×5, first 2 shown]
	s_cbranch_scc1 .LBB14_43
.LBB14_44:
	s_waitcnt lgkmcnt(0)
	v_cmp_eq_f64_e32 vcc, 0, v[34:35]
	v_cmp_eq_f64_e64 s[0:1], 0, v[36:37]
	s_and_b64 s[0:1], vcc, s[0:1]
	s_and_saveexec_b64 s[2:3], s[0:1]
	s_xor_b64 s[0:1], exec, s[2:3]
; %bb.45:
	v_cmp_ne_u32_e32 vcc, 0, v47
	v_cndmask_b32_e32 v47, 3, v47, vcc
; %bb.46:
	s_andn2_saveexec_b64 s[0:1], s[0:1]
	s_cbranch_execz .LBB14_52
; %bb.47:
	v_cmp_ngt_f64_e64 s[2:3], |v[34:35]|, |v[36:37]|
	s_and_saveexec_b64 s[4:5], s[2:3]
	s_xor_b64 s[2:3], exec, s[4:5]
	s_cbranch_execz .LBB14_49
; %bb.48:
	v_div_scale_f64 v[49:50], s[4:5], v[36:37], v[36:37], v[34:35]
	v_rcp_f64_e32 v[51:52], v[49:50]
	v_fma_f64 v[53:54], -v[49:50], v[51:52], 1.0
	v_fma_f64 v[51:52], v[51:52], v[53:54], v[51:52]
	v_div_scale_f64 v[53:54], vcc, v[34:35], v[36:37], v[34:35]
	v_fma_f64 v[55:56], -v[49:50], v[51:52], 1.0
	v_fma_f64 v[51:52], v[51:52], v[55:56], v[51:52]
	v_mul_f64 v[55:56], v[53:54], v[51:52]
	v_fma_f64 v[49:50], -v[49:50], v[55:56], v[53:54]
	v_div_fmas_f64 v[49:50], v[49:50], v[51:52], v[55:56]
	v_div_fixup_f64 v[49:50], v[49:50], v[36:37], v[34:35]
	v_fma_f64 v[34:35], v[34:35], v[49:50], v[36:37]
	v_div_scale_f64 v[36:37], s[4:5], v[34:35], v[34:35], 1.0
	v_div_scale_f64 v[55:56], vcc, 1.0, v[34:35], 1.0
	v_rcp_f64_e32 v[51:52], v[36:37]
	v_fma_f64 v[53:54], -v[36:37], v[51:52], 1.0
	v_fma_f64 v[51:52], v[51:52], v[53:54], v[51:52]
	v_fma_f64 v[53:54], -v[36:37], v[51:52], 1.0
	v_fma_f64 v[51:52], v[51:52], v[53:54], v[51:52]
	v_mul_f64 v[53:54], v[55:56], v[51:52]
	v_fma_f64 v[36:37], -v[36:37], v[53:54], v[55:56]
	v_div_fmas_f64 v[36:37], v[36:37], v[51:52], v[53:54]
	v_div_fixup_f64 v[36:37], v[36:37], v[34:35], 1.0
	v_mul_f64 v[34:35], v[49:50], v[36:37]
	v_xor_b32_e32 v37, 0x80000000, v37
.LBB14_49:
	s_andn2_saveexec_b64 s[2:3], s[2:3]
	s_cbranch_execz .LBB14_51
; %bb.50:
	v_div_scale_f64 v[49:50], s[4:5], v[34:35], v[34:35], v[36:37]
	v_rcp_f64_e32 v[51:52], v[49:50]
	v_fma_f64 v[53:54], -v[49:50], v[51:52], 1.0
	v_fma_f64 v[51:52], v[51:52], v[53:54], v[51:52]
	v_div_scale_f64 v[53:54], vcc, v[36:37], v[34:35], v[36:37]
	v_fma_f64 v[55:56], -v[49:50], v[51:52], 1.0
	v_fma_f64 v[51:52], v[51:52], v[55:56], v[51:52]
	v_mul_f64 v[55:56], v[53:54], v[51:52]
	v_fma_f64 v[49:50], -v[49:50], v[55:56], v[53:54]
	v_div_fmas_f64 v[49:50], v[49:50], v[51:52], v[55:56]
	v_div_fixup_f64 v[49:50], v[49:50], v[34:35], v[36:37]
	v_fma_f64 v[34:35], v[36:37], v[49:50], v[34:35]
	v_div_scale_f64 v[36:37], s[4:5], v[34:35], v[34:35], 1.0
	v_div_scale_f64 v[55:56], vcc, 1.0, v[34:35], 1.0
	v_rcp_f64_e32 v[51:52], v[36:37]
	v_fma_f64 v[53:54], -v[36:37], v[51:52], 1.0
	v_fma_f64 v[51:52], v[51:52], v[53:54], v[51:52]
	v_fma_f64 v[53:54], -v[36:37], v[51:52], 1.0
	v_fma_f64 v[51:52], v[51:52], v[53:54], v[51:52]
	v_mul_f64 v[53:54], v[55:56], v[51:52]
	v_fma_f64 v[36:37], -v[36:37], v[53:54], v[55:56]
	v_div_fmas_f64 v[36:37], v[36:37], v[51:52], v[53:54]
	v_div_fixup_f64 v[34:35], v[36:37], v[34:35], 1.0
	v_mul_f64 v[36:37], v[49:50], -v[34:35]
.LBB14_51:
	s_or_b64 exec, exec, s[2:3]
.LBB14_52:
	s_or_b64 exec, exec, s[0:1]
	v_cmp_ne_u32_e32 vcc, v44, v42
	s_and_saveexec_b64 s[0:1], vcc
	s_xor_b64 s[0:1], exec, s[0:1]
	s_cbranch_execz .LBB14_58
; %bb.53:
	v_cmp_eq_u32_e32 vcc, 2, v44
	s_and_saveexec_b64 s[2:3], vcc
	s_cbranch_execz .LBB14_57
; %bb.54:
	v_cmp_ne_u32_e32 vcc, 2, v42
	s_xor_b64 s[4:5], s[18:19], -1
	s_and_b64 s[24:25], s[4:5], vcc
	s_and_saveexec_b64 s[4:5], s[24:25]
	s_cbranch_execz .LBB14_56
; %bb.55:
	v_ashrrev_i32_e32 v43, 31, v42
	v_lshlrev_b64 v[43:44], 2, v[42:43]
	v_add_co_u32_e32 v43, vcc, v40, v43
	v_addc_co_u32_e32 v44, vcc, v41, v44, vcc
	global_load_dword v0, v[43:44], off
	global_load_dword v49, v[40:41], off offset:8
	s_waitcnt vmcnt(1)
	global_store_dword v[40:41], v0, off offset:8
	s_waitcnt vmcnt(1)
	global_store_dword v[43:44], v49, off
.LBB14_56:
	s_or_b64 exec, exec, s[4:5]
	v_mov_b32_e32 v44, v42
	v_mov_b32_e32 v0, v42
.LBB14_57:
	s_or_b64 exec, exec, s[2:3]
.LBB14_58:
	s_andn2_saveexec_b64 s[0:1], s[0:1]
	s_cbranch_execz .LBB14_60
; %bb.59:
	v_mov_b32_e32 v44, 2
	ds_write2_b64 v1, v[14:15], v[16:17] offset0:6 offset1:7
	ds_write2_b64 v1, v[10:11], v[12:13] offset0:8 offset1:9
	;; [unrolled: 1-line block ×5, first 2 shown]
.LBB14_60:
	s_or_b64 exec, exec, s[0:1]
	v_cmp_lt_i32_e32 vcc, 2, v44
	s_waitcnt vmcnt(0) lgkmcnt(0)
	s_barrier
	s_and_saveexec_b64 s[0:1], vcc
	s_cbranch_execz .LBB14_62
; %bb.61:
	v_mul_f64 v[42:43], v[34:35], v[20:21]
	v_mul_f64 v[20:21], v[36:37], v[20:21]
	v_fma_f64 v[42:43], v[36:37], v[18:19], v[42:43]
	v_fma_f64 v[18:19], v[34:35], v[18:19], -v[20:21]
	ds_read2_b64 v[34:37], v1 offset0:6 offset1:7
	s_waitcnt lgkmcnt(0)
	v_mul_f64 v[20:21], v[36:37], v[42:43]
	v_fma_f64 v[20:21], v[34:35], v[18:19], -v[20:21]
	v_mul_f64 v[34:35], v[34:35], v[42:43]
	v_add_f64 v[14:15], v[14:15], -v[20:21]
	v_fma_f64 v[34:35], v[36:37], v[18:19], v[34:35]
	v_add_f64 v[16:17], v[16:17], -v[34:35]
	ds_read2_b64 v[34:37], v1 offset0:8 offset1:9
	s_waitcnt lgkmcnt(0)
	v_mul_f64 v[20:21], v[36:37], v[42:43]
	v_fma_f64 v[20:21], v[34:35], v[18:19], -v[20:21]
	v_mul_f64 v[34:35], v[34:35], v[42:43]
	v_add_f64 v[10:11], v[10:11], -v[20:21]
	v_fma_f64 v[34:35], v[36:37], v[18:19], v[34:35]
	v_add_f64 v[12:13], v[12:13], -v[34:35]
	;; [unrolled: 8-line block ×4, first 2 shown]
	ds_read2_b64 v[34:37], v1 offset0:14 offset1:15
	s_waitcnt lgkmcnt(0)
	v_mul_f64 v[20:21], v[36:37], v[42:43]
	v_fma_f64 v[20:21], v[34:35], v[18:19], -v[20:21]
	v_mul_f64 v[34:35], v[34:35], v[42:43]
	v_add_f64 v[30:31], v[30:31], -v[20:21]
	v_fma_f64 v[34:35], v[36:37], v[18:19], v[34:35]
	v_mov_b32_e32 v20, v42
	v_mov_b32_e32 v21, v43
	v_add_f64 v[32:33], v[32:33], -v[34:35]
.LBB14_62:
	s_or_b64 exec, exec, s[0:1]
	v_lshl_add_u32 v34, v44, 4, v1
	s_barrier
	ds_write2_b64 v34, v[14:15], v[16:17] offset1:1
	s_waitcnt lgkmcnt(0)
	s_barrier
	ds_read2_b64 v[34:37], v1 offset0:6 offset1:7
	s_mov_b32 s2, 4
	s_cmp_lt_i32 s22, 5
	v_mov_b32_e32 v42, 3
	s_cbranch_scc1 .LBB14_65
; %bb.63:
	v_add3_u32 v43, v48, 0, 64
	v_mov_b32_e32 v42, 3
.LBB14_64:                              ; =>This Inner Loop Header: Depth=1
	s_waitcnt lgkmcnt(0)
	v_cmp_gt_f64_e32 vcc, 0, v[36:37]
	v_cmp_gt_f64_e64 s[0:1], 0, v[34:35]
	ds_read2_b64 v[48:51], v43 offset1:1
	v_xor_b32_e32 v53, 0x80000000, v35
	v_xor_b32_e32 v55, 0x80000000, v37
	v_mov_b32_e32 v52, v34
	v_mov_b32_e32 v54, v36
	s_waitcnt lgkmcnt(0)
	v_xor_b32_e32 v57, 0x80000000, v51
	v_cndmask_b32_e32 v55, v37, v55, vcc
	v_cndmask_b32_e64 v53, v35, v53, s[0:1]
	v_cmp_gt_f64_e32 vcc, 0, v[50:51]
	v_cmp_gt_f64_e64 s[0:1], 0, v[48:49]
	v_add_f64 v[52:53], v[52:53], v[54:55]
	v_xor_b32_e32 v55, 0x80000000, v49
	v_mov_b32_e32 v54, v48
	v_mov_b32_e32 v56, v50
	v_add_u32_e32 v43, 16, v43
	v_cndmask_b32_e32 v57, v51, v57, vcc
	v_cndmask_b32_e64 v55, v49, v55, s[0:1]
	v_add_f64 v[54:55], v[54:55], v[56:57]
	v_mov_b32_e32 v56, s2
	s_add_i32 s2, s2, 1
	s_cmp_lg_u32 s22, s2
	v_cmp_lt_f64_e32 vcc, v[52:53], v[54:55]
	v_cndmask_b32_e32 v35, v35, v49, vcc
	v_cndmask_b32_e32 v34, v34, v48, vcc
	;; [unrolled: 1-line block ×5, first 2 shown]
	s_cbranch_scc1 .LBB14_64
.LBB14_65:
	s_waitcnt lgkmcnt(0)
	v_cmp_eq_f64_e32 vcc, 0, v[34:35]
	v_cmp_eq_f64_e64 s[0:1], 0, v[36:37]
	s_and_b64 s[0:1], vcc, s[0:1]
	s_and_saveexec_b64 s[2:3], s[0:1]
	s_xor_b64 s[0:1], exec, s[2:3]
; %bb.66:
	v_cmp_ne_u32_e32 vcc, 0, v47
	v_cndmask_b32_e32 v47, 4, v47, vcc
; %bb.67:
	s_andn2_saveexec_b64 s[0:1], s[0:1]
	s_cbranch_execz .LBB14_73
; %bb.68:
	v_cmp_ngt_f64_e64 s[2:3], |v[34:35]|, |v[36:37]|
	s_and_saveexec_b64 s[4:5], s[2:3]
	s_xor_b64 s[2:3], exec, s[4:5]
	s_cbranch_execz .LBB14_70
; %bb.69:
	v_div_scale_f64 v[48:49], s[4:5], v[36:37], v[36:37], v[34:35]
	v_rcp_f64_e32 v[50:51], v[48:49]
	v_fma_f64 v[52:53], -v[48:49], v[50:51], 1.0
	v_fma_f64 v[50:51], v[50:51], v[52:53], v[50:51]
	v_div_scale_f64 v[52:53], vcc, v[34:35], v[36:37], v[34:35]
	v_fma_f64 v[54:55], -v[48:49], v[50:51], 1.0
	v_fma_f64 v[50:51], v[50:51], v[54:55], v[50:51]
	v_mul_f64 v[54:55], v[52:53], v[50:51]
	v_fma_f64 v[48:49], -v[48:49], v[54:55], v[52:53]
	v_div_fmas_f64 v[48:49], v[48:49], v[50:51], v[54:55]
	v_div_fixup_f64 v[48:49], v[48:49], v[36:37], v[34:35]
	v_fma_f64 v[34:35], v[34:35], v[48:49], v[36:37]
	v_div_scale_f64 v[36:37], s[4:5], v[34:35], v[34:35], 1.0
	v_div_scale_f64 v[54:55], vcc, 1.0, v[34:35], 1.0
	v_rcp_f64_e32 v[50:51], v[36:37]
	v_fma_f64 v[52:53], -v[36:37], v[50:51], 1.0
	v_fma_f64 v[50:51], v[50:51], v[52:53], v[50:51]
	v_fma_f64 v[52:53], -v[36:37], v[50:51], 1.0
	v_fma_f64 v[50:51], v[50:51], v[52:53], v[50:51]
	v_mul_f64 v[52:53], v[54:55], v[50:51]
	v_fma_f64 v[36:37], -v[36:37], v[52:53], v[54:55]
	v_div_fmas_f64 v[36:37], v[36:37], v[50:51], v[52:53]
	v_div_fixup_f64 v[36:37], v[36:37], v[34:35], 1.0
	v_mul_f64 v[34:35], v[48:49], v[36:37]
	v_xor_b32_e32 v37, 0x80000000, v37
.LBB14_70:
	s_andn2_saveexec_b64 s[2:3], s[2:3]
	s_cbranch_execz .LBB14_72
; %bb.71:
	v_div_scale_f64 v[48:49], s[4:5], v[34:35], v[34:35], v[36:37]
	v_rcp_f64_e32 v[50:51], v[48:49]
	v_fma_f64 v[52:53], -v[48:49], v[50:51], 1.0
	v_fma_f64 v[50:51], v[50:51], v[52:53], v[50:51]
	v_div_scale_f64 v[52:53], vcc, v[36:37], v[34:35], v[36:37]
	v_fma_f64 v[54:55], -v[48:49], v[50:51], 1.0
	v_fma_f64 v[50:51], v[50:51], v[54:55], v[50:51]
	v_mul_f64 v[54:55], v[52:53], v[50:51]
	v_fma_f64 v[48:49], -v[48:49], v[54:55], v[52:53]
	v_div_fmas_f64 v[48:49], v[48:49], v[50:51], v[54:55]
	v_div_fixup_f64 v[48:49], v[48:49], v[34:35], v[36:37]
	v_fma_f64 v[34:35], v[36:37], v[48:49], v[34:35]
	v_div_scale_f64 v[36:37], s[4:5], v[34:35], v[34:35], 1.0
	v_div_scale_f64 v[54:55], vcc, 1.0, v[34:35], 1.0
	v_rcp_f64_e32 v[50:51], v[36:37]
	v_fma_f64 v[52:53], -v[36:37], v[50:51], 1.0
	v_fma_f64 v[50:51], v[50:51], v[52:53], v[50:51]
	v_fma_f64 v[52:53], -v[36:37], v[50:51], 1.0
	v_fma_f64 v[50:51], v[50:51], v[52:53], v[50:51]
	v_mul_f64 v[52:53], v[54:55], v[50:51]
	v_fma_f64 v[36:37], -v[36:37], v[52:53], v[54:55]
	v_div_fmas_f64 v[36:37], v[36:37], v[50:51], v[52:53]
	v_div_fixup_f64 v[34:35], v[36:37], v[34:35], 1.0
	v_mul_f64 v[36:37], v[48:49], -v[34:35]
.LBB14_72:
	s_or_b64 exec, exec, s[2:3]
.LBB14_73:
	s_or_b64 exec, exec, s[0:1]
	v_cmp_ne_u32_e32 vcc, v44, v42
	s_and_saveexec_b64 s[0:1], vcc
	s_xor_b64 s[0:1], exec, s[0:1]
	s_cbranch_execz .LBB14_79
; %bb.74:
	v_cmp_eq_u32_e32 vcc, 3, v44
	s_and_saveexec_b64 s[2:3], vcc
	s_cbranch_execz .LBB14_78
; %bb.75:
	v_cmp_ne_u32_e32 vcc, 3, v42
	s_xor_b64 s[4:5], s[18:19], -1
	s_and_b64 s[24:25], s[4:5], vcc
	s_and_saveexec_b64 s[4:5], s[24:25]
	s_cbranch_execz .LBB14_77
; %bb.76:
	v_ashrrev_i32_e32 v43, 31, v42
	v_lshlrev_b64 v[43:44], 2, v[42:43]
	v_add_co_u32_e32 v43, vcc, v40, v43
	v_addc_co_u32_e32 v44, vcc, v41, v44, vcc
	global_load_dword v0, v[43:44], off
	global_load_dword v48, v[40:41], off offset:12
	s_waitcnt vmcnt(1)
	global_store_dword v[40:41], v0, off offset:12
	s_waitcnt vmcnt(1)
	global_store_dword v[43:44], v48, off
.LBB14_77:
	s_or_b64 exec, exec, s[4:5]
	v_mov_b32_e32 v44, v42
	v_mov_b32_e32 v0, v42
.LBB14_78:
	s_or_b64 exec, exec, s[2:3]
.LBB14_79:
	s_andn2_saveexec_b64 s[0:1], s[0:1]
	s_cbranch_execz .LBB14_81
; %bb.80:
	v_mov_b32_e32 v44, 3
	ds_write2_b64 v1, v[10:11], v[12:13] offset0:8 offset1:9
	ds_write2_b64 v1, v[6:7], v[8:9] offset0:10 offset1:11
	;; [unrolled: 1-line block ×4, first 2 shown]
.LBB14_81:
	s_or_b64 exec, exec, s[0:1]
	v_cmp_lt_i32_e32 vcc, 3, v44
	s_waitcnt vmcnt(0) lgkmcnt(0)
	s_barrier
	s_and_saveexec_b64 s[0:1], vcc
	s_cbranch_execz .LBB14_83
; %bb.82:
	v_mul_f64 v[42:43], v[34:35], v[16:17]
	v_mul_f64 v[16:17], v[36:37], v[16:17]
	v_fma_f64 v[42:43], v[36:37], v[14:15], v[42:43]
	v_fma_f64 v[14:15], v[34:35], v[14:15], -v[16:17]
	ds_read2_b64 v[34:37], v1 offset0:8 offset1:9
	s_waitcnt lgkmcnt(0)
	v_mul_f64 v[16:17], v[36:37], v[42:43]
	v_fma_f64 v[16:17], v[34:35], v[14:15], -v[16:17]
	v_mul_f64 v[34:35], v[34:35], v[42:43]
	v_add_f64 v[10:11], v[10:11], -v[16:17]
	v_fma_f64 v[34:35], v[36:37], v[14:15], v[34:35]
	v_add_f64 v[12:13], v[12:13], -v[34:35]
	ds_read2_b64 v[34:37], v1 offset0:10 offset1:11
	s_waitcnt lgkmcnt(0)
	v_mul_f64 v[16:17], v[36:37], v[42:43]
	v_fma_f64 v[16:17], v[34:35], v[14:15], -v[16:17]
	v_mul_f64 v[34:35], v[34:35], v[42:43]
	v_add_f64 v[6:7], v[6:7], -v[16:17]
	v_fma_f64 v[34:35], v[36:37], v[14:15], v[34:35]
	v_add_f64 v[8:9], v[8:9], -v[34:35]
	;; [unrolled: 8-line block ×3, first 2 shown]
	ds_read2_b64 v[34:37], v1 offset0:14 offset1:15
	s_waitcnt lgkmcnt(0)
	v_mul_f64 v[16:17], v[36:37], v[42:43]
	v_fma_f64 v[16:17], v[34:35], v[14:15], -v[16:17]
	v_mul_f64 v[34:35], v[34:35], v[42:43]
	v_add_f64 v[30:31], v[30:31], -v[16:17]
	v_fma_f64 v[34:35], v[36:37], v[14:15], v[34:35]
	v_mov_b32_e32 v16, v42
	v_mov_b32_e32 v17, v43
	v_add_f64 v[32:33], v[32:33], -v[34:35]
.LBB14_83:
	s_or_b64 exec, exec, s[0:1]
	v_lshl_add_u32 v34, v44, 4, v1
	s_barrier
	ds_write2_b64 v34, v[10:11], v[12:13] offset1:1
	s_waitcnt lgkmcnt(0)
	s_barrier
	ds_read2_b64 v[34:37], v1 offset0:8 offset1:9
	s_cmp_lt_i32 s22, 6
	v_mov_b32_e32 v42, 4
	s_cbranch_scc1 .LBB14_86
; %bb.84:
	v_mov_b32_e32 v42, 4
	v_add_u32_e32 v43, 0x50, v1
	s_mov_b32 s2, 5
.LBB14_85:                              ; =>This Inner Loop Header: Depth=1
	s_waitcnt lgkmcnt(0)
	v_cmp_gt_f64_e32 vcc, 0, v[36:37]
	v_cmp_gt_f64_e64 s[0:1], 0, v[34:35]
	ds_read2_b64 v[48:51], v43 offset1:1
	v_xor_b32_e32 v53, 0x80000000, v35
	v_xor_b32_e32 v55, 0x80000000, v37
	v_mov_b32_e32 v52, v34
	v_mov_b32_e32 v54, v36
	s_waitcnt lgkmcnt(0)
	v_xor_b32_e32 v57, 0x80000000, v51
	v_cndmask_b32_e32 v55, v37, v55, vcc
	v_cndmask_b32_e64 v53, v35, v53, s[0:1]
	v_cmp_gt_f64_e32 vcc, 0, v[50:51]
	v_cmp_gt_f64_e64 s[0:1], 0, v[48:49]
	v_add_f64 v[52:53], v[52:53], v[54:55]
	v_xor_b32_e32 v55, 0x80000000, v49
	v_mov_b32_e32 v54, v48
	v_mov_b32_e32 v56, v50
	v_add_u32_e32 v43, 16, v43
	v_cndmask_b32_e32 v57, v51, v57, vcc
	v_cndmask_b32_e64 v55, v49, v55, s[0:1]
	v_add_f64 v[54:55], v[54:55], v[56:57]
	v_mov_b32_e32 v56, s2
	s_add_i32 s2, s2, 1
	s_cmp_lg_u32 s22, s2
	v_cmp_lt_f64_e32 vcc, v[52:53], v[54:55]
	v_cndmask_b32_e32 v35, v35, v49, vcc
	v_cndmask_b32_e32 v34, v34, v48, vcc
	;; [unrolled: 1-line block ×5, first 2 shown]
	s_cbranch_scc1 .LBB14_85
.LBB14_86:
	s_waitcnt lgkmcnt(0)
	v_cmp_eq_f64_e32 vcc, 0, v[34:35]
	v_cmp_eq_f64_e64 s[0:1], 0, v[36:37]
	s_and_b64 s[0:1], vcc, s[0:1]
	s_and_saveexec_b64 s[2:3], s[0:1]
	s_xor_b64 s[0:1], exec, s[2:3]
; %bb.87:
	v_cmp_ne_u32_e32 vcc, 0, v47
	v_cndmask_b32_e32 v47, 5, v47, vcc
; %bb.88:
	s_andn2_saveexec_b64 s[0:1], s[0:1]
	s_cbranch_execz .LBB14_94
; %bb.89:
	v_cmp_ngt_f64_e64 s[2:3], |v[34:35]|, |v[36:37]|
	s_and_saveexec_b64 s[4:5], s[2:3]
	s_xor_b64 s[2:3], exec, s[4:5]
	s_cbranch_execz .LBB14_91
; %bb.90:
	v_div_scale_f64 v[48:49], s[4:5], v[36:37], v[36:37], v[34:35]
	v_rcp_f64_e32 v[50:51], v[48:49]
	v_fma_f64 v[52:53], -v[48:49], v[50:51], 1.0
	v_fma_f64 v[50:51], v[50:51], v[52:53], v[50:51]
	v_div_scale_f64 v[52:53], vcc, v[34:35], v[36:37], v[34:35]
	v_fma_f64 v[54:55], -v[48:49], v[50:51], 1.0
	v_fma_f64 v[50:51], v[50:51], v[54:55], v[50:51]
	v_mul_f64 v[54:55], v[52:53], v[50:51]
	v_fma_f64 v[48:49], -v[48:49], v[54:55], v[52:53]
	v_div_fmas_f64 v[48:49], v[48:49], v[50:51], v[54:55]
	v_div_fixup_f64 v[48:49], v[48:49], v[36:37], v[34:35]
	v_fma_f64 v[34:35], v[34:35], v[48:49], v[36:37]
	v_div_scale_f64 v[36:37], s[4:5], v[34:35], v[34:35], 1.0
	v_div_scale_f64 v[54:55], vcc, 1.0, v[34:35], 1.0
	v_rcp_f64_e32 v[50:51], v[36:37]
	v_fma_f64 v[52:53], -v[36:37], v[50:51], 1.0
	v_fma_f64 v[50:51], v[50:51], v[52:53], v[50:51]
	v_fma_f64 v[52:53], -v[36:37], v[50:51], 1.0
	v_fma_f64 v[50:51], v[50:51], v[52:53], v[50:51]
	v_mul_f64 v[52:53], v[54:55], v[50:51]
	v_fma_f64 v[36:37], -v[36:37], v[52:53], v[54:55]
	v_div_fmas_f64 v[36:37], v[36:37], v[50:51], v[52:53]
	v_div_fixup_f64 v[36:37], v[36:37], v[34:35], 1.0
	v_mul_f64 v[34:35], v[48:49], v[36:37]
	v_xor_b32_e32 v37, 0x80000000, v37
.LBB14_91:
	s_andn2_saveexec_b64 s[2:3], s[2:3]
	s_cbranch_execz .LBB14_93
; %bb.92:
	v_div_scale_f64 v[48:49], s[4:5], v[34:35], v[34:35], v[36:37]
	v_rcp_f64_e32 v[50:51], v[48:49]
	v_fma_f64 v[52:53], -v[48:49], v[50:51], 1.0
	v_fma_f64 v[50:51], v[50:51], v[52:53], v[50:51]
	v_div_scale_f64 v[52:53], vcc, v[36:37], v[34:35], v[36:37]
	v_fma_f64 v[54:55], -v[48:49], v[50:51], 1.0
	v_fma_f64 v[50:51], v[50:51], v[54:55], v[50:51]
	v_mul_f64 v[54:55], v[52:53], v[50:51]
	v_fma_f64 v[48:49], -v[48:49], v[54:55], v[52:53]
	v_div_fmas_f64 v[48:49], v[48:49], v[50:51], v[54:55]
	v_div_fixup_f64 v[48:49], v[48:49], v[34:35], v[36:37]
	v_fma_f64 v[34:35], v[36:37], v[48:49], v[34:35]
	v_div_scale_f64 v[36:37], s[4:5], v[34:35], v[34:35], 1.0
	v_div_scale_f64 v[54:55], vcc, 1.0, v[34:35], 1.0
	v_rcp_f64_e32 v[50:51], v[36:37]
	v_fma_f64 v[52:53], -v[36:37], v[50:51], 1.0
	v_fma_f64 v[50:51], v[50:51], v[52:53], v[50:51]
	v_fma_f64 v[52:53], -v[36:37], v[50:51], 1.0
	v_fma_f64 v[50:51], v[50:51], v[52:53], v[50:51]
	v_mul_f64 v[52:53], v[54:55], v[50:51]
	v_fma_f64 v[36:37], -v[36:37], v[52:53], v[54:55]
	v_div_fmas_f64 v[36:37], v[36:37], v[50:51], v[52:53]
	v_div_fixup_f64 v[34:35], v[36:37], v[34:35], 1.0
	v_mul_f64 v[36:37], v[48:49], -v[34:35]
.LBB14_93:
	s_or_b64 exec, exec, s[2:3]
.LBB14_94:
	s_or_b64 exec, exec, s[0:1]
	v_cmp_ne_u32_e32 vcc, v44, v42
	s_and_saveexec_b64 s[0:1], vcc
	s_xor_b64 s[0:1], exec, s[0:1]
	s_cbranch_execz .LBB14_100
; %bb.95:
	v_cmp_eq_u32_e32 vcc, 4, v44
	s_and_saveexec_b64 s[2:3], vcc
	s_cbranch_execz .LBB14_99
; %bb.96:
	v_cmp_ne_u32_e32 vcc, 4, v42
	s_xor_b64 s[4:5], s[18:19], -1
	s_and_b64 s[24:25], s[4:5], vcc
	s_and_saveexec_b64 s[4:5], s[24:25]
	s_cbranch_execz .LBB14_98
; %bb.97:
	v_ashrrev_i32_e32 v43, 31, v42
	v_lshlrev_b64 v[43:44], 2, v[42:43]
	v_add_co_u32_e32 v43, vcc, v40, v43
	v_addc_co_u32_e32 v44, vcc, v41, v44, vcc
	global_load_dword v0, v[43:44], off
	global_load_dword v48, v[40:41], off offset:16
	s_waitcnt vmcnt(1)
	global_store_dword v[40:41], v0, off offset:16
	s_waitcnt vmcnt(1)
	global_store_dword v[43:44], v48, off
.LBB14_98:
	s_or_b64 exec, exec, s[4:5]
	v_mov_b32_e32 v44, v42
	v_mov_b32_e32 v0, v42
.LBB14_99:
	s_or_b64 exec, exec, s[2:3]
.LBB14_100:
	s_andn2_saveexec_b64 s[0:1], s[0:1]
	s_cbranch_execz .LBB14_102
; %bb.101:
	v_mov_b32_e32 v44, 4
	ds_write2_b64 v1, v[6:7], v[8:9] offset0:10 offset1:11
	ds_write2_b64 v1, v[2:3], v[4:5] offset0:12 offset1:13
	;; [unrolled: 1-line block ×3, first 2 shown]
.LBB14_102:
	s_or_b64 exec, exec, s[0:1]
	v_cmp_lt_i32_e32 vcc, 4, v44
	s_waitcnt vmcnt(0) lgkmcnt(0)
	s_barrier
	s_and_saveexec_b64 s[0:1], vcc
	s_cbranch_execz .LBB14_104
; %bb.103:
	v_mul_f64 v[42:43], v[34:35], v[12:13]
	v_mul_f64 v[12:13], v[36:37], v[12:13]
	v_fma_f64 v[42:43], v[36:37], v[10:11], v[42:43]
	v_fma_f64 v[10:11], v[34:35], v[10:11], -v[12:13]
	ds_read2_b64 v[34:37], v1 offset0:10 offset1:11
	s_waitcnt lgkmcnt(0)
	v_mul_f64 v[12:13], v[36:37], v[42:43]
	v_fma_f64 v[12:13], v[34:35], v[10:11], -v[12:13]
	v_mul_f64 v[34:35], v[34:35], v[42:43]
	v_add_f64 v[6:7], v[6:7], -v[12:13]
	v_fma_f64 v[34:35], v[36:37], v[10:11], v[34:35]
	v_add_f64 v[8:9], v[8:9], -v[34:35]
	ds_read2_b64 v[34:37], v1 offset0:12 offset1:13
	s_waitcnt lgkmcnt(0)
	v_mul_f64 v[12:13], v[36:37], v[42:43]
	v_fma_f64 v[12:13], v[34:35], v[10:11], -v[12:13]
	v_mul_f64 v[34:35], v[34:35], v[42:43]
	v_add_f64 v[2:3], v[2:3], -v[12:13]
	v_fma_f64 v[34:35], v[36:37], v[10:11], v[34:35]
	v_add_f64 v[4:5], v[4:5], -v[34:35]
	ds_read2_b64 v[34:37], v1 offset0:14 offset1:15
	s_waitcnt lgkmcnt(0)
	v_mul_f64 v[12:13], v[36:37], v[42:43]
	v_fma_f64 v[12:13], v[34:35], v[10:11], -v[12:13]
	v_mul_f64 v[34:35], v[34:35], v[42:43]
	v_add_f64 v[30:31], v[30:31], -v[12:13]
	v_fma_f64 v[34:35], v[36:37], v[10:11], v[34:35]
	v_mov_b32_e32 v12, v42
	v_mov_b32_e32 v13, v43
	v_add_f64 v[32:33], v[32:33], -v[34:35]
.LBB14_104:
	s_or_b64 exec, exec, s[0:1]
	v_lshl_add_u32 v34, v44, 4, v1
	s_barrier
	ds_write2_b64 v34, v[6:7], v[8:9] offset1:1
	s_waitcnt lgkmcnt(0)
	s_barrier
	ds_read2_b64 v[34:37], v1 offset0:10 offset1:11
	s_cmp_lt_i32 s22, 7
	v_mov_b32_e32 v42, 5
	s_cbranch_scc1 .LBB14_107
; %bb.105:
	v_add_u32_e32 v43, 0x60, v1
	s_mov_b32 s2, 6
	v_mov_b32_e32 v42, 5
.LBB14_106:                             ; =>This Inner Loop Header: Depth=1
	s_waitcnt lgkmcnt(0)
	v_cmp_gt_f64_e32 vcc, 0, v[36:37]
	v_cmp_gt_f64_e64 s[0:1], 0, v[34:35]
	ds_read2_b64 v[48:51], v43 offset1:1
	v_xor_b32_e32 v53, 0x80000000, v35
	v_xor_b32_e32 v55, 0x80000000, v37
	v_mov_b32_e32 v52, v34
	v_mov_b32_e32 v54, v36
	s_waitcnt lgkmcnt(0)
	v_xor_b32_e32 v57, 0x80000000, v51
	v_cndmask_b32_e32 v55, v37, v55, vcc
	v_cndmask_b32_e64 v53, v35, v53, s[0:1]
	v_cmp_gt_f64_e32 vcc, 0, v[50:51]
	v_cmp_gt_f64_e64 s[0:1], 0, v[48:49]
	v_add_f64 v[52:53], v[52:53], v[54:55]
	v_xor_b32_e32 v55, 0x80000000, v49
	v_mov_b32_e32 v54, v48
	v_mov_b32_e32 v56, v50
	v_add_u32_e32 v43, 16, v43
	v_cndmask_b32_e32 v57, v51, v57, vcc
	v_cndmask_b32_e64 v55, v49, v55, s[0:1]
	v_add_f64 v[54:55], v[54:55], v[56:57]
	v_mov_b32_e32 v56, s2
	s_add_i32 s2, s2, 1
	s_cmp_lg_u32 s22, s2
	v_cmp_lt_f64_e32 vcc, v[52:53], v[54:55]
	v_cndmask_b32_e32 v35, v35, v49, vcc
	v_cndmask_b32_e32 v34, v34, v48, vcc
	;; [unrolled: 1-line block ×5, first 2 shown]
	s_cbranch_scc1 .LBB14_106
.LBB14_107:
	s_waitcnt lgkmcnt(0)
	v_cmp_eq_f64_e32 vcc, 0, v[34:35]
	v_cmp_eq_f64_e64 s[0:1], 0, v[36:37]
	s_and_b64 s[0:1], vcc, s[0:1]
	s_and_saveexec_b64 s[2:3], s[0:1]
	s_xor_b64 s[0:1], exec, s[2:3]
; %bb.108:
	v_cmp_ne_u32_e32 vcc, 0, v47
	v_cndmask_b32_e32 v47, 6, v47, vcc
; %bb.109:
	s_andn2_saveexec_b64 s[0:1], s[0:1]
	s_cbranch_execz .LBB14_115
; %bb.110:
	v_cmp_ngt_f64_e64 s[2:3], |v[34:35]|, |v[36:37]|
	s_and_saveexec_b64 s[4:5], s[2:3]
	s_xor_b64 s[2:3], exec, s[4:5]
	s_cbranch_execz .LBB14_112
; %bb.111:
	v_div_scale_f64 v[48:49], s[4:5], v[36:37], v[36:37], v[34:35]
	v_rcp_f64_e32 v[50:51], v[48:49]
	v_fma_f64 v[52:53], -v[48:49], v[50:51], 1.0
	v_fma_f64 v[50:51], v[50:51], v[52:53], v[50:51]
	v_div_scale_f64 v[52:53], vcc, v[34:35], v[36:37], v[34:35]
	v_fma_f64 v[54:55], -v[48:49], v[50:51], 1.0
	v_fma_f64 v[50:51], v[50:51], v[54:55], v[50:51]
	v_mul_f64 v[54:55], v[52:53], v[50:51]
	v_fma_f64 v[48:49], -v[48:49], v[54:55], v[52:53]
	v_div_fmas_f64 v[48:49], v[48:49], v[50:51], v[54:55]
	v_div_fixup_f64 v[48:49], v[48:49], v[36:37], v[34:35]
	v_fma_f64 v[34:35], v[34:35], v[48:49], v[36:37]
	v_div_scale_f64 v[36:37], s[4:5], v[34:35], v[34:35], 1.0
	v_div_scale_f64 v[54:55], vcc, 1.0, v[34:35], 1.0
	v_rcp_f64_e32 v[50:51], v[36:37]
	v_fma_f64 v[52:53], -v[36:37], v[50:51], 1.0
	v_fma_f64 v[50:51], v[50:51], v[52:53], v[50:51]
	v_fma_f64 v[52:53], -v[36:37], v[50:51], 1.0
	v_fma_f64 v[50:51], v[50:51], v[52:53], v[50:51]
	v_mul_f64 v[52:53], v[54:55], v[50:51]
	v_fma_f64 v[36:37], -v[36:37], v[52:53], v[54:55]
	v_div_fmas_f64 v[36:37], v[36:37], v[50:51], v[52:53]
	v_div_fixup_f64 v[36:37], v[36:37], v[34:35], 1.0
	v_mul_f64 v[34:35], v[48:49], v[36:37]
	v_xor_b32_e32 v37, 0x80000000, v37
.LBB14_112:
	s_andn2_saveexec_b64 s[2:3], s[2:3]
	s_cbranch_execz .LBB14_114
; %bb.113:
	v_div_scale_f64 v[48:49], s[4:5], v[34:35], v[34:35], v[36:37]
	v_rcp_f64_e32 v[50:51], v[48:49]
	v_fma_f64 v[52:53], -v[48:49], v[50:51], 1.0
	v_fma_f64 v[50:51], v[50:51], v[52:53], v[50:51]
	v_div_scale_f64 v[52:53], vcc, v[36:37], v[34:35], v[36:37]
	v_fma_f64 v[54:55], -v[48:49], v[50:51], 1.0
	v_fma_f64 v[50:51], v[50:51], v[54:55], v[50:51]
	v_mul_f64 v[54:55], v[52:53], v[50:51]
	v_fma_f64 v[48:49], -v[48:49], v[54:55], v[52:53]
	v_div_fmas_f64 v[48:49], v[48:49], v[50:51], v[54:55]
	v_div_fixup_f64 v[48:49], v[48:49], v[34:35], v[36:37]
	v_fma_f64 v[34:35], v[36:37], v[48:49], v[34:35]
	v_div_scale_f64 v[36:37], s[4:5], v[34:35], v[34:35], 1.0
	v_div_scale_f64 v[54:55], vcc, 1.0, v[34:35], 1.0
	v_rcp_f64_e32 v[50:51], v[36:37]
	v_fma_f64 v[52:53], -v[36:37], v[50:51], 1.0
	v_fma_f64 v[50:51], v[50:51], v[52:53], v[50:51]
	v_fma_f64 v[52:53], -v[36:37], v[50:51], 1.0
	v_fma_f64 v[50:51], v[50:51], v[52:53], v[50:51]
	v_mul_f64 v[52:53], v[54:55], v[50:51]
	v_fma_f64 v[36:37], -v[36:37], v[52:53], v[54:55]
	v_div_fmas_f64 v[36:37], v[36:37], v[50:51], v[52:53]
	v_div_fixup_f64 v[34:35], v[36:37], v[34:35], 1.0
	v_mul_f64 v[36:37], v[48:49], -v[34:35]
.LBB14_114:
	s_or_b64 exec, exec, s[2:3]
.LBB14_115:
	s_or_b64 exec, exec, s[0:1]
	v_cmp_ne_u32_e32 vcc, v44, v42
	s_and_saveexec_b64 s[0:1], vcc
	s_xor_b64 s[0:1], exec, s[0:1]
	s_cbranch_execz .LBB14_121
; %bb.116:
	v_cmp_eq_u32_e32 vcc, 5, v44
	s_and_saveexec_b64 s[2:3], vcc
	s_cbranch_execz .LBB14_120
; %bb.117:
	v_cmp_ne_u32_e32 vcc, 5, v42
	s_xor_b64 s[4:5], s[18:19], -1
	s_and_b64 s[24:25], s[4:5], vcc
	s_and_saveexec_b64 s[4:5], s[24:25]
	s_cbranch_execz .LBB14_119
; %bb.118:
	v_ashrrev_i32_e32 v43, 31, v42
	v_lshlrev_b64 v[43:44], 2, v[42:43]
	v_add_co_u32_e32 v43, vcc, v40, v43
	v_addc_co_u32_e32 v44, vcc, v41, v44, vcc
	global_load_dword v0, v[43:44], off
	global_load_dword v48, v[40:41], off offset:20
	s_waitcnt vmcnt(1)
	global_store_dword v[40:41], v0, off offset:20
	s_waitcnt vmcnt(1)
	global_store_dword v[43:44], v48, off
.LBB14_119:
	s_or_b64 exec, exec, s[4:5]
	v_mov_b32_e32 v44, v42
	v_mov_b32_e32 v0, v42
.LBB14_120:
	s_or_b64 exec, exec, s[2:3]
.LBB14_121:
	s_andn2_saveexec_b64 s[0:1], s[0:1]
	s_cbranch_execz .LBB14_123
; %bb.122:
	v_mov_b32_e32 v44, 5
	ds_write2_b64 v1, v[2:3], v[4:5] offset0:12 offset1:13
	ds_write2_b64 v1, v[30:31], v[32:33] offset0:14 offset1:15
.LBB14_123:
	s_or_b64 exec, exec, s[0:1]
	v_cmp_lt_i32_e32 vcc, 5, v44
	s_waitcnt vmcnt(0) lgkmcnt(0)
	s_barrier
	s_and_saveexec_b64 s[0:1], vcc
	s_cbranch_execz .LBB14_125
; %bb.124:
	v_mul_f64 v[42:43], v[34:35], v[8:9]
	v_mul_f64 v[8:9], v[36:37], v[8:9]
	ds_read2_b64 v[48:51], v1 offset0:12 offset1:13
	ds_read2_b64 v[52:55], v1 offset0:14 offset1:15
	v_fma_f64 v[36:37], v[36:37], v[6:7], v[42:43]
	v_fma_f64 v[6:7], v[34:35], v[6:7], -v[8:9]
	s_waitcnt lgkmcnt(1)
	v_mul_f64 v[8:9], v[50:51], v[36:37]
	v_mul_f64 v[34:35], v[48:49], v[36:37]
	s_waitcnt lgkmcnt(0)
	v_mul_f64 v[42:43], v[54:55], v[36:37]
	v_mul_f64 v[56:57], v[52:53], v[36:37]
	v_fma_f64 v[8:9], v[48:49], v[6:7], -v[8:9]
	v_fma_f64 v[34:35], v[50:51], v[6:7], v[34:35]
	v_fma_f64 v[42:43], v[52:53], v[6:7], -v[42:43]
	v_fma_f64 v[48:49], v[54:55], v[6:7], v[56:57]
	v_add_f64 v[2:3], v[2:3], -v[8:9]
	v_add_f64 v[4:5], v[4:5], -v[34:35]
	;; [unrolled: 1-line block ×4, first 2 shown]
	v_mov_b32_e32 v8, v36
	v_mov_b32_e32 v9, v37
.LBB14_125:
	s_or_b64 exec, exec, s[0:1]
	v_lshl_add_u32 v34, v44, 4, v1
	s_barrier
	ds_write2_b64 v34, v[2:3], v[4:5] offset1:1
	s_waitcnt lgkmcnt(0)
	s_barrier
	ds_read2_b64 v[34:37], v1 offset0:12 offset1:13
	s_cmp_lt_i32 s22, 8
	v_mov_b32_e32 v42, 6
	s_cbranch_scc1 .LBB14_128
; %bb.126:
	v_add_u32_e32 v43, 0x70, v1
	s_mov_b32 s2, 7
	v_mov_b32_e32 v42, 6
.LBB14_127:                             ; =>This Inner Loop Header: Depth=1
	s_waitcnt lgkmcnt(0)
	v_cmp_gt_f64_e32 vcc, 0, v[36:37]
	v_cmp_gt_f64_e64 s[0:1], 0, v[34:35]
	ds_read2_b64 v[48:51], v43 offset1:1
	v_xor_b32_e32 v53, 0x80000000, v35
	v_xor_b32_e32 v55, 0x80000000, v37
	v_mov_b32_e32 v52, v34
	v_mov_b32_e32 v54, v36
	s_waitcnt lgkmcnt(0)
	v_xor_b32_e32 v57, 0x80000000, v51
	v_cndmask_b32_e32 v55, v37, v55, vcc
	v_cndmask_b32_e64 v53, v35, v53, s[0:1]
	v_cmp_gt_f64_e32 vcc, 0, v[50:51]
	v_cmp_gt_f64_e64 s[0:1], 0, v[48:49]
	v_add_f64 v[52:53], v[52:53], v[54:55]
	v_xor_b32_e32 v55, 0x80000000, v49
	v_mov_b32_e32 v54, v48
	v_mov_b32_e32 v56, v50
	v_add_u32_e32 v43, 16, v43
	v_cndmask_b32_e32 v57, v51, v57, vcc
	v_cndmask_b32_e64 v55, v49, v55, s[0:1]
	v_add_f64 v[54:55], v[54:55], v[56:57]
	v_mov_b32_e32 v56, s2
	s_add_i32 s2, s2, 1
	s_cmp_lg_u32 s22, s2
	v_cmp_lt_f64_e32 vcc, v[52:53], v[54:55]
	v_cndmask_b32_e32 v35, v35, v49, vcc
	v_cndmask_b32_e32 v34, v34, v48, vcc
	;; [unrolled: 1-line block ×5, first 2 shown]
	s_cbranch_scc1 .LBB14_127
.LBB14_128:
	s_waitcnt lgkmcnt(0)
	v_cmp_eq_f64_e32 vcc, 0, v[34:35]
	v_cmp_eq_f64_e64 s[0:1], 0, v[36:37]
	s_and_b64 s[0:1], vcc, s[0:1]
	s_and_saveexec_b64 s[2:3], s[0:1]
	s_xor_b64 s[0:1], exec, s[2:3]
; %bb.129:
	v_cmp_ne_u32_e32 vcc, 0, v47
	v_cndmask_b32_e32 v47, 7, v47, vcc
; %bb.130:
	s_andn2_saveexec_b64 s[0:1], s[0:1]
	s_cbranch_execz .LBB14_136
; %bb.131:
	v_cmp_ngt_f64_e64 s[2:3], |v[34:35]|, |v[36:37]|
	s_and_saveexec_b64 s[4:5], s[2:3]
	s_xor_b64 s[2:3], exec, s[4:5]
	s_cbranch_execz .LBB14_133
; %bb.132:
	v_div_scale_f64 v[48:49], s[4:5], v[36:37], v[36:37], v[34:35]
	v_rcp_f64_e32 v[50:51], v[48:49]
	v_fma_f64 v[52:53], -v[48:49], v[50:51], 1.0
	v_fma_f64 v[50:51], v[50:51], v[52:53], v[50:51]
	v_div_scale_f64 v[52:53], vcc, v[34:35], v[36:37], v[34:35]
	v_fma_f64 v[54:55], -v[48:49], v[50:51], 1.0
	v_fma_f64 v[50:51], v[50:51], v[54:55], v[50:51]
	v_mul_f64 v[54:55], v[52:53], v[50:51]
	v_fma_f64 v[48:49], -v[48:49], v[54:55], v[52:53]
	v_div_fmas_f64 v[48:49], v[48:49], v[50:51], v[54:55]
	v_div_fixup_f64 v[48:49], v[48:49], v[36:37], v[34:35]
	v_fma_f64 v[34:35], v[34:35], v[48:49], v[36:37]
	v_div_scale_f64 v[36:37], s[4:5], v[34:35], v[34:35], 1.0
	v_div_scale_f64 v[54:55], vcc, 1.0, v[34:35], 1.0
	v_rcp_f64_e32 v[50:51], v[36:37]
	v_fma_f64 v[52:53], -v[36:37], v[50:51], 1.0
	v_fma_f64 v[50:51], v[50:51], v[52:53], v[50:51]
	v_fma_f64 v[52:53], -v[36:37], v[50:51], 1.0
	v_fma_f64 v[50:51], v[50:51], v[52:53], v[50:51]
	v_mul_f64 v[52:53], v[54:55], v[50:51]
	v_fma_f64 v[36:37], -v[36:37], v[52:53], v[54:55]
	v_div_fmas_f64 v[36:37], v[36:37], v[50:51], v[52:53]
	v_div_fixup_f64 v[36:37], v[36:37], v[34:35], 1.0
	v_mul_f64 v[34:35], v[48:49], v[36:37]
	v_xor_b32_e32 v37, 0x80000000, v37
.LBB14_133:
	s_andn2_saveexec_b64 s[2:3], s[2:3]
	s_cbranch_execz .LBB14_135
; %bb.134:
	v_div_scale_f64 v[48:49], s[4:5], v[34:35], v[34:35], v[36:37]
	v_rcp_f64_e32 v[50:51], v[48:49]
	v_fma_f64 v[52:53], -v[48:49], v[50:51], 1.0
	v_fma_f64 v[50:51], v[50:51], v[52:53], v[50:51]
	v_div_scale_f64 v[52:53], vcc, v[36:37], v[34:35], v[36:37]
	v_fma_f64 v[54:55], -v[48:49], v[50:51], 1.0
	v_fma_f64 v[50:51], v[50:51], v[54:55], v[50:51]
	v_mul_f64 v[54:55], v[52:53], v[50:51]
	v_fma_f64 v[48:49], -v[48:49], v[54:55], v[52:53]
	v_div_fmas_f64 v[48:49], v[48:49], v[50:51], v[54:55]
	v_div_fixup_f64 v[48:49], v[48:49], v[34:35], v[36:37]
	v_fma_f64 v[34:35], v[36:37], v[48:49], v[34:35]
	v_div_scale_f64 v[36:37], s[4:5], v[34:35], v[34:35], 1.0
	v_div_scale_f64 v[54:55], vcc, 1.0, v[34:35], 1.0
	v_rcp_f64_e32 v[50:51], v[36:37]
	v_fma_f64 v[52:53], -v[36:37], v[50:51], 1.0
	v_fma_f64 v[50:51], v[50:51], v[52:53], v[50:51]
	v_fma_f64 v[52:53], -v[36:37], v[50:51], 1.0
	v_fma_f64 v[50:51], v[50:51], v[52:53], v[50:51]
	v_mul_f64 v[52:53], v[54:55], v[50:51]
	v_fma_f64 v[36:37], -v[36:37], v[52:53], v[54:55]
	v_div_fmas_f64 v[36:37], v[36:37], v[50:51], v[52:53]
	v_div_fixup_f64 v[34:35], v[36:37], v[34:35], 1.0
	v_mul_f64 v[36:37], v[48:49], -v[34:35]
.LBB14_135:
	s_or_b64 exec, exec, s[2:3]
.LBB14_136:
	s_or_b64 exec, exec, s[0:1]
	v_cmp_ne_u32_e32 vcc, v44, v42
	s_and_saveexec_b64 s[0:1], vcc
	s_xor_b64 s[0:1], exec, s[0:1]
	s_cbranch_execz .LBB14_142
; %bb.137:
	v_cmp_eq_u32_e32 vcc, 6, v44
	s_and_saveexec_b64 s[2:3], vcc
	s_cbranch_execz .LBB14_141
; %bb.138:
	v_cmp_ne_u32_e32 vcc, 6, v42
	s_xor_b64 s[4:5], s[18:19], -1
	s_and_b64 s[24:25], s[4:5], vcc
	s_and_saveexec_b64 s[4:5], s[24:25]
	s_cbranch_execz .LBB14_140
; %bb.139:
	v_ashrrev_i32_e32 v43, 31, v42
	v_lshlrev_b64 v[43:44], 2, v[42:43]
	v_add_co_u32_e32 v43, vcc, v40, v43
	v_addc_co_u32_e32 v44, vcc, v41, v44, vcc
	global_load_dword v0, v[43:44], off
	global_load_dword v48, v[40:41], off offset:24
	s_waitcnt vmcnt(1)
	global_store_dword v[40:41], v0, off offset:24
	s_waitcnt vmcnt(1)
	global_store_dword v[43:44], v48, off
.LBB14_140:
	s_or_b64 exec, exec, s[4:5]
	v_mov_b32_e32 v44, v42
	v_mov_b32_e32 v0, v42
.LBB14_141:
	s_or_b64 exec, exec, s[2:3]
.LBB14_142:
	s_andn2_saveexec_b64 s[0:1], s[0:1]
; %bb.143:
	v_mov_b32_e32 v44, 6
	ds_write2_b64 v1, v[30:31], v[32:33] offset0:14 offset1:15
; %bb.144:
	s_or_b64 exec, exec, s[0:1]
	v_cmp_lt_i32_e32 vcc, 6, v44
	s_waitcnt vmcnt(0) lgkmcnt(0)
	s_barrier
	s_and_saveexec_b64 s[0:1], vcc
	s_cbranch_execz .LBB14_146
; %bb.145:
	v_mul_f64 v[42:43], v[34:35], v[4:5]
	v_mul_f64 v[4:5], v[36:37], v[4:5]
	ds_read2_b64 v[48:51], v1 offset0:14 offset1:15
	v_fma_f64 v[36:37], v[36:37], v[2:3], v[42:43]
	v_fma_f64 v[2:3], v[34:35], v[2:3], -v[4:5]
	s_waitcnt lgkmcnt(0)
	v_mul_f64 v[4:5], v[50:51], v[36:37]
	v_mul_f64 v[34:35], v[48:49], v[36:37]
	v_fma_f64 v[4:5], v[48:49], v[2:3], -v[4:5]
	v_fma_f64 v[34:35], v[50:51], v[2:3], v[34:35]
	v_add_f64 v[30:31], v[30:31], -v[4:5]
	v_add_f64 v[32:33], v[32:33], -v[34:35]
	v_mov_b32_e32 v4, v36
	v_mov_b32_e32 v5, v37
.LBB14_146:
	s_or_b64 exec, exec, s[0:1]
	v_lshl_add_u32 v34, v44, 4, v1
	s_barrier
	ds_write2_b64 v34, v[30:31], v[32:33] offset1:1
	s_waitcnt lgkmcnt(0)
	s_barrier
	ds_read2_b64 v[34:37], v1 offset0:14 offset1:15
	s_cmp_lt_i32 s22, 9
	v_mov_b32_e32 v42, 7
	s_cbranch_scc1 .LBB14_149
; %bb.147:
	v_add_u32_e32 v1, 0x80, v1
	s_mov_b32 s2, 8
	v_mov_b32_e32 v42, 7
.LBB14_148:                             ; =>This Inner Loop Header: Depth=1
	s_waitcnt lgkmcnt(0)
	v_cmp_gt_f64_e32 vcc, 0, v[36:37]
	v_cmp_gt_f64_e64 s[0:1], 0, v[34:35]
	ds_read2_b64 v[48:51], v1 offset1:1
	v_xor_b32_e32 v43, 0x80000000, v35
	v_xor_b32_e32 v55, 0x80000000, v37
	v_mov_b32_e32 v52, v34
	v_mov_b32_e32 v54, v36
	s_waitcnt lgkmcnt(0)
	v_xor_b32_e32 v57, 0x80000000, v51
	v_cndmask_b32_e32 v55, v37, v55, vcc
	v_cndmask_b32_e64 v53, v35, v43, s[0:1]
	v_cmp_gt_f64_e32 vcc, 0, v[50:51]
	v_cmp_gt_f64_e64 s[0:1], 0, v[48:49]
	v_xor_b32_e32 v43, 0x80000000, v49
	v_add_f64 v[52:53], v[52:53], v[54:55]
	v_mov_b32_e32 v54, v48
	v_mov_b32_e32 v56, v50
	v_add_u32_e32 v1, 16, v1
	v_cndmask_b32_e32 v57, v51, v57, vcc
	v_cndmask_b32_e64 v55, v49, v43, s[0:1]
	v_add_f64 v[54:55], v[54:55], v[56:57]
	v_mov_b32_e32 v43, s2
	s_add_i32 s2, s2, 1
	s_cmp_lg_u32 s22, s2
	v_cmp_lt_f64_e32 vcc, v[52:53], v[54:55]
	v_cndmask_b32_e32 v35, v35, v49, vcc
	v_cndmask_b32_e32 v34, v34, v48, vcc
	;; [unrolled: 1-line block ×5, first 2 shown]
	s_cbranch_scc1 .LBB14_148
.LBB14_149:
	s_waitcnt lgkmcnt(0)
	v_cmp_eq_f64_e32 vcc, 0, v[34:35]
	v_cmp_eq_f64_e64 s[0:1], 0, v[36:37]
	s_and_b64 s[0:1], vcc, s[0:1]
	s_and_saveexec_b64 s[2:3], s[0:1]
	s_xor_b64 s[0:1], exec, s[2:3]
; %bb.150:
	v_cmp_ne_u32_e32 vcc, 0, v47
	v_cndmask_b32_e32 v47, 8, v47, vcc
; %bb.151:
	s_andn2_saveexec_b64 s[0:1], s[0:1]
	s_cbranch_execz .LBB14_157
; %bb.152:
	v_cmp_ngt_f64_e64 s[2:3], |v[34:35]|, |v[36:37]|
	s_and_saveexec_b64 s[4:5], s[2:3]
	s_xor_b64 s[2:3], exec, s[4:5]
	s_cbranch_execz .LBB14_154
; %bb.153:
	v_div_scale_f64 v[48:49], s[4:5], v[36:37], v[36:37], v[34:35]
	v_rcp_f64_e32 v[50:51], v[48:49]
	v_fma_f64 v[52:53], -v[48:49], v[50:51], 1.0
	v_fma_f64 v[50:51], v[50:51], v[52:53], v[50:51]
	v_div_scale_f64 v[52:53], vcc, v[34:35], v[36:37], v[34:35]
	v_fma_f64 v[54:55], -v[48:49], v[50:51], 1.0
	v_fma_f64 v[50:51], v[50:51], v[54:55], v[50:51]
	v_mul_f64 v[54:55], v[52:53], v[50:51]
	v_fma_f64 v[48:49], -v[48:49], v[54:55], v[52:53]
	v_div_fmas_f64 v[48:49], v[48:49], v[50:51], v[54:55]
	v_div_fixup_f64 v[48:49], v[48:49], v[36:37], v[34:35]
	v_fma_f64 v[34:35], v[34:35], v[48:49], v[36:37]
	v_div_scale_f64 v[36:37], s[4:5], v[34:35], v[34:35], 1.0
	v_div_scale_f64 v[54:55], vcc, 1.0, v[34:35], 1.0
	v_rcp_f64_e32 v[50:51], v[36:37]
	v_fma_f64 v[52:53], -v[36:37], v[50:51], 1.0
	v_fma_f64 v[50:51], v[50:51], v[52:53], v[50:51]
	v_fma_f64 v[52:53], -v[36:37], v[50:51], 1.0
	v_fma_f64 v[50:51], v[50:51], v[52:53], v[50:51]
	v_mul_f64 v[52:53], v[54:55], v[50:51]
	v_fma_f64 v[36:37], -v[36:37], v[52:53], v[54:55]
	v_div_fmas_f64 v[36:37], v[36:37], v[50:51], v[52:53]
	v_div_fixup_f64 v[36:37], v[36:37], v[34:35], 1.0
	v_mul_f64 v[34:35], v[48:49], v[36:37]
	v_xor_b32_e32 v37, 0x80000000, v37
.LBB14_154:
	s_andn2_saveexec_b64 s[2:3], s[2:3]
	s_cbranch_execz .LBB14_156
; %bb.155:
	v_div_scale_f64 v[48:49], s[4:5], v[34:35], v[34:35], v[36:37]
	v_rcp_f64_e32 v[50:51], v[48:49]
	v_fma_f64 v[52:53], -v[48:49], v[50:51], 1.0
	v_fma_f64 v[50:51], v[50:51], v[52:53], v[50:51]
	v_div_scale_f64 v[52:53], vcc, v[36:37], v[34:35], v[36:37]
	v_fma_f64 v[54:55], -v[48:49], v[50:51], 1.0
	v_fma_f64 v[50:51], v[50:51], v[54:55], v[50:51]
	v_mul_f64 v[54:55], v[52:53], v[50:51]
	v_fma_f64 v[48:49], -v[48:49], v[54:55], v[52:53]
	v_div_fmas_f64 v[48:49], v[48:49], v[50:51], v[54:55]
	v_div_fixup_f64 v[48:49], v[48:49], v[34:35], v[36:37]
	v_fma_f64 v[34:35], v[36:37], v[48:49], v[34:35]
	v_div_scale_f64 v[36:37], s[4:5], v[34:35], v[34:35], 1.0
	v_div_scale_f64 v[54:55], vcc, 1.0, v[34:35], 1.0
	v_rcp_f64_e32 v[50:51], v[36:37]
	v_fma_f64 v[52:53], -v[36:37], v[50:51], 1.0
	v_fma_f64 v[50:51], v[50:51], v[52:53], v[50:51]
	v_fma_f64 v[52:53], -v[36:37], v[50:51], 1.0
	v_fma_f64 v[50:51], v[50:51], v[52:53], v[50:51]
	v_mul_f64 v[52:53], v[54:55], v[50:51]
	v_fma_f64 v[36:37], -v[36:37], v[52:53], v[54:55]
	v_div_fmas_f64 v[36:37], v[36:37], v[50:51], v[52:53]
	v_div_fixup_f64 v[34:35], v[36:37], v[34:35], 1.0
	v_mul_f64 v[36:37], v[48:49], -v[34:35]
.LBB14_156:
	s_or_b64 exec, exec, s[2:3]
.LBB14_157:
	s_or_b64 exec, exec, s[0:1]
	v_cmp_ne_u32_e32 vcc, v44, v42
	v_mov_b32_e32 v43, 7
	s_and_saveexec_b64 s[0:1], vcc
	s_cbranch_execz .LBB14_163
; %bb.158:
	v_cmp_eq_u32_e32 vcc, 7, v44
	s_and_saveexec_b64 s[2:3], vcc
	s_cbranch_execz .LBB14_162
; %bb.159:
	v_cmp_ne_u32_e32 vcc, 7, v42
	s_xor_b64 s[4:5], s[18:19], -1
	s_and_b64 s[18:19], s[4:5], vcc
	s_and_saveexec_b64 s[4:5], s[18:19]
	s_cbranch_execz .LBB14_161
; %bb.160:
	v_ashrrev_i32_e32 v43, 31, v42
	v_lshlrev_b64 v[0:1], 2, v[42:43]
	v_add_co_u32_e32 v0, vcc, v40, v0
	v_addc_co_u32_e32 v1, vcc, v41, v1, vcc
	global_load_dword v43, v[0:1], off
	global_load_dword v44, v[40:41], off offset:28
	s_waitcnt vmcnt(1)
	global_store_dword v[40:41], v43, off offset:28
	s_waitcnt vmcnt(1)
	global_store_dword v[0:1], v44, off
.LBB14_161:
	s_or_b64 exec, exec, s[4:5]
	v_mov_b32_e32 v44, v42
	v_mov_b32_e32 v0, v42
.LBB14_162:
	s_or_b64 exec, exec, s[2:3]
	v_mov_b32_e32 v43, v44
.LBB14_163:
	s_or_b64 exec, exec, s[0:1]
	v_cmp_gt_i32_e32 vcc, 8, v43
	v_ashrrev_i32_e32 v44, 31, v43
	s_waitcnt vmcnt(0)
	s_barrier
	s_barrier
	s_and_saveexec_b64 s[0:1], vcc
	s_cbranch_execz .LBB14_165
; %bb.164:
	v_mul_lo_u32 v1, s15, v38
	v_mul_lo_u32 v42, s14, v39
	v_mad_u64_u32 v[40:41], s[2:3], s14, v38, 0
	s_lshl_b64 s[2:3], s[12:13], 2
	v_add3_u32 v0, v0, s17, 1
	v_add3_u32 v41, v41, v42, v1
	v_lshlrev_b64 v[40:41], 2, v[40:41]
	v_mov_b32_e32 v1, s11
	v_add_co_u32_e32 v40, vcc, s10, v40
	v_addc_co_u32_e32 v1, vcc, v1, v41, vcc
	v_mov_b32_e32 v41, s3
	v_add_co_u32_e32 v42, vcc, s2, v40
	v_addc_co_u32_e32 v1, vcc, v1, v41, vcc
	v_lshlrev_b64 v[40:41], 2, v[43:44]
	v_add_co_u32_e32 v40, vcc, v42, v40
	v_addc_co_u32_e32 v41, vcc, v1, v41, vcc
	global_store_dword v[40:41], v0, off
.LBB14_165:
	s_or_b64 exec, exec, s[0:1]
	v_cmp_eq_u32_e32 vcc, 0, v43
	s_and_saveexec_b64 s[2:3], vcc
	s_cbranch_execz .LBB14_168
; %bb.166:
	v_lshlrev_b64 v[0:1], 2, v[38:39]
	v_mov_b32_e32 v38, s21
	v_add_co_u32_e32 v0, vcc, s20, v0
	v_addc_co_u32_e32 v1, vcc, v38, v1, vcc
	global_load_dword v38, v[0:1], off
	v_cmp_ne_u32_e64 s[0:1], 0, v47
	s_waitcnt vmcnt(0)
	v_cmp_eq_u32_e32 vcc, 0, v38
	s_and_b64 s[0:1], vcc, s[0:1]
	s_and_b64 exec, exec, s[0:1]
	s_cbranch_execz .LBB14_168
; %bb.167:
	v_add_u32_e32 v38, s17, v47
	global_store_dword v[0:1], v38, off
.LBB14_168:
	s_or_b64 exec, exec, s[2:3]
	v_mul_f64 v[0:1], v[34:35], v[32:33]
	v_mul_f64 v[38:39], v[36:37], v[32:33]
	v_lshlrev_b64 v[40:41], 4, v[43:44]
	v_mov_b32_e32 v42, s9
	v_fma_f64 v[0:1], v[36:37], v[30:31], v[0:1]
	v_fma_f64 v[34:35], v[34:35], v[30:31], -v[38:39]
	v_add_co_u32_e32 v36, vcc, v45, v40
	v_addc_co_u32_e32 v37, vcc, v46, v41, vcc
	v_cmp_lt_i32_e32 vcc, 7, v43
	global_store_dwordx4 v[36:37], v[26:29], off
	s_nop 0
	v_cndmask_b32_e32 v29, v33, v1, vcc
	v_cndmask_b32_e32 v28, v32, v0, vcc
	;; [unrolled: 1-line block ×4, first 2 shown]
	v_add_co_u32_e32 v0, vcc, s8, v36
	v_addc_co_u32_e32 v1, vcc, v37, v42, vcc
	global_store_dwordx4 v[0:1], v[22:25], off
	v_add_u32_e32 v0, s16, v43
	v_ashrrev_i32_e32 v1, 31, v0
	v_lshlrev_b64 v[22:23], 4, v[0:1]
	v_add_u32_e32 v0, s6, v0
	v_add_co_u32_e32 v22, vcc, v45, v22
	v_addc_co_u32_e32 v23, vcc, v46, v23, vcc
	v_ashrrev_i32_e32 v1, 31, v0
	global_store_dwordx4 v[22:23], v[18:21], off
	s_nop 0
	v_lshlrev_b64 v[18:19], 4, v[0:1]
	v_add_u32_e32 v0, s6, v0
	v_add_co_u32_e32 v18, vcc, v45, v18
	v_addc_co_u32_e32 v19, vcc, v46, v19, vcc
	v_ashrrev_i32_e32 v1, 31, v0
	global_store_dwordx4 v[18:19], v[14:17], off
	s_nop 0
	;; [unrolled: 7-line block ×4, first 2 shown]
	v_lshlrev_b64 v[6:7], 4, v[0:1]
	v_add_u32_e32 v0, s6, v0
	v_ashrrev_i32_e32 v1, 31, v0
	v_add_co_u32_e32 v6, vcc, v45, v6
	v_lshlrev_b64 v[0:1], 4, v[0:1]
	v_addc_co_u32_e32 v7, vcc, v46, v7, vcc
	v_add_co_u32_e32 v0, vcc, v45, v0
	v_addc_co_u32_e32 v1, vcc, v46, v1, vcc
	global_store_dwordx4 v[6:7], v[2:5], off
	global_store_dwordx4 v[0:1], v[26:29], off
.LBB14_169:
	s_endpgm
	.section	.rodata,"a",@progbits
	.p2align	6, 0x0
	.amdhsa_kernel _ZN9rocsolver6v33100L18getf2_small_kernelILi8E19rocblas_complex_numIdEiiPS3_EEvT1_T3_lS5_lPS5_llPT2_S5_S5_S7_l
		.amdhsa_group_segment_fixed_size 0
		.amdhsa_private_segment_fixed_size 0
		.amdhsa_kernarg_size 352
		.amdhsa_user_sgpr_count 6
		.amdhsa_user_sgpr_private_segment_buffer 1
		.amdhsa_user_sgpr_dispatch_ptr 0
		.amdhsa_user_sgpr_queue_ptr 0
		.amdhsa_user_sgpr_kernarg_segment_ptr 1
		.amdhsa_user_sgpr_dispatch_id 0
		.amdhsa_user_sgpr_flat_scratch_init 0
		.amdhsa_user_sgpr_private_segment_size 0
		.amdhsa_uses_dynamic_stack 0
		.amdhsa_system_sgpr_private_segment_wavefront_offset 0
		.amdhsa_system_sgpr_workgroup_id_x 1
		.amdhsa_system_sgpr_workgroup_id_y 1
		.amdhsa_system_sgpr_workgroup_id_z 0
		.amdhsa_system_sgpr_workgroup_info 0
		.amdhsa_system_vgpr_workitem_id 1
		.amdhsa_next_free_vgpr 61
		.amdhsa_next_free_sgpr 26
		.amdhsa_reserve_vcc 1
		.amdhsa_reserve_flat_scratch 0
		.amdhsa_float_round_mode_32 0
		.amdhsa_float_round_mode_16_64 0
		.amdhsa_float_denorm_mode_32 3
		.amdhsa_float_denorm_mode_16_64 3
		.amdhsa_dx10_clamp 1
		.amdhsa_ieee_mode 1
		.amdhsa_fp16_overflow 0
		.amdhsa_exception_fp_ieee_invalid_op 0
		.amdhsa_exception_fp_denorm_src 0
		.amdhsa_exception_fp_ieee_div_zero 0
		.amdhsa_exception_fp_ieee_overflow 0
		.amdhsa_exception_fp_ieee_underflow 0
		.amdhsa_exception_fp_ieee_inexact 0
		.amdhsa_exception_int_div_zero 0
	.end_amdhsa_kernel
	.section	.text._ZN9rocsolver6v33100L18getf2_small_kernelILi8E19rocblas_complex_numIdEiiPS3_EEvT1_T3_lS5_lPS5_llPT2_S5_S5_S7_l,"axG",@progbits,_ZN9rocsolver6v33100L18getf2_small_kernelILi8E19rocblas_complex_numIdEiiPS3_EEvT1_T3_lS5_lPS5_llPT2_S5_S5_S7_l,comdat
.Lfunc_end14:
	.size	_ZN9rocsolver6v33100L18getf2_small_kernelILi8E19rocblas_complex_numIdEiiPS3_EEvT1_T3_lS5_lPS5_llPT2_S5_S5_S7_l, .Lfunc_end14-_ZN9rocsolver6v33100L18getf2_small_kernelILi8E19rocblas_complex_numIdEiiPS3_EEvT1_T3_lS5_lPS5_llPT2_S5_S5_S7_l
                                        ; -- End function
	.set _ZN9rocsolver6v33100L18getf2_small_kernelILi8E19rocblas_complex_numIdEiiPS3_EEvT1_T3_lS5_lPS5_llPT2_S5_S5_S7_l.num_vgpr, 61
	.set _ZN9rocsolver6v33100L18getf2_small_kernelILi8E19rocblas_complex_numIdEiiPS3_EEvT1_T3_lS5_lPS5_llPT2_S5_S5_S7_l.num_agpr, 0
	.set _ZN9rocsolver6v33100L18getf2_small_kernelILi8E19rocblas_complex_numIdEiiPS3_EEvT1_T3_lS5_lPS5_llPT2_S5_S5_S7_l.numbered_sgpr, 26
	.set _ZN9rocsolver6v33100L18getf2_small_kernelILi8E19rocblas_complex_numIdEiiPS3_EEvT1_T3_lS5_lPS5_llPT2_S5_S5_S7_l.num_named_barrier, 0
	.set _ZN9rocsolver6v33100L18getf2_small_kernelILi8E19rocblas_complex_numIdEiiPS3_EEvT1_T3_lS5_lPS5_llPT2_S5_S5_S7_l.private_seg_size, 0
	.set _ZN9rocsolver6v33100L18getf2_small_kernelILi8E19rocblas_complex_numIdEiiPS3_EEvT1_T3_lS5_lPS5_llPT2_S5_S5_S7_l.uses_vcc, 1
	.set _ZN9rocsolver6v33100L18getf2_small_kernelILi8E19rocblas_complex_numIdEiiPS3_EEvT1_T3_lS5_lPS5_llPT2_S5_S5_S7_l.uses_flat_scratch, 0
	.set _ZN9rocsolver6v33100L18getf2_small_kernelILi8E19rocblas_complex_numIdEiiPS3_EEvT1_T3_lS5_lPS5_llPT2_S5_S5_S7_l.has_dyn_sized_stack, 0
	.set _ZN9rocsolver6v33100L18getf2_small_kernelILi8E19rocblas_complex_numIdEiiPS3_EEvT1_T3_lS5_lPS5_llPT2_S5_S5_S7_l.has_recursion, 0
	.set _ZN9rocsolver6v33100L18getf2_small_kernelILi8E19rocblas_complex_numIdEiiPS3_EEvT1_T3_lS5_lPS5_llPT2_S5_S5_S7_l.has_indirect_call, 0
	.section	.AMDGPU.csdata,"",@progbits
; Kernel info:
; codeLenInByte = 10040
; TotalNumSgprs: 30
; NumVgprs: 61
; ScratchSize: 0
; MemoryBound: 0
; FloatMode: 240
; IeeeMode: 1
; LDSByteSize: 0 bytes/workgroup (compile time only)
; SGPRBlocks: 3
; VGPRBlocks: 15
; NumSGPRsForWavesPerEU: 30
; NumVGPRsForWavesPerEU: 61
; Occupancy: 4
; WaveLimiterHint : 0
; COMPUTE_PGM_RSRC2:SCRATCH_EN: 0
; COMPUTE_PGM_RSRC2:USER_SGPR: 6
; COMPUTE_PGM_RSRC2:TRAP_HANDLER: 0
; COMPUTE_PGM_RSRC2:TGID_X_EN: 1
; COMPUTE_PGM_RSRC2:TGID_Y_EN: 1
; COMPUTE_PGM_RSRC2:TGID_Z_EN: 0
; COMPUTE_PGM_RSRC2:TIDIG_COMP_CNT: 1
	.section	.text._ZN9rocsolver6v33100L23getf2_npvt_small_kernelILi8E19rocblas_complex_numIdEiiPS3_EEvT1_T3_lS5_lPT2_S5_S5_,"axG",@progbits,_ZN9rocsolver6v33100L23getf2_npvt_small_kernelILi8E19rocblas_complex_numIdEiiPS3_EEvT1_T3_lS5_lPT2_S5_S5_,comdat
	.globl	_ZN9rocsolver6v33100L23getf2_npvt_small_kernelILi8E19rocblas_complex_numIdEiiPS3_EEvT1_T3_lS5_lPT2_S5_S5_ ; -- Begin function _ZN9rocsolver6v33100L23getf2_npvt_small_kernelILi8E19rocblas_complex_numIdEiiPS3_EEvT1_T3_lS5_lPT2_S5_S5_
	.p2align	8
	.type	_ZN9rocsolver6v33100L23getf2_npvt_small_kernelILi8E19rocblas_complex_numIdEiiPS3_EEvT1_T3_lS5_lPT2_S5_S5_,@function
_ZN9rocsolver6v33100L23getf2_npvt_small_kernelILi8E19rocblas_complex_numIdEiiPS3_EEvT1_T3_lS5_lPT2_S5_S5_: ; @_ZN9rocsolver6v33100L23getf2_npvt_small_kernelILi8E19rocblas_complex_numIdEiiPS3_EEvT1_T3_lS5_lPT2_S5_S5_
; %bb.0:
	s_load_dword s0, s[4:5], 0x44
	s_load_dwordx2 s[30:31], s[4:5], 0x30
	s_waitcnt lgkmcnt(0)
	s_lshr_b32 s2, s0, 16
	s_mul_i32 s7, s7, s2
	v_add_u32_e32 v72, s7, v1
	v_cmp_gt_i32_e32 vcc, s30, v72
	s_and_saveexec_b64 s[0:1], vcc
	s_cbranch_execz .LBB15_75
; %bb.1:
	s_load_dwordx4 s[8:11], s[4:5], 0x20
	s_load_dword s0, s[4:5], 0x18
	v_ashrrev_i32_e32 v73, 31, v72
	s_load_dwordx4 s[12:15], s[4:5], 0x8
	v_lshl_add_u32 v84, v1, 7, 0
	s_waitcnt lgkmcnt(0)
	v_mul_lo_u32 v4, s9, v72
	v_mul_lo_u32 v5, s8, v73
	v_mad_u64_u32 v[2:3], s[6:7], s8, v72, 0
	s_lshl_b64 s[4:5], s[14:15], 4
	s_add_i32 s3, s0, s0
	v_add3_u32 v3, v3, v5, v4
	v_lshlrev_b64 v[2:3], 4, v[2:3]
	v_mov_b32_e32 v4, s13
	v_add_co_u32_e32 v2, vcc, s12, v2
	v_addc_co_u32_e32 v3, vcc, v4, v3, vcc
	v_mov_b32_e32 v4, s5
	v_add_co_u32_e32 v5, vcc, s4, v2
	v_add_u32_e32 v2, s3, v0
	v_addc_co_u32_e32 v6, vcc, v3, v4, vcc
	v_ashrrev_i32_e32 v3, 31, v2
	v_lshlrev_b64 v[3:4], 4, v[2:3]
	v_add_u32_e32 v2, s0, v2
	v_add_co_u32_e32 v66, vcc, v5, v3
	v_ashrrev_i32_e32 v3, 31, v2
	v_addc_co_u32_e32 v67, vcc, v6, v4, vcc
	v_lshlrev_b64 v[3:4], 4, v[2:3]
	v_add_u32_e32 v2, s0, v2
	v_add_co_u32_e32 v68, vcc, v5, v3
	v_ashrrev_i32_e32 v3, 31, v2
	v_addc_co_u32_e32 v69, vcc, v6, v4, vcc
	;; [unrolled: 5-line block ×4, first 2 shown]
	v_lshlrev_b64 v[3:4], 4, v[2:3]
	v_add_u32_e32 v2, s0, v2
	v_add_co_u32_e32 v76, vcc, v5, v3
	v_ashrrev_i32_e32 v3, 31, v2
	v_lshlrev_b64 v[2:3], 4, v[2:3]
	v_addc_co_u32_e32 v77, vcc, v6, v4, vcc
	v_add_co_u32_e32 v78, vcc, v5, v2
	v_addc_co_u32_e32 v79, vcc, v6, v3, vcc
	v_lshlrev_b32_e32 v2, 4, v0
	s_ashr_i32 s1, s0, 31
	v_add_co_u32_e32 v82, vcc, v5, v2
	v_addc_co_u32_e32 v83, vcc, 0, v6, vcc
	s_lshl_b64 s[0:1], s[0:1], 4
	v_mov_b32_e32 v2, s1
	v_add_co_u32_e32 v80, vcc, s0, v82
	v_addc_co_u32_e32 v81, vcc, v83, v2, vcc
	global_load_dwordx4 v[30:33], v[82:83], off
	global_load_dwordx4 v[26:29], v[80:81], off
	;; [unrolled: 1-line block ×8, first 2 shown]
	s_lshl_b32 s0, s2, 7
	s_add_i32 s0, s0, 0
	v_lshl_add_u32 v1, v1, 4, s0
	v_cmp_ne_u32_e64 s[2:3], 0, v0
	v_cmp_eq_u32_e64 s[0:1], 0, v0
	s_and_saveexec_b64 s[6:7], s[0:1]
	s_cbranch_execz .LBB15_8
; %bb.2:
	s_waitcnt vmcnt(7)
	ds_write2_b64 v1, v[30:31], v[32:33] offset1:1
	s_waitcnt vmcnt(6)
	ds_write2_b64 v84, v[26:27], v[28:29] offset0:2 offset1:3
	s_waitcnt vmcnt(5)
	ds_write2_b64 v84, v[22:23], v[24:25] offset0:4 offset1:5
	;; [unrolled: 2-line block ×7, first 2 shown]
	ds_read2_b64 v[34:37], v1 offset1:1
	s_waitcnt lgkmcnt(0)
	v_cmp_neq_f64_e32 vcc, 0, v[34:35]
	v_cmp_neq_f64_e64 s[4:5], 0, v[36:37]
	s_or_b64 s[4:5], vcc, s[4:5]
	s_and_b64 exec, exec, s[4:5]
	s_cbranch_execz .LBB15_8
; %bb.3:
	v_cmp_ngt_f64_e64 s[4:5], |v[34:35]|, |v[36:37]|
                                        ; implicit-def: $vgpr38_vgpr39
	s_and_saveexec_b64 s[8:9], s[4:5]
	s_xor_b64 s[4:5], exec, s[8:9]
                                        ; implicit-def: $vgpr40_vgpr41
	s_cbranch_execz .LBB15_5
; %bb.4:
	v_div_scale_f64 v[38:39], s[8:9], v[36:37], v[36:37], v[34:35]
	v_rcp_f64_e32 v[40:41], v[38:39]
	v_fma_f64 v[42:43], -v[38:39], v[40:41], 1.0
	v_fma_f64 v[40:41], v[40:41], v[42:43], v[40:41]
	v_div_scale_f64 v[42:43], vcc, v[34:35], v[36:37], v[34:35]
	v_fma_f64 v[44:45], -v[38:39], v[40:41], 1.0
	v_fma_f64 v[40:41], v[40:41], v[44:45], v[40:41]
	v_mul_f64 v[44:45], v[42:43], v[40:41]
	v_fma_f64 v[38:39], -v[38:39], v[44:45], v[42:43]
	v_div_fmas_f64 v[38:39], v[38:39], v[40:41], v[44:45]
	v_div_fixup_f64 v[38:39], v[38:39], v[36:37], v[34:35]
	v_fma_f64 v[34:35], v[34:35], v[38:39], v[36:37]
	v_div_scale_f64 v[36:37], s[8:9], v[34:35], v[34:35], 1.0
	v_div_scale_f64 v[44:45], vcc, 1.0, v[34:35], 1.0
	v_rcp_f64_e32 v[40:41], v[36:37]
	v_fma_f64 v[42:43], -v[36:37], v[40:41], 1.0
	v_fma_f64 v[40:41], v[40:41], v[42:43], v[40:41]
	v_fma_f64 v[42:43], -v[36:37], v[40:41], 1.0
	v_fma_f64 v[40:41], v[40:41], v[42:43], v[40:41]
	v_mul_f64 v[42:43], v[44:45], v[40:41]
	v_fma_f64 v[36:37], -v[36:37], v[42:43], v[44:45]
	v_div_fmas_f64 v[36:37], v[36:37], v[40:41], v[42:43]
	v_div_fixup_f64 v[40:41], v[36:37], v[34:35], 1.0
                                        ; implicit-def: $vgpr34_vgpr35
	v_mul_f64 v[38:39], v[38:39], v[40:41]
	v_xor_b32_e32 v41, 0x80000000, v41
.LBB15_5:
	s_andn2_saveexec_b64 s[4:5], s[4:5]
	s_cbranch_execz .LBB15_7
; %bb.6:
	v_div_scale_f64 v[38:39], s[8:9], v[34:35], v[34:35], v[36:37]
	v_rcp_f64_e32 v[40:41], v[38:39]
	v_fma_f64 v[42:43], -v[38:39], v[40:41], 1.0
	v_fma_f64 v[40:41], v[40:41], v[42:43], v[40:41]
	v_div_scale_f64 v[42:43], vcc, v[36:37], v[34:35], v[36:37]
	v_fma_f64 v[44:45], -v[38:39], v[40:41], 1.0
	v_fma_f64 v[40:41], v[40:41], v[44:45], v[40:41]
	v_mul_f64 v[44:45], v[42:43], v[40:41]
	v_fma_f64 v[38:39], -v[38:39], v[44:45], v[42:43]
	v_div_fmas_f64 v[38:39], v[38:39], v[40:41], v[44:45]
	v_div_fixup_f64 v[40:41], v[38:39], v[34:35], v[36:37]
	v_fma_f64 v[34:35], v[36:37], v[40:41], v[34:35]
	v_div_scale_f64 v[36:37], s[8:9], v[34:35], v[34:35], 1.0
	v_div_scale_f64 v[44:45], vcc, 1.0, v[34:35], 1.0
	v_rcp_f64_e32 v[38:39], v[36:37]
	v_fma_f64 v[42:43], -v[36:37], v[38:39], 1.0
	v_fma_f64 v[38:39], v[38:39], v[42:43], v[38:39]
	v_fma_f64 v[42:43], -v[36:37], v[38:39], 1.0
	v_fma_f64 v[38:39], v[38:39], v[42:43], v[38:39]
	v_mul_f64 v[42:43], v[44:45], v[38:39]
	v_fma_f64 v[36:37], -v[36:37], v[42:43], v[44:45]
	v_div_fmas_f64 v[36:37], v[36:37], v[38:39], v[42:43]
	v_div_fixup_f64 v[38:39], v[36:37], v[34:35], 1.0
	v_mul_f64 v[40:41], v[40:41], -v[38:39]
.LBB15_7:
	s_or_b64 exec, exec, s[4:5]
	ds_write2_b64 v1, v[38:39], v[40:41] offset1:1
.LBB15_8:
	s_or_b64 exec, exec, s[6:7]
	s_waitcnt vmcnt(0) lgkmcnt(0)
	s_barrier
	ds_read2_b64 v[34:37], v1 offset1:1
	s_and_saveexec_b64 s[4:5], s[2:3]
	s_cbranch_execz .LBB15_10
; %bb.9:
	s_waitcnt lgkmcnt(0)
	v_mul_f64 v[38:39], v[34:35], v[32:33]
	v_mul_f64 v[32:33], v[36:37], v[32:33]
	v_fma_f64 v[85:86], v[36:37], v[30:31], v[38:39]
	ds_read2_b64 v[38:41], v84 offset0:2 offset1:3
	ds_read2_b64 v[42:45], v84 offset0:4 offset1:5
	;; [unrolled: 1-line block ×7, first 2 shown]
	v_fma_f64 v[30:31], v[34:35], v[30:31], -v[32:33]
	s_waitcnt lgkmcnt(6)
	v_mul_f64 v[32:33], v[40:41], v[85:86]
	v_mul_f64 v[87:88], v[38:39], v[85:86]
	s_waitcnt lgkmcnt(5)
	v_mul_f64 v[89:90], v[44:45], v[85:86]
	v_mul_f64 v[91:92], v[42:43], v[85:86]
	;; [unrolled: 3-line block ×4, first 2 shown]
	v_fma_f64 v[32:33], v[38:39], v[30:31], -v[32:33]
	v_fma_f64 v[38:39], v[40:41], v[30:31], v[87:88]
	v_fma_f64 v[40:41], v[42:43], v[30:31], -v[89:90]
	v_fma_f64 v[42:43], v[44:45], v[30:31], v[91:92]
	v_fma_f64 v[44:45], v[46:47], v[30:31], -v[93:94]
	v_fma_f64 v[46:47], v[48:49], v[30:31], v[95:96]
	s_waitcnt lgkmcnt(2)
	v_mul_f64 v[48:49], v[56:57], v[85:86]
	v_mul_f64 v[87:88], v[54:55], v[85:86]
	v_add_f64 v[26:27], v[26:27], -v[32:33]
	v_add_f64 v[28:29], v[28:29], -v[38:39]
	;; [unrolled: 1-line block ×4, first 2 shown]
	s_waitcnt lgkmcnt(1)
	v_mul_f64 v[32:33], v[60:61], v[85:86]
	v_mul_f64 v[38:39], v[58:59], v[85:86]
	s_waitcnt lgkmcnt(0)
	v_mul_f64 v[40:41], v[64:65], v[85:86]
	v_mul_f64 v[42:43], v[62:63], v[85:86]
	v_add_f64 v[18:19], v[18:19], -v[44:45]
	v_add_f64 v[20:21], v[20:21], -v[46:47]
	v_fma_f64 v[44:45], v[50:51], v[30:31], -v[97:98]
	v_fma_f64 v[46:47], v[52:53], v[30:31], v[99:100]
	v_fma_f64 v[48:49], v[54:55], v[30:31], -v[48:49]
	v_fma_f64 v[50:51], v[56:57], v[30:31], v[87:88]
	;; [unrolled: 2-line block ×4, first 2 shown]
	v_add_f64 v[14:15], v[14:15], -v[44:45]
	v_add_f64 v[16:17], v[16:17], -v[46:47]
	;; [unrolled: 1-line block ×8, first 2 shown]
	v_mov_b32_e32 v32, v85
	v_mov_b32_e32 v33, v86
.LBB15_10:
	s_or_b64 exec, exec, s[4:5]
	v_cmp_eq_u32_e32 vcc, 1, v0
	s_waitcnt lgkmcnt(0)
	s_barrier
	s_and_saveexec_b64 s[4:5], vcc
	s_cbranch_execz .LBB15_17
; %bb.11:
	ds_write2_b64 v1, v[26:27], v[28:29] offset1:1
	ds_write2_b64 v84, v[22:23], v[24:25] offset0:4 offset1:5
	ds_write2_b64 v84, v[18:19], v[20:21] offset0:6 offset1:7
	;; [unrolled: 1-line block ×6, first 2 shown]
	ds_read2_b64 v[38:41], v1 offset1:1
	s_waitcnt lgkmcnt(0)
	v_cmp_neq_f64_e32 vcc, 0, v[38:39]
	v_cmp_neq_f64_e64 s[2:3], 0, v[40:41]
	s_or_b64 s[2:3], vcc, s[2:3]
	s_and_b64 exec, exec, s[2:3]
	s_cbranch_execz .LBB15_17
; %bb.12:
	v_cmp_ngt_f64_e64 s[2:3], |v[38:39]|, |v[40:41]|
                                        ; implicit-def: $vgpr42_vgpr43
	s_and_saveexec_b64 s[6:7], s[2:3]
	s_xor_b64 s[2:3], exec, s[6:7]
                                        ; implicit-def: $vgpr44_vgpr45
	s_cbranch_execz .LBB15_14
; %bb.13:
	v_div_scale_f64 v[42:43], s[6:7], v[40:41], v[40:41], v[38:39]
	v_rcp_f64_e32 v[44:45], v[42:43]
	v_fma_f64 v[46:47], -v[42:43], v[44:45], 1.0
	v_fma_f64 v[44:45], v[44:45], v[46:47], v[44:45]
	v_div_scale_f64 v[46:47], vcc, v[38:39], v[40:41], v[38:39]
	v_fma_f64 v[48:49], -v[42:43], v[44:45], 1.0
	v_fma_f64 v[44:45], v[44:45], v[48:49], v[44:45]
	v_mul_f64 v[48:49], v[46:47], v[44:45]
	v_fma_f64 v[42:43], -v[42:43], v[48:49], v[46:47]
	v_div_fmas_f64 v[42:43], v[42:43], v[44:45], v[48:49]
	v_div_fixup_f64 v[42:43], v[42:43], v[40:41], v[38:39]
	v_fma_f64 v[38:39], v[38:39], v[42:43], v[40:41]
	v_div_scale_f64 v[40:41], s[6:7], v[38:39], v[38:39], 1.0
	v_div_scale_f64 v[48:49], vcc, 1.0, v[38:39], 1.0
	v_rcp_f64_e32 v[44:45], v[40:41]
	v_fma_f64 v[46:47], -v[40:41], v[44:45], 1.0
	v_fma_f64 v[44:45], v[44:45], v[46:47], v[44:45]
	v_fma_f64 v[46:47], -v[40:41], v[44:45], 1.0
	v_fma_f64 v[44:45], v[44:45], v[46:47], v[44:45]
	v_mul_f64 v[46:47], v[48:49], v[44:45]
	v_fma_f64 v[40:41], -v[40:41], v[46:47], v[48:49]
	v_div_fmas_f64 v[40:41], v[40:41], v[44:45], v[46:47]
	v_div_fixup_f64 v[44:45], v[40:41], v[38:39], 1.0
                                        ; implicit-def: $vgpr38_vgpr39
	v_mul_f64 v[42:43], v[42:43], v[44:45]
	v_xor_b32_e32 v45, 0x80000000, v45
.LBB15_14:
	s_andn2_saveexec_b64 s[2:3], s[2:3]
	s_cbranch_execz .LBB15_16
; %bb.15:
	v_div_scale_f64 v[42:43], s[6:7], v[38:39], v[38:39], v[40:41]
	v_rcp_f64_e32 v[44:45], v[42:43]
	v_fma_f64 v[46:47], -v[42:43], v[44:45], 1.0
	v_fma_f64 v[44:45], v[44:45], v[46:47], v[44:45]
	v_div_scale_f64 v[46:47], vcc, v[40:41], v[38:39], v[40:41]
	v_fma_f64 v[48:49], -v[42:43], v[44:45], 1.0
	v_fma_f64 v[44:45], v[44:45], v[48:49], v[44:45]
	v_mul_f64 v[48:49], v[46:47], v[44:45]
	v_fma_f64 v[42:43], -v[42:43], v[48:49], v[46:47]
	v_div_fmas_f64 v[42:43], v[42:43], v[44:45], v[48:49]
	v_div_fixup_f64 v[44:45], v[42:43], v[38:39], v[40:41]
	v_fma_f64 v[38:39], v[40:41], v[44:45], v[38:39]
	v_div_scale_f64 v[40:41], s[6:7], v[38:39], v[38:39], 1.0
	v_div_scale_f64 v[48:49], vcc, 1.0, v[38:39], 1.0
	v_rcp_f64_e32 v[42:43], v[40:41]
	v_fma_f64 v[46:47], -v[40:41], v[42:43], 1.0
	v_fma_f64 v[42:43], v[42:43], v[46:47], v[42:43]
	v_fma_f64 v[46:47], -v[40:41], v[42:43], 1.0
	v_fma_f64 v[42:43], v[42:43], v[46:47], v[42:43]
	v_mul_f64 v[46:47], v[48:49], v[42:43]
	v_fma_f64 v[40:41], -v[40:41], v[46:47], v[48:49]
	v_div_fmas_f64 v[40:41], v[40:41], v[42:43], v[46:47]
	v_div_fixup_f64 v[42:43], v[40:41], v[38:39], 1.0
	v_mul_f64 v[44:45], v[44:45], -v[42:43]
.LBB15_16:
	s_or_b64 exec, exec, s[2:3]
	ds_write2_b64 v1, v[42:43], v[44:45] offset1:1
.LBB15_17:
	s_or_b64 exec, exec, s[4:5]
	s_waitcnt lgkmcnt(0)
	s_barrier
	ds_read2_b64 v[38:41], v1 offset1:1
	v_cmp_lt_u32_e32 vcc, 1, v0
	s_and_saveexec_b64 s[2:3], vcc
	s_cbranch_execz .LBB15_19
; %bb.18:
	s_waitcnt lgkmcnt(0)
	v_mul_f64 v[42:43], v[38:39], v[28:29]
	v_mul_f64 v[28:29], v[40:41], v[28:29]
	v_fma_f64 v[85:86], v[40:41], v[26:27], v[42:43]
	ds_read2_b64 v[42:45], v84 offset0:4 offset1:5
	ds_read2_b64 v[46:49], v84 offset0:6 offset1:7
	;; [unrolled: 1-line block ×6, first 2 shown]
	v_fma_f64 v[26:27], v[38:39], v[26:27], -v[28:29]
	s_waitcnt lgkmcnt(5)
	v_mul_f64 v[28:29], v[44:45], v[85:86]
	v_mul_f64 v[87:88], v[42:43], v[85:86]
	s_waitcnt lgkmcnt(4)
	v_mul_f64 v[89:90], v[48:49], v[85:86]
	v_mul_f64 v[91:92], v[46:47], v[85:86]
	;; [unrolled: 3-line block ×5, first 2 shown]
	s_waitcnt lgkmcnt(0)
	v_mul_f64 v[105:106], v[64:65], v[85:86]
	v_fma_f64 v[28:29], v[42:43], v[26:27], -v[28:29]
	v_fma_f64 v[42:43], v[44:45], v[26:27], v[87:88]
	v_fma_f64 v[44:45], v[46:47], v[26:27], -v[89:90]
	v_fma_f64 v[46:47], v[48:49], v[26:27], v[91:92]
	v_mul_f64 v[48:49], v[62:63], v[85:86]
	v_fma_f64 v[50:51], v[50:51], v[26:27], -v[93:94]
	v_fma_f64 v[52:53], v[52:53], v[26:27], v[95:96]
	v_fma_f64 v[54:55], v[54:55], v[26:27], -v[97:98]
	v_add_f64 v[22:23], v[22:23], -v[28:29]
	v_add_f64 v[24:25], v[24:25], -v[42:43]
	;; [unrolled: 1-line block ×4, first 2 shown]
	v_fma_f64 v[28:29], v[56:57], v[26:27], v[99:100]
	v_fma_f64 v[42:43], v[58:59], v[26:27], -v[101:102]
	v_fma_f64 v[44:45], v[60:61], v[26:27], v[103:104]
	v_fma_f64 v[46:47], v[62:63], v[26:27], -v[105:106]
	v_fma_f64 v[48:49], v[64:65], v[26:27], v[48:49]
	v_add_f64 v[14:15], v[14:15], -v[50:51]
	v_add_f64 v[16:17], v[16:17], -v[52:53]
	;; [unrolled: 1-line block ×8, first 2 shown]
	v_mov_b32_e32 v28, v85
	v_mov_b32_e32 v29, v86
.LBB15_19:
	s_or_b64 exec, exec, s[2:3]
	v_cmp_eq_u32_e32 vcc, 2, v0
	s_waitcnt lgkmcnt(0)
	s_barrier
	s_and_saveexec_b64 s[4:5], vcc
	s_cbranch_execz .LBB15_26
; %bb.20:
	ds_write2_b64 v1, v[22:23], v[24:25] offset1:1
	ds_write2_b64 v84, v[18:19], v[20:21] offset0:6 offset1:7
	ds_write2_b64 v84, v[14:15], v[16:17] offset0:8 offset1:9
	;; [unrolled: 1-line block ×5, first 2 shown]
	ds_read2_b64 v[42:45], v1 offset1:1
	s_waitcnt lgkmcnt(0)
	v_cmp_neq_f64_e32 vcc, 0, v[42:43]
	v_cmp_neq_f64_e64 s[2:3], 0, v[44:45]
	s_or_b64 s[2:3], vcc, s[2:3]
	s_and_b64 exec, exec, s[2:3]
	s_cbranch_execz .LBB15_26
; %bb.21:
	v_cmp_ngt_f64_e64 s[2:3], |v[42:43]|, |v[44:45]|
                                        ; implicit-def: $vgpr46_vgpr47
	s_and_saveexec_b64 s[6:7], s[2:3]
	s_xor_b64 s[2:3], exec, s[6:7]
                                        ; implicit-def: $vgpr48_vgpr49
	s_cbranch_execz .LBB15_23
; %bb.22:
	v_div_scale_f64 v[46:47], s[6:7], v[44:45], v[44:45], v[42:43]
	v_rcp_f64_e32 v[48:49], v[46:47]
	v_fma_f64 v[50:51], -v[46:47], v[48:49], 1.0
	v_fma_f64 v[48:49], v[48:49], v[50:51], v[48:49]
	v_div_scale_f64 v[50:51], vcc, v[42:43], v[44:45], v[42:43]
	v_fma_f64 v[52:53], -v[46:47], v[48:49], 1.0
	v_fma_f64 v[48:49], v[48:49], v[52:53], v[48:49]
	v_mul_f64 v[52:53], v[50:51], v[48:49]
	v_fma_f64 v[46:47], -v[46:47], v[52:53], v[50:51]
	v_div_fmas_f64 v[46:47], v[46:47], v[48:49], v[52:53]
	v_div_fixup_f64 v[46:47], v[46:47], v[44:45], v[42:43]
	v_fma_f64 v[42:43], v[42:43], v[46:47], v[44:45]
	v_div_scale_f64 v[44:45], s[6:7], v[42:43], v[42:43], 1.0
	v_div_scale_f64 v[52:53], vcc, 1.0, v[42:43], 1.0
	v_rcp_f64_e32 v[48:49], v[44:45]
	v_fma_f64 v[50:51], -v[44:45], v[48:49], 1.0
	v_fma_f64 v[48:49], v[48:49], v[50:51], v[48:49]
	v_fma_f64 v[50:51], -v[44:45], v[48:49], 1.0
	v_fma_f64 v[48:49], v[48:49], v[50:51], v[48:49]
	v_mul_f64 v[50:51], v[52:53], v[48:49]
	v_fma_f64 v[44:45], -v[44:45], v[50:51], v[52:53]
	v_div_fmas_f64 v[44:45], v[44:45], v[48:49], v[50:51]
	v_div_fixup_f64 v[48:49], v[44:45], v[42:43], 1.0
                                        ; implicit-def: $vgpr42_vgpr43
	v_mul_f64 v[46:47], v[46:47], v[48:49]
	v_xor_b32_e32 v49, 0x80000000, v49
.LBB15_23:
	s_andn2_saveexec_b64 s[2:3], s[2:3]
	s_cbranch_execz .LBB15_25
; %bb.24:
	v_div_scale_f64 v[46:47], s[6:7], v[42:43], v[42:43], v[44:45]
	v_rcp_f64_e32 v[48:49], v[46:47]
	v_fma_f64 v[50:51], -v[46:47], v[48:49], 1.0
	v_fma_f64 v[48:49], v[48:49], v[50:51], v[48:49]
	v_div_scale_f64 v[50:51], vcc, v[44:45], v[42:43], v[44:45]
	v_fma_f64 v[52:53], -v[46:47], v[48:49], 1.0
	v_fma_f64 v[48:49], v[48:49], v[52:53], v[48:49]
	v_mul_f64 v[52:53], v[50:51], v[48:49]
	v_fma_f64 v[46:47], -v[46:47], v[52:53], v[50:51]
	v_div_fmas_f64 v[46:47], v[46:47], v[48:49], v[52:53]
	v_div_fixup_f64 v[48:49], v[46:47], v[42:43], v[44:45]
	v_fma_f64 v[42:43], v[44:45], v[48:49], v[42:43]
	v_div_scale_f64 v[44:45], s[6:7], v[42:43], v[42:43], 1.0
	v_div_scale_f64 v[52:53], vcc, 1.0, v[42:43], 1.0
	v_rcp_f64_e32 v[46:47], v[44:45]
	v_fma_f64 v[50:51], -v[44:45], v[46:47], 1.0
	v_fma_f64 v[46:47], v[46:47], v[50:51], v[46:47]
	v_fma_f64 v[50:51], -v[44:45], v[46:47], 1.0
	v_fma_f64 v[46:47], v[46:47], v[50:51], v[46:47]
	v_mul_f64 v[50:51], v[52:53], v[46:47]
	v_fma_f64 v[44:45], -v[44:45], v[50:51], v[52:53]
	v_div_fmas_f64 v[44:45], v[44:45], v[46:47], v[50:51]
	v_div_fixup_f64 v[46:47], v[44:45], v[42:43], 1.0
	v_mul_f64 v[48:49], v[48:49], -v[46:47]
.LBB15_25:
	s_or_b64 exec, exec, s[2:3]
	ds_write2_b64 v1, v[46:47], v[48:49] offset1:1
.LBB15_26:
	s_or_b64 exec, exec, s[4:5]
	s_waitcnt lgkmcnt(0)
	s_barrier
	ds_read2_b64 v[42:45], v1 offset1:1
	v_cmp_lt_u32_e32 vcc, 2, v0
	s_and_saveexec_b64 s[2:3], vcc
	s_cbranch_execz .LBB15_28
; %bb.27:
	s_waitcnt lgkmcnt(0)
	v_mul_f64 v[46:47], v[42:43], v[24:25]
	v_mul_f64 v[24:25], v[44:45], v[24:25]
	v_fma_f64 v[50:51], v[44:45], v[22:23], v[46:47]
	ds_read2_b64 v[46:49], v84 offset0:6 offset1:7
	v_fma_f64 v[22:23], v[42:43], v[22:23], -v[24:25]
	s_waitcnt lgkmcnt(0)
	v_mul_f64 v[24:25], v[48:49], v[50:51]
	v_fma_f64 v[24:25], v[46:47], v[22:23], -v[24:25]
	v_mul_f64 v[46:47], v[46:47], v[50:51]
	v_add_f64 v[18:19], v[18:19], -v[24:25]
	v_fma_f64 v[46:47], v[48:49], v[22:23], v[46:47]
	v_add_f64 v[20:21], v[20:21], -v[46:47]
	ds_read2_b64 v[46:49], v84 offset0:8 offset1:9
	s_waitcnt lgkmcnt(0)
	v_mul_f64 v[24:25], v[48:49], v[50:51]
	v_fma_f64 v[24:25], v[46:47], v[22:23], -v[24:25]
	v_mul_f64 v[46:47], v[46:47], v[50:51]
	v_add_f64 v[14:15], v[14:15], -v[24:25]
	v_fma_f64 v[46:47], v[48:49], v[22:23], v[46:47]
	v_add_f64 v[16:17], v[16:17], -v[46:47]
	ds_read2_b64 v[46:49], v84 offset0:10 offset1:11
	;; [unrolled: 8-line block ×4, first 2 shown]
	s_waitcnt lgkmcnt(0)
	v_mul_f64 v[24:25], v[48:49], v[50:51]
	v_fma_f64 v[24:25], v[46:47], v[22:23], -v[24:25]
	v_mul_f64 v[46:47], v[46:47], v[50:51]
	v_add_f64 v[6:7], v[6:7], -v[24:25]
	v_fma_f64 v[46:47], v[48:49], v[22:23], v[46:47]
	v_mov_b32_e32 v24, v50
	v_mov_b32_e32 v25, v51
	v_add_f64 v[8:9], v[8:9], -v[46:47]
.LBB15_28:
	s_or_b64 exec, exec, s[2:3]
	v_cmp_eq_u32_e32 vcc, 3, v0
	s_waitcnt lgkmcnt(0)
	s_barrier
	s_and_saveexec_b64 s[4:5], vcc
	s_cbranch_execz .LBB15_35
; %bb.29:
	ds_write2_b64 v1, v[18:19], v[20:21] offset1:1
	ds_write2_b64 v84, v[14:15], v[16:17] offset0:8 offset1:9
	ds_write2_b64 v84, v[10:11], v[12:13] offset0:10 offset1:11
	;; [unrolled: 1-line block ×4, first 2 shown]
	ds_read2_b64 v[46:49], v1 offset1:1
	s_waitcnt lgkmcnt(0)
	v_cmp_neq_f64_e32 vcc, 0, v[46:47]
	v_cmp_neq_f64_e64 s[2:3], 0, v[48:49]
	s_or_b64 s[2:3], vcc, s[2:3]
	s_and_b64 exec, exec, s[2:3]
	s_cbranch_execz .LBB15_35
; %bb.30:
	v_cmp_ngt_f64_e64 s[2:3], |v[46:47]|, |v[48:49]|
                                        ; implicit-def: $vgpr50_vgpr51
	s_and_saveexec_b64 s[6:7], s[2:3]
	s_xor_b64 s[2:3], exec, s[6:7]
                                        ; implicit-def: $vgpr52_vgpr53
	s_cbranch_execz .LBB15_32
; %bb.31:
	v_div_scale_f64 v[50:51], s[6:7], v[48:49], v[48:49], v[46:47]
	v_rcp_f64_e32 v[52:53], v[50:51]
	v_fma_f64 v[54:55], -v[50:51], v[52:53], 1.0
	v_fma_f64 v[52:53], v[52:53], v[54:55], v[52:53]
	v_div_scale_f64 v[54:55], vcc, v[46:47], v[48:49], v[46:47]
	v_fma_f64 v[56:57], -v[50:51], v[52:53], 1.0
	v_fma_f64 v[52:53], v[52:53], v[56:57], v[52:53]
	v_mul_f64 v[56:57], v[54:55], v[52:53]
	v_fma_f64 v[50:51], -v[50:51], v[56:57], v[54:55]
	v_div_fmas_f64 v[50:51], v[50:51], v[52:53], v[56:57]
	v_div_fixup_f64 v[50:51], v[50:51], v[48:49], v[46:47]
	v_fma_f64 v[46:47], v[46:47], v[50:51], v[48:49]
	v_div_scale_f64 v[48:49], s[6:7], v[46:47], v[46:47], 1.0
	v_div_scale_f64 v[56:57], vcc, 1.0, v[46:47], 1.0
	v_rcp_f64_e32 v[52:53], v[48:49]
	v_fma_f64 v[54:55], -v[48:49], v[52:53], 1.0
	v_fma_f64 v[52:53], v[52:53], v[54:55], v[52:53]
	v_fma_f64 v[54:55], -v[48:49], v[52:53], 1.0
	v_fma_f64 v[52:53], v[52:53], v[54:55], v[52:53]
	v_mul_f64 v[54:55], v[56:57], v[52:53]
	v_fma_f64 v[48:49], -v[48:49], v[54:55], v[56:57]
	v_div_fmas_f64 v[48:49], v[48:49], v[52:53], v[54:55]
	v_div_fixup_f64 v[52:53], v[48:49], v[46:47], 1.0
                                        ; implicit-def: $vgpr46_vgpr47
	v_mul_f64 v[50:51], v[50:51], v[52:53]
	v_xor_b32_e32 v53, 0x80000000, v53
.LBB15_32:
	s_andn2_saveexec_b64 s[2:3], s[2:3]
	s_cbranch_execz .LBB15_34
; %bb.33:
	v_div_scale_f64 v[50:51], s[6:7], v[46:47], v[46:47], v[48:49]
	v_rcp_f64_e32 v[52:53], v[50:51]
	v_fma_f64 v[54:55], -v[50:51], v[52:53], 1.0
	v_fma_f64 v[52:53], v[52:53], v[54:55], v[52:53]
	v_div_scale_f64 v[54:55], vcc, v[48:49], v[46:47], v[48:49]
	v_fma_f64 v[56:57], -v[50:51], v[52:53], 1.0
	v_fma_f64 v[52:53], v[52:53], v[56:57], v[52:53]
	v_mul_f64 v[56:57], v[54:55], v[52:53]
	v_fma_f64 v[50:51], -v[50:51], v[56:57], v[54:55]
	v_div_fmas_f64 v[50:51], v[50:51], v[52:53], v[56:57]
	v_div_fixup_f64 v[52:53], v[50:51], v[46:47], v[48:49]
	v_fma_f64 v[46:47], v[48:49], v[52:53], v[46:47]
	v_div_scale_f64 v[48:49], s[6:7], v[46:47], v[46:47], 1.0
	v_div_scale_f64 v[56:57], vcc, 1.0, v[46:47], 1.0
	v_rcp_f64_e32 v[50:51], v[48:49]
	v_fma_f64 v[54:55], -v[48:49], v[50:51], 1.0
	v_fma_f64 v[50:51], v[50:51], v[54:55], v[50:51]
	v_fma_f64 v[54:55], -v[48:49], v[50:51], 1.0
	v_fma_f64 v[50:51], v[50:51], v[54:55], v[50:51]
	v_mul_f64 v[54:55], v[56:57], v[50:51]
	v_fma_f64 v[48:49], -v[48:49], v[54:55], v[56:57]
	v_div_fmas_f64 v[48:49], v[48:49], v[50:51], v[54:55]
	v_div_fixup_f64 v[50:51], v[48:49], v[46:47], 1.0
	v_mul_f64 v[52:53], v[52:53], -v[50:51]
.LBB15_34:
	s_or_b64 exec, exec, s[2:3]
	ds_write2_b64 v1, v[50:51], v[52:53] offset1:1
.LBB15_35:
	s_or_b64 exec, exec, s[4:5]
	s_waitcnt lgkmcnt(0)
	s_barrier
	ds_read2_b64 v[46:49], v1 offset1:1
	v_cmp_lt_u32_e32 vcc, 3, v0
	s_and_saveexec_b64 s[2:3], vcc
	s_cbranch_execz .LBB15_37
; %bb.36:
	s_waitcnt lgkmcnt(0)
	v_mul_f64 v[50:51], v[46:47], v[20:21]
	v_mul_f64 v[20:21], v[48:49], v[20:21]
	v_fma_f64 v[54:55], v[48:49], v[18:19], v[50:51]
	ds_read2_b64 v[50:53], v84 offset0:8 offset1:9
	v_fma_f64 v[18:19], v[46:47], v[18:19], -v[20:21]
	s_waitcnt lgkmcnt(0)
	v_mul_f64 v[20:21], v[52:53], v[54:55]
	v_fma_f64 v[20:21], v[50:51], v[18:19], -v[20:21]
	v_mul_f64 v[50:51], v[50:51], v[54:55]
	v_add_f64 v[14:15], v[14:15], -v[20:21]
	v_fma_f64 v[50:51], v[52:53], v[18:19], v[50:51]
	v_add_f64 v[16:17], v[16:17], -v[50:51]
	ds_read2_b64 v[50:53], v84 offset0:10 offset1:11
	s_waitcnt lgkmcnt(0)
	v_mul_f64 v[20:21], v[52:53], v[54:55]
	v_fma_f64 v[20:21], v[50:51], v[18:19], -v[20:21]
	v_mul_f64 v[50:51], v[50:51], v[54:55]
	v_add_f64 v[10:11], v[10:11], -v[20:21]
	v_fma_f64 v[50:51], v[52:53], v[18:19], v[50:51]
	v_add_f64 v[12:13], v[12:13], -v[50:51]
	ds_read2_b64 v[50:53], v84 offset0:12 offset1:13
	;; [unrolled: 8-line block ×3, first 2 shown]
	s_waitcnt lgkmcnt(0)
	v_mul_f64 v[20:21], v[52:53], v[54:55]
	v_fma_f64 v[20:21], v[50:51], v[18:19], -v[20:21]
	v_mul_f64 v[50:51], v[50:51], v[54:55]
	v_add_f64 v[6:7], v[6:7], -v[20:21]
	v_fma_f64 v[50:51], v[52:53], v[18:19], v[50:51]
	v_mov_b32_e32 v20, v54
	v_mov_b32_e32 v21, v55
	v_add_f64 v[8:9], v[8:9], -v[50:51]
.LBB15_37:
	s_or_b64 exec, exec, s[2:3]
	v_cmp_eq_u32_e32 vcc, 4, v0
	s_waitcnt lgkmcnt(0)
	s_barrier
	s_and_saveexec_b64 s[4:5], vcc
	s_cbranch_execz .LBB15_44
; %bb.38:
	ds_write2_b64 v1, v[14:15], v[16:17] offset1:1
	ds_write2_b64 v84, v[10:11], v[12:13] offset0:10 offset1:11
	ds_write2_b64 v84, v[2:3], v[4:5] offset0:12 offset1:13
	;; [unrolled: 1-line block ×3, first 2 shown]
	ds_read2_b64 v[50:53], v1 offset1:1
	s_waitcnt lgkmcnt(0)
	v_cmp_neq_f64_e32 vcc, 0, v[50:51]
	v_cmp_neq_f64_e64 s[2:3], 0, v[52:53]
	s_or_b64 s[2:3], vcc, s[2:3]
	s_and_b64 exec, exec, s[2:3]
	s_cbranch_execz .LBB15_44
; %bb.39:
	v_cmp_ngt_f64_e64 s[2:3], |v[50:51]|, |v[52:53]|
                                        ; implicit-def: $vgpr54_vgpr55
	s_and_saveexec_b64 s[6:7], s[2:3]
	s_xor_b64 s[2:3], exec, s[6:7]
                                        ; implicit-def: $vgpr56_vgpr57
	s_cbranch_execz .LBB15_41
; %bb.40:
	v_div_scale_f64 v[54:55], s[6:7], v[52:53], v[52:53], v[50:51]
	v_rcp_f64_e32 v[56:57], v[54:55]
	v_fma_f64 v[58:59], -v[54:55], v[56:57], 1.0
	v_fma_f64 v[56:57], v[56:57], v[58:59], v[56:57]
	v_div_scale_f64 v[58:59], vcc, v[50:51], v[52:53], v[50:51]
	v_fma_f64 v[60:61], -v[54:55], v[56:57], 1.0
	v_fma_f64 v[56:57], v[56:57], v[60:61], v[56:57]
	v_mul_f64 v[60:61], v[58:59], v[56:57]
	v_fma_f64 v[54:55], -v[54:55], v[60:61], v[58:59]
	v_div_fmas_f64 v[54:55], v[54:55], v[56:57], v[60:61]
	v_div_fixup_f64 v[54:55], v[54:55], v[52:53], v[50:51]
	v_fma_f64 v[50:51], v[50:51], v[54:55], v[52:53]
	v_div_scale_f64 v[52:53], s[6:7], v[50:51], v[50:51], 1.0
	v_div_scale_f64 v[60:61], vcc, 1.0, v[50:51], 1.0
	v_rcp_f64_e32 v[56:57], v[52:53]
	v_fma_f64 v[58:59], -v[52:53], v[56:57], 1.0
	v_fma_f64 v[56:57], v[56:57], v[58:59], v[56:57]
	v_fma_f64 v[58:59], -v[52:53], v[56:57], 1.0
	v_fma_f64 v[56:57], v[56:57], v[58:59], v[56:57]
	v_mul_f64 v[58:59], v[60:61], v[56:57]
	v_fma_f64 v[52:53], -v[52:53], v[58:59], v[60:61]
	v_div_fmas_f64 v[52:53], v[52:53], v[56:57], v[58:59]
	v_div_fixup_f64 v[56:57], v[52:53], v[50:51], 1.0
                                        ; implicit-def: $vgpr50_vgpr51
	v_mul_f64 v[54:55], v[54:55], v[56:57]
	v_xor_b32_e32 v57, 0x80000000, v57
.LBB15_41:
	s_andn2_saveexec_b64 s[2:3], s[2:3]
	s_cbranch_execz .LBB15_43
; %bb.42:
	v_div_scale_f64 v[54:55], s[6:7], v[50:51], v[50:51], v[52:53]
	v_rcp_f64_e32 v[56:57], v[54:55]
	v_fma_f64 v[58:59], -v[54:55], v[56:57], 1.0
	v_fma_f64 v[56:57], v[56:57], v[58:59], v[56:57]
	v_div_scale_f64 v[58:59], vcc, v[52:53], v[50:51], v[52:53]
	v_fma_f64 v[60:61], -v[54:55], v[56:57], 1.0
	v_fma_f64 v[56:57], v[56:57], v[60:61], v[56:57]
	v_mul_f64 v[60:61], v[58:59], v[56:57]
	v_fma_f64 v[54:55], -v[54:55], v[60:61], v[58:59]
	v_div_fmas_f64 v[54:55], v[54:55], v[56:57], v[60:61]
	v_div_fixup_f64 v[56:57], v[54:55], v[50:51], v[52:53]
	v_fma_f64 v[50:51], v[52:53], v[56:57], v[50:51]
	v_div_scale_f64 v[52:53], s[6:7], v[50:51], v[50:51], 1.0
	v_div_scale_f64 v[60:61], vcc, 1.0, v[50:51], 1.0
	v_rcp_f64_e32 v[54:55], v[52:53]
	v_fma_f64 v[58:59], -v[52:53], v[54:55], 1.0
	v_fma_f64 v[54:55], v[54:55], v[58:59], v[54:55]
	v_fma_f64 v[58:59], -v[52:53], v[54:55], 1.0
	v_fma_f64 v[54:55], v[54:55], v[58:59], v[54:55]
	v_mul_f64 v[58:59], v[60:61], v[54:55]
	v_fma_f64 v[52:53], -v[52:53], v[58:59], v[60:61]
	v_div_fmas_f64 v[52:53], v[52:53], v[54:55], v[58:59]
	v_div_fixup_f64 v[54:55], v[52:53], v[50:51], 1.0
	v_mul_f64 v[56:57], v[56:57], -v[54:55]
.LBB15_43:
	s_or_b64 exec, exec, s[2:3]
	ds_write2_b64 v1, v[54:55], v[56:57] offset1:1
.LBB15_44:
	s_or_b64 exec, exec, s[4:5]
	s_waitcnt lgkmcnt(0)
	s_barrier
	ds_read2_b64 v[50:53], v1 offset1:1
	v_cmp_lt_u32_e32 vcc, 4, v0
	s_and_saveexec_b64 s[2:3], vcc
	s_cbranch_execz .LBB15_46
; %bb.45:
	s_waitcnt lgkmcnt(0)
	v_mul_f64 v[54:55], v[50:51], v[16:17]
	v_mul_f64 v[16:17], v[52:53], v[16:17]
	v_fma_f64 v[58:59], v[52:53], v[14:15], v[54:55]
	ds_read2_b64 v[54:57], v84 offset0:10 offset1:11
	v_fma_f64 v[14:15], v[50:51], v[14:15], -v[16:17]
	s_waitcnt lgkmcnt(0)
	v_mul_f64 v[16:17], v[56:57], v[58:59]
	v_fma_f64 v[16:17], v[54:55], v[14:15], -v[16:17]
	v_mul_f64 v[54:55], v[54:55], v[58:59]
	v_add_f64 v[10:11], v[10:11], -v[16:17]
	v_fma_f64 v[54:55], v[56:57], v[14:15], v[54:55]
	v_add_f64 v[12:13], v[12:13], -v[54:55]
	ds_read2_b64 v[54:57], v84 offset0:12 offset1:13
	s_waitcnt lgkmcnt(0)
	v_mul_f64 v[16:17], v[56:57], v[58:59]
	v_fma_f64 v[16:17], v[54:55], v[14:15], -v[16:17]
	v_mul_f64 v[54:55], v[54:55], v[58:59]
	v_add_f64 v[2:3], v[2:3], -v[16:17]
	v_fma_f64 v[54:55], v[56:57], v[14:15], v[54:55]
	v_add_f64 v[4:5], v[4:5], -v[54:55]
	ds_read2_b64 v[54:57], v84 offset0:14 offset1:15
	s_waitcnt lgkmcnt(0)
	v_mul_f64 v[16:17], v[56:57], v[58:59]
	v_fma_f64 v[16:17], v[54:55], v[14:15], -v[16:17]
	v_mul_f64 v[54:55], v[54:55], v[58:59]
	v_add_f64 v[6:7], v[6:7], -v[16:17]
	v_fma_f64 v[54:55], v[56:57], v[14:15], v[54:55]
	v_mov_b32_e32 v16, v58
	v_mov_b32_e32 v17, v59
	v_add_f64 v[8:9], v[8:9], -v[54:55]
.LBB15_46:
	s_or_b64 exec, exec, s[2:3]
	v_cmp_eq_u32_e32 vcc, 5, v0
	s_waitcnt lgkmcnt(0)
	s_barrier
	s_and_saveexec_b64 s[4:5], vcc
	s_cbranch_execz .LBB15_53
; %bb.47:
	ds_write2_b64 v1, v[10:11], v[12:13] offset1:1
	ds_write2_b64 v84, v[2:3], v[4:5] offset0:12 offset1:13
	ds_write2_b64 v84, v[6:7], v[8:9] offset0:14 offset1:15
	ds_read2_b64 v[54:57], v1 offset1:1
	s_waitcnt lgkmcnt(0)
	v_cmp_neq_f64_e32 vcc, 0, v[54:55]
	v_cmp_neq_f64_e64 s[2:3], 0, v[56:57]
	s_or_b64 s[2:3], vcc, s[2:3]
	s_and_b64 exec, exec, s[2:3]
	s_cbranch_execz .LBB15_53
; %bb.48:
	v_cmp_ngt_f64_e64 s[2:3], |v[54:55]|, |v[56:57]|
                                        ; implicit-def: $vgpr58_vgpr59
	s_and_saveexec_b64 s[6:7], s[2:3]
	s_xor_b64 s[2:3], exec, s[6:7]
                                        ; implicit-def: $vgpr60_vgpr61
	s_cbranch_execz .LBB15_50
; %bb.49:
	v_div_scale_f64 v[58:59], s[6:7], v[56:57], v[56:57], v[54:55]
	v_rcp_f64_e32 v[60:61], v[58:59]
	v_fma_f64 v[62:63], -v[58:59], v[60:61], 1.0
	v_fma_f64 v[60:61], v[60:61], v[62:63], v[60:61]
	v_div_scale_f64 v[62:63], vcc, v[54:55], v[56:57], v[54:55]
	v_fma_f64 v[64:65], -v[58:59], v[60:61], 1.0
	v_fma_f64 v[60:61], v[60:61], v[64:65], v[60:61]
	v_mul_f64 v[64:65], v[62:63], v[60:61]
	v_fma_f64 v[58:59], -v[58:59], v[64:65], v[62:63]
	v_div_fmas_f64 v[58:59], v[58:59], v[60:61], v[64:65]
	v_div_fixup_f64 v[58:59], v[58:59], v[56:57], v[54:55]
	v_fma_f64 v[54:55], v[54:55], v[58:59], v[56:57]
	v_div_scale_f64 v[56:57], s[6:7], v[54:55], v[54:55], 1.0
	v_div_scale_f64 v[64:65], vcc, 1.0, v[54:55], 1.0
	v_rcp_f64_e32 v[60:61], v[56:57]
	v_fma_f64 v[62:63], -v[56:57], v[60:61], 1.0
	v_fma_f64 v[60:61], v[60:61], v[62:63], v[60:61]
	v_fma_f64 v[62:63], -v[56:57], v[60:61], 1.0
	v_fma_f64 v[60:61], v[60:61], v[62:63], v[60:61]
	v_mul_f64 v[62:63], v[64:65], v[60:61]
	v_fma_f64 v[56:57], -v[56:57], v[62:63], v[64:65]
	v_div_fmas_f64 v[56:57], v[56:57], v[60:61], v[62:63]
	v_div_fixup_f64 v[60:61], v[56:57], v[54:55], 1.0
                                        ; implicit-def: $vgpr54_vgpr55
	v_mul_f64 v[58:59], v[58:59], v[60:61]
	v_xor_b32_e32 v61, 0x80000000, v61
.LBB15_50:
	s_andn2_saveexec_b64 s[2:3], s[2:3]
	s_cbranch_execz .LBB15_52
; %bb.51:
	v_div_scale_f64 v[58:59], s[6:7], v[54:55], v[54:55], v[56:57]
	v_rcp_f64_e32 v[60:61], v[58:59]
	v_fma_f64 v[62:63], -v[58:59], v[60:61], 1.0
	v_fma_f64 v[60:61], v[60:61], v[62:63], v[60:61]
	v_div_scale_f64 v[62:63], vcc, v[56:57], v[54:55], v[56:57]
	v_fma_f64 v[64:65], -v[58:59], v[60:61], 1.0
	v_fma_f64 v[60:61], v[60:61], v[64:65], v[60:61]
	v_mul_f64 v[64:65], v[62:63], v[60:61]
	v_fma_f64 v[58:59], -v[58:59], v[64:65], v[62:63]
	v_div_fmas_f64 v[58:59], v[58:59], v[60:61], v[64:65]
	v_div_fixup_f64 v[60:61], v[58:59], v[54:55], v[56:57]
	v_fma_f64 v[54:55], v[56:57], v[60:61], v[54:55]
	v_div_scale_f64 v[56:57], s[6:7], v[54:55], v[54:55], 1.0
	v_div_scale_f64 v[64:65], vcc, 1.0, v[54:55], 1.0
	v_rcp_f64_e32 v[58:59], v[56:57]
	v_fma_f64 v[62:63], -v[56:57], v[58:59], 1.0
	v_fma_f64 v[58:59], v[58:59], v[62:63], v[58:59]
	v_fma_f64 v[62:63], -v[56:57], v[58:59], 1.0
	v_fma_f64 v[58:59], v[58:59], v[62:63], v[58:59]
	v_mul_f64 v[62:63], v[64:65], v[58:59]
	v_fma_f64 v[56:57], -v[56:57], v[62:63], v[64:65]
	v_div_fmas_f64 v[56:57], v[56:57], v[58:59], v[62:63]
	v_div_fixup_f64 v[58:59], v[56:57], v[54:55], 1.0
	v_mul_f64 v[60:61], v[60:61], -v[58:59]
.LBB15_52:
	s_or_b64 exec, exec, s[2:3]
	ds_write2_b64 v1, v[58:59], v[60:61] offset1:1
.LBB15_53:
	s_or_b64 exec, exec, s[4:5]
	s_waitcnt lgkmcnt(0)
	s_barrier
	ds_read2_b64 v[54:57], v1 offset1:1
	v_cmp_lt_u32_e32 vcc, 5, v0
	s_and_saveexec_b64 s[2:3], vcc
	s_cbranch_execz .LBB15_55
; %bb.54:
	s_waitcnt lgkmcnt(0)
	v_mul_f64 v[58:59], v[54:55], v[12:13]
	v_mul_f64 v[12:13], v[56:57], v[12:13]
	v_fma_f64 v[85:86], v[56:57], v[10:11], v[58:59]
	ds_read2_b64 v[58:61], v84 offset0:12 offset1:13
	ds_read2_b64 v[62:65], v84 offset0:14 offset1:15
	v_fma_f64 v[10:11], v[54:55], v[10:11], -v[12:13]
	s_waitcnt lgkmcnt(1)
	v_mul_f64 v[12:13], v[60:61], v[85:86]
	v_mul_f64 v[87:88], v[58:59], v[85:86]
	s_waitcnt lgkmcnt(0)
	v_mul_f64 v[89:90], v[64:65], v[85:86]
	v_mul_f64 v[91:92], v[62:63], v[85:86]
	v_fma_f64 v[12:13], v[58:59], v[10:11], -v[12:13]
	v_fma_f64 v[58:59], v[60:61], v[10:11], v[87:88]
	v_fma_f64 v[60:61], v[62:63], v[10:11], -v[89:90]
	v_fma_f64 v[62:63], v[64:65], v[10:11], v[91:92]
	v_add_f64 v[2:3], v[2:3], -v[12:13]
	v_add_f64 v[4:5], v[4:5], -v[58:59]
	;; [unrolled: 1-line block ×4, first 2 shown]
	v_mov_b32_e32 v12, v85
	v_mov_b32_e32 v13, v86
.LBB15_55:
	s_or_b64 exec, exec, s[2:3]
	v_cmp_eq_u32_e32 vcc, 6, v0
	s_waitcnt lgkmcnt(0)
	s_barrier
	s_and_saveexec_b64 s[4:5], vcc
	s_cbranch_execz .LBB15_62
; %bb.56:
	ds_write2_b64 v1, v[2:3], v[4:5] offset1:1
	ds_write2_b64 v84, v[6:7], v[8:9] offset0:14 offset1:15
	ds_read2_b64 v[58:61], v1 offset1:1
	s_waitcnt lgkmcnt(0)
	v_cmp_neq_f64_e32 vcc, 0, v[58:59]
	v_cmp_neq_f64_e64 s[2:3], 0, v[60:61]
	s_or_b64 s[2:3], vcc, s[2:3]
	s_and_b64 exec, exec, s[2:3]
	s_cbranch_execz .LBB15_62
; %bb.57:
	v_cmp_ngt_f64_e64 s[2:3], |v[58:59]|, |v[60:61]|
                                        ; implicit-def: $vgpr62_vgpr63
	s_and_saveexec_b64 s[6:7], s[2:3]
	s_xor_b64 s[2:3], exec, s[6:7]
                                        ; implicit-def: $vgpr64_vgpr65
	s_cbranch_execz .LBB15_59
; %bb.58:
	v_div_scale_f64 v[62:63], s[6:7], v[60:61], v[60:61], v[58:59]
	v_rcp_f64_e32 v[64:65], v[62:63]
	v_fma_f64 v[85:86], -v[62:63], v[64:65], 1.0
	v_fma_f64 v[64:65], v[64:65], v[85:86], v[64:65]
	v_div_scale_f64 v[85:86], vcc, v[58:59], v[60:61], v[58:59]
	v_fma_f64 v[87:88], -v[62:63], v[64:65], 1.0
	v_fma_f64 v[64:65], v[64:65], v[87:88], v[64:65]
	v_mul_f64 v[87:88], v[85:86], v[64:65]
	v_fma_f64 v[62:63], -v[62:63], v[87:88], v[85:86]
	v_div_fmas_f64 v[62:63], v[62:63], v[64:65], v[87:88]
	v_div_fixup_f64 v[62:63], v[62:63], v[60:61], v[58:59]
	v_fma_f64 v[58:59], v[58:59], v[62:63], v[60:61]
	v_div_scale_f64 v[60:61], s[6:7], v[58:59], v[58:59], 1.0
	v_div_scale_f64 v[87:88], vcc, 1.0, v[58:59], 1.0
	v_rcp_f64_e32 v[64:65], v[60:61]
	v_fma_f64 v[85:86], -v[60:61], v[64:65], 1.0
	v_fma_f64 v[64:65], v[64:65], v[85:86], v[64:65]
	v_fma_f64 v[85:86], -v[60:61], v[64:65], 1.0
	v_fma_f64 v[64:65], v[64:65], v[85:86], v[64:65]
	v_mul_f64 v[85:86], v[87:88], v[64:65]
	v_fma_f64 v[60:61], -v[60:61], v[85:86], v[87:88]
	v_div_fmas_f64 v[60:61], v[60:61], v[64:65], v[85:86]
	v_div_fixup_f64 v[64:65], v[60:61], v[58:59], 1.0
                                        ; implicit-def: $vgpr58_vgpr59
	v_mul_f64 v[62:63], v[62:63], v[64:65]
	v_xor_b32_e32 v65, 0x80000000, v65
.LBB15_59:
	s_andn2_saveexec_b64 s[2:3], s[2:3]
	s_cbranch_execz .LBB15_61
; %bb.60:
	v_div_scale_f64 v[62:63], s[6:7], v[58:59], v[58:59], v[60:61]
	v_rcp_f64_e32 v[64:65], v[62:63]
	v_fma_f64 v[85:86], -v[62:63], v[64:65], 1.0
	v_fma_f64 v[64:65], v[64:65], v[85:86], v[64:65]
	v_div_scale_f64 v[85:86], vcc, v[60:61], v[58:59], v[60:61]
	v_fma_f64 v[87:88], -v[62:63], v[64:65], 1.0
	v_fma_f64 v[64:65], v[64:65], v[87:88], v[64:65]
	v_mul_f64 v[87:88], v[85:86], v[64:65]
	v_fma_f64 v[62:63], -v[62:63], v[87:88], v[85:86]
	v_div_fmas_f64 v[62:63], v[62:63], v[64:65], v[87:88]
	v_div_fixup_f64 v[64:65], v[62:63], v[58:59], v[60:61]
	v_fma_f64 v[58:59], v[60:61], v[64:65], v[58:59]
	v_div_scale_f64 v[60:61], s[6:7], v[58:59], v[58:59], 1.0
	v_div_scale_f64 v[87:88], vcc, 1.0, v[58:59], 1.0
	v_rcp_f64_e32 v[62:63], v[60:61]
	v_fma_f64 v[85:86], -v[60:61], v[62:63], 1.0
	v_fma_f64 v[62:63], v[62:63], v[85:86], v[62:63]
	v_fma_f64 v[85:86], -v[60:61], v[62:63], 1.0
	v_fma_f64 v[62:63], v[62:63], v[85:86], v[62:63]
	v_mul_f64 v[85:86], v[87:88], v[62:63]
	v_fma_f64 v[60:61], -v[60:61], v[85:86], v[87:88]
	v_div_fmas_f64 v[60:61], v[60:61], v[62:63], v[85:86]
	v_div_fixup_f64 v[62:63], v[60:61], v[58:59], 1.0
	v_mul_f64 v[64:65], v[64:65], -v[62:63]
.LBB15_61:
	s_or_b64 exec, exec, s[2:3]
	ds_write2_b64 v1, v[62:63], v[64:65] offset1:1
.LBB15_62:
	s_or_b64 exec, exec, s[4:5]
	s_waitcnt lgkmcnt(0)
	s_barrier
	ds_read2_b64 v[58:61], v1 offset1:1
	v_cmp_lt_u32_e32 vcc, 6, v0
	s_and_saveexec_b64 s[2:3], vcc
	s_cbranch_execz .LBB15_64
; %bb.63:
	s_waitcnt lgkmcnt(0)
	v_mul_f64 v[62:63], v[58:59], v[4:5]
	v_mul_f64 v[4:5], v[60:61], v[4:5]
	v_fma_f64 v[85:86], v[60:61], v[2:3], v[62:63]
	ds_read2_b64 v[62:65], v84 offset0:14 offset1:15
	v_fma_f64 v[2:3], v[58:59], v[2:3], -v[4:5]
	s_waitcnt lgkmcnt(0)
	v_mul_f64 v[4:5], v[64:65], v[85:86]
	v_mul_f64 v[87:88], v[62:63], v[85:86]
	v_fma_f64 v[4:5], v[62:63], v[2:3], -v[4:5]
	v_fma_f64 v[62:63], v[64:65], v[2:3], v[87:88]
	v_add_f64 v[6:7], v[6:7], -v[4:5]
	v_add_f64 v[8:9], v[8:9], -v[62:63]
	v_mov_b32_e32 v4, v85
	v_mov_b32_e32 v5, v86
.LBB15_64:
	s_or_b64 exec, exec, s[2:3]
	v_cmp_eq_u32_e32 vcc, 7, v0
	s_waitcnt lgkmcnt(0)
	s_barrier
	s_and_saveexec_b64 s[4:5], vcc
	s_cbranch_execz .LBB15_71
; %bb.65:
	v_cmp_neq_f64_e32 vcc, 0, v[6:7]
	v_cmp_neq_f64_e64 s[2:3], 0, v[8:9]
	ds_write2_b64 v1, v[6:7], v[8:9] offset1:1
	s_or_b64 s[2:3], vcc, s[2:3]
	s_and_b64 exec, exec, s[2:3]
	s_cbranch_execz .LBB15_71
; %bb.66:
	v_cmp_ngt_f64_e64 s[2:3], |v[6:7]|, |v[8:9]|
                                        ; implicit-def: $vgpr62_vgpr63
	s_and_saveexec_b64 s[6:7], s[2:3]
	s_xor_b64 s[2:3], exec, s[6:7]
                                        ; implicit-def: $vgpr64_vgpr65
	s_cbranch_execz .LBB15_68
; %bb.67:
	v_div_scale_f64 v[62:63], s[6:7], v[8:9], v[8:9], v[6:7]
	v_rcp_f64_e32 v[64:65], v[62:63]
	v_fma_f64 v[84:85], -v[62:63], v[64:65], 1.0
	v_fma_f64 v[64:65], v[64:65], v[84:85], v[64:65]
	v_div_scale_f64 v[84:85], vcc, v[6:7], v[8:9], v[6:7]
	v_fma_f64 v[86:87], -v[62:63], v[64:65], 1.0
	v_fma_f64 v[64:65], v[64:65], v[86:87], v[64:65]
	v_mul_f64 v[86:87], v[84:85], v[64:65]
	v_fma_f64 v[62:63], -v[62:63], v[86:87], v[84:85]
	v_div_fmas_f64 v[62:63], v[62:63], v[64:65], v[86:87]
	v_div_fixup_f64 v[62:63], v[62:63], v[8:9], v[6:7]
	v_fma_f64 v[64:65], v[6:7], v[62:63], v[8:9]
	v_div_scale_f64 v[84:85], s[6:7], v[64:65], v[64:65], 1.0
	v_div_scale_f64 v[90:91], vcc, 1.0, v[64:65], 1.0
	v_rcp_f64_e32 v[86:87], v[84:85]
	v_fma_f64 v[88:89], -v[84:85], v[86:87], 1.0
	v_fma_f64 v[86:87], v[86:87], v[88:89], v[86:87]
	v_fma_f64 v[88:89], -v[84:85], v[86:87], 1.0
	v_fma_f64 v[86:87], v[86:87], v[88:89], v[86:87]
	v_mul_f64 v[88:89], v[90:91], v[86:87]
	v_fma_f64 v[84:85], -v[84:85], v[88:89], v[90:91]
	v_div_fmas_f64 v[84:85], v[84:85], v[86:87], v[88:89]
	v_div_fixup_f64 v[64:65], v[84:85], v[64:65], 1.0
	v_mul_f64 v[62:63], v[62:63], v[64:65]
	v_xor_b32_e32 v65, 0x80000000, v65
.LBB15_68:
	s_andn2_saveexec_b64 s[2:3], s[2:3]
	s_cbranch_execz .LBB15_70
; %bb.69:
	v_div_scale_f64 v[62:63], s[6:7], v[6:7], v[6:7], v[8:9]
	v_rcp_f64_e32 v[64:65], v[62:63]
	v_fma_f64 v[84:85], -v[62:63], v[64:65], 1.0
	v_fma_f64 v[64:65], v[64:65], v[84:85], v[64:65]
	v_div_scale_f64 v[84:85], vcc, v[8:9], v[6:7], v[8:9]
	v_fma_f64 v[86:87], -v[62:63], v[64:65], 1.0
	v_fma_f64 v[64:65], v[64:65], v[86:87], v[64:65]
	v_mul_f64 v[86:87], v[84:85], v[64:65]
	v_fma_f64 v[62:63], -v[62:63], v[86:87], v[84:85]
	v_div_fmas_f64 v[62:63], v[62:63], v[64:65], v[86:87]
	v_div_fixup_f64 v[64:65], v[62:63], v[6:7], v[8:9]
	v_fma_f64 v[62:63], v[8:9], v[64:65], v[6:7]
	v_div_scale_f64 v[84:85], s[6:7], v[62:63], v[62:63], 1.0
	v_div_scale_f64 v[90:91], vcc, 1.0, v[62:63], 1.0
	v_rcp_f64_e32 v[86:87], v[84:85]
	v_fma_f64 v[88:89], -v[84:85], v[86:87], 1.0
	v_fma_f64 v[86:87], v[86:87], v[88:89], v[86:87]
	v_fma_f64 v[88:89], -v[84:85], v[86:87], 1.0
	v_fma_f64 v[86:87], v[86:87], v[88:89], v[86:87]
	v_mul_f64 v[88:89], v[90:91], v[86:87]
	v_fma_f64 v[84:85], -v[84:85], v[88:89], v[90:91]
	v_div_fmas_f64 v[84:85], v[84:85], v[86:87], v[88:89]
	v_div_fixup_f64 v[62:63], v[84:85], v[62:63], 1.0
	v_mul_f64 v[64:65], v[64:65], -v[62:63]
.LBB15_70:
	s_or_b64 exec, exec, s[2:3]
	ds_write2_b64 v1, v[62:63], v[64:65] offset1:1
.LBB15_71:
	s_or_b64 exec, exec, s[4:5]
	s_waitcnt lgkmcnt(0)
	s_barrier
	ds_read2_b64 v[62:65], v1 offset1:1
	s_waitcnt lgkmcnt(0)
	s_barrier
	s_and_saveexec_b64 s[34:35], s[0:1]
	s_cbranch_execz .LBB15_74
; %bb.72:
	v_lshlrev_b64 v[72:73], 2, v[72:73]
	v_mov_b32_e32 v1, s11
	v_add_co_u32_e32 v72, vcc, s10, v72
	v_addc_co_u32_e32 v73, vcc, v1, v73, vcc
	global_load_dword v84, v[72:73], off
	v_cmp_eq_f64_e32 vcc, 0, v[34:35]
	v_cmp_eq_f64_e64 s[0:1], 0, v[36:37]
	v_cmp_neq_f64_e64 s[2:3], 0, v[38:39]
	v_cmp_neq_f64_e64 s[4:5], 0, v[40:41]
	v_cmp_eq_f64_e64 s[6:7], 0, v[42:43]
	v_cmp_eq_f64_e64 s[8:9], 0, v[44:45]
	;; [unrolled: 1-line block ×5, first 2 shown]
	s_and_b64 s[0:1], vcc, s[0:1]
	v_cmp_eq_f64_e64 s[16:17], 0, v[52:53]
	s_or_b64 s[2:3], s[2:3], s[4:5]
	v_cndmask_b32_e64 v1, 0, 1, s[0:1]
	s_or_b64 vcc, s[2:3], s[0:1]
	v_cndmask_b32_e32 v1, 2, v1, vcc
	s_and_b64 s[4:5], s[6:7], s[8:9]
	v_cmp_eq_u32_e32 vcc, 0, v1
	v_cmp_eq_f64_e64 s[18:19], 0, v[54:55]
	v_cmp_eq_f64_e64 s[20:21], 0, v[56:57]
	s_and_b64 s[0:1], s[4:5], vcc
	v_cndmask_b32_e64 v1, v1, 3, s[0:1]
	s_and_b64 s[6:7], s[10:11], s[12:13]
	v_cmp_eq_u32_e32 vcc, 0, v1
	v_cmp_eq_f64_e64 s[22:23], 0, v[58:59]
	v_cmp_eq_f64_e64 s[24:25], 0, v[60:61]
	s_and_b64 s[0:1], s[6:7], vcc
	v_cndmask_b32_e64 v1, v1, 4, s[0:1]
	;; [unrolled: 6-line block ×3, first 2 shown]
	s_and_b64 s[10:11], s[18:19], s[20:21]
	v_cmp_eq_u32_e32 vcc, 0, v1
	s_and_b64 s[0:1], s[10:11], vcc
	v_cndmask_b32_e64 v1, v1, 6, s[0:1]
	s_and_b64 s[12:13], s[22:23], s[24:25]
	v_cmp_eq_u32_e32 vcc, 0, v1
	s_and_b64 s[0:1], s[12:13], vcc
	v_cndmask_b32_e64 v1, v1, 7, s[0:1]
	;; [unrolled: 4-line block ×3, first 2 shown]
	v_cmp_ne_u32_e64 s[0:1], 0, v1
	s_waitcnt vmcnt(0)
	v_cmp_eq_u32_e32 vcc, 0, v84
	s_and_b64 s[0:1], vcc, s[0:1]
	s_and_b64 exec, exec, s[0:1]
	s_cbranch_execz .LBB15_74
; %bb.73:
	v_add_u32_e32 v1, s31, v1
	global_store_dword v[72:73], v1, off
.LBB15_74:
	s_or_b64 exec, exec, s[34:35]
	v_mul_f64 v[34:35], v[62:63], v[8:9]
	v_mul_f64 v[36:37], v[64:65], v[8:9]
	global_store_dwordx4 v[82:83], v[30:33], off
	global_store_dwordx4 v[80:81], v[26:29], off
	v_cmp_lt_u32_e32 vcc, 7, v0
	global_store_dwordx4 v[66:67], v[22:25], off
	global_store_dwordx4 v[68:69], v[18:21], off
	;; [unrolled: 1-line block ×4, first 2 shown]
	v_fma_f64 v[30:31], v[64:65], v[6:7], v[34:35]
	v_fma_f64 v[26:27], v[62:63], v[6:7], -v[36:37]
	v_cndmask_b32_e32 v9, v9, v31, vcc
	v_cndmask_b32_e32 v8, v8, v30, vcc
	;; [unrolled: 1-line block ×4, first 2 shown]
	global_store_dwordx4 v[76:77], v[2:5], off
	global_store_dwordx4 v[78:79], v[6:9], off
.LBB15_75:
	s_endpgm
	.section	.rodata,"a",@progbits
	.p2align	6, 0x0
	.amdhsa_kernel _ZN9rocsolver6v33100L23getf2_npvt_small_kernelILi8E19rocblas_complex_numIdEiiPS3_EEvT1_T3_lS5_lPT2_S5_S5_
		.amdhsa_group_segment_fixed_size 0
		.amdhsa_private_segment_fixed_size 0
		.amdhsa_kernarg_size 312
		.amdhsa_user_sgpr_count 6
		.amdhsa_user_sgpr_private_segment_buffer 1
		.amdhsa_user_sgpr_dispatch_ptr 0
		.amdhsa_user_sgpr_queue_ptr 0
		.amdhsa_user_sgpr_kernarg_segment_ptr 1
		.amdhsa_user_sgpr_dispatch_id 0
		.amdhsa_user_sgpr_flat_scratch_init 0
		.amdhsa_user_sgpr_private_segment_size 0
		.amdhsa_uses_dynamic_stack 0
		.amdhsa_system_sgpr_private_segment_wavefront_offset 0
		.amdhsa_system_sgpr_workgroup_id_x 1
		.amdhsa_system_sgpr_workgroup_id_y 1
		.amdhsa_system_sgpr_workgroup_id_z 0
		.amdhsa_system_sgpr_workgroup_info 0
		.amdhsa_system_vgpr_workitem_id 1
		.amdhsa_next_free_vgpr 107
		.amdhsa_next_free_sgpr 36
		.amdhsa_reserve_vcc 1
		.amdhsa_reserve_flat_scratch 0
		.amdhsa_float_round_mode_32 0
		.amdhsa_float_round_mode_16_64 0
		.amdhsa_float_denorm_mode_32 3
		.amdhsa_float_denorm_mode_16_64 3
		.amdhsa_dx10_clamp 1
		.amdhsa_ieee_mode 1
		.amdhsa_fp16_overflow 0
		.amdhsa_exception_fp_ieee_invalid_op 0
		.amdhsa_exception_fp_denorm_src 0
		.amdhsa_exception_fp_ieee_div_zero 0
		.amdhsa_exception_fp_ieee_overflow 0
		.amdhsa_exception_fp_ieee_underflow 0
		.amdhsa_exception_fp_ieee_inexact 0
		.amdhsa_exception_int_div_zero 0
	.end_amdhsa_kernel
	.section	.text._ZN9rocsolver6v33100L23getf2_npvt_small_kernelILi8E19rocblas_complex_numIdEiiPS3_EEvT1_T3_lS5_lPT2_S5_S5_,"axG",@progbits,_ZN9rocsolver6v33100L23getf2_npvt_small_kernelILi8E19rocblas_complex_numIdEiiPS3_EEvT1_T3_lS5_lPT2_S5_S5_,comdat
.Lfunc_end15:
	.size	_ZN9rocsolver6v33100L23getf2_npvt_small_kernelILi8E19rocblas_complex_numIdEiiPS3_EEvT1_T3_lS5_lPT2_S5_S5_, .Lfunc_end15-_ZN9rocsolver6v33100L23getf2_npvt_small_kernelILi8E19rocblas_complex_numIdEiiPS3_EEvT1_T3_lS5_lPT2_S5_S5_
                                        ; -- End function
	.set _ZN9rocsolver6v33100L23getf2_npvt_small_kernelILi8E19rocblas_complex_numIdEiiPS3_EEvT1_T3_lS5_lPT2_S5_S5_.num_vgpr, 107
	.set _ZN9rocsolver6v33100L23getf2_npvt_small_kernelILi8E19rocblas_complex_numIdEiiPS3_EEvT1_T3_lS5_lPT2_S5_S5_.num_agpr, 0
	.set _ZN9rocsolver6v33100L23getf2_npvt_small_kernelILi8E19rocblas_complex_numIdEiiPS3_EEvT1_T3_lS5_lPT2_S5_S5_.numbered_sgpr, 36
	.set _ZN9rocsolver6v33100L23getf2_npvt_small_kernelILi8E19rocblas_complex_numIdEiiPS3_EEvT1_T3_lS5_lPT2_S5_S5_.num_named_barrier, 0
	.set _ZN9rocsolver6v33100L23getf2_npvt_small_kernelILi8E19rocblas_complex_numIdEiiPS3_EEvT1_T3_lS5_lPT2_S5_S5_.private_seg_size, 0
	.set _ZN9rocsolver6v33100L23getf2_npvt_small_kernelILi8E19rocblas_complex_numIdEiiPS3_EEvT1_T3_lS5_lPT2_S5_S5_.uses_vcc, 1
	.set _ZN9rocsolver6v33100L23getf2_npvt_small_kernelILi8E19rocblas_complex_numIdEiiPS3_EEvT1_T3_lS5_lPT2_S5_S5_.uses_flat_scratch, 0
	.set _ZN9rocsolver6v33100L23getf2_npvt_small_kernelILi8E19rocblas_complex_numIdEiiPS3_EEvT1_T3_lS5_lPT2_S5_S5_.has_dyn_sized_stack, 0
	.set _ZN9rocsolver6v33100L23getf2_npvt_small_kernelILi8E19rocblas_complex_numIdEiiPS3_EEvT1_T3_lS5_lPT2_S5_S5_.has_recursion, 0
	.set _ZN9rocsolver6v33100L23getf2_npvt_small_kernelILi8E19rocblas_complex_numIdEiiPS3_EEvT1_T3_lS5_lPT2_S5_S5_.has_indirect_call, 0
	.section	.AMDGPU.csdata,"",@progbits
; Kernel info:
; codeLenInByte = 7232
; TotalNumSgprs: 40
; NumVgprs: 107
; ScratchSize: 0
; MemoryBound: 0
; FloatMode: 240
; IeeeMode: 1
; LDSByteSize: 0 bytes/workgroup (compile time only)
; SGPRBlocks: 4
; VGPRBlocks: 26
; NumSGPRsForWavesPerEU: 40
; NumVGPRsForWavesPerEU: 107
; Occupancy: 2
; WaveLimiterHint : 0
; COMPUTE_PGM_RSRC2:SCRATCH_EN: 0
; COMPUTE_PGM_RSRC2:USER_SGPR: 6
; COMPUTE_PGM_RSRC2:TRAP_HANDLER: 0
; COMPUTE_PGM_RSRC2:TGID_X_EN: 1
; COMPUTE_PGM_RSRC2:TGID_Y_EN: 1
; COMPUTE_PGM_RSRC2:TGID_Z_EN: 0
; COMPUTE_PGM_RSRC2:TIDIG_COMP_CNT: 1
	.section	.text._ZN9rocsolver6v33100L18getf2_small_kernelILi9E19rocblas_complex_numIdEiiPS3_EEvT1_T3_lS5_lPS5_llPT2_S5_S5_S7_l,"axG",@progbits,_ZN9rocsolver6v33100L18getf2_small_kernelILi9E19rocblas_complex_numIdEiiPS3_EEvT1_T3_lS5_lPS5_llPT2_S5_S5_S7_l,comdat
	.globl	_ZN9rocsolver6v33100L18getf2_small_kernelILi9E19rocblas_complex_numIdEiiPS3_EEvT1_T3_lS5_lPS5_llPT2_S5_S5_S7_l ; -- Begin function _ZN9rocsolver6v33100L18getf2_small_kernelILi9E19rocblas_complex_numIdEiiPS3_EEvT1_T3_lS5_lPS5_llPT2_S5_S5_S7_l
	.p2align	8
	.type	_ZN9rocsolver6v33100L18getf2_small_kernelILi9E19rocblas_complex_numIdEiiPS3_EEvT1_T3_lS5_lPS5_llPT2_S5_S5_S7_l,@function
_ZN9rocsolver6v33100L18getf2_small_kernelILi9E19rocblas_complex_numIdEiiPS3_EEvT1_T3_lS5_lPS5_llPT2_S5_S5_S7_l: ; @_ZN9rocsolver6v33100L18getf2_small_kernelILi9E19rocblas_complex_numIdEiiPS3_EEvT1_T3_lS5_lPS5_llPT2_S5_S5_S7_l
; %bb.0:
	s_load_dword s0, s[4:5], 0x6c
	s_load_dwordx2 s[16:17], s[4:5], 0x48
	s_waitcnt lgkmcnt(0)
	s_lshr_b32 s0, s0, 16
	s_mul_i32 s7, s7, s0
	v_add_u32_e32 v42, s7, v1
	v_cmp_gt_i32_e32 vcc, s16, v42
	s_and_saveexec_b64 s[0:1], vcc
	s_cbranch_execz .LBB16_190
; %bb.1:
	s_load_dwordx4 s[0:3], s[4:5], 0x50
	v_mov_b32_e32 v44, 0
	v_ashrrev_i32_e32 v43, 31, v42
	v_mov_b32_e32 v45, 0
	s_waitcnt lgkmcnt(0)
	s_cmp_eq_u64 s[0:1], 0
	s_cselect_b64 s[18:19], -1, 0
	s_and_b64 vcc, exec, s[18:19]
	s_cbranch_vccnz .LBB16_3
; %bb.2:
	v_mul_lo_u32 v4, s3, v42
	v_mul_lo_u32 v5, s2, v43
	v_mad_u64_u32 v[2:3], s[2:3], s2, v42, 0
	v_add3_u32 v3, v3, v5, v4
	v_lshlrev_b64 v[2:3], 2, v[2:3]
	v_mov_b32_e32 v4, s1
	v_add_co_u32_e32 v44, vcc, s0, v2
	v_addc_co_u32_e32 v45, vcc, v4, v3, vcc
.LBB16_3:
	s_load_dwordx8 s[8:15], s[4:5], 0x20
	s_load_dwordx4 s[0:3], s[4:5], 0x8
	v_lshlrev_b32_e32 v48, 4, v0
	s_load_dwordx2 s[20:21], s[4:5], 0x40
	s_waitcnt lgkmcnt(0)
	v_mul_lo_u32 v4, s9, v42
	v_mul_lo_u32 v5, s8, v43
	v_mad_u64_u32 v[2:3], s[6:7], s8, v42, 0
	s_load_dword s6, s[4:5], 0x18
	s_load_dword s22, s[4:5], 0x0
	v_mov_b32_e32 v6, s1
	v_add3_u32 v3, v3, v5, v4
	v_lshlrev_b64 v[2:3], 4, v[2:3]
	s_waitcnt lgkmcnt(0)
	s_add_i32 s16, s6, s6
	v_add_co_u32_e32 v2, vcc, s0, v2
	v_addc_co_u32_e32 v3, vcc, v6, v3, vcc
	s_lshl_b64 s[0:1], s[2:3], 4
	v_mov_b32_e32 v4, s1
	v_add_co_u32_e32 v49, vcc, s0, v2
	v_add_u32_e32 v2, s16, v0
	v_addc_co_u32_e32 v50, vcc, v3, v4, vcc
	v_ashrrev_i32_e32 v3, 31, v2
	v_lshlrev_b64 v[3:4], 4, v[2:3]
	v_add_u32_e32 v2, s6, v2
	v_add_co_u32_e32 v38, vcc, v49, v3
	v_ashrrev_i32_e32 v3, 31, v2
	v_addc_co_u32_e32 v39, vcc, v50, v4, vcc
	v_lshlrev_b64 v[3:4], 4, v[2:3]
	v_add_u32_e32 v2, s6, v2
	v_add_co_u32_e32 v40, vcc, v49, v3
	v_ashrrev_i32_e32 v3, 31, v2
	v_addc_co_u32_e32 v41, vcc, v50, v4, vcc
	;; [unrolled: 5-line block ×5, first 2 shown]
	v_lshlrev_b64 v[3:4], 4, v[2:3]
	v_add_u32_e32 v2, s6, v2
	v_add_co_u32_e32 v55, vcc, v49, v3
	v_ashrrev_i32_e32 v3, 31, v2
	v_lshlrev_b64 v[2:3], 4, v[2:3]
	v_addc_co_u32_e32 v56, vcc, v50, v4, vcc
	v_add_co_u32_e32 v57, vcc, v49, v2
	v_addc_co_u32_e32 v58, vcc, v50, v3, vcc
	v_add_co_u32_e32 v2, vcc, v49, v48
	s_ashr_i32 s7, s6, 31
	v_addc_co_u32_e32 v3, vcc, 0, v50, vcc
	s_lshl_b64 s[8:9], s[6:7], 4
	v_mov_b32_e32 v4, s9
	v_add_co_u32_e32 v59, vcc, s8, v2
	v_addc_co_u32_e32 v60, vcc, v3, v4, vcc
	global_load_dwordx4 v[30:33], v[2:3], off
	global_load_dwordx4 v[26:29], v[59:60], off
	;; [unrolled: 1-line block ×9, first 2 shown]
	s_max_i32 s0, s22, 9
	v_mul_lo_u32 v46, s0, v1
	s_cmp_lt_i32 s22, 2
	v_lshl_add_u32 v1, v46, 4, 0
	v_add_u32_e32 v38, v1, v48
	v_lshlrev_b32_e32 v52, 4, v46
	v_mov_b32_e32 v46, 0
	s_waitcnt vmcnt(8)
	ds_write2_b64 v38, v[30:31], v[32:33] offset1:1
	s_waitcnt vmcnt(0) lgkmcnt(0)
	s_barrier
	ds_read2_b64 v[38:41], v1 offset1:1
	s_cbranch_scc1 .LBB16_6
; %bb.4:
	v_add3_u32 v47, v52, 0, 16
	s_mov_b32 s2, 1
	v_mov_b32_e32 v46, 0
.LBB16_5:                               ; =>This Inner Loop Header: Depth=1
	s_waitcnt lgkmcnt(0)
	v_cmp_gt_f64_e32 vcc, 0, v[40:41]
	v_cmp_gt_f64_e64 s[0:1], 0, v[38:39]
	ds_read2_b64 v[53:56], v47 offset1:1
	v_xor_b32_e32 v48, 0x80000000, v39
	v_xor_b32_e32 v51, 0x80000000, v41
	v_mov_b32_e32 v57, v38
	v_mov_b32_e32 v59, v40
	s_waitcnt lgkmcnt(0)
	v_mov_b32_e32 v61, v55
	v_cndmask_b32_e32 v60, v41, v51, vcc
	v_cndmask_b32_e64 v58, v39, v48, s[0:1]
	v_cmp_gt_f64_e32 vcc, 0, v[55:56]
	v_cmp_gt_f64_e64 s[0:1], 0, v[53:54]
	v_xor_b32_e32 v48, 0x80000000, v54
	v_xor_b32_e32 v51, 0x80000000, v56
	v_add_f64 v[57:58], v[57:58], v[59:60]
	v_mov_b32_e32 v59, v53
	v_add_u32_e32 v47, 16, v47
	v_cndmask_b32_e32 v62, v56, v51, vcc
	v_cndmask_b32_e64 v60, v54, v48, s[0:1]
	v_add_f64 v[59:60], v[59:60], v[61:62]
	v_mov_b32_e32 v48, s2
	s_add_i32 s2, s2, 1
	s_cmp_eq_u32 s22, s2
	v_cmp_lt_f64_e32 vcc, v[57:58], v[59:60]
	v_cndmask_b32_e32 v39, v39, v54, vcc
	v_cndmask_b32_e32 v38, v38, v53, vcc
	;; [unrolled: 1-line block ×5, first 2 shown]
	s_cbranch_scc0 .LBB16_5
.LBB16_6:
	s_waitcnt lgkmcnt(0)
	v_cmp_neq_f64_e32 vcc, 0, v[38:39]
	v_cmp_neq_f64_e64 s[0:1], 0, v[40:41]
	v_mov_b32_e32 v51, 1
	v_mov_b32_e32 v53, 1
	s_or_b64 s[2:3], vcc, s[0:1]
	s_and_saveexec_b64 s[0:1], s[2:3]
	s_cbranch_execz .LBB16_12
; %bb.7:
	v_cmp_ngt_f64_e64 s[2:3], |v[38:39]|, |v[40:41]|
	s_and_saveexec_b64 s[4:5], s[2:3]
	s_xor_b64 s[2:3], exec, s[4:5]
	s_cbranch_execz .LBB16_9
; %bb.8:
	v_div_scale_f64 v[47:48], s[4:5], v[40:41], v[40:41], v[38:39]
	v_rcp_f64_e32 v[53:54], v[47:48]
	v_fma_f64 v[55:56], -v[47:48], v[53:54], 1.0
	v_fma_f64 v[53:54], v[53:54], v[55:56], v[53:54]
	v_div_scale_f64 v[55:56], vcc, v[38:39], v[40:41], v[38:39]
	v_fma_f64 v[57:58], -v[47:48], v[53:54], 1.0
	v_fma_f64 v[53:54], v[53:54], v[57:58], v[53:54]
	v_mul_f64 v[57:58], v[55:56], v[53:54]
	v_fma_f64 v[47:48], -v[47:48], v[57:58], v[55:56]
	v_div_fmas_f64 v[47:48], v[47:48], v[53:54], v[57:58]
	v_div_fixup_f64 v[47:48], v[47:48], v[40:41], v[38:39]
	v_fma_f64 v[38:39], v[38:39], v[47:48], v[40:41]
	v_div_scale_f64 v[40:41], s[4:5], v[38:39], v[38:39], 1.0
	v_div_scale_f64 v[57:58], vcc, 1.0, v[38:39], 1.0
	v_rcp_f64_e32 v[53:54], v[40:41]
	v_fma_f64 v[55:56], -v[40:41], v[53:54], 1.0
	v_fma_f64 v[53:54], v[53:54], v[55:56], v[53:54]
	v_fma_f64 v[55:56], -v[40:41], v[53:54], 1.0
	v_fma_f64 v[53:54], v[53:54], v[55:56], v[53:54]
	v_mul_f64 v[55:56], v[57:58], v[53:54]
	v_fma_f64 v[40:41], -v[40:41], v[55:56], v[57:58]
	v_div_fmas_f64 v[40:41], v[40:41], v[53:54], v[55:56]
	v_div_fixup_f64 v[40:41], v[40:41], v[38:39], 1.0
	v_mul_f64 v[38:39], v[47:48], v[40:41]
	v_xor_b32_e32 v41, 0x80000000, v41
.LBB16_9:
	s_andn2_saveexec_b64 s[2:3], s[2:3]
	s_cbranch_execz .LBB16_11
; %bb.10:
	v_div_scale_f64 v[47:48], s[4:5], v[38:39], v[38:39], v[40:41]
	v_rcp_f64_e32 v[53:54], v[47:48]
	v_fma_f64 v[55:56], -v[47:48], v[53:54], 1.0
	v_fma_f64 v[53:54], v[53:54], v[55:56], v[53:54]
	v_div_scale_f64 v[55:56], vcc, v[40:41], v[38:39], v[40:41]
	v_fma_f64 v[57:58], -v[47:48], v[53:54], 1.0
	v_fma_f64 v[53:54], v[53:54], v[57:58], v[53:54]
	v_mul_f64 v[57:58], v[55:56], v[53:54]
	v_fma_f64 v[47:48], -v[47:48], v[57:58], v[55:56]
	v_div_fmas_f64 v[47:48], v[47:48], v[53:54], v[57:58]
	v_div_fixup_f64 v[47:48], v[47:48], v[38:39], v[40:41]
	v_fma_f64 v[38:39], v[40:41], v[47:48], v[38:39]
	v_div_scale_f64 v[40:41], s[4:5], v[38:39], v[38:39], 1.0
	v_div_scale_f64 v[57:58], vcc, 1.0, v[38:39], 1.0
	v_rcp_f64_e32 v[53:54], v[40:41]
	v_fma_f64 v[55:56], -v[40:41], v[53:54], 1.0
	v_fma_f64 v[53:54], v[53:54], v[55:56], v[53:54]
	v_fma_f64 v[55:56], -v[40:41], v[53:54], 1.0
	v_fma_f64 v[53:54], v[53:54], v[55:56], v[53:54]
	v_mul_f64 v[55:56], v[57:58], v[53:54]
	v_fma_f64 v[40:41], -v[40:41], v[55:56], v[57:58]
	v_div_fmas_f64 v[40:41], v[40:41], v[53:54], v[55:56]
	v_div_fixup_f64 v[38:39], v[40:41], v[38:39], 1.0
	v_mul_f64 v[40:41], v[47:48], -v[38:39]
.LBB16_11:
	s_or_b64 exec, exec, s[2:3]
	v_mov_b32_e32 v53, 0
	v_mov_b32_e32 v51, 2
.LBB16_12:
	s_or_b64 exec, exec, s[0:1]
	v_cmp_ne_u32_e32 vcc, v0, v46
	s_and_saveexec_b64 s[0:1], vcc
	s_xor_b64 s[0:1], exec, s[0:1]
	s_cbranch_execz .LBB16_18
; %bb.13:
	v_cmp_eq_u32_e32 vcc, 0, v0
	s_and_saveexec_b64 s[2:3], vcc
	s_cbranch_execz .LBB16_17
; %bb.14:
	v_cmp_ne_u32_e32 vcc, 0, v46
	s_xor_b64 s[4:5], s[18:19], -1
	s_and_b64 s[24:25], s[4:5], vcc
	s_and_saveexec_b64 s[4:5], s[24:25]
	s_cbranch_execz .LBB16_16
; %bb.15:
	v_ashrrev_i32_e32 v47, 31, v46
	v_lshlrev_b64 v[47:48], 2, v[46:47]
	v_add_co_u32_e32 v47, vcc, v44, v47
	v_addc_co_u32_e32 v48, vcc, v45, v48, vcc
	global_load_dword v0, v[47:48], off
	global_load_dword v54, v[44:45], off
	s_waitcnt vmcnt(1)
	global_store_dword v[44:45], v0, off
	s_waitcnt vmcnt(1)
	global_store_dword v[47:48], v54, off
.LBB16_16:
	s_or_b64 exec, exec, s[4:5]
	v_mov_b32_e32 v0, v46
.LBB16_17:
	s_or_b64 exec, exec, s[2:3]
.LBB16_18:
	s_or_saveexec_b64 s[0:1], s[0:1]
	v_mov_b32_e32 v48, v0
	s_xor_b64 exec, exec, s[0:1]
	s_cbranch_execz .LBB16_20
; %bb.19:
	v_mov_b32_e32 v48, 0
	ds_write2_b64 v1, v[26:27], v[28:29] offset0:2 offset1:3
	ds_write2_b64 v1, v[22:23], v[24:25] offset0:4 offset1:5
	;; [unrolled: 1-line block ×8, first 2 shown]
.LBB16_20:
	s_or_b64 exec, exec, s[0:1]
	v_cmp_lt_i32_e32 vcc, 0, v48
	s_waitcnt vmcnt(0) lgkmcnt(0)
	s_barrier
	s_and_saveexec_b64 s[0:1], vcc
	s_cbranch_execz .LBB16_22
; %bb.21:
	v_mul_f64 v[46:47], v[38:39], v[32:33]
	v_mul_f64 v[32:33], v[40:41], v[32:33]
	v_fma_f64 v[46:47], v[40:41], v[30:31], v[46:47]
	v_fma_f64 v[30:31], v[38:39], v[30:31], -v[32:33]
	ds_read2_b64 v[38:41], v1 offset0:2 offset1:3
	s_waitcnt lgkmcnt(0)
	v_mul_f64 v[32:33], v[40:41], v[46:47]
	v_fma_f64 v[32:33], v[38:39], v[30:31], -v[32:33]
	v_mul_f64 v[38:39], v[38:39], v[46:47]
	v_add_f64 v[26:27], v[26:27], -v[32:33]
	v_fma_f64 v[38:39], v[40:41], v[30:31], v[38:39]
	v_add_f64 v[28:29], v[28:29], -v[38:39]
	ds_read2_b64 v[38:41], v1 offset0:4 offset1:5
	s_waitcnt lgkmcnt(0)
	v_mul_f64 v[32:33], v[40:41], v[46:47]
	v_fma_f64 v[32:33], v[38:39], v[30:31], -v[32:33]
	v_mul_f64 v[38:39], v[38:39], v[46:47]
	v_add_f64 v[22:23], v[22:23], -v[32:33]
	v_fma_f64 v[38:39], v[40:41], v[30:31], v[38:39]
	v_add_f64 v[24:25], v[24:25], -v[38:39]
	;; [unrolled: 8-line block ×7, first 2 shown]
	ds_read2_b64 v[38:41], v1 offset0:16 offset1:17
	s_waitcnt lgkmcnt(0)
	v_mul_f64 v[32:33], v[40:41], v[46:47]
	v_fma_f64 v[32:33], v[38:39], v[30:31], -v[32:33]
	v_mul_f64 v[38:39], v[38:39], v[46:47]
	v_add_f64 v[34:35], v[34:35], -v[32:33]
	v_fma_f64 v[38:39], v[40:41], v[30:31], v[38:39]
	v_mov_b32_e32 v32, v46
	v_mov_b32_e32 v33, v47
	v_add_f64 v[36:37], v[36:37], -v[38:39]
.LBB16_22:
	s_or_b64 exec, exec, s[0:1]
	v_lshl_add_u32 v38, v48, 4, v1
	s_barrier
	ds_write2_b64 v38, v[26:27], v[28:29] offset1:1
	s_waitcnt lgkmcnt(0)
	s_barrier
	ds_read2_b64 v[38:41], v1 offset0:2 offset1:3
	s_cmp_lt_i32 s22, 3
	v_mov_b32_e32 v46, 1
	s_cbranch_scc1 .LBB16_25
; %bb.23:
	v_add3_u32 v47, v52, 0, 32
	s_mov_b32 s7, 2
	v_mov_b32_e32 v46, 1
.LBB16_24:                              ; =>This Inner Loop Header: Depth=1
	ds_read2_b64 v[54:57], v47 offset1:1
	s_waitcnt lgkmcnt(1)
	v_cmp_gt_f64_e32 vcc, 0, v[40:41]
	v_cmp_gt_f64_e64 s[0:1], 0, v[38:39]
	v_xor_b32_e32 v59, 0x80000000, v39
	v_xor_b32_e32 v61, 0x80000000, v41
	s_waitcnt lgkmcnt(0)
	v_cmp_gt_f64_e64 s[2:3], 0, v[54:55]
	v_cmp_gt_f64_e64 s[4:5], 0, v[56:57]
	v_xor_b32_e32 v63, 0x80000000, v55
	v_xor_b32_e32 v65, 0x80000000, v57
	v_mov_b32_e32 v58, v38
	v_mov_b32_e32 v60, v40
	;; [unrolled: 1-line block ×4, first 2 shown]
	v_cndmask_b32_e64 v59, v39, v59, s[0:1]
	v_cndmask_b32_e32 v61, v41, v61, vcc
	v_cndmask_b32_e64 v63, v55, v63, s[2:3]
	v_cndmask_b32_e64 v65, v57, v65, s[4:5]
	v_add_f64 v[58:59], v[58:59], v[60:61]
	v_add_f64 v[60:61], v[62:63], v[64:65]
	v_mov_b32_e32 v62, s7
	s_add_i32 s7, s7, 1
	v_add_u32_e32 v47, 16, v47
	s_cmp_lg_u32 s22, s7
	v_cmp_lt_f64_e32 vcc, v[58:59], v[60:61]
	v_cndmask_b32_e32 v39, v39, v55, vcc
	v_cndmask_b32_e32 v38, v38, v54, vcc
	;; [unrolled: 1-line block ×5, first 2 shown]
	s_cbranch_scc1 .LBB16_24
.LBB16_25:
	s_waitcnt lgkmcnt(0)
	v_cmp_neq_f64_e32 vcc, 0, v[38:39]
	v_cmp_neq_f64_e64 s[0:1], 0, v[40:41]
	s_or_b64 s[2:3], vcc, s[0:1]
	s_and_saveexec_b64 s[0:1], s[2:3]
	s_cbranch_execz .LBB16_31
; %bb.26:
	v_cmp_ngt_f64_e64 s[2:3], |v[38:39]|, |v[40:41]|
	s_and_saveexec_b64 s[4:5], s[2:3]
	s_xor_b64 s[2:3], exec, s[4:5]
	s_cbranch_execz .LBB16_28
; %bb.27:
	v_div_scale_f64 v[54:55], s[4:5], v[40:41], v[40:41], v[38:39]
	v_rcp_f64_e32 v[56:57], v[54:55]
	v_fma_f64 v[58:59], -v[54:55], v[56:57], 1.0
	v_fma_f64 v[56:57], v[56:57], v[58:59], v[56:57]
	v_div_scale_f64 v[58:59], vcc, v[38:39], v[40:41], v[38:39]
	v_fma_f64 v[60:61], -v[54:55], v[56:57], 1.0
	v_fma_f64 v[56:57], v[56:57], v[60:61], v[56:57]
	v_mul_f64 v[60:61], v[58:59], v[56:57]
	v_fma_f64 v[54:55], -v[54:55], v[60:61], v[58:59]
	v_div_fmas_f64 v[54:55], v[54:55], v[56:57], v[60:61]
	v_div_fixup_f64 v[54:55], v[54:55], v[40:41], v[38:39]
	v_fma_f64 v[38:39], v[38:39], v[54:55], v[40:41]
	v_div_scale_f64 v[40:41], s[4:5], v[38:39], v[38:39], 1.0
	v_div_scale_f64 v[60:61], vcc, 1.0, v[38:39], 1.0
	v_rcp_f64_e32 v[56:57], v[40:41]
	v_fma_f64 v[58:59], -v[40:41], v[56:57], 1.0
	v_fma_f64 v[56:57], v[56:57], v[58:59], v[56:57]
	v_fma_f64 v[58:59], -v[40:41], v[56:57], 1.0
	v_fma_f64 v[56:57], v[56:57], v[58:59], v[56:57]
	v_mul_f64 v[58:59], v[60:61], v[56:57]
	v_fma_f64 v[40:41], -v[40:41], v[58:59], v[60:61]
	v_div_fmas_f64 v[40:41], v[40:41], v[56:57], v[58:59]
	v_div_fixup_f64 v[40:41], v[40:41], v[38:39], 1.0
	v_mul_f64 v[38:39], v[54:55], v[40:41]
	v_xor_b32_e32 v41, 0x80000000, v41
.LBB16_28:
	s_andn2_saveexec_b64 s[2:3], s[2:3]
	s_cbranch_execz .LBB16_30
; %bb.29:
	v_div_scale_f64 v[54:55], s[4:5], v[38:39], v[38:39], v[40:41]
	v_rcp_f64_e32 v[56:57], v[54:55]
	v_fma_f64 v[58:59], -v[54:55], v[56:57], 1.0
	v_fma_f64 v[56:57], v[56:57], v[58:59], v[56:57]
	v_div_scale_f64 v[58:59], vcc, v[40:41], v[38:39], v[40:41]
	v_fma_f64 v[60:61], -v[54:55], v[56:57], 1.0
	v_fma_f64 v[56:57], v[56:57], v[60:61], v[56:57]
	v_mul_f64 v[60:61], v[58:59], v[56:57]
	v_fma_f64 v[54:55], -v[54:55], v[60:61], v[58:59]
	v_div_fmas_f64 v[54:55], v[54:55], v[56:57], v[60:61]
	v_div_fixup_f64 v[54:55], v[54:55], v[38:39], v[40:41]
	v_fma_f64 v[38:39], v[40:41], v[54:55], v[38:39]
	v_div_scale_f64 v[40:41], s[4:5], v[38:39], v[38:39], 1.0
	v_div_scale_f64 v[60:61], vcc, 1.0, v[38:39], 1.0
	v_rcp_f64_e32 v[56:57], v[40:41]
	v_fma_f64 v[58:59], -v[40:41], v[56:57], 1.0
	v_fma_f64 v[56:57], v[56:57], v[58:59], v[56:57]
	v_fma_f64 v[58:59], -v[40:41], v[56:57], 1.0
	v_fma_f64 v[56:57], v[56:57], v[58:59], v[56:57]
	v_mul_f64 v[58:59], v[60:61], v[56:57]
	v_fma_f64 v[40:41], -v[40:41], v[58:59], v[60:61]
	v_div_fmas_f64 v[40:41], v[40:41], v[56:57], v[58:59]
	v_div_fixup_f64 v[38:39], v[40:41], v[38:39], 1.0
	v_mul_f64 v[40:41], v[54:55], -v[38:39]
.LBB16_30:
	s_or_b64 exec, exec, s[2:3]
	v_mov_b32_e32 v51, v53
.LBB16_31:
	s_or_b64 exec, exec, s[0:1]
	v_cmp_ne_u32_e32 vcc, v48, v46
	s_and_saveexec_b64 s[0:1], vcc
	s_xor_b64 s[0:1], exec, s[0:1]
	s_cbranch_execz .LBB16_37
; %bb.32:
	v_cmp_eq_u32_e32 vcc, 1, v48
	s_and_saveexec_b64 s[2:3], vcc
	s_cbranch_execz .LBB16_36
; %bb.33:
	v_cmp_ne_u32_e32 vcc, 1, v46
	s_xor_b64 s[4:5], s[18:19], -1
	s_and_b64 s[24:25], s[4:5], vcc
	s_and_saveexec_b64 s[4:5], s[24:25]
	s_cbranch_execz .LBB16_35
; %bb.34:
	v_ashrrev_i32_e32 v47, 31, v46
	v_lshlrev_b64 v[47:48], 2, v[46:47]
	v_add_co_u32_e32 v47, vcc, v44, v47
	v_addc_co_u32_e32 v48, vcc, v45, v48, vcc
	global_load_dword v0, v[47:48], off
	global_load_dword v53, v[44:45], off offset:4
	s_waitcnt vmcnt(1)
	global_store_dword v[44:45], v0, off offset:4
	s_waitcnt vmcnt(1)
	global_store_dword v[47:48], v53, off
.LBB16_35:
	s_or_b64 exec, exec, s[4:5]
	v_mov_b32_e32 v48, v46
	v_mov_b32_e32 v0, v46
.LBB16_36:
	s_or_b64 exec, exec, s[2:3]
.LBB16_37:
	s_andn2_saveexec_b64 s[0:1], s[0:1]
	s_cbranch_execz .LBB16_39
; %bb.38:
	v_mov_b32_e32 v48, 1
	ds_write2_b64 v1, v[22:23], v[24:25] offset0:4 offset1:5
	ds_write2_b64 v1, v[18:19], v[20:21] offset0:6 offset1:7
	;; [unrolled: 1-line block ×7, first 2 shown]
.LBB16_39:
	s_or_b64 exec, exec, s[0:1]
	v_cmp_lt_i32_e32 vcc, 1, v48
	s_waitcnt vmcnt(0) lgkmcnt(0)
	s_barrier
	s_and_saveexec_b64 s[0:1], vcc
	s_cbranch_execz .LBB16_41
; %bb.40:
	v_mul_f64 v[46:47], v[38:39], v[28:29]
	v_mul_f64 v[28:29], v[40:41], v[28:29]
	v_fma_f64 v[46:47], v[40:41], v[26:27], v[46:47]
	v_fma_f64 v[26:27], v[38:39], v[26:27], -v[28:29]
	ds_read2_b64 v[38:41], v1 offset0:4 offset1:5
	s_waitcnt lgkmcnt(0)
	v_mul_f64 v[28:29], v[40:41], v[46:47]
	v_fma_f64 v[28:29], v[38:39], v[26:27], -v[28:29]
	v_mul_f64 v[38:39], v[38:39], v[46:47]
	v_add_f64 v[22:23], v[22:23], -v[28:29]
	v_fma_f64 v[38:39], v[40:41], v[26:27], v[38:39]
	v_add_f64 v[24:25], v[24:25], -v[38:39]
	ds_read2_b64 v[38:41], v1 offset0:6 offset1:7
	s_waitcnt lgkmcnt(0)
	v_mul_f64 v[28:29], v[40:41], v[46:47]
	v_fma_f64 v[28:29], v[38:39], v[26:27], -v[28:29]
	v_mul_f64 v[38:39], v[38:39], v[46:47]
	v_add_f64 v[18:19], v[18:19], -v[28:29]
	v_fma_f64 v[38:39], v[40:41], v[26:27], v[38:39]
	v_add_f64 v[20:21], v[20:21], -v[38:39]
	;; [unrolled: 8-line block ×6, first 2 shown]
	ds_read2_b64 v[38:41], v1 offset0:16 offset1:17
	s_waitcnt lgkmcnt(0)
	v_mul_f64 v[28:29], v[40:41], v[46:47]
	v_fma_f64 v[28:29], v[38:39], v[26:27], -v[28:29]
	v_mul_f64 v[38:39], v[38:39], v[46:47]
	v_add_f64 v[34:35], v[34:35], -v[28:29]
	v_fma_f64 v[38:39], v[40:41], v[26:27], v[38:39]
	v_mov_b32_e32 v28, v46
	v_mov_b32_e32 v29, v47
	v_add_f64 v[36:37], v[36:37], -v[38:39]
.LBB16_41:
	s_or_b64 exec, exec, s[0:1]
	v_lshl_add_u32 v38, v48, 4, v1
	s_barrier
	ds_write2_b64 v38, v[22:23], v[24:25] offset1:1
	s_waitcnt lgkmcnt(0)
	s_barrier
	ds_read2_b64 v[38:41], v1 offset0:4 offset1:5
	s_cmp_lt_i32 s22, 4
	v_mov_b32_e32 v46, 2
	s_cbranch_scc1 .LBB16_44
; %bb.42:
	v_add3_u32 v47, v52, 0, 48
	s_mov_b32 s2, 3
	v_mov_b32_e32 v46, 2
.LBB16_43:                              ; =>This Inner Loop Header: Depth=1
	s_waitcnt lgkmcnt(0)
	v_cmp_gt_f64_e32 vcc, 0, v[40:41]
	v_cmp_gt_f64_e64 s[0:1], 0, v[38:39]
	ds_read2_b64 v[53:56], v47 offset1:1
	v_xor_b32_e32 v58, 0x80000000, v39
	v_xor_b32_e32 v60, 0x80000000, v41
	v_mov_b32_e32 v57, v38
	v_mov_b32_e32 v59, v40
	s_waitcnt lgkmcnt(0)
	v_xor_b32_e32 v62, 0x80000000, v56
	v_cndmask_b32_e32 v60, v41, v60, vcc
	v_cndmask_b32_e64 v58, v39, v58, s[0:1]
	v_cmp_gt_f64_e32 vcc, 0, v[55:56]
	v_cmp_gt_f64_e64 s[0:1], 0, v[53:54]
	v_add_f64 v[57:58], v[57:58], v[59:60]
	v_xor_b32_e32 v60, 0x80000000, v54
	v_mov_b32_e32 v59, v53
	v_mov_b32_e32 v61, v55
	v_add_u32_e32 v47, 16, v47
	v_cndmask_b32_e32 v62, v56, v62, vcc
	v_cndmask_b32_e64 v60, v54, v60, s[0:1]
	v_add_f64 v[59:60], v[59:60], v[61:62]
	v_mov_b32_e32 v61, s2
	s_add_i32 s2, s2, 1
	s_cmp_lg_u32 s22, s2
	v_cmp_lt_f64_e32 vcc, v[57:58], v[59:60]
	v_cndmask_b32_e32 v39, v39, v54, vcc
	v_cndmask_b32_e32 v38, v38, v53, vcc
	;; [unrolled: 1-line block ×5, first 2 shown]
	s_cbranch_scc1 .LBB16_43
.LBB16_44:
	s_waitcnt lgkmcnt(0)
	v_cmp_eq_f64_e32 vcc, 0, v[38:39]
	v_cmp_eq_f64_e64 s[0:1], 0, v[40:41]
	s_and_b64 s[0:1], vcc, s[0:1]
	s_and_saveexec_b64 s[2:3], s[0:1]
	s_xor_b64 s[0:1], exec, s[2:3]
; %bb.45:
	v_cmp_ne_u32_e32 vcc, 0, v51
	v_cndmask_b32_e32 v51, 3, v51, vcc
; %bb.46:
	s_andn2_saveexec_b64 s[0:1], s[0:1]
	s_cbranch_execz .LBB16_52
; %bb.47:
	v_cmp_ngt_f64_e64 s[2:3], |v[38:39]|, |v[40:41]|
	s_and_saveexec_b64 s[4:5], s[2:3]
	s_xor_b64 s[2:3], exec, s[4:5]
	s_cbranch_execz .LBB16_49
; %bb.48:
	v_div_scale_f64 v[53:54], s[4:5], v[40:41], v[40:41], v[38:39]
	v_rcp_f64_e32 v[55:56], v[53:54]
	v_fma_f64 v[57:58], -v[53:54], v[55:56], 1.0
	v_fma_f64 v[55:56], v[55:56], v[57:58], v[55:56]
	v_div_scale_f64 v[57:58], vcc, v[38:39], v[40:41], v[38:39]
	v_fma_f64 v[59:60], -v[53:54], v[55:56], 1.0
	v_fma_f64 v[55:56], v[55:56], v[59:60], v[55:56]
	v_mul_f64 v[59:60], v[57:58], v[55:56]
	v_fma_f64 v[53:54], -v[53:54], v[59:60], v[57:58]
	v_div_fmas_f64 v[53:54], v[53:54], v[55:56], v[59:60]
	v_div_fixup_f64 v[53:54], v[53:54], v[40:41], v[38:39]
	v_fma_f64 v[38:39], v[38:39], v[53:54], v[40:41]
	v_div_scale_f64 v[40:41], s[4:5], v[38:39], v[38:39], 1.0
	v_div_scale_f64 v[59:60], vcc, 1.0, v[38:39], 1.0
	v_rcp_f64_e32 v[55:56], v[40:41]
	v_fma_f64 v[57:58], -v[40:41], v[55:56], 1.0
	v_fma_f64 v[55:56], v[55:56], v[57:58], v[55:56]
	v_fma_f64 v[57:58], -v[40:41], v[55:56], 1.0
	v_fma_f64 v[55:56], v[55:56], v[57:58], v[55:56]
	v_mul_f64 v[57:58], v[59:60], v[55:56]
	v_fma_f64 v[40:41], -v[40:41], v[57:58], v[59:60]
	v_div_fmas_f64 v[40:41], v[40:41], v[55:56], v[57:58]
	v_div_fixup_f64 v[40:41], v[40:41], v[38:39], 1.0
	v_mul_f64 v[38:39], v[53:54], v[40:41]
	v_xor_b32_e32 v41, 0x80000000, v41
.LBB16_49:
	s_andn2_saveexec_b64 s[2:3], s[2:3]
	s_cbranch_execz .LBB16_51
; %bb.50:
	v_div_scale_f64 v[53:54], s[4:5], v[38:39], v[38:39], v[40:41]
	v_rcp_f64_e32 v[55:56], v[53:54]
	v_fma_f64 v[57:58], -v[53:54], v[55:56], 1.0
	v_fma_f64 v[55:56], v[55:56], v[57:58], v[55:56]
	v_div_scale_f64 v[57:58], vcc, v[40:41], v[38:39], v[40:41]
	v_fma_f64 v[59:60], -v[53:54], v[55:56], 1.0
	v_fma_f64 v[55:56], v[55:56], v[59:60], v[55:56]
	v_mul_f64 v[59:60], v[57:58], v[55:56]
	v_fma_f64 v[53:54], -v[53:54], v[59:60], v[57:58]
	v_div_fmas_f64 v[53:54], v[53:54], v[55:56], v[59:60]
	v_div_fixup_f64 v[53:54], v[53:54], v[38:39], v[40:41]
	v_fma_f64 v[38:39], v[40:41], v[53:54], v[38:39]
	v_div_scale_f64 v[40:41], s[4:5], v[38:39], v[38:39], 1.0
	v_div_scale_f64 v[59:60], vcc, 1.0, v[38:39], 1.0
	v_rcp_f64_e32 v[55:56], v[40:41]
	v_fma_f64 v[57:58], -v[40:41], v[55:56], 1.0
	v_fma_f64 v[55:56], v[55:56], v[57:58], v[55:56]
	v_fma_f64 v[57:58], -v[40:41], v[55:56], 1.0
	v_fma_f64 v[55:56], v[55:56], v[57:58], v[55:56]
	v_mul_f64 v[57:58], v[59:60], v[55:56]
	v_fma_f64 v[40:41], -v[40:41], v[57:58], v[59:60]
	v_div_fmas_f64 v[40:41], v[40:41], v[55:56], v[57:58]
	v_div_fixup_f64 v[38:39], v[40:41], v[38:39], 1.0
	v_mul_f64 v[40:41], v[53:54], -v[38:39]
.LBB16_51:
	s_or_b64 exec, exec, s[2:3]
.LBB16_52:
	s_or_b64 exec, exec, s[0:1]
	v_cmp_ne_u32_e32 vcc, v48, v46
	s_and_saveexec_b64 s[0:1], vcc
	s_xor_b64 s[0:1], exec, s[0:1]
	s_cbranch_execz .LBB16_58
; %bb.53:
	v_cmp_eq_u32_e32 vcc, 2, v48
	s_and_saveexec_b64 s[2:3], vcc
	s_cbranch_execz .LBB16_57
; %bb.54:
	v_cmp_ne_u32_e32 vcc, 2, v46
	s_xor_b64 s[4:5], s[18:19], -1
	s_and_b64 s[24:25], s[4:5], vcc
	s_and_saveexec_b64 s[4:5], s[24:25]
	s_cbranch_execz .LBB16_56
; %bb.55:
	v_ashrrev_i32_e32 v47, 31, v46
	v_lshlrev_b64 v[47:48], 2, v[46:47]
	v_add_co_u32_e32 v47, vcc, v44, v47
	v_addc_co_u32_e32 v48, vcc, v45, v48, vcc
	global_load_dword v0, v[47:48], off
	global_load_dword v53, v[44:45], off offset:8
	s_waitcnt vmcnt(1)
	global_store_dword v[44:45], v0, off offset:8
	s_waitcnt vmcnt(1)
	global_store_dword v[47:48], v53, off
.LBB16_56:
	s_or_b64 exec, exec, s[4:5]
	v_mov_b32_e32 v48, v46
	v_mov_b32_e32 v0, v46
.LBB16_57:
	s_or_b64 exec, exec, s[2:3]
.LBB16_58:
	s_andn2_saveexec_b64 s[0:1], s[0:1]
	s_cbranch_execz .LBB16_60
; %bb.59:
	v_mov_b32_e32 v48, 2
	ds_write2_b64 v1, v[18:19], v[20:21] offset0:6 offset1:7
	ds_write2_b64 v1, v[14:15], v[16:17] offset0:8 offset1:9
	;; [unrolled: 1-line block ×6, first 2 shown]
.LBB16_60:
	s_or_b64 exec, exec, s[0:1]
	v_cmp_lt_i32_e32 vcc, 2, v48
	s_waitcnt vmcnt(0) lgkmcnt(0)
	s_barrier
	s_and_saveexec_b64 s[0:1], vcc
	s_cbranch_execz .LBB16_62
; %bb.61:
	v_mul_f64 v[46:47], v[38:39], v[24:25]
	v_mul_f64 v[24:25], v[40:41], v[24:25]
	v_fma_f64 v[46:47], v[40:41], v[22:23], v[46:47]
	v_fma_f64 v[22:23], v[38:39], v[22:23], -v[24:25]
	ds_read2_b64 v[38:41], v1 offset0:6 offset1:7
	s_waitcnt lgkmcnt(0)
	v_mul_f64 v[24:25], v[40:41], v[46:47]
	v_fma_f64 v[24:25], v[38:39], v[22:23], -v[24:25]
	v_mul_f64 v[38:39], v[38:39], v[46:47]
	v_add_f64 v[18:19], v[18:19], -v[24:25]
	v_fma_f64 v[38:39], v[40:41], v[22:23], v[38:39]
	v_add_f64 v[20:21], v[20:21], -v[38:39]
	ds_read2_b64 v[38:41], v1 offset0:8 offset1:9
	s_waitcnt lgkmcnt(0)
	v_mul_f64 v[24:25], v[40:41], v[46:47]
	v_fma_f64 v[24:25], v[38:39], v[22:23], -v[24:25]
	v_mul_f64 v[38:39], v[38:39], v[46:47]
	v_add_f64 v[14:15], v[14:15], -v[24:25]
	v_fma_f64 v[38:39], v[40:41], v[22:23], v[38:39]
	v_add_f64 v[16:17], v[16:17], -v[38:39]
	;; [unrolled: 8-line block ×5, first 2 shown]
	ds_read2_b64 v[38:41], v1 offset0:16 offset1:17
	s_waitcnt lgkmcnt(0)
	v_mul_f64 v[24:25], v[40:41], v[46:47]
	v_fma_f64 v[24:25], v[38:39], v[22:23], -v[24:25]
	v_mul_f64 v[38:39], v[38:39], v[46:47]
	v_add_f64 v[34:35], v[34:35], -v[24:25]
	v_fma_f64 v[38:39], v[40:41], v[22:23], v[38:39]
	v_mov_b32_e32 v24, v46
	v_mov_b32_e32 v25, v47
	v_add_f64 v[36:37], v[36:37], -v[38:39]
.LBB16_62:
	s_or_b64 exec, exec, s[0:1]
	v_lshl_add_u32 v38, v48, 4, v1
	s_barrier
	ds_write2_b64 v38, v[18:19], v[20:21] offset1:1
	s_waitcnt lgkmcnt(0)
	s_barrier
	ds_read2_b64 v[38:41], v1 offset0:6 offset1:7
	s_mov_b32 s2, 4
	s_cmp_lt_i32 s22, 5
	v_mov_b32_e32 v46, 3
	s_cbranch_scc1 .LBB16_65
; %bb.63:
	v_add3_u32 v47, v52, 0, 64
	v_mov_b32_e32 v46, 3
.LBB16_64:                              ; =>This Inner Loop Header: Depth=1
	s_waitcnt lgkmcnt(0)
	v_cmp_gt_f64_e32 vcc, 0, v[40:41]
	v_cmp_gt_f64_e64 s[0:1], 0, v[38:39]
	ds_read2_b64 v[52:55], v47 offset1:1
	v_xor_b32_e32 v57, 0x80000000, v39
	v_xor_b32_e32 v59, 0x80000000, v41
	v_mov_b32_e32 v56, v38
	v_mov_b32_e32 v58, v40
	s_waitcnt lgkmcnt(0)
	v_xor_b32_e32 v61, 0x80000000, v55
	v_cndmask_b32_e32 v59, v41, v59, vcc
	v_cndmask_b32_e64 v57, v39, v57, s[0:1]
	v_cmp_gt_f64_e32 vcc, 0, v[54:55]
	v_cmp_gt_f64_e64 s[0:1], 0, v[52:53]
	v_add_f64 v[56:57], v[56:57], v[58:59]
	v_xor_b32_e32 v59, 0x80000000, v53
	v_mov_b32_e32 v58, v52
	v_mov_b32_e32 v60, v54
	v_add_u32_e32 v47, 16, v47
	v_cndmask_b32_e32 v61, v55, v61, vcc
	v_cndmask_b32_e64 v59, v53, v59, s[0:1]
	v_add_f64 v[58:59], v[58:59], v[60:61]
	v_mov_b32_e32 v60, s2
	s_add_i32 s2, s2, 1
	s_cmp_lg_u32 s22, s2
	v_cmp_lt_f64_e32 vcc, v[56:57], v[58:59]
	v_cndmask_b32_e32 v39, v39, v53, vcc
	v_cndmask_b32_e32 v38, v38, v52, vcc
	;; [unrolled: 1-line block ×5, first 2 shown]
	s_cbranch_scc1 .LBB16_64
.LBB16_65:
	s_waitcnt lgkmcnt(0)
	v_cmp_eq_f64_e32 vcc, 0, v[38:39]
	v_cmp_eq_f64_e64 s[0:1], 0, v[40:41]
	s_and_b64 s[0:1], vcc, s[0:1]
	s_and_saveexec_b64 s[2:3], s[0:1]
	s_xor_b64 s[0:1], exec, s[2:3]
; %bb.66:
	v_cmp_ne_u32_e32 vcc, 0, v51
	v_cndmask_b32_e32 v51, 4, v51, vcc
; %bb.67:
	s_andn2_saveexec_b64 s[0:1], s[0:1]
	s_cbranch_execz .LBB16_73
; %bb.68:
	v_cmp_ngt_f64_e64 s[2:3], |v[38:39]|, |v[40:41]|
	s_and_saveexec_b64 s[4:5], s[2:3]
	s_xor_b64 s[2:3], exec, s[4:5]
	s_cbranch_execz .LBB16_70
; %bb.69:
	v_div_scale_f64 v[52:53], s[4:5], v[40:41], v[40:41], v[38:39]
	v_rcp_f64_e32 v[54:55], v[52:53]
	v_fma_f64 v[56:57], -v[52:53], v[54:55], 1.0
	v_fma_f64 v[54:55], v[54:55], v[56:57], v[54:55]
	v_div_scale_f64 v[56:57], vcc, v[38:39], v[40:41], v[38:39]
	v_fma_f64 v[58:59], -v[52:53], v[54:55], 1.0
	v_fma_f64 v[54:55], v[54:55], v[58:59], v[54:55]
	v_mul_f64 v[58:59], v[56:57], v[54:55]
	v_fma_f64 v[52:53], -v[52:53], v[58:59], v[56:57]
	v_div_fmas_f64 v[52:53], v[52:53], v[54:55], v[58:59]
	v_div_fixup_f64 v[52:53], v[52:53], v[40:41], v[38:39]
	v_fma_f64 v[38:39], v[38:39], v[52:53], v[40:41]
	v_div_scale_f64 v[40:41], s[4:5], v[38:39], v[38:39], 1.0
	v_div_scale_f64 v[58:59], vcc, 1.0, v[38:39], 1.0
	v_rcp_f64_e32 v[54:55], v[40:41]
	v_fma_f64 v[56:57], -v[40:41], v[54:55], 1.0
	v_fma_f64 v[54:55], v[54:55], v[56:57], v[54:55]
	v_fma_f64 v[56:57], -v[40:41], v[54:55], 1.0
	v_fma_f64 v[54:55], v[54:55], v[56:57], v[54:55]
	v_mul_f64 v[56:57], v[58:59], v[54:55]
	v_fma_f64 v[40:41], -v[40:41], v[56:57], v[58:59]
	v_div_fmas_f64 v[40:41], v[40:41], v[54:55], v[56:57]
	v_div_fixup_f64 v[40:41], v[40:41], v[38:39], 1.0
	v_mul_f64 v[38:39], v[52:53], v[40:41]
	v_xor_b32_e32 v41, 0x80000000, v41
.LBB16_70:
	s_andn2_saveexec_b64 s[2:3], s[2:3]
	s_cbranch_execz .LBB16_72
; %bb.71:
	v_div_scale_f64 v[52:53], s[4:5], v[38:39], v[38:39], v[40:41]
	v_rcp_f64_e32 v[54:55], v[52:53]
	v_fma_f64 v[56:57], -v[52:53], v[54:55], 1.0
	v_fma_f64 v[54:55], v[54:55], v[56:57], v[54:55]
	v_div_scale_f64 v[56:57], vcc, v[40:41], v[38:39], v[40:41]
	v_fma_f64 v[58:59], -v[52:53], v[54:55], 1.0
	v_fma_f64 v[54:55], v[54:55], v[58:59], v[54:55]
	v_mul_f64 v[58:59], v[56:57], v[54:55]
	v_fma_f64 v[52:53], -v[52:53], v[58:59], v[56:57]
	v_div_fmas_f64 v[52:53], v[52:53], v[54:55], v[58:59]
	v_div_fixup_f64 v[52:53], v[52:53], v[38:39], v[40:41]
	v_fma_f64 v[38:39], v[40:41], v[52:53], v[38:39]
	v_div_scale_f64 v[40:41], s[4:5], v[38:39], v[38:39], 1.0
	v_div_scale_f64 v[58:59], vcc, 1.0, v[38:39], 1.0
	v_rcp_f64_e32 v[54:55], v[40:41]
	v_fma_f64 v[56:57], -v[40:41], v[54:55], 1.0
	v_fma_f64 v[54:55], v[54:55], v[56:57], v[54:55]
	v_fma_f64 v[56:57], -v[40:41], v[54:55], 1.0
	v_fma_f64 v[54:55], v[54:55], v[56:57], v[54:55]
	v_mul_f64 v[56:57], v[58:59], v[54:55]
	v_fma_f64 v[40:41], -v[40:41], v[56:57], v[58:59]
	v_div_fmas_f64 v[40:41], v[40:41], v[54:55], v[56:57]
	v_div_fixup_f64 v[38:39], v[40:41], v[38:39], 1.0
	v_mul_f64 v[40:41], v[52:53], -v[38:39]
.LBB16_72:
	s_or_b64 exec, exec, s[2:3]
.LBB16_73:
	s_or_b64 exec, exec, s[0:1]
	v_cmp_ne_u32_e32 vcc, v48, v46
	s_and_saveexec_b64 s[0:1], vcc
	s_xor_b64 s[0:1], exec, s[0:1]
	s_cbranch_execz .LBB16_79
; %bb.74:
	v_cmp_eq_u32_e32 vcc, 3, v48
	s_and_saveexec_b64 s[2:3], vcc
	s_cbranch_execz .LBB16_78
; %bb.75:
	v_cmp_ne_u32_e32 vcc, 3, v46
	s_xor_b64 s[4:5], s[18:19], -1
	s_and_b64 s[24:25], s[4:5], vcc
	s_and_saveexec_b64 s[4:5], s[24:25]
	s_cbranch_execz .LBB16_77
; %bb.76:
	v_ashrrev_i32_e32 v47, 31, v46
	v_lshlrev_b64 v[47:48], 2, v[46:47]
	v_add_co_u32_e32 v47, vcc, v44, v47
	v_addc_co_u32_e32 v48, vcc, v45, v48, vcc
	global_load_dword v0, v[47:48], off
	global_load_dword v52, v[44:45], off offset:12
	s_waitcnt vmcnt(1)
	global_store_dword v[44:45], v0, off offset:12
	s_waitcnt vmcnt(1)
	global_store_dword v[47:48], v52, off
.LBB16_77:
	s_or_b64 exec, exec, s[4:5]
	v_mov_b32_e32 v48, v46
	v_mov_b32_e32 v0, v46
.LBB16_78:
	s_or_b64 exec, exec, s[2:3]
.LBB16_79:
	s_andn2_saveexec_b64 s[0:1], s[0:1]
	s_cbranch_execz .LBB16_81
; %bb.80:
	v_mov_b32_e32 v48, 3
	ds_write2_b64 v1, v[14:15], v[16:17] offset0:8 offset1:9
	ds_write2_b64 v1, v[10:11], v[12:13] offset0:10 offset1:11
	;; [unrolled: 1-line block ×5, first 2 shown]
.LBB16_81:
	s_or_b64 exec, exec, s[0:1]
	v_cmp_lt_i32_e32 vcc, 3, v48
	s_waitcnt vmcnt(0) lgkmcnt(0)
	s_barrier
	s_and_saveexec_b64 s[0:1], vcc
	s_cbranch_execz .LBB16_83
; %bb.82:
	v_mul_f64 v[46:47], v[38:39], v[20:21]
	v_mul_f64 v[20:21], v[40:41], v[20:21]
	v_fma_f64 v[46:47], v[40:41], v[18:19], v[46:47]
	v_fma_f64 v[18:19], v[38:39], v[18:19], -v[20:21]
	ds_read2_b64 v[38:41], v1 offset0:8 offset1:9
	s_waitcnt lgkmcnt(0)
	v_mul_f64 v[20:21], v[40:41], v[46:47]
	v_fma_f64 v[20:21], v[38:39], v[18:19], -v[20:21]
	v_mul_f64 v[38:39], v[38:39], v[46:47]
	v_add_f64 v[14:15], v[14:15], -v[20:21]
	v_fma_f64 v[38:39], v[40:41], v[18:19], v[38:39]
	v_add_f64 v[16:17], v[16:17], -v[38:39]
	ds_read2_b64 v[38:41], v1 offset0:10 offset1:11
	s_waitcnt lgkmcnt(0)
	v_mul_f64 v[20:21], v[40:41], v[46:47]
	v_fma_f64 v[20:21], v[38:39], v[18:19], -v[20:21]
	v_mul_f64 v[38:39], v[38:39], v[46:47]
	v_add_f64 v[10:11], v[10:11], -v[20:21]
	v_fma_f64 v[38:39], v[40:41], v[18:19], v[38:39]
	v_add_f64 v[12:13], v[12:13], -v[38:39]
	;; [unrolled: 8-line block ×4, first 2 shown]
	ds_read2_b64 v[38:41], v1 offset0:16 offset1:17
	s_waitcnt lgkmcnt(0)
	v_mul_f64 v[20:21], v[40:41], v[46:47]
	v_fma_f64 v[20:21], v[38:39], v[18:19], -v[20:21]
	v_mul_f64 v[38:39], v[38:39], v[46:47]
	v_add_f64 v[34:35], v[34:35], -v[20:21]
	v_fma_f64 v[38:39], v[40:41], v[18:19], v[38:39]
	v_mov_b32_e32 v20, v46
	v_mov_b32_e32 v21, v47
	v_add_f64 v[36:37], v[36:37], -v[38:39]
.LBB16_83:
	s_or_b64 exec, exec, s[0:1]
	v_lshl_add_u32 v38, v48, 4, v1
	s_barrier
	ds_write2_b64 v38, v[14:15], v[16:17] offset1:1
	s_waitcnt lgkmcnt(0)
	s_barrier
	ds_read2_b64 v[38:41], v1 offset0:8 offset1:9
	s_cmp_lt_i32 s22, 6
	v_mov_b32_e32 v46, 4
	s_cbranch_scc1 .LBB16_86
; %bb.84:
	v_mov_b32_e32 v46, 4
	v_add_u32_e32 v47, 0x50, v1
	s_mov_b32 s2, 5
.LBB16_85:                              ; =>This Inner Loop Header: Depth=1
	s_waitcnt lgkmcnt(0)
	v_cmp_gt_f64_e32 vcc, 0, v[40:41]
	v_cmp_gt_f64_e64 s[0:1], 0, v[38:39]
	ds_read2_b64 v[52:55], v47 offset1:1
	v_xor_b32_e32 v57, 0x80000000, v39
	v_xor_b32_e32 v59, 0x80000000, v41
	v_mov_b32_e32 v56, v38
	v_mov_b32_e32 v58, v40
	s_waitcnt lgkmcnt(0)
	v_xor_b32_e32 v61, 0x80000000, v55
	v_cndmask_b32_e32 v59, v41, v59, vcc
	v_cndmask_b32_e64 v57, v39, v57, s[0:1]
	v_cmp_gt_f64_e32 vcc, 0, v[54:55]
	v_cmp_gt_f64_e64 s[0:1], 0, v[52:53]
	v_add_f64 v[56:57], v[56:57], v[58:59]
	v_xor_b32_e32 v59, 0x80000000, v53
	v_mov_b32_e32 v58, v52
	v_mov_b32_e32 v60, v54
	v_add_u32_e32 v47, 16, v47
	v_cndmask_b32_e32 v61, v55, v61, vcc
	v_cndmask_b32_e64 v59, v53, v59, s[0:1]
	v_add_f64 v[58:59], v[58:59], v[60:61]
	v_mov_b32_e32 v60, s2
	s_add_i32 s2, s2, 1
	s_cmp_lg_u32 s22, s2
	v_cmp_lt_f64_e32 vcc, v[56:57], v[58:59]
	v_cndmask_b32_e32 v39, v39, v53, vcc
	v_cndmask_b32_e32 v38, v38, v52, vcc
	;; [unrolled: 1-line block ×5, first 2 shown]
	s_cbranch_scc1 .LBB16_85
.LBB16_86:
	s_waitcnt lgkmcnt(0)
	v_cmp_eq_f64_e32 vcc, 0, v[38:39]
	v_cmp_eq_f64_e64 s[0:1], 0, v[40:41]
	s_and_b64 s[0:1], vcc, s[0:1]
	s_and_saveexec_b64 s[2:3], s[0:1]
	s_xor_b64 s[0:1], exec, s[2:3]
; %bb.87:
	v_cmp_ne_u32_e32 vcc, 0, v51
	v_cndmask_b32_e32 v51, 5, v51, vcc
; %bb.88:
	s_andn2_saveexec_b64 s[0:1], s[0:1]
	s_cbranch_execz .LBB16_94
; %bb.89:
	v_cmp_ngt_f64_e64 s[2:3], |v[38:39]|, |v[40:41]|
	s_and_saveexec_b64 s[4:5], s[2:3]
	s_xor_b64 s[2:3], exec, s[4:5]
	s_cbranch_execz .LBB16_91
; %bb.90:
	v_div_scale_f64 v[52:53], s[4:5], v[40:41], v[40:41], v[38:39]
	v_rcp_f64_e32 v[54:55], v[52:53]
	v_fma_f64 v[56:57], -v[52:53], v[54:55], 1.0
	v_fma_f64 v[54:55], v[54:55], v[56:57], v[54:55]
	v_div_scale_f64 v[56:57], vcc, v[38:39], v[40:41], v[38:39]
	v_fma_f64 v[58:59], -v[52:53], v[54:55], 1.0
	v_fma_f64 v[54:55], v[54:55], v[58:59], v[54:55]
	v_mul_f64 v[58:59], v[56:57], v[54:55]
	v_fma_f64 v[52:53], -v[52:53], v[58:59], v[56:57]
	v_div_fmas_f64 v[52:53], v[52:53], v[54:55], v[58:59]
	v_div_fixup_f64 v[52:53], v[52:53], v[40:41], v[38:39]
	v_fma_f64 v[38:39], v[38:39], v[52:53], v[40:41]
	v_div_scale_f64 v[40:41], s[4:5], v[38:39], v[38:39], 1.0
	v_div_scale_f64 v[58:59], vcc, 1.0, v[38:39], 1.0
	v_rcp_f64_e32 v[54:55], v[40:41]
	v_fma_f64 v[56:57], -v[40:41], v[54:55], 1.0
	v_fma_f64 v[54:55], v[54:55], v[56:57], v[54:55]
	v_fma_f64 v[56:57], -v[40:41], v[54:55], 1.0
	v_fma_f64 v[54:55], v[54:55], v[56:57], v[54:55]
	v_mul_f64 v[56:57], v[58:59], v[54:55]
	v_fma_f64 v[40:41], -v[40:41], v[56:57], v[58:59]
	v_div_fmas_f64 v[40:41], v[40:41], v[54:55], v[56:57]
	v_div_fixup_f64 v[40:41], v[40:41], v[38:39], 1.0
	v_mul_f64 v[38:39], v[52:53], v[40:41]
	v_xor_b32_e32 v41, 0x80000000, v41
.LBB16_91:
	s_andn2_saveexec_b64 s[2:3], s[2:3]
	s_cbranch_execz .LBB16_93
; %bb.92:
	v_div_scale_f64 v[52:53], s[4:5], v[38:39], v[38:39], v[40:41]
	v_rcp_f64_e32 v[54:55], v[52:53]
	v_fma_f64 v[56:57], -v[52:53], v[54:55], 1.0
	v_fma_f64 v[54:55], v[54:55], v[56:57], v[54:55]
	v_div_scale_f64 v[56:57], vcc, v[40:41], v[38:39], v[40:41]
	v_fma_f64 v[58:59], -v[52:53], v[54:55], 1.0
	v_fma_f64 v[54:55], v[54:55], v[58:59], v[54:55]
	v_mul_f64 v[58:59], v[56:57], v[54:55]
	v_fma_f64 v[52:53], -v[52:53], v[58:59], v[56:57]
	v_div_fmas_f64 v[52:53], v[52:53], v[54:55], v[58:59]
	v_div_fixup_f64 v[52:53], v[52:53], v[38:39], v[40:41]
	v_fma_f64 v[38:39], v[40:41], v[52:53], v[38:39]
	v_div_scale_f64 v[40:41], s[4:5], v[38:39], v[38:39], 1.0
	v_div_scale_f64 v[58:59], vcc, 1.0, v[38:39], 1.0
	v_rcp_f64_e32 v[54:55], v[40:41]
	v_fma_f64 v[56:57], -v[40:41], v[54:55], 1.0
	v_fma_f64 v[54:55], v[54:55], v[56:57], v[54:55]
	v_fma_f64 v[56:57], -v[40:41], v[54:55], 1.0
	v_fma_f64 v[54:55], v[54:55], v[56:57], v[54:55]
	v_mul_f64 v[56:57], v[58:59], v[54:55]
	v_fma_f64 v[40:41], -v[40:41], v[56:57], v[58:59]
	v_div_fmas_f64 v[40:41], v[40:41], v[54:55], v[56:57]
	v_div_fixup_f64 v[38:39], v[40:41], v[38:39], 1.0
	v_mul_f64 v[40:41], v[52:53], -v[38:39]
.LBB16_93:
	s_or_b64 exec, exec, s[2:3]
.LBB16_94:
	s_or_b64 exec, exec, s[0:1]
	v_cmp_ne_u32_e32 vcc, v48, v46
	s_and_saveexec_b64 s[0:1], vcc
	s_xor_b64 s[0:1], exec, s[0:1]
	s_cbranch_execz .LBB16_100
; %bb.95:
	v_cmp_eq_u32_e32 vcc, 4, v48
	s_and_saveexec_b64 s[2:3], vcc
	s_cbranch_execz .LBB16_99
; %bb.96:
	v_cmp_ne_u32_e32 vcc, 4, v46
	s_xor_b64 s[4:5], s[18:19], -1
	s_and_b64 s[24:25], s[4:5], vcc
	s_and_saveexec_b64 s[4:5], s[24:25]
	s_cbranch_execz .LBB16_98
; %bb.97:
	v_ashrrev_i32_e32 v47, 31, v46
	v_lshlrev_b64 v[47:48], 2, v[46:47]
	v_add_co_u32_e32 v47, vcc, v44, v47
	v_addc_co_u32_e32 v48, vcc, v45, v48, vcc
	global_load_dword v0, v[47:48], off
	global_load_dword v52, v[44:45], off offset:16
	s_waitcnt vmcnt(1)
	global_store_dword v[44:45], v0, off offset:16
	s_waitcnt vmcnt(1)
	global_store_dword v[47:48], v52, off
.LBB16_98:
	s_or_b64 exec, exec, s[4:5]
	v_mov_b32_e32 v48, v46
	v_mov_b32_e32 v0, v46
.LBB16_99:
	s_or_b64 exec, exec, s[2:3]
.LBB16_100:
	s_andn2_saveexec_b64 s[0:1], s[0:1]
	s_cbranch_execz .LBB16_102
; %bb.101:
	v_mov_b32_e32 v48, 4
	ds_write2_b64 v1, v[10:11], v[12:13] offset0:10 offset1:11
	ds_write2_b64 v1, v[6:7], v[8:9] offset0:12 offset1:13
	;; [unrolled: 1-line block ×4, first 2 shown]
.LBB16_102:
	s_or_b64 exec, exec, s[0:1]
	v_cmp_lt_i32_e32 vcc, 4, v48
	s_waitcnt vmcnt(0) lgkmcnt(0)
	s_barrier
	s_and_saveexec_b64 s[0:1], vcc
	s_cbranch_execz .LBB16_104
; %bb.103:
	v_mul_f64 v[46:47], v[38:39], v[16:17]
	v_mul_f64 v[16:17], v[40:41], v[16:17]
	ds_read2_b64 v[52:55], v1 offset0:10 offset1:11
	ds_read2_b64 v[56:59], v1 offset0:12 offset1:13
	;; [unrolled: 1-line block ×4, first 2 shown]
	v_fma_f64 v[40:41], v[40:41], v[14:15], v[46:47]
	v_fma_f64 v[14:15], v[38:39], v[14:15], -v[16:17]
	s_waitcnt lgkmcnt(3)
	v_mul_f64 v[16:17], v[54:55], v[40:41]
	v_mul_f64 v[38:39], v[52:53], v[40:41]
	s_waitcnt lgkmcnt(2)
	v_mul_f64 v[46:47], v[58:59], v[40:41]
	v_mul_f64 v[68:69], v[56:57], v[40:41]
	;; [unrolled: 3-line block ×4, first 2 shown]
	v_fma_f64 v[16:17], v[52:53], v[14:15], -v[16:17]
	v_fma_f64 v[38:39], v[54:55], v[14:15], v[38:39]
	v_fma_f64 v[46:47], v[56:57], v[14:15], -v[46:47]
	v_fma_f64 v[52:53], v[58:59], v[14:15], v[68:69]
	;; [unrolled: 2-line block ×4, first 2 shown]
	v_add_f64 v[10:11], v[10:11], -v[16:17]
	v_add_f64 v[12:13], v[12:13], -v[38:39]
	;; [unrolled: 1-line block ×8, first 2 shown]
	v_mov_b32_e32 v16, v40
	v_mov_b32_e32 v17, v41
.LBB16_104:
	s_or_b64 exec, exec, s[0:1]
	v_lshl_add_u32 v38, v48, 4, v1
	s_barrier
	ds_write2_b64 v38, v[10:11], v[12:13] offset1:1
	s_waitcnt lgkmcnt(0)
	s_barrier
	ds_read2_b64 v[38:41], v1 offset0:10 offset1:11
	s_cmp_lt_i32 s22, 7
	v_mov_b32_e32 v46, 5
	s_cbranch_scc1 .LBB16_107
; %bb.105:
	v_add_u32_e32 v47, 0x60, v1
	s_mov_b32 s2, 6
	v_mov_b32_e32 v46, 5
.LBB16_106:                             ; =>This Inner Loop Header: Depth=1
	s_waitcnt lgkmcnt(0)
	v_cmp_gt_f64_e32 vcc, 0, v[40:41]
	v_cmp_gt_f64_e64 s[0:1], 0, v[38:39]
	ds_read2_b64 v[52:55], v47 offset1:1
	v_xor_b32_e32 v57, 0x80000000, v39
	v_xor_b32_e32 v59, 0x80000000, v41
	v_mov_b32_e32 v56, v38
	v_mov_b32_e32 v58, v40
	s_waitcnt lgkmcnt(0)
	v_xor_b32_e32 v61, 0x80000000, v55
	v_cndmask_b32_e32 v59, v41, v59, vcc
	v_cndmask_b32_e64 v57, v39, v57, s[0:1]
	v_cmp_gt_f64_e32 vcc, 0, v[54:55]
	v_cmp_gt_f64_e64 s[0:1], 0, v[52:53]
	v_add_f64 v[56:57], v[56:57], v[58:59]
	v_xor_b32_e32 v59, 0x80000000, v53
	v_mov_b32_e32 v58, v52
	v_mov_b32_e32 v60, v54
	v_add_u32_e32 v47, 16, v47
	v_cndmask_b32_e32 v61, v55, v61, vcc
	v_cndmask_b32_e64 v59, v53, v59, s[0:1]
	v_add_f64 v[58:59], v[58:59], v[60:61]
	v_mov_b32_e32 v60, s2
	s_add_i32 s2, s2, 1
	s_cmp_lg_u32 s22, s2
	v_cmp_lt_f64_e32 vcc, v[56:57], v[58:59]
	v_cndmask_b32_e32 v39, v39, v53, vcc
	v_cndmask_b32_e32 v38, v38, v52, vcc
	;; [unrolled: 1-line block ×5, first 2 shown]
	s_cbranch_scc1 .LBB16_106
.LBB16_107:
	s_waitcnt lgkmcnt(0)
	v_cmp_eq_f64_e32 vcc, 0, v[38:39]
	v_cmp_eq_f64_e64 s[0:1], 0, v[40:41]
	s_and_b64 s[0:1], vcc, s[0:1]
	s_and_saveexec_b64 s[2:3], s[0:1]
	s_xor_b64 s[0:1], exec, s[2:3]
; %bb.108:
	v_cmp_ne_u32_e32 vcc, 0, v51
	v_cndmask_b32_e32 v51, 6, v51, vcc
; %bb.109:
	s_andn2_saveexec_b64 s[0:1], s[0:1]
	s_cbranch_execz .LBB16_115
; %bb.110:
	v_cmp_ngt_f64_e64 s[2:3], |v[38:39]|, |v[40:41]|
	s_and_saveexec_b64 s[4:5], s[2:3]
	s_xor_b64 s[2:3], exec, s[4:5]
	s_cbranch_execz .LBB16_112
; %bb.111:
	v_div_scale_f64 v[52:53], s[4:5], v[40:41], v[40:41], v[38:39]
	v_rcp_f64_e32 v[54:55], v[52:53]
	v_fma_f64 v[56:57], -v[52:53], v[54:55], 1.0
	v_fma_f64 v[54:55], v[54:55], v[56:57], v[54:55]
	v_div_scale_f64 v[56:57], vcc, v[38:39], v[40:41], v[38:39]
	v_fma_f64 v[58:59], -v[52:53], v[54:55], 1.0
	v_fma_f64 v[54:55], v[54:55], v[58:59], v[54:55]
	v_mul_f64 v[58:59], v[56:57], v[54:55]
	v_fma_f64 v[52:53], -v[52:53], v[58:59], v[56:57]
	v_div_fmas_f64 v[52:53], v[52:53], v[54:55], v[58:59]
	v_div_fixup_f64 v[52:53], v[52:53], v[40:41], v[38:39]
	v_fma_f64 v[38:39], v[38:39], v[52:53], v[40:41]
	v_div_scale_f64 v[40:41], s[4:5], v[38:39], v[38:39], 1.0
	v_div_scale_f64 v[58:59], vcc, 1.0, v[38:39], 1.0
	v_rcp_f64_e32 v[54:55], v[40:41]
	v_fma_f64 v[56:57], -v[40:41], v[54:55], 1.0
	v_fma_f64 v[54:55], v[54:55], v[56:57], v[54:55]
	v_fma_f64 v[56:57], -v[40:41], v[54:55], 1.0
	v_fma_f64 v[54:55], v[54:55], v[56:57], v[54:55]
	v_mul_f64 v[56:57], v[58:59], v[54:55]
	v_fma_f64 v[40:41], -v[40:41], v[56:57], v[58:59]
	v_div_fmas_f64 v[40:41], v[40:41], v[54:55], v[56:57]
	v_div_fixup_f64 v[40:41], v[40:41], v[38:39], 1.0
	v_mul_f64 v[38:39], v[52:53], v[40:41]
	v_xor_b32_e32 v41, 0x80000000, v41
.LBB16_112:
	s_andn2_saveexec_b64 s[2:3], s[2:3]
	s_cbranch_execz .LBB16_114
; %bb.113:
	v_div_scale_f64 v[52:53], s[4:5], v[38:39], v[38:39], v[40:41]
	v_rcp_f64_e32 v[54:55], v[52:53]
	v_fma_f64 v[56:57], -v[52:53], v[54:55], 1.0
	v_fma_f64 v[54:55], v[54:55], v[56:57], v[54:55]
	v_div_scale_f64 v[56:57], vcc, v[40:41], v[38:39], v[40:41]
	v_fma_f64 v[58:59], -v[52:53], v[54:55], 1.0
	v_fma_f64 v[54:55], v[54:55], v[58:59], v[54:55]
	v_mul_f64 v[58:59], v[56:57], v[54:55]
	v_fma_f64 v[52:53], -v[52:53], v[58:59], v[56:57]
	v_div_fmas_f64 v[52:53], v[52:53], v[54:55], v[58:59]
	v_div_fixup_f64 v[52:53], v[52:53], v[38:39], v[40:41]
	v_fma_f64 v[38:39], v[40:41], v[52:53], v[38:39]
	v_div_scale_f64 v[40:41], s[4:5], v[38:39], v[38:39], 1.0
	v_div_scale_f64 v[58:59], vcc, 1.0, v[38:39], 1.0
	v_rcp_f64_e32 v[54:55], v[40:41]
	v_fma_f64 v[56:57], -v[40:41], v[54:55], 1.0
	v_fma_f64 v[54:55], v[54:55], v[56:57], v[54:55]
	v_fma_f64 v[56:57], -v[40:41], v[54:55], 1.0
	v_fma_f64 v[54:55], v[54:55], v[56:57], v[54:55]
	v_mul_f64 v[56:57], v[58:59], v[54:55]
	v_fma_f64 v[40:41], -v[40:41], v[56:57], v[58:59]
	v_div_fmas_f64 v[40:41], v[40:41], v[54:55], v[56:57]
	v_div_fixup_f64 v[38:39], v[40:41], v[38:39], 1.0
	v_mul_f64 v[40:41], v[52:53], -v[38:39]
.LBB16_114:
	s_or_b64 exec, exec, s[2:3]
.LBB16_115:
	s_or_b64 exec, exec, s[0:1]
	v_cmp_ne_u32_e32 vcc, v48, v46
	s_and_saveexec_b64 s[0:1], vcc
	s_xor_b64 s[0:1], exec, s[0:1]
	s_cbranch_execz .LBB16_121
; %bb.116:
	v_cmp_eq_u32_e32 vcc, 5, v48
	s_and_saveexec_b64 s[2:3], vcc
	s_cbranch_execz .LBB16_120
; %bb.117:
	v_cmp_ne_u32_e32 vcc, 5, v46
	s_xor_b64 s[4:5], s[18:19], -1
	s_and_b64 s[24:25], s[4:5], vcc
	s_and_saveexec_b64 s[4:5], s[24:25]
	s_cbranch_execz .LBB16_119
; %bb.118:
	v_ashrrev_i32_e32 v47, 31, v46
	v_lshlrev_b64 v[47:48], 2, v[46:47]
	v_add_co_u32_e32 v47, vcc, v44, v47
	v_addc_co_u32_e32 v48, vcc, v45, v48, vcc
	global_load_dword v0, v[47:48], off
	global_load_dword v52, v[44:45], off offset:20
	s_waitcnt vmcnt(1)
	global_store_dword v[44:45], v0, off offset:20
	s_waitcnt vmcnt(1)
	global_store_dword v[47:48], v52, off
.LBB16_119:
	s_or_b64 exec, exec, s[4:5]
	v_mov_b32_e32 v48, v46
	v_mov_b32_e32 v0, v46
.LBB16_120:
	s_or_b64 exec, exec, s[2:3]
.LBB16_121:
	s_andn2_saveexec_b64 s[0:1], s[0:1]
	s_cbranch_execz .LBB16_123
; %bb.122:
	v_mov_b32_e32 v48, 5
	ds_write2_b64 v1, v[6:7], v[8:9] offset0:12 offset1:13
	ds_write2_b64 v1, v[2:3], v[4:5] offset0:14 offset1:15
	;; [unrolled: 1-line block ×3, first 2 shown]
.LBB16_123:
	s_or_b64 exec, exec, s[0:1]
	v_cmp_lt_i32_e32 vcc, 5, v48
	s_waitcnt vmcnt(0) lgkmcnt(0)
	s_barrier
	s_and_saveexec_b64 s[0:1], vcc
	s_cbranch_execz .LBB16_125
; %bb.124:
	v_mul_f64 v[46:47], v[38:39], v[12:13]
	v_mul_f64 v[12:13], v[40:41], v[12:13]
	ds_read2_b64 v[52:55], v1 offset0:12 offset1:13
	ds_read2_b64 v[56:59], v1 offset0:14 offset1:15
	ds_read2_b64 v[60:63], v1 offset0:16 offset1:17
	v_fma_f64 v[40:41], v[40:41], v[10:11], v[46:47]
	v_fma_f64 v[10:11], v[38:39], v[10:11], -v[12:13]
	s_waitcnt lgkmcnt(2)
	v_mul_f64 v[12:13], v[54:55], v[40:41]
	v_mul_f64 v[38:39], v[52:53], v[40:41]
	s_waitcnt lgkmcnt(1)
	v_mul_f64 v[46:47], v[58:59], v[40:41]
	v_mul_f64 v[64:65], v[56:57], v[40:41]
	;; [unrolled: 3-line block ×3, first 2 shown]
	v_fma_f64 v[12:13], v[52:53], v[10:11], -v[12:13]
	v_fma_f64 v[38:39], v[54:55], v[10:11], v[38:39]
	v_fma_f64 v[46:47], v[56:57], v[10:11], -v[46:47]
	v_fma_f64 v[52:53], v[58:59], v[10:11], v[64:65]
	;; [unrolled: 2-line block ×3, first 2 shown]
	v_add_f64 v[6:7], v[6:7], -v[12:13]
	v_add_f64 v[8:9], v[8:9], -v[38:39]
	;; [unrolled: 1-line block ×6, first 2 shown]
	v_mov_b32_e32 v12, v40
	v_mov_b32_e32 v13, v41
.LBB16_125:
	s_or_b64 exec, exec, s[0:1]
	v_lshl_add_u32 v38, v48, 4, v1
	s_barrier
	ds_write2_b64 v38, v[6:7], v[8:9] offset1:1
	s_waitcnt lgkmcnt(0)
	s_barrier
	ds_read2_b64 v[38:41], v1 offset0:12 offset1:13
	s_cmp_lt_i32 s22, 8
	v_mov_b32_e32 v46, 6
	s_cbranch_scc1 .LBB16_128
; %bb.126:
	v_add_u32_e32 v47, 0x70, v1
	s_mov_b32 s2, 7
	v_mov_b32_e32 v46, 6
.LBB16_127:                             ; =>This Inner Loop Header: Depth=1
	s_waitcnt lgkmcnt(0)
	v_cmp_gt_f64_e32 vcc, 0, v[40:41]
	v_cmp_gt_f64_e64 s[0:1], 0, v[38:39]
	ds_read2_b64 v[52:55], v47 offset1:1
	v_xor_b32_e32 v57, 0x80000000, v39
	v_xor_b32_e32 v59, 0x80000000, v41
	v_mov_b32_e32 v56, v38
	v_mov_b32_e32 v58, v40
	s_waitcnt lgkmcnt(0)
	v_xor_b32_e32 v61, 0x80000000, v55
	v_cndmask_b32_e32 v59, v41, v59, vcc
	v_cndmask_b32_e64 v57, v39, v57, s[0:1]
	v_cmp_gt_f64_e32 vcc, 0, v[54:55]
	v_cmp_gt_f64_e64 s[0:1], 0, v[52:53]
	v_add_f64 v[56:57], v[56:57], v[58:59]
	v_xor_b32_e32 v59, 0x80000000, v53
	v_mov_b32_e32 v58, v52
	v_mov_b32_e32 v60, v54
	v_add_u32_e32 v47, 16, v47
	v_cndmask_b32_e32 v61, v55, v61, vcc
	v_cndmask_b32_e64 v59, v53, v59, s[0:1]
	v_add_f64 v[58:59], v[58:59], v[60:61]
	v_mov_b32_e32 v60, s2
	s_add_i32 s2, s2, 1
	s_cmp_lg_u32 s22, s2
	v_cmp_lt_f64_e32 vcc, v[56:57], v[58:59]
	v_cndmask_b32_e32 v39, v39, v53, vcc
	v_cndmask_b32_e32 v38, v38, v52, vcc
	;; [unrolled: 1-line block ×5, first 2 shown]
	s_cbranch_scc1 .LBB16_127
.LBB16_128:
	s_waitcnt lgkmcnt(0)
	v_cmp_eq_f64_e32 vcc, 0, v[38:39]
	v_cmp_eq_f64_e64 s[0:1], 0, v[40:41]
	s_and_b64 s[0:1], vcc, s[0:1]
	s_and_saveexec_b64 s[2:3], s[0:1]
	s_xor_b64 s[0:1], exec, s[2:3]
; %bb.129:
	v_cmp_ne_u32_e32 vcc, 0, v51
	v_cndmask_b32_e32 v51, 7, v51, vcc
; %bb.130:
	s_andn2_saveexec_b64 s[0:1], s[0:1]
	s_cbranch_execz .LBB16_136
; %bb.131:
	v_cmp_ngt_f64_e64 s[2:3], |v[38:39]|, |v[40:41]|
	s_and_saveexec_b64 s[4:5], s[2:3]
	s_xor_b64 s[2:3], exec, s[4:5]
	s_cbranch_execz .LBB16_133
; %bb.132:
	v_div_scale_f64 v[52:53], s[4:5], v[40:41], v[40:41], v[38:39]
	v_rcp_f64_e32 v[54:55], v[52:53]
	v_fma_f64 v[56:57], -v[52:53], v[54:55], 1.0
	v_fma_f64 v[54:55], v[54:55], v[56:57], v[54:55]
	v_div_scale_f64 v[56:57], vcc, v[38:39], v[40:41], v[38:39]
	v_fma_f64 v[58:59], -v[52:53], v[54:55], 1.0
	v_fma_f64 v[54:55], v[54:55], v[58:59], v[54:55]
	v_mul_f64 v[58:59], v[56:57], v[54:55]
	v_fma_f64 v[52:53], -v[52:53], v[58:59], v[56:57]
	v_div_fmas_f64 v[52:53], v[52:53], v[54:55], v[58:59]
	v_div_fixup_f64 v[52:53], v[52:53], v[40:41], v[38:39]
	v_fma_f64 v[38:39], v[38:39], v[52:53], v[40:41]
	v_div_scale_f64 v[40:41], s[4:5], v[38:39], v[38:39], 1.0
	v_div_scale_f64 v[58:59], vcc, 1.0, v[38:39], 1.0
	v_rcp_f64_e32 v[54:55], v[40:41]
	v_fma_f64 v[56:57], -v[40:41], v[54:55], 1.0
	v_fma_f64 v[54:55], v[54:55], v[56:57], v[54:55]
	v_fma_f64 v[56:57], -v[40:41], v[54:55], 1.0
	v_fma_f64 v[54:55], v[54:55], v[56:57], v[54:55]
	v_mul_f64 v[56:57], v[58:59], v[54:55]
	v_fma_f64 v[40:41], -v[40:41], v[56:57], v[58:59]
	v_div_fmas_f64 v[40:41], v[40:41], v[54:55], v[56:57]
	v_div_fixup_f64 v[40:41], v[40:41], v[38:39], 1.0
	v_mul_f64 v[38:39], v[52:53], v[40:41]
	v_xor_b32_e32 v41, 0x80000000, v41
.LBB16_133:
	s_andn2_saveexec_b64 s[2:3], s[2:3]
	s_cbranch_execz .LBB16_135
; %bb.134:
	v_div_scale_f64 v[52:53], s[4:5], v[38:39], v[38:39], v[40:41]
	v_rcp_f64_e32 v[54:55], v[52:53]
	v_fma_f64 v[56:57], -v[52:53], v[54:55], 1.0
	v_fma_f64 v[54:55], v[54:55], v[56:57], v[54:55]
	v_div_scale_f64 v[56:57], vcc, v[40:41], v[38:39], v[40:41]
	v_fma_f64 v[58:59], -v[52:53], v[54:55], 1.0
	v_fma_f64 v[54:55], v[54:55], v[58:59], v[54:55]
	v_mul_f64 v[58:59], v[56:57], v[54:55]
	v_fma_f64 v[52:53], -v[52:53], v[58:59], v[56:57]
	v_div_fmas_f64 v[52:53], v[52:53], v[54:55], v[58:59]
	v_div_fixup_f64 v[52:53], v[52:53], v[38:39], v[40:41]
	v_fma_f64 v[38:39], v[40:41], v[52:53], v[38:39]
	v_div_scale_f64 v[40:41], s[4:5], v[38:39], v[38:39], 1.0
	v_div_scale_f64 v[58:59], vcc, 1.0, v[38:39], 1.0
	v_rcp_f64_e32 v[54:55], v[40:41]
	v_fma_f64 v[56:57], -v[40:41], v[54:55], 1.0
	v_fma_f64 v[54:55], v[54:55], v[56:57], v[54:55]
	v_fma_f64 v[56:57], -v[40:41], v[54:55], 1.0
	v_fma_f64 v[54:55], v[54:55], v[56:57], v[54:55]
	v_mul_f64 v[56:57], v[58:59], v[54:55]
	v_fma_f64 v[40:41], -v[40:41], v[56:57], v[58:59]
	v_div_fmas_f64 v[40:41], v[40:41], v[54:55], v[56:57]
	v_div_fixup_f64 v[38:39], v[40:41], v[38:39], 1.0
	v_mul_f64 v[40:41], v[52:53], -v[38:39]
.LBB16_135:
	s_or_b64 exec, exec, s[2:3]
.LBB16_136:
	s_or_b64 exec, exec, s[0:1]
	v_cmp_ne_u32_e32 vcc, v48, v46
	s_and_saveexec_b64 s[0:1], vcc
	s_xor_b64 s[0:1], exec, s[0:1]
	s_cbranch_execz .LBB16_142
; %bb.137:
	v_cmp_eq_u32_e32 vcc, 6, v48
	s_and_saveexec_b64 s[2:3], vcc
	s_cbranch_execz .LBB16_141
; %bb.138:
	v_cmp_ne_u32_e32 vcc, 6, v46
	s_xor_b64 s[4:5], s[18:19], -1
	s_and_b64 s[24:25], s[4:5], vcc
	s_and_saveexec_b64 s[4:5], s[24:25]
	s_cbranch_execz .LBB16_140
; %bb.139:
	v_ashrrev_i32_e32 v47, 31, v46
	v_lshlrev_b64 v[47:48], 2, v[46:47]
	v_add_co_u32_e32 v47, vcc, v44, v47
	v_addc_co_u32_e32 v48, vcc, v45, v48, vcc
	global_load_dword v0, v[47:48], off
	global_load_dword v52, v[44:45], off offset:24
	s_waitcnt vmcnt(1)
	global_store_dword v[44:45], v0, off offset:24
	s_waitcnt vmcnt(1)
	global_store_dword v[47:48], v52, off
.LBB16_140:
	s_or_b64 exec, exec, s[4:5]
	v_mov_b32_e32 v48, v46
	v_mov_b32_e32 v0, v46
.LBB16_141:
	s_or_b64 exec, exec, s[2:3]
.LBB16_142:
	s_andn2_saveexec_b64 s[0:1], s[0:1]
	s_cbranch_execz .LBB16_144
; %bb.143:
	v_mov_b32_e32 v48, 6
	ds_write2_b64 v1, v[2:3], v[4:5] offset0:14 offset1:15
	ds_write2_b64 v1, v[34:35], v[36:37] offset0:16 offset1:17
.LBB16_144:
	s_or_b64 exec, exec, s[0:1]
	v_cmp_lt_i32_e32 vcc, 6, v48
	s_waitcnt vmcnt(0) lgkmcnt(0)
	s_barrier
	s_and_saveexec_b64 s[0:1], vcc
	s_cbranch_execz .LBB16_146
; %bb.145:
	v_mul_f64 v[46:47], v[38:39], v[8:9]
	v_mul_f64 v[8:9], v[40:41], v[8:9]
	ds_read2_b64 v[52:55], v1 offset0:14 offset1:15
	ds_read2_b64 v[56:59], v1 offset0:16 offset1:17
	v_fma_f64 v[40:41], v[40:41], v[6:7], v[46:47]
	v_fma_f64 v[6:7], v[38:39], v[6:7], -v[8:9]
	s_waitcnt lgkmcnt(1)
	v_mul_f64 v[8:9], v[54:55], v[40:41]
	v_mul_f64 v[38:39], v[52:53], v[40:41]
	s_waitcnt lgkmcnt(0)
	v_mul_f64 v[46:47], v[58:59], v[40:41]
	v_mul_f64 v[60:61], v[56:57], v[40:41]
	v_fma_f64 v[8:9], v[52:53], v[6:7], -v[8:9]
	v_fma_f64 v[38:39], v[54:55], v[6:7], v[38:39]
	v_fma_f64 v[46:47], v[56:57], v[6:7], -v[46:47]
	v_fma_f64 v[52:53], v[58:59], v[6:7], v[60:61]
	v_add_f64 v[2:3], v[2:3], -v[8:9]
	v_add_f64 v[4:5], v[4:5], -v[38:39]
	;; [unrolled: 1-line block ×4, first 2 shown]
	v_mov_b32_e32 v8, v40
	v_mov_b32_e32 v9, v41
.LBB16_146:
	s_or_b64 exec, exec, s[0:1]
	v_lshl_add_u32 v38, v48, 4, v1
	s_barrier
	ds_write2_b64 v38, v[2:3], v[4:5] offset1:1
	s_waitcnt lgkmcnt(0)
	s_barrier
	ds_read2_b64 v[38:41], v1 offset0:14 offset1:15
	s_cmp_lt_i32 s22, 9
	v_mov_b32_e32 v46, 7
	s_cbranch_scc1 .LBB16_149
; %bb.147:
	v_add_u32_e32 v47, 0x80, v1
	s_mov_b32 s2, 8
	v_mov_b32_e32 v46, 7
.LBB16_148:                             ; =>This Inner Loop Header: Depth=1
	s_waitcnt lgkmcnt(0)
	v_cmp_gt_f64_e32 vcc, 0, v[40:41]
	v_cmp_gt_f64_e64 s[0:1], 0, v[38:39]
	ds_read2_b64 v[52:55], v47 offset1:1
	v_xor_b32_e32 v57, 0x80000000, v39
	v_xor_b32_e32 v59, 0x80000000, v41
	v_mov_b32_e32 v56, v38
	v_mov_b32_e32 v58, v40
	s_waitcnt lgkmcnt(0)
	v_xor_b32_e32 v61, 0x80000000, v55
	v_cndmask_b32_e32 v59, v41, v59, vcc
	v_cndmask_b32_e64 v57, v39, v57, s[0:1]
	v_cmp_gt_f64_e32 vcc, 0, v[54:55]
	v_cmp_gt_f64_e64 s[0:1], 0, v[52:53]
	v_add_f64 v[56:57], v[56:57], v[58:59]
	v_xor_b32_e32 v59, 0x80000000, v53
	v_mov_b32_e32 v58, v52
	v_mov_b32_e32 v60, v54
	v_add_u32_e32 v47, 16, v47
	v_cndmask_b32_e32 v61, v55, v61, vcc
	v_cndmask_b32_e64 v59, v53, v59, s[0:1]
	v_add_f64 v[58:59], v[58:59], v[60:61]
	v_mov_b32_e32 v60, s2
	s_add_i32 s2, s2, 1
	s_cmp_lg_u32 s22, s2
	v_cmp_lt_f64_e32 vcc, v[56:57], v[58:59]
	v_cndmask_b32_e32 v39, v39, v53, vcc
	v_cndmask_b32_e32 v38, v38, v52, vcc
	;; [unrolled: 1-line block ×5, first 2 shown]
	s_cbranch_scc1 .LBB16_148
.LBB16_149:
	s_waitcnt lgkmcnt(0)
	v_cmp_eq_f64_e32 vcc, 0, v[38:39]
	v_cmp_eq_f64_e64 s[0:1], 0, v[40:41]
	s_and_b64 s[0:1], vcc, s[0:1]
	s_and_saveexec_b64 s[2:3], s[0:1]
	s_xor_b64 s[0:1], exec, s[2:3]
; %bb.150:
	v_cmp_ne_u32_e32 vcc, 0, v51
	v_cndmask_b32_e32 v51, 8, v51, vcc
; %bb.151:
	s_andn2_saveexec_b64 s[0:1], s[0:1]
	s_cbranch_execz .LBB16_157
; %bb.152:
	v_cmp_ngt_f64_e64 s[2:3], |v[38:39]|, |v[40:41]|
	s_and_saveexec_b64 s[4:5], s[2:3]
	s_xor_b64 s[2:3], exec, s[4:5]
	s_cbranch_execz .LBB16_154
; %bb.153:
	v_div_scale_f64 v[52:53], s[4:5], v[40:41], v[40:41], v[38:39]
	v_rcp_f64_e32 v[54:55], v[52:53]
	v_fma_f64 v[56:57], -v[52:53], v[54:55], 1.0
	v_fma_f64 v[54:55], v[54:55], v[56:57], v[54:55]
	v_div_scale_f64 v[56:57], vcc, v[38:39], v[40:41], v[38:39]
	v_fma_f64 v[58:59], -v[52:53], v[54:55], 1.0
	v_fma_f64 v[54:55], v[54:55], v[58:59], v[54:55]
	v_mul_f64 v[58:59], v[56:57], v[54:55]
	v_fma_f64 v[52:53], -v[52:53], v[58:59], v[56:57]
	v_div_fmas_f64 v[52:53], v[52:53], v[54:55], v[58:59]
	v_div_fixup_f64 v[52:53], v[52:53], v[40:41], v[38:39]
	v_fma_f64 v[38:39], v[38:39], v[52:53], v[40:41]
	v_div_scale_f64 v[40:41], s[4:5], v[38:39], v[38:39], 1.0
	v_div_scale_f64 v[58:59], vcc, 1.0, v[38:39], 1.0
	v_rcp_f64_e32 v[54:55], v[40:41]
	v_fma_f64 v[56:57], -v[40:41], v[54:55], 1.0
	v_fma_f64 v[54:55], v[54:55], v[56:57], v[54:55]
	v_fma_f64 v[56:57], -v[40:41], v[54:55], 1.0
	v_fma_f64 v[54:55], v[54:55], v[56:57], v[54:55]
	v_mul_f64 v[56:57], v[58:59], v[54:55]
	v_fma_f64 v[40:41], -v[40:41], v[56:57], v[58:59]
	v_div_fmas_f64 v[40:41], v[40:41], v[54:55], v[56:57]
	v_div_fixup_f64 v[40:41], v[40:41], v[38:39], 1.0
	v_mul_f64 v[38:39], v[52:53], v[40:41]
	v_xor_b32_e32 v41, 0x80000000, v41
.LBB16_154:
	s_andn2_saveexec_b64 s[2:3], s[2:3]
	s_cbranch_execz .LBB16_156
; %bb.155:
	v_div_scale_f64 v[52:53], s[4:5], v[38:39], v[38:39], v[40:41]
	v_rcp_f64_e32 v[54:55], v[52:53]
	v_fma_f64 v[56:57], -v[52:53], v[54:55], 1.0
	v_fma_f64 v[54:55], v[54:55], v[56:57], v[54:55]
	v_div_scale_f64 v[56:57], vcc, v[40:41], v[38:39], v[40:41]
	v_fma_f64 v[58:59], -v[52:53], v[54:55], 1.0
	v_fma_f64 v[54:55], v[54:55], v[58:59], v[54:55]
	v_mul_f64 v[58:59], v[56:57], v[54:55]
	v_fma_f64 v[52:53], -v[52:53], v[58:59], v[56:57]
	v_div_fmas_f64 v[52:53], v[52:53], v[54:55], v[58:59]
	v_div_fixup_f64 v[52:53], v[52:53], v[38:39], v[40:41]
	v_fma_f64 v[38:39], v[40:41], v[52:53], v[38:39]
	v_div_scale_f64 v[40:41], s[4:5], v[38:39], v[38:39], 1.0
	v_div_scale_f64 v[58:59], vcc, 1.0, v[38:39], 1.0
	v_rcp_f64_e32 v[54:55], v[40:41]
	v_fma_f64 v[56:57], -v[40:41], v[54:55], 1.0
	v_fma_f64 v[54:55], v[54:55], v[56:57], v[54:55]
	v_fma_f64 v[56:57], -v[40:41], v[54:55], 1.0
	v_fma_f64 v[54:55], v[54:55], v[56:57], v[54:55]
	v_mul_f64 v[56:57], v[58:59], v[54:55]
	v_fma_f64 v[40:41], -v[40:41], v[56:57], v[58:59]
	v_div_fmas_f64 v[40:41], v[40:41], v[54:55], v[56:57]
	v_div_fixup_f64 v[38:39], v[40:41], v[38:39], 1.0
	v_mul_f64 v[40:41], v[52:53], -v[38:39]
.LBB16_156:
	s_or_b64 exec, exec, s[2:3]
.LBB16_157:
	s_or_b64 exec, exec, s[0:1]
	v_cmp_ne_u32_e32 vcc, v48, v46
	s_and_saveexec_b64 s[0:1], vcc
	s_xor_b64 s[0:1], exec, s[0:1]
	s_cbranch_execz .LBB16_163
; %bb.158:
	v_cmp_eq_u32_e32 vcc, 7, v48
	s_and_saveexec_b64 s[2:3], vcc
	s_cbranch_execz .LBB16_162
; %bb.159:
	v_cmp_ne_u32_e32 vcc, 7, v46
	s_xor_b64 s[4:5], s[18:19], -1
	s_and_b64 s[24:25], s[4:5], vcc
	s_and_saveexec_b64 s[4:5], s[24:25]
	s_cbranch_execz .LBB16_161
; %bb.160:
	v_ashrrev_i32_e32 v47, 31, v46
	v_lshlrev_b64 v[47:48], 2, v[46:47]
	v_add_co_u32_e32 v47, vcc, v44, v47
	v_addc_co_u32_e32 v48, vcc, v45, v48, vcc
	global_load_dword v0, v[47:48], off
	global_load_dword v52, v[44:45], off offset:28
	s_waitcnt vmcnt(1)
	global_store_dword v[44:45], v0, off offset:28
	s_waitcnt vmcnt(1)
	global_store_dword v[47:48], v52, off
.LBB16_161:
	s_or_b64 exec, exec, s[4:5]
	v_mov_b32_e32 v48, v46
	v_mov_b32_e32 v0, v46
.LBB16_162:
	s_or_b64 exec, exec, s[2:3]
.LBB16_163:
	s_andn2_saveexec_b64 s[0:1], s[0:1]
; %bb.164:
	v_mov_b32_e32 v48, 7
	ds_write2_b64 v1, v[34:35], v[36:37] offset0:16 offset1:17
; %bb.165:
	s_or_b64 exec, exec, s[0:1]
	v_cmp_lt_i32_e32 vcc, 7, v48
	s_waitcnt vmcnt(0) lgkmcnt(0)
	s_barrier
	s_and_saveexec_b64 s[0:1], vcc
	s_cbranch_execz .LBB16_167
; %bb.166:
	v_mul_f64 v[46:47], v[38:39], v[4:5]
	v_mul_f64 v[4:5], v[40:41], v[4:5]
	ds_read2_b64 v[52:55], v1 offset0:16 offset1:17
	v_fma_f64 v[40:41], v[40:41], v[2:3], v[46:47]
	v_fma_f64 v[2:3], v[38:39], v[2:3], -v[4:5]
	s_waitcnt lgkmcnt(0)
	v_mul_f64 v[4:5], v[54:55], v[40:41]
	v_mul_f64 v[38:39], v[52:53], v[40:41]
	v_fma_f64 v[4:5], v[52:53], v[2:3], -v[4:5]
	v_fma_f64 v[38:39], v[54:55], v[2:3], v[38:39]
	v_add_f64 v[34:35], v[34:35], -v[4:5]
	v_add_f64 v[36:37], v[36:37], -v[38:39]
	v_mov_b32_e32 v4, v40
	v_mov_b32_e32 v5, v41
.LBB16_167:
	s_or_b64 exec, exec, s[0:1]
	v_lshl_add_u32 v38, v48, 4, v1
	s_barrier
	ds_write2_b64 v38, v[34:35], v[36:37] offset1:1
	s_waitcnt lgkmcnt(0)
	s_barrier
	ds_read2_b64 v[38:41], v1 offset0:16 offset1:17
	s_cmp_lt_i32 s22, 10
	v_mov_b32_e32 v46, 8
	s_cbranch_scc1 .LBB16_170
; %bb.168:
	v_add_u32_e32 v1, 0x90, v1
	s_mov_b32 s2, 9
	v_mov_b32_e32 v46, 8
.LBB16_169:                             ; =>This Inner Loop Header: Depth=1
	s_waitcnt lgkmcnt(0)
	v_cmp_gt_f64_e32 vcc, 0, v[40:41]
	v_cmp_gt_f64_e64 s[0:1], 0, v[38:39]
	ds_read2_b64 v[52:55], v1 offset1:1
	v_xor_b32_e32 v47, 0x80000000, v39
	v_xor_b32_e32 v59, 0x80000000, v41
	v_mov_b32_e32 v56, v38
	v_mov_b32_e32 v58, v40
	s_waitcnt lgkmcnt(0)
	v_xor_b32_e32 v61, 0x80000000, v55
	v_cndmask_b32_e32 v59, v41, v59, vcc
	v_cndmask_b32_e64 v57, v39, v47, s[0:1]
	v_cmp_gt_f64_e32 vcc, 0, v[54:55]
	v_cmp_gt_f64_e64 s[0:1], 0, v[52:53]
	v_xor_b32_e32 v47, 0x80000000, v53
	v_add_f64 v[56:57], v[56:57], v[58:59]
	v_mov_b32_e32 v58, v52
	v_mov_b32_e32 v60, v54
	v_add_u32_e32 v1, 16, v1
	v_cndmask_b32_e32 v61, v55, v61, vcc
	v_cndmask_b32_e64 v59, v53, v47, s[0:1]
	v_add_f64 v[58:59], v[58:59], v[60:61]
	v_mov_b32_e32 v47, s2
	s_add_i32 s2, s2, 1
	s_cmp_lg_u32 s22, s2
	v_cmp_lt_f64_e32 vcc, v[56:57], v[58:59]
	v_cndmask_b32_e32 v39, v39, v53, vcc
	v_cndmask_b32_e32 v38, v38, v52, vcc
	;; [unrolled: 1-line block ×5, first 2 shown]
	s_cbranch_scc1 .LBB16_169
.LBB16_170:
	s_waitcnt lgkmcnt(0)
	v_cmp_eq_f64_e32 vcc, 0, v[38:39]
	v_cmp_eq_f64_e64 s[0:1], 0, v[40:41]
	s_and_b64 s[0:1], vcc, s[0:1]
	s_and_saveexec_b64 s[2:3], s[0:1]
	s_xor_b64 s[0:1], exec, s[2:3]
; %bb.171:
	v_cmp_ne_u32_e32 vcc, 0, v51
	v_cndmask_b32_e32 v51, 9, v51, vcc
; %bb.172:
	s_andn2_saveexec_b64 s[0:1], s[0:1]
	s_cbranch_execz .LBB16_178
; %bb.173:
	v_cmp_ngt_f64_e64 s[2:3], |v[38:39]|, |v[40:41]|
	s_and_saveexec_b64 s[4:5], s[2:3]
	s_xor_b64 s[2:3], exec, s[4:5]
	s_cbranch_execz .LBB16_175
; %bb.174:
	v_div_scale_f64 v[52:53], s[4:5], v[40:41], v[40:41], v[38:39]
	v_rcp_f64_e32 v[54:55], v[52:53]
	v_fma_f64 v[56:57], -v[52:53], v[54:55], 1.0
	v_fma_f64 v[54:55], v[54:55], v[56:57], v[54:55]
	v_div_scale_f64 v[56:57], vcc, v[38:39], v[40:41], v[38:39]
	v_fma_f64 v[58:59], -v[52:53], v[54:55], 1.0
	v_fma_f64 v[54:55], v[54:55], v[58:59], v[54:55]
	v_mul_f64 v[58:59], v[56:57], v[54:55]
	v_fma_f64 v[52:53], -v[52:53], v[58:59], v[56:57]
	v_div_fmas_f64 v[52:53], v[52:53], v[54:55], v[58:59]
	v_div_fixup_f64 v[52:53], v[52:53], v[40:41], v[38:39]
	v_fma_f64 v[38:39], v[38:39], v[52:53], v[40:41]
	v_div_scale_f64 v[40:41], s[4:5], v[38:39], v[38:39], 1.0
	v_div_scale_f64 v[58:59], vcc, 1.0, v[38:39], 1.0
	v_rcp_f64_e32 v[54:55], v[40:41]
	v_fma_f64 v[56:57], -v[40:41], v[54:55], 1.0
	v_fma_f64 v[54:55], v[54:55], v[56:57], v[54:55]
	v_fma_f64 v[56:57], -v[40:41], v[54:55], 1.0
	v_fma_f64 v[54:55], v[54:55], v[56:57], v[54:55]
	v_mul_f64 v[56:57], v[58:59], v[54:55]
	v_fma_f64 v[40:41], -v[40:41], v[56:57], v[58:59]
	v_div_fmas_f64 v[40:41], v[40:41], v[54:55], v[56:57]
	v_div_fixup_f64 v[40:41], v[40:41], v[38:39], 1.0
	v_mul_f64 v[38:39], v[52:53], v[40:41]
	v_xor_b32_e32 v41, 0x80000000, v41
.LBB16_175:
	s_andn2_saveexec_b64 s[2:3], s[2:3]
	s_cbranch_execz .LBB16_177
; %bb.176:
	v_div_scale_f64 v[52:53], s[4:5], v[38:39], v[38:39], v[40:41]
	v_rcp_f64_e32 v[54:55], v[52:53]
	v_fma_f64 v[56:57], -v[52:53], v[54:55], 1.0
	v_fma_f64 v[54:55], v[54:55], v[56:57], v[54:55]
	v_div_scale_f64 v[56:57], vcc, v[40:41], v[38:39], v[40:41]
	v_fma_f64 v[58:59], -v[52:53], v[54:55], 1.0
	v_fma_f64 v[54:55], v[54:55], v[58:59], v[54:55]
	v_mul_f64 v[58:59], v[56:57], v[54:55]
	v_fma_f64 v[52:53], -v[52:53], v[58:59], v[56:57]
	v_div_fmas_f64 v[52:53], v[52:53], v[54:55], v[58:59]
	v_div_fixup_f64 v[52:53], v[52:53], v[38:39], v[40:41]
	v_fma_f64 v[38:39], v[40:41], v[52:53], v[38:39]
	v_div_scale_f64 v[40:41], s[4:5], v[38:39], v[38:39], 1.0
	v_div_scale_f64 v[58:59], vcc, 1.0, v[38:39], 1.0
	v_rcp_f64_e32 v[54:55], v[40:41]
	v_fma_f64 v[56:57], -v[40:41], v[54:55], 1.0
	v_fma_f64 v[54:55], v[54:55], v[56:57], v[54:55]
	v_fma_f64 v[56:57], -v[40:41], v[54:55], 1.0
	v_fma_f64 v[54:55], v[54:55], v[56:57], v[54:55]
	v_mul_f64 v[56:57], v[58:59], v[54:55]
	v_fma_f64 v[40:41], -v[40:41], v[56:57], v[58:59]
	v_div_fmas_f64 v[40:41], v[40:41], v[54:55], v[56:57]
	v_div_fixup_f64 v[38:39], v[40:41], v[38:39], 1.0
	v_mul_f64 v[40:41], v[52:53], -v[38:39]
.LBB16_177:
	s_or_b64 exec, exec, s[2:3]
.LBB16_178:
	s_or_b64 exec, exec, s[0:1]
	v_cmp_ne_u32_e32 vcc, v48, v46
	v_mov_b32_e32 v47, 8
	s_and_saveexec_b64 s[0:1], vcc
	s_cbranch_execz .LBB16_184
; %bb.179:
	v_cmp_eq_u32_e32 vcc, 8, v48
	s_and_saveexec_b64 s[2:3], vcc
	s_cbranch_execz .LBB16_183
; %bb.180:
	v_cmp_ne_u32_e32 vcc, 8, v46
	s_xor_b64 s[4:5], s[18:19], -1
	s_and_b64 s[18:19], s[4:5], vcc
	s_and_saveexec_b64 s[4:5], s[18:19]
	s_cbranch_execz .LBB16_182
; %bb.181:
	v_ashrrev_i32_e32 v47, 31, v46
	v_lshlrev_b64 v[0:1], 2, v[46:47]
	v_add_co_u32_e32 v0, vcc, v44, v0
	v_addc_co_u32_e32 v1, vcc, v45, v1, vcc
	global_load_dword v47, v[0:1], off
	global_load_dword v48, v[44:45], off offset:32
	s_waitcnt vmcnt(1)
	global_store_dword v[44:45], v47, off offset:32
	s_waitcnt vmcnt(1)
	global_store_dword v[0:1], v48, off
.LBB16_182:
	s_or_b64 exec, exec, s[4:5]
	v_mov_b32_e32 v48, v46
	v_mov_b32_e32 v0, v46
.LBB16_183:
	s_or_b64 exec, exec, s[2:3]
	v_mov_b32_e32 v47, v48
.LBB16_184:
	s_or_b64 exec, exec, s[0:1]
	v_cmp_gt_i32_e32 vcc, 9, v47
	v_ashrrev_i32_e32 v48, 31, v47
	s_waitcnt vmcnt(0)
	s_barrier
	s_barrier
	s_and_saveexec_b64 s[0:1], vcc
	s_cbranch_execz .LBB16_186
; %bb.185:
	v_mul_lo_u32 v1, s15, v42
	v_mul_lo_u32 v46, s14, v43
	v_mad_u64_u32 v[44:45], s[2:3], s14, v42, 0
	s_lshl_b64 s[2:3], s[12:13], 2
	v_add3_u32 v0, v0, s17, 1
	v_add3_u32 v45, v45, v46, v1
	v_lshlrev_b64 v[44:45], 2, v[44:45]
	v_mov_b32_e32 v1, s11
	v_add_co_u32_e32 v44, vcc, s10, v44
	v_addc_co_u32_e32 v1, vcc, v1, v45, vcc
	v_mov_b32_e32 v45, s3
	v_add_co_u32_e32 v46, vcc, s2, v44
	v_addc_co_u32_e32 v1, vcc, v1, v45, vcc
	v_lshlrev_b64 v[44:45], 2, v[47:48]
	v_add_co_u32_e32 v44, vcc, v46, v44
	v_addc_co_u32_e32 v45, vcc, v1, v45, vcc
	global_store_dword v[44:45], v0, off
.LBB16_186:
	s_or_b64 exec, exec, s[0:1]
	v_cmp_eq_u32_e32 vcc, 0, v47
	s_and_saveexec_b64 s[2:3], vcc
	s_cbranch_execz .LBB16_189
; %bb.187:
	v_lshlrev_b64 v[0:1], 2, v[42:43]
	v_mov_b32_e32 v42, s21
	v_add_co_u32_e32 v0, vcc, s20, v0
	v_addc_co_u32_e32 v1, vcc, v42, v1, vcc
	global_load_dword v42, v[0:1], off
	v_cmp_ne_u32_e64 s[0:1], 0, v51
	s_waitcnt vmcnt(0)
	v_cmp_eq_u32_e32 vcc, 0, v42
	s_and_b64 s[0:1], vcc, s[0:1]
	s_and_b64 exec, exec, s[0:1]
	s_cbranch_execz .LBB16_189
; %bb.188:
	v_add_u32_e32 v42, s17, v51
	global_store_dword v[0:1], v42, off
.LBB16_189:
	s_or_b64 exec, exec, s[2:3]
	v_mul_f64 v[0:1], v[38:39], v[36:37]
	v_mul_f64 v[42:43], v[40:41], v[36:37]
	v_lshlrev_b64 v[44:45], 4, v[47:48]
	v_mov_b32_e32 v46, s9
	v_fma_f64 v[0:1], v[40:41], v[34:35], v[0:1]
	v_fma_f64 v[38:39], v[38:39], v[34:35], -v[42:43]
	v_add_co_u32_e32 v40, vcc, v49, v44
	v_addc_co_u32_e32 v41, vcc, v50, v45, vcc
	v_cmp_lt_i32_e32 vcc, 8, v47
	global_store_dwordx4 v[40:41], v[30:33], off
	s_nop 0
	v_cndmask_b32_e32 v33, v37, v1, vcc
	v_cndmask_b32_e32 v32, v36, v0, vcc
	v_cndmask_b32_e32 v31, v35, v39, vcc
	v_cndmask_b32_e32 v30, v34, v38, vcc
	v_add_co_u32_e32 v0, vcc, s8, v40
	v_addc_co_u32_e32 v1, vcc, v41, v46, vcc
	global_store_dwordx4 v[0:1], v[26:29], off
	v_add_u32_e32 v0, s16, v47
	v_ashrrev_i32_e32 v1, 31, v0
	v_lshlrev_b64 v[26:27], 4, v[0:1]
	v_add_u32_e32 v0, s6, v0
	v_add_co_u32_e32 v26, vcc, v49, v26
	v_addc_co_u32_e32 v27, vcc, v50, v27, vcc
	v_ashrrev_i32_e32 v1, 31, v0
	global_store_dwordx4 v[26:27], v[22:25], off
	s_nop 0
	v_lshlrev_b64 v[22:23], 4, v[0:1]
	v_add_u32_e32 v0, s6, v0
	v_add_co_u32_e32 v22, vcc, v49, v22
	v_addc_co_u32_e32 v23, vcc, v50, v23, vcc
	v_ashrrev_i32_e32 v1, 31, v0
	global_store_dwordx4 v[22:23], v[18:21], off
	s_nop 0
	;; [unrolled: 7-line block ×5, first 2 shown]
	v_lshlrev_b64 v[6:7], 4, v[0:1]
	v_add_u32_e32 v0, s6, v0
	v_ashrrev_i32_e32 v1, 31, v0
	v_add_co_u32_e32 v6, vcc, v49, v6
	v_lshlrev_b64 v[0:1], 4, v[0:1]
	v_addc_co_u32_e32 v7, vcc, v50, v7, vcc
	v_add_co_u32_e32 v0, vcc, v49, v0
	v_addc_co_u32_e32 v1, vcc, v50, v1, vcc
	global_store_dwordx4 v[6:7], v[2:5], off
	global_store_dwordx4 v[0:1], v[30:33], off
.LBB16_190:
	s_endpgm
	.section	.rodata,"a",@progbits
	.p2align	6, 0x0
	.amdhsa_kernel _ZN9rocsolver6v33100L18getf2_small_kernelILi9E19rocblas_complex_numIdEiiPS3_EEvT1_T3_lS5_lPS5_llPT2_S5_S5_S7_l
		.amdhsa_group_segment_fixed_size 0
		.amdhsa_private_segment_fixed_size 0
		.amdhsa_kernarg_size 352
		.amdhsa_user_sgpr_count 6
		.amdhsa_user_sgpr_private_segment_buffer 1
		.amdhsa_user_sgpr_dispatch_ptr 0
		.amdhsa_user_sgpr_queue_ptr 0
		.amdhsa_user_sgpr_kernarg_segment_ptr 1
		.amdhsa_user_sgpr_dispatch_id 0
		.amdhsa_user_sgpr_flat_scratch_init 0
		.amdhsa_user_sgpr_private_segment_size 0
		.amdhsa_uses_dynamic_stack 0
		.amdhsa_system_sgpr_private_segment_wavefront_offset 0
		.amdhsa_system_sgpr_workgroup_id_x 1
		.amdhsa_system_sgpr_workgroup_id_y 1
		.amdhsa_system_sgpr_workgroup_id_z 0
		.amdhsa_system_sgpr_workgroup_info 0
		.amdhsa_system_vgpr_workitem_id 1
		.amdhsa_next_free_vgpr 78
		.amdhsa_next_free_sgpr 26
		.amdhsa_reserve_vcc 1
		.amdhsa_reserve_flat_scratch 0
		.amdhsa_float_round_mode_32 0
		.amdhsa_float_round_mode_16_64 0
		.amdhsa_float_denorm_mode_32 3
		.amdhsa_float_denorm_mode_16_64 3
		.amdhsa_dx10_clamp 1
		.amdhsa_ieee_mode 1
		.amdhsa_fp16_overflow 0
		.amdhsa_exception_fp_ieee_invalid_op 0
		.amdhsa_exception_fp_denorm_src 0
		.amdhsa_exception_fp_ieee_div_zero 0
		.amdhsa_exception_fp_ieee_overflow 0
		.amdhsa_exception_fp_ieee_underflow 0
		.amdhsa_exception_fp_ieee_inexact 0
		.amdhsa_exception_int_div_zero 0
	.end_amdhsa_kernel
	.section	.text._ZN9rocsolver6v33100L18getf2_small_kernelILi9E19rocblas_complex_numIdEiiPS3_EEvT1_T3_lS5_lPS5_llPT2_S5_S5_S7_l,"axG",@progbits,_ZN9rocsolver6v33100L18getf2_small_kernelILi9E19rocblas_complex_numIdEiiPS3_EEvT1_T3_lS5_lPS5_llPT2_S5_S5_S7_l,comdat
.Lfunc_end16:
	.size	_ZN9rocsolver6v33100L18getf2_small_kernelILi9E19rocblas_complex_numIdEiiPS3_EEvT1_T3_lS5_lPS5_llPT2_S5_S5_S7_l, .Lfunc_end16-_ZN9rocsolver6v33100L18getf2_small_kernelILi9E19rocblas_complex_numIdEiiPS3_EEvT1_T3_lS5_lPS5_llPT2_S5_S5_S7_l
                                        ; -- End function
	.set _ZN9rocsolver6v33100L18getf2_small_kernelILi9E19rocblas_complex_numIdEiiPS3_EEvT1_T3_lS5_lPS5_llPT2_S5_S5_S7_l.num_vgpr, 78
	.set _ZN9rocsolver6v33100L18getf2_small_kernelILi9E19rocblas_complex_numIdEiiPS3_EEvT1_T3_lS5_lPS5_llPT2_S5_S5_S7_l.num_agpr, 0
	.set _ZN9rocsolver6v33100L18getf2_small_kernelILi9E19rocblas_complex_numIdEiiPS3_EEvT1_T3_lS5_lPS5_llPT2_S5_S5_S7_l.numbered_sgpr, 26
	.set _ZN9rocsolver6v33100L18getf2_small_kernelILi9E19rocblas_complex_numIdEiiPS3_EEvT1_T3_lS5_lPS5_llPT2_S5_S5_S7_l.num_named_barrier, 0
	.set _ZN9rocsolver6v33100L18getf2_small_kernelILi9E19rocblas_complex_numIdEiiPS3_EEvT1_T3_lS5_lPS5_llPT2_S5_S5_S7_l.private_seg_size, 0
	.set _ZN9rocsolver6v33100L18getf2_small_kernelILi9E19rocblas_complex_numIdEiiPS3_EEvT1_T3_lS5_lPS5_llPT2_S5_S5_S7_l.uses_vcc, 1
	.set _ZN9rocsolver6v33100L18getf2_small_kernelILi9E19rocblas_complex_numIdEiiPS3_EEvT1_T3_lS5_lPS5_llPT2_S5_S5_S7_l.uses_flat_scratch, 0
	.set _ZN9rocsolver6v33100L18getf2_small_kernelILi9E19rocblas_complex_numIdEiiPS3_EEvT1_T3_lS5_lPS5_llPT2_S5_S5_S7_l.has_dyn_sized_stack, 0
	.set _ZN9rocsolver6v33100L18getf2_small_kernelILi9E19rocblas_complex_numIdEiiPS3_EEvT1_T3_lS5_lPS5_llPT2_S5_S5_S7_l.has_recursion, 0
	.set _ZN9rocsolver6v33100L18getf2_small_kernelILi9E19rocblas_complex_numIdEiiPS3_EEvT1_T3_lS5_lPS5_llPT2_S5_S5_S7_l.has_indirect_call, 0
	.section	.AMDGPU.csdata,"",@progbits
; Kernel info:
; codeLenInByte = 11548
; TotalNumSgprs: 30
; NumVgprs: 78
; ScratchSize: 0
; MemoryBound: 0
; FloatMode: 240
; IeeeMode: 1
; LDSByteSize: 0 bytes/workgroup (compile time only)
; SGPRBlocks: 3
; VGPRBlocks: 19
; NumSGPRsForWavesPerEU: 30
; NumVGPRsForWavesPerEU: 78
; Occupancy: 3
; WaveLimiterHint : 0
; COMPUTE_PGM_RSRC2:SCRATCH_EN: 0
; COMPUTE_PGM_RSRC2:USER_SGPR: 6
; COMPUTE_PGM_RSRC2:TRAP_HANDLER: 0
; COMPUTE_PGM_RSRC2:TGID_X_EN: 1
; COMPUTE_PGM_RSRC2:TGID_Y_EN: 1
; COMPUTE_PGM_RSRC2:TGID_Z_EN: 0
; COMPUTE_PGM_RSRC2:TIDIG_COMP_CNT: 1
	.section	.text._ZN9rocsolver6v33100L23getf2_npvt_small_kernelILi9E19rocblas_complex_numIdEiiPS3_EEvT1_T3_lS5_lPT2_S5_S5_,"axG",@progbits,_ZN9rocsolver6v33100L23getf2_npvt_small_kernelILi9E19rocblas_complex_numIdEiiPS3_EEvT1_T3_lS5_lPT2_S5_S5_,comdat
	.globl	_ZN9rocsolver6v33100L23getf2_npvt_small_kernelILi9E19rocblas_complex_numIdEiiPS3_EEvT1_T3_lS5_lPT2_S5_S5_ ; -- Begin function _ZN9rocsolver6v33100L23getf2_npvt_small_kernelILi9E19rocblas_complex_numIdEiiPS3_EEvT1_T3_lS5_lPT2_S5_S5_
	.p2align	8
	.type	_ZN9rocsolver6v33100L23getf2_npvt_small_kernelILi9E19rocblas_complex_numIdEiiPS3_EEvT1_T3_lS5_lPT2_S5_S5_,@function
_ZN9rocsolver6v33100L23getf2_npvt_small_kernelILi9E19rocblas_complex_numIdEiiPS3_EEvT1_T3_lS5_lPT2_S5_S5_: ; @_ZN9rocsolver6v33100L23getf2_npvt_small_kernelILi9E19rocblas_complex_numIdEiiPS3_EEvT1_T3_lS5_lPT2_S5_S5_
; %bb.0:
	s_load_dword s0, s[4:5], 0x44
	s_load_dwordx2 s[36:37], s[4:5], 0x30
	s_waitcnt lgkmcnt(0)
	s_lshr_b32 s2, s0, 16
	s_mul_i32 s7, s7, s2
	v_add_u32_e32 v80, s7, v1
	v_cmp_gt_i32_e32 vcc, s36, v80
	s_and_saveexec_b64 s[0:1], vcc
	s_cbranch_execz .LBB17_84
; %bb.1:
	s_load_dwordx4 s[8:11], s[4:5], 0x20
	s_load_dwordx4 s[12:15], s[4:5], 0x8
	v_ashrrev_i32_e32 v81, 31, v80
	s_mulk_i32 s2, 0x90
	s_waitcnt lgkmcnt(0)
	v_mul_lo_u32 v4, s9, v80
	v_mul_lo_u32 v5, s8, v81
	v_mad_u64_u32 v[2:3], s[0:1], s8, v80, 0
	s_load_dword s0, s[4:5], 0x18
	v_mov_b32_e32 v6, s13
	v_add3_u32 v3, v3, v5, v4
	v_lshlrev_b64 v[2:3], 4, v[2:3]
	s_lshl_b64 s[4:5], s[14:15], 4
	v_add_co_u32_e32 v2, vcc, s12, v2
	v_addc_co_u32_e32 v3, vcc, v6, v3, vcc
	s_waitcnt lgkmcnt(0)
	s_add_i32 s1, s0, s0
	v_mov_b32_e32 v4, s5
	v_add_co_u32_e32 v5, vcc, s4, v2
	v_add_u32_e32 v2, s1, v0
	v_addc_co_u32_e32 v6, vcc, v3, v4, vcc
	v_ashrrev_i32_e32 v3, 31, v2
	v_lshlrev_b64 v[3:4], 4, v[2:3]
	v_add_u32_e32 v2, s0, v2
	v_add_co_u32_e32 v74, vcc, v5, v3
	v_ashrrev_i32_e32 v3, 31, v2
	v_addc_co_u32_e32 v75, vcc, v6, v4, vcc
	v_lshlrev_b64 v[3:4], 4, v[2:3]
	v_add_u32_e32 v2, s0, v2
	v_add_co_u32_e32 v76, vcc, v5, v3
	v_ashrrev_i32_e32 v3, 31, v2
	v_addc_co_u32_e32 v77, vcc, v6, v4, vcc
	;; [unrolled: 5-line block ×5, first 2 shown]
	v_lshlrev_b64 v[3:4], 4, v[2:3]
	v_add_u32_e32 v2, s0, v2
	v_add_co_u32_e32 v86, vcc, v5, v3
	v_ashrrev_i32_e32 v3, 31, v2
	v_lshlrev_b64 v[2:3], 4, v[2:3]
	v_addc_co_u32_e32 v87, vcc, v6, v4, vcc
	v_add_co_u32_e32 v88, vcc, v5, v2
	v_addc_co_u32_e32 v89, vcc, v6, v3, vcc
	v_lshlrev_b32_e32 v2, 4, v0
	v_add_co_u32_e32 v90, vcc, v5, v2
	s_ashr_i32 s1, s0, 31
	v_addc_co_u32_e32 v91, vcc, 0, v6, vcc
	s_lshl_b64 s[0:1], s[0:1], 4
	v_mov_b32_e32 v2, s1
	v_add_co_u32_e32 v92, vcc, s0, v90
	v_addc_co_u32_e32 v93, vcc, v91, v2, vcc
	global_load_dwordx4 v[34:37], v[90:91], off
	global_load_dwordx4 v[30:33], v[92:93], off
	;; [unrolled: 1-line block ×9, first 2 shown]
	s_movk_i32 s0, 0x90
	s_add_i32 s1, s2, 0
	v_mad_u32_u24 v94, v1, s0, 0
	v_lshl_add_u32 v1, v1, 4, s1
	v_cmp_ne_u32_e64 s[2:3], 0, v0
	v_cmp_eq_u32_e64 s[0:1], 0, v0
	s_and_saveexec_b64 s[6:7], s[0:1]
	s_cbranch_execz .LBB17_8
; %bb.2:
	s_waitcnt vmcnt(8)
	ds_write2_b64 v1, v[34:35], v[36:37] offset1:1
	s_waitcnt vmcnt(7)
	ds_write2_b64 v94, v[30:31], v[32:33] offset0:2 offset1:3
	s_waitcnt vmcnt(6)
	ds_write2_b64 v94, v[26:27], v[28:29] offset0:4 offset1:5
	;; [unrolled: 2-line block ×8, first 2 shown]
	ds_read2_b64 v[38:41], v1 offset1:1
	s_waitcnt lgkmcnt(0)
	v_cmp_neq_f64_e32 vcc, 0, v[38:39]
	v_cmp_neq_f64_e64 s[4:5], 0, v[40:41]
	s_or_b64 s[4:5], vcc, s[4:5]
	s_and_b64 exec, exec, s[4:5]
	s_cbranch_execz .LBB17_8
; %bb.3:
	v_cmp_ngt_f64_e64 s[4:5], |v[38:39]|, |v[40:41]|
                                        ; implicit-def: $vgpr42_vgpr43
	s_and_saveexec_b64 s[8:9], s[4:5]
	s_xor_b64 s[4:5], exec, s[8:9]
                                        ; implicit-def: $vgpr44_vgpr45
	s_cbranch_execz .LBB17_5
; %bb.4:
	v_div_scale_f64 v[42:43], s[8:9], v[40:41], v[40:41], v[38:39]
	v_rcp_f64_e32 v[44:45], v[42:43]
	v_fma_f64 v[46:47], -v[42:43], v[44:45], 1.0
	v_fma_f64 v[44:45], v[44:45], v[46:47], v[44:45]
	v_div_scale_f64 v[46:47], vcc, v[38:39], v[40:41], v[38:39]
	v_fma_f64 v[48:49], -v[42:43], v[44:45], 1.0
	v_fma_f64 v[44:45], v[44:45], v[48:49], v[44:45]
	v_mul_f64 v[48:49], v[46:47], v[44:45]
	v_fma_f64 v[42:43], -v[42:43], v[48:49], v[46:47]
	v_div_fmas_f64 v[42:43], v[42:43], v[44:45], v[48:49]
	v_div_fixup_f64 v[42:43], v[42:43], v[40:41], v[38:39]
	v_fma_f64 v[38:39], v[38:39], v[42:43], v[40:41]
	v_div_scale_f64 v[40:41], s[8:9], v[38:39], v[38:39], 1.0
	v_div_scale_f64 v[48:49], vcc, 1.0, v[38:39], 1.0
	v_rcp_f64_e32 v[44:45], v[40:41]
	v_fma_f64 v[46:47], -v[40:41], v[44:45], 1.0
	v_fma_f64 v[44:45], v[44:45], v[46:47], v[44:45]
	v_fma_f64 v[46:47], -v[40:41], v[44:45], 1.0
	v_fma_f64 v[44:45], v[44:45], v[46:47], v[44:45]
	v_mul_f64 v[46:47], v[48:49], v[44:45]
	v_fma_f64 v[40:41], -v[40:41], v[46:47], v[48:49]
	v_div_fmas_f64 v[40:41], v[40:41], v[44:45], v[46:47]
	v_div_fixup_f64 v[44:45], v[40:41], v[38:39], 1.0
                                        ; implicit-def: $vgpr38_vgpr39
	v_mul_f64 v[42:43], v[42:43], v[44:45]
	v_xor_b32_e32 v45, 0x80000000, v45
.LBB17_5:
	s_andn2_saveexec_b64 s[4:5], s[4:5]
	s_cbranch_execz .LBB17_7
; %bb.6:
	v_div_scale_f64 v[42:43], s[8:9], v[38:39], v[38:39], v[40:41]
	v_rcp_f64_e32 v[44:45], v[42:43]
	v_fma_f64 v[46:47], -v[42:43], v[44:45], 1.0
	v_fma_f64 v[44:45], v[44:45], v[46:47], v[44:45]
	v_div_scale_f64 v[46:47], vcc, v[40:41], v[38:39], v[40:41]
	v_fma_f64 v[48:49], -v[42:43], v[44:45], 1.0
	v_fma_f64 v[44:45], v[44:45], v[48:49], v[44:45]
	v_mul_f64 v[48:49], v[46:47], v[44:45]
	v_fma_f64 v[42:43], -v[42:43], v[48:49], v[46:47]
	v_div_fmas_f64 v[42:43], v[42:43], v[44:45], v[48:49]
	v_div_fixup_f64 v[44:45], v[42:43], v[38:39], v[40:41]
	v_fma_f64 v[38:39], v[40:41], v[44:45], v[38:39]
	v_div_scale_f64 v[40:41], s[8:9], v[38:39], v[38:39], 1.0
	v_div_scale_f64 v[48:49], vcc, 1.0, v[38:39], 1.0
	v_rcp_f64_e32 v[42:43], v[40:41]
	v_fma_f64 v[46:47], -v[40:41], v[42:43], 1.0
	v_fma_f64 v[42:43], v[42:43], v[46:47], v[42:43]
	v_fma_f64 v[46:47], -v[40:41], v[42:43], 1.0
	v_fma_f64 v[42:43], v[42:43], v[46:47], v[42:43]
	v_mul_f64 v[46:47], v[48:49], v[42:43]
	v_fma_f64 v[40:41], -v[40:41], v[46:47], v[48:49]
	v_div_fmas_f64 v[40:41], v[40:41], v[42:43], v[46:47]
	v_div_fixup_f64 v[42:43], v[40:41], v[38:39], 1.0
	v_mul_f64 v[44:45], v[44:45], -v[42:43]
.LBB17_7:
	s_or_b64 exec, exec, s[4:5]
	ds_write2_b64 v1, v[42:43], v[44:45] offset1:1
.LBB17_8:
	s_or_b64 exec, exec, s[6:7]
	s_waitcnt vmcnt(0) lgkmcnt(0)
	s_barrier
	ds_read2_b64 v[38:41], v1 offset1:1
	s_and_saveexec_b64 s[4:5], s[2:3]
	s_cbranch_execz .LBB17_10
; %bb.9:
	s_waitcnt lgkmcnt(0)
	v_mul_f64 v[42:43], v[38:39], v[36:37]
	v_mul_f64 v[36:37], v[40:41], v[36:37]
	v_fma_f64 v[62:63], v[40:41], v[34:35], v[42:43]
	ds_read2_b64 v[42:45], v94 offset0:2 offset1:3
	ds_read2_b64 v[46:49], v94 offset0:4 offset1:5
	;; [unrolled: 1-line block ×5, first 2 shown]
	v_fma_f64 v[34:35], v[38:39], v[34:35], -v[36:37]
	s_waitcnt lgkmcnt(4)
	v_mul_f64 v[36:37], v[44:45], v[62:63]
	v_mul_f64 v[64:65], v[42:43], v[62:63]
	s_waitcnt lgkmcnt(3)
	v_mul_f64 v[66:67], v[48:49], v[62:63]
	v_mul_f64 v[68:69], v[46:47], v[62:63]
	;; [unrolled: 3-line block ×4, first 2 shown]
	v_fma_f64 v[36:37], v[42:43], v[34:35], -v[36:37]
	v_fma_f64 v[42:43], v[44:45], v[34:35], v[64:65]
	v_fma_f64 v[44:45], v[46:47], v[34:35], -v[66:67]
	v_fma_f64 v[46:47], v[48:49], v[34:35], v[68:69]
	;; [unrolled: 2-line block ×4, first 2 shown]
	v_add_f64 v[30:31], v[30:31], -v[36:37]
	v_add_f64 v[32:33], v[32:33], -v[42:43]
	v_add_f64 v[26:27], v[26:27], -v[44:45]
	v_add_f64 v[28:29], v[28:29], -v[46:47]
	v_add_f64 v[22:23], v[22:23], -v[48:49]
	v_add_f64 v[24:25], v[24:25], -v[50:51]
	v_add_f64 v[18:19], v[18:19], -v[52:53]
	ds_read2_b64 v[42:45], v94 offset0:12 offset1:13
	ds_read2_b64 v[46:49], v94 offset0:14 offset1:15
	;; [unrolled: 1-line block ×3, first 2 shown]
	v_add_f64 v[20:21], v[20:21], -v[54:55]
	s_waitcnt lgkmcnt(3)
	v_mul_f64 v[36:37], v[60:61], v[62:63]
	v_mul_f64 v[54:55], v[58:59], v[62:63]
	s_waitcnt lgkmcnt(2)
	v_mul_f64 v[56:57], v[44:45], v[62:63]
	v_mul_f64 v[64:65], v[42:43], v[62:63]
	;; [unrolled: 3-line block ×4, first 2 shown]
	v_fma_f64 v[36:37], v[58:59], v[34:35], -v[36:37]
	v_fma_f64 v[54:55], v[60:61], v[34:35], v[54:55]
	v_fma_f64 v[42:43], v[42:43], v[34:35], -v[56:57]
	v_fma_f64 v[44:45], v[44:45], v[34:35], v[64:65]
	;; [unrolled: 2-line block ×4, first 2 shown]
	v_add_f64 v[14:15], v[14:15], -v[36:37]
	v_add_f64 v[16:17], v[16:17], -v[54:55]
	;; [unrolled: 1-line block ×8, first 2 shown]
	v_mov_b32_e32 v36, v62
	v_mov_b32_e32 v37, v63
.LBB17_10:
	s_or_b64 exec, exec, s[4:5]
	v_cmp_eq_u32_e32 vcc, 1, v0
	s_waitcnt lgkmcnt(0)
	s_barrier
	s_and_saveexec_b64 s[4:5], vcc
	s_cbranch_execz .LBB17_17
; %bb.11:
	ds_write2_b64 v1, v[30:31], v[32:33] offset1:1
	ds_write2_b64 v94, v[26:27], v[28:29] offset0:4 offset1:5
	ds_write2_b64 v94, v[22:23], v[24:25] offset0:6 offset1:7
	ds_write2_b64 v94, v[18:19], v[20:21] offset0:8 offset1:9
	ds_write2_b64 v94, v[14:15], v[16:17] offset0:10 offset1:11
	ds_write2_b64 v94, v[10:11], v[12:13] offset0:12 offset1:13
	ds_write2_b64 v94, v[2:3], v[4:5] offset0:14 offset1:15
	ds_write2_b64 v94, v[6:7], v[8:9] offset0:16 offset1:17
	ds_read2_b64 v[42:45], v1 offset1:1
	s_waitcnt lgkmcnt(0)
	v_cmp_neq_f64_e32 vcc, 0, v[42:43]
	v_cmp_neq_f64_e64 s[2:3], 0, v[44:45]
	s_or_b64 s[2:3], vcc, s[2:3]
	s_and_b64 exec, exec, s[2:3]
	s_cbranch_execz .LBB17_17
; %bb.12:
	v_cmp_ngt_f64_e64 s[2:3], |v[42:43]|, |v[44:45]|
                                        ; implicit-def: $vgpr46_vgpr47
	s_and_saveexec_b64 s[6:7], s[2:3]
	s_xor_b64 s[2:3], exec, s[6:7]
                                        ; implicit-def: $vgpr48_vgpr49
	s_cbranch_execz .LBB17_14
; %bb.13:
	v_div_scale_f64 v[46:47], s[6:7], v[44:45], v[44:45], v[42:43]
	v_rcp_f64_e32 v[48:49], v[46:47]
	v_fma_f64 v[50:51], -v[46:47], v[48:49], 1.0
	v_fma_f64 v[48:49], v[48:49], v[50:51], v[48:49]
	v_div_scale_f64 v[50:51], vcc, v[42:43], v[44:45], v[42:43]
	v_fma_f64 v[52:53], -v[46:47], v[48:49], 1.0
	v_fma_f64 v[48:49], v[48:49], v[52:53], v[48:49]
	v_mul_f64 v[52:53], v[50:51], v[48:49]
	v_fma_f64 v[46:47], -v[46:47], v[52:53], v[50:51]
	v_div_fmas_f64 v[46:47], v[46:47], v[48:49], v[52:53]
	v_div_fixup_f64 v[46:47], v[46:47], v[44:45], v[42:43]
	v_fma_f64 v[42:43], v[42:43], v[46:47], v[44:45]
	v_div_scale_f64 v[44:45], s[6:7], v[42:43], v[42:43], 1.0
	v_div_scale_f64 v[52:53], vcc, 1.0, v[42:43], 1.0
	v_rcp_f64_e32 v[48:49], v[44:45]
	v_fma_f64 v[50:51], -v[44:45], v[48:49], 1.0
	v_fma_f64 v[48:49], v[48:49], v[50:51], v[48:49]
	v_fma_f64 v[50:51], -v[44:45], v[48:49], 1.0
	v_fma_f64 v[48:49], v[48:49], v[50:51], v[48:49]
	v_mul_f64 v[50:51], v[52:53], v[48:49]
	v_fma_f64 v[44:45], -v[44:45], v[50:51], v[52:53]
	v_div_fmas_f64 v[44:45], v[44:45], v[48:49], v[50:51]
	v_div_fixup_f64 v[48:49], v[44:45], v[42:43], 1.0
                                        ; implicit-def: $vgpr42_vgpr43
	v_mul_f64 v[46:47], v[46:47], v[48:49]
	v_xor_b32_e32 v49, 0x80000000, v49
.LBB17_14:
	s_andn2_saveexec_b64 s[2:3], s[2:3]
	s_cbranch_execz .LBB17_16
; %bb.15:
	v_div_scale_f64 v[46:47], s[6:7], v[42:43], v[42:43], v[44:45]
	v_rcp_f64_e32 v[48:49], v[46:47]
	v_fma_f64 v[50:51], -v[46:47], v[48:49], 1.0
	v_fma_f64 v[48:49], v[48:49], v[50:51], v[48:49]
	v_div_scale_f64 v[50:51], vcc, v[44:45], v[42:43], v[44:45]
	v_fma_f64 v[52:53], -v[46:47], v[48:49], 1.0
	v_fma_f64 v[48:49], v[48:49], v[52:53], v[48:49]
	v_mul_f64 v[52:53], v[50:51], v[48:49]
	v_fma_f64 v[46:47], -v[46:47], v[52:53], v[50:51]
	v_div_fmas_f64 v[46:47], v[46:47], v[48:49], v[52:53]
	v_div_fixup_f64 v[48:49], v[46:47], v[42:43], v[44:45]
	v_fma_f64 v[42:43], v[44:45], v[48:49], v[42:43]
	v_div_scale_f64 v[44:45], s[6:7], v[42:43], v[42:43], 1.0
	v_div_scale_f64 v[52:53], vcc, 1.0, v[42:43], 1.0
	v_rcp_f64_e32 v[46:47], v[44:45]
	v_fma_f64 v[50:51], -v[44:45], v[46:47], 1.0
	v_fma_f64 v[46:47], v[46:47], v[50:51], v[46:47]
	v_fma_f64 v[50:51], -v[44:45], v[46:47], 1.0
	v_fma_f64 v[46:47], v[46:47], v[50:51], v[46:47]
	v_mul_f64 v[50:51], v[52:53], v[46:47]
	v_fma_f64 v[44:45], -v[44:45], v[50:51], v[52:53]
	v_div_fmas_f64 v[44:45], v[44:45], v[46:47], v[50:51]
	v_div_fixup_f64 v[46:47], v[44:45], v[42:43], 1.0
	v_mul_f64 v[48:49], v[48:49], -v[46:47]
.LBB17_16:
	s_or_b64 exec, exec, s[2:3]
	ds_write2_b64 v1, v[46:47], v[48:49] offset1:1
.LBB17_17:
	s_or_b64 exec, exec, s[4:5]
	s_waitcnt lgkmcnt(0)
	s_barrier
	ds_read2_b64 v[42:45], v1 offset1:1
	v_cmp_lt_u32_e32 vcc, 1, v0
	s_and_saveexec_b64 s[2:3], vcc
	s_cbranch_execz .LBB17_19
; %bb.18:
	s_waitcnt lgkmcnt(0)
	v_mul_f64 v[46:47], v[42:43], v[32:33]
	v_mul_f64 v[32:33], v[44:45], v[32:33]
	v_fma_f64 v[95:96], v[44:45], v[30:31], v[46:47]
	ds_read2_b64 v[46:49], v94 offset0:4 offset1:5
	ds_read2_b64 v[50:53], v94 offset0:6 offset1:7
	;; [unrolled: 1-line block ×7, first 2 shown]
	v_fma_f64 v[30:31], v[42:43], v[30:31], -v[32:33]
	s_waitcnt lgkmcnt(6)
	v_mul_f64 v[32:33], v[48:49], v[95:96]
	v_mul_f64 v[97:98], v[46:47], v[95:96]
	s_waitcnt lgkmcnt(5)
	v_mul_f64 v[99:100], v[52:53], v[95:96]
	v_mul_f64 v[101:102], v[50:51], v[95:96]
	;; [unrolled: 3-line block ×4, first 2 shown]
	v_fma_f64 v[32:33], v[46:47], v[30:31], -v[32:33]
	v_fma_f64 v[46:47], v[48:49], v[30:31], v[97:98]
	v_fma_f64 v[48:49], v[50:51], v[30:31], -v[99:100]
	v_fma_f64 v[50:51], v[52:53], v[30:31], v[101:102]
	;; [unrolled: 2-line block ×3, first 2 shown]
	s_waitcnt lgkmcnt(2)
	v_mul_f64 v[56:57], v[64:65], v[95:96]
	v_mul_f64 v[97:98], v[62:63], v[95:96]
	v_add_f64 v[26:27], v[26:27], -v[32:33]
	v_add_f64 v[28:29], v[28:29], -v[46:47]
	;; [unrolled: 1-line block ×4, first 2 shown]
	s_waitcnt lgkmcnt(1)
	v_mul_f64 v[32:33], v[68:69], v[95:96]
	v_mul_f64 v[46:47], v[66:67], v[95:96]
	s_waitcnt lgkmcnt(0)
	v_mul_f64 v[48:49], v[72:73], v[95:96]
	v_mul_f64 v[50:51], v[70:71], v[95:96]
	v_add_f64 v[18:19], v[18:19], -v[52:53]
	v_add_f64 v[20:21], v[20:21], -v[54:55]
	v_fma_f64 v[52:53], v[58:59], v[30:31], -v[107:108]
	v_fma_f64 v[54:55], v[60:61], v[30:31], v[109:110]
	v_fma_f64 v[56:57], v[62:63], v[30:31], -v[56:57]
	v_fma_f64 v[58:59], v[64:65], v[30:31], v[97:98]
	;; [unrolled: 2-line block ×4, first 2 shown]
	v_add_f64 v[14:15], v[14:15], -v[52:53]
	v_add_f64 v[16:17], v[16:17], -v[54:55]
	;; [unrolled: 1-line block ×8, first 2 shown]
	v_mov_b32_e32 v32, v95
	v_mov_b32_e32 v33, v96
.LBB17_19:
	s_or_b64 exec, exec, s[2:3]
	v_cmp_eq_u32_e32 vcc, 2, v0
	s_waitcnt lgkmcnt(0)
	s_barrier
	s_and_saveexec_b64 s[4:5], vcc
	s_cbranch_execz .LBB17_26
; %bb.20:
	ds_write2_b64 v1, v[26:27], v[28:29] offset1:1
	ds_write2_b64 v94, v[22:23], v[24:25] offset0:6 offset1:7
	ds_write2_b64 v94, v[18:19], v[20:21] offset0:8 offset1:9
	;; [unrolled: 1-line block ×6, first 2 shown]
	ds_read2_b64 v[46:49], v1 offset1:1
	s_waitcnt lgkmcnt(0)
	v_cmp_neq_f64_e32 vcc, 0, v[46:47]
	v_cmp_neq_f64_e64 s[2:3], 0, v[48:49]
	s_or_b64 s[2:3], vcc, s[2:3]
	s_and_b64 exec, exec, s[2:3]
	s_cbranch_execz .LBB17_26
; %bb.21:
	v_cmp_ngt_f64_e64 s[2:3], |v[46:47]|, |v[48:49]|
                                        ; implicit-def: $vgpr50_vgpr51
	s_and_saveexec_b64 s[6:7], s[2:3]
	s_xor_b64 s[2:3], exec, s[6:7]
                                        ; implicit-def: $vgpr52_vgpr53
	s_cbranch_execz .LBB17_23
; %bb.22:
	v_div_scale_f64 v[50:51], s[6:7], v[48:49], v[48:49], v[46:47]
	v_rcp_f64_e32 v[52:53], v[50:51]
	v_fma_f64 v[54:55], -v[50:51], v[52:53], 1.0
	v_fma_f64 v[52:53], v[52:53], v[54:55], v[52:53]
	v_div_scale_f64 v[54:55], vcc, v[46:47], v[48:49], v[46:47]
	v_fma_f64 v[56:57], -v[50:51], v[52:53], 1.0
	v_fma_f64 v[52:53], v[52:53], v[56:57], v[52:53]
	v_mul_f64 v[56:57], v[54:55], v[52:53]
	v_fma_f64 v[50:51], -v[50:51], v[56:57], v[54:55]
	v_div_fmas_f64 v[50:51], v[50:51], v[52:53], v[56:57]
	v_div_fixup_f64 v[50:51], v[50:51], v[48:49], v[46:47]
	v_fma_f64 v[46:47], v[46:47], v[50:51], v[48:49]
	v_div_scale_f64 v[48:49], s[6:7], v[46:47], v[46:47], 1.0
	v_div_scale_f64 v[56:57], vcc, 1.0, v[46:47], 1.0
	v_rcp_f64_e32 v[52:53], v[48:49]
	v_fma_f64 v[54:55], -v[48:49], v[52:53], 1.0
	v_fma_f64 v[52:53], v[52:53], v[54:55], v[52:53]
	v_fma_f64 v[54:55], -v[48:49], v[52:53], 1.0
	v_fma_f64 v[52:53], v[52:53], v[54:55], v[52:53]
	v_mul_f64 v[54:55], v[56:57], v[52:53]
	v_fma_f64 v[48:49], -v[48:49], v[54:55], v[56:57]
	v_div_fmas_f64 v[48:49], v[48:49], v[52:53], v[54:55]
	v_div_fixup_f64 v[52:53], v[48:49], v[46:47], 1.0
                                        ; implicit-def: $vgpr46_vgpr47
	v_mul_f64 v[50:51], v[50:51], v[52:53]
	v_xor_b32_e32 v53, 0x80000000, v53
.LBB17_23:
	s_andn2_saveexec_b64 s[2:3], s[2:3]
	s_cbranch_execz .LBB17_25
; %bb.24:
	v_div_scale_f64 v[50:51], s[6:7], v[46:47], v[46:47], v[48:49]
	v_rcp_f64_e32 v[52:53], v[50:51]
	v_fma_f64 v[54:55], -v[50:51], v[52:53], 1.0
	v_fma_f64 v[52:53], v[52:53], v[54:55], v[52:53]
	v_div_scale_f64 v[54:55], vcc, v[48:49], v[46:47], v[48:49]
	v_fma_f64 v[56:57], -v[50:51], v[52:53], 1.0
	v_fma_f64 v[52:53], v[52:53], v[56:57], v[52:53]
	v_mul_f64 v[56:57], v[54:55], v[52:53]
	v_fma_f64 v[50:51], -v[50:51], v[56:57], v[54:55]
	v_div_fmas_f64 v[50:51], v[50:51], v[52:53], v[56:57]
	v_div_fixup_f64 v[52:53], v[50:51], v[46:47], v[48:49]
	v_fma_f64 v[46:47], v[48:49], v[52:53], v[46:47]
	v_div_scale_f64 v[48:49], s[6:7], v[46:47], v[46:47], 1.0
	v_div_scale_f64 v[56:57], vcc, 1.0, v[46:47], 1.0
	v_rcp_f64_e32 v[50:51], v[48:49]
	v_fma_f64 v[54:55], -v[48:49], v[50:51], 1.0
	v_fma_f64 v[50:51], v[50:51], v[54:55], v[50:51]
	v_fma_f64 v[54:55], -v[48:49], v[50:51], 1.0
	v_fma_f64 v[50:51], v[50:51], v[54:55], v[50:51]
	v_mul_f64 v[54:55], v[56:57], v[50:51]
	v_fma_f64 v[48:49], -v[48:49], v[54:55], v[56:57]
	v_div_fmas_f64 v[48:49], v[48:49], v[50:51], v[54:55]
	v_div_fixup_f64 v[50:51], v[48:49], v[46:47], 1.0
	v_mul_f64 v[52:53], v[52:53], -v[50:51]
.LBB17_25:
	s_or_b64 exec, exec, s[2:3]
	ds_write2_b64 v1, v[50:51], v[52:53] offset1:1
.LBB17_26:
	s_or_b64 exec, exec, s[4:5]
	s_waitcnt lgkmcnt(0)
	s_barrier
	ds_read2_b64 v[46:49], v1 offset1:1
	v_cmp_lt_u32_e32 vcc, 2, v0
	s_and_saveexec_b64 s[2:3], vcc
	s_cbranch_execz .LBB17_28
; %bb.27:
	s_waitcnt lgkmcnt(0)
	v_mul_f64 v[50:51], v[46:47], v[28:29]
	v_mul_f64 v[28:29], v[48:49], v[28:29]
	v_fma_f64 v[95:96], v[48:49], v[26:27], v[50:51]
	ds_read2_b64 v[50:53], v94 offset0:6 offset1:7
	ds_read2_b64 v[54:57], v94 offset0:8 offset1:9
	;; [unrolled: 1-line block ×6, first 2 shown]
	v_fma_f64 v[26:27], v[46:47], v[26:27], -v[28:29]
	s_waitcnt lgkmcnt(5)
	v_mul_f64 v[28:29], v[52:53], v[95:96]
	v_mul_f64 v[97:98], v[50:51], v[95:96]
	s_waitcnt lgkmcnt(4)
	v_mul_f64 v[99:100], v[56:57], v[95:96]
	v_mul_f64 v[101:102], v[54:55], v[95:96]
	;; [unrolled: 3-line block ×5, first 2 shown]
	s_waitcnt lgkmcnt(0)
	v_mul_f64 v[115:116], v[72:73], v[95:96]
	v_fma_f64 v[28:29], v[50:51], v[26:27], -v[28:29]
	v_fma_f64 v[50:51], v[52:53], v[26:27], v[97:98]
	v_fma_f64 v[52:53], v[54:55], v[26:27], -v[99:100]
	v_fma_f64 v[54:55], v[56:57], v[26:27], v[101:102]
	v_mul_f64 v[56:57], v[70:71], v[95:96]
	v_fma_f64 v[58:59], v[58:59], v[26:27], -v[103:104]
	v_fma_f64 v[60:61], v[60:61], v[26:27], v[105:106]
	v_fma_f64 v[62:63], v[62:63], v[26:27], -v[107:108]
	v_add_f64 v[22:23], v[22:23], -v[28:29]
	v_add_f64 v[24:25], v[24:25], -v[50:51]
	;; [unrolled: 1-line block ×4, first 2 shown]
	v_fma_f64 v[28:29], v[64:65], v[26:27], v[109:110]
	v_fma_f64 v[50:51], v[66:67], v[26:27], -v[111:112]
	v_fma_f64 v[52:53], v[68:69], v[26:27], v[113:114]
	v_fma_f64 v[54:55], v[70:71], v[26:27], -v[115:116]
	v_fma_f64 v[56:57], v[72:73], v[26:27], v[56:57]
	v_add_f64 v[14:15], v[14:15], -v[58:59]
	v_add_f64 v[16:17], v[16:17], -v[60:61]
	;; [unrolled: 1-line block ×8, first 2 shown]
	v_mov_b32_e32 v28, v95
	v_mov_b32_e32 v29, v96
.LBB17_28:
	s_or_b64 exec, exec, s[2:3]
	v_cmp_eq_u32_e32 vcc, 3, v0
	s_waitcnt lgkmcnt(0)
	s_barrier
	s_and_saveexec_b64 s[4:5], vcc
	s_cbranch_execz .LBB17_35
; %bb.29:
	ds_write2_b64 v1, v[22:23], v[24:25] offset1:1
	ds_write2_b64 v94, v[18:19], v[20:21] offset0:8 offset1:9
	ds_write2_b64 v94, v[14:15], v[16:17] offset0:10 offset1:11
	;; [unrolled: 1-line block ×5, first 2 shown]
	ds_read2_b64 v[50:53], v1 offset1:1
	s_waitcnt lgkmcnt(0)
	v_cmp_neq_f64_e32 vcc, 0, v[50:51]
	v_cmp_neq_f64_e64 s[2:3], 0, v[52:53]
	s_or_b64 s[2:3], vcc, s[2:3]
	s_and_b64 exec, exec, s[2:3]
	s_cbranch_execz .LBB17_35
; %bb.30:
	v_cmp_ngt_f64_e64 s[2:3], |v[50:51]|, |v[52:53]|
                                        ; implicit-def: $vgpr54_vgpr55
	s_and_saveexec_b64 s[6:7], s[2:3]
	s_xor_b64 s[2:3], exec, s[6:7]
                                        ; implicit-def: $vgpr56_vgpr57
	s_cbranch_execz .LBB17_32
; %bb.31:
	v_div_scale_f64 v[54:55], s[6:7], v[52:53], v[52:53], v[50:51]
	v_rcp_f64_e32 v[56:57], v[54:55]
	v_fma_f64 v[58:59], -v[54:55], v[56:57], 1.0
	v_fma_f64 v[56:57], v[56:57], v[58:59], v[56:57]
	v_div_scale_f64 v[58:59], vcc, v[50:51], v[52:53], v[50:51]
	v_fma_f64 v[60:61], -v[54:55], v[56:57], 1.0
	v_fma_f64 v[56:57], v[56:57], v[60:61], v[56:57]
	v_mul_f64 v[60:61], v[58:59], v[56:57]
	v_fma_f64 v[54:55], -v[54:55], v[60:61], v[58:59]
	v_div_fmas_f64 v[54:55], v[54:55], v[56:57], v[60:61]
	v_div_fixup_f64 v[54:55], v[54:55], v[52:53], v[50:51]
	v_fma_f64 v[50:51], v[50:51], v[54:55], v[52:53]
	v_div_scale_f64 v[52:53], s[6:7], v[50:51], v[50:51], 1.0
	v_div_scale_f64 v[60:61], vcc, 1.0, v[50:51], 1.0
	v_rcp_f64_e32 v[56:57], v[52:53]
	v_fma_f64 v[58:59], -v[52:53], v[56:57], 1.0
	v_fma_f64 v[56:57], v[56:57], v[58:59], v[56:57]
	v_fma_f64 v[58:59], -v[52:53], v[56:57], 1.0
	v_fma_f64 v[56:57], v[56:57], v[58:59], v[56:57]
	v_mul_f64 v[58:59], v[60:61], v[56:57]
	v_fma_f64 v[52:53], -v[52:53], v[58:59], v[60:61]
	v_div_fmas_f64 v[52:53], v[52:53], v[56:57], v[58:59]
	v_div_fixup_f64 v[56:57], v[52:53], v[50:51], 1.0
                                        ; implicit-def: $vgpr50_vgpr51
	v_mul_f64 v[54:55], v[54:55], v[56:57]
	v_xor_b32_e32 v57, 0x80000000, v57
.LBB17_32:
	s_andn2_saveexec_b64 s[2:3], s[2:3]
	s_cbranch_execz .LBB17_34
; %bb.33:
	v_div_scale_f64 v[54:55], s[6:7], v[50:51], v[50:51], v[52:53]
	v_rcp_f64_e32 v[56:57], v[54:55]
	v_fma_f64 v[58:59], -v[54:55], v[56:57], 1.0
	v_fma_f64 v[56:57], v[56:57], v[58:59], v[56:57]
	v_div_scale_f64 v[58:59], vcc, v[52:53], v[50:51], v[52:53]
	v_fma_f64 v[60:61], -v[54:55], v[56:57], 1.0
	v_fma_f64 v[56:57], v[56:57], v[60:61], v[56:57]
	v_mul_f64 v[60:61], v[58:59], v[56:57]
	v_fma_f64 v[54:55], -v[54:55], v[60:61], v[58:59]
	v_div_fmas_f64 v[54:55], v[54:55], v[56:57], v[60:61]
	v_div_fixup_f64 v[56:57], v[54:55], v[50:51], v[52:53]
	v_fma_f64 v[50:51], v[52:53], v[56:57], v[50:51]
	v_div_scale_f64 v[52:53], s[6:7], v[50:51], v[50:51], 1.0
	v_div_scale_f64 v[60:61], vcc, 1.0, v[50:51], 1.0
	v_rcp_f64_e32 v[54:55], v[52:53]
	v_fma_f64 v[58:59], -v[52:53], v[54:55], 1.0
	v_fma_f64 v[54:55], v[54:55], v[58:59], v[54:55]
	v_fma_f64 v[58:59], -v[52:53], v[54:55], 1.0
	v_fma_f64 v[54:55], v[54:55], v[58:59], v[54:55]
	v_mul_f64 v[58:59], v[60:61], v[54:55]
	v_fma_f64 v[52:53], -v[52:53], v[58:59], v[60:61]
	v_div_fmas_f64 v[52:53], v[52:53], v[54:55], v[58:59]
	v_div_fixup_f64 v[54:55], v[52:53], v[50:51], 1.0
	v_mul_f64 v[56:57], v[56:57], -v[54:55]
.LBB17_34:
	s_or_b64 exec, exec, s[2:3]
	ds_write2_b64 v1, v[54:55], v[56:57] offset1:1
.LBB17_35:
	s_or_b64 exec, exec, s[4:5]
	s_waitcnt lgkmcnt(0)
	s_barrier
	ds_read2_b64 v[50:53], v1 offset1:1
	v_cmp_lt_u32_e32 vcc, 3, v0
	s_and_saveexec_b64 s[2:3], vcc
	s_cbranch_execz .LBB17_37
; %bb.36:
	s_waitcnt lgkmcnt(0)
	v_mul_f64 v[54:55], v[50:51], v[24:25]
	v_mul_f64 v[24:25], v[52:53], v[24:25]
	v_fma_f64 v[95:96], v[52:53], v[22:23], v[54:55]
	ds_read2_b64 v[54:57], v94 offset0:8 offset1:9
	ds_read2_b64 v[58:61], v94 offset0:10 offset1:11
	;; [unrolled: 1-line block ×5, first 2 shown]
	v_fma_f64 v[22:23], v[50:51], v[22:23], -v[24:25]
	s_waitcnt lgkmcnt(4)
	v_mul_f64 v[24:25], v[56:57], v[95:96]
	v_mul_f64 v[97:98], v[54:55], v[95:96]
	s_waitcnt lgkmcnt(3)
	v_mul_f64 v[99:100], v[60:61], v[95:96]
	v_mul_f64 v[101:102], v[58:59], v[95:96]
	;; [unrolled: 3-line block ×5, first 2 shown]
	v_fma_f64 v[24:25], v[54:55], v[22:23], -v[24:25]
	v_fma_f64 v[54:55], v[56:57], v[22:23], v[97:98]
	v_fma_f64 v[56:57], v[58:59], v[22:23], -v[99:100]
	v_fma_f64 v[58:59], v[60:61], v[22:23], v[101:102]
	;; [unrolled: 2-line block ×5, first 2 shown]
	v_add_f64 v[18:19], v[18:19], -v[24:25]
	v_add_f64 v[20:21], v[20:21], -v[54:55]
	v_add_f64 v[14:15], v[14:15], -v[56:57]
	v_add_f64 v[16:17], v[16:17], -v[58:59]
	v_add_f64 v[10:11], v[10:11], -v[60:61]
	v_add_f64 v[12:13], v[12:13], -v[62:63]
	v_add_f64 v[2:3], v[2:3], -v[64:65]
	v_add_f64 v[4:5], v[4:5], -v[66:67]
	v_add_f64 v[6:7], v[6:7], -v[68:69]
	v_add_f64 v[8:9], v[8:9], -v[70:71]
	v_mov_b32_e32 v24, v95
	v_mov_b32_e32 v25, v96
.LBB17_37:
	s_or_b64 exec, exec, s[2:3]
	v_cmp_eq_u32_e32 vcc, 4, v0
	s_waitcnt lgkmcnt(0)
	s_barrier
	s_and_saveexec_b64 s[4:5], vcc
	s_cbranch_execz .LBB17_44
; %bb.38:
	ds_write2_b64 v1, v[18:19], v[20:21] offset1:1
	ds_write2_b64 v94, v[14:15], v[16:17] offset0:10 offset1:11
	ds_write2_b64 v94, v[10:11], v[12:13] offset0:12 offset1:13
	;; [unrolled: 1-line block ×4, first 2 shown]
	ds_read2_b64 v[54:57], v1 offset1:1
	s_waitcnt lgkmcnt(0)
	v_cmp_neq_f64_e32 vcc, 0, v[54:55]
	v_cmp_neq_f64_e64 s[2:3], 0, v[56:57]
	s_or_b64 s[2:3], vcc, s[2:3]
	s_and_b64 exec, exec, s[2:3]
	s_cbranch_execz .LBB17_44
; %bb.39:
	v_cmp_ngt_f64_e64 s[2:3], |v[54:55]|, |v[56:57]|
                                        ; implicit-def: $vgpr58_vgpr59
	s_and_saveexec_b64 s[6:7], s[2:3]
	s_xor_b64 s[2:3], exec, s[6:7]
                                        ; implicit-def: $vgpr60_vgpr61
	s_cbranch_execz .LBB17_41
; %bb.40:
	v_div_scale_f64 v[58:59], s[6:7], v[56:57], v[56:57], v[54:55]
	v_rcp_f64_e32 v[60:61], v[58:59]
	v_fma_f64 v[62:63], -v[58:59], v[60:61], 1.0
	v_fma_f64 v[60:61], v[60:61], v[62:63], v[60:61]
	v_div_scale_f64 v[62:63], vcc, v[54:55], v[56:57], v[54:55]
	v_fma_f64 v[64:65], -v[58:59], v[60:61], 1.0
	v_fma_f64 v[60:61], v[60:61], v[64:65], v[60:61]
	v_mul_f64 v[64:65], v[62:63], v[60:61]
	v_fma_f64 v[58:59], -v[58:59], v[64:65], v[62:63]
	v_div_fmas_f64 v[58:59], v[58:59], v[60:61], v[64:65]
	v_div_fixup_f64 v[58:59], v[58:59], v[56:57], v[54:55]
	v_fma_f64 v[54:55], v[54:55], v[58:59], v[56:57]
	v_div_scale_f64 v[56:57], s[6:7], v[54:55], v[54:55], 1.0
	v_div_scale_f64 v[64:65], vcc, 1.0, v[54:55], 1.0
	v_rcp_f64_e32 v[60:61], v[56:57]
	v_fma_f64 v[62:63], -v[56:57], v[60:61], 1.0
	v_fma_f64 v[60:61], v[60:61], v[62:63], v[60:61]
	v_fma_f64 v[62:63], -v[56:57], v[60:61], 1.0
	v_fma_f64 v[60:61], v[60:61], v[62:63], v[60:61]
	v_mul_f64 v[62:63], v[64:65], v[60:61]
	v_fma_f64 v[56:57], -v[56:57], v[62:63], v[64:65]
	v_div_fmas_f64 v[56:57], v[56:57], v[60:61], v[62:63]
	v_div_fixup_f64 v[60:61], v[56:57], v[54:55], 1.0
                                        ; implicit-def: $vgpr54_vgpr55
	v_mul_f64 v[58:59], v[58:59], v[60:61]
	v_xor_b32_e32 v61, 0x80000000, v61
.LBB17_41:
	s_andn2_saveexec_b64 s[2:3], s[2:3]
	s_cbranch_execz .LBB17_43
; %bb.42:
	v_div_scale_f64 v[58:59], s[6:7], v[54:55], v[54:55], v[56:57]
	v_rcp_f64_e32 v[60:61], v[58:59]
	v_fma_f64 v[62:63], -v[58:59], v[60:61], 1.0
	v_fma_f64 v[60:61], v[60:61], v[62:63], v[60:61]
	v_div_scale_f64 v[62:63], vcc, v[56:57], v[54:55], v[56:57]
	v_fma_f64 v[64:65], -v[58:59], v[60:61], 1.0
	v_fma_f64 v[60:61], v[60:61], v[64:65], v[60:61]
	v_mul_f64 v[64:65], v[62:63], v[60:61]
	v_fma_f64 v[58:59], -v[58:59], v[64:65], v[62:63]
	v_div_fmas_f64 v[58:59], v[58:59], v[60:61], v[64:65]
	v_div_fixup_f64 v[60:61], v[58:59], v[54:55], v[56:57]
	v_fma_f64 v[54:55], v[56:57], v[60:61], v[54:55]
	v_div_scale_f64 v[56:57], s[6:7], v[54:55], v[54:55], 1.0
	v_div_scale_f64 v[64:65], vcc, 1.0, v[54:55], 1.0
	v_rcp_f64_e32 v[58:59], v[56:57]
	v_fma_f64 v[62:63], -v[56:57], v[58:59], 1.0
	v_fma_f64 v[58:59], v[58:59], v[62:63], v[58:59]
	v_fma_f64 v[62:63], -v[56:57], v[58:59], 1.0
	v_fma_f64 v[58:59], v[58:59], v[62:63], v[58:59]
	v_mul_f64 v[62:63], v[64:65], v[58:59]
	v_fma_f64 v[56:57], -v[56:57], v[62:63], v[64:65]
	v_div_fmas_f64 v[56:57], v[56:57], v[58:59], v[62:63]
	v_div_fixup_f64 v[58:59], v[56:57], v[54:55], 1.0
	v_mul_f64 v[60:61], v[60:61], -v[58:59]
.LBB17_43:
	s_or_b64 exec, exec, s[2:3]
	ds_write2_b64 v1, v[58:59], v[60:61] offset1:1
.LBB17_44:
	s_or_b64 exec, exec, s[4:5]
	s_waitcnt lgkmcnt(0)
	s_barrier
	ds_read2_b64 v[54:57], v1 offset1:1
	v_cmp_lt_u32_e32 vcc, 4, v0
	s_and_saveexec_b64 s[2:3], vcc
	s_cbranch_execz .LBB17_46
; %bb.45:
	s_waitcnt lgkmcnt(0)
	v_mul_f64 v[58:59], v[54:55], v[20:21]
	v_mul_f64 v[20:21], v[56:57], v[20:21]
	v_fma_f64 v[95:96], v[56:57], v[18:19], v[58:59]
	ds_read2_b64 v[58:61], v94 offset0:10 offset1:11
	ds_read2_b64 v[62:65], v94 offset0:12 offset1:13
	;; [unrolled: 1-line block ×4, first 2 shown]
	v_fma_f64 v[18:19], v[54:55], v[18:19], -v[20:21]
	s_waitcnt lgkmcnt(3)
	v_mul_f64 v[20:21], v[60:61], v[95:96]
	v_mul_f64 v[97:98], v[58:59], v[95:96]
	s_waitcnt lgkmcnt(2)
	v_mul_f64 v[99:100], v[64:65], v[95:96]
	v_mul_f64 v[101:102], v[62:63], v[95:96]
	;; [unrolled: 3-line block ×4, first 2 shown]
	v_fma_f64 v[20:21], v[58:59], v[18:19], -v[20:21]
	v_fma_f64 v[58:59], v[60:61], v[18:19], v[97:98]
	v_fma_f64 v[60:61], v[62:63], v[18:19], -v[99:100]
	v_fma_f64 v[62:63], v[64:65], v[18:19], v[101:102]
	;; [unrolled: 2-line block ×4, first 2 shown]
	v_add_f64 v[14:15], v[14:15], -v[20:21]
	v_add_f64 v[16:17], v[16:17], -v[58:59]
	;; [unrolled: 1-line block ×8, first 2 shown]
	v_mov_b32_e32 v20, v95
	v_mov_b32_e32 v21, v96
.LBB17_46:
	s_or_b64 exec, exec, s[2:3]
	v_cmp_eq_u32_e32 vcc, 5, v0
	s_waitcnt lgkmcnt(0)
	s_barrier
	s_and_saveexec_b64 s[4:5], vcc
	s_cbranch_execz .LBB17_53
; %bb.47:
	ds_write2_b64 v1, v[14:15], v[16:17] offset1:1
	ds_write2_b64 v94, v[10:11], v[12:13] offset0:12 offset1:13
	ds_write2_b64 v94, v[2:3], v[4:5] offset0:14 offset1:15
	;; [unrolled: 1-line block ×3, first 2 shown]
	ds_read2_b64 v[58:61], v1 offset1:1
	s_waitcnt lgkmcnt(0)
	v_cmp_neq_f64_e32 vcc, 0, v[58:59]
	v_cmp_neq_f64_e64 s[2:3], 0, v[60:61]
	s_or_b64 s[2:3], vcc, s[2:3]
	s_and_b64 exec, exec, s[2:3]
	s_cbranch_execz .LBB17_53
; %bb.48:
	v_cmp_ngt_f64_e64 s[2:3], |v[58:59]|, |v[60:61]|
                                        ; implicit-def: $vgpr62_vgpr63
	s_and_saveexec_b64 s[6:7], s[2:3]
	s_xor_b64 s[2:3], exec, s[6:7]
                                        ; implicit-def: $vgpr64_vgpr65
	s_cbranch_execz .LBB17_50
; %bb.49:
	v_div_scale_f64 v[62:63], s[6:7], v[60:61], v[60:61], v[58:59]
	v_rcp_f64_e32 v[64:65], v[62:63]
	v_fma_f64 v[66:67], -v[62:63], v[64:65], 1.0
	v_fma_f64 v[64:65], v[64:65], v[66:67], v[64:65]
	v_div_scale_f64 v[66:67], vcc, v[58:59], v[60:61], v[58:59]
	v_fma_f64 v[68:69], -v[62:63], v[64:65], 1.0
	v_fma_f64 v[64:65], v[64:65], v[68:69], v[64:65]
	v_mul_f64 v[68:69], v[66:67], v[64:65]
	v_fma_f64 v[62:63], -v[62:63], v[68:69], v[66:67]
	v_div_fmas_f64 v[62:63], v[62:63], v[64:65], v[68:69]
	v_div_fixup_f64 v[62:63], v[62:63], v[60:61], v[58:59]
	v_fma_f64 v[58:59], v[58:59], v[62:63], v[60:61]
	v_div_scale_f64 v[60:61], s[6:7], v[58:59], v[58:59], 1.0
	v_div_scale_f64 v[68:69], vcc, 1.0, v[58:59], 1.0
	v_rcp_f64_e32 v[64:65], v[60:61]
	v_fma_f64 v[66:67], -v[60:61], v[64:65], 1.0
	v_fma_f64 v[64:65], v[64:65], v[66:67], v[64:65]
	v_fma_f64 v[66:67], -v[60:61], v[64:65], 1.0
	v_fma_f64 v[64:65], v[64:65], v[66:67], v[64:65]
	v_mul_f64 v[66:67], v[68:69], v[64:65]
	v_fma_f64 v[60:61], -v[60:61], v[66:67], v[68:69]
	v_div_fmas_f64 v[60:61], v[60:61], v[64:65], v[66:67]
	v_div_fixup_f64 v[64:65], v[60:61], v[58:59], 1.0
                                        ; implicit-def: $vgpr58_vgpr59
	v_mul_f64 v[62:63], v[62:63], v[64:65]
	v_xor_b32_e32 v65, 0x80000000, v65
.LBB17_50:
	s_andn2_saveexec_b64 s[2:3], s[2:3]
	s_cbranch_execz .LBB17_52
; %bb.51:
	v_div_scale_f64 v[62:63], s[6:7], v[58:59], v[58:59], v[60:61]
	v_rcp_f64_e32 v[64:65], v[62:63]
	v_fma_f64 v[66:67], -v[62:63], v[64:65], 1.0
	v_fma_f64 v[64:65], v[64:65], v[66:67], v[64:65]
	v_div_scale_f64 v[66:67], vcc, v[60:61], v[58:59], v[60:61]
	v_fma_f64 v[68:69], -v[62:63], v[64:65], 1.0
	v_fma_f64 v[64:65], v[64:65], v[68:69], v[64:65]
	v_mul_f64 v[68:69], v[66:67], v[64:65]
	v_fma_f64 v[62:63], -v[62:63], v[68:69], v[66:67]
	v_div_fmas_f64 v[62:63], v[62:63], v[64:65], v[68:69]
	v_div_fixup_f64 v[64:65], v[62:63], v[58:59], v[60:61]
	v_fma_f64 v[58:59], v[60:61], v[64:65], v[58:59]
	v_div_scale_f64 v[60:61], s[6:7], v[58:59], v[58:59], 1.0
	v_div_scale_f64 v[68:69], vcc, 1.0, v[58:59], 1.0
	v_rcp_f64_e32 v[62:63], v[60:61]
	v_fma_f64 v[66:67], -v[60:61], v[62:63], 1.0
	v_fma_f64 v[62:63], v[62:63], v[66:67], v[62:63]
	v_fma_f64 v[66:67], -v[60:61], v[62:63], 1.0
	v_fma_f64 v[62:63], v[62:63], v[66:67], v[62:63]
	v_mul_f64 v[66:67], v[68:69], v[62:63]
	v_fma_f64 v[60:61], -v[60:61], v[66:67], v[68:69]
	v_div_fmas_f64 v[60:61], v[60:61], v[62:63], v[66:67]
	v_div_fixup_f64 v[62:63], v[60:61], v[58:59], 1.0
	v_mul_f64 v[64:65], v[64:65], -v[62:63]
.LBB17_52:
	s_or_b64 exec, exec, s[2:3]
	ds_write2_b64 v1, v[62:63], v[64:65] offset1:1
.LBB17_53:
	s_or_b64 exec, exec, s[4:5]
	s_waitcnt lgkmcnt(0)
	s_barrier
	ds_read2_b64 v[58:61], v1 offset1:1
	v_cmp_lt_u32_e32 vcc, 5, v0
	s_and_saveexec_b64 s[2:3], vcc
	s_cbranch_execz .LBB17_55
; %bb.54:
	s_waitcnt lgkmcnt(0)
	v_mul_f64 v[62:63], v[58:59], v[16:17]
	v_mul_f64 v[16:17], v[60:61], v[16:17]
	v_fma_f64 v[95:96], v[60:61], v[14:15], v[62:63]
	ds_read2_b64 v[62:65], v94 offset0:12 offset1:13
	ds_read2_b64 v[66:69], v94 offset0:14 offset1:15
	;; [unrolled: 1-line block ×3, first 2 shown]
	v_fma_f64 v[14:15], v[58:59], v[14:15], -v[16:17]
	s_waitcnt lgkmcnt(2)
	v_mul_f64 v[16:17], v[64:65], v[95:96]
	v_mul_f64 v[97:98], v[62:63], v[95:96]
	s_waitcnt lgkmcnt(1)
	v_mul_f64 v[99:100], v[68:69], v[95:96]
	v_mul_f64 v[101:102], v[66:67], v[95:96]
	;; [unrolled: 3-line block ×3, first 2 shown]
	v_fma_f64 v[16:17], v[62:63], v[14:15], -v[16:17]
	v_fma_f64 v[62:63], v[64:65], v[14:15], v[97:98]
	v_fma_f64 v[64:65], v[66:67], v[14:15], -v[99:100]
	v_fma_f64 v[66:67], v[68:69], v[14:15], v[101:102]
	;; [unrolled: 2-line block ×3, first 2 shown]
	v_add_f64 v[10:11], v[10:11], -v[16:17]
	v_add_f64 v[12:13], v[12:13], -v[62:63]
	;; [unrolled: 1-line block ×6, first 2 shown]
	v_mov_b32_e32 v16, v95
	v_mov_b32_e32 v17, v96
.LBB17_55:
	s_or_b64 exec, exec, s[2:3]
	v_cmp_eq_u32_e32 vcc, 6, v0
	s_waitcnt lgkmcnt(0)
	s_barrier
	s_and_saveexec_b64 s[4:5], vcc
	s_cbranch_execz .LBB17_62
; %bb.56:
	ds_write2_b64 v1, v[10:11], v[12:13] offset1:1
	ds_write2_b64 v94, v[2:3], v[4:5] offset0:14 offset1:15
	ds_write2_b64 v94, v[6:7], v[8:9] offset0:16 offset1:17
	ds_read2_b64 v[62:65], v1 offset1:1
	s_waitcnt lgkmcnt(0)
	v_cmp_neq_f64_e32 vcc, 0, v[62:63]
	v_cmp_neq_f64_e64 s[2:3], 0, v[64:65]
	s_or_b64 s[2:3], vcc, s[2:3]
	s_and_b64 exec, exec, s[2:3]
	s_cbranch_execz .LBB17_62
; %bb.57:
	v_cmp_ngt_f64_e64 s[2:3], |v[62:63]|, |v[64:65]|
                                        ; implicit-def: $vgpr66_vgpr67
	s_and_saveexec_b64 s[6:7], s[2:3]
	s_xor_b64 s[2:3], exec, s[6:7]
                                        ; implicit-def: $vgpr68_vgpr69
	s_cbranch_execz .LBB17_59
; %bb.58:
	v_div_scale_f64 v[66:67], s[6:7], v[64:65], v[64:65], v[62:63]
	v_rcp_f64_e32 v[68:69], v[66:67]
	v_fma_f64 v[70:71], -v[66:67], v[68:69], 1.0
	v_fma_f64 v[68:69], v[68:69], v[70:71], v[68:69]
	v_div_scale_f64 v[70:71], vcc, v[62:63], v[64:65], v[62:63]
	v_fma_f64 v[72:73], -v[66:67], v[68:69], 1.0
	v_fma_f64 v[68:69], v[68:69], v[72:73], v[68:69]
	v_mul_f64 v[72:73], v[70:71], v[68:69]
	v_fma_f64 v[66:67], -v[66:67], v[72:73], v[70:71]
	v_div_fmas_f64 v[66:67], v[66:67], v[68:69], v[72:73]
	v_div_fixup_f64 v[66:67], v[66:67], v[64:65], v[62:63]
	v_fma_f64 v[62:63], v[62:63], v[66:67], v[64:65]
	v_div_scale_f64 v[64:65], s[6:7], v[62:63], v[62:63], 1.0
	v_div_scale_f64 v[72:73], vcc, 1.0, v[62:63], 1.0
	v_rcp_f64_e32 v[68:69], v[64:65]
	v_fma_f64 v[70:71], -v[64:65], v[68:69], 1.0
	v_fma_f64 v[68:69], v[68:69], v[70:71], v[68:69]
	v_fma_f64 v[70:71], -v[64:65], v[68:69], 1.0
	v_fma_f64 v[68:69], v[68:69], v[70:71], v[68:69]
	v_mul_f64 v[70:71], v[72:73], v[68:69]
	v_fma_f64 v[64:65], -v[64:65], v[70:71], v[72:73]
	v_div_fmas_f64 v[64:65], v[64:65], v[68:69], v[70:71]
	v_div_fixup_f64 v[68:69], v[64:65], v[62:63], 1.0
                                        ; implicit-def: $vgpr62_vgpr63
	v_mul_f64 v[66:67], v[66:67], v[68:69]
	v_xor_b32_e32 v69, 0x80000000, v69
.LBB17_59:
	s_andn2_saveexec_b64 s[2:3], s[2:3]
	s_cbranch_execz .LBB17_61
; %bb.60:
	v_div_scale_f64 v[66:67], s[6:7], v[62:63], v[62:63], v[64:65]
	v_rcp_f64_e32 v[68:69], v[66:67]
	v_fma_f64 v[70:71], -v[66:67], v[68:69], 1.0
	v_fma_f64 v[68:69], v[68:69], v[70:71], v[68:69]
	v_div_scale_f64 v[70:71], vcc, v[64:65], v[62:63], v[64:65]
	v_fma_f64 v[72:73], -v[66:67], v[68:69], 1.0
	v_fma_f64 v[68:69], v[68:69], v[72:73], v[68:69]
	v_mul_f64 v[72:73], v[70:71], v[68:69]
	v_fma_f64 v[66:67], -v[66:67], v[72:73], v[70:71]
	v_div_fmas_f64 v[66:67], v[66:67], v[68:69], v[72:73]
	v_div_fixup_f64 v[68:69], v[66:67], v[62:63], v[64:65]
	v_fma_f64 v[62:63], v[64:65], v[68:69], v[62:63]
	v_div_scale_f64 v[64:65], s[6:7], v[62:63], v[62:63], 1.0
	v_div_scale_f64 v[72:73], vcc, 1.0, v[62:63], 1.0
	v_rcp_f64_e32 v[66:67], v[64:65]
	v_fma_f64 v[70:71], -v[64:65], v[66:67], 1.0
	v_fma_f64 v[66:67], v[66:67], v[70:71], v[66:67]
	v_fma_f64 v[70:71], -v[64:65], v[66:67], 1.0
	v_fma_f64 v[66:67], v[66:67], v[70:71], v[66:67]
	v_mul_f64 v[70:71], v[72:73], v[66:67]
	v_fma_f64 v[64:65], -v[64:65], v[70:71], v[72:73]
	v_div_fmas_f64 v[64:65], v[64:65], v[66:67], v[70:71]
	v_div_fixup_f64 v[66:67], v[64:65], v[62:63], 1.0
	v_mul_f64 v[68:69], v[68:69], -v[66:67]
.LBB17_61:
	s_or_b64 exec, exec, s[2:3]
	ds_write2_b64 v1, v[66:67], v[68:69] offset1:1
.LBB17_62:
	s_or_b64 exec, exec, s[4:5]
	s_waitcnt lgkmcnt(0)
	s_barrier
	ds_read2_b64 v[62:65], v1 offset1:1
	v_cmp_lt_u32_e32 vcc, 6, v0
	s_and_saveexec_b64 s[2:3], vcc
	s_cbranch_execz .LBB17_64
; %bb.63:
	s_waitcnt lgkmcnt(0)
	v_mul_f64 v[66:67], v[62:63], v[12:13]
	v_mul_f64 v[12:13], v[64:65], v[12:13]
	v_fma_f64 v[95:96], v[64:65], v[10:11], v[66:67]
	ds_read2_b64 v[66:69], v94 offset0:14 offset1:15
	ds_read2_b64 v[70:73], v94 offset0:16 offset1:17
	v_fma_f64 v[10:11], v[62:63], v[10:11], -v[12:13]
	s_waitcnt lgkmcnt(1)
	v_mul_f64 v[12:13], v[68:69], v[95:96]
	v_mul_f64 v[97:98], v[66:67], v[95:96]
	s_waitcnt lgkmcnt(0)
	v_mul_f64 v[99:100], v[72:73], v[95:96]
	v_mul_f64 v[101:102], v[70:71], v[95:96]
	v_fma_f64 v[12:13], v[66:67], v[10:11], -v[12:13]
	v_fma_f64 v[66:67], v[68:69], v[10:11], v[97:98]
	v_fma_f64 v[68:69], v[70:71], v[10:11], -v[99:100]
	v_fma_f64 v[70:71], v[72:73], v[10:11], v[101:102]
	v_add_f64 v[2:3], v[2:3], -v[12:13]
	v_add_f64 v[4:5], v[4:5], -v[66:67]
	;; [unrolled: 1-line block ×4, first 2 shown]
	v_mov_b32_e32 v12, v95
	v_mov_b32_e32 v13, v96
.LBB17_64:
	s_or_b64 exec, exec, s[2:3]
	v_cmp_eq_u32_e32 vcc, 7, v0
	s_waitcnt lgkmcnt(0)
	s_barrier
	s_and_saveexec_b64 s[4:5], vcc
	s_cbranch_execz .LBB17_71
; %bb.65:
	ds_write2_b64 v1, v[2:3], v[4:5] offset1:1
	ds_write2_b64 v94, v[6:7], v[8:9] offset0:16 offset1:17
	ds_read2_b64 v[66:69], v1 offset1:1
	s_waitcnt lgkmcnt(0)
	v_cmp_neq_f64_e32 vcc, 0, v[66:67]
	v_cmp_neq_f64_e64 s[2:3], 0, v[68:69]
	s_or_b64 s[2:3], vcc, s[2:3]
	s_and_b64 exec, exec, s[2:3]
	s_cbranch_execz .LBB17_71
; %bb.66:
	v_cmp_ngt_f64_e64 s[2:3], |v[66:67]|, |v[68:69]|
                                        ; implicit-def: $vgpr70_vgpr71
	s_and_saveexec_b64 s[6:7], s[2:3]
	s_xor_b64 s[2:3], exec, s[6:7]
                                        ; implicit-def: $vgpr72_vgpr73
	s_cbranch_execz .LBB17_68
; %bb.67:
	v_div_scale_f64 v[70:71], s[6:7], v[68:69], v[68:69], v[66:67]
	v_rcp_f64_e32 v[72:73], v[70:71]
	v_fma_f64 v[95:96], -v[70:71], v[72:73], 1.0
	v_fma_f64 v[72:73], v[72:73], v[95:96], v[72:73]
	v_div_scale_f64 v[95:96], vcc, v[66:67], v[68:69], v[66:67]
	v_fma_f64 v[97:98], -v[70:71], v[72:73], 1.0
	v_fma_f64 v[72:73], v[72:73], v[97:98], v[72:73]
	v_mul_f64 v[97:98], v[95:96], v[72:73]
	v_fma_f64 v[70:71], -v[70:71], v[97:98], v[95:96]
	v_div_fmas_f64 v[70:71], v[70:71], v[72:73], v[97:98]
	v_div_fixup_f64 v[70:71], v[70:71], v[68:69], v[66:67]
	v_fma_f64 v[66:67], v[66:67], v[70:71], v[68:69]
	v_div_scale_f64 v[68:69], s[6:7], v[66:67], v[66:67], 1.0
	v_div_scale_f64 v[97:98], vcc, 1.0, v[66:67], 1.0
	v_rcp_f64_e32 v[72:73], v[68:69]
	v_fma_f64 v[95:96], -v[68:69], v[72:73], 1.0
	v_fma_f64 v[72:73], v[72:73], v[95:96], v[72:73]
	v_fma_f64 v[95:96], -v[68:69], v[72:73], 1.0
	v_fma_f64 v[72:73], v[72:73], v[95:96], v[72:73]
	v_mul_f64 v[95:96], v[97:98], v[72:73]
	v_fma_f64 v[68:69], -v[68:69], v[95:96], v[97:98]
	v_div_fmas_f64 v[68:69], v[68:69], v[72:73], v[95:96]
	v_div_fixup_f64 v[72:73], v[68:69], v[66:67], 1.0
                                        ; implicit-def: $vgpr66_vgpr67
	v_mul_f64 v[70:71], v[70:71], v[72:73]
	v_xor_b32_e32 v73, 0x80000000, v73
.LBB17_68:
	s_andn2_saveexec_b64 s[2:3], s[2:3]
	s_cbranch_execz .LBB17_70
; %bb.69:
	v_div_scale_f64 v[70:71], s[6:7], v[66:67], v[66:67], v[68:69]
	v_rcp_f64_e32 v[72:73], v[70:71]
	v_fma_f64 v[95:96], -v[70:71], v[72:73], 1.0
	v_fma_f64 v[72:73], v[72:73], v[95:96], v[72:73]
	v_div_scale_f64 v[95:96], vcc, v[68:69], v[66:67], v[68:69]
	v_fma_f64 v[97:98], -v[70:71], v[72:73], 1.0
	v_fma_f64 v[72:73], v[72:73], v[97:98], v[72:73]
	v_mul_f64 v[97:98], v[95:96], v[72:73]
	v_fma_f64 v[70:71], -v[70:71], v[97:98], v[95:96]
	v_div_fmas_f64 v[70:71], v[70:71], v[72:73], v[97:98]
	v_div_fixup_f64 v[72:73], v[70:71], v[66:67], v[68:69]
	v_fma_f64 v[66:67], v[68:69], v[72:73], v[66:67]
	v_div_scale_f64 v[68:69], s[6:7], v[66:67], v[66:67], 1.0
	v_div_scale_f64 v[97:98], vcc, 1.0, v[66:67], 1.0
	v_rcp_f64_e32 v[70:71], v[68:69]
	v_fma_f64 v[95:96], -v[68:69], v[70:71], 1.0
	v_fma_f64 v[70:71], v[70:71], v[95:96], v[70:71]
	v_fma_f64 v[95:96], -v[68:69], v[70:71], 1.0
	v_fma_f64 v[70:71], v[70:71], v[95:96], v[70:71]
	v_mul_f64 v[95:96], v[97:98], v[70:71]
	v_fma_f64 v[68:69], -v[68:69], v[95:96], v[97:98]
	v_div_fmas_f64 v[68:69], v[68:69], v[70:71], v[95:96]
	v_div_fixup_f64 v[70:71], v[68:69], v[66:67], 1.0
	v_mul_f64 v[72:73], v[72:73], -v[70:71]
.LBB17_70:
	s_or_b64 exec, exec, s[2:3]
	ds_write2_b64 v1, v[70:71], v[72:73] offset1:1
.LBB17_71:
	s_or_b64 exec, exec, s[4:5]
	s_waitcnt lgkmcnt(0)
	s_barrier
	ds_read2_b64 v[66:69], v1 offset1:1
	v_cmp_lt_u32_e32 vcc, 7, v0
	s_and_saveexec_b64 s[2:3], vcc
	s_cbranch_execz .LBB17_73
; %bb.72:
	s_waitcnt lgkmcnt(0)
	v_mul_f64 v[70:71], v[66:67], v[4:5]
	v_mul_f64 v[4:5], v[68:69], v[4:5]
	v_fma_f64 v[95:96], v[68:69], v[2:3], v[70:71]
	ds_read2_b64 v[70:73], v94 offset0:16 offset1:17
	v_fma_f64 v[2:3], v[66:67], v[2:3], -v[4:5]
	s_waitcnt lgkmcnt(0)
	v_mul_f64 v[4:5], v[72:73], v[95:96]
	v_mul_f64 v[97:98], v[70:71], v[95:96]
	v_fma_f64 v[4:5], v[70:71], v[2:3], -v[4:5]
	v_fma_f64 v[70:71], v[72:73], v[2:3], v[97:98]
	v_add_f64 v[6:7], v[6:7], -v[4:5]
	v_add_f64 v[8:9], v[8:9], -v[70:71]
	v_mov_b32_e32 v4, v95
	v_mov_b32_e32 v5, v96
.LBB17_73:
	s_or_b64 exec, exec, s[2:3]
	v_cmp_eq_u32_e32 vcc, 8, v0
	s_waitcnt lgkmcnt(0)
	s_barrier
	s_and_saveexec_b64 s[4:5], vcc
	s_cbranch_execz .LBB17_80
; %bb.74:
	v_cmp_neq_f64_e32 vcc, 0, v[6:7]
	v_cmp_neq_f64_e64 s[2:3], 0, v[8:9]
	ds_write2_b64 v1, v[6:7], v[8:9] offset1:1
	s_or_b64 s[2:3], vcc, s[2:3]
	s_and_b64 exec, exec, s[2:3]
	s_cbranch_execz .LBB17_80
; %bb.75:
	v_cmp_ngt_f64_e64 s[2:3], |v[6:7]|, |v[8:9]|
                                        ; implicit-def: $vgpr70_vgpr71
	s_and_saveexec_b64 s[6:7], s[2:3]
	s_xor_b64 s[2:3], exec, s[6:7]
                                        ; implicit-def: $vgpr72_vgpr73
	s_cbranch_execz .LBB17_77
; %bb.76:
	v_div_scale_f64 v[70:71], s[6:7], v[8:9], v[8:9], v[6:7]
	v_rcp_f64_e32 v[72:73], v[70:71]
	v_fma_f64 v[94:95], -v[70:71], v[72:73], 1.0
	v_fma_f64 v[72:73], v[72:73], v[94:95], v[72:73]
	v_div_scale_f64 v[94:95], vcc, v[6:7], v[8:9], v[6:7]
	v_fma_f64 v[96:97], -v[70:71], v[72:73], 1.0
	v_fma_f64 v[72:73], v[72:73], v[96:97], v[72:73]
	v_mul_f64 v[96:97], v[94:95], v[72:73]
	v_fma_f64 v[70:71], -v[70:71], v[96:97], v[94:95]
	v_div_fmas_f64 v[70:71], v[70:71], v[72:73], v[96:97]
	v_div_fixup_f64 v[70:71], v[70:71], v[8:9], v[6:7]
	v_fma_f64 v[72:73], v[6:7], v[70:71], v[8:9]
	v_div_scale_f64 v[94:95], s[6:7], v[72:73], v[72:73], 1.0
	v_div_scale_f64 v[100:101], vcc, 1.0, v[72:73], 1.0
	v_rcp_f64_e32 v[96:97], v[94:95]
	v_fma_f64 v[98:99], -v[94:95], v[96:97], 1.0
	v_fma_f64 v[96:97], v[96:97], v[98:99], v[96:97]
	v_fma_f64 v[98:99], -v[94:95], v[96:97], 1.0
	v_fma_f64 v[96:97], v[96:97], v[98:99], v[96:97]
	v_mul_f64 v[98:99], v[100:101], v[96:97]
	v_fma_f64 v[94:95], -v[94:95], v[98:99], v[100:101]
	v_div_fmas_f64 v[94:95], v[94:95], v[96:97], v[98:99]
	v_div_fixup_f64 v[72:73], v[94:95], v[72:73], 1.0
	v_mul_f64 v[70:71], v[70:71], v[72:73]
	v_xor_b32_e32 v73, 0x80000000, v73
.LBB17_77:
	s_andn2_saveexec_b64 s[2:3], s[2:3]
	s_cbranch_execz .LBB17_79
; %bb.78:
	v_div_scale_f64 v[70:71], s[6:7], v[6:7], v[6:7], v[8:9]
	v_rcp_f64_e32 v[72:73], v[70:71]
	v_fma_f64 v[94:95], -v[70:71], v[72:73], 1.0
	v_fma_f64 v[72:73], v[72:73], v[94:95], v[72:73]
	v_div_scale_f64 v[94:95], vcc, v[8:9], v[6:7], v[8:9]
	v_fma_f64 v[96:97], -v[70:71], v[72:73], 1.0
	v_fma_f64 v[72:73], v[72:73], v[96:97], v[72:73]
	v_mul_f64 v[96:97], v[94:95], v[72:73]
	v_fma_f64 v[70:71], -v[70:71], v[96:97], v[94:95]
	v_div_fmas_f64 v[70:71], v[70:71], v[72:73], v[96:97]
	v_div_fixup_f64 v[72:73], v[70:71], v[6:7], v[8:9]
	v_fma_f64 v[70:71], v[8:9], v[72:73], v[6:7]
	v_div_scale_f64 v[94:95], s[6:7], v[70:71], v[70:71], 1.0
	v_div_scale_f64 v[100:101], vcc, 1.0, v[70:71], 1.0
	v_rcp_f64_e32 v[96:97], v[94:95]
	v_fma_f64 v[98:99], -v[94:95], v[96:97], 1.0
	v_fma_f64 v[96:97], v[96:97], v[98:99], v[96:97]
	v_fma_f64 v[98:99], -v[94:95], v[96:97], 1.0
	v_fma_f64 v[96:97], v[96:97], v[98:99], v[96:97]
	v_mul_f64 v[98:99], v[100:101], v[96:97]
	v_fma_f64 v[94:95], -v[94:95], v[98:99], v[100:101]
	v_div_fmas_f64 v[94:95], v[94:95], v[96:97], v[98:99]
	v_div_fixup_f64 v[70:71], v[94:95], v[70:71], 1.0
	v_mul_f64 v[72:73], v[72:73], -v[70:71]
.LBB17_79:
	s_or_b64 exec, exec, s[2:3]
	ds_write2_b64 v1, v[70:71], v[72:73] offset1:1
.LBB17_80:
	s_or_b64 exec, exec, s[4:5]
	s_waitcnt lgkmcnt(0)
	s_barrier
	ds_read2_b64 v[70:73], v1 offset1:1
	s_waitcnt lgkmcnt(0)
	s_barrier
	s_and_saveexec_b64 s[38:39], s[0:1]
	s_cbranch_execz .LBB17_83
; %bb.81:
	v_lshlrev_b64 v[80:81], 2, v[80:81]
	v_mov_b32_e32 v1, s11
	v_add_co_u32_e32 v80, vcc, s10, v80
	v_addc_co_u32_e32 v81, vcc, v1, v81, vcc
	global_load_dword v94, v[80:81], off
	v_cmp_eq_f64_e32 vcc, 0, v[38:39]
	v_cmp_eq_f64_e64 s[0:1], 0, v[40:41]
	v_cmp_neq_f64_e64 s[2:3], 0, v[42:43]
	v_cmp_neq_f64_e64 s[4:5], 0, v[44:45]
	v_cmp_eq_f64_e64 s[6:7], 0, v[46:47]
	v_cmp_eq_f64_e64 s[8:9], 0, v[48:49]
	;; [unrolled: 1-line block ×5, first 2 shown]
	s_and_b64 s[0:1], vcc, s[0:1]
	v_cmp_eq_f64_e64 s[16:17], 0, v[56:57]
	s_or_b64 s[2:3], s[2:3], s[4:5]
	v_cndmask_b32_e64 v1, 0, 1, s[0:1]
	s_or_b64 vcc, s[2:3], s[0:1]
	v_cndmask_b32_e32 v1, 2, v1, vcc
	s_and_b64 s[4:5], s[6:7], s[8:9]
	v_cmp_eq_u32_e32 vcc, 0, v1
	v_cmp_eq_f64_e64 s[18:19], 0, v[58:59]
	v_cmp_eq_f64_e64 s[20:21], 0, v[60:61]
	s_and_b64 s[0:1], s[4:5], vcc
	v_cndmask_b32_e64 v1, v1, 3, s[0:1]
	s_and_b64 s[6:7], s[10:11], s[12:13]
	v_cmp_eq_u32_e32 vcc, 0, v1
	v_cmp_eq_f64_e64 s[22:23], 0, v[62:63]
	v_cmp_eq_f64_e64 s[24:25], 0, v[64:65]
	s_and_b64 s[0:1], s[6:7], vcc
	v_cndmask_b32_e64 v1, v1, 4, s[0:1]
	;; [unrolled: 6-line block ×4, first 2 shown]
	s_and_b64 s[12:13], s[22:23], s[24:25]
	v_cmp_eq_u32_e32 vcc, 0, v1
	s_and_b64 s[0:1], s[12:13], vcc
	v_cndmask_b32_e64 v1, v1, 7, s[0:1]
	s_and_b64 s[14:15], s[26:27], s[28:29]
	v_cmp_eq_u32_e32 vcc, 0, v1
	s_and_b64 s[0:1], s[14:15], vcc
	v_cndmask_b32_e64 v1, v1, 8, s[0:1]
	s_and_b64 s[16:17], s[30:31], s[34:35]
	v_cmp_eq_u32_e32 vcc, 0, v1
	s_and_b64 s[0:1], s[16:17], vcc
	v_cndmask_b32_e64 v1, v1, 9, s[0:1]
	v_cmp_ne_u32_e64 s[0:1], 0, v1
	s_waitcnt vmcnt(0)
	v_cmp_eq_u32_e32 vcc, 0, v94
	s_and_b64 s[0:1], vcc, s[0:1]
	s_and_b64 exec, exec, s[0:1]
	s_cbranch_execz .LBB17_83
; %bb.82:
	v_add_u32_e32 v1, s37, v1
	global_store_dword v[80:81], v1, off
.LBB17_83:
	s_or_b64 exec, exec, s[38:39]
	v_mul_f64 v[38:39], v[70:71], v[8:9]
	v_mul_f64 v[40:41], v[72:73], v[8:9]
	global_store_dwordx4 v[90:91], v[34:37], off
	global_store_dwordx4 v[92:93], v[30:33], off
	global_store_dwordx4 v[74:75], v[26:29], off
	v_cmp_lt_u32_e32 vcc, 8, v0
	global_store_dwordx4 v[76:77], v[22:25], off
	global_store_dwordx4 v[78:79], v[18:21], off
	global_store_dwordx4 v[82:83], v[14:17], off
	global_store_dwordx4 v[84:85], v[10:13], off
	v_fma_f64 v[30:31], v[72:73], v[6:7], v[38:39]
	v_fma_f64 v[26:27], v[70:71], v[6:7], -v[40:41]
	v_cndmask_b32_e32 v9, v9, v31, vcc
	v_cndmask_b32_e32 v8, v8, v30, vcc
	;; [unrolled: 1-line block ×4, first 2 shown]
	global_store_dwordx4 v[86:87], v[2:5], off
	global_store_dwordx4 v[88:89], v[6:9], off
.LBB17_84:
	s_endpgm
	.section	.rodata,"a",@progbits
	.p2align	6, 0x0
	.amdhsa_kernel _ZN9rocsolver6v33100L23getf2_npvt_small_kernelILi9E19rocblas_complex_numIdEiiPS3_EEvT1_T3_lS5_lPT2_S5_S5_
		.amdhsa_group_segment_fixed_size 0
		.amdhsa_private_segment_fixed_size 0
		.amdhsa_kernarg_size 312
		.amdhsa_user_sgpr_count 6
		.amdhsa_user_sgpr_private_segment_buffer 1
		.amdhsa_user_sgpr_dispatch_ptr 0
		.amdhsa_user_sgpr_queue_ptr 0
		.amdhsa_user_sgpr_kernarg_segment_ptr 1
		.amdhsa_user_sgpr_dispatch_id 0
		.amdhsa_user_sgpr_flat_scratch_init 0
		.amdhsa_user_sgpr_private_segment_size 0
		.amdhsa_uses_dynamic_stack 0
		.amdhsa_system_sgpr_private_segment_wavefront_offset 0
		.amdhsa_system_sgpr_workgroup_id_x 1
		.amdhsa_system_sgpr_workgroup_id_y 1
		.amdhsa_system_sgpr_workgroup_id_z 0
		.amdhsa_system_sgpr_workgroup_info 0
		.amdhsa_system_vgpr_workitem_id 1
		.amdhsa_next_free_vgpr 117
		.amdhsa_next_free_sgpr 40
		.amdhsa_reserve_vcc 1
		.amdhsa_reserve_flat_scratch 0
		.amdhsa_float_round_mode_32 0
		.amdhsa_float_round_mode_16_64 0
		.amdhsa_float_denorm_mode_32 3
		.amdhsa_float_denorm_mode_16_64 3
		.amdhsa_dx10_clamp 1
		.amdhsa_ieee_mode 1
		.amdhsa_fp16_overflow 0
		.amdhsa_exception_fp_ieee_invalid_op 0
		.amdhsa_exception_fp_denorm_src 0
		.amdhsa_exception_fp_ieee_div_zero 0
		.amdhsa_exception_fp_ieee_overflow 0
		.amdhsa_exception_fp_ieee_underflow 0
		.amdhsa_exception_fp_ieee_inexact 0
		.amdhsa_exception_int_div_zero 0
	.end_amdhsa_kernel
	.section	.text._ZN9rocsolver6v33100L23getf2_npvt_small_kernelILi9E19rocblas_complex_numIdEiiPS3_EEvT1_T3_lS5_lPT2_S5_S5_,"axG",@progbits,_ZN9rocsolver6v33100L23getf2_npvt_small_kernelILi9E19rocblas_complex_numIdEiiPS3_EEvT1_T3_lS5_lPT2_S5_S5_,comdat
.Lfunc_end17:
	.size	_ZN9rocsolver6v33100L23getf2_npvt_small_kernelILi9E19rocblas_complex_numIdEiiPS3_EEvT1_T3_lS5_lPT2_S5_S5_, .Lfunc_end17-_ZN9rocsolver6v33100L23getf2_npvt_small_kernelILi9E19rocblas_complex_numIdEiiPS3_EEvT1_T3_lS5_lPT2_S5_S5_
                                        ; -- End function
	.set _ZN9rocsolver6v33100L23getf2_npvt_small_kernelILi9E19rocblas_complex_numIdEiiPS3_EEvT1_T3_lS5_lPT2_S5_S5_.num_vgpr, 117
	.set _ZN9rocsolver6v33100L23getf2_npvt_small_kernelILi9E19rocblas_complex_numIdEiiPS3_EEvT1_T3_lS5_lPT2_S5_S5_.num_agpr, 0
	.set _ZN9rocsolver6v33100L23getf2_npvt_small_kernelILi9E19rocblas_complex_numIdEiiPS3_EEvT1_T3_lS5_lPT2_S5_S5_.numbered_sgpr, 40
	.set _ZN9rocsolver6v33100L23getf2_npvt_small_kernelILi9E19rocblas_complex_numIdEiiPS3_EEvT1_T3_lS5_lPT2_S5_S5_.num_named_barrier, 0
	.set _ZN9rocsolver6v33100L23getf2_npvt_small_kernelILi9E19rocblas_complex_numIdEiiPS3_EEvT1_T3_lS5_lPT2_S5_S5_.private_seg_size, 0
	.set _ZN9rocsolver6v33100L23getf2_npvt_small_kernelILi9E19rocblas_complex_numIdEiiPS3_EEvT1_T3_lS5_lPT2_S5_S5_.uses_vcc, 1
	.set _ZN9rocsolver6v33100L23getf2_npvt_small_kernelILi9E19rocblas_complex_numIdEiiPS3_EEvT1_T3_lS5_lPT2_S5_S5_.uses_flat_scratch, 0
	.set _ZN9rocsolver6v33100L23getf2_npvt_small_kernelILi9E19rocblas_complex_numIdEiiPS3_EEvT1_T3_lS5_lPT2_S5_S5_.has_dyn_sized_stack, 0
	.set _ZN9rocsolver6v33100L23getf2_npvt_small_kernelILi9E19rocblas_complex_numIdEiiPS3_EEvT1_T3_lS5_lPT2_S5_S5_.has_recursion, 0
	.set _ZN9rocsolver6v33100L23getf2_npvt_small_kernelILi9E19rocblas_complex_numIdEiiPS3_EEvT1_T3_lS5_lPT2_S5_S5_.has_indirect_call, 0
	.section	.AMDGPU.csdata,"",@progbits
; Kernel info:
; codeLenInByte = 8424
; TotalNumSgprs: 44
; NumVgprs: 117
; ScratchSize: 0
; MemoryBound: 0
; FloatMode: 240
; IeeeMode: 1
; LDSByteSize: 0 bytes/workgroup (compile time only)
; SGPRBlocks: 5
; VGPRBlocks: 29
; NumSGPRsForWavesPerEU: 44
; NumVGPRsForWavesPerEU: 117
; Occupancy: 2
; WaveLimiterHint : 0
; COMPUTE_PGM_RSRC2:SCRATCH_EN: 0
; COMPUTE_PGM_RSRC2:USER_SGPR: 6
; COMPUTE_PGM_RSRC2:TRAP_HANDLER: 0
; COMPUTE_PGM_RSRC2:TGID_X_EN: 1
; COMPUTE_PGM_RSRC2:TGID_Y_EN: 1
; COMPUTE_PGM_RSRC2:TGID_Z_EN: 0
; COMPUTE_PGM_RSRC2:TIDIG_COMP_CNT: 1
	.section	.text._ZN9rocsolver6v33100L18getf2_small_kernelILi10E19rocblas_complex_numIdEiiPS3_EEvT1_T3_lS5_lPS5_llPT2_S5_S5_S7_l,"axG",@progbits,_ZN9rocsolver6v33100L18getf2_small_kernelILi10E19rocblas_complex_numIdEiiPS3_EEvT1_T3_lS5_lPS5_llPT2_S5_S5_S7_l,comdat
	.globl	_ZN9rocsolver6v33100L18getf2_small_kernelILi10E19rocblas_complex_numIdEiiPS3_EEvT1_T3_lS5_lPS5_llPT2_S5_S5_S7_l ; -- Begin function _ZN9rocsolver6v33100L18getf2_small_kernelILi10E19rocblas_complex_numIdEiiPS3_EEvT1_T3_lS5_lPS5_llPT2_S5_S5_S7_l
	.p2align	8
	.type	_ZN9rocsolver6v33100L18getf2_small_kernelILi10E19rocblas_complex_numIdEiiPS3_EEvT1_T3_lS5_lPS5_llPT2_S5_S5_S7_l,@function
_ZN9rocsolver6v33100L18getf2_small_kernelILi10E19rocblas_complex_numIdEiiPS3_EEvT1_T3_lS5_lPS5_llPT2_S5_S5_S7_l: ; @_ZN9rocsolver6v33100L18getf2_small_kernelILi10E19rocblas_complex_numIdEiiPS3_EEvT1_T3_lS5_lPS5_llPT2_S5_S5_S7_l
; %bb.0:
	s_load_dword s0, s[4:5], 0x6c
	s_load_dwordx2 s[16:17], s[4:5], 0x48
	s_waitcnt lgkmcnt(0)
	s_lshr_b32 s0, s0, 16
	s_mul_i32 s7, s7, s0
	v_add_u32_e32 v46, s7, v1
	v_cmp_gt_i32_e32 vcc, s16, v46
	s_and_saveexec_b64 s[0:1], vcc
	s_cbranch_execz .LBB18_211
; %bb.1:
	s_load_dwordx4 s[0:3], s[4:5], 0x50
	v_mov_b32_e32 v48, 0
	v_ashrrev_i32_e32 v47, 31, v46
	v_mov_b32_e32 v49, 0
	s_waitcnt lgkmcnt(0)
	s_cmp_eq_u64 s[0:1], 0
	s_cselect_b64 s[18:19], -1, 0
	s_and_b64 vcc, exec, s[18:19]
	s_cbranch_vccnz .LBB18_3
; %bb.2:
	v_mul_lo_u32 v4, s3, v46
	v_mul_lo_u32 v5, s2, v47
	v_mad_u64_u32 v[2:3], s[2:3], s2, v46, 0
	v_add3_u32 v3, v3, v5, v4
	v_lshlrev_b64 v[2:3], 2, v[2:3]
	v_mov_b32_e32 v4, s1
	v_add_co_u32_e32 v48, vcc, s0, v2
	v_addc_co_u32_e32 v49, vcc, v4, v3, vcc
.LBB18_3:
	s_load_dwordx8 s[8:15], s[4:5], 0x20
	s_load_dwordx4 s[0:3], s[4:5], 0x8
	v_lshlrev_b32_e32 v52, 4, v0
	s_load_dwordx2 s[20:21], s[4:5], 0x40
	s_waitcnt lgkmcnt(0)
	v_mul_lo_u32 v4, s9, v46
	v_mul_lo_u32 v5, s8, v47
	v_mad_u64_u32 v[2:3], s[6:7], s8, v46, 0
	s_load_dword s6, s[4:5], 0x18
	s_load_dword s22, s[4:5], 0x0
	v_mov_b32_e32 v6, s1
	v_add3_u32 v3, v3, v5, v4
	v_lshlrev_b64 v[2:3], 4, v[2:3]
	s_waitcnt lgkmcnt(0)
	s_add_i32 s16, s6, s6
	v_add_co_u32_e32 v2, vcc, s0, v2
	v_addc_co_u32_e32 v3, vcc, v6, v3, vcc
	s_lshl_b64 s[0:1], s[2:3], 4
	v_mov_b32_e32 v4, s1
	v_add_co_u32_e32 v53, vcc, s0, v2
	v_add_u32_e32 v2, s16, v0
	v_addc_co_u32_e32 v54, vcc, v3, v4, vcc
	v_ashrrev_i32_e32 v3, 31, v2
	v_lshlrev_b64 v[3:4], 4, v[2:3]
	v_add_u32_e32 v2, s6, v2
	v_add_co_u32_e32 v38, vcc, v53, v3
	v_ashrrev_i32_e32 v3, 31, v2
	v_addc_co_u32_e32 v39, vcc, v54, v4, vcc
	v_lshlrev_b64 v[3:4], 4, v[2:3]
	v_add_u32_e32 v2, s6, v2
	v_add_co_u32_e32 v40, vcc, v53, v3
	v_ashrrev_i32_e32 v3, 31, v2
	v_addc_co_u32_e32 v41, vcc, v54, v4, vcc
	;; [unrolled: 5-line block ×6, first 2 shown]
	v_lshlrev_b64 v[3:4], 4, v[2:3]
	v_add_u32_e32 v2, s6, v2
	v_add_co_u32_e32 v57, vcc, v53, v3
	v_ashrrev_i32_e32 v3, 31, v2
	v_lshlrev_b64 v[2:3], 4, v[2:3]
	v_addc_co_u32_e32 v58, vcc, v54, v4, vcc
	v_add_co_u32_e32 v59, vcc, v53, v2
	v_addc_co_u32_e32 v60, vcc, v54, v3, vcc
	v_add_co_u32_e32 v2, vcc, v53, v52
	s_ashr_i32 s7, s6, 31
	v_addc_co_u32_e32 v3, vcc, 0, v54, vcc
	s_lshl_b64 s[8:9], s[6:7], 4
	v_mov_b32_e32 v4, s9
	v_add_co_u32_e32 v61, vcc, s8, v2
	v_addc_co_u32_e32 v62, vcc, v3, v4, vcc
	global_load_dwordx4 v[34:37], v[2:3], off
	global_load_dwordx4 v[30:33], v[61:62], off
	;; [unrolled: 1-line block ×9, first 2 shown]
                                        ; kill: killed $vgpr40 killed $vgpr41
                                        ; kill: killed $vgpr44 killed $vgpr45
                                        ; kill: killed $vgpr55 killed $vgpr56
                                        ; kill: killed $vgpr38 killed $vgpr39
                                        ; kill: killed $vgpr61 killed $vgpr62
                                        ; kill: killed $vgpr42 killed $vgpr43
                                        ; kill: killed $vgpr50 killed $vgpr51
                                        ; kill: killed $vgpr57 killed $vgpr58
	global_load_dwordx4 v[38:41], v[59:60], off
	s_max_i32 s0, s22, 10
	v_mul_lo_u32 v50, s0, v1
	s_cmp_lt_i32 s22, 2
	v_lshl_add_u32 v1, v50, 4, 0
	v_add_u32_e32 v42, v1, v52
	v_lshlrev_b32_e32 v56, 4, v50
	v_mov_b32_e32 v50, 0
	s_waitcnt vmcnt(9)
	ds_write2_b64 v42, v[34:35], v[36:37] offset1:1
	s_waitcnt vmcnt(0) lgkmcnt(0)
	s_barrier
	ds_read2_b64 v[42:45], v1 offset1:1
	s_cbranch_scc1 .LBB18_6
; %bb.4:
	v_add3_u32 v51, v56, 0, 16
	s_mov_b32 s7, 1
	v_mov_b32_e32 v50, 0
.LBB18_5:                               ; =>This Inner Loop Header: Depth=1
	ds_read2_b64 v[57:60], v51 offset1:1
	s_waitcnt lgkmcnt(1)
	v_cmp_gt_f64_e32 vcc, 0, v[44:45]
	v_cmp_gt_f64_e64 s[0:1], 0, v[42:43]
	v_xor_b32_e32 v52, 0x80000000, v43
	v_xor_b32_e32 v55, 0x80000000, v45
	s_waitcnt lgkmcnt(0)
	v_cmp_gt_f64_e64 s[2:3], 0, v[57:58]
	v_cmp_gt_f64_e64 s[4:5], 0, v[59:60]
	v_xor_b32_e32 v66, 0x80000000, v58
	v_xor_b32_e32 v68, 0x80000000, v60
	v_mov_b32_e32 v61, v42
	v_mov_b32_e32 v63, v44
	;; [unrolled: 1-line block ×4, first 2 shown]
	v_cndmask_b32_e64 v62, v43, v52, s[0:1]
	v_cndmask_b32_e32 v64, v45, v55, vcc
	v_cndmask_b32_e64 v66, v58, v66, s[2:3]
	v_cndmask_b32_e64 v68, v60, v68, s[4:5]
	v_add_f64 v[61:62], v[61:62], v[63:64]
	v_add_f64 v[63:64], v[65:66], v[67:68]
	v_mov_b32_e32 v52, s7
	s_add_i32 s7, s7, 1
	v_add_u32_e32 v51, 16, v51
	s_cmp_eq_u32 s22, s7
	v_cmp_lt_f64_e32 vcc, v[61:62], v[63:64]
	v_cndmask_b32_e32 v43, v43, v58, vcc
	v_cndmask_b32_e32 v42, v42, v57, vcc
	;; [unrolled: 1-line block ×5, first 2 shown]
	s_cbranch_scc0 .LBB18_5
.LBB18_6:
	s_waitcnt lgkmcnt(0)
	v_cmp_neq_f64_e32 vcc, 0, v[42:43]
	v_cmp_neq_f64_e64 s[0:1], 0, v[44:45]
	v_mov_b32_e32 v55, 1
	v_mov_b32_e32 v57, 1
	s_or_b64 s[2:3], vcc, s[0:1]
	s_and_saveexec_b64 s[0:1], s[2:3]
	s_cbranch_execz .LBB18_12
; %bb.7:
	v_cmp_ngt_f64_e64 s[2:3], |v[42:43]|, |v[44:45]|
	s_and_saveexec_b64 s[4:5], s[2:3]
	s_xor_b64 s[2:3], exec, s[4:5]
	s_cbranch_execz .LBB18_9
; %bb.8:
	v_div_scale_f64 v[51:52], s[4:5], v[44:45], v[44:45], v[42:43]
	v_rcp_f64_e32 v[57:58], v[51:52]
	v_fma_f64 v[59:60], -v[51:52], v[57:58], 1.0
	v_fma_f64 v[57:58], v[57:58], v[59:60], v[57:58]
	v_div_scale_f64 v[59:60], vcc, v[42:43], v[44:45], v[42:43]
	v_fma_f64 v[61:62], -v[51:52], v[57:58], 1.0
	v_fma_f64 v[57:58], v[57:58], v[61:62], v[57:58]
	v_mul_f64 v[61:62], v[59:60], v[57:58]
	v_fma_f64 v[51:52], -v[51:52], v[61:62], v[59:60]
	v_div_fmas_f64 v[51:52], v[51:52], v[57:58], v[61:62]
	v_div_fixup_f64 v[51:52], v[51:52], v[44:45], v[42:43]
	v_fma_f64 v[42:43], v[42:43], v[51:52], v[44:45]
	v_div_scale_f64 v[44:45], s[4:5], v[42:43], v[42:43], 1.0
	v_div_scale_f64 v[61:62], vcc, 1.0, v[42:43], 1.0
	v_rcp_f64_e32 v[57:58], v[44:45]
	v_fma_f64 v[59:60], -v[44:45], v[57:58], 1.0
	v_fma_f64 v[57:58], v[57:58], v[59:60], v[57:58]
	v_fma_f64 v[59:60], -v[44:45], v[57:58], 1.0
	v_fma_f64 v[57:58], v[57:58], v[59:60], v[57:58]
	v_mul_f64 v[59:60], v[61:62], v[57:58]
	v_fma_f64 v[44:45], -v[44:45], v[59:60], v[61:62]
	v_div_fmas_f64 v[44:45], v[44:45], v[57:58], v[59:60]
	v_div_fixup_f64 v[44:45], v[44:45], v[42:43], 1.0
	v_mul_f64 v[42:43], v[51:52], v[44:45]
	v_xor_b32_e32 v45, 0x80000000, v45
.LBB18_9:
	s_andn2_saveexec_b64 s[2:3], s[2:3]
	s_cbranch_execz .LBB18_11
; %bb.10:
	v_div_scale_f64 v[51:52], s[4:5], v[42:43], v[42:43], v[44:45]
	v_rcp_f64_e32 v[57:58], v[51:52]
	v_fma_f64 v[59:60], -v[51:52], v[57:58], 1.0
	v_fma_f64 v[57:58], v[57:58], v[59:60], v[57:58]
	v_div_scale_f64 v[59:60], vcc, v[44:45], v[42:43], v[44:45]
	v_fma_f64 v[61:62], -v[51:52], v[57:58], 1.0
	v_fma_f64 v[57:58], v[57:58], v[61:62], v[57:58]
	v_mul_f64 v[61:62], v[59:60], v[57:58]
	v_fma_f64 v[51:52], -v[51:52], v[61:62], v[59:60]
	v_div_fmas_f64 v[51:52], v[51:52], v[57:58], v[61:62]
	v_div_fixup_f64 v[51:52], v[51:52], v[42:43], v[44:45]
	v_fma_f64 v[42:43], v[44:45], v[51:52], v[42:43]
	v_div_scale_f64 v[44:45], s[4:5], v[42:43], v[42:43], 1.0
	v_div_scale_f64 v[61:62], vcc, 1.0, v[42:43], 1.0
	v_rcp_f64_e32 v[57:58], v[44:45]
	v_fma_f64 v[59:60], -v[44:45], v[57:58], 1.0
	v_fma_f64 v[57:58], v[57:58], v[59:60], v[57:58]
	v_fma_f64 v[59:60], -v[44:45], v[57:58], 1.0
	v_fma_f64 v[57:58], v[57:58], v[59:60], v[57:58]
	v_mul_f64 v[59:60], v[61:62], v[57:58]
	v_fma_f64 v[44:45], -v[44:45], v[59:60], v[61:62]
	v_div_fmas_f64 v[44:45], v[44:45], v[57:58], v[59:60]
	v_div_fixup_f64 v[42:43], v[44:45], v[42:43], 1.0
	v_mul_f64 v[44:45], v[51:52], -v[42:43]
.LBB18_11:
	s_or_b64 exec, exec, s[2:3]
	v_mov_b32_e32 v57, 0
	v_mov_b32_e32 v55, 2
.LBB18_12:
	s_or_b64 exec, exec, s[0:1]
	v_cmp_ne_u32_e32 vcc, v0, v50
	s_and_saveexec_b64 s[0:1], vcc
	s_xor_b64 s[0:1], exec, s[0:1]
	s_cbranch_execz .LBB18_18
; %bb.13:
	v_cmp_eq_u32_e32 vcc, 0, v0
	s_and_saveexec_b64 s[2:3], vcc
	s_cbranch_execz .LBB18_17
; %bb.14:
	v_cmp_ne_u32_e32 vcc, 0, v50
	s_xor_b64 s[4:5], s[18:19], -1
	s_and_b64 s[24:25], s[4:5], vcc
	s_and_saveexec_b64 s[4:5], s[24:25]
	s_cbranch_execz .LBB18_16
; %bb.15:
	v_ashrrev_i32_e32 v51, 31, v50
	v_lshlrev_b64 v[51:52], 2, v[50:51]
	v_add_co_u32_e32 v51, vcc, v48, v51
	v_addc_co_u32_e32 v52, vcc, v49, v52, vcc
	global_load_dword v0, v[51:52], off
	global_load_dword v58, v[48:49], off
	s_waitcnt vmcnt(1)
	global_store_dword v[48:49], v0, off
	s_waitcnt vmcnt(1)
	global_store_dword v[51:52], v58, off
.LBB18_16:
	s_or_b64 exec, exec, s[4:5]
	v_mov_b32_e32 v0, v50
.LBB18_17:
	s_or_b64 exec, exec, s[2:3]
.LBB18_18:
	s_or_saveexec_b64 s[0:1], s[0:1]
	v_mov_b32_e32 v52, v0
	s_xor_b64 exec, exec, s[0:1]
	s_cbranch_execz .LBB18_20
; %bb.19:
	v_mov_b32_e32 v52, 0
	ds_write2_b64 v1, v[30:31], v[32:33] offset0:2 offset1:3
	ds_write2_b64 v1, v[26:27], v[28:29] offset0:4 offset1:5
	;; [unrolled: 1-line block ×9, first 2 shown]
.LBB18_20:
	s_or_b64 exec, exec, s[0:1]
	v_cmp_lt_i32_e32 vcc, 0, v52
	s_waitcnt vmcnt(0) lgkmcnt(0)
	s_barrier
	s_and_saveexec_b64 s[0:1], vcc
	s_cbranch_execz .LBB18_22
; %bb.21:
	v_mul_f64 v[50:51], v[42:43], v[36:37]
	v_mul_f64 v[36:37], v[44:45], v[36:37]
	v_fma_f64 v[50:51], v[44:45], v[34:35], v[50:51]
	v_fma_f64 v[34:35], v[42:43], v[34:35], -v[36:37]
	ds_read2_b64 v[42:45], v1 offset0:2 offset1:3
	s_waitcnt lgkmcnt(0)
	v_mul_f64 v[36:37], v[44:45], v[50:51]
	v_fma_f64 v[36:37], v[42:43], v[34:35], -v[36:37]
	v_mul_f64 v[42:43], v[42:43], v[50:51]
	v_add_f64 v[30:31], v[30:31], -v[36:37]
	v_fma_f64 v[42:43], v[44:45], v[34:35], v[42:43]
	v_add_f64 v[32:33], v[32:33], -v[42:43]
	ds_read2_b64 v[42:45], v1 offset0:4 offset1:5
	s_waitcnt lgkmcnt(0)
	v_mul_f64 v[36:37], v[44:45], v[50:51]
	v_fma_f64 v[36:37], v[42:43], v[34:35], -v[36:37]
	v_mul_f64 v[42:43], v[42:43], v[50:51]
	v_add_f64 v[26:27], v[26:27], -v[36:37]
	v_fma_f64 v[42:43], v[44:45], v[34:35], v[42:43]
	v_add_f64 v[28:29], v[28:29], -v[42:43]
	;; [unrolled: 8-line block ×8, first 2 shown]
	ds_read2_b64 v[42:45], v1 offset0:18 offset1:19
	s_waitcnt lgkmcnt(0)
	v_mul_f64 v[36:37], v[44:45], v[50:51]
	v_fma_f64 v[36:37], v[42:43], v[34:35], -v[36:37]
	v_mul_f64 v[42:43], v[42:43], v[50:51]
	v_add_f64 v[38:39], v[38:39], -v[36:37]
	v_fma_f64 v[42:43], v[44:45], v[34:35], v[42:43]
	v_mov_b32_e32 v36, v50
	v_mov_b32_e32 v37, v51
	v_add_f64 v[40:41], v[40:41], -v[42:43]
.LBB18_22:
	s_or_b64 exec, exec, s[0:1]
	v_lshl_add_u32 v42, v52, 4, v1
	s_barrier
	ds_write2_b64 v42, v[30:31], v[32:33] offset1:1
	s_waitcnt lgkmcnt(0)
	s_barrier
	ds_read2_b64 v[42:45], v1 offset0:2 offset1:3
	s_cmp_lt_i32 s22, 3
	v_mov_b32_e32 v50, 1
	s_cbranch_scc1 .LBB18_25
; %bb.23:
	v_add3_u32 v51, v56, 0, 32
	s_mov_b32 s2, 2
	v_mov_b32_e32 v50, 1
.LBB18_24:                              ; =>This Inner Loop Header: Depth=1
	s_waitcnt lgkmcnt(0)
	v_cmp_gt_f64_e32 vcc, 0, v[44:45]
	v_cmp_gt_f64_e64 s[0:1], 0, v[42:43]
	ds_read2_b64 v[58:61], v51 offset1:1
	v_xor_b32_e32 v63, 0x80000000, v43
	v_xor_b32_e32 v65, 0x80000000, v45
	v_mov_b32_e32 v62, v42
	v_mov_b32_e32 v64, v44
	s_waitcnt lgkmcnt(0)
	v_xor_b32_e32 v67, 0x80000000, v61
	v_cndmask_b32_e32 v65, v45, v65, vcc
	v_cndmask_b32_e64 v63, v43, v63, s[0:1]
	v_cmp_gt_f64_e32 vcc, 0, v[60:61]
	v_cmp_gt_f64_e64 s[0:1], 0, v[58:59]
	v_add_f64 v[62:63], v[62:63], v[64:65]
	v_xor_b32_e32 v65, 0x80000000, v59
	v_mov_b32_e32 v64, v58
	v_mov_b32_e32 v66, v60
	v_add_u32_e32 v51, 16, v51
	v_cndmask_b32_e32 v67, v61, v67, vcc
	v_cndmask_b32_e64 v65, v59, v65, s[0:1]
	v_add_f64 v[64:65], v[64:65], v[66:67]
	v_mov_b32_e32 v66, s2
	s_add_i32 s2, s2, 1
	s_cmp_lg_u32 s22, s2
	v_cmp_lt_f64_e32 vcc, v[62:63], v[64:65]
	v_cndmask_b32_e32 v43, v43, v59, vcc
	v_cndmask_b32_e32 v42, v42, v58, vcc
	v_cndmask_b32_e32 v45, v45, v61, vcc
	v_cndmask_b32_e32 v44, v44, v60, vcc
	v_cndmask_b32_e32 v50, v50, v66, vcc
	s_cbranch_scc1 .LBB18_24
.LBB18_25:
	s_waitcnt lgkmcnt(0)
	v_cmp_neq_f64_e32 vcc, 0, v[42:43]
	v_cmp_neq_f64_e64 s[0:1], 0, v[44:45]
	s_or_b64 s[2:3], vcc, s[0:1]
	s_and_saveexec_b64 s[0:1], s[2:3]
	s_cbranch_execz .LBB18_31
; %bb.26:
	v_cmp_ngt_f64_e64 s[2:3], |v[42:43]|, |v[44:45]|
	s_and_saveexec_b64 s[4:5], s[2:3]
	s_xor_b64 s[2:3], exec, s[4:5]
	s_cbranch_execz .LBB18_28
; %bb.27:
	v_div_scale_f64 v[58:59], s[4:5], v[44:45], v[44:45], v[42:43]
	v_rcp_f64_e32 v[60:61], v[58:59]
	v_fma_f64 v[62:63], -v[58:59], v[60:61], 1.0
	v_fma_f64 v[60:61], v[60:61], v[62:63], v[60:61]
	v_div_scale_f64 v[62:63], vcc, v[42:43], v[44:45], v[42:43]
	v_fma_f64 v[64:65], -v[58:59], v[60:61], 1.0
	v_fma_f64 v[60:61], v[60:61], v[64:65], v[60:61]
	v_mul_f64 v[64:65], v[62:63], v[60:61]
	v_fma_f64 v[58:59], -v[58:59], v[64:65], v[62:63]
	v_div_fmas_f64 v[58:59], v[58:59], v[60:61], v[64:65]
	v_div_fixup_f64 v[58:59], v[58:59], v[44:45], v[42:43]
	v_fma_f64 v[42:43], v[42:43], v[58:59], v[44:45]
	v_div_scale_f64 v[44:45], s[4:5], v[42:43], v[42:43], 1.0
	v_div_scale_f64 v[64:65], vcc, 1.0, v[42:43], 1.0
	v_rcp_f64_e32 v[60:61], v[44:45]
	v_fma_f64 v[62:63], -v[44:45], v[60:61], 1.0
	v_fma_f64 v[60:61], v[60:61], v[62:63], v[60:61]
	v_fma_f64 v[62:63], -v[44:45], v[60:61], 1.0
	v_fma_f64 v[60:61], v[60:61], v[62:63], v[60:61]
	v_mul_f64 v[62:63], v[64:65], v[60:61]
	v_fma_f64 v[44:45], -v[44:45], v[62:63], v[64:65]
	v_div_fmas_f64 v[44:45], v[44:45], v[60:61], v[62:63]
	v_div_fixup_f64 v[44:45], v[44:45], v[42:43], 1.0
	v_mul_f64 v[42:43], v[58:59], v[44:45]
	v_xor_b32_e32 v45, 0x80000000, v45
.LBB18_28:
	s_andn2_saveexec_b64 s[2:3], s[2:3]
	s_cbranch_execz .LBB18_30
; %bb.29:
	v_div_scale_f64 v[58:59], s[4:5], v[42:43], v[42:43], v[44:45]
	v_rcp_f64_e32 v[60:61], v[58:59]
	v_fma_f64 v[62:63], -v[58:59], v[60:61], 1.0
	v_fma_f64 v[60:61], v[60:61], v[62:63], v[60:61]
	v_div_scale_f64 v[62:63], vcc, v[44:45], v[42:43], v[44:45]
	v_fma_f64 v[64:65], -v[58:59], v[60:61], 1.0
	v_fma_f64 v[60:61], v[60:61], v[64:65], v[60:61]
	v_mul_f64 v[64:65], v[62:63], v[60:61]
	v_fma_f64 v[58:59], -v[58:59], v[64:65], v[62:63]
	v_div_fmas_f64 v[58:59], v[58:59], v[60:61], v[64:65]
	v_div_fixup_f64 v[58:59], v[58:59], v[42:43], v[44:45]
	v_fma_f64 v[42:43], v[44:45], v[58:59], v[42:43]
	v_div_scale_f64 v[44:45], s[4:5], v[42:43], v[42:43], 1.0
	v_div_scale_f64 v[64:65], vcc, 1.0, v[42:43], 1.0
	v_rcp_f64_e32 v[60:61], v[44:45]
	v_fma_f64 v[62:63], -v[44:45], v[60:61], 1.0
	v_fma_f64 v[60:61], v[60:61], v[62:63], v[60:61]
	v_fma_f64 v[62:63], -v[44:45], v[60:61], 1.0
	v_fma_f64 v[60:61], v[60:61], v[62:63], v[60:61]
	v_mul_f64 v[62:63], v[64:65], v[60:61]
	v_fma_f64 v[44:45], -v[44:45], v[62:63], v[64:65]
	v_div_fmas_f64 v[44:45], v[44:45], v[60:61], v[62:63]
	v_div_fixup_f64 v[42:43], v[44:45], v[42:43], 1.0
	v_mul_f64 v[44:45], v[58:59], -v[42:43]
.LBB18_30:
	s_or_b64 exec, exec, s[2:3]
	v_mov_b32_e32 v55, v57
.LBB18_31:
	s_or_b64 exec, exec, s[0:1]
	v_cmp_ne_u32_e32 vcc, v52, v50
	s_and_saveexec_b64 s[0:1], vcc
	s_xor_b64 s[0:1], exec, s[0:1]
	s_cbranch_execz .LBB18_37
; %bb.32:
	v_cmp_eq_u32_e32 vcc, 1, v52
	s_and_saveexec_b64 s[2:3], vcc
	s_cbranch_execz .LBB18_36
; %bb.33:
	v_cmp_ne_u32_e32 vcc, 1, v50
	s_xor_b64 s[4:5], s[18:19], -1
	s_and_b64 s[24:25], s[4:5], vcc
	s_and_saveexec_b64 s[4:5], s[24:25]
	s_cbranch_execz .LBB18_35
; %bb.34:
	v_ashrrev_i32_e32 v51, 31, v50
	v_lshlrev_b64 v[51:52], 2, v[50:51]
	v_add_co_u32_e32 v51, vcc, v48, v51
	v_addc_co_u32_e32 v52, vcc, v49, v52, vcc
	global_load_dword v0, v[51:52], off
	global_load_dword v57, v[48:49], off offset:4
	s_waitcnt vmcnt(1)
	global_store_dword v[48:49], v0, off offset:4
	s_waitcnt vmcnt(1)
	global_store_dword v[51:52], v57, off
.LBB18_35:
	s_or_b64 exec, exec, s[4:5]
	v_mov_b32_e32 v52, v50
	v_mov_b32_e32 v0, v50
.LBB18_36:
	s_or_b64 exec, exec, s[2:3]
.LBB18_37:
	s_andn2_saveexec_b64 s[0:1], s[0:1]
	s_cbranch_execz .LBB18_39
; %bb.38:
	v_mov_b32_e32 v52, 1
	ds_write2_b64 v1, v[26:27], v[28:29] offset0:4 offset1:5
	ds_write2_b64 v1, v[22:23], v[24:25] offset0:6 offset1:7
	;; [unrolled: 1-line block ×8, first 2 shown]
.LBB18_39:
	s_or_b64 exec, exec, s[0:1]
	v_cmp_lt_i32_e32 vcc, 1, v52
	s_waitcnt vmcnt(0) lgkmcnt(0)
	s_barrier
	s_and_saveexec_b64 s[0:1], vcc
	s_cbranch_execz .LBB18_41
; %bb.40:
	v_mul_f64 v[50:51], v[42:43], v[32:33]
	v_mul_f64 v[32:33], v[44:45], v[32:33]
	v_fma_f64 v[50:51], v[44:45], v[30:31], v[50:51]
	v_fma_f64 v[30:31], v[42:43], v[30:31], -v[32:33]
	ds_read2_b64 v[42:45], v1 offset0:4 offset1:5
	s_waitcnt lgkmcnt(0)
	v_mul_f64 v[32:33], v[44:45], v[50:51]
	v_fma_f64 v[32:33], v[42:43], v[30:31], -v[32:33]
	v_mul_f64 v[42:43], v[42:43], v[50:51]
	v_add_f64 v[26:27], v[26:27], -v[32:33]
	v_fma_f64 v[42:43], v[44:45], v[30:31], v[42:43]
	v_add_f64 v[28:29], v[28:29], -v[42:43]
	ds_read2_b64 v[42:45], v1 offset0:6 offset1:7
	s_waitcnt lgkmcnt(0)
	v_mul_f64 v[32:33], v[44:45], v[50:51]
	v_fma_f64 v[32:33], v[42:43], v[30:31], -v[32:33]
	v_mul_f64 v[42:43], v[42:43], v[50:51]
	v_add_f64 v[22:23], v[22:23], -v[32:33]
	v_fma_f64 v[42:43], v[44:45], v[30:31], v[42:43]
	v_add_f64 v[24:25], v[24:25], -v[42:43]
	;; [unrolled: 8-line block ×7, first 2 shown]
	ds_read2_b64 v[42:45], v1 offset0:18 offset1:19
	s_waitcnt lgkmcnt(0)
	v_mul_f64 v[32:33], v[44:45], v[50:51]
	v_fma_f64 v[32:33], v[42:43], v[30:31], -v[32:33]
	v_mul_f64 v[42:43], v[42:43], v[50:51]
	v_add_f64 v[38:39], v[38:39], -v[32:33]
	v_fma_f64 v[42:43], v[44:45], v[30:31], v[42:43]
	v_mov_b32_e32 v32, v50
	v_mov_b32_e32 v33, v51
	v_add_f64 v[40:41], v[40:41], -v[42:43]
.LBB18_41:
	s_or_b64 exec, exec, s[0:1]
	v_lshl_add_u32 v42, v52, 4, v1
	s_barrier
	ds_write2_b64 v42, v[26:27], v[28:29] offset1:1
	s_waitcnt lgkmcnt(0)
	s_barrier
	ds_read2_b64 v[42:45], v1 offset0:4 offset1:5
	s_cmp_lt_i32 s22, 4
	v_mov_b32_e32 v50, 2
	s_cbranch_scc1 .LBB18_44
; %bb.42:
	v_add3_u32 v51, v56, 0, 48
	s_mov_b32 s2, 3
	v_mov_b32_e32 v50, 2
.LBB18_43:                              ; =>This Inner Loop Header: Depth=1
	s_waitcnt lgkmcnt(0)
	v_cmp_gt_f64_e32 vcc, 0, v[44:45]
	v_cmp_gt_f64_e64 s[0:1], 0, v[42:43]
	ds_read2_b64 v[57:60], v51 offset1:1
	v_xor_b32_e32 v62, 0x80000000, v43
	v_xor_b32_e32 v64, 0x80000000, v45
	v_mov_b32_e32 v61, v42
	v_mov_b32_e32 v63, v44
	s_waitcnt lgkmcnt(0)
	v_xor_b32_e32 v66, 0x80000000, v60
	v_cndmask_b32_e32 v64, v45, v64, vcc
	v_cndmask_b32_e64 v62, v43, v62, s[0:1]
	v_cmp_gt_f64_e32 vcc, 0, v[59:60]
	v_cmp_gt_f64_e64 s[0:1], 0, v[57:58]
	v_add_f64 v[61:62], v[61:62], v[63:64]
	v_xor_b32_e32 v64, 0x80000000, v58
	v_mov_b32_e32 v63, v57
	v_mov_b32_e32 v65, v59
	v_add_u32_e32 v51, 16, v51
	v_cndmask_b32_e32 v66, v60, v66, vcc
	v_cndmask_b32_e64 v64, v58, v64, s[0:1]
	v_add_f64 v[63:64], v[63:64], v[65:66]
	v_mov_b32_e32 v65, s2
	s_add_i32 s2, s2, 1
	s_cmp_lg_u32 s22, s2
	v_cmp_lt_f64_e32 vcc, v[61:62], v[63:64]
	v_cndmask_b32_e32 v43, v43, v58, vcc
	v_cndmask_b32_e32 v42, v42, v57, vcc
	;; [unrolled: 1-line block ×5, first 2 shown]
	s_cbranch_scc1 .LBB18_43
.LBB18_44:
	s_waitcnt lgkmcnt(0)
	v_cmp_eq_f64_e32 vcc, 0, v[42:43]
	v_cmp_eq_f64_e64 s[0:1], 0, v[44:45]
	s_and_b64 s[0:1], vcc, s[0:1]
	s_and_saveexec_b64 s[2:3], s[0:1]
	s_xor_b64 s[0:1], exec, s[2:3]
; %bb.45:
	v_cmp_ne_u32_e32 vcc, 0, v55
	v_cndmask_b32_e32 v55, 3, v55, vcc
; %bb.46:
	s_andn2_saveexec_b64 s[0:1], s[0:1]
	s_cbranch_execz .LBB18_52
; %bb.47:
	v_cmp_ngt_f64_e64 s[2:3], |v[42:43]|, |v[44:45]|
	s_and_saveexec_b64 s[4:5], s[2:3]
	s_xor_b64 s[2:3], exec, s[4:5]
	s_cbranch_execz .LBB18_49
; %bb.48:
	v_div_scale_f64 v[57:58], s[4:5], v[44:45], v[44:45], v[42:43]
	v_rcp_f64_e32 v[59:60], v[57:58]
	v_fma_f64 v[61:62], -v[57:58], v[59:60], 1.0
	v_fma_f64 v[59:60], v[59:60], v[61:62], v[59:60]
	v_div_scale_f64 v[61:62], vcc, v[42:43], v[44:45], v[42:43]
	v_fma_f64 v[63:64], -v[57:58], v[59:60], 1.0
	v_fma_f64 v[59:60], v[59:60], v[63:64], v[59:60]
	v_mul_f64 v[63:64], v[61:62], v[59:60]
	v_fma_f64 v[57:58], -v[57:58], v[63:64], v[61:62]
	v_div_fmas_f64 v[57:58], v[57:58], v[59:60], v[63:64]
	v_div_fixup_f64 v[57:58], v[57:58], v[44:45], v[42:43]
	v_fma_f64 v[42:43], v[42:43], v[57:58], v[44:45]
	v_div_scale_f64 v[44:45], s[4:5], v[42:43], v[42:43], 1.0
	v_div_scale_f64 v[63:64], vcc, 1.0, v[42:43], 1.0
	v_rcp_f64_e32 v[59:60], v[44:45]
	v_fma_f64 v[61:62], -v[44:45], v[59:60], 1.0
	v_fma_f64 v[59:60], v[59:60], v[61:62], v[59:60]
	v_fma_f64 v[61:62], -v[44:45], v[59:60], 1.0
	v_fma_f64 v[59:60], v[59:60], v[61:62], v[59:60]
	v_mul_f64 v[61:62], v[63:64], v[59:60]
	v_fma_f64 v[44:45], -v[44:45], v[61:62], v[63:64]
	v_div_fmas_f64 v[44:45], v[44:45], v[59:60], v[61:62]
	v_div_fixup_f64 v[44:45], v[44:45], v[42:43], 1.0
	v_mul_f64 v[42:43], v[57:58], v[44:45]
	v_xor_b32_e32 v45, 0x80000000, v45
.LBB18_49:
	s_andn2_saveexec_b64 s[2:3], s[2:3]
	s_cbranch_execz .LBB18_51
; %bb.50:
	v_div_scale_f64 v[57:58], s[4:5], v[42:43], v[42:43], v[44:45]
	v_rcp_f64_e32 v[59:60], v[57:58]
	v_fma_f64 v[61:62], -v[57:58], v[59:60], 1.0
	v_fma_f64 v[59:60], v[59:60], v[61:62], v[59:60]
	v_div_scale_f64 v[61:62], vcc, v[44:45], v[42:43], v[44:45]
	v_fma_f64 v[63:64], -v[57:58], v[59:60], 1.0
	v_fma_f64 v[59:60], v[59:60], v[63:64], v[59:60]
	v_mul_f64 v[63:64], v[61:62], v[59:60]
	v_fma_f64 v[57:58], -v[57:58], v[63:64], v[61:62]
	v_div_fmas_f64 v[57:58], v[57:58], v[59:60], v[63:64]
	v_div_fixup_f64 v[57:58], v[57:58], v[42:43], v[44:45]
	v_fma_f64 v[42:43], v[44:45], v[57:58], v[42:43]
	v_div_scale_f64 v[44:45], s[4:5], v[42:43], v[42:43], 1.0
	v_div_scale_f64 v[63:64], vcc, 1.0, v[42:43], 1.0
	v_rcp_f64_e32 v[59:60], v[44:45]
	v_fma_f64 v[61:62], -v[44:45], v[59:60], 1.0
	v_fma_f64 v[59:60], v[59:60], v[61:62], v[59:60]
	v_fma_f64 v[61:62], -v[44:45], v[59:60], 1.0
	v_fma_f64 v[59:60], v[59:60], v[61:62], v[59:60]
	v_mul_f64 v[61:62], v[63:64], v[59:60]
	v_fma_f64 v[44:45], -v[44:45], v[61:62], v[63:64]
	v_div_fmas_f64 v[44:45], v[44:45], v[59:60], v[61:62]
	v_div_fixup_f64 v[42:43], v[44:45], v[42:43], 1.0
	v_mul_f64 v[44:45], v[57:58], -v[42:43]
.LBB18_51:
	s_or_b64 exec, exec, s[2:3]
.LBB18_52:
	s_or_b64 exec, exec, s[0:1]
	v_cmp_ne_u32_e32 vcc, v52, v50
	s_and_saveexec_b64 s[0:1], vcc
	s_xor_b64 s[0:1], exec, s[0:1]
	s_cbranch_execz .LBB18_58
; %bb.53:
	v_cmp_eq_u32_e32 vcc, 2, v52
	s_and_saveexec_b64 s[2:3], vcc
	s_cbranch_execz .LBB18_57
; %bb.54:
	v_cmp_ne_u32_e32 vcc, 2, v50
	s_xor_b64 s[4:5], s[18:19], -1
	s_and_b64 s[24:25], s[4:5], vcc
	s_and_saveexec_b64 s[4:5], s[24:25]
	s_cbranch_execz .LBB18_56
; %bb.55:
	v_ashrrev_i32_e32 v51, 31, v50
	v_lshlrev_b64 v[51:52], 2, v[50:51]
	v_add_co_u32_e32 v51, vcc, v48, v51
	v_addc_co_u32_e32 v52, vcc, v49, v52, vcc
	global_load_dword v0, v[51:52], off
	global_load_dword v57, v[48:49], off offset:8
	s_waitcnt vmcnt(1)
	global_store_dword v[48:49], v0, off offset:8
	s_waitcnt vmcnt(1)
	global_store_dword v[51:52], v57, off
.LBB18_56:
	s_or_b64 exec, exec, s[4:5]
	v_mov_b32_e32 v52, v50
	v_mov_b32_e32 v0, v50
.LBB18_57:
	s_or_b64 exec, exec, s[2:3]
.LBB18_58:
	s_andn2_saveexec_b64 s[0:1], s[0:1]
	s_cbranch_execz .LBB18_60
; %bb.59:
	v_mov_b32_e32 v52, 2
	ds_write2_b64 v1, v[22:23], v[24:25] offset0:6 offset1:7
	ds_write2_b64 v1, v[18:19], v[20:21] offset0:8 offset1:9
	;; [unrolled: 1-line block ×7, first 2 shown]
.LBB18_60:
	s_or_b64 exec, exec, s[0:1]
	v_cmp_lt_i32_e32 vcc, 2, v52
	s_waitcnt vmcnt(0) lgkmcnt(0)
	s_barrier
	s_and_saveexec_b64 s[0:1], vcc
	s_cbranch_execz .LBB18_62
; %bb.61:
	v_mul_f64 v[50:51], v[42:43], v[28:29]
	v_mul_f64 v[28:29], v[44:45], v[28:29]
	v_fma_f64 v[50:51], v[44:45], v[26:27], v[50:51]
	v_fma_f64 v[26:27], v[42:43], v[26:27], -v[28:29]
	ds_read2_b64 v[42:45], v1 offset0:6 offset1:7
	s_waitcnt lgkmcnt(0)
	v_mul_f64 v[28:29], v[44:45], v[50:51]
	v_fma_f64 v[28:29], v[42:43], v[26:27], -v[28:29]
	v_mul_f64 v[42:43], v[42:43], v[50:51]
	v_add_f64 v[22:23], v[22:23], -v[28:29]
	v_fma_f64 v[42:43], v[44:45], v[26:27], v[42:43]
	v_add_f64 v[24:25], v[24:25], -v[42:43]
	ds_read2_b64 v[42:45], v1 offset0:8 offset1:9
	s_waitcnt lgkmcnt(0)
	v_mul_f64 v[28:29], v[44:45], v[50:51]
	v_fma_f64 v[28:29], v[42:43], v[26:27], -v[28:29]
	v_mul_f64 v[42:43], v[42:43], v[50:51]
	v_add_f64 v[18:19], v[18:19], -v[28:29]
	v_fma_f64 v[42:43], v[44:45], v[26:27], v[42:43]
	v_add_f64 v[20:21], v[20:21], -v[42:43]
	;; [unrolled: 8-line block ×6, first 2 shown]
	ds_read2_b64 v[42:45], v1 offset0:18 offset1:19
	s_waitcnt lgkmcnt(0)
	v_mul_f64 v[28:29], v[44:45], v[50:51]
	v_fma_f64 v[28:29], v[42:43], v[26:27], -v[28:29]
	v_mul_f64 v[42:43], v[42:43], v[50:51]
	v_add_f64 v[38:39], v[38:39], -v[28:29]
	v_fma_f64 v[42:43], v[44:45], v[26:27], v[42:43]
	v_mov_b32_e32 v28, v50
	v_mov_b32_e32 v29, v51
	v_add_f64 v[40:41], v[40:41], -v[42:43]
.LBB18_62:
	s_or_b64 exec, exec, s[0:1]
	v_lshl_add_u32 v42, v52, 4, v1
	s_barrier
	ds_write2_b64 v42, v[22:23], v[24:25] offset1:1
	s_waitcnt lgkmcnt(0)
	s_barrier
	ds_read2_b64 v[42:45], v1 offset0:6 offset1:7
	s_mov_b32 s2, 4
	s_cmp_lt_i32 s22, 5
	v_mov_b32_e32 v50, 3
	s_cbranch_scc1 .LBB18_65
; %bb.63:
	v_add3_u32 v51, v56, 0, 64
	v_mov_b32_e32 v50, 3
.LBB18_64:                              ; =>This Inner Loop Header: Depth=1
	s_waitcnt lgkmcnt(0)
	v_cmp_gt_f64_e32 vcc, 0, v[44:45]
	v_cmp_gt_f64_e64 s[0:1], 0, v[42:43]
	ds_read2_b64 v[56:59], v51 offset1:1
	v_xor_b32_e32 v61, 0x80000000, v43
	v_xor_b32_e32 v63, 0x80000000, v45
	v_mov_b32_e32 v60, v42
	v_mov_b32_e32 v62, v44
	s_waitcnt lgkmcnt(0)
	v_xor_b32_e32 v65, 0x80000000, v59
	v_cndmask_b32_e32 v63, v45, v63, vcc
	v_cndmask_b32_e64 v61, v43, v61, s[0:1]
	v_cmp_gt_f64_e32 vcc, 0, v[58:59]
	v_cmp_gt_f64_e64 s[0:1], 0, v[56:57]
	v_add_f64 v[60:61], v[60:61], v[62:63]
	v_xor_b32_e32 v63, 0x80000000, v57
	v_mov_b32_e32 v62, v56
	v_mov_b32_e32 v64, v58
	v_add_u32_e32 v51, 16, v51
	v_cndmask_b32_e32 v65, v59, v65, vcc
	v_cndmask_b32_e64 v63, v57, v63, s[0:1]
	v_add_f64 v[62:63], v[62:63], v[64:65]
	v_mov_b32_e32 v64, s2
	s_add_i32 s2, s2, 1
	s_cmp_lg_u32 s22, s2
	v_cmp_lt_f64_e32 vcc, v[60:61], v[62:63]
	v_cndmask_b32_e32 v43, v43, v57, vcc
	v_cndmask_b32_e32 v42, v42, v56, vcc
	;; [unrolled: 1-line block ×5, first 2 shown]
	s_cbranch_scc1 .LBB18_64
.LBB18_65:
	s_waitcnt lgkmcnt(0)
	v_cmp_eq_f64_e32 vcc, 0, v[42:43]
	v_cmp_eq_f64_e64 s[0:1], 0, v[44:45]
	s_and_b64 s[0:1], vcc, s[0:1]
	s_and_saveexec_b64 s[2:3], s[0:1]
	s_xor_b64 s[0:1], exec, s[2:3]
; %bb.66:
	v_cmp_ne_u32_e32 vcc, 0, v55
	v_cndmask_b32_e32 v55, 4, v55, vcc
; %bb.67:
	s_andn2_saveexec_b64 s[0:1], s[0:1]
	s_cbranch_execz .LBB18_73
; %bb.68:
	v_cmp_ngt_f64_e64 s[2:3], |v[42:43]|, |v[44:45]|
	s_and_saveexec_b64 s[4:5], s[2:3]
	s_xor_b64 s[2:3], exec, s[4:5]
	s_cbranch_execz .LBB18_70
; %bb.69:
	v_div_scale_f64 v[56:57], s[4:5], v[44:45], v[44:45], v[42:43]
	v_rcp_f64_e32 v[58:59], v[56:57]
	v_fma_f64 v[60:61], -v[56:57], v[58:59], 1.0
	v_fma_f64 v[58:59], v[58:59], v[60:61], v[58:59]
	v_div_scale_f64 v[60:61], vcc, v[42:43], v[44:45], v[42:43]
	v_fma_f64 v[62:63], -v[56:57], v[58:59], 1.0
	v_fma_f64 v[58:59], v[58:59], v[62:63], v[58:59]
	v_mul_f64 v[62:63], v[60:61], v[58:59]
	v_fma_f64 v[56:57], -v[56:57], v[62:63], v[60:61]
	v_div_fmas_f64 v[56:57], v[56:57], v[58:59], v[62:63]
	v_div_fixup_f64 v[56:57], v[56:57], v[44:45], v[42:43]
	v_fma_f64 v[42:43], v[42:43], v[56:57], v[44:45]
	v_div_scale_f64 v[44:45], s[4:5], v[42:43], v[42:43], 1.0
	v_div_scale_f64 v[62:63], vcc, 1.0, v[42:43], 1.0
	v_rcp_f64_e32 v[58:59], v[44:45]
	v_fma_f64 v[60:61], -v[44:45], v[58:59], 1.0
	v_fma_f64 v[58:59], v[58:59], v[60:61], v[58:59]
	v_fma_f64 v[60:61], -v[44:45], v[58:59], 1.0
	v_fma_f64 v[58:59], v[58:59], v[60:61], v[58:59]
	v_mul_f64 v[60:61], v[62:63], v[58:59]
	v_fma_f64 v[44:45], -v[44:45], v[60:61], v[62:63]
	v_div_fmas_f64 v[44:45], v[44:45], v[58:59], v[60:61]
	v_div_fixup_f64 v[44:45], v[44:45], v[42:43], 1.0
	v_mul_f64 v[42:43], v[56:57], v[44:45]
	v_xor_b32_e32 v45, 0x80000000, v45
.LBB18_70:
	s_andn2_saveexec_b64 s[2:3], s[2:3]
	s_cbranch_execz .LBB18_72
; %bb.71:
	v_div_scale_f64 v[56:57], s[4:5], v[42:43], v[42:43], v[44:45]
	v_rcp_f64_e32 v[58:59], v[56:57]
	v_fma_f64 v[60:61], -v[56:57], v[58:59], 1.0
	v_fma_f64 v[58:59], v[58:59], v[60:61], v[58:59]
	v_div_scale_f64 v[60:61], vcc, v[44:45], v[42:43], v[44:45]
	v_fma_f64 v[62:63], -v[56:57], v[58:59], 1.0
	v_fma_f64 v[58:59], v[58:59], v[62:63], v[58:59]
	v_mul_f64 v[62:63], v[60:61], v[58:59]
	v_fma_f64 v[56:57], -v[56:57], v[62:63], v[60:61]
	v_div_fmas_f64 v[56:57], v[56:57], v[58:59], v[62:63]
	v_div_fixup_f64 v[56:57], v[56:57], v[42:43], v[44:45]
	v_fma_f64 v[42:43], v[44:45], v[56:57], v[42:43]
	v_div_scale_f64 v[44:45], s[4:5], v[42:43], v[42:43], 1.0
	v_div_scale_f64 v[62:63], vcc, 1.0, v[42:43], 1.0
	v_rcp_f64_e32 v[58:59], v[44:45]
	v_fma_f64 v[60:61], -v[44:45], v[58:59], 1.0
	v_fma_f64 v[58:59], v[58:59], v[60:61], v[58:59]
	v_fma_f64 v[60:61], -v[44:45], v[58:59], 1.0
	v_fma_f64 v[58:59], v[58:59], v[60:61], v[58:59]
	v_mul_f64 v[60:61], v[62:63], v[58:59]
	v_fma_f64 v[44:45], -v[44:45], v[60:61], v[62:63]
	v_div_fmas_f64 v[44:45], v[44:45], v[58:59], v[60:61]
	v_div_fixup_f64 v[42:43], v[44:45], v[42:43], 1.0
	v_mul_f64 v[44:45], v[56:57], -v[42:43]
.LBB18_72:
	s_or_b64 exec, exec, s[2:3]
.LBB18_73:
	s_or_b64 exec, exec, s[0:1]
	v_cmp_ne_u32_e32 vcc, v52, v50
	s_and_saveexec_b64 s[0:1], vcc
	s_xor_b64 s[0:1], exec, s[0:1]
	s_cbranch_execz .LBB18_79
; %bb.74:
	v_cmp_eq_u32_e32 vcc, 3, v52
	s_and_saveexec_b64 s[2:3], vcc
	s_cbranch_execz .LBB18_78
; %bb.75:
	v_cmp_ne_u32_e32 vcc, 3, v50
	s_xor_b64 s[4:5], s[18:19], -1
	s_and_b64 s[24:25], s[4:5], vcc
	s_and_saveexec_b64 s[4:5], s[24:25]
	s_cbranch_execz .LBB18_77
; %bb.76:
	v_ashrrev_i32_e32 v51, 31, v50
	v_lshlrev_b64 v[51:52], 2, v[50:51]
	v_add_co_u32_e32 v51, vcc, v48, v51
	v_addc_co_u32_e32 v52, vcc, v49, v52, vcc
	global_load_dword v0, v[51:52], off
	global_load_dword v56, v[48:49], off offset:12
	s_waitcnt vmcnt(1)
	global_store_dword v[48:49], v0, off offset:12
	s_waitcnt vmcnt(1)
	global_store_dword v[51:52], v56, off
.LBB18_77:
	s_or_b64 exec, exec, s[4:5]
	v_mov_b32_e32 v52, v50
	v_mov_b32_e32 v0, v50
.LBB18_78:
	s_or_b64 exec, exec, s[2:3]
.LBB18_79:
	s_andn2_saveexec_b64 s[0:1], s[0:1]
	s_cbranch_execz .LBB18_81
; %bb.80:
	v_mov_b32_e32 v52, 3
	ds_write2_b64 v1, v[18:19], v[20:21] offset0:8 offset1:9
	ds_write2_b64 v1, v[14:15], v[16:17] offset0:10 offset1:11
	;; [unrolled: 1-line block ×6, first 2 shown]
.LBB18_81:
	s_or_b64 exec, exec, s[0:1]
	v_cmp_lt_i32_e32 vcc, 3, v52
	s_waitcnt vmcnt(0) lgkmcnt(0)
	s_barrier
	s_and_saveexec_b64 s[0:1], vcc
	s_cbranch_execz .LBB18_83
; %bb.82:
	v_mul_f64 v[50:51], v[42:43], v[24:25]
	v_mul_f64 v[24:25], v[44:45], v[24:25]
	v_fma_f64 v[50:51], v[44:45], v[22:23], v[50:51]
	v_fma_f64 v[22:23], v[42:43], v[22:23], -v[24:25]
	ds_read2_b64 v[42:45], v1 offset0:8 offset1:9
	s_waitcnt lgkmcnt(0)
	v_mul_f64 v[24:25], v[44:45], v[50:51]
	v_fma_f64 v[24:25], v[42:43], v[22:23], -v[24:25]
	v_mul_f64 v[42:43], v[42:43], v[50:51]
	v_add_f64 v[18:19], v[18:19], -v[24:25]
	v_fma_f64 v[42:43], v[44:45], v[22:23], v[42:43]
	v_add_f64 v[20:21], v[20:21], -v[42:43]
	ds_read2_b64 v[42:45], v1 offset0:10 offset1:11
	s_waitcnt lgkmcnt(0)
	v_mul_f64 v[24:25], v[44:45], v[50:51]
	v_fma_f64 v[24:25], v[42:43], v[22:23], -v[24:25]
	v_mul_f64 v[42:43], v[42:43], v[50:51]
	v_add_f64 v[14:15], v[14:15], -v[24:25]
	v_fma_f64 v[42:43], v[44:45], v[22:23], v[42:43]
	v_add_f64 v[16:17], v[16:17], -v[42:43]
	ds_read2_b64 v[42:45], v1 offset0:12 offset1:13
	s_waitcnt lgkmcnt(0)
	v_mul_f64 v[24:25], v[44:45], v[50:51]
	v_fma_f64 v[24:25], v[42:43], v[22:23], -v[24:25]
	v_mul_f64 v[42:43], v[42:43], v[50:51]
	v_add_f64 v[10:11], v[10:11], -v[24:25]
	v_fma_f64 v[42:43], v[44:45], v[22:23], v[42:43]
	v_add_f64 v[12:13], v[12:13], -v[42:43]
	ds_read2_b64 v[42:45], v1 offset0:14 offset1:15
	s_waitcnt lgkmcnt(0)
	v_mul_f64 v[24:25], v[44:45], v[50:51]
	v_fma_f64 v[24:25], v[42:43], v[22:23], -v[24:25]
	v_mul_f64 v[42:43], v[42:43], v[50:51]
	v_add_f64 v[6:7], v[6:7], -v[24:25]
	v_fma_f64 v[42:43], v[44:45], v[22:23], v[42:43]
	v_add_f64 v[8:9], v[8:9], -v[42:43]
	ds_read2_b64 v[42:45], v1 offset0:16 offset1:17
	s_waitcnt lgkmcnt(0)
	v_mul_f64 v[24:25], v[44:45], v[50:51]
	v_fma_f64 v[24:25], v[42:43], v[22:23], -v[24:25]
	v_mul_f64 v[42:43], v[42:43], v[50:51]
	v_add_f64 v[2:3], v[2:3], -v[24:25]
	v_fma_f64 v[42:43], v[44:45], v[22:23], v[42:43]
	v_add_f64 v[4:5], v[4:5], -v[42:43]
	ds_read2_b64 v[42:45], v1 offset0:18 offset1:19
	s_waitcnt lgkmcnt(0)
	v_mul_f64 v[24:25], v[44:45], v[50:51]
	v_fma_f64 v[24:25], v[42:43], v[22:23], -v[24:25]
	v_mul_f64 v[42:43], v[42:43], v[50:51]
	v_add_f64 v[38:39], v[38:39], -v[24:25]
	v_fma_f64 v[42:43], v[44:45], v[22:23], v[42:43]
	v_mov_b32_e32 v24, v50
	v_mov_b32_e32 v25, v51
	v_add_f64 v[40:41], v[40:41], -v[42:43]
.LBB18_83:
	s_or_b64 exec, exec, s[0:1]
	v_lshl_add_u32 v42, v52, 4, v1
	s_barrier
	ds_write2_b64 v42, v[18:19], v[20:21] offset1:1
	s_waitcnt lgkmcnt(0)
	s_barrier
	ds_read2_b64 v[42:45], v1 offset0:8 offset1:9
	s_cmp_lt_i32 s22, 6
	v_mov_b32_e32 v50, 4
	s_cbranch_scc1 .LBB18_86
; %bb.84:
	v_mov_b32_e32 v50, 4
	v_add_u32_e32 v51, 0x50, v1
	s_mov_b32 s2, 5
.LBB18_85:                              ; =>This Inner Loop Header: Depth=1
	s_waitcnt lgkmcnt(0)
	v_cmp_gt_f64_e32 vcc, 0, v[44:45]
	v_cmp_gt_f64_e64 s[0:1], 0, v[42:43]
	ds_read2_b64 v[56:59], v51 offset1:1
	v_xor_b32_e32 v61, 0x80000000, v43
	v_xor_b32_e32 v63, 0x80000000, v45
	v_mov_b32_e32 v60, v42
	v_mov_b32_e32 v62, v44
	s_waitcnt lgkmcnt(0)
	v_xor_b32_e32 v65, 0x80000000, v59
	v_cndmask_b32_e32 v63, v45, v63, vcc
	v_cndmask_b32_e64 v61, v43, v61, s[0:1]
	v_cmp_gt_f64_e32 vcc, 0, v[58:59]
	v_cmp_gt_f64_e64 s[0:1], 0, v[56:57]
	v_add_f64 v[60:61], v[60:61], v[62:63]
	v_xor_b32_e32 v63, 0x80000000, v57
	v_mov_b32_e32 v62, v56
	v_mov_b32_e32 v64, v58
	v_add_u32_e32 v51, 16, v51
	v_cndmask_b32_e32 v65, v59, v65, vcc
	v_cndmask_b32_e64 v63, v57, v63, s[0:1]
	v_add_f64 v[62:63], v[62:63], v[64:65]
	v_mov_b32_e32 v64, s2
	s_add_i32 s2, s2, 1
	s_cmp_lg_u32 s22, s2
	v_cmp_lt_f64_e32 vcc, v[60:61], v[62:63]
	v_cndmask_b32_e32 v43, v43, v57, vcc
	v_cndmask_b32_e32 v42, v42, v56, vcc
	v_cndmask_b32_e32 v45, v45, v59, vcc
	v_cndmask_b32_e32 v44, v44, v58, vcc
	v_cndmask_b32_e32 v50, v50, v64, vcc
	s_cbranch_scc1 .LBB18_85
.LBB18_86:
	s_waitcnt lgkmcnt(0)
	v_cmp_eq_f64_e32 vcc, 0, v[42:43]
	v_cmp_eq_f64_e64 s[0:1], 0, v[44:45]
	s_and_b64 s[0:1], vcc, s[0:1]
	s_and_saveexec_b64 s[2:3], s[0:1]
	s_xor_b64 s[0:1], exec, s[2:3]
; %bb.87:
	v_cmp_ne_u32_e32 vcc, 0, v55
	v_cndmask_b32_e32 v55, 5, v55, vcc
; %bb.88:
	s_andn2_saveexec_b64 s[0:1], s[0:1]
	s_cbranch_execz .LBB18_94
; %bb.89:
	v_cmp_ngt_f64_e64 s[2:3], |v[42:43]|, |v[44:45]|
	s_and_saveexec_b64 s[4:5], s[2:3]
	s_xor_b64 s[2:3], exec, s[4:5]
	s_cbranch_execz .LBB18_91
; %bb.90:
	v_div_scale_f64 v[56:57], s[4:5], v[44:45], v[44:45], v[42:43]
	v_rcp_f64_e32 v[58:59], v[56:57]
	v_fma_f64 v[60:61], -v[56:57], v[58:59], 1.0
	v_fma_f64 v[58:59], v[58:59], v[60:61], v[58:59]
	v_div_scale_f64 v[60:61], vcc, v[42:43], v[44:45], v[42:43]
	v_fma_f64 v[62:63], -v[56:57], v[58:59], 1.0
	v_fma_f64 v[58:59], v[58:59], v[62:63], v[58:59]
	v_mul_f64 v[62:63], v[60:61], v[58:59]
	v_fma_f64 v[56:57], -v[56:57], v[62:63], v[60:61]
	v_div_fmas_f64 v[56:57], v[56:57], v[58:59], v[62:63]
	v_div_fixup_f64 v[56:57], v[56:57], v[44:45], v[42:43]
	v_fma_f64 v[42:43], v[42:43], v[56:57], v[44:45]
	v_div_scale_f64 v[44:45], s[4:5], v[42:43], v[42:43], 1.0
	v_div_scale_f64 v[62:63], vcc, 1.0, v[42:43], 1.0
	v_rcp_f64_e32 v[58:59], v[44:45]
	v_fma_f64 v[60:61], -v[44:45], v[58:59], 1.0
	v_fma_f64 v[58:59], v[58:59], v[60:61], v[58:59]
	v_fma_f64 v[60:61], -v[44:45], v[58:59], 1.0
	v_fma_f64 v[58:59], v[58:59], v[60:61], v[58:59]
	v_mul_f64 v[60:61], v[62:63], v[58:59]
	v_fma_f64 v[44:45], -v[44:45], v[60:61], v[62:63]
	v_div_fmas_f64 v[44:45], v[44:45], v[58:59], v[60:61]
	v_div_fixup_f64 v[44:45], v[44:45], v[42:43], 1.0
	v_mul_f64 v[42:43], v[56:57], v[44:45]
	v_xor_b32_e32 v45, 0x80000000, v45
.LBB18_91:
	s_andn2_saveexec_b64 s[2:3], s[2:3]
	s_cbranch_execz .LBB18_93
; %bb.92:
	v_div_scale_f64 v[56:57], s[4:5], v[42:43], v[42:43], v[44:45]
	v_rcp_f64_e32 v[58:59], v[56:57]
	v_fma_f64 v[60:61], -v[56:57], v[58:59], 1.0
	v_fma_f64 v[58:59], v[58:59], v[60:61], v[58:59]
	v_div_scale_f64 v[60:61], vcc, v[44:45], v[42:43], v[44:45]
	v_fma_f64 v[62:63], -v[56:57], v[58:59], 1.0
	v_fma_f64 v[58:59], v[58:59], v[62:63], v[58:59]
	v_mul_f64 v[62:63], v[60:61], v[58:59]
	v_fma_f64 v[56:57], -v[56:57], v[62:63], v[60:61]
	v_div_fmas_f64 v[56:57], v[56:57], v[58:59], v[62:63]
	v_div_fixup_f64 v[56:57], v[56:57], v[42:43], v[44:45]
	v_fma_f64 v[42:43], v[44:45], v[56:57], v[42:43]
	v_div_scale_f64 v[44:45], s[4:5], v[42:43], v[42:43], 1.0
	v_div_scale_f64 v[62:63], vcc, 1.0, v[42:43], 1.0
	v_rcp_f64_e32 v[58:59], v[44:45]
	v_fma_f64 v[60:61], -v[44:45], v[58:59], 1.0
	v_fma_f64 v[58:59], v[58:59], v[60:61], v[58:59]
	v_fma_f64 v[60:61], -v[44:45], v[58:59], 1.0
	v_fma_f64 v[58:59], v[58:59], v[60:61], v[58:59]
	v_mul_f64 v[60:61], v[62:63], v[58:59]
	v_fma_f64 v[44:45], -v[44:45], v[60:61], v[62:63]
	v_div_fmas_f64 v[44:45], v[44:45], v[58:59], v[60:61]
	v_div_fixup_f64 v[42:43], v[44:45], v[42:43], 1.0
	v_mul_f64 v[44:45], v[56:57], -v[42:43]
.LBB18_93:
	s_or_b64 exec, exec, s[2:3]
.LBB18_94:
	s_or_b64 exec, exec, s[0:1]
	v_cmp_ne_u32_e32 vcc, v52, v50
	s_and_saveexec_b64 s[0:1], vcc
	s_xor_b64 s[0:1], exec, s[0:1]
	s_cbranch_execz .LBB18_100
; %bb.95:
	v_cmp_eq_u32_e32 vcc, 4, v52
	s_and_saveexec_b64 s[2:3], vcc
	s_cbranch_execz .LBB18_99
; %bb.96:
	v_cmp_ne_u32_e32 vcc, 4, v50
	s_xor_b64 s[4:5], s[18:19], -1
	s_and_b64 s[24:25], s[4:5], vcc
	s_and_saveexec_b64 s[4:5], s[24:25]
	s_cbranch_execz .LBB18_98
; %bb.97:
	v_ashrrev_i32_e32 v51, 31, v50
	v_lshlrev_b64 v[51:52], 2, v[50:51]
	v_add_co_u32_e32 v51, vcc, v48, v51
	v_addc_co_u32_e32 v52, vcc, v49, v52, vcc
	global_load_dword v0, v[51:52], off
	global_load_dword v56, v[48:49], off offset:16
	s_waitcnt vmcnt(1)
	global_store_dword v[48:49], v0, off offset:16
	s_waitcnt vmcnt(1)
	global_store_dword v[51:52], v56, off
.LBB18_98:
	s_or_b64 exec, exec, s[4:5]
	v_mov_b32_e32 v52, v50
	v_mov_b32_e32 v0, v50
.LBB18_99:
	s_or_b64 exec, exec, s[2:3]
.LBB18_100:
	s_andn2_saveexec_b64 s[0:1], s[0:1]
	s_cbranch_execz .LBB18_102
; %bb.101:
	v_mov_b32_e32 v52, 4
	ds_write2_b64 v1, v[14:15], v[16:17] offset0:10 offset1:11
	ds_write2_b64 v1, v[10:11], v[12:13] offset0:12 offset1:13
	;; [unrolled: 1-line block ×5, first 2 shown]
.LBB18_102:
	s_or_b64 exec, exec, s[0:1]
	v_cmp_lt_i32_e32 vcc, 4, v52
	s_waitcnt vmcnt(0) lgkmcnt(0)
	s_barrier
	s_and_saveexec_b64 s[0:1], vcc
	s_cbranch_execz .LBB18_104
; %bb.103:
	v_mul_f64 v[50:51], v[42:43], v[20:21]
	v_mul_f64 v[20:21], v[44:45], v[20:21]
	v_fma_f64 v[50:51], v[44:45], v[18:19], v[50:51]
	v_fma_f64 v[18:19], v[42:43], v[18:19], -v[20:21]
	ds_read2_b64 v[42:45], v1 offset0:10 offset1:11
	s_waitcnt lgkmcnt(0)
	v_mul_f64 v[20:21], v[44:45], v[50:51]
	v_fma_f64 v[20:21], v[42:43], v[18:19], -v[20:21]
	v_mul_f64 v[42:43], v[42:43], v[50:51]
	v_add_f64 v[14:15], v[14:15], -v[20:21]
	v_fma_f64 v[42:43], v[44:45], v[18:19], v[42:43]
	v_add_f64 v[16:17], v[16:17], -v[42:43]
	ds_read2_b64 v[42:45], v1 offset0:12 offset1:13
	s_waitcnt lgkmcnt(0)
	v_mul_f64 v[20:21], v[44:45], v[50:51]
	v_fma_f64 v[20:21], v[42:43], v[18:19], -v[20:21]
	v_mul_f64 v[42:43], v[42:43], v[50:51]
	v_add_f64 v[10:11], v[10:11], -v[20:21]
	v_fma_f64 v[42:43], v[44:45], v[18:19], v[42:43]
	v_add_f64 v[12:13], v[12:13], -v[42:43]
	;; [unrolled: 8-line block ×4, first 2 shown]
	ds_read2_b64 v[42:45], v1 offset0:18 offset1:19
	s_waitcnt lgkmcnt(0)
	v_mul_f64 v[20:21], v[44:45], v[50:51]
	v_fma_f64 v[20:21], v[42:43], v[18:19], -v[20:21]
	v_mul_f64 v[42:43], v[42:43], v[50:51]
	v_add_f64 v[38:39], v[38:39], -v[20:21]
	v_fma_f64 v[42:43], v[44:45], v[18:19], v[42:43]
	v_mov_b32_e32 v20, v50
	v_mov_b32_e32 v21, v51
	v_add_f64 v[40:41], v[40:41], -v[42:43]
.LBB18_104:
	s_or_b64 exec, exec, s[0:1]
	v_lshl_add_u32 v42, v52, 4, v1
	s_barrier
	ds_write2_b64 v42, v[14:15], v[16:17] offset1:1
	s_waitcnt lgkmcnt(0)
	s_barrier
	ds_read2_b64 v[42:45], v1 offset0:10 offset1:11
	s_cmp_lt_i32 s22, 7
	v_mov_b32_e32 v50, 5
	s_cbranch_scc1 .LBB18_107
; %bb.105:
	v_add_u32_e32 v51, 0x60, v1
	s_mov_b32 s2, 6
	v_mov_b32_e32 v50, 5
.LBB18_106:                             ; =>This Inner Loop Header: Depth=1
	s_waitcnt lgkmcnt(0)
	v_cmp_gt_f64_e32 vcc, 0, v[44:45]
	v_cmp_gt_f64_e64 s[0:1], 0, v[42:43]
	ds_read2_b64 v[56:59], v51 offset1:1
	v_xor_b32_e32 v61, 0x80000000, v43
	v_xor_b32_e32 v63, 0x80000000, v45
	v_mov_b32_e32 v60, v42
	v_mov_b32_e32 v62, v44
	s_waitcnt lgkmcnt(0)
	v_xor_b32_e32 v65, 0x80000000, v59
	v_cndmask_b32_e32 v63, v45, v63, vcc
	v_cndmask_b32_e64 v61, v43, v61, s[0:1]
	v_cmp_gt_f64_e32 vcc, 0, v[58:59]
	v_cmp_gt_f64_e64 s[0:1], 0, v[56:57]
	v_add_f64 v[60:61], v[60:61], v[62:63]
	v_xor_b32_e32 v63, 0x80000000, v57
	v_mov_b32_e32 v62, v56
	v_mov_b32_e32 v64, v58
	v_add_u32_e32 v51, 16, v51
	v_cndmask_b32_e32 v65, v59, v65, vcc
	v_cndmask_b32_e64 v63, v57, v63, s[0:1]
	v_add_f64 v[62:63], v[62:63], v[64:65]
	v_mov_b32_e32 v64, s2
	s_add_i32 s2, s2, 1
	s_cmp_lg_u32 s22, s2
	v_cmp_lt_f64_e32 vcc, v[60:61], v[62:63]
	v_cndmask_b32_e32 v43, v43, v57, vcc
	v_cndmask_b32_e32 v42, v42, v56, vcc
	;; [unrolled: 1-line block ×5, first 2 shown]
	s_cbranch_scc1 .LBB18_106
.LBB18_107:
	s_waitcnt lgkmcnt(0)
	v_cmp_eq_f64_e32 vcc, 0, v[42:43]
	v_cmp_eq_f64_e64 s[0:1], 0, v[44:45]
	s_and_b64 s[0:1], vcc, s[0:1]
	s_and_saveexec_b64 s[2:3], s[0:1]
	s_xor_b64 s[0:1], exec, s[2:3]
; %bb.108:
	v_cmp_ne_u32_e32 vcc, 0, v55
	v_cndmask_b32_e32 v55, 6, v55, vcc
; %bb.109:
	s_andn2_saveexec_b64 s[0:1], s[0:1]
	s_cbranch_execz .LBB18_115
; %bb.110:
	v_cmp_ngt_f64_e64 s[2:3], |v[42:43]|, |v[44:45]|
	s_and_saveexec_b64 s[4:5], s[2:3]
	s_xor_b64 s[2:3], exec, s[4:5]
	s_cbranch_execz .LBB18_112
; %bb.111:
	v_div_scale_f64 v[56:57], s[4:5], v[44:45], v[44:45], v[42:43]
	v_rcp_f64_e32 v[58:59], v[56:57]
	v_fma_f64 v[60:61], -v[56:57], v[58:59], 1.0
	v_fma_f64 v[58:59], v[58:59], v[60:61], v[58:59]
	v_div_scale_f64 v[60:61], vcc, v[42:43], v[44:45], v[42:43]
	v_fma_f64 v[62:63], -v[56:57], v[58:59], 1.0
	v_fma_f64 v[58:59], v[58:59], v[62:63], v[58:59]
	v_mul_f64 v[62:63], v[60:61], v[58:59]
	v_fma_f64 v[56:57], -v[56:57], v[62:63], v[60:61]
	v_div_fmas_f64 v[56:57], v[56:57], v[58:59], v[62:63]
	v_div_fixup_f64 v[56:57], v[56:57], v[44:45], v[42:43]
	v_fma_f64 v[42:43], v[42:43], v[56:57], v[44:45]
	v_div_scale_f64 v[44:45], s[4:5], v[42:43], v[42:43], 1.0
	v_div_scale_f64 v[62:63], vcc, 1.0, v[42:43], 1.0
	v_rcp_f64_e32 v[58:59], v[44:45]
	v_fma_f64 v[60:61], -v[44:45], v[58:59], 1.0
	v_fma_f64 v[58:59], v[58:59], v[60:61], v[58:59]
	v_fma_f64 v[60:61], -v[44:45], v[58:59], 1.0
	v_fma_f64 v[58:59], v[58:59], v[60:61], v[58:59]
	v_mul_f64 v[60:61], v[62:63], v[58:59]
	v_fma_f64 v[44:45], -v[44:45], v[60:61], v[62:63]
	v_div_fmas_f64 v[44:45], v[44:45], v[58:59], v[60:61]
	v_div_fixup_f64 v[44:45], v[44:45], v[42:43], 1.0
	v_mul_f64 v[42:43], v[56:57], v[44:45]
	v_xor_b32_e32 v45, 0x80000000, v45
.LBB18_112:
	s_andn2_saveexec_b64 s[2:3], s[2:3]
	s_cbranch_execz .LBB18_114
; %bb.113:
	v_div_scale_f64 v[56:57], s[4:5], v[42:43], v[42:43], v[44:45]
	v_rcp_f64_e32 v[58:59], v[56:57]
	v_fma_f64 v[60:61], -v[56:57], v[58:59], 1.0
	v_fma_f64 v[58:59], v[58:59], v[60:61], v[58:59]
	v_div_scale_f64 v[60:61], vcc, v[44:45], v[42:43], v[44:45]
	v_fma_f64 v[62:63], -v[56:57], v[58:59], 1.0
	v_fma_f64 v[58:59], v[58:59], v[62:63], v[58:59]
	v_mul_f64 v[62:63], v[60:61], v[58:59]
	v_fma_f64 v[56:57], -v[56:57], v[62:63], v[60:61]
	v_div_fmas_f64 v[56:57], v[56:57], v[58:59], v[62:63]
	v_div_fixup_f64 v[56:57], v[56:57], v[42:43], v[44:45]
	v_fma_f64 v[42:43], v[44:45], v[56:57], v[42:43]
	v_div_scale_f64 v[44:45], s[4:5], v[42:43], v[42:43], 1.0
	v_div_scale_f64 v[62:63], vcc, 1.0, v[42:43], 1.0
	v_rcp_f64_e32 v[58:59], v[44:45]
	v_fma_f64 v[60:61], -v[44:45], v[58:59], 1.0
	v_fma_f64 v[58:59], v[58:59], v[60:61], v[58:59]
	v_fma_f64 v[60:61], -v[44:45], v[58:59], 1.0
	v_fma_f64 v[58:59], v[58:59], v[60:61], v[58:59]
	v_mul_f64 v[60:61], v[62:63], v[58:59]
	v_fma_f64 v[44:45], -v[44:45], v[60:61], v[62:63]
	v_div_fmas_f64 v[44:45], v[44:45], v[58:59], v[60:61]
	v_div_fixup_f64 v[42:43], v[44:45], v[42:43], 1.0
	v_mul_f64 v[44:45], v[56:57], -v[42:43]
.LBB18_114:
	s_or_b64 exec, exec, s[2:3]
.LBB18_115:
	s_or_b64 exec, exec, s[0:1]
	v_cmp_ne_u32_e32 vcc, v52, v50
	s_and_saveexec_b64 s[0:1], vcc
	s_xor_b64 s[0:1], exec, s[0:1]
	s_cbranch_execz .LBB18_121
; %bb.116:
	v_cmp_eq_u32_e32 vcc, 5, v52
	s_and_saveexec_b64 s[2:3], vcc
	s_cbranch_execz .LBB18_120
; %bb.117:
	v_cmp_ne_u32_e32 vcc, 5, v50
	s_xor_b64 s[4:5], s[18:19], -1
	s_and_b64 s[24:25], s[4:5], vcc
	s_and_saveexec_b64 s[4:5], s[24:25]
	s_cbranch_execz .LBB18_119
; %bb.118:
	v_ashrrev_i32_e32 v51, 31, v50
	v_lshlrev_b64 v[51:52], 2, v[50:51]
	v_add_co_u32_e32 v51, vcc, v48, v51
	v_addc_co_u32_e32 v52, vcc, v49, v52, vcc
	global_load_dword v0, v[51:52], off
	global_load_dword v56, v[48:49], off offset:20
	s_waitcnt vmcnt(1)
	global_store_dword v[48:49], v0, off offset:20
	s_waitcnt vmcnt(1)
	global_store_dword v[51:52], v56, off
.LBB18_119:
	s_or_b64 exec, exec, s[4:5]
	v_mov_b32_e32 v52, v50
	v_mov_b32_e32 v0, v50
.LBB18_120:
	s_or_b64 exec, exec, s[2:3]
.LBB18_121:
	s_andn2_saveexec_b64 s[0:1], s[0:1]
	s_cbranch_execz .LBB18_123
; %bb.122:
	v_mov_b32_e32 v52, 5
	ds_write2_b64 v1, v[10:11], v[12:13] offset0:12 offset1:13
	ds_write2_b64 v1, v[6:7], v[8:9] offset0:14 offset1:15
	;; [unrolled: 1-line block ×4, first 2 shown]
.LBB18_123:
	s_or_b64 exec, exec, s[0:1]
	v_cmp_lt_i32_e32 vcc, 5, v52
	s_waitcnt vmcnt(0) lgkmcnt(0)
	s_barrier
	s_and_saveexec_b64 s[0:1], vcc
	s_cbranch_execz .LBB18_125
; %bb.124:
	v_mul_f64 v[50:51], v[42:43], v[16:17]
	v_mul_f64 v[16:17], v[44:45], v[16:17]
	ds_read2_b64 v[56:59], v1 offset0:12 offset1:13
	ds_read2_b64 v[60:63], v1 offset0:14 offset1:15
	;; [unrolled: 1-line block ×4, first 2 shown]
	v_fma_f64 v[44:45], v[44:45], v[14:15], v[50:51]
	v_fma_f64 v[14:15], v[42:43], v[14:15], -v[16:17]
	s_waitcnt lgkmcnt(3)
	v_mul_f64 v[16:17], v[58:59], v[44:45]
	v_mul_f64 v[42:43], v[56:57], v[44:45]
	s_waitcnt lgkmcnt(2)
	v_mul_f64 v[50:51], v[62:63], v[44:45]
	v_mul_f64 v[72:73], v[60:61], v[44:45]
	s_waitcnt lgkmcnt(1)
	v_mul_f64 v[74:75], v[66:67], v[44:45]
	v_mul_f64 v[76:77], v[64:65], v[44:45]
	s_waitcnt lgkmcnt(0)
	v_mul_f64 v[78:79], v[70:71], v[44:45]
	v_mul_f64 v[80:81], v[68:69], v[44:45]
	v_fma_f64 v[16:17], v[56:57], v[14:15], -v[16:17]
	v_fma_f64 v[42:43], v[58:59], v[14:15], v[42:43]
	v_fma_f64 v[50:51], v[60:61], v[14:15], -v[50:51]
	v_fma_f64 v[56:57], v[62:63], v[14:15], v[72:73]
	v_fma_f64 v[58:59], v[64:65], v[14:15], -v[74:75]
	v_fma_f64 v[60:61], v[66:67], v[14:15], v[76:77]
	v_fma_f64 v[62:63], v[68:69], v[14:15], -v[78:79]
	v_fma_f64 v[64:65], v[70:71], v[14:15], v[80:81]
	v_add_f64 v[10:11], v[10:11], -v[16:17]
	v_add_f64 v[12:13], v[12:13], -v[42:43]
	;; [unrolled: 1-line block ×8, first 2 shown]
	v_mov_b32_e32 v16, v44
	v_mov_b32_e32 v17, v45
.LBB18_125:
	s_or_b64 exec, exec, s[0:1]
	v_lshl_add_u32 v42, v52, 4, v1
	s_barrier
	ds_write2_b64 v42, v[10:11], v[12:13] offset1:1
	s_waitcnt lgkmcnt(0)
	s_barrier
	ds_read2_b64 v[42:45], v1 offset0:12 offset1:13
	s_cmp_lt_i32 s22, 8
	v_mov_b32_e32 v50, 6
	s_cbranch_scc1 .LBB18_128
; %bb.126:
	v_add_u32_e32 v51, 0x70, v1
	s_mov_b32 s2, 7
	v_mov_b32_e32 v50, 6
.LBB18_127:                             ; =>This Inner Loop Header: Depth=1
	s_waitcnt lgkmcnt(0)
	v_cmp_gt_f64_e32 vcc, 0, v[44:45]
	v_cmp_gt_f64_e64 s[0:1], 0, v[42:43]
	ds_read2_b64 v[56:59], v51 offset1:1
	v_xor_b32_e32 v61, 0x80000000, v43
	v_xor_b32_e32 v63, 0x80000000, v45
	v_mov_b32_e32 v60, v42
	v_mov_b32_e32 v62, v44
	s_waitcnt lgkmcnt(0)
	v_xor_b32_e32 v65, 0x80000000, v59
	v_cndmask_b32_e32 v63, v45, v63, vcc
	v_cndmask_b32_e64 v61, v43, v61, s[0:1]
	v_cmp_gt_f64_e32 vcc, 0, v[58:59]
	v_cmp_gt_f64_e64 s[0:1], 0, v[56:57]
	v_add_f64 v[60:61], v[60:61], v[62:63]
	v_xor_b32_e32 v63, 0x80000000, v57
	v_mov_b32_e32 v62, v56
	v_mov_b32_e32 v64, v58
	v_add_u32_e32 v51, 16, v51
	v_cndmask_b32_e32 v65, v59, v65, vcc
	v_cndmask_b32_e64 v63, v57, v63, s[0:1]
	v_add_f64 v[62:63], v[62:63], v[64:65]
	v_mov_b32_e32 v64, s2
	s_add_i32 s2, s2, 1
	s_cmp_lg_u32 s22, s2
	v_cmp_lt_f64_e32 vcc, v[60:61], v[62:63]
	v_cndmask_b32_e32 v43, v43, v57, vcc
	v_cndmask_b32_e32 v42, v42, v56, vcc
	;; [unrolled: 1-line block ×5, first 2 shown]
	s_cbranch_scc1 .LBB18_127
.LBB18_128:
	s_waitcnt lgkmcnt(0)
	v_cmp_eq_f64_e32 vcc, 0, v[42:43]
	v_cmp_eq_f64_e64 s[0:1], 0, v[44:45]
	s_and_b64 s[0:1], vcc, s[0:1]
	s_and_saveexec_b64 s[2:3], s[0:1]
	s_xor_b64 s[0:1], exec, s[2:3]
; %bb.129:
	v_cmp_ne_u32_e32 vcc, 0, v55
	v_cndmask_b32_e32 v55, 7, v55, vcc
; %bb.130:
	s_andn2_saveexec_b64 s[0:1], s[0:1]
	s_cbranch_execz .LBB18_136
; %bb.131:
	v_cmp_ngt_f64_e64 s[2:3], |v[42:43]|, |v[44:45]|
	s_and_saveexec_b64 s[4:5], s[2:3]
	s_xor_b64 s[2:3], exec, s[4:5]
	s_cbranch_execz .LBB18_133
; %bb.132:
	v_div_scale_f64 v[56:57], s[4:5], v[44:45], v[44:45], v[42:43]
	v_rcp_f64_e32 v[58:59], v[56:57]
	v_fma_f64 v[60:61], -v[56:57], v[58:59], 1.0
	v_fma_f64 v[58:59], v[58:59], v[60:61], v[58:59]
	v_div_scale_f64 v[60:61], vcc, v[42:43], v[44:45], v[42:43]
	v_fma_f64 v[62:63], -v[56:57], v[58:59], 1.0
	v_fma_f64 v[58:59], v[58:59], v[62:63], v[58:59]
	v_mul_f64 v[62:63], v[60:61], v[58:59]
	v_fma_f64 v[56:57], -v[56:57], v[62:63], v[60:61]
	v_div_fmas_f64 v[56:57], v[56:57], v[58:59], v[62:63]
	v_div_fixup_f64 v[56:57], v[56:57], v[44:45], v[42:43]
	v_fma_f64 v[42:43], v[42:43], v[56:57], v[44:45]
	v_div_scale_f64 v[44:45], s[4:5], v[42:43], v[42:43], 1.0
	v_div_scale_f64 v[62:63], vcc, 1.0, v[42:43], 1.0
	v_rcp_f64_e32 v[58:59], v[44:45]
	v_fma_f64 v[60:61], -v[44:45], v[58:59], 1.0
	v_fma_f64 v[58:59], v[58:59], v[60:61], v[58:59]
	v_fma_f64 v[60:61], -v[44:45], v[58:59], 1.0
	v_fma_f64 v[58:59], v[58:59], v[60:61], v[58:59]
	v_mul_f64 v[60:61], v[62:63], v[58:59]
	v_fma_f64 v[44:45], -v[44:45], v[60:61], v[62:63]
	v_div_fmas_f64 v[44:45], v[44:45], v[58:59], v[60:61]
	v_div_fixup_f64 v[44:45], v[44:45], v[42:43], 1.0
	v_mul_f64 v[42:43], v[56:57], v[44:45]
	v_xor_b32_e32 v45, 0x80000000, v45
.LBB18_133:
	s_andn2_saveexec_b64 s[2:3], s[2:3]
	s_cbranch_execz .LBB18_135
; %bb.134:
	v_div_scale_f64 v[56:57], s[4:5], v[42:43], v[42:43], v[44:45]
	v_rcp_f64_e32 v[58:59], v[56:57]
	v_fma_f64 v[60:61], -v[56:57], v[58:59], 1.0
	v_fma_f64 v[58:59], v[58:59], v[60:61], v[58:59]
	v_div_scale_f64 v[60:61], vcc, v[44:45], v[42:43], v[44:45]
	v_fma_f64 v[62:63], -v[56:57], v[58:59], 1.0
	v_fma_f64 v[58:59], v[58:59], v[62:63], v[58:59]
	v_mul_f64 v[62:63], v[60:61], v[58:59]
	v_fma_f64 v[56:57], -v[56:57], v[62:63], v[60:61]
	v_div_fmas_f64 v[56:57], v[56:57], v[58:59], v[62:63]
	v_div_fixup_f64 v[56:57], v[56:57], v[42:43], v[44:45]
	v_fma_f64 v[42:43], v[44:45], v[56:57], v[42:43]
	v_div_scale_f64 v[44:45], s[4:5], v[42:43], v[42:43], 1.0
	v_div_scale_f64 v[62:63], vcc, 1.0, v[42:43], 1.0
	v_rcp_f64_e32 v[58:59], v[44:45]
	v_fma_f64 v[60:61], -v[44:45], v[58:59], 1.0
	v_fma_f64 v[58:59], v[58:59], v[60:61], v[58:59]
	v_fma_f64 v[60:61], -v[44:45], v[58:59], 1.0
	v_fma_f64 v[58:59], v[58:59], v[60:61], v[58:59]
	v_mul_f64 v[60:61], v[62:63], v[58:59]
	v_fma_f64 v[44:45], -v[44:45], v[60:61], v[62:63]
	v_div_fmas_f64 v[44:45], v[44:45], v[58:59], v[60:61]
	v_div_fixup_f64 v[42:43], v[44:45], v[42:43], 1.0
	v_mul_f64 v[44:45], v[56:57], -v[42:43]
.LBB18_135:
	s_or_b64 exec, exec, s[2:3]
.LBB18_136:
	s_or_b64 exec, exec, s[0:1]
	v_cmp_ne_u32_e32 vcc, v52, v50
	s_and_saveexec_b64 s[0:1], vcc
	s_xor_b64 s[0:1], exec, s[0:1]
	s_cbranch_execz .LBB18_142
; %bb.137:
	v_cmp_eq_u32_e32 vcc, 6, v52
	s_and_saveexec_b64 s[2:3], vcc
	s_cbranch_execz .LBB18_141
; %bb.138:
	v_cmp_ne_u32_e32 vcc, 6, v50
	s_xor_b64 s[4:5], s[18:19], -1
	s_and_b64 s[24:25], s[4:5], vcc
	s_and_saveexec_b64 s[4:5], s[24:25]
	s_cbranch_execz .LBB18_140
; %bb.139:
	v_ashrrev_i32_e32 v51, 31, v50
	v_lshlrev_b64 v[51:52], 2, v[50:51]
	v_add_co_u32_e32 v51, vcc, v48, v51
	v_addc_co_u32_e32 v52, vcc, v49, v52, vcc
	global_load_dword v0, v[51:52], off
	global_load_dword v56, v[48:49], off offset:24
	s_waitcnt vmcnt(1)
	global_store_dword v[48:49], v0, off offset:24
	s_waitcnt vmcnt(1)
	global_store_dword v[51:52], v56, off
.LBB18_140:
	s_or_b64 exec, exec, s[4:5]
	v_mov_b32_e32 v52, v50
	v_mov_b32_e32 v0, v50
.LBB18_141:
	s_or_b64 exec, exec, s[2:3]
.LBB18_142:
	s_andn2_saveexec_b64 s[0:1], s[0:1]
	s_cbranch_execz .LBB18_144
; %bb.143:
	v_mov_b32_e32 v52, 6
	ds_write2_b64 v1, v[6:7], v[8:9] offset0:14 offset1:15
	ds_write2_b64 v1, v[2:3], v[4:5] offset0:16 offset1:17
	;; [unrolled: 1-line block ×3, first 2 shown]
.LBB18_144:
	s_or_b64 exec, exec, s[0:1]
	v_cmp_lt_i32_e32 vcc, 6, v52
	s_waitcnt vmcnt(0) lgkmcnt(0)
	s_barrier
	s_and_saveexec_b64 s[0:1], vcc
	s_cbranch_execz .LBB18_146
; %bb.145:
	v_mul_f64 v[50:51], v[42:43], v[12:13]
	v_mul_f64 v[12:13], v[44:45], v[12:13]
	ds_read2_b64 v[56:59], v1 offset0:14 offset1:15
	ds_read2_b64 v[60:63], v1 offset0:16 offset1:17
	;; [unrolled: 1-line block ×3, first 2 shown]
	v_fma_f64 v[44:45], v[44:45], v[10:11], v[50:51]
	v_fma_f64 v[10:11], v[42:43], v[10:11], -v[12:13]
	s_waitcnt lgkmcnt(2)
	v_mul_f64 v[12:13], v[58:59], v[44:45]
	v_mul_f64 v[42:43], v[56:57], v[44:45]
	s_waitcnt lgkmcnt(1)
	v_mul_f64 v[50:51], v[62:63], v[44:45]
	v_mul_f64 v[68:69], v[60:61], v[44:45]
	;; [unrolled: 3-line block ×3, first 2 shown]
	v_fma_f64 v[12:13], v[56:57], v[10:11], -v[12:13]
	v_fma_f64 v[42:43], v[58:59], v[10:11], v[42:43]
	v_fma_f64 v[50:51], v[60:61], v[10:11], -v[50:51]
	v_fma_f64 v[56:57], v[62:63], v[10:11], v[68:69]
	;; [unrolled: 2-line block ×3, first 2 shown]
	v_add_f64 v[6:7], v[6:7], -v[12:13]
	v_add_f64 v[8:9], v[8:9], -v[42:43]
	;; [unrolled: 1-line block ×6, first 2 shown]
	v_mov_b32_e32 v12, v44
	v_mov_b32_e32 v13, v45
.LBB18_146:
	s_or_b64 exec, exec, s[0:1]
	v_lshl_add_u32 v42, v52, 4, v1
	s_barrier
	ds_write2_b64 v42, v[6:7], v[8:9] offset1:1
	s_waitcnt lgkmcnt(0)
	s_barrier
	ds_read2_b64 v[42:45], v1 offset0:14 offset1:15
	s_cmp_lt_i32 s22, 9
	v_mov_b32_e32 v50, 7
	s_cbranch_scc1 .LBB18_149
; %bb.147:
	v_add_u32_e32 v51, 0x80, v1
	s_mov_b32 s2, 8
	v_mov_b32_e32 v50, 7
.LBB18_148:                             ; =>This Inner Loop Header: Depth=1
	s_waitcnt lgkmcnt(0)
	v_cmp_gt_f64_e32 vcc, 0, v[44:45]
	v_cmp_gt_f64_e64 s[0:1], 0, v[42:43]
	ds_read2_b64 v[56:59], v51 offset1:1
	v_xor_b32_e32 v61, 0x80000000, v43
	v_xor_b32_e32 v63, 0x80000000, v45
	v_mov_b32_e32 v60, v42
	v_mov_b32_e32 v62, v44
	s_waitcnt lgkmcnt(0)
	v_xor_b32_e32 v65, 0x80000000, v59
	v_cndmask_b32_e32 v63, v45, v63, vcc
	v_cndmask_b32_e64 v61, v43, v61, s[0:1]
	v_cmp_gt_f64_e32 vcc, 0, v[58:59]
	v_cmp_gt_f64_e64 s[0:1], 0, v[56:57]
	v_add_f64 v[60:61], v[60:61], v[62:63]
	v_xor_b32_e32 v63, 0x80000000, v57
	v_mov_b32_e32 v62, v56
	v_mov_b32_e32 v64, v58
	v_add_u32_e32 v51, 16, v51
	v_cndmask_b32_e32 v65, v59, v65, vcc
	v_cndmask_b32_e64 v63, v57, v63, s[0:1]
	v_add_f64 v[62:63], v[62:63], v[64:65]
	v_mov_b32_e32 v64, s2
	s_add_i32 s2, s2, 1
	s_cmp_lg_u32 s22, s2
	v_cmp_lt_f64_e32 vcc, v[60:61], v[62:63]
	v_cndmask_b32_e32 v43, v43, v57, vcc
	v_cndmask_b32_e32 v42, v42, v56, vcc
	;; [unrolled: 1-line block ×5, first 2 shown]
	s_cbranch_scc1 .LBB18_148
.LBB18_149:
	s_waitcnt lgkmcnt(0)
	v_cmp_eq_f64_e32 vcc, 0, v[42:43]
	v_cmp_eq_f64_e64 s[0:1], 0, v[44:45]
	s_and_b64 s[0:1], vcc, s[0:1]
	s_and_saveexec_b64 s[2:3], s[0:1]
	s_xor_b64 s[0:1], exec, s[2:3]
; %bb.150:
	v_cmp_ne_u32_e32 vcc, 0, v55
	v_cndmask_b32_e32 v55, 8, v55, vcc
; %bb.151:
	s_andn2_saveexec_b64 s[0:1], s[0:1]
	s_cbranch_execz .LBB18_157
; %bb.152:
	v_cmp_ngt_f64_e64 s[2:3], |v[42:43]|, |v[44:45]|
	s_and_saveexec_b64 s[4:5], s[2:3]
	s_xor_b64 s[2:3], exec, s[4:5]
	s_cbranch_execz .LBB18_154
; %bb.153:
	v_div_scale_f64 v[56:57], s[4:5], v[44:45], v[44:45], v[42:43]
	v_rcp_f64_e32 v[58:59], v[56:57]
	v_fma_f64 v[60:61], -v[56:57], v[58:59], 1.0
	v_fma_f64 v[58:59], v[58:59], v[60:61], v[58:59]
	v_div_scale_f64 v[60:61], vcc, v[42:43], v[44:45], v[42:43]
	v_fma_f64 v[62:63], -v[56:57], v[58:59], 1.0
	v_fma_f64 v[58:59], v[58:59], v[62:63], v[58:59]
	v_mul_f64 v[62:63], v[60:61], v[58:59]
	v_fma_f64 v[56:57], -v[56:57], v[62:63], v[60:61]
	v_div_fmas_f64 v[56:57], v[56:57], v[58:59], v[62:63]
	v_div_fixup_f64 v[56:57], v[56:57], v[44:45], v[42:43]
	v_fma_f64 v[42:43], v[42:43], v[56:57], v[44:45]
	v_div_scale_f64 v[44:45], s[4:5], v[42:43], v[42:43], 1.0
	v_div_scale_f64 v[62:63], vcc, 1.0, v[42:43], 1.0
	v_rcp_f64_e32 v[58:59], v[44:45]
	v_fma_f64 v[60:61], -v[44:45], v[58:59], 1.0
	v_fma_f64 v[58:59], v[58:59], v[60:61], v[58:59]
	v_fma_f64 v[60:61], -v[44:45], v[58:59], 1.0
	v_fma_f64 v[58:59], v[58:59], v[60:61], v[58:59]
	v_mul_f64 v[60:61], v[62:63], v[58:59]
	v_fma_f64 v[44:45], -v[44:45], v[60:61], v[62:63]
	v_div_fmas_f64 v[44:45], v[44:45], v[58:59], v[60:61]
	v_div_fixup_f64 v[44:45], v[44:45], v[42:43], 1.0
	v_mul_f64 v[42:43], v[56:57], v[44:45]
	v_xor_b32_e32 v45, 0x80000000, v45
.LBB18_154:
	s_andn2_saveexec_b64 s[2:3], s[2:3]
	s_cbranch_execz .LBB18_156
; %bb.155:
	v_div_scale_f64 v[56:57], s[4:5], v[42:43], v[42:43], v[44:45]
	v_rcp_f64_e32 v[58:59], v[56:57]
	v_fma_f64 v[60:61], -v[56:57], v[58:59], 1.0
	v_fma_f64 v[58:59], v[58:59], v[60:61], v[58:59]
	v_div_scale_f64 v[60:61], vcc, v[44:45], v[42:43], v[44:45]
	v_fma_f64 v[62:63], -v[56:57], v[58:59], 1.0
	v_fma_f64 v[58:59], v[58:59], v[62:63], v[58:59]
	v_mul_f64 v[62:63], v[60:61], v[58:59]
	v_fma_f64 v[56:57], -v[56:57], v[62:63], v[60:61]
	v_div_fmas_f64 v[56:57], v[56:57], v[58:59], v[62:63]
	v_div_fixup_f64 v[56:57], v[56:57], v[42:43], v[44:45]
	v_fma_f64 v[42:43], v[44:45], v[56:57], v[42:43]
	v_div_scale_f64 v[44:45], s[4:5], v[42:43], v[42:43], 1.0
	v_div_scale_f64 v[62:63], vcc, 1.0, v[42:43], 1.0
	v_rcp_f64_e32 v[58:59], v[44:45]
	v_fma_f64 v[60:61], -v[44:45], v[58:59], 1.0
	v_fma_f64 v[58:59], v[58:59], v[60:61], v[58:59]
	v_fma_f64 v[60:61], -v[44:45], v[58:59], 1.0
	v_fma_f64 v[58:59], v[58:59], v[60:61], v[58:59]
	v_mul_f64 v[60:61], v[62:63], v[58:59]
	v_fma_f64 v[44:45], -v[44:45], v[60:61], v[62:63]
	v_div_fmas_f64 v[44:45], v[44:45], v[58:59], v[60:61]
	v_div_fixup_f64 v[42:43], v[44:45], v[42:43], 1.0
	v_mul_f64 v[44:45], v[56:57], -v[42:43]
.LBB18_156:
	s_or_b64 exec, exec, s[2:3]
.LBB18_157:
	s_or_b64 exec, exec, s[0:1]
	v_cmp_ne_u32_e32 vcc, v52, v50
	s_and_saveexec_b64 s[0:1], vcc
	s_xor_b64 s[0:1], exec, s[0:1]
	s_cbranch_execz .LBB18_163
; %bb.158:
	v_cmp_eq_u32_e32 vcc, 7, v52
	s_and_saveexec_b64 s[2:3], vcc
	s_cbranch_execz .LBB18_162
; %bb.159:
	v_cmp_ne_u32_e32 vcc, 7, v50
	s_xor_b64 s[4:5], s[18:19], -1
	s_and_b64 s[24:25], s[4:5], vcc
	s_and_saveexec_b64 s[4:5], s[24:25]
	s_cbranch_execz .LBB18_161
; %bb.160:
	v_ashrrev_i32_e32 v51, 31, v50
	v_lshlrev_b64 v[51:52], 2, v[50:51]
	v_add_co_u32_e32 v51, vcc, v48, v51
	v_addc_co_u32_e32 v52, vcc, v49, v52, vcc
	global_load_dword v0, v[51:52], off
	global_load_dword v56, v[48:49], off offset:28
	s_waitcnt vmcnt(1)
	global_store_dword v[48:49], v0, off offset:28
	s_waitcnt vmcnt(1)
	global_store_dword v[51:52], v56, off
.LBB18_161:
	s_or_b64 exec, exec, s[4:5]
	v_mov_b32_e32 v52, v50
	v_mov_b32_e32 v0, v50
.LBB18_162:
	s_or_b64 exec, exec, s[2:3]
.LBB18_163:
	s_andn2_saveexec_b64 s[0:1], s[0:1]
	s_cbranch_execz .LBB18_165
; %bb.164:
	v_mov_b32_e32 v52, 7
	ds_write2_b64 v1, v[2:3], v[4:5] offset0:16 offset1:17
	ds_write2_b64 v1, v[38:39], v[40:41] offset0:18 offset1:19
.LBB18_165:
	s_or_b64 exec, exec, s[0:1]
	v_cmp_lt_i32_e32 vcc, 7, v52
	s_waitcnt vmcnt(0) lgkmcnt(0)
	s_barrier
	s_and_saveexec_b64 s[0:1], vcc
	s_cbranch_execz .LBB18_167
; %bb.166:
	v_mul_f64 v[50:51], v[42:43], v[8:9]
	v_mul_f64 v[8:9], v[44:45], v[8:9]
	ds_read2_b64 v[56:59], v1 offset0:16 offset1:17
	ds_read2_b64 v[60:63], v1 offset0:18 offset1:19
	v_fma_f64 v[44:45], v[44:45], v[6:7], v[50:51]
	v_fma_f64 v[6:7], v[42:43], v[6:7], -v[8:9]
	s_waitcnt lgkmcnt(1)
	v_mul_f64 v[8:9], v[58:59], v[44:45]
	v_mul_f64 v[42:43], v[56:57], v[44:45]
	s_waitcnt lgkmcnt(0)
	v_mul_f64 v[50:51], v[62:63], v[44:45]
	v_mul_f64 v[64:65], v[60:61], v[44:45]
	v_fma_f64 v[8:9], v[56:57], v[6:7], -v[8:9]
	v_fma_f64 v[42:43], v[58:59], v[6:7], v[42:43]
	v_fma_f64 v[50:51], v[60:61], v[6:7], -v[50:51]
	v_fma_f64 v[56:57], v[62:63], v[6:7], v[64:65]
	v_add_f64 v[2:3], v[2:3], -v[8:9]
	v_add_f64 v[4:5], v[4:5], -v[42:43]
	;; [unrolled: 1-line block ×4, first 2 shown]
	v_mov_b32_e32 v8, v44
	v_mov_b32_e32 v9, v45
.LBB18_167:
	s_or_b64 exec, exec, s[0:1]
	v_lshl_add_u32 v42, v52, 4, v1
	s_barrier
	ds_write2_b64 v42, v[2:3], v[4:5] offset1:1
	s_waitcnt lgkmcnt(0)
	s_barrier
	ds_read2_b64 v[42:45], v1 offset0:16 offset1:17
	s_cmp_lt_i32 s22, 10
	v_mov_b32_e32 v50, 8
	s_cbranch_scc1 .LBB18_170
; %bb.168:
	v_add_u32_e32 v51, 0x90, v1
	s_mov_b32 s2, 9
	v_mov_b32_e32 v50, 8
.LBB18_169:                             ; =>This Inner Loop Header: Depth=1
	s_waitcnt lgkmcnt(0)
	v_cmp_gt_f64_e32 vcc, 0, v[44:45]
	v_cmp_gt_f64_e64 s[0:1], 0, v[42:43]
	ds_read2_b64 v[56:59], v51 offset1:1
	v_xor_b32_e32 v61, 0x80000000, v43
	v_xor_b32_e32 v63, 0x80000000, v45
	v_mov_b32_e32 v60, v42
	v_mov_b32_e32 v62, v44
	s_waitcnt lgkmcnt(0)
	v_xor_b32_e32 v65, 0x80000000, v59
	v_cndmask_b32_e32 v63, v45, v63, vcc
	v_cndmask_b32_e64 v61, v43, v61, s[0:1]
	v_cmp_gt_f64_e32 vcc, 0, v[58:59]
	v_cmp_gt_f64_e64 s[0:1], 0, v[56:57]
	v_add_f64 v[60:61], v[60:61], v[62:63]
	v_xor_b32_e32 v63, 0x80000000, v57
	v_mov_b32_e32 v62, v56
	v_mov_b32_e32 v64, v58
	v_add_u32_e32 v51, 16, v51
	v_cndmask_b32_e32 v65, v59, v65, vcc
	v_cndmask_b32_e64 v63, v57, v63, s[0:1]
	v_add_f64 v[62:63], v[62:63], v[64:65]
	v_mov_b32_e32 v64, s2
	s_add_i32 s2, s2, 1
	s_cmp_lg_u32 s22, s2
	v_cmp_lt_f64_e32 vcc, v[60:61], v[62:63]
	v_cndmask_b32_e32 v43, v43, v57, vcc
	v_cndmask_b32_e32 v42, v42, v56, vcc
	;; [unrolled: 1-line block ×5, first 2 shown]
	s_cbranch_scc1 .LBB18_169
.LBB18_170:
	s_waitcnt lgkmcnt(0)
	v_cmp_eq_f64_e32 vcc, 0, v[42:43]
	v_cmp_eq_f64_e64 s[0:1], 0, v[44:45]
	s_and_b64 s[0:1], vcc, s[0:1]
	s_and_saveexec_b64 s[2:3], s[0:1]
	s_xor_b64 s[0:1], exec, s[2:3]
; %bb.171:
	v_cmp_ne_u32_e32 vcc, 0, v55
	v_cndmask_b32_e32 v55, 9, v55, vcc
; %bb.172:
	s_andn2_saveexec_b64 s[0:1], s[0:1]
	s_cbranch_execz .LBB18_178
; %bb.173:
	v_cmp_ngt_f64_e64 s[2:3], |v[42:43]|, |v[44:45]|
	s_and_saveexec_b64 s[4:5], s[2:3]
	s_xor_b64 s[2:3], exec, s[4:5]
	s_cbranch_execz .LBB18_175
; %bb.174:
	v_div_scale_f64 v[56:57], s[4:5], v[44:45], v[44:45], v[42:43]
	v_rcp_f64_e32 v[58:59], v[56:57]
	v_fma_f64 v[60:61], -v[56:57], v[58:59], 1.0
	v_fma_f64 v[58:59], v[58:59], v[60:61], v[58:59]
	v_div_scale_f64 v[60:61], vcc, v[42:43], v[44:45], v[42:43]
	v_fma_f64 v[62:63], -v[56:57], v[58:59], 1.0
	v_fma_f64 v[58:59], v[58:59], v[62:63], v[58:59]
	v_mul_f64 v[62:63], v[60:61], v[58:59]
	v_fma_f64 v[56:57], -v[56:57], v[62:63], v[60:61]
	v_div_fmas_f64 v[56:57], v[56:57], v[58:59], v[62:63]
	v_div_fixup_f64 v[56:57], v[56:57], v[44:45], v[42:43]
	v_fma_f64 v[42:43], v[42:43], v[56:57], v[44:45]
	v_div_scale_f64 v[44:45], s[4:5], v[42:43], v[42:43], 1.0
	v_div_scale_f64 v[62:63], vcc, 1.0, v[42:43], 1.0
	v_rcp_f64_e32 v[58:59], v[44:45]
	v_fma_f64 v[60:61], -v[44:45], v[58:59], 1.0
	v_fma_f64 v[58:59], v[58:59], v[60:61], v[58:59]
	v_fma_f64 v[60:61], -v[44:45], v[58:59], 1.0
	v_fma_f64 v[58:59], v[58:59], v[60:61], v[58:59]
	v_mul_f64 v[60:61], v[62:63], v[58:59]
	v_fma_f64 v[44:45], -v[44:45], v[60:61], v[62:63]
	v_div_fmas_f64 v[44:45], v[44:45], v[58:59], v[60:61]
	v_div_fixup_f64 v[44:45], v[44:45], v[42:43], 1.0
	v_mul_f64 v[42:43], v[56:57], v[44:45]
	v_xor_b32_e32 v45, 0x80000000, v45
.LBB18_175:
	s_andn2_saveexec_b64 s[2:3], s[2:3]
	s_cbranch_execz .LBB18_177
; %bb.176:
	v_div_scale_f64 v[56:57], s[4:5], v[42:43], v[42:43], v[44:45]
	v_rcp_f64_e32 v[58:59], v[56:57]
	v_fma_f64 v[60:61], -v[56:57], v[58:59], 1.0
	v_fma_f64 v[58:59], v[58:59], v[60:61], v[58:59]
	v_div_scale_f64 v[60:61], vcc, v[44:45], v[42:43], v[44:45]
	v_fma_f64 v[62:63], -v[56:57], v[58:59], 1.0
	v_fma_f64 v[58:59], v[58:59], v[62:63], v[58:59]
	v_mul_f64 v[62:63], v[60:61], v[58:59]
	v_fma_f64 v[56:57], -v[56:57], v[62:63], v[60:61]
	v_div_fmas_f64 v[56:57], v[56:57], v[58:59], v[62:63]
	v_div_fixup_f64 v[56:57], v[56:57], v[42:43], v[44:45]
	v_fma_f64 v[42:43], v[44:45], v[56:57], v[42:43]
	v_div_scale_f64 v[44:45], s[4:5], v[42:43], v[42:43], 1.0
	v_div_scale_f64 v[62:63], vcc, 1.0, v[42:43], 1.0
	v_rcp_f64_e32 v[58:59], v[44:45]
	v_fma_f64 v[60:61], -v[44:45], v[58:59], 1.0
	v_fma_f64 v[58:59], v[58:59], v[60:61], v[58:59]
	v_fma_f64 v[60:61], -v[44:45], v[58:59], 1.0
	v_fma_f64 v[58:59], v[58:59], v[60:61], v[58:59]
	v_mul_f64 v[60:61], v[62:63], v[58:59]
	v_fma_f64 v[44:45], -v[44:45], v[60:61], v[62:63]
	v_div_fmas_f64 v[44:45], v[44:45], v[58:59], v[60:61]
	v_div_fixup_f64 v[42:43], v[44:45], v[42:43], 1.0
	v_mul_f64 v[44:45], v[56:57], -v[42:43]
.LBB18_177:
	s_or_b64 exec, exec, s[2:3]
.LBB18_178:
	s_or_b64 exec, exec, s[0:1]
	v_cmp_ne_u32_e32 vcc, v52, v50
	s_and_saveexec_b64 s[0:1], vcc
	s_xor_b64 s[0:1], exec, s[0:1]
	s_cbranch_execz .LBB18_184
; %bb.179:
	v_cmp_eq_u32_e32 vcc, 8, v52
	s_and_saveexec_b64 s[2:3], vcc
	s_cbranch_execz .LBB18_183
; %bb.180:
	v_cmp_ne_u32_e32 vcc, 8, v50
	s_xor_b64 s[4:5], s[18:19], -1
	s_and_b64 s[24:25], s[4:5], vcc
	s_and_saveexec_b64 s[4:5], s[24:25]
	s_cbranch_execz .LBB18_182
; %bb.181:
	v_ashrrev_i32_e32 v51, 31, v50
	v_lshlrev_b64 v[51:52], 2, v[50:51]
	v_add_co_u32_e32 v51, vcc, v48, v51
	v_addc_co_u32_e32 v52, vcc, v49, v52, vcc
	global_load_dword v0, v[51:52], off
	global_load_dword v56, v[48:49], off offset:32
	s_waitcnt vmcnt(1)
	global_store_dword v[48:49], v0, off offset:32
	s_waitcnt vmcnt(1)
	global_store_dword v[51:52], v56, off
.LBB18_182:
	s_or_b64 exec, exec, s[4:5]
	v_mov_b32_e32 v52, v50
	v_mov_b32_e32 v0, v50
.LBB18_183:
	s_or_b64 exec, exec, s[2:3]
.LBB18_184:
	s_andn2_saveexec_b64 s[0:1], s[0:1]
; %bb.185:
	v_mov_b32_e32 v52, 8
	ds_write2_b64 v1, v[38:39], v[40:41] offset0:18 offset1:19
; %bb.186:
	s_or_b64 exec, exec, s[0:1]
	v_cmp_lt_i32_e32 vcc, 8, v52
	s_waitcnt vmcnt(0) lgkmcnt(0)
	s_barrier
	s_and_saveexec_b64 s[0:1], vcc
	s_cbranch_execz .LBB18_188
; %bb.187:
	v_mul_f64 v[50:51], v[42:43], v[4:5]
	v_mul_f64 v[4:5], v[44:45], v[4:5]
	ds_read2_b64 v[56:59], v1 offset0:18 offset1:19
	v_fma_f64 v[44:45], v[44:45], v[2:3], v[50:51]
	v_fma_f64 v[2:3], v[42:43], v[2:3], -v[4:5]
	s_waitcnt lgkmcnt(0)
	v_mul_f64 v[4:5], v[58:59], v[44:45]
	v_mul_f64 v[42:43], v[56:57], v[44:45]
	v_fma_f64 v[4:5], v[56:57], v[2:3], -v[4:5]
	v_fma_f64 v[42:43], v[58:59], v[2:3], v[42:43]
	v_add_f64 v[38:39], v[38:39], -v[4:5]
	v_add_f64 v[40:41], v[40:41], -v[42:43]
	v_mov_b32_e32 v4, v44
	v_mov_b32_e32 v5, v45
.LBB18_188:
	s_or_b64 exec, exec, s[0:1]
	v_lshl_add_u32 v42, v52, 4, v1
	s_barrier
	ds_write2_b64 v42, v[38:39], v[40:41] offset1:1
	s_waitcnt lgkmcnt(0)
	s_barrier
	ds_read2_b64 v[42:45], v1 offset0:18 offset1:19
	s_cmp_lt_i32 s22, 11
	v_mov_b32_e32 v50, 9
	s_cbranch_scc1 .LBB18_191
; %bb.189:
	v_add_u32_e32 v1, 0xa0, v1
	s_mov_b32 s2, 10
	v_mov_b32_e32 v50, 9
.LBB18_190:                             ; =>This Inner Loop Header: Depth=1
	s_waitcnt lgkmcnt(0)
	v_cmp_gt_f64_e32 vcc, 0, v[44:45]
	v_cmp_gt_f64_e64 s[0:1], 0, v[42:43]
	ds_read2_b64 v[56:59], v1 offset1:1
	v_xor_b32_e32 v51, 0x80000000, v43
	v_xor_b32_e32 v63, 0x80000000, v45
	v_mov_b32_e32 v60, v42
	v_mov_b32_e32 v62, v44
	s_waitcnt lgkmcnt(0)
	v_xor_b32_e32 v65, 0x80000000, v59
	v_cndmask_b32_e32 v63, v45, v63, vcc
	v_cndmask_b32_e64 v61, v43, v51, s[0:1]
	v_cmp_gt_f64_e32 vcc, 0, v[58:59]
	v_cmp_gt_f64_e64 s[0:1], 0, v[56:57]
	v_xor_b32_e32 v51, 0x80000000, v57
	v_add_f64 v[60:61], v[60:61], v[62:63]
	v_mov_b32_e32 v62, v56
	v_mov_b32_e32 v64, v58
	v_add_u32_e32 v1, 16, v1
	v_cndmask_b32_e32 v65, v59, v65, vcc
	v_cndmask_b32_e64 v63, v57, v51, s[0:1]
	v_add_f64 v[62:63], v[62:63], v[64:65]
	v_mov_b32_e32 v51, s2
	s_add_i32 s2, s2, 1
	s_cmp_lg_u32 s22, s2
	v_cmp_lt_f64_e32 vcc, v[60:61], v[62:63]
	v_cndmask_b32_e32 v43, v43, v57, vcc
	v_cndmask_b32_e32 v42, v42, v56, vcc
	;; [unrolled: 1-line block ×5, first 2 shown]
	s_cbranch_scc1 .LBB18_190
.LBB18_191:
	s_waitcnt lgkmcnt(0)
	v_cmp_eq_f64_e32 vcc, 0, v[42:43]
	v_cmp_eq_f64_e64 s[0:1], 0, v[44:45]
	s_and_b64 s[0:1], vcc, s[0:1]
	s_and_saveexec_b64 s[2:3], s[0:1]
	s_xor_b64 s[0:1], exec, s[2:3]
; %bb.192:
	v_cmp_ne_u32_e32 vcc, 0, v55
	v_cndmask_b32_e32 v55, 10, v55, vcc
; %bb.193:
	s_andn2_saveexec_b64 s[0:1], s[0:1]
	s_cbranch_execz .LBB18_199
; %bb.194:
	v_cmp_ngt_f64_e64 s[2:3], |v[42:43]|, |v[44:45]|
	s_and_saveexec_b64 s[4:5], s[2:3]
	s_xor_b64 s[2:3], exec, s[4:5]
	s_cbranch_execz .LBB18_196
; %bb.195:
	v_div_scale_f64 v[56:57], s[4:5], v[44:45], v[44:45], v[42:43]
	v_rcp_f64_e32 v[58:59], v[56:57]
	v_fma_f64 v[60:61], -v[56:57], v[58:59], 1.0
	v_fma_f64 v[58:59], v[58:59], v[60:61], v[58:59]
	v_div_scale_f64 v[60:61], vcc, v[42:43], v[44:45], v[42:43]
	v_fma_f64 v[62:63], -v[56:57], v[58:59], 1.0
	v_fma_f64 v[58:59], v[58:59], v[62:63], v[58:59]
	v_mul_f64 v[62:63], v[60:61], v[58:59]
	v_fma_f64 v[56:57], -v[56:57], v[62:63], v[60:61]
	v_div_fmas_f64 v[56:57], v[56:57], v[58:59], v[62:63]
	v_div_fixup_f64 v[56:57], v[56:57], v[44:45], v[42:43]
	v_fma_f64 v[42:43], v[42:43], v[56:57], v[44:45]
	v_div_scale_f64 v[44:45], s[4:5], v[42:43], v[42:43], 1.0
	v_div_scale_f64 v[62:63], vcc, 1.0, v[42:43], 1.0
	v_rcp_f64_e32 v[58:59], v[44:45]
	v_fma_f64 v[60:61], -v[44:45], v[58:59], 1.0
	v_fma_f64 v[58:59], v[58:59], v[60:61], v[58:59]
	v_fma_f64 v[60:61], -v[44:45], v[58:59], 1.0
	v_fma_f64 v[58:59], v[58:59], v[60:61], v[58:59]
	v_mul_f64 v[60:61], v[62:63], v[58:59]
	v_fma_f64 v[44:45], -v[44:45], v[60:61], v[62:63]
	v_div_fmas_f64 v[44:45], v[44:45], v[58:59], v[60:61]
	v_div_fixup_f64 v[44:45], v[44:45], v[42:43], 1.0
	v_mul_f64 v[42:43], v[56:57], v[44:45]
	v_xor_b32_e32 v45, 0x80000000, v45
.LBB18_196:
	s_andn2_saveexec_b64 s[2:3], s[2:3]
	s_cbranch_execz .LBB18_198
; %bb.197:
	v_div_scale_f64 v[56:57], s[4:5], v[42:43], v[42:43], v[44:45]
	v_rcp_f64_e32 v[58:59], v[56:57]
	v_fma_f64 v[60:61], -v[56:57], v[58:59], 1.0
	v_fma_f64 v[58:59], v[58:59], v[60:61], v[58:59]
	v_div_scale_f64 v[60:61], vcc, v[44:45], v[42:43], v[44:45]
	v_fma_f64 v[62:63], -v[56:57], v[58:59], 1.0
	v_fma_f64 v[58:59], v[58:59], v[62:63], v[58:59]
	v_mul_f64 v[62:63], v[60:61], v[58:59]
	v_fma_f64 v[56:57], -v[56:57], v[62:63], v[60:61]
	v_div_fmas_f64 v[56:57], v[56:57], v[58:59], v[62:63]
	v_div_fixup_f64 v[56:57], v[56:57], v[42:43], v[44:45]
	v_fma_f64 v[42:43], v[44:45], v[56:57], v[42:43]
	v_div_scale_f64 v[44:45], s[4:5], v[42:43], v[42:43], 1.0
	v_div_scale_f64 v[62:63], vcc, 1.0, v[42:43], 1.0
	v_rcp_f64_e32 v[58:59], v[44:45]
	v_fma_f64 v[60:61], -v[44:45], v[58:59], 1.0
	v_fma_f64 v[58:59], v[58:59], v[60:61], v[58:59]
	v_fma_f64 v[60:61], -v[44:45], v[58:59], 1.0
	v_fma_f64 v[58:59], v[58:59], v[60:61], v[58:59]
	v_mul_f64 v[60:61], v[62:63], v[58:59]
	v_fma_f64 v[44:45], -v[44:45], v[60:61], v[62:63]
	v_div_fmas_f64 v[44:45], v[44:45], v[58:59], v[60:61]
	v_div_fixup_f64 v[42:43], v[44:45], v[42:43], 1.0
	v_mul_f64 v[44:45], v[56:57], -v[42:43]
.LBB18_198:
	s_or_b64 exec, exec, s[2:3]
.LBB18_199:
	s_or_b64 exec, exec, s[0:1]
	v_cmp_ne_u32_e32 vcc, v52, v50
	v_mov_b32_e32 v51, 9
	s_and_saveexec_b64 s[0:1], vcc
	s_cbranch_execz .LBB18_205
; %bb.200:
	v_cmp_eq_u32_e32 vcc, 9, v52
	s_and_saveexec_b64 s[2:3], vcc
	s_cbranch_execz .LBB18_204
; %bb.201:
	v_cmp_ne_u32_e32 vcc, 9, v50
	s_xor_b64 s[4:5], s[18:19], -1
	s_and_b64 s[18:19], s[4:5], vcc
	s_and_saveexec_b64 s[4:5], s[18:19]
	s_cbranch_execz .LBB18_203
; %bb.202:
	v_ashrrev_i32_e32 v51, 31, v50
	v_lshlrev_b64 v[0:1], 2, v[50:51]
	v_add_co_u32_e32 v0, vcc, v48, v0
	v_addc_co_u32_e32 v1, vcc, v49, v1, vcc
	global_load_dword v51, v[0:1], off
	global_load_dword v52, v[48:49], off offset:36
	s_waitcnt vmcnt(1)
	global_store_dword v[48:49], v51, off offset:36
	s_waitcnt vmcnt(1)
	global_store_dword v[0:1], v52, off
.LBB18_203:
	s_or_b64 exec, exec, s[4:5]
	v_mov_b32_e32 v52, v50
	v_mov_b32_e32 v0, v50
.LBB18_204:
	s_or_b64 exec, exec, s[2:3]
	v_mov_b32_e32 v51, v52
.LBB18_205:
	s_or_b64 exec, exec, s[0:1]
	v_cmp_gt_i32_e32 vcc, 10, v51
	v_ashrrev_i32_e32 v52, 31, v51
	s_waitcnt vmcnt(0)
	s_barrier
	s_barrier
	s_and_saveexec_b64 s[0:1], vcc
	s_cbranch_execz .LBB18_207
; %bb.206:
	v_mul_lo_u32 v1, s15, v46
	v_mul_lo_u32 v50, s14, v47
	v_mad_u64_u32 v[48:49], s[2:3], s14, v46, 0
	s_lshl_b64 s[2:3], s[12:13], 2
	v_add3_u32 v0, v0, s17, 1
	v_add3_u32 v49, v49, v50, v1
	v_lshlrev_b64 v[48:49], 2, v[48:49]
	v_mov_b32_e32 v1, s11
	v_add_co_u32_e32 v48, vcc, s10, v48
	v_addc_co_u32_e32 v1, vcc, v1, v49, vcc
	v_mov_b32_e32 v49, s3
	v_add_co_u32_e32 v50, vcc, s2, v48
	v_addc_co_u32_e32 v1, vcc, v1, v49, vcc
	v_lshlrev_b64 v[48:49], 2, v[51:52]
	v_add_co_u32_e32 v48, vcc, v50, v48
	v_addc_co_u32_e32 v49, vcc, v1, v49, vcc
	global_store_dword v[48:49], v0, off
.LBB18_207:
	s_or_b64 exec, exec, s[0:1]
	v_cmp_eq_u32_e32 vcc, 0, v51
	s_and_saveexec_b64 s[2:3], vcc
	s_cbranch_execz .LBB18_210
; %bb.208:
	v_lshlrev_b64 v[0:1], 2, v[46:47]
	v_mov_b32_e32 v46, s21
	v_add_co_u32_e32 v0, vcc, s20, v0
	v_addc_co_u32_e32 v1, vcc, v46, v1, vcc
	global_load_dword v46, v[0:1], off
	v_cmp_ne_u32_e64 s[0:1], 0, v55
	s_waitcnt vmcnt(0)
	v_cmp_eq_u32_e32 vcc, 0, v46
	s_and_b64 s[0:1], vcc, s[0:1]
	s_and_b64 exec, exec, s[0:1]
	s_cbranch_execz .LBB18_210
; %bb.209:
	v_add_u32_e32 v46, s17, v55
	global_store_dword v[0:1], v46, off
.LBB18_210:
	s_or_b64 exec, exec, s[2:3]
	v_mul_f64 v[0:1], v[42:43], v[40:41]
	v_mul_f64 v[46:47], v[44:45], v[40:41]
	v_lshlrev_b64 v[48:49], 4, v[51:52]
	v_mov_b32_e32 v50, s9
	v_fma_f64 v[0:1], v[44:45], v[38:39], v[0:1]
	v_fma_f64 v[42:43], v[42:43], v[38:39], -v[46:47]
	v_add_co_u32_e32 v44, vcc, v53, v48
	v_addc_co_u32_e32 v45, vcc, v54, v49, vcc
	v_cmp_lt_i32_e32 vcc, 9, v51
	global_store_dwordx4 v[44:45], v[34:37], off
	s_nop 0
	v_cndmask_b32_e32 v37, v41, v1, vcc
	v_cndmask_b32_e32 v36, v40, v0, vcc
	v_cndmask_b32_e32 v35, v39, v43, vcc
	v_cndmask_b32_e32 v34, v38, v42, vcc
	v_add_co_u32_e32 v0, vcc, s8, v44
	v_addc_co_u32_e32 v1, vcc, v45, v50, vcc
	global_store_dwordx4 v[0:1], v[30:33], off
	v_add_u32_e32 v0, s16, v51
	v_ashrrev_i32_e32 v1, 31, v0
	v_lshlrev_b64 v[30:31], 4, v[0:1]
	v_add_u32_e32 v0, s6, v0
	v_add_co_u32_e32 v30, vcc, v53, v30
	v_addc_co_u32_e32 v31, vcc, v54, v31, vcc
	v_ashrrev_i32_e32 v1, 31, v0
	global_store_dwordx4 v[30:31], v[26:29], off
	s_nop 0
	v_lshlrev_b64 v[26:27], 4, v[0:1]
	v_add_u32_e32 v0, s6, v0
	v_add_co_u32_e32 v26, vcc, v53, v26
	v_addc_co_u32_e32 v27, vcc, v54, v27, vcc
	v_ashrrev_i32_e32 v1, 31, v0
	global_store_dwordx4 v[26:27], v[22:25], off
	s_nop 0
	;; [unrolled: 7-line block ×6, first 2 shown]
	v_lshlrev_b64 v[6:7], 4, v[0:1]
	v_add_u32_e32 v0, s6, v0
	v_ashrrev_i32_e32 v1, 31, v0
	v_add_co_u32_e32 v6, vcc, v53, v6
	v_lshlrev_b64 v[0:1], 4, v[0:1]
	v_addc_co_u32_e32 v7, vcc, v54, v7, vcc
	v_add_co_u32_e32 v0, vcc, v53, v0
	v_addc_co_u32_e32 v1, vcc, v54, v1, vcc
	global_store_dwordx4 v[6:7], v[2:5], off
	global_store_dwordx4 v[0:1], v[34:37], off
.LBB18_211:
	s_endpgm
	.section	.rodata,"a",@progbits
	.p2align	6, 0x0
	.amdhsa_kernel _ZN9rocsolver6v33100L18getf2_small_kernelILi10E19rocblas_complex_numIdEiiPS3_EEvT1_T3_lS5_lPS5_llPT2_S5_S5_S7_l
		.amdhsa_group_segment_fixed_size 0
		.amdhsa_private_segment_fixed_size 0
		.amdhsa_kernarg_size 352
		.amdhsa_user_sgpr_count 6
		.amdhsa_user_sgpr_private_segment_buffer 1
		.amdhsa_user_sgpr_dispatch_ptr 0
		.amdhsa_user_sgpr_queue_ptr 0
		.amdhsa_user_sgpr_kernarg_segment_ptr 1
		.amdhsa_user_sgpr_dispatch_id 0
		.amdhsa_user_sgpr_flat_scratch_init 0
		.amdhsa_user_sgpr_private_segment_size 0
		.amdhsa_uses_dynamic_stack 0
		.amdhsa_system_sgpr_private_segment_wavefront_offset 0
		.amdhsa_system_sgpr_workgroup_id_x 1
		.amdhsa_system_sgpr_workgroup_id_y 1
		.amdhsa_system_sgpr_workgroup_id_z 0
		.amdhsa_system_sgpr_workgroup_info 0
		.amdhsa_system_vgpr_workitem_id 1
		.amdhsa_next_free_vgpr 82
		.amdhsa_next_free_sgpr 26
		.amdhsa_reserve_vcc 1
		.amdhsa_reserve_flat_scratch 0
		.amdhsa_float_round_mode_32 0
		.amdhsa_float_round_mode_16_64 0
		.amdhsa_float_denorm_mode_32 3
		.amdhsa_float_denorm_mode_16_64 3
		.amdhsa_dx10_clamp 1
		.amdhsa_ieee_mode 1
		.amdhsa_fp16_overflow 0
		.amdhsa_exception_fp_ieee_invalid_op 0
		.amdhsa_exception_fp_denorm_src 0
		.amdhsa_exception_fp_ieee_div_zero 0
		.amdhsa_exception_fp_ieee_overflow 0
		.amdhsa_exception_fp_ieee_underflow 0
		.amdhsa_exception_fp_ieee_inexact 0
		.amdhsa_exception_int_div_zero 0
	.end_amdhsa_kernel
	.section	.text._ZN9rocsolver6v33100L18getf2_small_kernelILi10E19rocblas_complex_numIdEiiPS3_EEvT1_T3_lS5_lPS5_llPT2_S5_S5_S7_l,"axG",@progbits,_ZN9rocsolver6v33100L18getf2_small_kernelILi10E19rocblas_complex_numIdEiiPS3_EEvT1_T3_lS5_lPS5_llPT2_S5_S5_S7_l,comdat
.Lfunc_end18:
	.size	_ZN9rocsolver6v33100L18getf2_small_kernelILi10E19rocblas_complex_numIdEiiPS3_EEvT1_T3_lS5_lPS5_llPT2_S5_S5_S7_l, .Lfunc_end18-_ZN9rocsolver6v33100L18getf2_small_kernelILi10E19rocblas_complex_numIdEiiPS3_EEvT1_T3_lS5_lPS5_llPT2_S5_S5_S7_l
                                        ; -- End function
	.set _ZN9rocsolver6v33100L18getf2_small_kernelILi10E19rocblas_complex_numIdEiiPS3_EEvT1_T3_lS5_lPS5_llPT2_S5_S5_S7_l.num_vgpr, 82
	.set _ZN9rocsolver6v33100L18getf2_small_kernelILi10E19rocblas_complex_numIdEiiPS3_EEvT1_T3_lS5_lPS5_llPT2_S5_S5_S7_l.num_agpr, 0
	.set _ZN9rocsolver6v33100L18getf2_small_kernelILi10E19rocblas_complex_numIdEiiPS3_EEvT1_T3_lS5_lPS5_llPT2_S5_S5_S7_l.numbered_sgpr, 26
	.set _ZN9rocsolver6v33100L18getf2_small_kernelILi10E19rocblas_complex_numIdEiiPS3_EEvT1_T3_lS5_lPS5_llPT2_S5_S5_S7_l.num_named_barrier, 0
	.set _ZN9rocsolver6v33100L18getf2_small_kernelILi10E19rocblas_complex_numIdEiiPS3_EEvT1_T3_lS5_lPS5_llPT2_S5_S5_S7_l.private_seg_size, 0
	.set _ZN9rocsolver6v33100L18getf2_small_kernelILi10E19rocblas_complex_numIdEiiPS3_EEvT1_T3_lS5_lPS5_llPT2_S5_S5_S7_l.uses_vcc, 1
	.set _ZN9rocsolver6v33100L18getf2_small_kernelILi10E19rocblas_complex_numIdEiiPS3_EEvT1_T3_lS5_lPS5_llPT2_S5_S5_S7_l.uses_flat_scratch, 0
	.set _ZN9rocsolver6v33100L18getf2_small_kernelILi10E19rocblas_complex_numIdEiiPS3_EEvT1_T3_lS5_lPS5_llPT2_S5_S5_S7_l.has_dyn_sized_stack, 0
	.set _ZN9rocsolver6v33100L18getf2_small_kernelILi10E19rocblas_complex_numIdEiiPS3_EEvT1_T3_lS5_lPS5_llPT2_S5_S5_S7_l.has_recursion, 0
	.set _ZN9rocsolver6v33100L18getf2_small_kernelILi10E19rocblas_complex_numIdEiiPS3_EEvT1_T3_lS5_lPS5_llPT2_S5_S5_S7_l.has_indirect_call, 0
	.section	.AMDGPU.csdata,"",@progbits
; Kernel info:
; codeLenInByte = 13124
; TotalNumSgprs: 30
; NumVgprs: 82
; ScratchSize: 0
; MemoryBound: 0
; FloatMode: 240
; IeeeMode: 1
; LDSByteSize: 0 bytes/workgroup (compile time only)
; SGPRBlocks: 3
; VGPRBlocks: 20
; NumSGPRsForWavesPerEU: 30
; NumVGPRsForWavesPerEU: 82
; Occupancy: 3
; WaveLimiterHint : 0
; COMPUTE_PGM_RSRC2:SCRATCH_EN: 0
; COMPUTE_PGM_RSRC2:USER_SGPR: 6
; COMPUTE_PGM_RSRC2:TRAP_HANDLER: 0
; COMPUTE_PGM_RSRC2:TGID_X_EN: 1
; COMPUTE_PGM_RSRC2:TGID_Y_EN: 1
; COMPUTE_PGM_RSRC2:TGID_Z_EN: 0
; COMPUTE_PGM_RSRC2:TIDIG_COMP_CNT: 1
	.section	.text._ZN9rocsolver6v33100L23getf2_npvt_small_kernelILi10E19rocblas_complex_numIdEiiPS3_EEvT1_T3_lS5_lPT2_S5_S5_,"axG",@progbits,_ZN9rocsolver6v33100L23getf2_npvt_small_kernelILi10E19rocblas_complex_numIdEiiPS3_EEvT1_T3_lS5_lPT2_S5_S5_,comdat
	.globl	_ZN9rocsolver6v33100L23getf2_npvt_small_kernelILi10E19rocblas_complex_numIdEiiPS3_EEvT1_T3_lS5_lPT2_S5_S5_ ; -- Begin function _ZN9rocsolver6v33100L23getf2_npvt_small_kernelILi10E19rocblas_complex_numIdEiiPS3_EEvT1_T3_lS5_lPT2_S5_S5_
	.p2align	8
	.type	_ZN9rocsolver6v33100L23getf2_npvt_small_kernelILi10E19rocblas_complex_numIdEiiPS3_EEvT1_T3_lS5_lPT2_S5_S5_,@function
_ZN9rocsolver6v33100L23getf2_npvt_small_kernelILi10E19rocblas_complex_numIdEiiPS3_EEvT1_T3_lS5_lPT2_S5_S5_: ; @_ZN9rocsolver6v33100L23getf2_npvt_small_kernelILi10E19rocblas_complex_numIdEiiPS3_EEvT1_T3_lS5_lPT2_S5_S5_
; %bb.0:
	s_load_dword s0, s[4:5], 0x44
	s_load_dwordx2 s[40:41], s[4:5], 0x30
	s_waitcnt lgkmcnt(0)
	s_lshr_b32 s2, s0, 16
	s_mul_i32 s7, s7, s2
	v_add_u32_e32 v88, s7, v1
	v_cmp_gt_i32_e32 vcc, s40, v88
	s_and_saveexec_b64 s[0:1], vcc
	s_cbranch_execz .LBB19_93
; %bb.1:
	s_load_dwordx4 s[8:11], s[4:5], 0x20
	s_load_dwordx4 s[12:15], s[4:5], 0x8
	v_ashrrev_i32_e32 v89, 31, v88
	s_mulk_i32 s2, 0xa0
	s_waitcnt lgkmcnt(0)
	v_mul_lo_u32 v4, s9, v88
	v_mul_lo_u32 v5, s8, v89
	v_mad_u64_u32 v[2:3], s[0:1], s8, v88, 0
	s_load_dword s0, s[4:5], 0x18
	v_mov_b32_e32 v6, s13
	v_add3_u32 v3, v3, v5, v4
	v_lshlrev_b64 v[2:3], 4, v[2:3]
	s_lshl_b64 s[4:5], s[14:15], 4
	v_add_co_u32_e32 v2, vcc, s12, v2
	v_addc_co_u32_e32 v3, vcc, v6, v3, vcc
	s_waitcnt lgkmcnt(0)
	s_add_i32 s1, s0, s0
	v_mov_b32_e32 v4, s5
	v_add_co_u32_e32 v5, vcc, s4, v2
	v_add_u32_e32 v2, s1, v0
	v_addc_co_u32_e32 v6, vcc, v3, v4, vcc
	v_ashrrev_i32_e32 v3, 31, v2
	v_lshlrev_b64 v[3:4], 4, v[2:3]
	v_add_u32_e32 v2, s0, v2
	v_add_co_u32_e32 v82, vcc, v5, v3
	v_ashrrev_i32_e32 v3, 31, v2
	v_addc_co_u32_e32 v83, vcc, v6, v4, vcc
	v_lshlrev_b64 v[3:4], 4, v[2:3]
	v_add_u32_e32 v2, s0, v2
	v_add_co_u32_e32 v84, vcc, v5, v3
	v_ashrrev_i32_e32 v3, 31, v2
	v_addc_co_u32_e32 v85, vcc, v6, v4, vcc
	;; [unrolled: 5-line block ×6, first 2 shown]
	v_lshlrev_b64 v[3:4], 4, v[2:3]
	v_add_u32_e32 v2, s0, v2
	v_add_co_u32_e32 v96, vcc, v5, v3
	v_ashrrev_i32_e32 v3, 31, v2
	v_lshlrev_b64 v[2:3], 4, v[2:3]
	v_addc_co_u32_e32 v97, vcc, v6, v4, vcc
	v_add_co_u32_e32 v98, vcc, v5, v2
	v_addc_co_u32_e32 v99, vcc, v6, v3, vcc
	v_lshlrev_b32_e32 v2, 4, v0
	v_add_co_u32_e32 v100, vcc, v5, v2
	s_ashr_i32 s1, s0, 31
	v_addc_co_u32_e32 v101, vcc, 0, v6, vcc
	s_lshl_b64 s[0:1], s[0:1], 4
	v_mov_b32_e32 v2, s1
	v_add_co_u32_e32 v102, vcc, s0, v100
	v_addc_co_u32_e32 v103, vcc, v101, v2, vcc
	global_load_dwordx4 v[38:41], v[100:101], off
	global_load_dwordx4 v[34:37], v[102:103], off
	;; [unrolled: 1-line block ×10, first 2 shown]
	s_movk_i32 s0, 0xa0
	s_add_i32 s1, s2, 0
	v_mad_u32_u24 v104, v1, s0, 0
	v_lshl_add_u32 v1, v1, 4, s1
	v_cmp_ne_u32_e64 s[2:3], 0, v0
	v_cmp_eq_u32_e64 s[0:1], 0, v0
	s_and_saveexec_b64 s[6:7], s[0:1]
	s_cbranch_execz .LBB19_8
; %bb.2:
	s_waitcnt vmcnt(9)
	ds_write2_b64 v1, v[38:39], v[40:41] offset1:1
	s_waitcnt vmcnt(8)
	ds_write2_b64 v104, v[34:35], v[36:37] offset0:2 offset1:3
	s_waitcnt vmcnt(7)
	ds_write2_b64 v104, v[30:31], v[32:33] offset0:4 offset1:5
	;; [unrolled: 2-line block ×9, first 2 shown]
	ds_read2_b64 v[42:45], v1 offset1:1
	s_waitcnt lgkmcnt(0)
	v_cmp_neq_f64_e32 vcc, 0, v[42:43]
	v_cmp_neq_f64_e64 s[4:5], 0, v[44:45]
	s_or_b64 s[4:5], vcc, s[4:5]
	s_and_b64 exec, exec, s[4:5]
	s_cbranch_execz .LBB19_8
; %bb.3:
	v_cmp_ngt_f64_e64 s[4:5], |v[42:43]|, |v[44:45]|
                                        ; implicit-def: $vgpr46_vgpr47
	s_and_saveexec_b64 s[8:9], s[4:5]
	s_xor_b64 s[4:5], exec, s[8:9]
                                        ; implicit-def: $vgpr48_vgpr49
	s_cbranch_execz .LBB19_5
; %bb.4:
	v_div_scale_f64 v[46:47], s[8:9], v[44:45], v[44:45], v[42:43]
	v_rcp_f64_e32 v[48:49], v[46:47]
	v_fma_f64 v[50:51], -v[46:47], v[48:49], 1.0
	v_fma_f64 v[48:49], v[48:49], v[50:51], v[48:49]
	v_div_scale_f64 v[50:51], vcc, v[42:43], v[44:45], v[42:43]
	v_fma_f64 v[52:53], -v[46:47], v[48:49], 1.0
	v_fma_f64 v[48:49], v[48:49], v[52:53], v[48:49]
	v_mul_f64 v[52:53], v[50:51], v[48:49]
	v_fma_f64 v[46:47], -v[46:47], v[52:53], v[50:51]
	v_div_fmas_f64 v[46:47], v[46:47], v[48:49], v[52:53]
	v_div_fixup_f64 v[46:47], v[46:47], v[44:45], v[42:43]
	v_fma_f64 v[42:43], v[42:43], v[46:47], v[44:45]
	v_div_scale_f64 v[44:45], s[8:9], v[42:43], v[42:43], 1.0
	v_div_scale_f64 v[52:53], vcc, 1.0, v[42:43], 1.0
	v_rcp_f64_e32 v[48:49], v[44:45]
	v_fma_f64 v[50:51], -v[44:45], v[48:49], 1.0
	v_fma_f64 v[48:49], v[48:49], v[50:51], v[48:49]
	v_fma_f64 v[50:51], -v[44:45], v[48:49], 1.0
	v_fma_f64 v[48:49], v[48:49], v[50:51], v[48:49]
	v_mul_f64 v[50:51], v[52:53], v[48:49]
	v_fma_f64 v[44:45], -v[44:45], v[50:51], v[52:53]
	v_div_fmas_f64 v[44:45], v[44:45], v[48:49], v[50:51]
	v_div_fixup_f64 v[48:49], v[44:45], v[42:43], 1.0
                                        ; implicit-def: $vgpr42_vgpr43
	v_mul_f64 v[46:47], v[46:47], v[48:49]
	v_xor_b32_e32 v49, 0x80000000, v49
.LBB19_5:
	s_andn2_saveexec_b64 s[4:5], s[4:5]
	s_cbranch_execz .LBB19_7
; %bb.6:
	v_div_scale_f64 v[46:47], s[8:9], v[42:43], v[42:43], v[44:45]
	v_rcp_f64_e32 v[48:49], v[46:47]
	v_fma_f64 v[50:51], -v[46:47], v[48:49], 1.0
	v_fma_f64 v[48:49], v[48:49], v[50:51], v[48:49]
	v_div_scale_f64 v[50:51], vcc, v[44:45], v[42:43], v[44:45]
	v_fma_f64 v[52:53], -v[46:47], v[48:49], 1.0
	v_fma_f64 v[48:49], v[48:49], v[52:53], v[48:49]
	v_mul_f64 v[52:53], v[50:51], v[48:49]
	v_fma_f64 v[46:47], -v[46:47], v[52:53], v[50:51]
	v_div_fmas_f64 v[46:47], v[46:47], v[48:49], v[52:53]
	v_div_fixup_f64 v[48:49], v[46:47], v[42:43], v[44:45]
	v_fma_f64 v[42:43], v[44:45], v[48:49], v[42:43]
	v_div_scale_f64 v[44:45], s[8:9], v[42:43], v[42:43], 1.0
	v_div_scale_f64 v[52:53], vcc, 1.0, v[42:43], 1.0
	v_rcp_f64_e32 v[46:47], v[44:45]
	v_fma_f64 v[50:51], -v[44:45], v[46:47], 1.0
	v_fma_f64 v[46:47], v[46:47], v[50:51], v[46:47]
	v_fma_f64 v[50:51], -v[44:45], v[46:47], 1.0
	v_fma_f64 v[46:47], v[46:47], v[50:51], v[46:47]
	v_mul_f64 v[50:51], v[52:53], v[46:47]
	v_fma_f64 v[44:45], -v[44:45], v[50:51], v[52:53]
	v_div_fmas_f64 v[44:45], v[44:45], v[46:47], v[50:51]
	v_div_fixup_f64 v[46:47], v[44:45], v[42:43], 1.0
	v_mul_f64 v[48:49], v[48:49], -v[46:47]
.LBB19_7:
	s_or_b64 exec, exec, s[4:5]
	ds_write2_b64 v1, v[46:47], v[48:49] offset1:1
.LBB19_8:
	s_or_b64 exec, exec, s[6:7]
	s_waitcnt vmcnt(0) lgkmcnt(0)
	s_barrier
	ds_read2_b64 v[42:45], v1 offset1:1
	s_and_saveexec_b64 s[4:5], s[2:3]
	s_cbranch_execz .LBB19_10
; %bb.9:
	s_waitcnt lgkmcnt(0)
	v_mul_f64 v[46:47], v[42:43], v[40:41]
	v_mul_f64 v[70:71], v[44:45], v[40:41]
	v_fma_f64 v[40:41], v[44:45], v[38:39], v[46:47]
	ds_read2_b64 v[46:49], v104 offset0:2 offset1:3
	ds_read2_b64 v[50:53], v104 offset0:4 offset1:5
	;; [unrolled: 1-line block ×6, first 2 shown]
	v_fma_f64 v[38:39], v[42:43], v[38:39], -v[70:71]
	s_waitcnt lgkmcnt(5)
	v_mul_f64 v[70:71], v[48:49], v[40:41]
	v_mul_f64 v[72:73], v[46:47], v[40:41]
	s_waitcnt lgkmcnt(4)
	v_mul_f64 v[74:75], v[52:53], v[40:41]
	v_mul_f64 v[76:77], v[50:51], v[40:41]
	;; [unrolled: 3-line block ×5, first 2 shown]
	v_fma_f64 v[46:47], v[46:47], v[38:39], -v[70:71]
	v_fma_f64 v[48:49], v[48:49], v[38:39], v[72:73]
	v_fma_f64 v[50:51], v[50:51], v[38:39], -v[74:75]
	v_fma_f64 v[52:53], v[52:53], v[38:39], v[76:77]
	v_fma_f64 v[54:55], v[54:55], v[38:39], -v[78:79]
	v_fma_f64 v[56:57], v[56:57], v[38:39], v[80:81]
	v_fma_f64 v[58:59], v[58:59], v[38:39], -v[105:106]
	v_fma_f64 v[60:61], v[60:61], v[38:39], v[107:108]
	v_fma_f64 v[62:63], v[62:63], v[38:39], -v[109:110]
	v_fma_f64 v[64:65], v[64:65], v[38:39], v[111:112]
	v_add_f64 v[34:35], v[34:35], -v[46:47]
	v_add_f64 v[36:37], v[36:37], -v[48:49]
	;; [unrolled: 1-line block ×6, first 2 shown]
	ds_read2_b64 v[46:49], v104 offset0:14 offset1:15
	ds_read2_b64 v[50:53], v104 offset0:16 offset1:17
	;; [unrolled: 1-line block ×3, first 2 shown]
	v_add_f64 v[22:23], v[22:23], -v[58:59]
	v_add_f64 v[24:25], v[24:25], -v[60:61]
	;; [unrolled: 1-line block ×4, first 2 shown]
	s_waitcnt lgkmcnt(3)
	v_mul_f64 v[58:59], v[68:69], v[40:41]
	v_mul_f64 v[60:61], v[66:67], v[40:41]
	s_waitcnt lgkmcnt(2)
	v_mul_f64 v[62:63], v[48:49], v[40:41]
	v_mul_f64 v[64:65], v[46:47], v[40:41]
	;; [unrolled: 3-line block ×4, first 2 shown]
	v_fma_f64 v[58:59], v[66:67], v[38:39], -v[58:59]
	v_fma_f64 v[60:61], v[68:69], v[38:39], v[60:61]
	v_fma_f64 v[46:47], v[46:47], v[38:39], -v[62:63]
	v_fma_f64 v[48:49], v[48:49], v[38:39], v[64:65]
	;; [unrolled: 2-line block ×4, first 2 shown]
	v_add_f64 v[14:15], v[14:15], -v[58:59]
	v_add_f64 v[16:17], v[16:17], -v[60:61]
	;; [unrolled: 1-line block ×8, first 2 shown]
.LBB19_10:
	s_or_b64 exec, exec, s[4:5]
	v_cmp_eq_u32_e32 vcc, 1, v0
	s_waitcnt lgkmcnt(0)
	s_barrier
	s_and_saveexec_b64 s[4:5], vcc
	s_cbranch_execz .LBB19_17
; %bb.11:
	ds_write2_b64 v1, v[34:35], v[36:37] offset1:1
	ds_write2_b64 v104, v[30:31], v[32:33] offset0:4 offset1:5
	ds_write2_b64 v104, v[26:27], v[28:29] offset0:6 offset1:7
	;; [unrolled: 1-line block ×8, first 2 shown]
	ds_read2_b64 v[46:49], v1 offset1:1
	s_waitcnt lgkmcnt(0)
	v_cmp_neq_f64_e32 vcc, 0, v[46:47]
	v_cmp_neq_f64_e64 s[2:3], 0, v[48:49]
	s_or_b64 s[2:3], vcc, s[2:3]
	s_and_b64 exec, exec, s[2:3]
	s_cbranch_execz .LBB19_17
; %bb.12:
	v_cmp_ngt_f64_e64 s[2:3], |v[46:47]|, |v[48:49]|
                                        ; implicit-def: $vgpr50_vgpr51
	s_and_saveexec_b64 s[6:7], s[2:3]
	s_xor_b64 s[2:3], exec, s[6:7]
                                        ; implicit-def: $vgpr52_vgpr53
	s_cbranch_execz .LBB19_14
; %bb.13:
	v_div_scale_f64 v[50:51], s[6:7], v[48:49], v[48:49], v[46:47]
	v_rcp_f64_e32 v[52:53], v[50:51]
	v_fma_f64 v[54:55], -v[50:51], v[52:53], 1.0
	v_fma_f64 v[52:53], v[52:53], v[54:55], v[52:53]
	v_div_scale_f64 v[54:55], vcc, v[46:47], v[48:49], v[46:47]
	v_fma_f64 v[56:57], -v[50:51], v[52:53], 1.0
	v_fma_f64 v[52:53], v[52:53], v[56:57], v[52:53]
	v_mul_f64 v[56:57], v[54:55], v[52:53]
	v_fma_f64 v[50:51], -v[50:51], v[56:57], v[54:55]
	v_div_fmas_f64 v[50:51], v[50:51], v[52:53], v[56:57]
	v_div_fixup_f64 v[50:51], v[50:51], v[48:49], v[46:47]
	v_fma_f64 v[46:47], v[46:47], v[50:51], v[48:49]
	v_div_scale_f64 v[48:49], s[6:7], v[46:47], v[46:47], 1.0
	v_div_scale_f64 v[56:57], vcc, 1.0, v[46:47], 1.0
	v_rcp_f64_e32 v[52:53], v[48:49]
	v_fma_f64 v[54:55], -v[48:49], v[52:53], 1.0
	v_fma_f64 v[52:53], v[52:53], v[54:55], v[52:53]
	v_fma_f64 v[54:55], -v[48:49], v[52:53], 1.0
	v_fma_f64 v[52:53], v[52:53], v[54:55], v[52:53]
	v_mul_f64 v[54:55], v[56:57], v[52:53]
	v_fma_f64 v[48:49], -v[48:49], v[54:55], v[56:57]
	v_div_fmas_f64 v[48:49], v[48:49], v[52:53], v[54:55]
	v_div_fixup_f64 v[52:53], v[48:49], v[46:47], 1.0
                                        ; implicit-def: $vgpr46_vgpr47
	v_mul_f64 v[50:51], v[50:51], v[52:53]
	v_xor_b32_e32 v53, 0x80000000, v53
.LBB19_14:
	s_andn2_saveexec_b64 s[2:3], s[2:3]
	s_cbranch_execz .LBB19_16
; %bb.15:
	v_div_scale_f64 v[50:51], s[6:7], v[46:47], v[46:47], v[48:49]
	v_rcp_f64_e32 v[52:53], v[50:51]
	v_fma_f64 v[54:55], -v[50:51], v[52:53], 1.0
	v_fma_f64 v[52:53], v[52:53], v[54:55], v[52:53]
	v_div_scale_f64 v[54:55], vcc, v[48:49], v[46:47], v[48:49]
	v_fma_f64 v[56:57], -v[50:51], v[52:53], 1.0
	v_fma_f64 v[52:53], v[52:53], v[56:57], v[52:53]
	v_mul_f64 v[56:57], v[54:55], v[52:53]
	v_fma_f64 v[50:51], -v[50:51], v[56:57], v[54:55]
	v_div_fmas_f64 v[50:51], v[50:51], v[52:53], v[56:57]
	v_div_fixup_f64 v[52:53], v[50:51], v[46:47], v[48:49]
	v_fma_f64 v[46:47], v[48:49], v[52:53], v[46:47]
	v_div_scale_f64 v[48:49], s[6:7], v[46:47], v[46:47], 1.0
	v_div_scale_f64 v[56:57], vcc, 1.0, v[46:47], 1.0
	v_rcp_f64_e32 v[50:51], v[48:49]
	v_fma_f64 v[54:55], -v[48:49], v[50:51], 1.0
	v_fma_f64 v[50:51], v[50:51], v[54:55], v[50:51]
	v_fma_f64 v[54:55], -v[48:49], v[50:51], 1.0
	v_fma_f64 v[50:51], v[50:51], v[54:55], v[50:51]
	v_mul_f64 v[54:55], v[56:57], v[50:51]
	v_fma_f64 v[48:49], -v[48:49], v[54:55], v[56:57]
	v_div_fmas_f64 v[48:49], v[48:49], v[50:51], v[54:55]
	v_div_fixup_f64 v[50:51], v[48:49], v[46:47], 1.0
	v_mul_f64 v[52:53], v[52:53], -v[50:51]
.LBB19_16:
	s_or_b64 exec, exec, s[2:3]
	ds_write2_b64 v1, v[50:51], v[52:53] offset1:1
.LBB19_17:
	s_or_b64 exec, exec, s[4:5]
	s_waitcnt lgkmcnt(0)
	s_barrier
	ds_read2_b64 v[46:49], v1 offset1:1
	v_cmp_lt_u32_e32 vcc, 1, v0
	s_and_saveexec_b64 s[2:3], vcc
	s_cbranch_execz .LBB19_19
; %bb.18:
	s_waitcnt lgkmcnt(0)
	v_mul_f64 v[50:51], v[46:47], v[36:37]
	v_mul_f64 v[36:37], v[48:49], v[36:37]
	v_fma_f64 v[70:71], v[48:49], v[34:35], v[50:51]
	ds_read2_b64 v[50:53], v104 offset0:4 offset1:5
	ds_read2_b64 v[54:57], v104 offset0:6 offset1:7
	ds_read2_b64 v[58:61], v104 offset0:8 offset1:9
	ds_read2_b64 v[62:65], v104 offset0:10 offset1:11
	ds_read2_b64 v[66:69], v104 offset0:12 offset1:13
	v_fma_f64 v[34:35], v[46:47], v[34:35], -v[36:37]
	s_waitcnt lgkmcnt(4)
	v_mul_f64 v[36:37], v[52:53], v[70:71]
	v_mul_f64 v[72:73], v[50:51], v[70:71]
	s_waitcnt lgkmcnt(3)
	v_mul_f64 v[74:75], v[56:57], v[70:71]
	v_mul_f64 v[76:77], v[54:55], v[70:71]
	;; [unrolled: 3-line block ×4, first 2 shown]
	v_fma_f64 v[36:37], v[50:51], v[34:35], -v[36:37]
	v_fma_f64 v[50:51], v[52:53], v[34:35], v[72:73]
	v_fma_f64 v[52:53], v[54:55], v[34:35], -v[74:75]
	v_fma_f64 v[54:55], v[56:57], v[34:35], v[76:77]
	;; [unrolled: 2-line block ×4, first 2 shown]
	v_add_f64 v[30:31], v[30:31], -v[36:37]
	v_add_f64 v[32:33], v[32:33], -v[50:51]
	v_add_f64 v[26:27], v[26:27], -v[52:53]
	v_add_f64 v[28:29], v[28:29], -v[54:55]
	v_add_f64 v[22:23], v[22:23], -v[56:57]
	v_add_f64 v[24:25], v[24:25], -v[58:59]
	v_add_f64 v[18:19], v[18:19], -v[60:61]
	ds_read2_b64 v[50:53], v104 offset0:14 offset1:15
	ds_read2_b64 v[54:57], v104 offset0:16 offset1:17
	;; [unrolled: 1-line block ×3, first 2 shown]
	v_add_f64 v[20:21], v[20:21], -v[62:63]
	s_waitcnt lgkmcnt(3)
	v_mul_f64 v[36:37], v[68:69], v[70:71]
	v_mul_f64 v[62:63], v[66:67], v[70:71]
	s_waitcnt lgkmcnt(2)
	v_mul_f64 v[64:65], v[52:53], v[70:71]
	v_mul_f64 v[72:73], v[50:51], v[70:71]
	;; [unrolled: 3-line block ×4, first 2 shown]
	v_fma_f64 v[36:37], v[66:67], v[34:35], -v[36:37]
	v_fma_f64 v[62:63], v[68:69], v[34:35], v[62:63]
	v_fma_f64 v[50:51], v[50:51], v[34:35], -v[64:65]
	v_fma_f64 v[52:53], v[52:53], v[34:35], v[72:73]
	;; [unrolled: 2-line block ×4, first 2 shown]
	v_add_f64 v[14:15], v[14:15], -v[36:37]
	v_add_f64 v[16:17], v[16:17], -v[62:63]
	;; [unrolled: 1-line block ×8, first 2 shown]
	v_mov_b32_e32 v36, v70
	v_mov_b32_e32 v37, v71
.LBB19_19:
	s_or_b64 exec, exec, s[2:3]
	v_cmp_eq_u32_e32 vcc, 2, v0
	s_waitcnt lgkmcnt(0)
	s_barrier
	s_and_saveexec_b64 s[4:5], vcc
	s_cbranch_execz .LBB19_26
; %bb.20:
	ds_write2_b64 v1, v[30:31], v[32:33] offset1:1
	ds_write2_b64 v104, v[26:27], v[28:29] offset0:6 offset1:7
	ds_write2_b64 v104, v[22:23], v[24:25] offset0:8 offset1:9
	ds_write2_b64 v104, v[18:19], v[20:21] offset0:10 offset1:11
	ds_write2_b64 v104, v[14:15], v[16:17] offset0:12 offset1:13
	ds_write2_b64 v104, v[10:11], v[12:13] offset0:14 offset1:15
	ds_write2_b64 v104, v[2:3], v[4:5] offset0:16 offset1:17
	ds_write2_b64 v104, v[6:7], v[8:9] offset0:18 offset1:19
	ds_read2_b64 v[50:53], v1 offset1:1
	s_waitcnt lgkmcnt(0)
	v_cmp_neq_f64_e32 vcc, 0, v[50:51]
	v_cmp_neq_f64_e64 s[2:3], 0, v[52:53]
	s_or_b64 s[2:3], vcc, s[2:3]
	s_and_b64 exec, exec, s[2:3]
	s_cbranch_execz .LBB19_26
; %bb.21:
	v_cmp_ngt_f64_e64 s[2:3], |v[50:51]|, |v[52:53]|
                                        ; implicit-def: $vgpr54_vgpr55
	s_and_saveexec_b64 s[6:7], s[2:3]
	s_xor_b64 s[2:3], exec, s[6:7]
                                        ; implicit-def: $vgpr56_vgpr57
	s_cbranch_execz .LBB19_23
; %bb.22:
	v_div_scale_f64 v[54:55], s[6:7], v[52:53], v[52:53], v[50:51]
	v_rcp_f64_e32 v[56:57], v[54:55]
	v_fma_f64 v[58:59], -v[54:55], v[56:57], 1.0
	v_fma_f64 v[56:57], v[56:57], v[58:59], v[56:57]
	v_div_scale_f64 v[58:59], vcc, v[50:51], v[52:53], v[50:51]
	v_fma_f64 v[60:61], -v[54:55], v[56:57], 1.0
	v_fma_f64 v[56:57], v[56:57], v[60:61], v[56:57]
	v_mul_f64 v[60:61], v[58:59], v[56:57]
	v_fma_f64 v[54:55], -v[54:55], v[60:61], v[58:59]
	v_div_fmas_f64 v[54:55], v[54:55], v[56:57], v[60:61]
	v_div_fixup_f64 v[54:55], v[54:55], v[52:53], v[50:51]
	v_fma_f64 v[50:51], v[50:51], v[54:55], v[52:53]
	v_div_scale_f64 v[52:53], s[6:7], v[50:51], v[50:51], 1.0
	v_div_scale_f64 v[60:61], vcc, 1.0, v[50:51], 1.0
	v_rcp_f64_e32 v[56:57], v[52:53]
	v_fma_f64 v[58:59], -v[52:53], v[56:57], 1.0
	v_fma_f64 v[56:57], v[56:57], v[58:59], v[56:57]
	v_fma_f64 v[58:59], -v[52:53], v[56:57], 1.0
	v_fma_f64 v[56:57], v[56:57], v[58:59], v[56:57]
	v_mul_f64 v[58:59], v[60:61], v[56:57]
	v_fma_f64 v[52:53], -v[52:53], v[58:59], v[60:61]
	v_div_fmas_f64 v[52:53], v[52:53], v[56:57], v[58:59]
	v_div_fixup_f64 v[56:57], v[52:53], v[50:51], 1.0
                                        ; implicit-def: $vgpr50_vgpr51
	v_mul_f64 v[54:55], v[54:55], v[56:57]
	v_xor_b32_e32 v57, 0x80000000, v57
.LBB19_23:
	s_andn2_saveexec_b64 s[2:3], s[2:3]
	s_cbranch_execz .LBB19_25
; %bb.24:
	v_div_scale_f64 v[54:55], s[6:7], v[50:51], v[50:51], v[52:53]
	v_rcp_f64_e32 v[56:57], v[54:55]
	v_fma_f64 v[58:59], -v[54:55], v[56:57], 1.0
	v_fma_f64 v[56:57], v[56:57], v[58:59], v[56:57]
	v_div_scale_f64 v[58:59], vcc, v[52:53], v[50:51], v[52:53]
	v_fma_f64 v[60:61], -v[54:55], v[56:57], 1.0
	v_fma_f64 v[56:57], v[56:57], v[60:61], v[56:57]
	v_mul_f64 v[60:61], v[58:59], v[56:57]
	v_fma_f64 v[54:55], -v[54:55], v[60:61], v[58:59]
	v_div_fmas_f64 v[54:55], v[54:55], v[56:57], v[60:61]
	v_div_fixup_f64 v[56:57], v[54:55], v[50:51], v[52:53]
	v_fma_f64 v[50:51], v[52:53], v[56:57], v[50:51]
	v_div_scale_f64 v[52:53], s[6:7], v[50:51], v[50:51], 1.0
	v_div_scale_f64 v[60:61], vcc, 1.0, v[50:51], 1.0
	v_rcp_f64_e32 v[54:55], v[52:53]
	v_fma_f64 v[58:59], -v[52:53], v[54:55], 1.0
	v_fma_f64 v[54:55], v[54:55], v[58:59], v[54:55]
	v_fma_f64 v[58:59], -v[52:53], v[54:55], 1.0
	v_fma_f64 v[54:55], v[54:55], v[58:59], v[54:55]
	v_mul_f64 v[58:59], v[60:61], v[54:55]
	v_fma_f64 v[52:53], -v[52:53], v[58:59], v[60:61]
	v_div_fmas_f64 v[52:53], v[52:53], v[54:55], v[58:59]
	v_div_fixup_f64 v[54:55], v[52:53], v[50:51], 1.0
	v_mul_f64 v[56:57], v[56:57], -v[54:55]
.LBB19_25:
	s_or_b64 exec, exec, s[2:3]
	ds_write2_b64 v1, v[54:55], v[56:57] offset1:1
.LBB19_26:
	s_or_b64 exec, exec, s[4:5]
	s_waitcnt lgkmcnt(0)
	s_barrier
	ds_read2_b64 v[50:53], v1 offset1:1
	v_cmp_lt_u32_e32 vcc, 2, v0
	s_and_saveexec_b64 s[2:3], vcc
	s_cbranch_execz .LBB19_28
; %bb.27:
	s_waitcnt lgkmcnt(0)
	v_mul_f64 v[54:55], v[50:51], v[32:33]
	v_mul_f64 v[32:33], v[52:53], v[32:33]
	v_fma_f64 v[105:106], v[52:53], v[30:31], v[54:55]
	ds_read2_b64 v[54:57], v104 offset0:6 offset1:7
	ds_read2_b64 v[58:61], v104 offset0:8 offset1:9
	;; [unrolled: 1-line block ×7, first 2 shown]
	v_fma_f64 v[30:31], v[50:51], v[30:31], -v[32:33]
	s_waitcnt lgkmcnt(6)
	v_mul_f64 v[32:33], v[56:57], v[105:106]
	v_mul_f64 v[107:108], v[54:55], v[105:106]
	s_waitcnt lgkmcnt(5)
	v_mul_f64 v[109:110], v[60:61], v[105:106]
	v_mul_f64 v[111:112], v[58:59], v[105:106]
	s_waitcnt lgkmcnt(4)
	v_mul_f64 v[113:114], v[64:65], v[105:106]
	v_mul_f64 v[115:116], v[62:63], v[105:106]
	s_waitcnt lgkmcnt(3)
	v_mul_f64 v[117:118], v[68:69], v[105:106]
	v_mul_f64 v[119:120], v[66:67], v[105:106]
	v_fma_f64 v[32:33], v[54:55], v[30:31], -v[32:33]
	v_fma_f64 v[54:55], v[56:57], v[30:31], v[107:108]
	v_fma_f64 v[56:57], v[58:59], v[30:31], -v[109:110]
	v_fma_f64 v[58:59], v[60:61], v[30:31], v[111:112]
	;; [unrolled: 2-line block ×3, first 2 shown]
	s_waitcnt lgkmcnt(2)
	v_mul_f64 v[64:65], v[72:73], v[105:106]
	v_mul_f64 v[107:108], v[70:71], v[105:106]
	v_add_f64 v[26:27], v[26:27], -v[32:33]
	v_add_f64 v[28:29], v[28:29], -v[54:55]
	;; [unrolled: 1-line block ×4, first 2 shown]
	s_waitcnt lgkmcnt(1)
	v_mul_f64 v[32:33], v[76:77], v[105:106]
	v_mul_f64 v[54:55], v[74:75], v[105:106]
	s_waitcnt lgkmcnt(0)
	v_mul_f64 v[56:57], v[80:81], v[105:106]
	v_mul_f64 v[58:59], v[78:79], v[105:106]
	v_add_f64 v[18:19], v[18:19], -v[60:61]
	v_add_f64 v[20:21], v[20:21], -v[62:63]
	v_fma_f64 v[60:61], v[66:67], v[30:31], -v[117:118]
	v_fma_f64 v[62:63], v[68:69], v[30:31], v[119:120]
	v_fma_f64 v[64:65], v[70:71], v[30:31], -v[64:65]
	v_fma_f64 v[66:67], v[72:73], v[30:31], v[107:108]
	;; [unrolled: 2-line block ×4, first 2 shown]
	v_add_f64 v[14:15], v[14:15], -v[60:61]
	v_add_f64 v[16:17], v[16:17], -v[62:63]
	;; [unrolled: 1-line block ×8, first 2 shown]
	v_mov_b32_e32 v32, v105
	v_mov_b32_e32 v33, v106
.LBB19_28:
	s_or_b64 exec, exec, s[2:3]
	v_cmp_eq_u32_e32 vcc, 3, v0
	s_waitcnt lgkmcnt(0)
	s_barrier
	s_and_saveexec_b64 s[4:5], vcc
	s_cbranch_execz .LBB19_35
; %bb.29:
	ds_write2_b64 v1, v[26:27], v[28:29] offset1:1
	ds_write2_b64 v104, v[22:23], v[24:25] offset0:8 offset1:9
	ds_write2_b64 v104, v[18:19], v[20:21] offset0:10 offset1:11
	;; [unrolled: 1-line block ×6, first 2 shown]
	ds_read2_b64 v[54:57], v1 offset1:1
	s_waitcnt lgkmcnt(0)
	v_cmp_neq_f64_e32 vcc, 0, v[54:55]
	v_cmp_neq_f64_e64 s[2:3], 0, v[56:57]
	s_or_b64 s[2:3], vcc, s[2:3]
	s_and_b64 exec, exec, s[2:3]
	s_cbranch_execz .LBB19_35
; %bb.30:
	v_cmp_ngt_f64_e64 s[2:3], |v[54:55]|, |v[56:57]|
                                        ; implicit-def: $vgpr58_vgpr59
	s_and_saveexec_b64 s[6:7], s[2:3]
	s_xor_b64 s[2:3], exec, s[6:7]
                                        ; implicit-def: $vgpr60_vgpr61
	s_cbranch_execz .LBB19_32
; %bb.31:
	v_div_scale_f64 v[58:59], s[6:7], v[56:57], v[56:57], v[54:55]
	v_rcp_f64_e32 v[60:61], v[58:59]
	v_fma_f64 v[62:63], -v[58:59], v[60:61], 1.0
	v_fma_f64 v[60:61], v[60:61], v[62:63], v[60:61]
	v_div_scale_f64 v[62:63], vcc, v[54:55], v[56:57], v[54:55]
	v_fma_f64 v[64:65], -v[58:59], v[60:61], 1.0
	v_fma_f64 v[60:61], v[60:61], v[64:65], v[60:61]
	v_mul_f64 v[64:65], v[62:63], v[60:61]
	v_fma_f64 v[58:59], -v[58:59], v[64:65], v[62:63]
	v_div_fmas_f64 v[58:59], v[58:59], v[60:61], v[64:65]
	v_div_fixup_f64 v[58:59], v[58:59], v[56:57], v[54:55]
	v_fma_f64 v[54:55], v[54:55], v[58:59], v[56:57]
	v_div_scale_f64 v[56:57], s[6:7], v[54:55], v[54:55], 1.0
	v_div_scale_f64 v[64:65], vcc, 1.0, v[54:55], 1.0
	v_rcp_f64_e32 v[60:61], v[56:57]
	v_fma_f64 v[62:63], -v[56:57], v[60:61], 1.0
	v_fma_f64 v[60:61], v[60:61], v[62:63], v[60:61]
	v_fma_f64 v[62:63], -v[56:57], v[60:61], 1.0
	v_fma_f64 v[60:61], v[60:61], v[62:63], v[60:61]
	v_mul_f64 v[62:63], v[64:65], v[60:61]
	v_fma_f64 v[56:57], -v[56:57], v[62:63], v[64:65]
	v_div_fmas_f64 v[56:57], v[56:57], v[60:61], v[62:63]
	v_div_fixup_f64 v[60:61], v[56:57], v[54:55], 1.0
                                        ; implicit-def: $vgpr54_vgpr55
	v_mul_f64 v[58:59], v[58:59], v[60:61]
	v_xor_b32_e32 v61, 0x80000000, v61
.LBB19_32:
	s_andn2_saveexec_b64 s[2:3], s[2:3]
	s_cbranch_execz .LBB19_34
; %bb.33:
	v_div_scale_f64 v[58:59], s[6:7], v[54:55], v[54:55], v[56:57]
	v_rcp_f64_e32 v[60:61], v[58:59]
	v_fma_f64 v[62:63], -v[58:59], v[60:61], 1.0
	v_fma_f64 v[60:61], v[60:61], v[62:63], v[60:61]
	v_div_scale_f64 v[62:63], vcc, v[56:57], v[54:55], v[56:57]
	v_fma_f64 v[64:65], -v[58:59], v[60:61], 1.0
	v_fma_f64 v[60:61], v[60:61], v[64:65], v[60:61]
	v_mul_f64 v[64:65], v[62:63], v[60:61]
	v_fma_f64 v[58:59], -v[58:59], v[64:65], v[62:63]
	v_div_fmas_f64 v[58:59], v[58:59], v[60:61], v[64:65]
	v_div_fixup_f64 v[60:61], v[58:59], v[54:55], v[56:57]
	v_fma_f64 v[54:55], v[56:57], v[60:61], v[54:55]
	v_div_scale_f64 v[56:57], s[6:7], v[54:55], v[54:55], 1.0
	v_div_scale_f64 v[64:65], vcc, 1.0, v[54:55], 1.0
	v_rcp_f64_e32 v[58:59], v[56:57]
	v_fma_f64 v[62:63], -v[56:57], v[58:59], 1.0
	v_fma_f64 v[58:59], v[58:59], v[62:63], v[58:59]
	v_fma_f64 v[62:63], -v[56:57], v[58:59], 1.0
	v_fma_f64 v[58:59], v[58:59], v[62:63], v[58:59]
	v_mul_f64 v[62:63], v[64:65], v[58:59]
	v_fma_f64 v[56:57], -v[56:57], v[62:63], v[64:65]
	v_div_fmas_f64 v[56:57], v[56:57], v[58:59], v[62:63]
	v_div_fixup_f64 v[58:59], v[56:57], v[54:55], 1.0
	v_mul_f64 v[60:61], v[60:61], -v[58:59]
.LBB19_34:
	s_or_b64 exec, exec, s[2:3]
	ds_write2_b64 v1, v[58:59], v[60:61] offset1:1
.LBB19_35:
	s_or_b64 exec, exec, s[4:5]
	s_waitcnt lgkmcnt(0)
	s_barrier
	ds_read2_b64 v[54:57], v1 offset1:1
	v_cmp_lt_u32_e32 vcc, 3, v0
	s_and_saveexec_b64 s[2:3], vcc
	s_cbranch_execz .LBB19_37
; %bb.36:
	s_waitcnt lgkmcnt(0)
	v_mul_f64 v[58:59], v[54:55], v[28:29]
	v_mul_f64 v[28:29], v[56:57], v[28:29]
	ds_read2_b64 v[60:63], v104 offset0:8 offset1:9
	v_fma_f64 v[58:59], v[56:57], v[26:27], v[58:59]
	v_fma_f64 v[26:27], v[54:55], v[26:27], -v[28:29]
	s_waitcnt lgkmcnt(0)
	v_mul_f64 v[28:29], v[62:63], v[58:59]
	v_fma_f64 v[28:29], v[60:61], v[26:27], -v[28:29]
	v_mul_f64 v[60:61], v[60:61], v[58:59]
	v_add_f64 v[22:23], v[22:23], -v[28:29]
	v_fma_f64 v[60:61], v[62:63], v[26:27], v[60:61]
	v_add_f64 v[24:25], v[24:25], -v[60:61]
	ds_read2_b64 v[60:63], v104 offset0:10 offset1:11
	s_waitcnt lgkmcnt(0)
	v_mul_f64 v[28:29], v[62:63], v[58:59]
	v_fma_f64 v[28:29], v[60:61], v[26:27], -v[28:29]
	v_mul_f64 v[60:61], v[60:61], v[58:59]
	v_add_f64 v[18:19], v[18:19], -v[28:29]
	v_fma_f64 v[60:61], v[62:63], v[26:27], v[60:61]
	v_add_f64 v[20:21], v[20:21], -v[60:61]
	ds_read2_b64 v[60:63], v104 offset0:12 offset1:13
	s_waitcnt lgkmcnt(0)
	v_mul_f64 v[28:29], v[62:63], v[58:59]
	v_fma_f64 v[28:29], v[60:61], v[26:27], -v[28:29]
	v_mul_f64 v[60:61], v[60:61], v[58:59]
	v_add_f64 v[14:15], v[14:15], -v[28:29]
	v_fma_f64 v[60:61], v[62:63], v[26:27], v[60:61]
	v_add_f64 v[16:17], v[16:17], -v[60:61]
	ds_read2_b64 v[60:63], v104 offset0:14 offset1:15
	s_waitcnt lgkmcnt(0)
	v_mul_f64 v[28:29], v[62:63], v[58:59]
	v_fma_f64 v[28:29], v[60:61], v[26:27], -v[28:29]
	v_mul_f64 v[60:61], v[60:61], v[58:59]
	v_add_f64 v[10:11], v[10:11], -v[28:29]
	v_fma_f64 v[60:61], v[62:63], v[26:27], v[60:61]
	v_add_f64 v[12:13], v[12:13], -v[60:61]
	ds_read2_b64 v[60:63], v104 offset0:16 offset1:17
	s_waitcnt lgkmcnt(0)
	v_mul_f64 v[28:29], v[62:63], v[58:59]
	v_fma_f64 v[28:29], v[60:61], v[26:27], -v[28:29]
	v_mul_f64 v[60:61], v[60:61], v[58:59]
	v_add_f64 v[2:3], v[2:3], -v[28:29]
	v_fma_f64 v[60:61], v[62:63], v[26:27], v[60:61]
	v_add_f64 v[4:5], v[4:5], -v[60:61]
	ds_read2_b64 v[60:63], v104 offset0:18 offset1:19
	s_waitcnt lgkmcnt(0)
	v_mul_f64 v[28:29], v[62:63], v[58:59]
	v_fma_f64 v[28:29], v[60:61], v[26:27], -v[28:29]
	v_mul_f64 v[60:61], v[60:61], v[58:59]
	v_add_f64 v[6:7], v[6:7], -v[28:29]
	v_fma_f64 v[60:61], v[62:63], v[26:27], v[60:61]
	v_mov_b32_e32 v28, v58
	v_mov_b32_e32 v29, v59
	v_add_f64 v[8:9], v[8:9], -v[60:61]
.LBB19_37:
	s_or_b64 exec, exec, s[2:3]
	v_cmp_eq_u32_e32 vcc, 4, v0
	s_waitcnt lgkmcnt(0)
	s_barrier
	s_and_saveexec_b64 s[4:5], vcc
	s_cbranch_execz .LBB19_44
; %bb.38:
	ds_write2_b64 v1, v[22:23], v[24:25] offset1:1
	ds_write2_b64 v104, v[18:19], v[20:21] offset0:10 offset1:11
	ds_write2_b64 v104, v[14:15], v[16:17] offset0:12 offset1:13
	;; [unrolled: 1-line block ×5, first 2 shown]
	ds_read2_b64 v[58:61], v1 offset1:1
	s_waitcnt lgkmcnt(0)
	v_cmp_neq_f64_e32 vcc, 0, v[58:59]
	v_cmp_neq_f64_e64 s[2:3], 0, v[60:61]
	s_or_b64 s[2:3], vcc, s[2:3]
	s_and_b64 exec, exec, s[2:3]
	s_cbranch_execz .LBB19_44
; %bb.39:
	v_cmp_ngt_f64_e64 s[2:3], |v[58:59]|, |v[60:61]|
                                        ; implicit-def: $vgpr62_vgpr63
	s_and_saveexec_b64 s[6:7], s[2:3]
	s_xor_b64 s[2:3], exec, s[6:7]
                                        ; implicit-def: $vgpr64_vgpr65
	s_cbranch_execz .LBB19_41
; %bb.40:
	v_div_scale_f64 v[62:63], s[6:7], v[60:61], v[60:61], v[58:59]
	v_rcp_f64_e32 v[64:65], v[62:63]
	v_fma_f64 v[66:67], -v[62:63], v[64:65], 1.0
	v_fma_f64 v[64:65], v[64:65], v[66:67], v[64:65]
	v_div_scale_f64 v[66:67], vcc, v[58:59], v[60:61], v[58:59]
	v_fma_f64 v[68:69], -v[62:63], v[64:65], 1.0
	v_fma_f64 v[64:65], v[64:65], v[68:69], v[64:65]
	v_mul_f64 v[68:69], v[66:67], v[64:65]
	v_fma_f64 v[62:63], -v[62:63], v[68:69], v[66:67]
	v_div_fmas_f64 v[62:63], v[62:63], v[64:65], v[68:69]
	v_div_fixup_f64 v[62:63], v[62:63], v[60:61], v[58:59]
	v_fma_f64 v[58:59], v[58:59], v[62:63], v[60:61]
	v_div_scale_f64 v[60:61], s[6:7], v[58:59], v[58:59], 1.0
	v_div_scale_f64 v[68:69], vcc, 1.0, v[58:59], 1.0
	v_rcp_f64_e32 v[64:65], v[60:61]
	v_fma_f64 v[66:67], -v[60:61], v[64:65], 1.0
	v_fma_f64 v[64:65], v[64:65], v[66:67], v[64:65]
	v_fma_f64 v[66:67], -v[60:61], v[64:65], 1.0
	v_fma_f64 v[64:65], v[64:65], v[66:67], v[64:65]
	v_mul_f64 v[66:67], v[68:69], v[64:65]
	v_fma_f64 v[60:61], -v[60:61], v[66:67], v[68:69]
	v_div_fmas_f64 v[60:61], v[60:61], v[64:65], v[66:67]
	v_div_fixup_f64 v[64:65], v[60:61], v[58:59], 1.0
                                        ; implicit-def: $vgpr58_vgpr59
	v_mul_f64 v[62:63], v[62:63], v[64:65]
	v_xor_b32_e32 v65, 0x80000000, v65
.LBB19_41:
	s_andn2_saveexec_b64 s[2:3], s[2:3]
	s_cbranch_execz .LBB19_43
; %bb.42:
	v_div_scale_f64 v[62:63], s[6:7], v[58:59], v[58:59], v[60:61]
	v_rcp_f64_e32 v[64:65], v[62:63]
	v_fma_f64 v[66:67], -v[62:63], v[64:65], 1.0
	v_fma_f64 v[64:65], v[64:65], v[66:67], v[64:65]
	v_div_scale_f64 v[66:67], vcc, v[60:61], v[58:59], v[60:61]
	v_fma_f64 v[68:69], -v[62:63], v[64:65], 1.0
	v_fma_f64 v[64:65], v[64:65], v[68:69], v[64:65]
	v_mul_f64 v[68:69], v[66:67], v[64:65]
	v_fma_f64 v[62:63], -v[62:63], v[68:69], v[66:67]
	v_div_fmas_f64 v[62:63], v[62:63], v[64:65], v[68:69]
	v_div_fixup_f64 v[64:65], v[62:63], v[58:59], v[60:61]
	v_fma_f64 v[58:59], v[60:61], v[64:65], v[58:59]
	v_div_scale_f64 v[60:61], s[6:7], v[58:59], v[58:59], 1.0
	v_div_scale_f64 v[68:69], vcc, 1.0, v[58:59], 1.0
	v_rcp_f64_e32 v[62:63], v[60:61]
	v_fma_f64 v[66:67], -v[60:61], v[62:63], 1.0
	v_fma_f64 v[62:63], v[62:63], v[66:67], v[62:63]
	v_fma_f64 v[66:67], -v[60:61], v[62:63], 1.0
	v_fma_f64 v[62:63], v[62:63], v[66:67], v[62:63]
	v_mul_f64 v[66:67], v[68:69], v[62:63]
	v_fma_f64 v[60:61], -v[60:61], v[66:67], v[68:69]
	v_div_fmas_f64 v[60:61], v[60:61], v[62:63], v[66:67]
	v_div_fixup_f64 v[62:63], v[60:61], v[58:59], 1.0
	v_mul_f64 v[64:65], v[64:65], -v[62:63]
.LBB19_43:
	s_or_b64 exec, exec, s[2:3]
	ds_write2_b64 v1, v[62:63], v[64:65] offset1:1
.LBB19_44:
	s_or_b64 exec, exec, s[4:5]
	s_waitcnt lgkmcnt(0)
	s_barrier
	ds_read2_b64 v[58:61], v1 offset1:1
	v_cmp_lt_u32_e32 vcc, 4, v0
	s_and_saveexec_b64 s[2:3], vcc
	s_cbranch_execz .LBB19_46
; %bb.45:
	s_waitcnt lgkmcnt(0)
	v_mul_f64 v[62:63], v[58:59], v[24:25]
	v_mul_f64 v[24:25], v[60:61], v[24:25]
	v_fma_f64 v[105:106], v[60:61], v[22:23], v[62:63]
	ds_read2_b64 v[62:65], v104 offset0:10 offset1:11
	ds_read2_b64 v[66:69], v104 offset0:12 offset1:13
	;; [unrolled: 1-line block ×5, first 2 shown]
	v_fma_f64 v[22:23], v[58:59], v[22:23], -v[24:25]
	s_waitcnt lgkmcnt(4)
	v_mul_f64 v[24:25], v[64:65], v[105:106]
	v_mul_f64 v[107:108], v[62:63], v[105:106]
	s_waitcnt lgkmcnt(3)
	v_mul_f64 v[109:110], v[68:69], v[105:106]
	v_mul_f64 v[111:112], v[66:67], v[105:106]
	;; [unrolled: 3-line block ×5, first 2 shown]
	v_fma_f64 v[24:25], v[62:63], v[22:23], -v[24:25]
	v_fma_f64 v[62:63], v[64:65], v[22:23], v[107:108]
	v_fma_f64 v[64:65], v[66:67], v[22:23], -v[109:110]
	v_fma_f64 v[66:67], v[68:69], v[22:23], v[111:112]
	;; [unrolled: 2-line block ×5, first 2 shown]
	v_add_f64 v[18:19], v[18:19], -v[24:25]
	v_add_f64 v[20:21], v[20:21], -v[62:63]
	v_add_f64 v[14:15], v[14:15], -v[64:65]
	v_add_f64 v[16:17], v[16:17], -v[66:67]
	v_add_f64 v[10:11], v[10:11], -v[68:69]
	v_add_f64 v[12:13], v[12:13], -v[70:71]
	v_add_f64 v[2:3], v[2:3], -v[72:73]
	v_add_f64 v[4:5], v[4:5], -v[74:75]
	v_add_f64 v[6:7], v[6:7], -v[76:77]
	v_add_f64 v[8:9], v[8:9], -v[78:79]
	v_mov_b32_e32 v24, v105
	v_mov_b32_e32 v25, v106
.LBB19_46:
	s_or_b64 exec, exec, s[2:3]
	v_cmp_eq_u32_e32 vcc, 5, v0
	s_waitcnt lgkmcnt(0)
	s_barrier
	s_and_saveexec_b64 s[4:5], vcc
	s_cbranch_execz .LBB19_53
; %bb.47:
	ds_write2_b64 v1, v[18:19], v[20:21] offset1:1
	ds_write2_b64 v104, v[14:15], v[16:17] offset0:12 offset1:13
	ds_write2_b64 v104, v[10:11], v[12:13] offset0:14 offset1:15
	ds_write2_b64 v104, v[2:3], v[4:5] offset0:16 offset1:17
	ds_write2_b64 v104, v[6:7], v[8:9] offset0:18 offset1:19
	ds_read2_b64 v[62:65], v1 offset1:1
	s_waitcnt lgkmcnt(0)
	v_cmp_neq_f64_e32 vcc, 0, v[62:63]
	v_cmp_neq_f64_e64 s[2:3], 0, v[64:65]
	s_or_b64 s[2:3], vcc, s[2:3]
	s_and_b64 exec, exec, s[2:3]
	s_cbranch_execz .LBB19_53
; %bb.48:
	v_cmp_ngt_f64_e64 s[2:3], |v[62:63]|, |v[64:65]|
                                        ; implicit-def: $vgpr66_vgpr67
	s_and_saveexec_b64 s[6:7], s[2:3]
	s_xor_b64 s[2:3], exec, s[6:7]
                                        ; implicit-def: $vgpr68_vgpr69
	s_cbranch_execz .LBB19_50
; %bb.49:
	v_div_scale_f64 v[66:67], s[6:7], v[64:65], v[64:65], v[62:63]
	v_rcp_f64_e32 v[68:69], v[66:67]
	v_fma_f64 v[70:71], -v[66:67], v[68:69], 1.0
	v_fma_f64 v[68:69], v[68:69], v[70:71], v[68:69]
	v_div_scale_f64 v[70:71], vcc, v[62:63], v[64:65], v[62:63]
	v_fma_f64 v[72:73], -v[66:67], v[68:69], 1.0
	v_fma_f64 v[68:69], v[68:69], v[72:73], v[68:69]
	v_mul_f64 v[72:73], v[70:71], v[68:69]
	v_fma_f64 v[66:67], -v[66:67], v[72:73], v[70:71]
	v_div_fmas_f64 v[66:67], v[66:67], v[68:69], v[72:73]
	v_div_fixup_f64 v[66:67], v[66:67], v[64:65], v[62:63]
	v_fma_f64 v[62:63], v[62:63], v[66:67], v[64:65]
	v_div_scale_f64 v[64:65], s[6:7], v[62:63], v[62:63], 1.0
	v_div_scale_f64 v[72:73], vcc, 1.0, v[62:63], 1.0
	v_rcp_f64_e32 v[68:69], v[64:65]
	v_fma_f64 v[70:71], -v[64:65], v[68:69], 1.0
	v_fma_f64 v[68:69], v[68:69], v[70:71], v[68:69]
	v_fma_f64 v[70:71], -v[64:65], v[68:69], 1.0
	v_fma_f64 v[68:69], v[68:69], v[70:71], v[68:69]
	v_mul_f64 v[70:71], v[72:73], v[68:69]
	v_fma_f64 v[64:65], -v[64:65], v[70:71], v[72:73]
	v_div_fmas_f64 v[64:65], v[64:65], v[68:69], v[70:71]
	v_div_fixup_f64 v[68:69], v[64:65], v[62:63], 1.0
                                        ; implicit-def: $vgpr62_vgpr63
	v_mul_f64 v[66:67], v[66:67], v[68:69]
	v_xor_b32_e32 v69, 0x80000000, v69
.LBB19_50:
	s_andn2_saveexec_b64 s[2:3], s[2:3]
	s_cbranch_execz .LBB19_52
; %bb.51:
	v_div_scale_f64 v[66:67], s[6:7], v[62:63], v[62:63], v[64:65]
	v_rcp_f64_e32 v[68:69], v[66:67]
	v_fma_f64 v[70:71], -v[66:67], v[68:69], 1.0
	v_fma_f64 v[68:69], v[68:69], v[70:71], v[68:69]
	v_div_scale_f64 v[70:71], vcc, v[64:65], v[62:63], v[64:65]
	v_fma_f64 v[72:73], -v[66:67], v[68:69], 1.0
	v_fma_f64 v[68:69], v[68:69], v[72:73], v[68:69]
	v_mul_f64 v[72:73], v[70:71], v[68:69]
	v_fma_f64 v[66:67], -v[66:67], v[72:73], v[70:71]
	v_div_fmas_f64 v[66:67], v[66:67], v[68:69], v[72:73]
	v_div_fixup_f64 v[68:69], v[66:67], v[62:63], v[64:65]
	v_fma_f64 v[62:63], v[64:65], v[68:69], v[62:63]
	v_div_scale_f64 v[64:65], s[6:7], v[62:63], v[62:63], 1.0
	v_div_scale_f64 v[72:73], vcc, 1.0, v[62:63], 1.0
	v_rcp_f64_e32 v[66:67], v[64:65]
	v_fma_f64 v[70:71], -v[64:65], v[66:67], 1.0
	v_fma_f64 v[66:67], v[66:67], v[70:71], v[66:67]
	v_fma_f64 v[70:71], -v[64:65], v[66:67], 1.0
	v_fma_f64 v[66:67], v[66:67], v[70:71], v[66:67]
	v_mul_f64 v[70:71], v[72:73], v[66:67]
	v_fma_f64 v[64:65], -v[64:65], v[70:71], v[72:73]
	v_div_fmas_f64 v[64:65], v[64:65], v[66:67], v[70:71]
	v_div_fixup_f64 v[66:67], v[64:65], v[62:63], 1.0
	v_mul_f64 v[68:69], v[68:69], -v[66:67]
.LBB19_52:
	s_or_b64 exec, exec, s[2:3]
	ds_write2_b64 v1, v[66:67], v[68:69] offset1:1
.LBB19_53:
	s_or_b64 exec, exec, s[4:5]
	s_waitcnt lgkmcnt(0)
	s_barrier
	ds_read2_b64 v[62:65], v1 offset1:1
	v_cmp_lt_u32_e32 vcc, 5, v0
	s_and_saveexec_b64 s[2:3], vcc
	s_cbranch_execz .LBB19_55
; %bb.54:
	s_waitcnt lgkmcnt(0)
	v_mul_f64 v[66:67], v[62:63], v[20:21]
	v_mul_f64 v[20:21], v[64:65], v[20:21]
	v_fma_f64 v[105:106], v[64:65], v[18:19], v[66:67]
	ds_read2_b64 v[66:69], v104 offset0:12 offset1:13
	ds_read2_b64 v[70:73], v104 offset0:14 offset1:15
	;; [unrolled: 1-line block ×4, first 2 shown]
	v_fma_f64 v[18:19], v[62:63], v[18:19], -v[20:21]
	s_waitcnt lgkmcnt(3)
	v_mul_f64 v[20:21], v[68:69], v[105:106]
	v_mul_f64 v[107:108], v[66:67], v[105:106]
	s_waitcnt lgkmcnt(2)
	v_mul_f64 v[109:110], v[72:73], v[105:106]
	v_mul_f64 v[111:112], v[70:71], v[105:106]
	;; [unrolled: 3-line block ×4, first 2 shown]
	v_fma_f64 v[20:21], v[66:67], v[18:19], -v[20:21]
	v_fma_f64 v[66:67], v[68:69], v[18:19], v[107:108]
	v_fma_f64 v[68:69], v[70:71], v[18:19], -v[109:110]
	v_fma_f64 v[70:71], v[72:73], v[18:19], v[111:112]
	;; [unrolled: 2-line block ×4, first 2 shown]
	v_add_f64 v[14:15], v[14:15], -v[20:21]
	v_add_f64 v[16:17], v[16:17], -v[66:67]
	;; [unrolled: 1-line block ×8, first 2 shown]
	v_mov_b32_e32 v20, v105
	v_mov_b32_e32 v21, v106
.LBB19_55:
	s_or_b64 exec, exec, s[2:3]
	v_cmp_eq_u32_e32 vcc, 6, v0
	s_waitcnt lgkmcnt(0)
	s_barrier
	s_and_saveexec_b64 s[4:5], vcc
	s_cbranch_execz .LBB19_62
; %bb.56:
	ds_write2_b64 v1, v[14:15], v[16:17] offset1:1
	ds_write2_b64 v104, v[10:11], v[12:13] offset0:14 offset1:15
	ds_write2_b64 v104, v[2:3], v[4:5] offset0:16 offset1:17
	;; [unrolled: 1-line block ×3, first 2 shown]
	ds_read2_b64 v[66:69], v1 offset1:1
	s_waitcnt lgkmcnt(0)
	v_cmp_neq_f64_e32 vcc, 0, v[66:67]
	v_cmp_neq_f64_e64 s[2:3], 0, v[68:69]
	s_or_b64 s[2:3], vcc, s[2:3]
	s_and_b64 exec, exec, s[2:3]
	s_cbranch_execz .LBB19_62
; %bb.57:
	v_cmp_ngt_f64_e64 s[2:3], |v[66:67]|, |v[68:69]|
                                        ; implicit-def: $vgpr70_vgpr71
	s_and_saveexec_b64 s[6:7], s[2:3]
	s_xor_b64 s[2:3], exec, s[6:7]
                                        ; implicit-def: $vgpr72_vgpr73
	s_cbranch_execz .LBB19_59
; %bb.58:
	v_div_scale_f64 v[70:71], s[6:7], v[68:69], v[68:69], v[66:67]
	v_rcp_f64_e32 v[72:73], v[70:71]
	v_fma_f64 v[74:75], -v[70:71], v[72:73], 1.0
	v_fma_f64 v[72:73], v[72:73], v[74:75], v[72:73]
	v_div_scale_f64 v[74:75], vcc, v[66:67], v[68:69], v[66:67]
	v_fma_f64 v[76:77], -v[70:71], v[72:73], 1.0
	v_fma_f64 v[72:73], v[72:73], v[76:77], v[72:73]
	v_mul_f64 v[76:77], v[74:75], v[72:73]
	v_fma_f64 v[70:71], -v[70:71], v[76:77], v[74:75]
	v_div_fmas_f64 v[70:71], v[70:71], v[72:73], v[76:77]
	v_div_fixup_f64 v[70:71], v[70:71], v[68:69], v[66:67]
	v_fma_f64 v[66:67], v[66:67], v[70:71], v[68:69]
	v_div_scale_f64 v[68:69], s[6:7], v[66:67], v[66:67], 1.0
	v_div_scale_f64 v[76:77], vcc, 1.0, v[66:67], 1.0
	v_rcp_f64_e32 v[72:73], v[68:69]
	v_fma_f64 v[74:75], -v[68:69], v[72:73], 1.0
	v_fma_f64 v[72:73], v[72:73], v[74:75], v[72:73]
	v_fma_f64 v[74:75], -v[68:69], v[72:73], 1.0
	v_fma_f64 v[72:73], v[72:73], v[74:75], v[72:73]
	v_mul_f64 v[74:75], v[76:77], v[72:73]
	v_fma_f64 v[68:69], -v[68:69], v[74:75], v[76:77]
	v_div_fmas_f64 v[68:69], v[68:69], v[72:73], v[74:75]
	v_div_fixup_f64 v[72:73], v[68:69], v[66:67], 1.0
                                        ; implicit-def: $vgpr66_vgpr67
	v_mul_f64 v[70:71], v[70:71], v[72:73]
	v_xor_b32_e32 v73, 0x80000000, v73
.LBB19_59:
	s_andn2_saveexec_b64 s[2:3], s[2:3]
	s_cbranch_execz .LBB19_61
; %bb.60:
	v_div_scale_f64 v[70:71], s[6:7], v[66:67], v[66:67], v[68:69]
	v_rcp_f64_e32 v[72:73], v[70:71]
	v_fma_f64 v[74:75], -v[70:71], v[72:73], 1.0
	v_fma_f64 v[72:73], v[72:73], v[74:75], v[72:73]
	v_div_scale_f64 v[74:75], vcc, v[68:69], v[66:67], v[68:69]
	v_fma_f64 v[76:77], -v[70:71], v[72:73], 1.0
	v_fma_f64 v[72:73], v[72:73], v[76:77], v[72:73]
	v_mul_f64 v[76:77], v[74:75], v[72:73]
	v_fma_f64 v[70:71], -v[70:71], v[76:77], v[74:75]
	v_div_fmas_f64 v[70:71], v[70:71], v[72:73], v[76:77]
	v_div_fixup_f64 v[72:73], v[70:71], v[66:67], v[68:69]
	v_fma_f64 v[66:67], v[68:69], v[72:73], v[66:67]
	v_div_scale_f64 v[68:69], s[6:7], v[66:67], v[66:67], 1.0
	v_div_scale_f64 v[76:77], vcc, 1.0, v[66:67], 1.0
	v_rcp_f64_e32 v[70:71], v[68:69]
	v_fma_f64 v[74:75], -v[68:69], v[70:71], 1.0
	v_fma_f64 v[70:71], v[70:71], v[74:75], v[70:71]
	v_fma_f64 v[74:75], -v[68:69], v[70:71], 1.0
	v_fma_f64 v[70:71], v[70:71], v[74:75], v[70:71]
	v_mul_f64 v[74:75], v[76:77], v[70:71]
	v_fma_f64 v[68:69], -v[68:69], v[74:75], v[76:77]
	v_div_fmas_f64 v[68:69], v[68:69], v[70:71], v[74:75]
	v_div_fixup_f64 v[70:71], v[68:69], v[66:67], 1.0
	v_mul_f64 v[72:73], v[72:73], -v[70:71]
.LBB19_61:
	s_or_b64 exec, exec, s[2:3]
	ds_write2_b64 v1, v[70:71], v[72:73] offset1:1
.LBB19_62:
	s_or_b64 exec, exec, s[4:5]
	s_waitcnt lgkmcnt(0)
	s_barrier
	ds_read2_b64 v[66:69], v1 offset1:1
	v_cmp_lt_u32_e32 vcc, 6, v0
	s_and_saveexec_b64 s[2:3], vcc
	s_cbranch_execz .LBB19_64
; %bb.63:
	s_waitcnt lgkmcnt(0)
	v_mul_f64 v[70:71], v[66:67], v[16:17]
	v_mul_f64 v[16:17], v[68:69], v[16:17]
	v_fma_f64 v[105:106], v[68:69], v[14:15], v[70:71]
	ds_read2_b64 v[70:73], v104 offset0:14 offset1:15
	ds_read2_b64 v[74:77], v104 offset0:16 offset1:17
	;; [unrolled: 1-line block ×3, first 2 shown]
	v_fma_f64 v[14:15], v[66:67], v[14:15], -v[16:17]
	s_waitcnt lgkmcnt(2)
	v_mul_f64 v[16:17], v[72:73], v[105:106]
	v_mul_f64 v[107:108], v[70:71], v[105:106]
	s_waitcnt lgkmcnt(1)
	v_mul_f64 v[109:110], v[76:77], v[105:106]
	v_mul_f64 v[111:112], v[74:75], v[105:106]
	;; [unrolled: 3-line block ×3, first 2 shown]
	v_fma_f64 v[16:17], v[70:71], v[14:15], -v[16:17]
	v_fma_f64 v[70:71], v[72:73], v[14:15], v[107:108]
	v_fma_f64 v[72:73], v[74:75], v[14:15], -v[109:110]
	v_fma_f64 v[74:75], v[76:77], v[14:15], v[111:112]
	;; [unrolled: 2-line block ×3, first 2 shown]
	v_add_f64 v[10:11], v[10:11], -v[16:17]
	v_add_f64 v[12:13], v[12:13], -v[70:71]
	;; [unrolled: 1-line block ×6, first 2 shown]
	v_mov_b32_e32 v16, v105
	v_mov_b32_e32 v17, v106
.LBB19_64:
	s_or_b64 exec, exec, s[2:3]
	v_cmp_eq_u32_e32 vcc, 7, v0
	s_waitcnt lgkmcnt(0)
	s_barrier
	s_and_saveexec_b64 s[4:5], vcc
	s_cbranch_execz .LBB19_71
; %bb.65:
	ds_write2_b64 v1, v[10:11], v[12:13] offset1:1
	ds_write2_b64 v104, v[2:3], v[4:5] offset0:16 offset1:17
	ds_write2_b64 v104, v[6:7], v[8:9] offset0:18 offset1:19
	ds_read2_b64 v[70:73], v1 offset1:1
	s_waitcnt lgkmcnt(0)
	v_cmp_neq_f64_e32 vcc, 0, v[70:71]
	v_cmp_neq_f64_e64 s[2:3], 0, v[72:73]
	s_or_b64 s[2:3], vcc, s[2:3]
	s_and_b64 exec, exec, s[2:3]
	s_cbranch_execz .LBB19_71
; %bb.66:
	v_cmp_ngt_f64_e64 s[2:3], |v[70:71]|, |v[72:73]|
                                        ; implicit-def: $vgpr74_vgpr75
	s_and_saveexec_b64 s[6:7], s[2:3]
	s_xor_b64 s[2:3], exec, s[6:7]
                                        ; implicit-def: $vgpr76_vgpr77
	s_cbranch_execz .LBB19_68
; %bb.67:
	v_div_scale_f64 v[74:75], s[6:7], v[72:73], v[72:73], v[70:71]
	v_rcp_f64_e32 v[76:77], v[74:75]
	v_fma_f64 v[78:79], -v[74:75], v[76:77], 1.0
	v_fma_f64 v[76:77], v[76:77], v[78:79], v[76:77]
	v_div_scale_f64 v[78:79], vcc, v[70:71], v[72:73], v[70:71]
	v_fma_f64 v[80:81], -v[74:75], v[76:77], 1.0
	v_fma_f64 v[76:77], v[76:77], v[80:81], v[76:77]
	v_mul_f64 v[80:81], v[78:79], v[76:77]
	v_fma_f64 v[74:75], -v[74:75], v[80:81], v[78:79]
	v_div_fmas_f64 v[74:75], v[74:75], v[76:77], v[80:81]
	v_div_fixup_f64 v[74:75], v[74:75], v[72:73], v[70:71]
	v_fma_f64 v[70:71], v[70:71], v[74:75], v[72:73]
	v_div_scale_f64 v[72:73], s[6:7], v[70:71], v[70:71], 1.0
	v_div_scale_f64 v[80:81], vcc, 1.0, v[70:71], 1.0
	v_rcp_f64_e32 v[76:77], v[72:73]
	v_fma_f64 v[78:79], -v[72:73], v[76:77], 1.0
	v_fma_f64 v[76:77], v[76:77], v[78:79], v[76:77]
	v_fma_f64 v[78:79], -v[72:73], v[76:77], 1.0
	v_fma_f64 v[76:77], v[76:77], v[78:79], v[76:77]
	v_mul_f64 v[78:79], v[80:81], v[76:77]
	v_fma_f64 v[72:73], -v[72:73], v[78:79], v[80:81]
	v_div_fmas_f64 v[72:73], v[72:73], v[76:77], v[78:79]
	v_div_fixup_f64 v[76:77], v[72:73], v[70:71], 1.0
                                        ; implicit-def: $vgpr70_vgpr71
	v_mul_f64 v[74:75], v[74:75], v[76:77]
	v_xor_b32_e32 v77, 0x80000000, v77
.LBB19_68:
	s_andn2_saveexec_b64 s[2:3], s[2:3]
	s_cbranch_execz .LBB19_70
; %bb.69:
	v_div_scale_f64 v[74:75], s[6:7], v[70:71], v[70:71], v[72:73]
	v_rcp_f64_e32 v[76:77], v[74:75]
	v_fma_f64 v[78:79], -v[74:75], v[76:77], 1.0
	v_fma_f64 v[76:77], v[76:77], v[78:79], v[76:77]
	v_div_scale_f64 v[78:79], vcc, v[72:73], v[70:71], v[72:73]
	v_fma_f64 v[80:81], -v[74:75], v[76:77], 1.0
	v_fma_f64 v[76:77], v[76:77], v[80:81], v[76:77]
	v_mul_f64 v[80:81], v[78:79], v[76:77]
	v_fma_f64 v[74:75], -v[74:75], v[80:81], v[78:79]
	v_div_fmas_f64 v[74:75], v[74:75], v[76:77], v[80:81]
	v_div_fixup_f64 v[76:77], v[74:75], v[70:71], v[72:73]
	v_fma_f64 v[70:71], v[72:73], v[76:77], v[70:71]
	v_div_scale_f64 v[72:73], s[6:7], v[70:71], v[70:71], 1.0
	v_div_scale_f64 v[80:81], vcc, 1.0, v[70:71], 1.0
	v_rcp_f64_e32 v[74:75], v[72:73]
	v_fma_f64 v[78:79], -v[72:73], v[74:75], 1.0
	v_fma_f64 v[74:75], v[74:75], v[78:79], v[74:75]
	v_fma_f64 v[78:79], -v[72:73], v[74:75], 1.0
	v_fma_f64 v[74:75], v[74:75], v[78:79], v[74:75]
	v_mul_f64 v[78:79], v[80:81], v[74:75]
	v_fma_f64 v[72:73], -v[72:73], v[78:79], v[80:81]
	v_div_fmas_f64 v[72:73], v[72:73], v[74:75], v[78:79]
	v_div_fixup_f64 v[74:75], v[72:73], v[70:71], 1.0
	v_mul_f64 v[76:77], v[76:77], -v[74:75]
.LBB19_70:
	s_or_b64 exec, exec, s[2:3]
	ds_write2_b64 v1, v[74:75], v[76:77] offset1:1
.LBB19_71:
	s_or_b64 exec, exec, s[4:5]
	s_waitcnt lgkmcnt(0)
	s_barrier
	ds_read2_b64 v[70:73], v1 offset1:1
	v_cmp_lt_u32_e32 vcc, 7, v0
	s_and_saveexec_b64 s[2:3], vcc
	s_cbranch_execz .LBB19_73
; %bb.72:
	s_waitcnt lgkmcnt(0)
	v_mul_f64 v[74:75], v[70:71], v[12:13]
	v_mul_f64 v[12:13], v[72:73], v[12:13]
	v_fma_f64 v[105:106], v[72:73], v[10:11], v[74:75]
	ds_read2_b64 v[74:77], v104 offset0:16 offset1:17
	ds_read2_b64 v[78:81], v104 offset0:18 offset1:19
	v_fma_f64 v[10:11], v[70:71], v[10:11], -v[12:13]
	s_waitcnt lgkmcnt(1)
	v_mul_f64 v[12:13], v[76:77], v[105:106]
	v_mul_f64 v[107:108], v[74:75], v[105:106]
	s_waitcnt lgkmcnt(0)
	v_mul_f64 v[109:110], v[80:81], v[105:106]
	v_mul_f64 v[111:112], v[78:79], v[105:106]
	v_fma_f64 v[12:13], v[74:75], v[10:11], -v[12:13]
	v_fma_f64 v[74:75], v[76:77], v[10:11], v[107:108]
	v_fma_f64 v[76:77], v[78:79], v[10:11], -v[109:110]
	v_fma_f64 v[78:79], v[80:81], v[10:11], v[111:112]
	v_add_f64 v[2:3], v[2:3], -v[12:13]
	v_add_f64 v[4:5], v[4:5], -v[74:75]
	;; [unrolled: 1-line block ×4, first 2 shown]
	v_mov_b32_e32 v12, v105
	v_mov_b32_e32 v13, v106
.LBB19_73:
	s_or_b64 exec, exec, s[2:3]
	v_cmp_eq_u32_e32 vcc, 8, v0
	s_waitcnt lgkmcnt(0)
	s_barrier
	s_and_saveexec_b64 s[4:5], vcc
	s_cbranch_execz .LBB19_80
; %bb.74:
	ds_write2_b64 v1, v[2:3], v[4:5] offset1:1
	ds_write2_b64 v104, v[6:7], v[8:9] offset0:18 offset1:19
	ds_read2_b64 v[74:77], v1 offset1:1
	s_waitcnt lgkmcnt(0)
	v_cmp_neq_f64_e32 vcc, 0, v[74:75]
	v_cmp_neq_f64_e64 s[2:3], 0, v[76:77]
	s_or_b64 s[2:3], vcc, s[2:3]
	s_and_b64 exec, exec, s[2:3]
	s_cbranch_execz .LBB19_80
; %bb.75:
	v_cmp_ngt_f64_e64 s[2:3], |v[74:75]|, |v[76:77]|
                                        ; implicit-def: $vgpr78_vgpr79
	s_and_saveexec_b64 s[6:7], s[2:3]
	s_xor_b64 s[2:3], exec, s[6:7]
                                        ; implicit-def: $vgpr80_vgpr81
	s_cbranch_execz .LBB19_77
; %bb.76:
	v_div_scale_f64 v[78:79], s[6:7], v[76:77], v[76:77], v[74:75]
	v_rcp_f64_e32 v[80:81], v[78:79]
	v_fma_f64 v[105:106], -v[78:79], v[80:81], 1.0
	v_fma_f64 v[80:81], v[80:81], v[105:106], v[80:81]
	v_div_scale_f64 v[105:106], vcc, v[74:75], v[76:77], v[74:75]
	v_fma_f64 v[107:108], -v[78:79], v[80:81], 1.0
	v_fma_f64 v[80:81], v[80:81], v[107:108], v[80:81]
	v_mul_f64 v[107:108], v[105:106], v[80:81]
	v_fma_f64 v[78:79], -v[78:79], v[107:108], v[105:106]
	v_div_fmas_f64 v[78:79], v[78:79], v[80:81], v[107:108]
	v_div_fixup_f64 v[78:79], v[78:79], v[76:77], v[74:75]
	v_fma_f64 v[74:75], v[74:75], v[78:79], v[76:77]
	v_div_scale_f64 v[76:77], s[6:7], v[74:75], v[74:75], 1.0
	v_div_scale_f64 v[107:108], vcc, 1.0, v[74:75], 1.0
	v_rcp_f64_e32 v[80:81], v[76:77]
	v_fma_f64 v[105:106], -v[76:77], v[80:81], 1.0
	v_fma_f64 v[80:81], v[80:81], v[105:106], v[80:81]
	v_fma_f64 v[105:106], -v[76:77], v[80:81], 1.0
	v_fma_f64 v[80:81], v[80:81], v[105:106], v[80:81]
	v_mul_f64 v[105:106], v[107:108], v[80:81]
	v_fma_f64 v[76:77], -v[76:77], v[105:106], v[107:108]
	v_div_fmas_f64 v[76:77], v[76:77], v[80:81], v[105:106]
	v_div_fixup_f64 v[80:81], v[76:77], v[74:75], 1.0
                                        ; implicit-def: $vgpr74_vgpr75
	v_mul_f64 v[78:79], v[78:79], v[80:81]
	v_xor_b32_e32 v81, 0x80000000, v81
.LBB19_77:
	s_andn2_saveexec_b64 s[2:3], s[2:3]
	s_cbranch_execz .LBB19_79
; %bb.78:
	v_div_scale_f64 v[78:79], s[6:7], v[74:75], v[74:75], v[76:77]
	v_rcp_f64_e32 v[80:81], v[78:79]
	v_fma_f64 v[105:106], -v[78:79], v[80:81], 1.0
	v_fma_f64 v[80:81], v[80:81], v[105:106], v[80:81]
	v_div_scale_f64 v[105:106], vcc, v[76:77], v[74:75], v[76:77]
	v_fma_f64 v[107:108], -v[78:79], v[80:81], 1.0
	v_fma_f64 v[80:81], v[80:81], v[107:108], v[80:81]
	v_mul_f64 v[107:108], v[105:106], v[80:81]
	v_fma_f64 v[78:79], -v[78:79], v[107:108], v[105:106]
	v_div_fmas_f64 v[78:79], v[78:79], v[80:81], v[107:108]
	v_div_fixup_f64 v[80:81], v[78:79], v[74:75], v[76:77]
	v_fma_f64 v[74:75], v[76:77], v[80:81], v[74:75]
	v_div_scale_f64 v[76:77], s[6:7], v[74:75], v[74:75], 1.0
	v_div_scale_f64 v[107:108], vcc, 1.0, v[74:75], 1.0
	v_rcp_f64_e32 v[78:79], v[76:77]
	v_fma_f64 v[105:106], -v[76:77], v[78:79], 1.0
	v_fma_f64 v[78:79], v[78:79], v[105:106], v[78:79]
	v_fma_f64 v[105:106], -v[76:77], v[78:79], 1.0
	v_fma_f64 v[78:79], v[78:79], v[105:106], v[78:79]
	v_mul_f64 v[105:106], v[107:108], v[78:79]
	v_fma_f64 v[76:77], -v[76:77], v[105:106], v[107:108]
	v_div_fmas_f64 v[76:77], v[76:77], v[78:79], v[105:106]
	v_div_fixup_f64 v[78:79], v[76:77], v[74:75], 1.0
	v_mul_f64 v[80:81], v[80:81], -v[78:79]
.LBB19_79:
	s_or_b64 exec, exec, s[2:3]
	ds_write2_b64 v1, v[78:79], v[80:81] offset1:1
.LBB19_80:
	s_or_b64 exec, exec, s[4:5]
	s_waitcnt lgkmcnt(0)
	s_barrier
	ds_read2_b64 v[74:77], v1 offset1:1
	v_cmp_lt_u32_e32 vcc, 8, v0
	s_and_saveexec_b64 s[2:3], vcc
	s_cbranch_execz .LBB19_82
; %bb.81:
	s_waitcnt lgkmcnt(0)
	v_mul_f64 v[78:79], v[74:75], v[4:5]
	v_mul_f64 v[4:5], v[76:77], v[4:5]
	v_fma_f64 v[105:106], v[76:77], v[2:3], v[78:79]
	ds_read2_b64 v[78:81], v104 offset0:18 offset1:19
	v_fma_f64 v[2:3], v[74:75], v[2:3], -v[4:5]
	s_waitcnt lgkmcnt(0)
	v_mul_f64 v[4:5], v[80:81], v[105:106]
	v_mul_f64 v[107:108], v[78:79], v[105:106]
	v_fma_f64 v[4:5], v[78:79], v[2:3], -v[4:5]
	v_fma_f64 v[78:79], v[80:81], v[2:3], v[107:108]
	v_add_f64 v[6:7], v[6:7], -v[4:5]
	v_add_f64 v[8:9], v[8:9], -v[78:79]
	v_mov_b32_e32 v4, v105
	v_mov_b32_e32 v5, v106
.LBB19_82:
	s_or_b64 exec, exec, s[2:3]
	v_cmp_eq_u32_e32 vcc, 9, v0
	s_waitcnt lgkmcnt(0)
	s_barrier
	s_and_saveexec_b64 s[4:5], vcc
	s_cbranch_execz .LBB19_89
; %bb.83:
	v_cmp_neq_f64_e32 vcc, 0, v[6:7]
	v_cmp_neq_f64_e64 s[2:3], 0, v[8:9]
	ds_write2_b64 v1, v[6:7], v[8:9] offset1:1
	s_or_b64 s[2:3], vcc, s[2:3]
	s_and_b64 exec, exec, s[2:3]
	s_cbranch_execz .LBB19_89
; %bb.84:
	v_cmp_ngt_f64_e64 s[2:3], |v[6:7]|, |v[8:9]|
                                        ; implicit-def: $vgpr78_vgpr79
	s_and_saveexec_b64 s[6:7], s[2:3]
	s_xor_b64 s[2:3], exec, s[6:7]
                                        ; implicit-def: $vgpr80_vgpr81
	s_cbranch_execz .LBB19_86
; %bb.85:
	v_div_scale_f64 v[78:79], s[6:7], v[8:9], v[8:9], v[6:7]
	v_rcp_f64_e32 v[80:81], v[78:79]
	v_fma_f64 v[104:105], -v[78:79], v[80:81], 1.0
	v_fma_f64 v[80:81], v[80:81], v[104:105], v[80:81]
	v_div_scale_f64 v[104:105], vcc, v[6:7], v[8:9], v[6:7]
	v_fma_f64 v[106:107], -v[78:79], v[80:81], 1.0
	v_fma_f64 v[80:81], v[80:81], v[106:107], v[80:81]
	v_mul_f64 v[106:107], v[104:105], v[80:81]
	v_fma_f64 v[78:79], -v[78:79], v[106:107], v[104:105]
	v_div_fmas_f64 v[78:79], v[78:79], v[80:81], v[106:107]
	v_div_fixup_f64 v[78:79], v[78:79], v[8:9], v[6:7]
	v_fma_f64 v[80:81], v[6:7], v[78:79], v[8:9]
	v_div_scale_f64 v[104:105], s[6:7], v[80:81], v[80:81], 1.0
	v_div_scale_f64 v[110:111], vcc, 1.0, v[80:81], 1.0
	v_rcp_f64_e32 v[106:107], v[104:105]
	v_fma_f64 v[108:109], -v[104:105], v[106:107], 1.0
	v_fma_f64 v[106:107], v[106:107], v[108:109], v[106:107]
	v_fma_f64 v[108:109], -v[104:105], v[106:107], 1.0
	v_fma_f64 v[106:107], v[106:107], v[108:109], v[106:107]
	v_mul_f64 v[108:109], v[110:111], v[106:107]
	v_fma_f64 v[104:105], -v[104:105], v[108:109], v[110:111]
	v_div_fmas_f64 v[104:105], v[104:105], v[106:107], v[108:109]
	v_div_fixup_f64 v[80:81], v[104:105], v[80:81], 1.0
	v_mul_f64 v[78:79], v[78:79], v[80:81]
	v_xor_b32_e32 v81, 0x80000000, v81
.LBB19_86:
	s_andn2_saveexec_b64 s[2:3], s[2:3]
	s_cbranch_execz .LBB19_88
; %bb.87:
	v_div_scale_f64 v[78:79], s[6:7], v[6:7], v[6:7], v[8:9]
	v_rcp_f64_e32 v[80:81], v[78:79]
	v_fma_f64 v[104:105], -v[78:79], v[80:81], 1.0
	v_fma_f64 v[80:81], v[80:81], v[104:105], v[80:81]
	v_div_scale_f64 v[104:105], vcc, v[8:9], v[6:7], v[8:9]
	v_fma_f64 v[106:107], -v[78:79], v[80:81], 1.0
	v_fma_f64 v[80:81], v[80:81], v[106:107], v[80:81]
	v_mul_f64 v[106:107], v[104:105], v[80:81]
	v_fma_f64 v[78:79], -v[78:79], v[106:107], v[104:105]
	v_div_fmas_f64 v[78:79], v[78:79], v[80:81], v[106:107]
	v_div_fixup_f64 v[80:81], v[78:79], v[6:7], v[8:9]
	v_fma_f64 v[78:79], v[8:9], v[80:81], v[6:7]
	v_div_scale_f64 v[104:105], s[6:7], v[78:79], v[78:79], 1.0
	v_div_scale_f64 v[110:111], vcc, 1.0, v[78:79], 1.0
	v_rcp_f64_e32 v[106:107], v[104:105]
	v_fma_f64 v[108:109], -v[104:105], v[106:107], 1.0
	v_fma_f64 v[106:107], v[106:107], v[108:109], v[106:107]
	v_fma_f64 v[108:109], -v[104:105], v[106:107], 1.0
	v_fma_f64 v[106:107], v[106:107], v[108:109], v[106:107]
	v_mul_f64 v[108:109], v[110:111], v[106:107]
	v_fma_f64 v[104:105], -v[104:105], v[108:109], v[110:111]
	v_div_fmas_f64 v[104:105], v[104:105], v[106:107], v[108:109]
	v_div_fixup_f64 v[78:79], v[104:105], v[78:79], 1.0
	v_mul_f64 v[80:81], v[80:81], -v[78:79]
.LBB19_88:
	s_or_b64 exec, exec, s[2:3]
	ds_write2_b64 v1, v[78:79], v[80:81] offset1:1
.LBB19_89:
	s_or_b64 exec, exec, s[4:5]
	s_waitcnt lgkmcnt(0)
	s_barrier
	ds_read2_b64 v[78:81], v1 offset1:1
	s_waitcnt lgkmcnt(0)
	s_barrier
	s_and_saveexec_b64 s[42:43], s[0:1]
	s_cbranch_execz .LBB19_92
; %bb.90:
	v_lshlrev_b64 v[88:89], 2, v[88:89]
	v_mov_b32_e32 v1, s11
	v_add_co_u32_e32 v88, vcc, s10, v88
	v_addc_co_u32_e32 v89, vcc, v1, v89, vcc
	global_load_dword v104, v[88:89], off
	v_cmp_eq_f64_e32 vcc, 0, v[42:43]
	v_cmp_eq_f64_e64 s[0:1], 0, v[44:45]
	v_cmp_neq_f64_e64 s[2:3], 0, v[46:47]
	v_cmp_neq_f64_e64 s[4:5], 0, v[48:49]
	v_cmp_eq_f64_e64 s[6:7], 0, v[50:51]
	v_cmp_eq_f64_e64 s[8:9], 0, v[52:53]
	;; [unrolled: 1-line block ×5, first 2 shown]
	s_and_b64 s[0:1], vcc, s[0:1]
	v_cmp_eq_f64_e64 s[16:17], 0, v[60:61]
	s_or_b64 s[2:3], s[2:3], s[4:5]
	v_cndmask_b32_e64 v1, 0, 1, s[0:1]
	s_or_b64 vcc, s[2:3], s[0:1]
	v_cndmask_b32_e32 v1, 2, v1, vcc
	s_and_b64 s[4:5], s[6:7], s[8:9]
	v_cmp_eq_u32_e32 vcc, 0, v1
	v_cmp_eq_f64_e64 s[18:19], 0, v[62:63]
	v_cmp_eq_f64_e64 s[20:21], 0, v[64:65]
	s_and_b64 s[0:1], s[4:5], vcc
	v_cndmask_b32_e64 v1, v1, 3, s[0:1]
	s_and_b64 s[6:7], s[10:11], s[12:13]
	v_cmp_eq_u32_e32 vcc, 0, v1
	v_cmp_eq_f64_e64 s[22:23], 0, v[66:67]
	v_cmp_eq_f64_e64 s[24:25], 0, v[68:69]
	s_and_b64 s[0:1], s[6:7], vcc
	v_cndmask_b32_e64 v1, v1, 4, s[0:1]
	;; [unrolled: 6-line block ×5, first 2 shown]
	s_and_b64 s[14:15], s[26:27], s[28:29]
	v_cmp_eq_u32_e32 vcc, 0, v1
	s_and_b64 s[0:1], s[14:15], vcc
	v_cndmask_b32_e64 v1, v1, 8, s[0:1]
	s_and_b64 s[16:17], s[30:31], s[34:35]
	v_cmp_eq_u32_e32 vcc, 0, v1
	s_and_b64 s[0:1], s[16:17], vcc
	v_cndmask_b32_e64 v1, v1, 9, s[0:1]
	;; [unrolled: 4-line block ×3, first 2 shown]
	v_cmp_ne_u32_e64 s[0:1], 0, v1
	s_waitcnt vmcnt(0)
	v_cmp_eq_u32_e32 vcc, 0, v104
	s_and_b64 s[0:1], vcc, s[0:1]
	s_and_b64 exec, exec, s[0:1]
	s_cbranch_execz .LBB19_92
; %bb.91:
	v_add_u32_e32 v1, s41, v1
	global_store_dword v[88:89], v1, off
.LBB19_92:
	s_or_b64 exec, exec, s[42:43]
	v_mul_f64 v[42:43], v[78:79], v[8:9]
	v_mul_f64 v[44:45], v[80:81], v[8:9]
	global_store_dwordx4 v[100:101], v[38:41], off
	global_store_dwordx4 v[102:103], v[34:37], off
	;; [unrolled: 1-line block ×4, first 2 shown]
	v_cmp_lt_u32_e32 vcc, 9, v0
	global_store_dwordx4 v[86:87], v[22:25], off
	global_store_dwordx4 v[90:91], v[18:21], off
	;; [unrolled: 1-line block ×4, first 2 shown]
	v_fma_f64 v[30:31], v[80:81], v[6:7], v[42:43]
	v_fma_f64 v[26:27], v[78:79], v[6:7], -v[44:45]
	v_cndmask_b32_e32 v9, v9, v31, vcc
	v_cndmask_b32_e32 v8, v8, v30, vcc
	;; [unrolled: 1-line block ×4, first 2 shown]
	global_store_dwordx4 v[96:97], v[2:5], off
	global_store_dwordx4 v[98:99], v[6:9], off
.LBB19_93:
	s_endpgm
	.section	.rodata,"a",@progbits
	.p2align	6, 0x0
	.amdhsa_kernel _ZN9rocsolver6v33100L23getf2_npvt_small_kernelILi10E19rocblas_complex_numIdEiiPS3_EEvT1_T3_lS5_lPT2_S5_S5_
		.amdhsa_group_segment_fixed_size 0
		.amdhsa_private_segment_fixed_size 0
		.amdhsa_kernarg_size 312
		.amdhsa_user_sgpr_count 6
		.amdhsa_user_sgpr_private_segment_buffer 1
		.amdhsa_user_sgpr_dispatch_ptr 0
		.amdhsa_user_sgpr_queue_ptr 0
		.amdhsa_user_sgpr_kernarg_segment_ptr 1
		.amdhsa_user_sgpr_dispatch_id 0
		.amdhsa_user_sgpr_flat_scratch_init 0
		.amdhsa_user_sgpr_private_segment_size 0
		.amdhsa_uses_dynamic_stack 0
		.amdhsa_system_sgpr_private_segment_wavefront_offset 0
		.amdhsa_system_sgpr_workgroup_id_x 1
		.amdhsa_system_sgpr_workgroup_id_y 1
		.amdhsa_system_sgpr_workgroup_id_z 0
		.amdhsa_system_sgpr_workgroup_info 0
		.amdhsa_system_vgpr_workitem_id 1
		.amdhsa_next_free_vgpr 125
		.amdhsa_next_free_sgpr 44
		.amdhsa_reserve_vcc 1
		.amdhsa_reserve_flat_scratch 0
		.amdhsa_float_round_mode_32 0
		.amdhsa_float_round_mode_16_64 0
		.amdhsa_float_denorm_mode_32 3
		.amdhsa_float_denorm_mode_16_64 3
		.amdhsa_dx10_clamp 1
		.amdhsa_ieee_mode 1
		.amdhsa_fp16_overflow 0
		.amdhsa_exception_fp_ieee_invalid_op 0
		.amdhsa_exception_fp_denorm_src 0
		.amdhsa_exception_fp_ieee_div_zero 0
		.amdhsa_exception_fp_ieee_overflow 0
		.amdhsa_exception_fp_ieee_underflow 0
		.amdhsa_exception_fp_ieee_inexact 0
		.amdhsa_exception_int_div_zero 0
	.end_amdhsa_kernel
	.section	.text._ZN9rocsolver6v33100L23getf2_npvt_small_kernelILi10E19rocblas_complex_numIdEiiPS3_EEvT1_T3_lS5_lPT2_S5_S5_,"axG",@progbits,_ZN9rocsolver6v33100L23getf2_npvt_small_kernelILi10E19rocblas_complex_numIdEiiPS3_EEvT1_T3_lS5_lPT2_S5_S5_,comdat
.Lfunc_end19:
	.size	_ZN9rocsolver6v33100L23getf2_npvt_small_kernelILi10E19rocblas_complex_numIdEiiPS3_EEvT1_T3_lS5_lPT2_S5_S5_, .Lfunc_end19-_ZN9rocsolver6v33100L23getf2_npvt_small_kernelILi10E19rocblas_complex_numIdEiiPS3_EEvT1_T3_lS5_lPT2_S5_S5_
                                        ; -- End function
	.set _ZN9rocsolver6v33100L23getf2_npvt_small_kernelILi10E19rocblas_complex_numIdEiiPS3_EEvT1_T3_lS5_lPT2_S5_S5_.num_vgpr, 125
	.set _ZN9rocsolver6v33100L23getf2_npvt_small_kernelILi10E19rocblas_complex_numIdEiiPS3_EEvT1_T3_lS5_lPT2_S5_S5_.num_agpr, 0
	.set _ZN9rocsolver6v33100L23getf2_npvt_small_kernelILi10E19rocblas_complex_numIdEiiPS3_EEvT1_T3_lS5_lPT2_S5_S5_.numbered_sgpr, 44
	.set _ZN9rocsolver6v33100L23getf2_npvt_small_kernelILi10E19rocblas_complex_numIdEiiPS3_EEvT1_T3_lS5_lPT2_S5_S5_.num_named_barrier, 0
	.set _ZN9rocsolver6v33100L23getf2_npvt_small_kernelILi10E19rocblas_complex_numIdEiiPS3_EEvT1_T3_lS5_lPT2_S5_S5_.private_seg_size, 0
	.set _ZN9rocsolver6v33100L23getf2_npvt_small_kernelILi10E19rocblas_complex_numIdEiiPS3_EEvT1_T3_lS5_lPT2_S5_S5_.uses_vcc, 1
	.set _ZN9rocsolver6v33100L23getf2_npvt_small_kernelILi10E19rocblas_complex_numIdEiiPS3_EEvT1_T3_lS5_lPT2_S5_S5_.uses_flat_scratch, 0
	.set _ZN9rocsolver6v33100L23getf2_npvt_small_kernelILi10E19rocblas_complex_numIdEiiPS3_EEvT1_T3_lS5_lPT2_S5_S5_.has_dyn_sized_stack, 0
	.set _ZN9rocsolver6v33100L23getf2_npvt_small_kernelILi10E19rocblas_complex_numIdEiiPS3_EEvT1_T3_lS5_lPT2_S5_S5_.has_recursion, 0
	.set _ZN9rocsolver6v33100L23getf2_npvt_small_kernelILi10E19rocblas_complex_numIdEiiPS3_EEvT1_T3_lS5_lPT2_S5_S5_.has_indirect_call, 0
	.section	.AMDGPU.csdata,"",@progbits
; Kernel info:
; codeLenInByte = 9668
; TotalNumSgprs: 48
; NumVgprs: 125
; ScratchSize: 0
; MemoryBound: 0
; FloatMode: 240
; IeeeMode: 1
; LDSByteSize: 0 bytes/workgroup (compile time only)
; SGPRBlocks: 5
; VGPRBlocks: 31
; NumSGPRsForWavesPerEU: 48
; NumVGPRsForWavesPerEU: 125
; Occupancy: 2
; WaveLimiterHint : 0
; COMPUTE_PGM_RSRC2:SCRATCH_EN: 0
; COMPUTE_PGM_RSRC2:USER_SGPR: 6
; COMPUTE_PGM_RSRC2:TRAP_HANDLER: 0
; COMPUTE_PGM_RSRC2:TGID_X_EN: 1
; COMPUTE_PGM_RSRC2:TGID_Y_EN: 1
; COMPUTE_PGM_RSRC2:TGID_Z_EN: 0
; COMPUTE_PGM_RSRC2:TIDIG_COMP_CNT: 1
	.section	.text._ZN9rocsolver6v33100L18getf2_small_kernelILi11E19rocblas_complex_numIdEiiPS3_EEvT1_T3_lS5_lPS5_llPT2_S5_S5_S7_l,"axG",@progbits,_ZN9rocsolver6v33100L18getf2_small_kernelILi11E19rocblas_complex_numIdEiiPS3_EEvT1_T3_lS5_lPS5_llPT2_S5_S5_S7_l,comdat
	.globl	_ZN9rocsolver6v33100L18getf2_small_kernelILi11E19rocblas_complex_numIdEiiPS3_EEvT1_T3_lS5_lPS5_llPT2_S5_S5_S7_l ; -- Begin function _ZN9rocsolver6v33100L18getf2_small_kernelILi11E19rocblas_complex_numIdEiiPS3_EEvT1_T3_lS5_lPS5_llPT2_S5_S5_S7_l
	.p2align	8
	.type	_ZN9rocsolver6v33100L18getf2_small_kernelILi11E19rocblas_complex_numIdEiiPS3_EEvT1_T3_lS5_lPS5_llPT2_S5_S5_S7_l,@function
_ZN9rocsolver6v33100L18getf2_small_kernelILi11E19rocblas_complex_numIdEiiPS3_EEvT1_T3_lS5_lPS5_llPT2_S5_S5_S7_l: ; @_ZN9rocsolver6v33100L18getf2_small_kernelILi11E19rocblas_complex_numIdEiiPS3_EEvT1_T3_lS5_lPS5_llPT2_S5_S5_S7_l
; %bb.0:
	s_load_dword s0, s[4:5], 0x6c
	s_load_dwordx2 s[16:17], s[4:5], 0x48
	s_waitcnt lgkmcnt(0)
	s_lshr_b32 s0, s0, 16
	s_mul_i32 s7, s7, s0
	v_add_u32_e32 v50, s7, v1
	v_cmp_gt_i32_e32 vcc, s16, v50
	s_and_saveexec_b64 s[0:1], vcc
	s_cbranch_execz .LBB20_232
; %bb.1:
	s_load_dwordx4 s[0:3], s[4:5], 0x50
	v_mov_b32_e32 v52, 0
	v_ashrrev_i32_e32 v51, 31, v50
	v_mov_b32_e32 v53, 0
	s_waitcnt lgkmcnt(0)
	s_cmp_eq_u64 s[0:1], 0
	s_cselect_b64 s[18:19], -1, 0
	s_and_b64 vcc, exec, s[18:19]
	s_cbranch_vccnz .LBB20_3
; %bb.2:
	v_mul_lo_u32 v4, s3, v50
	v_mul_lo_u32 v5, s2, v51
	v_mad_u64_u32 v[2:3], s[2:3], s2, v50, 0
	v_add3_u32 v3, v3, v5, v4
	v_lshlrev_b64 v[2:3], 2, v[2:3]
	v_mov_b32_e32 v4, s1
	v_add_co_u32_e32 v52, vcc, s0, v2
	v_addc_co_u32_e32 v53, vcc, v4, v3, vcc
.LBB20_3:
	s_load_dwordx8 s[8:15], s[4:5], 0x20
	s_load_dwordx4 s[0:3], s[4:5], 0x8
	v_lshlrev_b32_e32 v56, 4, v0
	s_load_dwordx2 s[20:21], s[4:5], 0x40
	s_waitcnt lgkmcnt(0)
	v_mul_lo_u32 v4, s9, v50
	v_mul_lo_u32 v5, s8, v51
	v_mad_u64_u32 v[2:3], s[6:7], s8, v50, 0
	s_load_dword s6, s[4:5], 0x18
	s_load_dword s22, s[4:5], 0x0
	v_mov_b32_e32 v6, s1
	v_add3_u32 v3, v3, v5, v4
	v_lshlrev_b64 v[2:3], 4, v[2:3]
	s_waitcnt lgkmcnt(0)
	s_add_i32 s16, s6, s6
	v_add_co_u32_e32 v2, vcc, s0, v2
	v_addc_co_u32_e32 v3, vcc, v6, v3, vcc
	s_lshl_b64 s[0:1], s[2:3], 4
	v_mov_b32_e32 v4, s1
	v_add_co_u32_e32 v57, vcc, s0, v2
	v_add_u32_e32 v2, s16, v0
	v_addc_co_u32_e32 v58, vcc, v3, v4, vcc
	v_ashrrev_i32_e32 v3, 31, v2
	v_lshlrev_b64 v[3:4], 4, v[2:3]
	v_add_u32_e32 v5, s6, v2
	v_ashrrev_i32_e32 v6, 31, v5
	v_add_co_u32_e32 v3, vcc, v57, v3
	v_lshlrev_b64 v[6:7], 4, v[5:6]
	v_add_u32_e32 v8, s6, v5
	v_addc_co_u32_e32 v4, vcc, v58, v4, vcc
	v_ashrrev_i32_e32 v9, 31, v8
	v_add_co_u32_e32 v6, vcc, v57, v6
	v_lshlrev_b64 v[9:10], 4, v[8:9]
	v_addc_co_u32_e32 v7, vcc, v58, v7, vcc
	v_add_u32_e32 v8, s6, v8
	v_add_co_u32_e32 v42, vcc, v57, v9
	v_ashrrev_i32_e32 v9, 31, v8
	v_addc_co_u32_e32 v43, vcc, v58, v10, vcc
	v_lshlrev_b64 v[9:10], 4, v[8:9]
	v_add_u32_e32 v8, s6, v8
	v_add_co_u32_e32 v44, vcc, v57, v9
	v_ashrrev_i32_e32 v9, 31, v8
	v_addc_co_u32_e32 v45, vcc, v58, v10, vcc
	v_lshlrev_b64 v[9:10], 4, v[8:9]
	;; [unrolled: 5-line block ×5, first 2 shown]
	v_add_u32_e32 v8, s6, v8
	v_add_co_u32_e32 v59, vcc, v57, v9
	v_ashrrev_i32_e32 v9, 31, v8
	v_lshlrev_b64 v[8:9], 4, v[8:9]
	v_addc_co_u32_e32 v60, vcc, v58, v10, vcc
	v_add_co_u32_e32 v61, vcc, v57, v8
	v_addc_co_u32_e32 v62, vcc, v58, v9, vcc
	v_add_co_u32_e32 v8, vcc, v57, v56
	s_ashr_i32 s7, s6, 31
	v_addc_co_u32_e32 v9, vcc, 0, v58, vcc
	s_lshl_b64 s[8:9], s[6:7], 4
	v_mov_b32_e32 v2, s9
	v_add_co_u32_e32 v63, vcc, s8, v8
	v_addc_co_u32_e32 v64, vcc, v9, v2, vcc
	global_load_dwordx4 v[38:41], v[8:9], off
	global_load_dwordx4 v[34:37], v[63:64], off
	;; [unrolled: 1-line block ×8, first 2 shown]
                                        ; kill: killed $vgpr8 killed $vgpr9
                                        ; kill: killed $vgpr3 killed $vgpr4
                                        ; kill: killed $vgpr63 killed $vgpr64
                                        ; kill: killed $vgpr42 killed $vgpr43
                                        ; kill: killed $vgpr46 killed $vgpr47
                                        ; kill: killed $vgpr6 killed $vgpr7
                                        ; kill: killed $vgpr44 killed $vgpr45
                                        ; kill: killed $vgpr48 killed $vgpr49
	s_nop 0
	global_load_dwordx4 v[6:9], v[54:55], off
	global_load_dwordx4 v[2:5], v[59:60], off
	;; [unrolled: 1-line block ×3, first 2 shown]
	s_max_i32 s0, s22, 11
	v_mul_lo_u32 v54, s0, v1
	s_cmp_lt_i32 s22, 2
	v_lshl_add_u32 v1, v54, 4, 0
	v_add_u32_e32 v46, v1, v56
	v_lshlrev_b32_e32 v60, 4, v54
	v_mov_b32_e32 v54, 0
	s_waitcnt vmcnt(10)
	ds_write2_b64 v46, v[38:39], v[40:41] offset1:1
	s_waitcnt vmcnt(0) lgkmcnt(0)
	s_barrier
	ds_read2_b64 v[46:49], v1 offset1:1
	s_cbranch_scc1 .LBB20_6
; %bb.4:
	v_add3_u32 v55, v60, 0, 16
	s_mov_b32 s7, 1
	v_mov_b32_e32 v54, 0
.LBB20_5:                               ; =>This Inner Loop Header: Depth=1
	ds_read2_b64 v[61:64], v55 offset1:1
	s_waitcnt lgkmcnt(1)
	v_cmp_gt_f64_e32 vcc, 0, v[48:49]
	v_cmp_gt_f64_e64 s[0:1], 0, v[46:47]
	v_xor_b32_e32 v56, 0x80000000, v47
	v_xor_b32_e32 v59, 0x80000000, v49
	s_waitcnt lgkmcnt(0)
	v_cmp_gt_f64_e64 s[2:3], 0, v[61:62]
	v_cmp_gt_f64_e64 s[4:5], 0, v[63:64]
	v_xor_b32_e32 v70, 0x80000000, v62
	v_xor_b32_e32 v72, 0x80000000, v64
	v_mov_b32_e32 v65, v46
	v_mov_b32_e32 v67, v48
	;; [unrolled: 1-line block ×4, first 2 shown]
	v_cndmask_b32_e64 v66, v47, v56, s[0:1]
	v_cndmask_b32_e32 v68, v49, v59, vcc
	v_cndmask_b32_e64 v70, v62, v70, s[2:3]
	v_cndmask_b32_e64 v72, v64, v72, s[4:5]
	v_add_f64 v[65:66], v[65:66], v[67:68]
	v_add_f64 v[67:68], v[69:70], v[71:72]
	v_mov_b32_e32 v56, s7
	s_add_i32 s7, s7, 1
	v_add_u32_e32 v55, 16, v55
	s_cmp_eq_u32 s22, s7
	v_cmp_lt_f64_e32 vcc, v[65:66], v[67:68]
	v_cndmask_b32_e32 v47, v47, v62, vcc
	v_cndmask_b32_e32 v46, v46, v61, vcc
	;; [unrolled: 1-line block ×5, first 2 shown]
	s_cbranch_scc0 .LBB20_5
.LBB20_6:
	s_waitcnt lgkmcnt(0)
	v_cmp_neq_f64_e32 vcc, 0, v[46:47]
	v_cmp_neq_f64_e64 s[0:1], 0, v[48:49]
	v_mov_b32_e32 v59, 1
	v_mov_b32_e32 v61, 1
	s_or_b64 s[2:3], vcc, s[0:1]
	s_and_saveexec_b64 s[0:1], s[2:3]
	s_cbranch_execz .LBB20_12
; %bb.7:
	v_cmp_ngt_f64_e64 s[2:3], |v[46:47]|, |v[48:49]|
	s_and_saveexec_b64 s[4:5], s[2:3]
	s_xor_b64 s[2:3], exec, s[4:5]
	s_cbranch_execz .LBB20_9
; %bb.8:
	v_div_scale_f64 v[55:56], s[4:5], v[48:49], v[48:49], v[46:47]
	v_rcp_f64_e32 v[61:62], v[55:56]
	v_fma_f64 v[63:64], -v[55:56], v[61:62], 1.0
	v_fma_f64 v[61:62], v[61:62], v[63:64], v[61:62]
	v_div_scale_f64 v[63:64], vcc, v[46:47], v[48:49], v[46:47]
	v_fma_f64 v[65:66], -v[55:56], v[61:62], 1.0
	v_fma_f64 v[61:62], v[61:62], v[65:66], v[61:62]
	v_mul_f64 v[65:66], v[63:64], v[61:62]
	v_fma_f64 v[55:56], -v[55:56], v[65:66], v[63:64]
	v_div_fmas_f64 v[55:56], v[55:56], v[61:62], v[65:66]
	v_div_fixup_f64 v[55:56], v[55:56], v[48:49], v[46:47]
	v_fma_f64 v[46:47], v[46:47], v[55:56], v[48:49]
	v_div_scale_f64 v[48:49], s[4:5], v[46:47], v[46:47], 1.0
	v_div_scale_f64 v[65:66], vcc, 1.0, v[46:47], 1.0
	v_rcp_f64_e32 v[61:62], v[48:49]
	v_fma_f64 v[63:64], -v[48:49], v[61:62], 1.0
	v_fma_f64 v[61:62], v[61:62], v[63:64], v[61:62]
	v_fma_f64 v[63:64], -v[48:49], v[61:62], 1.0
	v_fma_f64 v[61:62], v[61:62], v[63:64], v[61:62]
	v_mul_f64 v[63:64], v[65:66], v[61:62]
	v_fma_f64 v[48:49], -v[48:49], v[63:64], v[65:66]
	v_div_fmas_f64 v[48:49], v[48:49], v[61:62], v[63:64]
	v_div_fixup_f64 v[48:49], v[48:49], v[46:47], 1.0
	v_mul_f64 v[46:47], v[55:56], v[48:49]
	v_xor_b32_e32 v49, 0x80000000, v49
.LBB20_9:
	s_andn2_saveexec_b64 s[2:3], s[2:3]
	s_cbranch_execz .LBB20_11
; %bb.10:
	v_div_scale_f64 v[55:56], s[4:5], v[46:47], v[46:47], v[48:49]
	v_rcp_f64_e32 v[61:62], v[55:56]
	v_fma_f64 v[63:64], -v[55:56], v[61:62], 1.0
	v_fma_f64 v[61:62], v[61:62], v[63:64], v[61:62]
	v_div_scale_f64 v[63:64], vcc, v[48:49], v[46:47], v[48:49]
	v_fma_f64 v[65:66], -v[55:56], v[61:62], 1.0
	v_fma_f64 v[61:62], v[61:62], v[65:66], v[61:62]
	v_mul_f64 v[65:66], v[63:64], v[61:62]
	v_fma_f64 v[55:56], -v[55:56], v[65:66], v[63:64]
	v_div_fmas_f64 v[55:56], v[55:56], v[61:62], v[65:66]
	v_div_fixup_f64 v[55:56], v[55:56], v[46:47], v[48:49]
	v_fma_f64 v[46:47], v[48:49], v[55:56], v[46:47]
	v_div_scale_f64 v[48:49], s[4:5], v[46:47], v[46:47], 1.0
	v_div_scale_f64 v[65:66], vcc, 1.0, v[46:47], 1.0
	v_rcp_f64_e32 v[61:62], v[48:49]
	v_fma_f64 v[63:64], -v[48:49], v[61:62], 1.0
	v_fma_f64 v[61:62], v[61:62], v[63:64], v[61:62]
	v_fma_f64 v[63:64], -v[48:49], v[61:62], 1.0
	v_fma_f64 v[61:62], v[61:62], v[63:64], v[61:62]
	v_mul_f64 v[63:64], v[65:66], v[61:62]
	v_fma_f64 v[48:49], -v[48:49], v[63:64], v[65:66]
	v_div_fmas_f64 v[48:49], v[48:49], v[61:62], v[63:64]
	v_div_fixup_f64 v[46:47], v[48:49], v[46:47], 1.0
	v_mul_f64 v[48:49], v[55:56], -v[46:47]
.LBB20_11:
	s_or_b64 exec, exec, s[2:3]
	v_mov_b32_e32 v61, 0
	v_mov_b32_e32 v59, 2
.LBB20_12:
	s_or_b64 exec, exec, s[0:1]
	v_cmp_ne_u32_e32 vcc, v0, v54
	s_and_saveexec_b64 s[0:1], vcc
	s_xor_b64 s[0:1], exec, s[0:1]
	s_cbranch_execz .LBB20_18
; %bb.13:
	v_cmp_eq_u32_e32 vcc, 0, v0
	s_and_saveexec_b64 s[2:3], vcc
	s_cbranch_execz .LBB20_17
; %bb.14:
	v_cmp_ne_u32_e32 vcc, 0, v54
	s_xor_b64 s[4:5], s[18:19], -1
	s_and_b64 s[24:25], s[4:5], vcc
	s_and_saveexec_b64 s[4:5], s[24:25]
	s_cbranch_execz .LBB20_16
; %bb.15:
	v_ashrrev_i32_e32 v55, 31, v54
	v_lshlrev_b64 v[55:56], 2, v[54:55]
	v_add_co_u32_e32 v55, vcc, v52, v55
	v_addc_co_u32_e32 v56, vcc, v53, v56, vcc
	global_load_dword v0, v[55:56], off
	global_load_dword v62, v[52:53], off
	s_waitcnt vmcnt(1)
	global_store_dword v[52:53], v0, off
	s_waitcnt vmcnt(1)
	global_store_dword v[55:56], v62, off
.LBB20_16:
	s_or_b64 exec, exec, s[4:5]
	v_mov_b32_e32 v0, v54
.LBB20_17:
	s_or_b64 exec, exec, s[2:3]
.LBB20_18:
	s_or_saveexec_b64 s[0:1], s[0:1]
	v_mov_b32_e32 v56, v0
	s_xor_b64 exec, exec, s[0:1]
	s_cbranch_execz .LBB20_20
; %bb.19:
	v_mov_b32_e32 v56, 0
	ds_write2_b64 v1, v[34:35], v[36:37] offset0:2 offset1:3
	ds_write2_b64 v1, v[30:31], v[32:33] offset0:4 offset1:5
	;; [unrolled: 1-line block ×10, first 2 shown]
.LBB20_20:
	s_or_b64 exec, exec, s[0:1]
	v_cmp_lt_i32_e32 vcc, 0, v56
	s_waitcnt vmcnt(0) lgkmcnt(0)
	s_barrier
	s_and_saveexec_b64 s[0:1], vcc
	s_cbranch_execz .LBB20_22
; %bb.21:
	v_mul_f64 v[54:55], v[46:47], v[40:41]
	v_mul_f64 v[40:41], v[48:49], v[40:41]
	v_fma_f64 v[54:55], v[48:49], v[38:39], v[54:55]
	v_fma_f64 v[38:39], v[46:47], v[38:39], -v[40:41]
	ds_read2_b64 v[46:49], v1 offset0:2 offset1:3
	s_waitcnt lgkmcnt(0)
	v_mul_f64 v[40:41], v[48:49], v[54:55]
	v_fma_f64 v[40:41], v[46:47], v[38:39], -v[40:41]
	v_mul_f64 v[46:47], v[46:47], v[54:55]
	v_add_f64 v[34:35], v[34:35], -v[40:41]
	v_fma_f64 v[46:47], v[48:49], v[38:39], v[46:47]
	v_add_f64 v[36:37], v[36:37], -v[46:47]
	ds_read2_b64 v[46:49], v1 offset0:4 offset1:5
	s_waitcnt lgkmcnt(0)
	v_mul_f64 v[40:41], v[48:49], v[54:55]
	v_fma_f64 v[40:41], v[46:47], v[38:39], -v[40:41]
	v_mul_f64 v[46:47], v[46:47], v[54:55]
	v_add_f64 v[30:31], v[30:31], -v[40:41]
	v_fma_f64 v[46:47], v[48:49], v[38:39], v[46:47]
	v_add_f64 v[32:33], v[32:33], -v[46:47]
	;; [unrolled: 8-line block ×9, first 2 shown]
	ds_read2_b64 v[46:49], v1 offset0:20 offset1:21
	s_waitcnt lgkmcnt(0)
	v_mul_f64 v[40:41], v[48:49], v[54:55]
	v_fma_f64 v[40:41], v[46:47], v[38:39], -v[40:41]
	v_mul_f64 v[46:47], v[46:47], v[54:55]
	v_add_f64 v[42:43], v[42:43], -v[40:41]
	v_fma_f64 v[46:47], v[48:49], v[38:39], v[46:47]
	v_mov_b32_e32 v40, v54
	v_mov_b32_e32 v41, v55
	v_add_f64 v[44:45], v[44:45], -v[46:47]
.LBB20_22:
	s_or_b64 exec, exec, s[0:1]
	v_lshl_add_u32 v46, v56, 4, v1
	s_barrier
	ds_write2_b64 v46, v[34:35], v[36:37] offset1:1
	s_waitcnt lgkmcnt(0)
	s_barrier
	ds_read2_b64 v[46:49], v1 offset0:2 offset1:3
	s_cmp_lt_i32 s22, 3
	v_mov_b32_e32 v54, 1
	s_cbranch_scc1 .LBB20_25
; %bb.23:
	v_add3_u32 v55, v60, 0, 32
	s_mov_b32 s2, 2
	v_mov_b32_e32 v54, 1
.LBB20_24:                              ; =>This Inner Loop Header: Depth=1
	s_waitcnt lgkmcnt(0)
	v_cmp_gt_f64_e32 vcc, 0, v[48:49]
	v_cmp_gt_f64_e64 s[0:1], 0, v[46:47]
	ds_read2_b64 v[62:65], v55 offset1:1
	v_xor_b32_e32 v67, 0x80000000, v47
	v_xor_b32_e32 v69, 0x80000000, v49
	v_mov_b32_e32 v66, v46
	v_mov_b32_e32 v68, v48
	s_waitcnt lgkmcnt(0)
	v_xor_b32_e32 v71, 0x80000000, v65
	v_cndmask_b32_e32 v69, v49, v69, vcc
	v_cndmask_b32_e64 v67, v47, v67, s[0:1]
	v_cmp_gt_f64_e32 vcc, 0, v[64:65]
	v_cmp_gt_f64_e64 s[0:1], 0, v[62:63]
	v_add_f64 v[66:67], v[66:67], v[68:69]
	v_xor_b32_e32 v69, 0x80000000, v63
	v_mov_b32_e32 v68, v62
	v_mov_b32_e32 v70, v64
	v_add_u32_e32 v55, 16, v55
	v_cndmask_b32_e32 v71, v65, v71, vcc
	v_cndmask_b32_e64 v69, v63, v69, s[0:1]
	v_add_f64 v[68:69], v[68:69], v[70:71]
	v_mov_b32_e32 v70, s2
	s_add_i32 s2, s2, 1
	s_cmp_lg_u32 s22, s2
	v_cmp_lt_f64_e32 vcc, v[66:67], v[68:69]
	v_cndmask_b32_e32 v47, v47, v63, vcc
	v_cndmask_b32_e32 v46, v46, v62, vcc
	;; [unrolled: 1-line block ×5, first 2 shown]
	s_cbranch_scc1 .LBB20_24
.LBB20_25:
	s_waitcnt lgkmcnt(0)
	v_cmp_neq_f64_e32 vcc, 0, v[46:47]
	v_cmp_neq_f64_e64 s[0:1], 0, v[48:49]
	s_or_b64 s[2:3], vcc, s[0:1]
	s_and_saveexec_b64 s[0:1], s[2:3]
	s_cbranch_execz .LBB20_31
; %bb.26:
	v_cmp_ngt_f64_e64 s[2:3], |v[46:47]|, |v[48:49]|
	s_and_saveexec_b64 s[4:5], s[2:3]
	s_xor_b64 s[2:3], exec, s[4:5]
	s_cbranch_execz .LBB20_28
; %bb.27:
	v_div_scale_f64 v[62:63], s[4:5], v[48:49], v[48:49], v[46:47]
	v_rcp_f64_e32 v[64:65], v[62:63]
	v_fma_f64 v[66:67], -v[62:63], v[64:65], 1.0
	v_fma_f64 v[64:65], v[64:65], v[66:67], v[64:65]
	v_div_scale_f64 v[66:67], vcc, v[46:47], v[48:49], v[46:47]
	v_fma_f64 v[68:69], -v[62:63], v[64:65], 1.0
	v_fma_f64 v[64:65], v[64:65], v[68:69], v[64:65]
	v_mul_f64 v[68:69], v[66:67], v[64:65]
	v_fma_f64 v[62:63], -v[62:63], v[68:69], v[66:67]
	v_div_fmas_f64 v[62:63], v[62:63], v[64:65], v[68:69]
	v_div_fixup_f64 v[62:63], v[62:63], v[48:49], v[46:47]
	v_fma_f64 v[46:47], v[46:47], v[62:63], v[48:49]
	v_div_scale_f64 v[48:49], s[4:5], v[46:47], v[46:47], 1.0
	v_div_scale_f64 v[68:69], vcc, 1.0, v[46:47], 1.0
	v_rcp_f64_e32 v[64:65], v[48:49]
	v_fma_f64 v[66:67], -v[48:49], v[64:65], 1.0
	v_fma_f64 v[64:65], v[64:65], v[66:67], v[64:65]
	v_fma_f64 v[66:67], -v[48:49], v[64:65], 1.0
	v_fma_f64 v[64:65], v[64:65], v[66:67], v[64:65]
	v_mul_f64 v[66:67], v[68:69], v[64:65]
	v_fma_f64 v[48:49], -v[48:49], v[66:67], v[68:69]
	v_div_fmas_f64 v[48:49], v[48:49], v[64:65], v[66:67]
	v_div_fixup_f64 v[48:49], v[48:49], v[46:47], 1.0
	v_mul_f64 v[46:47], v[62:63], v[48:49]
	v_xor_b32_e32 v49, 0x80000000, v49
.LBB20_28:
	s_andn2_saveexec_b64 s[2:3], s[2:3]
	s_cbranch_execz .LBB20_30
; %bb.29:
	v_div_scale_f64 v[62:63], s[4:5], v[46:47], v[46:47], v[48:49]
	v_rcp_f64_e32 v[64:65], v[62:63]
	v_fma_f64 v[66:67], -v[62:63], v[64:65], 1.0
	v_fma_f64 v[64:65], v[64:65], v[66:67], v[64:65]
	v_div_scale_f64 v[66:67], vcc, v[48:49], v[46:47], v[48:49]
	v_fma_f64 v[68:69], -v[62:63], v[64:65], 1.0
	v_fma_f64 v[64:65], v[64:65], v[68:69], v[64:65]
	v_mul_f64 v[68:69], v[66:67], v[64:65]
	v_fma_f64 v[62:63], -v[62:63], v[68:69], v[66:67]
	v_div_fmas_f64 v[62:63], v[62:63], v[64:65], v[68:69]
	v_div_fixup_f64 v[62:63], v[62:63], v[46:47], v[48:49]
	v_fma_f64 v[46:47], v[48:49], v[62:63], v[46:47]
	v_div_scale_f64 v[48:49], s[4:5], v[46:47], v[46:47], 1.0
	v_div_scale_f64 v[68:69], vcc, 1.0, v[46:47], 1.0
	v_rcp_f64_e32 v[64:65], v[48:49]
	v_fma_f64 v[66:67], -v[48:49], v[64:65], 1.0
	v_fma_f64 v[64:65], v[64:65], v[66:67], v[64:65]
	v_fma_f64 v[66:67], -v[48:49], v[64:65], 1.0
	v_fma_f64 v[64:65], v[64:65], v[66:67], v[64:65]
	v_mul_f64 v[66:67], v[68:69], v[64:65]
	v_fma_f64 v[48:49], -v[48:49], v[66:67], v[68:69]
	v_div_fmas_f64 v[48:49], v[48:49], v[64:65], v[66:67]
	v_div_fixup_f64 v[46:47], v[48:49], v[46:47], 1.0
	v_mul_f64 v[48:49], v[62:63], -v[46:47]
.LBB20_30:
	s_or_b64 exec, exec, s[2:3]
	v_mov_b32_e32 v59, v61
.LBB20_31:
	s_or_b64 exec, exec, s[0:1]
	v_cmp_ne_u32_e32 vcc, v56, v54
	s_and_saveexec_b64 s[0:1], vcc
	s_xor_b64 s[0:1], exec, s[0:1]
	s_cbranch_execz .LBB20_37
; %bb.32:
	v_cmp_eq_u32_e32 vcc, 1, v56
	s_and_saveexec_b64 s[2:3], vcc
	s_cbranch_execz .LBB20_36
; %bb.33:
	v_cmp_ne_u32_e32 vcc, 1, v54
	s_xor_b64 s[4:5], s[18:19], -1
	s_and_b64 s[24:25], s[4:5], vcc
	s_and_saveexec_b64 s[4:5], s[24:25]
	s_cbranch_execz .LBB20_35
; %bb.34:
	v_ashrrev_i32_e32 v55, 31, v54
	v_lshlrev_b64 v[55:56], 2, v[54:55]
	v_add_co_u32_e32 v55, vcc, v52, v55
	v_addc_co_u32_e32 v56, vcc, v53, v56, vcc
	global_load_dword v0, v[55:56], off
	global_load_dword v61, v[52:53], off offset:4
	s_waitcnt vmcnt(1)
	global_store_dword v[52:53], v0, off offset:4
	s_waitcnt vmcnt(1)
	global_store_dword v[55:56], v61, off
.LBB20_35:
	s_or_b64 exec, exec, s[4:5]
	v_mov_b32_e32 v56, v54
	v_mov_b32_e32 v0, v54
.LBB20_36:
	s_or_b64 exec, exec, s[2:3]
.LBB20_37:
	s_andn2_saveexec_b64 s[0:1], s[0:1]
	s_cbranch_execz .LBB20_39
; %bb.38:
	v_mov_b32_e32 v56, 1
	ds_write2_b64 v1, v[30:31], v[32:33] offset0:4 offset1:5
	ds_write2_b64 v1, v[26:27], v[28:29] offset0:6 offset1:7
	;; [unrolled: 1-line block ×9, first 2 shown]
.LBB20_39:
	s_or_b64 exec, exec, s[0:1]
	v_cmp_lt_i32_e32 vcc, 1, v56
	s_waitcnt vmcnt(0) lgkmcnt(0)
	s_barrier
	s_and_saveexec_b64 s[0:1], vcc
	s_cbranch_execz .LBB20_41
; %bb.40:
	v_mul_f64 v[54:55], v[46:47], v[36:37]
	v_mul_f64 v[36:37], v[48:49], v[36:37]
	v_fma_f64 v[54:55], v[48:49], v[34:35], v[54:55]
	v_fma_f64 v[34:35], v[46:47], v[34:35], -v[36:37]
	ds_read2_b64 v[46:49], v1 offset0:4 offset1:5
	s_waitcnt lgkmcnt(0)
	v_mul_f64 v[36:37], v[48:49], v[54:55]
	v_fma_f64 v[36:37], v[46:47], v[34:35], -v[36:37]
	v_mul_f64 v[46:47], v[46:47], v[54:55]
	v_add_f64 v[30:31], v[30:31], -v[36:37]
	v_fma_f64 v[46:47], v[48:49], v[34:35], v[46:47]
	v_add_f64 v[32:33], v[32:33], -v[46:47]
	ds_read2_b64 v[46:49], v1 offset0:6 offset1:7
	s_waitcnt lgkmcnt(0)
	v_mul_f64 v[36:37], v[48:49], v[54:55]
	v_fma_f64 v[36:37], v[46:47], v[34:35], -v[36:37]
	v_mul_f64 v[46:47], v[46:47], v[54:55]
	v_add_f64 v[26:27], v[26:27], -v[36:37]
	v_fma_f64 v[46:47], v[48:49], v[34:35], v[46:47]
	v_add_f64 v[28:29], v[28:29], -v[46:47]
	;; [unrolled: 8-line block ×8, first 2 shown]
	ds_read2_b64 v[46:49], v1 offset0:20 offset1:21
	s_waitcnt lgkmcnt(0)
	v_mul_f64 v[36:37], v[48:49], v[54:55]
	v_fma_f64 v[36:37], v[46:47], v[34:35], -v[36:37]
	v_mul_f64 v[46:47], v[46:47], v[54:55]
	v_add_f64 v[42:43], v[42:43], -v[36:37]
	v_fma_f64 v[46:47], v[48:49], v[34:35], v[46:47]
	v_mov_b32_e32 v36, v54
	v_mov_b32_e32 v37, v55
	v_add_f64 v[44:45], v[44:45], -v[46:47]
.LBB20_41:
	s_or_b64 exec, exec, s[0:1]
	v_lshl_add_u32 v46, v56, 4, v1
	s_barrier
	ds_write2_b64 v46, v[30:31], v[32:33] offset1:1
	s_waitcnt lgkmcnt(0)
	s_barrier
	ds_read2_b64 v[46:49], v1 offset0:4 offset1:5
	s_cmp_lt_i32 s22, 4
	v_mov_b32_e32 v54, 2
	s_cbranch_scc1 .LBB20_44
; %bb.42:
	v_add3_u32 v55, v60, 0, 48
	s_mov_b32 s2, 3
	v_mov_b32_e32 v54, 2
.LBB20_43:                              ; =>This Inner Loop Header: Depth=1
	s_waitcnt lgkmcnt(0)
	v_cmp_gt_f64_e32 vcc, 0, v[48:49]
	v_cmp_gt_f64_e64 s[0:1], 0, v[46:47]
	ds_read2_b64 v[61:64], v55 offset1:1
	v_xor_b32_e32 v66, 0x80000000, v47
	v_xor_b32_e32 v68, 0x80000000, v49
	v_mov_b32_e32 v65, v46
	v_mov_b32_e32 v67, v48
	s_waitcnt lgkmcnt(0)
	v_xor_b32_e32 v70, 0x80000000, v64
	v_cndmask_b32_e32 v68, v49, v68, vcc
	v_cndmask_b32_e64 v66, v47, v66, s[0:1]
	v_cmp_gt_f64_e32 vcc, 0, v[63:64]
	v_cmp_gt_f64_e64 s[0:1], 0, v[61:62]
	v_add_f64 v[65:66], v[65:66], v[67:68]
	v_xor_b32_e32 v68, 0x80000000, v62
	v_mov_b32_e32 v67, v61
	v_mov_b32_e32 v69, v63
	v_add_u32_e32 v55, 16, v55
	v_cndmask_b32_e32 v70, v64, v70, vcc
	v_cndmask_b32_e64 v68, v62, v68, s[0:1]
	v_add_f64 v[67:68], v[67:68], v[69:70]
	v_mov_b32_e32 v69, s2
	s_add_i32 s2, s2, 1
	s_cmp_lg_u32 s22, s2
	v_cmp_lt_f64_e32 vcc, v[65:66], v[67:68]
	v_cndmask_b32_e32 v47, v47, v62, vcc
	v_cndmask_b32_e32 v46, v46, v61, vcc
	;; [unrolled: 1-line block ×5, first 2 shown]
	s_cbranch_scc1 .LBB20_43
.LBB20_44:
	s_waitcnt lgkmcnt(0)
	v_cmp_eq_f64_e32 vcc, 0, v[46:47]
	v_cmp_eq_f64_e64 s[0:1], 0, v[48:49]
	s_and_b64 s[0:1], vcc, s[0:1]
	s_and_saveexec_b64 s[2:3], s[0:1]
	s_xor_b64 s[0:1], exec, s[2:3]
; %bb.45:
	v_cmp_ne_u32_e32 vcc, 0, v59
	v_cndmask_b32_e32 v59, 3, v59, vcc
; %bb.46:
	s_andn2_saveexec_b64 s[0:1], s[0:1]
	s_cbranch_execz .LBB20_52
; %bb.47:
	v_cmp_ngt_f64_e64 s[2:3], |v[46:47]|, |v[48:49]|
	s_and_saveexec_b64 s[4:5], s[2:3]
	s_xor_b64 s[2:3], exec, s[4:5]
	s_cbranch_execz .LBB20_49
; %bb.48:
	v_div_scale_f64 v[61:62], s[4:5], v[48:49], v[48:49], v[46:47]
	v_rcp_f64_e32 v[63:64], v[61:62]
	v_fma_f64 v[65:66], -v[61:62], v[63:64], 1.0
	v_fma_f64 v[63:64], v[63:64], v[65:66], v[63:64]
	v_div_scale_f64 v[65:66], vcc, v[46:47], v[48:49], v[46:47]
	v_fma_f64 v[67:68], -v[61:62], v[63:64], 1.0
	v_fma_f64 v[63:64], v[63:64], v[67:68], v[63:64]
	v_mul_f64 v[67:68], v[65:66], v[63:64]
	v_fma_f64 v[61:62], -v[61:62], v[67:68], v[65:66]
	v_div_fmas_f64 v[61:62], v[61:62], v[63:64], v[67:68]
	v_div_fixup_f64 v[61:62], v[61:62], v[48:49], v[46:47]
	v_fma_f64 v[46:47], v[46:47], v[61:62], v[48:49]
	v_div_scale_f64 v[48:49], s[4:5], v[46:47], v[46:47], 1.0
	v_div_scale_f64 v[67:68], vcc, 1.0, v[46:47], 1.0
	v_rcp_f64_e32 v[63:64], v[48:49]
	v_fma_f64 v[65:66], -v[48:49], v[63:64], 1.0
	v_fma_f64 v[63:64], v[63:64], v[65:66], v[63:64]
	v_fma_f64 v[65:66], -v[48:49], v[63:64], 1.0
	v_fma_f64 v[63:64], v[63:64], v[65:66], v[63:64]
	v_mul_f64 v[65:66], v[67:68], v[63:64]
	v_fma_f64 v[48:49], -v[48:49], v[65:66], v[67:68]
	v_div_fmas_f64 v[48:49], v[48:49], v[63:64], v[65:66]
	v_div_fixup_f64 v[48:49], v[48:49], v[46:47], 1.0
	v_mul_f64 v[46:47], v[61:62], v[48:49]
	v_xor_b32_e32 v49, 0x80000000, v49
.LBB20_49:
	s_andn2_saveexec_b64 s[2:3], s[2:3]
	s_cbranch_execz .LBB20_51
; %bb.50:
	v_div_scale_f64 v[61:62], s[4:5], v[46:47], v[46:47], v[48:49]
	v_rcp_f64_e32 v[63:64], v[61:62]
	v_fma_f64 v[65:66], -v[61:62], v[63:64], 1.0
	v_fma_f64 v[63:64], v[63:64], v[65:66], v[63:64]
	v_div_scale_f64 v[65:66], vcc, v[48:49], v[46:47], v[48:49]
	v_fma_f64 v[67:68], -v[61:62], v[63:64], 1.0
	v_fma_f64 v[63:64], v[63:64], v[67:68], v[63:64]
	v_mul_f64 v[67:68], v[65:66], v[63:64]
	v_fma_f64 v[61:62], -v[61:62], v[67:68], v[65:66]
	v_div_fmas_f64 v[61:62], v[61:62], v[63:64], v[67:68]
	v_div_fixup_f64 v[61:62], v[61:62], v[46:47], v[48:49]
	v_fma_f64 v[46:47], v[48:49], v[61:62], v[46:47]
	v_div_scale_f64 v[48:49], s[4:5], v[46:47], v[46:47], 1.0
	v_div_scale_f64 v[67:68], vcc, 1.0, v[46:47], 1.0
	v_rcp_f64_e32 v[63:64], v[48:49]
	v_fma_f64 v[65:66], -v[48:49], v[63:64], 1.0
	v_fma_f64 v[63:64], v[63:64], v[65:66], v[63:64]
	v_fma_f64 v[65:66], -v[48:49], v[63:64], 1.0
	v_fma_f64 v[63:64], v[63:64], v[65:66], v[63:64]
	v_mul_f64 v[65:66], v[67:68], v[63:64]
	v_fma_f64 v[48:49], -v[48:49], v[65:66], v[67:68]
	v_div_fmas_f64 v[48:49], v[48:49], v[63:64], v[65:66]
	v_div_fixup_f64 v[46:47], v[48:49], v[46:47], 1.0
	v_mul_f64 v[48:49], v[61:62], -v[46:47]
.LBB20_51:
	s_or_b64 exec, exec, s[2:3]
.LBB20_52:
	s_or_b64 exec, exec, s[0:1]
	v_cmp_ne_u32_e32 vcc, v56, v54
	s_and_saveexec_b64 s[0:1], vcc
	s_xor_b64 s[0:1], exec, s[0:1]
	s_cbranch_execz .LBB20_58
; %bb.53:
	v_cmp_eq_u32_e32 vcc, 2, v56
	s_and_saveexec_b64 s[2:3], vcc
	s_cbranch_execz .LBB20_57
; %bb.54:
	v_cmp_ne_u32_e32 vcc, 2, v54
	s_xor_b64 s[4:5], s[18:19], -1
	s_and_b64 s[24:25], s[4:5], vcc
	s_and_saveexec_b64 s[4:5], s[24:25]
	s_cbranch_execz .LBB20_56
; %bb.55:
	v_ashrrev_i32_e32 v55, 31, v54
	v_lshlrev_b64 v[55:56], 2, v[54:55]
	v_add_co_u32_e32 v55, vcc, v52, v55
	v_addc_co_u32_e32 v56, vcc, v53, v56, vcc
	global_load_dword v0, v[55:56], off
	global_load_dword v61, v[52:53], off offset:8
	s_waitcnt vmcnt(1)
	global_store_dword v[52:53], v0, off offset:8
	s_waitcnt vmcnt(1)
	global_store_dword v[55:56], v61, off
.LBB20_56:
	s_or_b64 exec, exec, s[4:5]
	v_mov_b32_e32 v56, v54
	v_mov_b32_e32 v0, v54
.LBB20_57:
	s_or_b64 exec, exec, s[2:3]
.LBB20_58:
	s_andn2_saveexec_b64 s[0:1], s[0:1]
	s_cbranch_execz .LBB20_60
; %bb.59:
	v_mov_b32_e32 v56, 2
	ds_write2_b64 v1, v[26:27], v[28:29] offset0:6 offset1:7
	ds_write2_b64 v1, v[22:23], v[24:25] offset0:8 offset1:9
	;; [unrolled: 1-line block ×8, first 2 shown]
.LBB20_60:
	s_or_b64 exec, exec, s[0:1]
	v_cmp_lt_i32_e32 vcc, 2, v56
	s_waitcnt vmcnt(0) lgkmcnt(0)
	s_barrier
	s_and_saveexec_b64 s[0:1], vcc
	s_cbranch_execz .LBB20_62
; %bb.61:
	v_mul_f64 v[54:55], v[46:47], v[32:33]
	v_mul_f64 v[32:33], v[48:49], v[32:33]
	v_fma_f64 v[54:55], v[48:49], v[30:31], v[54:55]
	v_fma_f64 v[30:31], v[46:47], v[30:31], -v[32:33]
	ds_read2_b64 v[46:49], v1 offset0:6 offset1:7
	s_waitcnt lgkmcnt(0)
	v_mul_f64 v[32:33], v[48:49], v[54:55]
	v_fma_f64 v[32:33], v[46:47], v[30:31], -v[32:33]
	v_mul_f64 v[46:47], v[46:47], v[54:55]
	v_add_f64 v[26:27], v[26:27], -v[32:33]
	v_fma_f64 v[46:47], v[48:49], v[30:31], v[46:47]
	v_add_f64 v[28:29], v[28:29], -v[46:47]
	ds_read2_b64 v[46:49], v1 offset0:8 offset1:9
	s_waitcnt lgkmcnt(0)
	v_mul_f64 v[32:33], v[48:49], v[54:55]
	v_fma_f64 v[32:33], v[46:47], v[30:31], -v[32:33]
	v_mul_f64 v[46:47], v[46:47], v[54:55]
	v_add_f64 v[22:23], v[22:23], -v[32:33]
	v_fma_f64 v[46:47], v[48:49], v[30:31], v[46:47]
	v_add_f64 v[24:25], v[24:25], -v[46:47]
	;; [unrolled: 8-line block ×7, first 2 shown]
	ds_read2_b64 v[46:49], v1 offset0:20 offset1:21
	s_waitcnt lgkmcnt(0)
	v_mul_f64 v[32:33], v[48:49], v[54:55]
	v_fma_f64 v[32:33], v[46:47], v[30:31], -v[32:33]
	v_mul_f64 v[46:47], v[46:47], v[54:55]
	v_add_f64 v[42:43], v[42:43], -v[32:33]
	v_fma_f64 v[46:47], v[48:49], v[30:31], v[46:47]
	v_mov_b32_e32 v32, v54
	v_mov_b32_e32 v33, v55
	v_add_f64 v[44:45], v[44:45], -v[46:47]
.LBB20_62:
	s_or_b64 exec, exec, s[0:1]
	v_lshl_add_u32 v46, v56, 4, v1
	s_barrier
	ds_write2_b64 v46, v[26:27], v[28:29] offset1:1
	s_waitcnt lgkmcnt(0)
	s_barrier
	ds_read2_b64 v[46:49], v1 offset0:6 offset1:7
	s_mov_b32 s2, 4
	s_cmp_lt_i32 s22, 5
	v_mov_b32_e32 v54, 3
	s_cbranch_scc1 .LBB20_65
; %bb.63:
	v_add3_u32 v55, v60, 0, 64
	v_mov_b32_e32 v54, 3
.LBB20_64:                              ; =>This Inner Loop Header: Depth=1
	s_waitcnt lgkmcnt(0)
	v_cmp_gt_f64_e32 vcc, 0, v[48:49]
	v_cmp_gt_f64_e64 s[0:1], 0, v[46:47]
	ds_read2_b64 v[60:63], v55 offset1:1
	v_xor_b32_e32 v65, 0x80000000, v47
	v_xor_b32_e32 v67, 0x80000000, v49
	v_mov_b32_e32 v64, v46
	v_mov_b32_e32 v66, v48
	s_waitcnt lgkmcnt(0)
	v_xor_b32_e32 v69, 0x80000000, v63
	v_cndmask_b32_e32 v67, v49, v67, vcc
	v_cndmask_b32_e64 v65, v47, v65, s[0:1]
	v_cmp_gt_f64_e32 vcc, 0, v[62:63]
	v_cmp_gt_f64_e64 s[0:1], 0, v[60:61]
	v_add_f64 v[64:65], v[64:65], v[66:67]
	v_xor_b32_e32 v67, 0x80000000, v61
	v_mov_b32_e32 v66, v60
	v_mov_b32_e32 v68, v62
	v_add_u32_e32 v55, 16, v55
	v_cndmask_b32_e32 v69, v63, v69, vcc
	v_cndmask_b32_e64 v67, v61, v67, s[0:1]
	v_add_f64 v[66:67], v[66:67], v[68:69]
	v_mov_b32_e32 v68, s2
	s_add_i32 s2, s2, 1
	s_cmp_lg_u32 s22, s2
	v_cmp_lt_f64_e32 vcc, v[64:65], v[66:67]
	v_cndmask_b32_e32 v47, v47, v61, vcc
	v_cndmask_b32_e32 v46, v46, v60, vcc
	;; [unrolled: 1-line block ×5, first 2 shown]
	s_cbranch_scc1 .LBB20_64
.LBB20_65:
	s_waitcnt lgkmcnt(0)
	v_cmp_eq_f64_e32 vcc, 0, v[46:47]
	v_cmp_eq_f64_e64 s[0:1], 0, v[48:49]
	s_and_b64 s[0:1], vcc, s[0:1]
	s_and_saveexec_b64 s[2:3], s[0:1]
	s_xor_b64 s[0:1], exec, s[2:3]
; %bb.66:
	v_cmp_ne_u32_e32 vcc, 0, v59
	v_cndmask_b32_e32 v59, 4, v59, vcc
; %bb.67:
	s_andn2_saveexec_b64 s[0:1], s[0:1]
	s_cbranch_execz .LBB20_73
; %bb.68:
	v_cmp_ngt_f64_e64 s[2:3], |v[46:47]|, |v[48:49]|
	s_and_saveexec_b64 s[4:5], s[2:3]
	s_xor_b64 s[2:3], exec, s[4:5]
	s_cbranch_execz .LBB20_70
; %bb.69:
	v_div_scale_f64 v[60:61], s[4:5], v[48:49], v[48:49], v[46:47]
	v_rcp_f64_e32 v[62:63], v[60:61]
	v_fma_f64 v[64:65], -v[60:61], v[62:63], 1.0
	v_fma_f64 v[62:63], v[62:63], v[64:65], v[62:63]
	v_div_scale_f64 v[64:65], vcc, v[46:47], v[48:49], v[46:47]
	v_fma_f64 v[66:67], -v[60:61], v[62:63], 1.0
	v_fma_f64 v[62:63], v[62:63], v[66:67], v[62:63]
	v_mul_f64 v[66:67], v[64:65], v[62:63]
	v_fma_f64 v[60:61], -v[60:61], v[66:67], v[64:65]
	v_div_fmas_f64 v[60:61], v[60:61], v[62:63], v[66:67]
	v_div_fixup_f64 v[60:61], v[60:61], v[48:49], v[46:47]
	v_fma_f64 v[46:47], v[46:47], v[60:61], v[48:49]
	v_div_scale_f64 v[48:49], s[4:5], v[46:47], v[46:47], 1.0
	v_div_scale_f64 v[66:67], vcc, 1.0, v[46:47], 1.0
	v_rcp_f64_e32 v[62:63], v[48:49]
	v_fma_f64 v[64:65], -v[48:49], v[62:63], 1.0
	v_fma_f64 v[62:63], v[62:63], v[64:65], v[62:63]
	v_fma_f64 v[64:65], -v[48:49], v[62:63], 1.0
	v_fma_f64 v[62:63], v[62:63], v[64:65], v[62:63]
	v_mul_f64 v[64:65], v[66:67], v[62:63]
	v_fma_f64 v[48:49], -v[48:49], v[64:65], v[66:67]
	v_div_fmas_f64 v[48:49], v[48:49], v[62:63], v[64:65]
	v_div_fixup_f64 v[48:49], v[48:49], v[46:47], 1.0
	v_mul_f64 v[46:47], v[60:61], v[48:49]
	v_xor_b32_e32 v49, 0x80000000, v49
.LBB20_70:
	s_andn2_saveexec_b64 s[2:3], s[2:3]
	s_cbranch_execz .LBB20_72
; %bb.71:
	v_div_scale_f64 v[60:61], s[4:5], v[46:47], v[46:47], v[48:49]
	v_rcp_f64_e32 v[62:63], v[60:61]
	v_fma_f64 v[64:65], -v[60:61], v[62:63], 1.0
	v_fma_f64 v[62:63], v[62:63], v[64:65], v[62:63]
	v_div_scale_f64 v[64:65], vcc, v[48:49], v[46:47], v[48:49]
	v_fma_f64 v[66:67], -v[60:61], v[62:63], 1.0
	v_fma_f64 v[62:63], v[62:63], v[66:67], v[62:63]
	v_mul_f64 v[66:67], v[64:65], v[62:63]
	v_fma_f64 v[60:61], -v[60:61], v[66:67], v[64:65]
	v_div_fmas_f64 v[60:61], v[60:61], v[62:63], v[66:67]
	v_div_fixup_f64 v[60:61], v[60:61], v[46:47], v[48:49]
	v_fma_f64 v[46:47], v[48:49], v[60:61], v[46:47]
	v_div_scale_f64 v[48:49], s[4:5], v[46:47], v[46:47], 1.0
	v_div_scale_f64 v[66:67], vcc, 1.0, v[46:47], 1.0
	v_rcp_f64_e32 v[62:63], v[48:49]
	v_fma_f64 v[64:65], -v[48:49], v[62:63], 1.0
	v_fma_f64 v[62:63], v[62:63], v[64:65], v[62:63]
	v_fma_f64 v[64:65], -v[48:49], v[62:63], 1.0
	v_fma_f64 v[62:63], v[62:63], v[64:65], v[62:63]
	v_mul_f64 v[64:65], v[66:67], v[62:63]
	v_fma_f64 v[48:49], -v[48:49], v[64:65], v[66:67]
	v_div_fmas_f64 v[48:49], v[48:49], v[62:63], v[64:65]
	v_div_fixup_f64 v[46:47], v[48:49], v[46:47], 1.0
	v_mul_f64 v[48:49], v[60:61], -v[46:47]
.LBB20_72:
	s_or_b64 exec, exec, s[2:3]
.LBB20_73:
	s_or_b64 exec, exec, s[0:1]
	v_cmp_ne_u32_e32 vcc, v56, v54
	s_and_saveexec_b64 s[0:1], vcc
	s_xor_b64 s[0:1], exec, s[0:1]
	s_cbranch_execz .LBB20_79
; %bb.74:
	v_cmp_eq_u32_e32 vcc, 3, v56
	s_and_saveexec_b64 s[2:3], vcc
	s_cbranch_execz .LBB20_78
; %bb.75:
	v_cmp_ne_u32_e32 vcc, 3, v54
	s_xor_b64 s[4:5], s[18:19], -1
	s_and_b64 s[24:25], s[4:5], vcc
	s_and_saveexec_b64 s[4:5], s[24:25]
	s_cbranch_execz .LBB20_77
; %bb.76:
	v_ashrrev_i32_e32 v55, 31, v54
	v_lshlrev_b64 v[55:56], 2, v[54:55]
	v_add_co_u32_e32 v55, vcc, v52, v55
	v_addc_co_u32_e32 v56, vcc, v53, v56, vcc
	global_load_dword v0, v[55:56], off
	global_load_dword v60, v[52:53], off offset:12
	s_waitcnt vmcnt(1)
	global_store_dword v[52:53], v0, off offset:12
	s_waitcnt vmcnt(1)
	global_store_dword v[55:56], v60, off
.LBB20_77:
	s_or_b64 exec, exec, s[4:5]
	v_mov_b32_e32 v56, v54
	v_mov_b32_e32 v0, v54
.LBB20_78:
	s_or_b64 exec, exec, s[2:3]
.LBB20_79:
	s_andn2_saveexec_b64 s[0:1], s[0:1]
	s_cbranch_execz .LBB20_81
; %bb.80:
	v_mov_b32_e32 v56, 3
	ds_write2_b64 v1, v[22:23], v[24:25] offset0:8 offset1:9
	ds_write2_b64 v1, v[18:19], v[20:21] offset0:10 offset1:11
	;; [unrolled: 1-line block ×7, first 2 shown]
.LBB20_81:
	s_or_b64 exec, exec, s[0:1]
	v_cmp_lt_i32_e32 vcc, 3, v56
	s_waitcnt vmcnt(0) lgkmcnt(0)
	s_barrier
	s_and_saveexec_b64 s[0:1], vcc
	s_cbranch_execz .LBB20_83
; %bb.82:
	v_mul_f64 v[54:55], v[46:47], v[28:29]
	v_mul_f64 v[28:29], v[48:49], v[28:29]
	v_fma_f64 v[54:55], v[48:49], v[26:27], v[54:55]
	v_fma_f64 v[26:27], v[46:47], v[26:27], -v[28:29]
	ds_read2_b64 v[46:49], v1 offset0:8 offset1:9
	s_waitcnt lgkmcnt(0)
	v_mul_f64 v[28:29], v[48:49], v[54:55]
	v_fma_f64 v[28:29], v[46:47], v[26:27], -v[28:29]
	v_mul_f64 v[46:47], v[46:47], v[54:55]
	v_add_f64 v[22:23], v[22:23], -v[28:29]
	v_fma_f64 v[46:47], v[48:49], v[26:27], v[46:47]
	v_add_f64 v[24:25], v[24:25], -v[46:47]
	ds_read2_b64 v[46:49], v1 offset0:10 offset1:11
	s_waitcnt lgkmcnt(0)
	v_mul_f64 v[28:29], v[48:49], v[54:55]
	v_fma_f64 v[28:29], v[46:47], v[26:27], -v[28:29]
	v_mul_f64 v[46:47], v[46:47], v[54:55]
	v_add_f64 v[18:19], v[18:19], -v[28:29]
	v_fma_f64 v[46:47], v[48:49], v[26:27], v[46:47]
	v_add_f64 v[20:21], v[20:21], -v[46:47]
	;; [unrolled: 8-line block ×6, first 2 shown]
	ds_read2_b64 v[46:49], v1 offset0:20 offset1:21
	s_waitcnt lgkmcnt(0)
	v_mul_f64 v[28:29], v[48:49], v[54:55]
	v_fma_f64 v[28:29], v[46:47], v[26:27], -v[28:29]
	v_mul_f64 v[46:47], v[46:47], v[54:55]
	v_add_f64 v[42:43], v[42:43], -v[28:29]
	v_fma_f64 v[46:47], v[48:49], v[26:27], v[46:47]
	v_mov_b32_e32 v28, v54
	v_mov_b32_e32 v29, v55
	v_add_f64 v[44:45], v[44:45], -v[46:47]
.LBB20_83:
	s_or_b64 exec, exec, s[0:1]
	v_lshl_add_u32 v46, v56, 4, v1
	s_barrier
	ds_write2_b64 v46, v[22:23], v[24:25] offset1:1
	s_waitcnt lgkmcnt(0)
	s_barrier
	ds_read2_b64 v[46:49], v1 offset0:8 offset1:9
	s_cmp_lt_i32 s22, 6
	v_mov_b32_e32 v54, 4
	s_cbranch_scc1 .LBB20_86
; %bb.84:
	v_mov_b32_e32 v54, 4
	v_add_u32_e32 v55, 0x50, v1
	s_mov_b32 s2, 5
.LBB20_85:                              ; =>This Inner Loop Header: Depth=1
	s_waitcnt lgkmcnt(0)
	v_cmp_gt_f64_e32 vcc, 0, v[48:49]
	v_cmp_gt_f64_e64 s[0:1], 0, v[46:47]
	ds_read2_b64 v[60:63], v55 offset1:1
	v_xor_b32_e32 v65, 0x80000000, v47
	v_xor_b32_e32 v67, 0x80000000, v49
	v_mov_b32_e32 v64, v46
	v_mov_b32_e32 v66, v48
	s_waitcnt lgkmcnt(0)
	v_xor_b32_e32 v69, 0x80000000, v63
	v_cndmask_b32_e32 v67, v49, v67, vcc
	v_cndmask_b32_e64 v65, v47, v65, s[0:1]
	v_cmp_gt_f64_e32 vcc, 0, v[62:63]
	v_cmp_gt_f64_e64 s[0:1], 0, v[60:61]
	v_add_f64 v[64:65], v[64:65], v[66:67]
	v_xor_b32_e32 v67, 0x80000000, v61
	v_mov_b32_e32 v66, v60
	v_mov_b32_e32 v68, v62
	v_add_u32_e32 v55, 16, v55
	v_cndmask_b32_e32 v69, v63, v69, vcc
	v_cndmask_b32_e64 v67, v61, v67, s[0:1]
	v_add_f64 v[66:67], v[66:67], v[68:69]
	v_mov_b32_e32 v68, s2
	s_add_i32 s2, s2, 1
	s_cmp_lg_u32 s22, s2
	v_cmp_lt_f64_e32 vcc, v[64:65], v[66:67]
	v_cndmask_b32_e32 v47, v47, v61, vcc
	v_cndmask_b32_e32 v46, v46, v60, vcc
	;; [unrolled: 1-line block ×5, first 2 shown]
	s_cbranch_scc1 .LBB20_85
.LBB20_86:
	s_waitcnt lgkmcnt(0)
	v_cmp_eq_f64_e32 vcc, 0, v[46:47]
	v_cmp_eq_f64_e64 s[0:1], 0, v[48:49]
	s_and_b64 s[0:1], vcc, s[0:1]
	s_and_saveexec_b64 s[2:3], s[0:1]
	s_xor_b64 s[0:1], exec, s[2:3]
; %bb.87:
	v_cmp_ne_u32_e32 vcc, 0, v59
	v_cndmask_b32_e32 v59, 5, v59, vcc
; %bb.88:
	s_andn2_saveexec_b64 s[0:1], s[0:1]
	s_cbranch_execz .LBB20_94
; %bb.89:
	v_cmp_ngt_f64_e64 s[2:3], |v[46:47]|, |v[48:49]|
	s_and_saveexec_b64 s[4:5], s[2:3]
	s_xor_b64 s[2:3], exec, s[4:5]
	s_cbranch_execz .LBB20_91
; %bb.90:
	v_div_scale_f64 v[60:61], s[4:5], v[48:49], v[48:49], v[46:47]
	v_rcp_f64_e32 v[62:63], v[60:61]
	v_fma_f64 v[64:65], -v[60:61], v[62:63], 1.0
	v_fma_f64 v[62:63], v[62:63], v[64:65], v[62:63]
	v_div_scale_f64 v[64:65], vcc, v[46:47], v[48:49], v[46:47]
	v_fma_f64 v[66:67], -v[60:61], v[62:63], 1.0
	v_fma_f64 v[62:63], v[62:63], v[66:67], v[62:63]
	v_mul_f64 v[66:67], v[64:65], v[62:63]
	v_fma_f64 v[60:61], -v[60:61], v[66:67], v[64:65]
	v_div_fmas_f64 v[60:61], v[60:61], v[62:63], v[66:67]
	v_div_fixup_f64 v[60:61], v[60:61], v[48:49], v[46:47]
	v_fma_f64 v[46:47], v[46:47], v[60:61], v[48:49]
	v_div_scale_f64 v[48:49], s[4:5], v[46:47], v[46:47], 1.0
	v_div_scale_f64 v[66:67], vcc, 1.0, v[46:47], 1.0
	v_rcp_f64_e32 v[62:63], v[48:49]
	v_fma_f64 v[64:65], -v[48:49], v[62:63], 1.0
	v_fma_f64 v[62:63], v[62:63], v[64:65], v[62:63]
	v_fma_f64 v[64:65], -v[48:49], v[62:63], 1.0
	v_fma_f64 v[62:63], v[62:63], v[64:65], v[62:63]
	v_mul_f64 v[64:65], v[66:67], v[62:63]
	v_fma_f64 v[48:49], -v[48:49], v[64:65], v[66:67]
	v_div_fmas_f64 v[48:49], v[48:49], v[62:63], v[64:65]
	v_div_fixup_f64 v[48:49], v[48:49], v[46:47], 1.0
	v_mul_f64 v[46:47], v[60:61], v[48:49]
	v_xor_b32_e32 v49, 0x80000000, v49
.LBB20_91:
	s_andn2_saveexec_b64 s[2:3], s[2:3]
	s_cbranch_execz .LBB20_93
; %bb.92:
	v_div_scale_f64 v[60:61], s[4:5], v[46:47], v[46:47], v[48:49]
	v_rcp_f64_e32 v[62:63], v[60:61]
	v_fma_f64 v[64:65], -v[60:61], v[62:63], 1.0
	v_fma_f64 v[62:63], v[62:63], v[64:65], v[62:63]
	v_div_scale_f64 v[64:65], vcc, v[48:49], v[46:47], v[48:49]
	v_fma_f64 v[66:67], -v[60:61], v[62:63], 1.0
	v_fma_f64 v[62:63], v[62:63], v[66:67], v[62:63]
	v_mul_f64 v[66:67], v[64:65], v[62:63]
	v_fma_f64 v[60:61], -v[60:61], v[66:67], v[64:65]
	v_div_fmas_f64 v[60:61], v[60:61], v[62:63], v[66:67]
	v_div_fixup_f64 v[60:61], v[60:61], v[46:47], v[48:49]
	v_fma_f64 v[46:47], v[48:49], v[60:61], v[46:47]
	v_div_scale_f64 v[48:49], s[4:5], v[46:47], v[46:47], 1.0
	v_div_scale_f64 v[66:67], vcc, 1.0, v[46:47], 1.0
	v_rcp_f64_e32 v[62:63], v[48:49]
	v_fma_f64 v[64:65], -v[48:49], v[62:63], 1.0
	v_fma_f64 v[62:63], v[62:63], v[64:65], v[62:63]
	v_fma_f64 v[64:65], -v[48:49], v[62:63], 1.0
	v_fma_f64 v[62:63], v[62:63], v[64:65], v[62:63]
	v_mul_f64 v[64:65], v[66:67], v[62:63]
	v_fma_f64 v[48:49], -v[48:49], v[64:65], v[66:67]
	v_div_fmas_f64 v[48:49], v[48:49], v[62:63], v[64:65]
	v_div_fixup_f64 v[46:47], v[48:49], v[46:47], 1.0
	v_mul_f64 v[48:49], v[60:61], -v[46:47]
.LBB20_93:
	s_or_b64 exec, exec, s[2:3]
.LBB20_94:
	s_or_b64 exec, exec, s[0:1]
	v_cmp_ne_u32_e32 vcc, v56, v54
	s_and_saveexec_b64 s[0:1], vcc
	s_xor_b64 s[0:1], exec, s[0:1]
	s_cbranch_execz .LBB20_100
; %bb.95:
	v_cmp_eq_u32_e32 vcc, 4, v56
	s_and_saveexec_b64 s[2:3], vcc
	s_cbranch_execz .LBB20_99
; %bb.96:
	v_cmp_ne_u32_e32 vcc, 4, v54
	s_xor_b64 s[4:5], s[18:19], -1
	s_and_b64 s[24:25], s[4:5], vcc
	s_and_saveexec_b64 s[4:5], s[24:25]
	s_cbranch_execz .LBB20_98
; %bb.97:
	v_ashrrev_i32_e32 v55, 31, v54
	v_lshlrev_b64 v[55:56], 2, v[54:55]
	v_add_co_u32_e32 v55, vcc, v52, v55
	v_addc_co_u32_e32 v56, vcc, v53, v56, vcc
	global_load_dword v0, v[55:56], off
	global_load_dword v60, v[52:53], off offset:16
	s_waitcnt vmcnt(1)
	global_store_dword v[52:53], v0, off offset:16
	s_waitcnt vmcnt(1)
	global_store_dword v[55:56], v60, off
.LBB20_98:
	s_or_b64 exec, exec, s[4:5]
	v_mov_b32_e32 v56, v54
	v_mov_b32_e32 v0, v54
.LBB20_99:
	s_or_b64 exec, exec, s[2:3]
.LBB20_100:
	s_andn2_saveexec_b64 s[0:1], s[0:1]
	s_cbranch_execz .LBB20_102
; %bb.101:
	v_mov_b32_e32 v56, 4
	ds_write2_b64 v1, v[18:19], v[20:21] offset0:10 offset1:11
	ds_write2_b64 v1, v[14:15], v[16:17] offset0:12 offset1:13
	;; [unrolled: 1-line block ×6, first 2 shown]
.LBB20_102:
	s_or_b64 exec, exec, s[0:1]
	v_cmp_lt_i32_e32 vcc, 4, v56
	s_waitcnt vmcnt(0) lgkmcnt(0)
	s_barrier
	s_and_saveexec_b64 s[0:1], vcc
	s_cbranch_execz .LBB20_104
; %bb.103:
	v_mul_f64 v[54:55], v[46:47], v[24:25]
	v_mul_f64 v[24:25], v[48:49], v[24:25]
	v_fma_f64 v[54:55], v[48:49], v[22:23], v[54:55]
	v_fma_f64 v[22:23], v[46:47], v[22:23], -v[24:25]
	ds_read2_b64 v[46:49], v1 offset0:10 offset1:11
	s_waitcnt lgkmcnt(0)
	v_mul_f64 v[24:25], v[48:49], v[54:55]
	v_fma_f64 v[24:25], v[46:47], v[22:23], -v[24:25]
	v_mul_f64 v[46:47], v[46:47], v[54:55]
	v_add_f64 v[18:19], v[18:19], -v[24:25]
	v_fma_f64 v[46:47], v[48:49], v[22:23], v[46:47]
	v_add_f64 v[20:21], v[20:21], -v[46:47]
	ds_read2_b64 v[46:49], v1 offset0:12 offset1:13
	s_waitcnt lgkmcnt(0)
	v_mul_f64 v[24:25], v[48:49], v[54:55]
	v_fma_f64 v[24:25], v[46:47], v[22:23], -v[24:25]
	v_mul_f64 v[46:47], v[46:47], v[54:55]
	v_add_f64 v[14:15], v[14:15], -v[24:25]
	v_fma_f64 v[46:47], v[48:49], v[22:23], v[46:47]
	v_add_f64 v[16:17], v[16:17], -v[46:47]
	;; [unrolled: 8-line block ×5, first 2 shown]
	ds_read2_b64 v[46:49], v1 offset0:20 offset1:21
	s_waitcnt lgkmcnt(0)
	v_mul_f64 v[24:25], v[48:49], v[54:55]
	v_fma_f64 v[24:25], v[46:47], v[22:23], -v[24:25]
	v_mul_f64 v[46:47], v[46:47], v[54:55]
	v_add_f64 v[42:43], v[42:43], -v[24:25]
	v_fma_f64 v[46:47], v[48:49], v[22:23], v[46:47]
	v_mov_b32_e32 v24, v54
	v_mov_b32_e32 v25, v55
	v_add_f64 v[44:45], v[44:45], -v[46:47]
.LBB20_104:
	s_or_b64 exec, exec, s[0:1]
	v_lshl_add_u32 v46, v56, 4, v1
	s_barrier
	ds_write2_b64 v46, v[18:19], v[20:21] offset1:1
	s_waitcnt lgkmcnt(0)
	s_barrier
	ds_read2_b64 v[46:49], v1 offset0:10 offset1:11
	s_cmp_lt_i32 s22, 7
	v_mov_b32_e32 v54, 5
	s_cbranch_scc1 .LBB20_107
; %bb.105:
	v_add_u32_e32 v55, 0x60, v1
	s_mov_b32 s2, 6
	v_mov_b32_e32 v54, 5
.LBB20_106:                             ; =>This Inner Loop Header: Depth=1
	s_waitcnt lgkmcnt(0)
	v_cmp_gt_f64_e32 vcc, 0, v[48:49]
	v_cmp_gt_f64_e64 s[0:1], 0, v[46:47]
	ds_read2_b64 v[60:63], v55 offset1:1
	v_xor_b32_e32 v65, 0x80000000, v47
	v_xor_b32_e32 v67, 0x80000000, v49
	v_mov_b32_e32 v64, v46
	v_mov_b32_e32 v66, v48
	s_waitcnt lgkmcnt(0)
	v_xor_b32_e32 v69, 0x80000000, v63
	v_cndmask_b32_e32 v67, v49, v67, vcc
	v_cndmask_b32_e64 v65, v47, v65, s[0:1]
	v_cmp_gt_f64_e32 vcc, 0, v[62:63]
	v_cmp_gt_f64_e64 s[0:1], 0, v[60:61]
	v_add_f64 v[64:65], v[64:65], v[66:67]
	v_xor_b32_e32 v67, 0x80000000, v61
	v_mov_b32_e32 v66, v60
	v_mov_b32_e32 v68, v62
	v_add_u32_e32 v55, 16, v55
	v_cndmask_b32_e32 v69, v63, v69, vcc
	v_cndmask_b32_e64 v67, v61, v67, s[0:1]
	v_add_f64 v[66:67], v[66:67], v[68:69]
	v_mov_b32_e32 v68, s2
	s_add_i32 s2, s2, 1
	s_cmp_lg_u32 s22, s2
	v_cmp_lt_f64_e32 vcc, v[64:65], v[66:67]
	v_cndmask_b32_e32 v47, v47, v61, vcc
	v_cndmask_b32_e32 v46, v46, v60, vcc
	;; [unrolled: 1-line block ×5, first 2 shown]
	s_cbranch_scc1 .LBB20_106
.LBB20_107:
	s_waitcnt lgkmcnt(0)
	v_cmp_eq_f64_e32 vcc, 0, v[46:47]
	v_cmp_eq_f64_e64 s[0:1], 0, v[48:49]
	s_and_b64 s[0:1], vcc, s[0:1]
	s_and_saveexec_b64 s[2:3], s[0:1]
	s_xor_b64 s[0:1], exec, s[2:3]
; %bb.108:
	v_cmp_ne_u32_e32 vcc, 0, v59
	v_cndmask_b32_e32 v59, 6, v59, vcc
; %bb.109:
	s_andn2_saveexec_b64 s[0:1], s[0:1]
	s_cbranch_execz .LBB20_115
; %bb.110:
	v_cmp_ngt_f64_e64 s[2:3], |v[46:47]|, |v[48:49]|
	s_and_saveexec_b64 s[4:5], s[2:3]
	s_xor_b64 s[2:3], exec, s[4:5]
	s_cbranch_execz .LBB20_112
; %bb.111:
	v_div_scale_f64 v[60:61], s[4:5], v[48:49], v[48:49], v[46:47]
	v_rcp_f64_e32 v[62:63], v[60:61]
	v_fma_f64 v[64:65], -v[60:61], v[62:63], 1.0
	v_fma_f64 v[62:63], v[62:63], v[64:65], v[62:63]
	v_div_scale_f64 v[64:65], vcc, v[46:47], v[48:49], v[46:47]
	v_fma_f64 v[66:67], -v[60:61], v[62:63], 1.0
	v_fma_f64 v[62:63], v[62:63], v[66:67], v[62:63]
	v_mul_f64 v[66:67], v[64:65], v[62:63]
	v_fma_f64 v[60:61], -v[60:61], v[66:67], v[64:65]
	v_div_fmas_f64 v[60:61], v[60:61], v[62:63], v[66:67]
	v_div_fixup_f64 v[60:61], v[60:61], v[48:49], v[46:47]
	v_fma_f64 v[46:47], v[46:47], v[60:61], v[48:49]
	v_div_scale_f64 v[48:49], s[4:5], v[46:47], v[46:47], 1.0
	v_div_scale_f64 v[66:67], vcc, 1.0, v[46:47], 1.0
	v_rcp_f64_e32 v[62:63], v[48:49]
	v_fma_f64 v[64:65], -v[48:49], v[62:63], 1.0
	v_fma_f64 v[62:63], v[62:63], v[64:65], v[62:63]
	v_fma_f64 v[64:65], -v[48:49], v[62:63], 1.0
	v_fma_f64 v[62:63], v[62:63], v[64:65], v[62:63]
	v_mul_f64 v[64:65], v[66:67], v[62:63]
	v_fma_f64 v[48:49], -v[48:49], v[64:65], v[66:67]
	v_div_fmas_f64 v[48:49], v[48:49], v[62:63], v[64:65]
	v_div_fixup_f64 v[48:49], v[48:49], v[46:47], 1.0
	v_mul_f64 v[46:47], v[60:61], v[48:49]
	v_xor_b32_e32 v49, 0x80000000, v49
.LBB20_112:
	s_andn2_saveexec_b64 s[2:3], s[2:3]
	s_cbranch_execz .LBB20_114
; %bb.113:
	v_div_scale_f64 v[60:61], s[4:5], v[46:47], v[46:47], v[48:49]
	v_rcp_f64_e32 v[62:63], v[60:61]
	v_fma_f64 v[64:65], -v[60:61], v[62:63], 1.0
	v_fma_f64 v[62:63], v[62:63], v[64:65], v[62:63]
	v_div_scale_f64 v[64:65], vcc, v[48:49], v[46:47], v[48:49]
	v_fma_f64 v[66:67], -v[60:61], v[62:63], 1.0
	v_fma_f64 v[62:63], v[62:63], v[66:67], v[62:63]
	v_mul_f64 v[66:67], v[64:65], v[62:63]
	v_fma_f64 v[60:61], -v[60:61], v[66:67], v[64:65]
	v_div_fmas_f64 v[60:61], v[60:61], v[62:63], v[66:67]
	v_div_fixup_f64 v[60:61], v[60:61], v[46:47], v[48:49]
	v_fma_f64 v[46:47], v[48:49], v[60:61], v[46:47]
	v_div_scale_f64 v[48:49], s[4:5], v[46:47], v[46:47], 1.0
	v_div_scale_f64 v[66:67], vcc, 1.0, v[46:47], 1.0
	v_rcp_f64_e32 v[62:63], v[48:49]
	v_fma_f64 v[64:65], -v[48:49], v[62:63], 1.0
	v_fma_f64 v[62:63], v[62:63], v[64:65], v[62:63]
	v_fma_f64 v[64:65], -v[48:49], v[62:63], 1.0
	v_fma_f64 v[62:63], v[62:63], v[64:65], v[62:63]
	v_mul_f64 v[64:65], v[66:67], v[62:63]
	v_fma_f64 v[48:49], -v[48:49], v[64:65], v[66:67]
	v_div_fmas_f64 v[48:49], v[48:49], v[62:63], v[64:65]
	v_div_fixup_f64 v[46:47], v[48:49], v[46:47], 1.0
	v_mul_f64 v[48:49], v[60:61], -v[46:47]
.LBB20_114:
	s_or_b64 exec, exec, s[2:3]
.LBB20_115:
	s_or_b64 exec, exec, s[0:1]
	v_cmp_ne_u32_e32 vcc, v56, v54
	s_and_saveexec_b64 s[0:1], vcc
	s_xor_b64 s[0:1], exec, s[0:1]
	s_cbranch_execz .LBB20_121
; %bb.116:
	v_cmp_eq_u32_e32 vcc, 5, v56
	s_and_saveexec_b64 s[2:3], vcc
	s_cbranch_execz .LBB20_120
; %bb.117:
	v_cmp_ne_u32_e32 vcc, 5, v54
	s_xor_b64 s[4:5], s[18:19], -1
	s_and_b64 s[24:25], s[4:5], vcc
	s_and_saveexec_b64 s[4:5], s[24:25]
	s_cbranch_execz .LBB20_119
; %bb.118:
	v_ashrrev_i32_e32 v55, 31, v54
	v_lshlrev_b64 v[55:56], 2, v[54:55]
	v_add_co_u32_e32 v55, vcc, v52, v55
	v_addc_co_u32_e32 v56, vcc, v53, v56, vcc
	global_load_dword v0, v[55:56], off
	global_load_dword v60, v[52:53], off offset:20
	s_waitcnt vmcnt(1)
	global_store_dword v[52:53], v0, off offset:20
	s_waitcnt vmcnt(1)
	global_store_dword v[55:56], v60, off
.LBB20_119:
	s_or_b64 exec, exec, s[4:5]
	v_mov_b32_e32 v56, v54
	v_mov_b32_e32 v0, v54
.LBB20_120:
	s_or_b64 exec, exec, s[2:3]
.LBB20_121:
	s_andn2_saveexec_b64 s[0:1], s[0:1]
	s_cbranch_execz .LBB20_123
; %bb.122:
	v_mov_b32_e32 v56, 5
	ds_write2_b64 v1, v[14:15], v[16:17] offset0:12 offset1:13
	ds_write2_b64 v1, v[10:11], v[12:13] offset0:14 offset1:15
	ds_write2_b64 v1, v[6:7], v[8:9] offset0:16 offset1:17
	ds_write2_b64 v1, v[2:3], v[4:5] offset0:18 offset1:19
	ds_write2_b64 v1, v[42:43], v[44:45] offset0:20 offset1:21
.LBB20_123:
	s_or_b64 exec, exec, s[0:1]
	v_cmp_lt_i32_e32 vcc, 5, v56
	s_waitcnt vmcnt(0) lgkmcnt(0)
	s_barrier
	s_and_saveexec_b64 s[0:1], vcc
	s_cbranch_execz .LBB20_125
; %bb.124:
	v_mul_f64 v[54:55], v[46:47], v[20:21]
	v_mul_f64 v[20:21], v[48:49], v[20:21]
	v_fma_f64 v[54:55], v[48:49], v[18:19], v[54:55]
	v_fma_f64 v[18:19], v[46:47], v[18:19], -v[20:21]
	ds_read2_b64 v[46:49], v1 offset0:12 offset1:13
	s_waitcnt lgkmcnt(0)
	v_mul_f64 v[20:21], v[48:49], v[54:55]
	v_fma_f64 v[20:21], v[46:47], v[18:19], -v[20:21]
	v_mul_f64 v[46:47], v[46:47], v[54:55]
	v_add_f64 v[14:15], v[14:15], -v[20:21]
	v_fma_f64 v[46:47], v[48:49], v[18:19], v[46:47]
	v_add_f64 v[16:17], v[16:17], -v[46:47]
	ds_read2_b64 v[46:49], v1 offset0:14 offset1:15
	s_waitcnt lgkmcnt(0)
	v_mul_f64 v[20:21], v[48:49], v[54:55]
	v_fma_f64 v[20:21], v[46:47], v[18:19], -v[20:21]
	v_mul_f64 v[46:47], v[46:47], v[54:55]
	v_add_f64 v[10:11], v[10:11], -v[20:21]
	v_fma_f64 v[46:47], v[48:49], v[18:19], v[46:47]
	v_add_f64 v[12:13], v[12:13], -v[46:47]
	;; [unrolled: 8-line block ×4, first 2 shown]
	ds_read2_b64 v[46:49], v1 offset0:20 offset1:21
	s_waitcnt lgkmcnt(0)
	v_mul_f64 v[20:21], v[48:49], v[54:55]
	v_fma_f64 v[20:21], v[46:47], v[18:19], -v[20:21]
	v_mul_f64 v[46:47], v[46:47], v[54:55]
	v_add_f64 v[42:43], v[42:43], -v[20:21]
	v_fma_f64 v[46:47], v[48:49], v[18:19], v[46:47]
	v_mov_b32_e32 v20, v54
	v_mov_b32_e32 v21, v55
	v_add_f64 v[44:45], v[44:45], -v[46:47]
.LBB20_125:
	s_or_b64 exec, exec, s[0:1]
	v_lshl_add_u32 v46, v56, 4, v1
	s_barrier
	ds_write2_b64 v46, v[14:15], v[16:17] offset1:1
	s_waitcnt lgkmcnt(0)
	s_barrier
	ds_read2_b64 v[46:49], v1 offset0:12 offset1:13
	s_cmp_lt_i32 s22, 8
	v_mov_b32_e32 v54, 6
	s_cbranch_scc1 .LBB20_128
; %bb.126:
	v_add_u32_e32 v55, 0x70, v1
	s_mov_b32 s2, 7
	v_mov_b32_e32 v54, 6
.LBB20_127:                             ; =>This Inner Loop Header: Depth=1
	s_waitcnt lgkmcnt(0)
	v_cmp_gt_f64_e32 vcc, 0, v[48:49]
	v_cmp_gt_f64_e64 s[0:1], 0, v[46:47]
	ds_read2_b64 v[60:63], v55 offset1:1
	v_xor_b32_e32 v65, 0x80000000, v47
	v_xor_b32_e32 v67, 0x80000000, v49
	v_mov_b32_e32 v64, v46
	v_mov_b32_e32 v66, v48
	s_waitcnt lgkmcnt(0)
	v_xor_b32_e32 v69, 0x80000000, v63
	v_cndmask_b32_e32 v67, v49, v67, vcc
	v_cndmask_b32_e64 v65, v47, v65, s[0:1]
	v_cmp_gt_f64_e32 vcc, 0, v[62:63]
	v_cmp_gt_f64_e64 s[0:1], 0, v[60:61]
	v_add_f64 v[64:65], v[64:65], v[66:67]
	v_xor_b32_e32 v67, 0x80000000, v61
	v_mov_b32_e32 v66, v60
	v_mov_b32_e32 v68, v62
	v_add_u32_e32 v55, 16, v55
	v_cndmask_b32_e32 v69, v63, v69, vcc
	v_cndmask_b32_e64 v67, v61, v67, s[0:1]
	v_add_f64 v[66:67], v[66:67], v[68:69]
	v_mov_b32_e32 v68, s2
	s_add_i32 s2, s2, 1
	s_cmp_lg_u32 s22, s2
	v_cmp_lt_f64_e32 vcc, v[64:65], v[66:67]
	v_cndmask_b32_e32 v47, v47, v61, vcc
	v_cndmask_b32_e32 v46, v46, v60, vcc
	;; [unrolled: 1-line block ×5, first 2 shown]
	s_cbranch_scc1 .LBB20_127
.LBB20_128:
	s_waitcnt lgkmcnt(0)
	v_cmp_eq_f64_e32 vcc, 0, v[46:47]
	v_cmp_eq_f64_e64 s[0:1], 0, v[48:49]
	s_and_b64 s[0:1], vcc, s[0:1]
	s_and_saveexec_b64 s[2:3], s[0:1]
	s_xor_b64 s[0:1], exec, s[2:3]
; %bb.129:
	v_cmp_ne_u32_e32 vcc, 0, v59
	v_cndmask_b32_e32 v59, 7, v59, vcc
; %bb.130:
	s_andn2_saveexec_b64 s[0:1], s[0:1]
	s_cbranch_execz .LBB20_136
; %bb.131:
	v_cmp_ngt_f64_e64 s[2:3], |v[46:47]|, |v[48:49]|
	s_and_saveexec_b64 s[4:5], s[2:3]
	s_xor_b64 s[2:3], exec, s[4:5]
	s_cbranch_execz .LBB20_133
; %bb.132:
	v_div_scale_f64 v[60:61], s[4:5], v[48:49], v[48:49], v[46:47]
	v_rcp_f64_e32 v[62:63], v[60:61]
	v_fma_f64 v[64:65], -v[60:61], v[62:63], 1.0
	v_fma_f64 v[62:63], v[62:63], v[64:65], v[62:63]
	v_div_scale_f64 v[64:65], vcc, v[46:47], v[48:49], v[46:47]
	v_fma_f64 v[66:67], -v[60:61], v[62:63], 1.0
	v_fma_f64 v[62:63], v[62:63], v[66:67], v[62:63]
	v_mul_f64 v[66:67], v[64:65], v[62:63]
	v_fma_f64 v[60:61], -v[60:61], v[66:67], v[64:65]
	v_div_fmas_f64 v[60:61], v[60:61], v[62:63], v[66:67]
	v_div_fixup_f64 v[60:61], v[60:61], v[48:49], v[46:47]
	v_fma_f64 v[46:47], v[46:47], v[60:61], v[48:49]
	v_div_scale_f64 v[48:49], s[4:5], v[46:47], v[46:47], 1.0
	v_div_scale_f64 v[66:67], vcc, 1.0, v[46:47], 1.0
	v_rcp_f64_e32 v[62:63], v[48:49]
	v_fma_f64 v[64:65], -v[48:49], v[62:63], 1.0
	v_fma_f64 v[62:63], v[62:63], v[64:65], v[62:63]
	v_fma_f64 v[64:65], -v[48:49], v[62:63], 1.0
	v_fma_f64 v[62:63], v[62:63], v[64:65], v[62:63]
	v_mul_f64 v[64:65], v[66:67], v[62:63]
	v_fma_f64 v[48:49], -v[48:49], v[64:65], v[66:67]
	v_div_fmas_f64 v[48:49], v[48:49], v[62:63], v[64:65]
	v_div_fixup_f64 v[48:49], v[48:49], v[46:47], 1.0
	v_mul_f64 v[46:47], v[60:61], v[48:49]
	v_xor_b32_e32 v49, 0x80000000, v49
.LBB20_133:
	s_andn2_saveexec_b64 s[2:3], s[2:3]
	s_cbranch_execz .LBB20_135
; %bb.134:
	v_div_scale_f64 v[60:61], s[4:5], v[46:47], v[46:47], v[48:49]
	v_rcp_f64_e32 v[62:63], v[60:61]
	v_fma_f64 v[64:65], -v[60:61], v[62:63], 1.0
	v_fma_f64 v[62:63], v[62:63], v[64:65], v[62:63]
	v_div_scale_f64 v[64:65], vcc, v[48:49], v[46:47], v[48:49]
	v_fma_f64 v[66:67], -v[60:61], v[62:63], 1.0
	v_fma_f64 v[62:63], v[62:63], v[66:67], v[62:63]
	v_mul_f64 v[66:67], v[64:65], v[62:63]
	v_fma_f64 v[60:61], -v[60:61], v[66:67], v[64:65]
	v_div_fmas_f64 v[60:61], v[60:61], v[62:63], v[66:67]
	v_div_fixup_f64 v[60:61], v[60:61], v[46:47], v[48:49]
	v_fma_f64 v[46:47], v[48:49], v[60:61], v[46:47]
	v_div_scale_f64 v[48:49], s[4:5], v[46:47], v[46:47], 1.0
	v_div_scale_f64 v[66:67], vcc, 1.0, v[46:47], 1.0
	v_rcp_f64_e32 v[62:63], v[48:49]
	v_fma_f64 v[64:65], -v[48:49], v[62:63], 1.0
	v_fma_f64 v[62:63], v[62:63], v[64:65], v[62:63]
	v_fma_f64 v[64:65], -v[48:49], v[62:63], 1.0
	v_fma_f64 v[62:63], v[62:63], v[64:65], v[62:63]
	v_mul_f64 v[64:65], v[66:67], v[62:63]
	v_fma_f64 v[48:49], -v[48:49], v[64:65], v[66:67]
	v_div_fmas_f64 v[48:49], v[48:49], v[62:63], v[64:65]
	v_div_fixup_f64 v[46:47], v[48:49], v[46:47], 1.0
	v_mul_f64 v[48:49], v[60:61], -v[46:47]
.LBB20_135:
	s_or_b64 exec, exec, s[2:3]
.LBB20_136:
	s_or_b64 exec, exec, s[0:1]
	v_cmp_ne_u32_e32 vcc, v56, v54
	s_and_saveexec_b64 s[0:1], vcc
	s_xor_b64 s[0:1], exec, s[0:1]
	s_cbranch_execz .LBB20_142
; %bb.137:
	v_cmp_eq_u32_e32 vcc, 6, v56
	s_and_saveexec_b64 s[2:3], vcc
	s_cbranch_execz .LBB20_141
; %bb.138:
	v_cmp_ne_u32_e32 vcc, 6, v54
	s_xor_b64 s[4:5], s[18:19], -1
	s_and_b64 s[24:25], s[4:5], vcc
	s_and_saveexec_b64 s[4:5], s[24:25]
	s_cbranch_execz .LBB20_140
; %bb.139:
	v_ashrrev_i32_e32 v55, 31, v54
	v_lshlrev_b64 v[55:56], 2, v[54:55]
	v_add_co_u32_e32 v55, vcc, v52, v55
	v_addc_co_u32_e32 v56, vcc, v53, v56, vcc
	global_load_dword v0, v[55:56], off
	global_load_dword v60, v[52:53], off offset:24
	s_waitcnt vmcnt(1)
	global_store_dword v[52:53], v0, off offset:24
	s_waitcnt vmcnt(1)
	global_store_dword v[55:56], v60, off
.LBB20_140:
	s_or_b64 exec, exec, s[4:5]
	v_mov_b32_e32 v56, v54
	v_mov_b32_e32 v0, v54
.LBB20_141:
	s_or_b64 exec, exec, s[2:3]
.LBB20_142:
	s_andn2_saveexec_b64 s[0:1], s[0:1]
	s_cbranch_execz .LBB20_144
; %bb.143:
	v_mov_b32_e32 v56, 6
	ds_write2_b64 v1, v[10:11], v[12:13] offset0:14 offset1:15
	ds_write2_b64 v1, v[6:7], v[8:9] offset0:16 offset1:17
	;; [unrolled: 1-line block ×4, first 2 shown]
.LBB20_144:
	s_or_b64 exec, exec, s[0:1]
	v_cmp_lt_i32_e32 vcc, 6, v56
	s_waitcnt vmcnt(0) lgkmcnt(0)
	s_barrier
	s_and_saveexec_b64 s[0:1], vcc
	s_cbranch_execz .LBB20_146
; %bb.145:
	v_mul_f64 v[54:55], v[46:47], v[16:17]
	v_mul_f64 v[16:17], v[48:49], v[16:17]
	v_fma_f64 v[54:55], v[48:49], v[14:15], v[54:55]
	v_fma_f64 v[14:15], v[46:47], v[14:15], -v[16:17]
	ds_read2_b64 v[46:49], v1 offset0:14 offset1:15
	s_waitcnt lgkmcnt(0)
	v_mul_f64 v[16:17], v[48:49], v[54:55]
	v_fma_f64 v[16:17], v[46:47], v[14:15], -v[16:17]
	v_mul_f64 v[46:47], v[46:47], v[54:55]
	v_add_f64 v[10:11], v[10:11], -v[16:17]
	v_fma_f64 v[46:47], v[48:49], v[14:15], v[46:47]
	v_add_f64 v[12:13], v[12:13], -v[46:47]
	ds_read2_b64 v[46:49], v1 offset0:16 offset1:17
	s_waitcnt lgkmcnt(0)
	v_mul_f64 v[16:17], v[48:49], v[54:55]
	v_fma_f64 v[16:17], v[46:47], v[14:15], -v[16:17]
	v_mul_f64 v[46:47], v[46:47], v[54:55]
	v_add_f64 v[6:7], v[6:7], -v[16:17]
	v_fma_f64 v[46:47], v[48:49], v[14:15], v[46:47]
	v_add_f64 v[8:9], v[8:9], -v[46:47]
	;; [unrolled: 8-line block ×3, first 2 shown]
	ds_read2_b64 v[46:49], v1 offset0:20 offset1:21
	s_waitcnt lgkmcnt(0)
	v_mul_f64 v[16:17], v[48:49], v[54:55]
	v_fma_f64 v[16:17], v[46:47], v[14:15], -v[16:17]
	v_mul_f64 v[46:47], v[46:47], v[54:55]
	v_add_f64 v[42:43], v[42:43], -v[16:17]
	v_fma_f64 v[46:47], v[48:49], v[14:15], v[46:47]
	v_mov_b32_e32 v16, v54
	v_mov_b32_e32 v17, v55
	v_add_f64 v[44:45], v[44:45], -v[46:47]
.LBB20_146:
	s_or_b64 exec, exec, s[0:1]
	v_lshl_add_u32 v46, v56, 4, v1
	s_barrier
	ds_write2_b64 v46, v[10:11], v[12:13] offset1:1
	s_waitcnt lgkmcnt(0)
	s_barrier
	ds_read2_b64 v[46:49], v1 offset0:14 offset1:15
	s_cmp_lt_i32 s22, 9
	v_mov_b32_e32 v54, 7
	s_cbranch_scc1 .LBB20_149
; %bb.147:
	v_add_u32_e32 v55, 0x80, v1
	s_mov_b32 s2, 8
	v_mov_b32_e32 v54, 7
.LBB20_148:                             ; =>This Inner Loop Header: Depth=1
	s_waitcnt lgkmcnt(0)
	v_cmp_gt_f64_e32 vcc, 0, v[48:49]
	v_cmp_gt_f64_e64 s[0:1], 0, v[46:47]
	ds_read2_b64 v[60:63], v55 offset1:1
	v_xor_b32_e32 v65, 0x80000000, v47
	v_xor_b32_e32 v67, 0x80000000, v49
	v_mov_b32_e32 v64, v46
	v_mov_b32_e32 v66, v48
	s_waitcnt lgkmcnt(0)
	v_xor_b32_e32 v69, 0x80000000, v63
	v_cndmask_b32_e32 v67, v49, v67, vcc
	v_cndmask_b32_e64 v65, v47, v65, s[0:1]
	v_cmp_gt_f64_e32 vcc, 0, v[62:63]
	v_cmp_gt_f64_e64 s[0:1], 0, v[60:61]
	v_add_f64 v[64:65], v[64:65], v[66:67]
	v_xor_b32_e32 v67, 0x80000000, v61
	v_mov_b32_e32 v66, v60
	v_mov_b32_e32 v68, v62
	v_add_u32_e32 v55, 16, v55
	v_cndmask_b32_e32 v69, v63, v69, vcc
	v_cndmask_b32_e64 v67, v61, v67, s[0:1]
	v_add_f64 v[66:67], v[66:67], v[68:69]
	v_mov_b32_e32 v68, s2
	s_add_i32 s2, s2, 1
	s_cmp_lg_u32 s22, s2
	v_cmp_lt_f64_e32 vcc, v[64:65], v[66:67]
	v_cndmask_b32_e32 v47, v47, v61, vcc
	v_cndmask_b32_e32 v46, v46, v60, vcc
	;; [unrolled: 1-line block ×5, first 2 shown]
	s_cbranch_scc1 .LBB20_148
.LBB20_149:
	s_waitcnt lgkmcnt(0)
	v_cmp_eq_f64_e32 vcc, 0, v[46:47]
	v_cmp_eq_f64_e64 s[0:1], 0, v[48:49]
	s_and_b64 s[0:1], vcc, s[0:1]
	s_and_saveexec_b64 s[2:3], s[0:1]
	s_xor_b64 s[0:1], exec, s[2:3]
; %bb.150:
	v_cmp_ne_u32_e32 vcc, 0, v59
	v_cndmask_b32_e32 v59, 8, v59, vcc
; %bb.151:
	s_andn2_saveexec_b64 s[0:1], s[0:1]
	s_cbranch_execz .LBB20_157
; %bb.152:
	v_cmp_ngt_f64_e64 s[2:3], |v[46:47]|, |v[48:49]|
	s_and_saveexec_b64 s[4:5], s[2:3]
	s_xor_b64 s[2:3], exec, s[4:5]
	s_cbranch_execz .LBB20_154
; %bb.153:
	v_div_scale_f64 v[60:61], s[4:5], v[48:49], v[48:49], v[46:47]
	v_rcp_f64_e32 v[62:63], v[60:61]
	v_fma_f64 v[64:65], -v[60:61], v[62:63], 1.0
	v_fma_f64 v[62:63], v[62:63], v[64:65], v[62:63]
	v_div_scale_f64 v[64:65], vcc, v[46:47], v[48:49], v[46:47]
	v_fma_f64 v[66:67], -v[60:61], v[62:63], 1.0
	v_fma_f64 v[62:63], v[62:63], v[66:67], v[62:63]
	v_mul_f64 v[66:67], v[64:65], v[62:63]
	v_fma_f64 v[60:61], -v[60:61], v[66:67], v[64:65]
	v_div_fmas_f64 v[60:61], v[60:61], v[62:63], v[66:67]
	v_div_fixup_f64 v[60:61], v[60:61], v[48:49], v[46:47]
	v_fma_f64 v[46:47], v[46:47], v[60:61], v[48:49]
	v_div_scale_f64 v[48:49], s[4:5], v[46:47], v[46:47], 1.0
	v_div_scale_f64 v[66:67], vcc, 1.0, v[46:47], 1.0
	v_rcp_f64_e32 v[62:63], v[48:49]
	v_fma_f64 v[64:65], -v[48:49], v[62:63], 1.0
	v_fma_f64 v[62:63], v[62:63], v[64:65], v[62:63]
	v_fma_f64 v[64:65], -v[48:49], v[62:63], 1.0
	v_fma_f64 v[62:63], v[62:63], v[64:65], v[62:63]
	v_mul_f64 v[64:65], v[66:67], v[62:63]
	v_fma_f64 v[48:49], -v[48:49], v[64:65], v[66:67]
	v_div_fmas_f64 v[48:49], v[48:49], v[62:63], v[64:65]
	v_div_fixup_f64 v[48:49], v[48:49], v[46:47], 1.0
	v_mul_f64 v[46:47], v[60:61], v[48:49]
	v_xor_b32_e32 v49, 0x80000000, v49
.LBB20_154:
	s_andn2_saveexec_b64 s[2:3], s[2:3]
	s_cbranch_execz .LBB20_156
; %bb.155:
	v_div_scale_f64 v[60:61], s[4:5], v[46:47], v[46:47], v[48:49]
	v_rcp_f64_e32 v[62:63], v[60:61]
	v_fma_f64 v[64:65], -v[60:61], v[62:63], 1.0
	v_fma_f64 v[62:63], v[62:63], v[64:65], v[62:63]
	v_div_scale_f64 v[64:65], vcc, v[48:49], v[46:47], v[48:49]
	v_fma_f64 v[66:67], -v[60:61], v[62:63], 1.0
	v_fma_f64 v[62:63], v[62:63], v[66:67], v[62:63]
	v_mul_f64 v[66:67], v[64:65], v[62:63]
	v_fma_f64 v[60:61], -v[60:61], v[66:67], v[64:65]
	v_div_fmas_f64 v[60:61], v[60:61], v[62:63], v[66:67]
	v_div_fixup_f64 v[60:61], v[60:61], v[46:47], v[48:49]
	v_fma_f64 v[46:47], v[48:49], v[60:61], v[46:47]
	v_div_scale_f64 v[48:49], s[4:5], v[46:47], v[46:47], 1.0
	v_div_scale_f64 v[66:67], vcc, 1.0, v[46:47], 1.0
	v_rcp_f64_e32 v[62:63], v[48:49]
	v_fma_f64 v[64:65], -v[48:49], v[62:63], 1.0
	v_fma_f64 v[62:63], v[62:63], v[64:65], v[62:63]
	v_fma_f64 v[64:65], -v[48:49], v[62:63], 1.0
	v_fma_f64 v[62:63], v[62:63], v[64:65], v[62:63]
	v_mul_f64 v[64:65], v[66:67], v[62:63]
	v_fma_f64 v[48:49], -v[48:49], v[64:65], v[66:67]
	v_div_fmas_f64 v[48:49], v[48:49], v[62:63], v[64:65]
	v_div_fixup_f64 v[46:47], v[48:49], v[46:47], 1.0
	v_mul_f64 v[48:49], v[60:61], -v[46:47]
.LBB20_156:
	s_or_b64 exec, exec, s[2:3]
.LBB20_157:
	s_or_b64 exec, exec, s[0:1]
	v_cmp_ne_u32_e32 vcc, v56, v54
	s_and_saveexec_b64 s[0:1], vcc
	s_xor_b64 s[0:1], exec, s[0:1]
	s_cbranch_execz .LBB20_163
; %bb.158:
	v_cmp_eq_u32_e32 vcc, 7, v56
	s_and_saveexec_b64 s[2:3], vcc
	s_cbranch_execz .LBB20_162
; %bb.159:
	v_cmp_ne_u32_e32 vcc, 7, v54
	s_xor_b64 s[4:5], s[18:19], -1
	s_and_b64 s[24:25], s[4:5], vcc
	s_and_saveexec_b64 s[4:5], s[24:25]
	s_cbranch_execz .LBB20_161
; %bb.160:
	v_ashrrev_i32_e32 v55, 31, v54
	v_lshlrev_b64 v[55:56], 2, v[54:55]
	v_add_co_u32_e32 v55, vcc, v52, v55
	v_addc_co_u32_e32 v56, vcc, v53, v56, vcc
	global_load_dword v0, v[55:56], off
	global_load_dword v60, v[52:53], off offset:28
	s_waitcnt vmcnt(1)
	global_store_dword v[52:53], v0, off offset:28
	s_waitcnt vmcnt(1)
	global_store_dword v[55:56], v60, off
.LBB20_161:
	s_or_b64 exec, exec, s[4:5]
	v_mov_b32_e32 v56, v54
	v_mov_b32_e32 v0, v54
.LBB20_162:
	s_or_b64 exec, exec, s[2:3]
.LBB20_163:
	s_andn2_saveexec_b64 s[0:1], s[0:1]
	s_cbranch_execz .LBB20_165
; %bb.164:
	v_mov_b32_e32 v56, 7
	ds_write2_b64 v1, v[6:7], v[8:9] offset0:16 offset1:17
	ds_write2_b64 v1, v[2:3], v[4:5] offset0:18 offset1:19
	;; [unrolled: 1-line block ×3, first 2 shown]
.LBB20_165:
	s_or_b64 exec, exec, s[0:1]
	v_cmp_lt_i32_e32 vcc, 7, v56
	s_waitcnt vmcnt(0) lgkmcnt(0)
	s_barrier
	s_and_saveexec_b64 s[0:1], vcc
	s_cbranch_execz .LBB20_167
; %bb.166:
	v_mul_f64 v[54:55], v[46:47], v[12:13]
	v_mul_f64 v[12:13], v[48:49], v[12:13]
	ds_read2_b64 v[60:63], v1 offset0:16 offset1:17
	ds_read2_b64 v[64:67], v1 offset0:18 offset1:19
	;; [unrolled: 1-line block ×3, first 2 shown]
	v_fma_f64 v[48:49], v[48:49], v[10:11], v[54:55]
	v_fma_f64 v[10:11], v[46:47], v[10:11], -v[12:13]
	s_waitcnt lgkmcnt(2)
	v_mul_f64 v[12:13], v[62:63], v[48:49]
	v_mul_f64 v[46:47], v[60:61], v[48:49]
	s_waitcnt lgkmcnt(1)
	v_mul_f64 v[54:55], v[66:67], v[48:49]
	v_mul_f64 v[72:73], v[64:65], v[48:49]
	;; [unrolled: 3-line block ×3, first 2 shown]
	v_fma_f64 v[12:13], v[60:61], v[10:11], -v[12:13]
	v_fma_f64 v[46:47], v[62:63], v[10:11], v[46:47]
	v_fma_f64 v[54:55], v[64:65], v[10:11], -v[54:55]
	v_fma_f64 v[60:61], v[66:67], v[10:11], v[72:73]
	;; [unrolled: 2-line block ×3, first 2 shown]
	v_add_f64 v[6:7], v[6:7], -v[12:13]
	v_add_f64 v[8:9], v[8:9], -v[46:47]
	;; [unrolled: 1-line block ×6, first 2 shown]
	v_mov_b32_e32 v12, v48
	v_mov_b32_e32 v13, v49
.LBB20_167:
	s_or_b64 exec, exec, s[0:1]
	v_lshl_add_u32 v46, v56, 4, v1
	s_barrier
	ds_write2_b64 v46, v[6:7], v[8:9] offset1:1
	s_waitcnt lgkmcnt(0)
	s_barrier
	ds_read2_b64 v[46:49], v1 offset0:16 offset1:17
	s_cmp_lt_i32 s22, 10
	v_mov_b32_e32 v54, 8
	s_cbranch_scc1 .LBB20_170
; %bb.168:
	v_add_u32_e32 v55, 0x90, v1
	s_mov_b32 s2, 9
	v_mov_b32_e32 v54, 8
.LBB20_169:                             ; =>This Inner Loop Header: Depth=1
	s_waitcnt lgkmcnt(0)
	v_cmp_gt_f64_e32 vcc, 0, v[48:49]
	v_cmp_gt_f64_e64 s[0:1], 0, v[46:47]
	ds_read2_b64 v[60:63], v55 offset1:1
	v_xor_b32_e32 v65, 0x80000000, v47
	v_xor_b32_e32 v67, 0x80000000, v49
	v_mov_b32_e32 v64, v46
	v_mov_b32_e32 v66, v48
	s_waitcnt lgkmcnt(0)
	v_xor_b32_e32 v69, 0x80000000, v63
	v_cndmask_b32_e32 v67, v49, v67, vcc
	v_cndmask_b32_e64 v65, v47, v65, s[0:1]
	v_cmp_gt_f64_e32 vcc, 0, v[62:63]
	v_cmp_gt_f64_e64 s[0:1], 0, v[60:61]
	v_add_f64 v[64:65], v[64:65], v[66:67]
	v_xor_b32_e32 v67, 0x80000000, v61
	v_mov_b32_e32 v66, v60
	v_mov_b32_e32 v68, v62
	v_add_u32_e32 v55, 16, v55
	v_cndmask_b32_e32 v69, v63, v69, vcc
	v_cndmask_b32_e64 v67, v61, v67, s[0:1]
	v_add_f64 v[66:67], v[66:67], v[68:69]
	v_mov_b32_e32 v68, s2
	s_add_i32 s2, s2, 1
	s_cmp_lg_u32 s22, s2
	v_cmp_lt_f64_e32 vcc, v[64:65], v[66:67]
	v_cndmask_b32_e32 v47, v47, v61, vcc
	v_cndmask_b32_e32 v46, v46, v60, vcc
	;; [unrolled: 1-line block ×5, first 2 shown]
	s_cbranch_scc1 .LBB20_169
.LBB20_170:
	s_waitcnt lgkmcnt(0)
	v_cmp_eq_f64_e32 vcc, 0, v[46:47]
	v_cmp_eq_f64_e64 s[0:1], 0, v[48:49]
	s_and_b64 s[0:1], vcc, s[0:1]
	s_and_saveexec_b64 s[2:3], s[0:1]
	s_xor_b64 s[0:1], exec, s[2:3]
; %bb.171:
	v_cmp_ne_u32_e32 vcc, 0, v59
	v_cndmask_b32_e32 v59, 9, v59, vcc
; %bb.172:
	s_andn2_saveexec_b64 s[0:1], s[0:1]
	s_cbranch_execz .LBB20_178
; %bb.173:
	v_cmp_ngt_f64_e64 s[2:3], |v[46:47]|, |v[48:49]|
	s_and_saveexec_b64 s[4:5], s[2:3]
	s_xor_b64 s[2:3], exec, s[4:5]
	s_cbranch_execz .LBB20_175
; %bb.174:
	v_div_scale_f64 v[60:61], s[4:5], v[48:49], v[48:49], v[46:47]
	v_rcp_f64_e32 v[62:63], v[60:61]
	v_fma_f64 v[64:65], -v[60:61], v[62:63], 1.0
	v_fma_f64 v[62:63], v[62:63], v[64:65], v[62:63]
	v_div_scale_f64 v[64:65], vcc, v[46:47], v[48:49], v[46:47]
	v_fma_f64 v[66:67], -v[60:61], v[62:63], 1.0
	v_fma_f64 v[62:63], v[62:63], v[66:67], v[62:63]
	v_mul_f64 v[66:67], v[64:65], v[62:63]
	v_fma_f64 v[60:61], -v[60:61], v[66:67], v[64:65]
	v_div_fmas_f64 v[60:61], v[60:61], v[62:63], v[66:67]
	v_div_fixup_f64 v[60:61], v[60:61], v[48:49], v[46:47]
	v_fma_f64 v[46:47], v[46:47], v[60:61], v[48:49]
	v_div_scale_f64 v[48:49], s[4:5], v[46:47], v[46:47], 1.0
	v_div_scale_f64 v[66:67], vcc, 1.0, v[46:47], 1.0
	v_rcp_f64_e32 v[62:63], v[48:49]
	v_fma_f64 v[64:65], -v[48:49], v[62:63], 1.0
	v_fma_f64 v[62:63], v[62:63], v[64:65], v[62:63]
	v_fma_f64 v[64:65], -v[48:49], v[62:63], 1.0
	v_fma_f64 v[62:63], v[62:63], v[64:65], v[62:63]
	v_mul_f64 v[64:65], v[66:67], v[62:63]
	v_fma_f64 v[48:49], -v[48:49], v[64:65], v[66:67]
	v_div_fmas_f64 v[48:49], v[48:49], v[62:63], v[64:65]
	v_div_fixup_f64 v[48:49], v[48:49], v[46:47], 1.0
	v_mul_f64 v[46:47], v[60:61], v[48:49]
	v_xor_b32_e32 v49, 0x80000000, v49
.LBB20_175:
	s_andn2_saveexec_b64 s[2:3], s[2:3]
	s_cbranch_execz .LBB20_177
; %bb.176:
	v_div_scale_f64 v[60:61], s[4:5], v[46:47], v[46:47], v[48:49]
	v_rcp_f64_e32 v[62:63], v[60:61]
	v_fma_f64 v[64:65], -v[60:61], v[62:63], 1.0
	v_fma_f64 v[62:63], v[62:63], v[64:65], v[62:63]
	v_div_scale_f64 v[64:65], vcc, v[48:49], v[46:47], v[48:49]
	v_fma_f64 v[66:67], -v[60:61], v[62:63], 1.0
	v_fma_f64 v[62:63], v[62:63], v[66:67], v[62:63]
	v_mul_f64 v[66:67], v[64:65], v[62:63]
	v_fma_f64 v[60:61], -v[60:61], v[66:67], v[64:65]
	v_div_fmas_f64 v[60:61], v[60:61], v[62:63], v[66:67]
	v_div_fixup_f64 v[60:61], v[60:61], v[46:47], v[48:49]
	v_fma_f64 v[46:47], v[48:49], v[60:61], v[46:47]
	v_div_scale_f64 v[48:49], s[4:5], v[46:47], v[46:47], 1.0
	v_div_scale_f64 v[66:67], vcc, 1.0, v[46:47], 1.0
	v_rcp_f64_e32 v[62:63], v[48:49]
	v_fma_f64 v[64:65], -v[48:49], v[62:63], 1.0
	v_fma_f64 v[62:63], v[62:63], v[64:65], v[62:63]
	v_fma_f64 v[64:65], -v[48:49], v[62:63], 1.0
	v_fma_f64 v[62:63], v[62:63], v[64:65], v[62:63]
	v_mul_f64 v[64:65], v[66:67], v[62:63]
	v_fma_f64 v[48:49], -v[48:49], v[64:65], v[66:67]
	v_div_fmas_f64 v[48:49], v[48:49], v[62:63], v[64:65]
	v_div_fixup_f64 v[46:47], v[48:49], v[46:47], 1.0
	v_mul_f64 v[48:49], v[60:61], -v[46:47]
.LBB20_177:
	s_or_b64 exec, exec, s[2:3]
.LBB20_178:
	s_or_b64 exec, exec, s[0:1]
	v_cmp_ne_u32_e32 vcc, v56, v54
	s_and_saveexec_b64 s[0:1], vcc
	s_xor_b64 s[0:1], exec, s[0:1]
	s_cbranch_execz .LBB20_184
; %bb.179:
	v_cmp_eq_u32_e32 vcc, 8, v56
	s_and_saveexec_b64 s[2:3], vcc
	s_cbranch_execz .LBB20_183
; %bb.180:
	v_cmp_ne_u32_e32 vcc, 8, v54
	s_xor_b64 s[4:5], s[18:19], -1
	s_and_b64 s[24:25], s[4:5], vcc
	s_and_saveexec_b64 s[4:5], s[24:25]
	s_cbranch_execz .LBB20_182
; %bb.181:
	v_ashrrev_i32_e32 v55, 31, v54
	v_lshlrev_b64 v[55:56], 2, v[54:55]
	v_add_co_u32_e32 v55, vcc, v52, v55
	v_addc_co_u32_e32 v56, vcc, v53, v56, vcc
	global_load_dword v0, v[55:56], off
	global_load_dword v60, v[52:53], off offset:32
	s_waitcnt vmcnt(1)
	global_store_dword v[52:53], v0, off offset:32
	s_waitcnt vmcnt(1)
	global_store_dword v[55:56], v60, off
.LBB20_182:
	s_or_b64 exec, exec, s[4:5]
	v_mov_b32_e32 v56, v54
	v_mov_b32_e32 v0, v54
.LBB20_183:
	s_or_b64 exec, exec, s[2:3]
.LBB20_184:
	s_andn2_saveexec_b64 s[0:1], s[0:1]
	s_cbranch_execz .LBB20_186
; %bb.185:
	v_mov_b32_e32 v56, 8
	ds_write2_b64 v1, v[2:3], v[4:5] offset0:18 offset1:19
	ds_write2_b64 v1, v[42:43], v[44:45] offset0:20 offset1:21
.LBB20_186:
	s_or_b64 exec, exec, s[0:1]
	v_cmp_lt_i32_e32 vcc, 8, v56
	s_waitcnt vmcnt(0) lgkmcnt(0)
	s_barrier
	s_and_saveexec_b64 s[0:1], vcc
	s_cbranch_execz .LBB20_188
; %bb.187:
	v_mul_f64 v[54:55], v[46:47], v[8:9]
	v_mul_f64 v[8:9], v[48:49], v[8:9]
	ds_read2_b64 v[60:63], v1 offset0:18 offset1:19
	ds_read2_b64 v[64:67], v1 offset0:20 offset1:21
	v_fma_f64 v[48:49], v[48:49], v[6:7], v[54:55]
	v_fma_f64 v[6:7], v[46:47], v[6:7], -v[8:9]
	s_waitcnt lgkmcnt(1)
	v_mul_f64 v[8:9], v[62:63], v[48:49]
	v_mul_f64 v[46:47], v[60:61], v[48:49]
	s_waitcnt lgkmcnt(0)
	v_mul_f64 v[54:55], v[66:67], v[48:49]
	v_mul_f64 v[68:69], v[64:65], v[48:49]
	v_fma_f64 v[8:9], v[60:61], v[6:7], -v[8:9]
	v_fma_f64 v[46:47], v[62:63], v[6:7], v[46:47]
	v_fma_f64 v[54:55], v[64:65], v[6:7], -v[54:55]
	v_fma_f64 v[60:61], v[66:67], v[6:7], v[68:69]
	v_add_f64 v[2:3], v[2:3], -v[8:9]
	v_add_f64 v[4:5], v[4:5], -v[46:47]
	;; [unrolled: 1-line block ×4, first 2 shown]
	v_mov_b32_e32 v8, v48
	v_mov_b32_e32 v9, v49
.LBB20_188:
	s_or_b64 exec, exec, s[0:1]
	v_lshl_add_u32 v46, v56, 4, v1
	s_barrier
	ds_write2_b64 v46, v[2:3], v[4:5] offset1:1
	s_waitcnt lgkmcnt(0)
	s_barrier
	ds_read2_b64 v[46:49], v1 offset0:18 offset1:19
	s_cmp_lt_i32 s22, 11
	v_mov_b32_e32 v54, 9
	s_cbranch_scc1 .LBB20_191
; %bb.189:
	v_add_u32_e32 v55, 0xa0, v1
	s_mov_b32 s2, 10
	v_mov_b32_e32 v54, 9
.LBB20_190:                             ; =>This Inner Loop Header: Depth=1
	s_waitcnt lgkmcnt(0)
	v_cmp_gt_f64_e32 vcc, 0, v[48:49]
	v_cmp_gt_f64_e64 s[0:1], 0, v[46:47]
	ds_read2_b64 v[60:63], v55 offset1:1
	v_xor_b32_e32 v65, 0x80000000, v47
	v_xor_b32_e32 v67, 0x80000000, v49
	v_mov_b32_e32 v64, v46
	v_mov_b32_e32 v66, v48
	s_waitcnt lgkmcnt(0)
	v_xor_b32_e32 v69, 0x80000000, v63
	v_cndmask_b32_e32 v67, v49, v67, vcc
	v_cndmask_b32_e64 v65, v47, v65, s[0:1]
	v_cmp_gt_f64_e32 vcc, 0, v[62:63]
	v_cmp_gt_f64_e64 s[0:1], 0, v[60:61]
	v_add_f64 v[64:65], v[64:65], v[66:67]
	v_xor_b32_e32 v67, 0x80000000, v61
	v_mov_b32_e32 v66, v60
	v_mov_b32_e32 v68, v62
	v_add_u32_e32 v55, 16, v55
	v_cndmask_b32_e32 v69, v63, v69, vcc
	v_cndmask_b32_e64 v67, v61, v67, s[0:1]
	v_add_f64 v[66:67], v[66:67], v[68:69]
	v_mov_b32_e32 v68, s2
	s_add_i32 s2, s2, 1
	s_cmp_lg_u32 s22, s2
	v_cmp_lt_f64_e32 vcc, v[64:65], v[66:67]
	v_cndmask_b32_e32 v47, v47, v61, vcc
	v_cndmask_b32_e32 v46, v46, v60, vcc
	;; [unrolled: 1-line block ×5, first 2 shown]
	s_cbranch_scc1 .LBB20_190
.LBB20_191:
	s_waitcnt lgkmcnt(0)
	v_cmp_eq_f64_e32 vcc, 0, v[46:47]
	v_cmp_eq_f64_e64 s[0:1], 0, v[48:49]
	s_and_b64 s[0:1], vcc, s[0:1]
	s_and_saveexec_b64 s[2:3], s[0:1]
	s_xor_b64 s[0:1], exec, s[2:3]
; %bb.192:
	v_cmp_ne_u32_e32 vcc, 0, v59
	v_cndmask_b32_e32 v59, 10, v59, vcc
; %bb.193:
	s_andn2_saveexec_b64 s[0:1], s[0:1]
	s_cbranch_execz .LBB20_199
; %bb.194:
	v_cmp_ngt_f64_e64 s[2:3], |v[46:47]|, |v[48:49]|
	s_and_saveexec_b64 s[4:5], s[2:3]
	s_xor_b64 s[2:3], exec, s[4:5]
	s_cbranch_execz .LBB20_196
; %bb.195:
	v_div_scale_f64 v[60:61], s[4:5], v[48:49], v[48:49], v[46:47]
	v_rcp_f64_e32 v[62:63], v[60:61]
	v_fma_f64 v[64:65], -v[60:61], v[62:63], 1.0
	v_fma_f64 v[62:63], v[62:63], v[64:65], v[62:63]
	v_div_scale_f64 v[64:65], vcc, v[46:47], v[48:49], v[46:47]
	v_fma_f64 v[66:67], -v[60:61], v[62:63], 1.0
	v_fma_f64 v[62:63], v[62:63], v[66:67], v[62:63]
	v_mul_f64 v[66:67], v[64:65], v[62:63]
	v_fma_f64 v[60:61], -v[60:61], v[66:67], v[64:65]
	v_div_fmas_f64 v[60:61], v[60:61], v[62:63], v[66:67]
	v_div_fixup_f64 v[60:61], v[60:61], v[48:49], v[46:47]
	v_fma_f64 v[46:47], v[46:47], v[60:61], v[48:49]
	v_div_scale_f64 v[48:49], s[4:5], v[46:47], v[46:47], 1.0
	v_div_scale_f64 v[66:67], vcc, 1.0, v[46:47], 1.0
	v_rcp_f64_e32 v[62:63], v[48:49]
	v_fma_f64 v[64:65], -v[48:49], v[62:63], 1.0
	v_fma_f64 v[62:63], v[62:63], v[64:65], v[62:63]
	v_fma_f64 v[64:65], -v[48:49], v[62:63], 1.0
	v_fma_f64 v[62:63], v[62:63], v[64:65], v[62:63]
	v_mul_f64 v[64:65], v[66:67], v[62:63]
	v_fma_f64 v[48:49], -v[48:49], v[64:65], v[66:67]
	v_div_fmas_f64 v[48:49], v[48:49], v[62:63], v[64:65]
	v_div_fixup_f64 v[48:49], v[48:49], v[46:47], 1.0
	v_mul_f64 v[46:47], v[60:61], v[48:49]
	v_xor_b32_e32 v49, 0x80000000, v49
.LBB20_196:
	s_andn2_saveexec_b64 s[2:3], s[2:3]
	s_cbranch_execz .LBB20_198
; %bb.197:
	v_div_scale_f64 v[60:61], s[4:5], v[46:47], v[46:47], v[48:49]
	v_rcp_f64_e32 v[62:63], v[60:61]
	v_fma_f64 v[64:65], -v[60:61], v[62:63], 1.0
	v_fma_f64 v[62:63], v[62:63], v[64:65], v[62:63]
	v_div_scale_f64 v[64:65], vcc, v[48:49], v[46:47], v[48:49]
	v_fma_f64 v[66:67], -v[60:61], v[62:63], 1.0
	v_fma_f64 v[62:63], v[62:63], v[66:67], v[62:63]
	v_mul_f64 v[66:67], v[64:65], v[62:63]
	v_fma_f64 v[60:61], -v[60:61], v[66:67], v[64:65]
	v_div_fmas_f64 v[60:61], v[60:61], v[62:63], v[66:67]
	v_div_fixup_f64 v[60:61], v[60:61], v[46:47], v[48:49]
	v_fma_f64 v[46:47], v[48:49], v[60:61], v[46:47]
	v_div_scale_f64 v[48:49], s[4:5], v[46:47], v[46:47], 1.0
	v_div_scale_f64 v[66:67], vcc, 1.0, v[46:47], 1.0
	v_rcp_f64_e32 v[62:63], v[48:49]
	v_fma_f64 v[64:65], -v[48:49], v[62:63], 1.0
	v_fma_f64 v[62:63], v[62:63], v[64:65], v[62:63]
	v_fma_f64 v[64:65], -v[48:49], v[62:63], 1.0
	v_fma_f64 v[62:63], v[62:63], v[64:65], v[62:63]
	v_mul_f64 v[64:65], v[66:67], v[62:63]
	v_fma_f64 v[48:49], -v[48:49], v[64:65], v[66:67]
	v_div_fmas_f64 v[48:49], v[48:49], v[62:63], v[64:65]
	v_div_fixup_f64 v[46:47], v[48:49], v[46:47], 1.0
	v_mul_f64 v[48:49], v[60:61], -v[46:47]
.LBB20_198:
	s_or_b64 exec, exec, s[2:3]
.LBB20_199:
	s_or_b64 exec, exec, s[0:1]
	v_cmp_ne_u32_e32 vcc, v56, v54
	s_and_saveexec_b64 s[0:1], vcc
	s_xor_b64 s[0:1], exec, s[0:1]
	s_cbranch_execz .LBB20_205
; %bb.200:
	v_cmp_eq_u32_e32 vcc, 9, v56
	s_and_saveexec_b64 s[2:3], vcc
	s_cbranch_execz .LBB20_204
; %bb.201:
	v_cmp_ne_u32_e32 vcc, 9, v54
	s_xor_b64 s[4:5], s[18:19], -1
	s_and_b64 s[24:25], s[4:5], vcc
	s_and_saveexec_b64 s[4:5], s[24:25]
	s_cbranch_execz .LBB20_203
; %bb.202:
	v_ashrrev_i32_e32 v55, 31, v54
	v_lshlrev_b64 v[55:56], 2, v[54:55]
	v_add_co_u32_e32 v55, vcc, v52, v55
	v_addc_co_u32_e32 v56, vcc, v53, v56, vcc
	global_load_dword v0, v[55:56], off
	global_load_dword v60, v[52:53], off offset:36
	s_waitcnt vmcnt(1)
	global_store_dword v[52:53], v0, off offset:36
	s_waitcnt vmcnt(1)
	global_store_dword v[55:56], v60, off
.LBB20_203:
	s_or_b64 exec, exec, s[4:5]
	v_mov_b32_e32 v56, v54
	v_mov_b32_e32 v0, v54
.LBB20_204:
	s_or_b64 exec, exec, s[2:3]
.LBB20_205:
	s_andn2_saveexec_b64 s[0:1], s[0:1]
; %bb.206:
	v_mov_b32_e32 v56, 9
	ds_write2_b64 v1, v[42:43], v[44:45] offset0:20 offset1:21
; %bb.207:
	s_or_b64 exec, exec, s[0:1]
	v_cmp_lt_i32_e32 vcc, 9, v56
	s_waitcnt vmcnt(0) lgkmcnt(0)
	s_barrier
	s_and_saveexec_b64 s[0:1], vcc
	s_cbranch_execz .LBB20_209
; %bb.208:
	v_mul_f64 v[54:55], v[46:47], v[4:5]
	v_mul_f64 v[4:5], v[48:49], v[4:5]
	ds_read2_b64 v[60:63], v1 offset0:20 offset1:21
	v_fma_f64 v[48:49], v[48:49], v[2:3], v[54:55]
	v_fma_f64 v[2:3], v[46:47], v[2:3], -v[4:5]
	s_waitcnt lgkmcnt(0)
	v_mul_f64 v[4:5], v[62:63], v[48:49]
	v_mul_f64 v[46:47], v[60:61], v[48:49]
	v_fma_f64 v[4:5], v[60:61], v[2:3], -v[4:5]
	v_fma_f64 v[46:47], v[62:63], v[2:3], v[46:47]
	v_add_f64 v[42:43], v[42:43], -v[4:5]
	v_add_f64 v[44:45], v[44:45], -v[46:47]
	v_mov_b32_e32 v4, v48
	v_mov_b32_e32 v5, v49
.LBB20_209:
	s_or_b64 exec, exec, s[0:1]
	v_lshl_add_u32 v46, v56, 4, v1
	s_barrier
	ds_write2_b64 v46, v[42:43], v[44:45] offset1:1
	s_waitcnt lgkmcnt(0)
	s_barrier
	ds_read2_b64 v[46:49], v1 offset0:20 offset1:21
	s_cmp_lt_i32 s22, 12
	v_mov_b32_e32 v54, 10
	s_cbranch_scc1 .LBB20_212
; %bb.210:
	v_add_u32_e32 v1, 0xb0, v1
	s_mov_b32 s2, 11
	v_mov_b32_e32 v54, 10
.LBB20_211:                             ; =>This Inner Loop Header: Depth=1
	s_waitcnt lgkmcnt(0)
	v_cmp_gt_f64_e32 vcc, 0, v[48:49]
	v_cmp_gt_f64_e64 s[0:1], 0, v[46:47]
	ds_read2_b64 v[60:63], v1 offset1:1
	v_xor_b32_e32 v55, 0x80000000, v47
	v_xor_b32_e32 v67, 0x80000000, v49
	v_mov_b32_e32 v64, v46
	v_mov_b32_e32 v66, v48
	s_waitcnt lgkmcnt(0)
	v_xor_b32_e32 v69, 0x80000000, v63
	v_cndmask_b32_e32 v67, v49, v67, vcc
	v_cndmask_b32_e64 v65, v47, v55, s[0:1]
	v_cmp_gt_f64_e32 vcc, 0, v[62:63]
	v_cmp_gt_f64_e64 s[0:1], 0, v[60:61]
	v_xor_b32_e32 v55, 0x80000000, v61
	v_add_f64 v[64:65], v[64:65], v[66:67]
	v_mov_b32_e32 v66, v60
	v_mov_b32_e32 v68, v62
	v_add_u32_e32 v1, 16, v1
	v_cndmask_b32_e32 v69, v63, v69, vcc
	v_cndmask_b32_e64 v67, v61, v55, s[0:1]
	v_add_f64 v[66:67], v[66:67], v[68:69]
	v_mov_b32_e32 v55, s2
	s_add_i32 s2, s2, 1
	s_cmp_lg_u32 s22, s2
	v_cmp_lt_f64_e32 vcc, v[64:65], v[66:67]
	v_cndmask_b32_e32 v47, v47, v61, vcc
	v_cndmask_b32_e32 v46, v46, v60, vcc
	;; [unrolled: 1-line block ×5, first 2 shown]
	s_cbranch_scc1 .LBB20_211
.LBB20_212:
	s_waitcnt lgkmcnt(0)
	v_cmp_eq_f64_e32 vcc, 0, v[46:47]
	v_cmp_eq_f64_e64 s[0:1], 0, v[48:49]
	s_and_b64 s[0:1], vcc, s[0:1]
	s_and_saveexec_b64 s[2:3], s[0:1]
	s_xor_b64 s[0:1], exec, s[2:3]
; %bb.213:
	v_cmp_ne_u32_e32 vcc, 0, v59
	v_cndmask_b32_e32 v59, 11, v59, vcc
; %bb.214:
	s_andn2_saveexec_b64 s[0:1], s[0:1]
	s_cbranch_execz .LBB20_220
; %bb.215:
	v_cmp_ngt_f64_e64 s[2:3], |v[46:47]|, |v[48:49]|
	s_and_saveexec_b64 s[4:5], s[2:3]
	s_xor_b64 s[2:3], exec, s[4:5]
	s_cbranch_execz .LBB20_217
; %bb.216:
	v_div_scale_f64 v[60:61], s[4:5], v[48:49], v[48:49], v[46:47]
	v_rcp_f64_e32 v[62:63], v[60:61]
	v_fma_f64 v[64:65], -v[60:61], v[62:63], 1.0
	v_fma_f64 v[62:63], v[62:63], v[64:65], v[62:63]
	v_div_scale_f64 v[64:65], vcc, v[46:47], v[48:49], v[46:47]
	v_fma_f64 v[66:67], -v[60:61], v[62:63], 1.0
	v_fma_f64 v[62:63], v[62:63], v[66:67], v[62:63]
	v_mul_f64 v[66:67], v[64:65], v[62:63]
	v_fma_f64 v[60:61], -v[60:61], v[66:67], v[64:65]
	v_div_fmas_f64 v[60:61], v[60:61], v[62:63], v[66:67]
	v_div_fixup_f64 v[60:61], v[60:61], v[48:49], v[46:47]
	v_fma_f64 v[46:47], v[46:47], v[60:61], v[48:49]
	v_div_scale_f64 v[48:49], s[4:5], v[46:47], v[46:47], 1.0
	v_div_scale_f64 v[66:67], vcc, 1.0, v[46:47], 1.0
	v_rcp_f64_e32 v[62:63], v[48:49]
	v_fma_f64 v[64:65], -v[48:49], v[62:63], 1.0
	v_fma_f64 v[62:63], v[62:63], v[64:65], v[62:63]
	v_fma_f64 v[64:65], -v[48:49], v[62:63], 1.0
	v_fma_f64 v[62:63], v[62:63], v[64:65], v[62:63]
	v_mul_f64 v[64:65], v[66:67], v[62:63]
	v_fma_f64 v[48:49], -v[48:49], v[64:65], v[66:67]
	v_div_fmas_f64 v[48:49], v[48:49], v[62:63], v[64:65]
	v_div_fixup_f64 v[48:49], v[48:49], v[46:47], 1.0
	v_mul_f64 v[46:47], v[60:61], v[48:49]
	v_xor_b32_e32 v49, 0x80000000, v49
.LBB20_217:
	s_andn2_saveexec_b64 s[2:3], s[2:3]
	s_cbranch_execz .LBB20_219
; %bb.218:
	v_div_scale_f64 v[60:61], s[4:5], v[46:47], v[46:47], v[48:49]
	v_rcp_f64_e32 v[62:63], v[60:61]
	v_fma_f64 v[64:65], -v[60:61], v[62:63], 1.0
	v_fma_f64 v[62:63], v[62:63], v[64:65], v[62:63]
	v_div_scale_f64 v[64:65], vcc, v[48:49], v[46:47], v[48:49]
	v_fma_f64 v[66:67], -v[60:61], v[62:63], 1.0
	v_fma_f64 v[62:63], v[62:63], v[66:67], v[62:63]
	v_mul_f64 v[66:67], v[64:65], v[62:63]
	v_fma_f64 v[60:61], -v[60:61], v[66:67], v[64:65]
	v_div_fmas_f64 v[60:61], v[60:61], v[62:63], v[66:67]
	v_div_fixup_f64 v[60:61], v[60:61], v[46:47], v[48:49]
	v_fma_f64 v[46:47], v[48:49], v[60:61], v[46:47]
	v_div_scale_f64 v[48:49], s[4:5], v[46:47], v[46:47], 1.0
	v_div_scale_f64 v[66:67], vcc, 1.0, v[46:47], 1.0
	v_rcp_f64_e32 v[62:63], v[48:49]
	v_fma_f64 v[64:65], -v[48:49], v[62:63], 1.0
	v_fma_f64 v[62:63], v[62:63], v[64:65], v[62:63]
	v_fma_f64 v[64:65], -v[48:49], v[62:63], 1.0
	v_fma_f64 v[62:63], v[62:63], v[64:65], v[62:63]
	v_mul_f64 v[64:65], v[66:67], v[62:63]
	v_fma_f64 v[48:49], -v[48:49], v[64:65], v[66:67]
	v_div_fmas_f64 v[48:49], v[48:49], v[62:63], v[64:65]
	v_div_fixup_f64 v[46:47], v[48:49], v[46:47], 1.0
	v_mul_f64 v[48:49], v[60:61], -v[46:47]
.LBB20_219:
	s_or_b64 exec, exec, s[2:3]
.LBB20_220:
	s_or_b64 exec, exec, s[0:1]
	v_cmp_ne_u32_e32 vcc, v56, v54
	v_mov_b32_e32 v55, 10
	s_and_saveexec_b64 s[0:1], vcc
	s_cbranch_execz .LBB20_226
; %bb.221:
	v_cmp_eq_u32_e32 vcc, 10, v56
	s_and_saveexec_b64 s[2:3], vcc
	s_cbranch_execz .LBB20_225
; %bb.222:
	v_cmp_ne_u32_e32 vcc, 10, v54
	s_xor_b64 s[4:5], s[18:19], -1
	s_and_b64 s[18:19], s[4:5], vcc
	s_and_saveexec_b64 s[4:5], s[18:19]
	s_cbranch_execz .LBB20_224
; %bb.223:
	v_ashrrev_i32_e32 v55, 31, v54
	v_lshlrev_b64 v[0:1], 2, v[54:55]
	v_add_co_u32_e32 v0, vcc, v52, v0
	v_addc_co_u32_e32 v1, vcc, v53, v1, vcc
	global_load_dword v55, v[0:1], off
	global_load_dword v56, v[52:53], off offset:40
	s_waitcnt vmcnt(1)
	global_store_dword v[52:53], v55, off offset:40
	s_waitcnt vmcnt(1)
	global_store_dword v[0:1], v56, off
.LBB20_224:
	s_or_b64 exec, exec, s[4:5]
	v_mov_b32_e32 v56, v54
	v_mov_b32_e32 v0, v54
.LBB20_225:
	s_or_b64 exec, exec, s[2:3]
	v_mov_b32_e32 v55, v56
.LBB20_226:
	s_or_b64 exec, exec, s[0:1]
	v_cmp_gt_i32_e32 vcc, 11, v55
	v_ashrrev_i32_e32 v56, 31, v55
	s_waitcnt vmcnt(0)
	s_barrier
	s_barrier
	s_and_saveexec_b64 s[0:1], vcc
	s_cbranch_execz .LBB20_228
; %bb.227:
	v_mul_lo_u32 v1, s15, v50
	v_mul_lo_u32 v54, s14, v51
	v_mad_u64_u32 v[52:53], s[2:3], s14, v50, 0
	s_lshl_b64 s[2:3], s[12:13], 2
	v_add3_u32 v0, v0, s17, 1
	v_add3_u32 v53, v53, v54, v1
	v_lshlrev_b64 v[52:53], 2, v[52:53]
	v_mov_b32_e32 v1, s11
	v_add_co_u32_e32 v52, vcc, s10, v52
	v_addc_co_u32_e32 v1, vcc, v1, v53, vcc
	v_mov_b32_e32 v53, s3
	v_add_co_u32_e32 v54, vcc, s2, v52
	v_addc_co_u32_e32 v1, vcc, v1, v53, vcc
	v_lshlrev_b64 v[52:53], 2, v[55:56]
	v_add_co_u32_e32 v52, vcc, v54, v52
	v_addc_co_u32_e32 v53, vcc, v1, v53, vcc
	global_store_dword v[52:53], v0, off
.LBB20_228:
	s_or_b64 exec, exec, s[0:1]
	v_cmp_eq_u32_e32 vcc, 0, v55
	s_and_saveexec_b64 s[2:3], vcc
	s_cbranch_execz .LBB20_231
; %bb.229:
	v_lshlrev_b64 v[0:1], 2, v[50:51]
	v_mov_b32_e32 v50, s21
	v_add_co_u32_e32 v0, vcc, s20, v0
	v_addc_co_u32_e32 v1, vcc, v50, v1, vcc
	global_load_dword v50, v[0:1], off
	v_cmp_ne_u32_e64 s[0:1], 0, v59
	s_waitcnt vmcnt(0)
	v_cmp_eq_u32_e32 vcc, 0, v50
	s_and_b64 s[0:1], vcc, s[0:1]
	s_and_b64 exec, exec, s[0:1]
	s_cbranch_execz .LBB20_231
; %bb.230:
	v_add_u32_e32 v50, s17, v59
	global_store_dword v[0:1], v50, off
.LBB20_231:
	s_or_b64 exec, exec, s[2:3]
	v_mul_f64 v[0:1], v[46:47], v[44:45]
	v_mul_f64 v[50:51], v[48:49], v[44:45]
	v_lshlrev_b64 v[52:53], 4, v[55:56]
	v_mov_b32_e32 v54, s9
	v_fma_f64 v[0:1], v[48:49], v[42:43], v[0:1]
	v_fma_f64 v[46:47], v[46:47], v[42:43], -v[50:51]
	v_add_co_u32_e32 v48, vcc, v57, v52
	v_addc_co_u32_e32 v49, vcc, v58, v53, vcc
	v_cmp_lt_i32_e32 vcc, 10, v55
	global_store_dwordx4 v[48:49], v[38:41], off
	s_nop 0
	v_cndmask_b32_e32 v41, v45, v1, vcc
	v_cndmask_b32_e32 v40, v44, v0, vcc
	;; [unrolled: 1-line block ×4, first 2 shown]
	v_add_co_u32_e32 v0, vcc, s8, v48
	v_addc_co_u32_e32 v1, vcc, v49, v54, vcc
	global_store_dwordx4 v[0:1], v[34:37], off
	v_add_u32_e32 v0, s16, v55
	v_ashrrev_i32_e32 v1, 31, v0
	v_lshlrev_b64 v[34:35], 4, v[0:1]
	v_add_u32_e32 v0, s6, v0
	v_add_co_u32_e32 v34, vcc, v57, v34
	v_addc_co_u32_e32 v35, vcc, v58, v35, vcc
	v_ashrrev_i32_e32 v1, 31, v0
	global_store_dwordx4 v[34:35], v[30:33], off
	s_nop 0
	v_lshlrev_b64 v[30:31], 4, v[0:1]
	v_add_u32_e32 v0, s6, v0
	v_add_co_u32_e32 v30, vcc, v57, v30
	v_addc_co_u32_e32 v31, vcc, v58, v31, vcc
	v_ashrrev_i32_e32 v1, 31, v0
	global_store_dwordx4 v[30:31], v[26:29], off
	s_nop 0
	;; [unrolled: 7-line block ×7, first 2 shown]
	v_lshlrev_b64 v[6:7], 4, v[0:1]
	v_add_u32_e32 v0, s6, v0
	v_ashrrev_i32_e32 v1, 31, v0
	v_add_co_u32_e32 v6, vcc, v57, v6
	v_lshlrev_b64 v[0:1], 4, v[0:1]
	v_addc_co_u32_e32 v7, vcc, v58, v7, vcc
	v_add_co_u32_e32 v0, vcc, v57, v0
	v_addc_co_u32_e32 v1, vcc, v58, v1, vcc
	global_store_dwordx4 v[6:7], v[2:5], off
	global_store_dwordx4 v[0:1], v[38:41], off
.LBB20_232:
	s_endpgm
	.section	.rodata,"a",@progbits
	.p2align	6, 0x0
	.amdhsa_kernel _ZN9rocsolver6v33100L18getf2_small_kernelILi11E19rocblas_complex_numIdEiiPS3_EEvT1_T3_lS5_lPS5_llPT2_S5_S5_S7_l
		.amdhsa_group_segment_fixed_size 0
		.amdhsa_private_segment_fixed_size 0
		.amdhsa_kernarg_size 352
		.amdhsa_user_sgpr_count 6
		.amdhsa_user_sgpr_private_segment_buffer 1
		.amdhsa_user_sgpr_dispatch_ptr 0
		.amdhsa_user_sgpr_queue_ptr 0
		.amdhsa_user_sgpr_kernarg_segment_ptr 1
		.amdhsa_user_sgpr_dispatch_id 0
		.amdhsa_user_sgpr_flat_scratch_init 0
		.amdhsa_user_sgpr_private_segment_size 0
		.amdhsa_uses_dynamic_stack 0
		.amdhsa_system_sgpr_private_segment_wavefront_offset 0
		.amdhsa_system_sgpr_workgroup_id_x 1
		.amdhsa_system_sgpr_workgroup_id_y 1
		.amdhsa_system_sgpr_workgroup_id_z 0
		.amdhsa_system_sgpr_workgroup_info 0
		.amdhsa_system_vgpr_workitem_id 1
		.amdhsa_next_free_vgpr 78
		.amdhsa_next_free_sgpr 26
		.amdhsa_reserve_vcc 1
		.amdhsa_reserve_flat_scratch 0
		.amdhsa_float_round_mode_32 0
		.amdhsa_float_round_mode_16_64 0
		.amdhsa_float_denorm_mode_32 3
		.amdhsa_float_denorm_mode_16_64 3
		.amdhsa_dx10_clamp 1
		.amdhsa_ieee_mode 1
		.amdhsa_fp16_overflow 0
		.amdhsa_exception_fp_ieee_invalid_op 0
		.amdhsa_exception_fp_denorm_src 0
		.amdhsa_exception_fp_ieee_div_zero 0
		.amdhsa_exception_fp_ieee_overflow 0
		.amdhsa_exception_fp_ieee_underflow 0
		.amdhsa_exception_fp_ieee_inexact 0
		.amdhsa_exception_int_div_zero 0
	.end_amdhsa_kernel
	.section	.text._ZN9rocsolver6v33100L18getf2_small_kernelILi11E19rocblas_complex_numIdEiiPS3_EEvT1_T3_lS5_lPS5_llPT2_S5_S5_S7_l,"axG",@progbits,_ZN9rocsolver6v33100L18getf2_small_kernelILi11E19rocblas_complex_numIdEiiPS3_EEvT1_T3_lS5_lPS5_llPT2_S5_S5_S7_l,comdat
.Lfunc_end20:
	.size	_ZN9rocsolver6v33100L18getf2_small_kernelILi11E19rocblas_complex_numIdEiiPS3_EEvT1_T3_lS5_lPS5_llPT2_S5_S5_S7_l, .Lfunc_end20-_ZN9rocsolver6v33100L18getf2_small_kernelILi11E19rocblas_complex_numIdEiiPS3_EEvT1_T3_lS5_lPS5_llPT2_S5_S5_S7_l
                                        ; -- End function
	.set _ZN9rocsolver6v33100L18getf2_small_kernelILi11E19rocblas_complex_numIdEiiPS3_EEvT1_T3_lS5_lPS5_llPT2_S5_S5_S7_l.num_vgpr, 78
	.set _ZN9rocsolver6v33100L18getf2_small_kernelILi11E19rocblas_complex_numIdEiiPS3_EEvT1_T3_lS5_lPS5_llPT2_S5_S5_S7_l.num_agpr, 0
	.set _ZN9rocsolver6v33100L18getf2_small_kernelILi11E19rocblas_complex_numIdEiiPS3_EEvT1_T3_lS5_lPS5_llPT2_S5_S5_S7_l.numbered_sgpr, 26
	.set _ZN9rocsolver6v33100L18getf2_small_kernelILi11E19rocblas_complex_numIdEiiPS3_EEvT1_T3_lS5_lPS5_llPT2_S5_S5_S7_l.num_named_barrier, 0
	.set _ZN9rocsolver6v33100L18getf2_small_kernelILi11E19rocblas_complex_numIdEiiPS3_EEvT1_T3_lS5_lPS5_llPT2_S5_S5_S7_l.private_seg_size, 0
	.set _ZN9rocsolver6v33100L18getf2_small_kernelILi11E19rocblas_complex_numIdEiiPS3_EEvT1_T3_lS5_lPS5_llPT2_S5_S5_S7_l.uses_vcc, 1
	.set _ZN9rocsolver6v33100L18getf2_small_kernelILi11E19rocblas_complex_numIdEiiPS3_EEvT1_T3_lS5_lPS5_llPT2_S5_S5_S7_l.uses_flat_scratch, 0
	.set _ZN9rocsolver6v33100L18getf2_small_kernelILi11E19rocblas_complex_numIdEiiPS3_EEvT1_T3_lS5_lPS5_llPT2_S5_S5_S7_l.has_dyn_sized_stack, 0
	.set _ZN9rocsolver6v33100L18getf2_small_kernelILi11E19rocblas_complex_numIdEiiPS3_EEvT1_T3_lS5_lPS5_llPT2_S5_S5_S7_l.has_recursion, 0
	.set _ZN9rocsolver6v33100L18getf2_small_kernelILi11E19rocblas_complex_numIdEiiPS3_EEvT1_T3_lS5_lPS5_llPT2_S5_S5_S7_l.has_indirect_call, 0
	.section	.AMDGPU.csdata,"",@progbits
; Kernel info:
; codeLenInByte = 14772
; TotalNumSgprs: 30
; NumVgprs: 78
; ScratchSize: 0
; MemoryBound: 0
; FloatMode: 240
; IeeeMode: 1
; LDSByteSize: 0 bytes/workgroup (compile time only)
; SGPRBlocks: 3
; VGPRBlocks: 19
; NumSGPRsForWavesPerEU: 30
; NumVGPRsForWavesPerEU: 78
; Occupancy: 3
; WaveLimiterHint : 0
; COMPUTE_PGM_RSRC2:SCRATCH_EN: 0
; COMPUTE_PGM_RSRC2:USER_SGPR: 6
; COMPUTE_PGM_RSRC2:TRAP_HANDLER: 0
; COMPUTE_PGM_RSRC2:TGID_X_EN: 1
; COMPUTE_PGM_RSRC2:TGID_Y_EN: 1
; COMPUTE_PGM_RSRC2:TGID_Z_EN: 0
; COMPUTE_PGM_RSRC2:TIDIG_COMP_CNT: 1
	.section	.text._ZN9rocsolver6v33100L23getf2_npvt_small_kernelILi11E19rocblas_complex_numIdEiiPS3_EEvT1_T3_lS5_lPT2_S5_S5_,"axG",@progbits,_ZN9rocsolver6v33100L23getf2_npvt_small_kernelILi11E19rocblas_complex_numIdEiiPS3_EEvT1_T3_lS5_lPT2_S5_S5_,comdat
	.globl	_ZN9rocsolver6v33100L23getf2_npvt_small_kernelILi11E19rocblas_complex_numIdEiiPS3_EEvT1_T3_lS5_lPT2_S5_S5_ ; -- Begin function _ZN9rocsolver6v33100L23getf2_npvt_small_kernelILi11E19rocblas_complex_numIdEiiPS3_EEvT1_T3_lS5_lPT2_S5_S5_
	.p2align	8
	.type	_ZN9rocsolver6v33100L23getf2_npvt_small_kernelILi11E19rocblas_complex_numIdEiiPS3_EEvT1_T3_lS5_lPT2_S5_S5_,@function
_ZN9rocsolver6v33100L23getf2_npvt_small_kernelILi11E19rocblas_complex_numIdEiiPS3_EEvT1_T3_lS5_lPT2_S5_S5_: ; @_ZN9rocsolver6v33100L23getf2_npvt_small_kernelILi11E19rocblas_complex_numIdEiiPS3_EEvT1_T3_lS5_lPT2_S5_S5_
; %bb.0:
	s_load_dword s0, s[4:5], 0x44
	s_load_dwordx2 s[44:45], s[4:5], 0x30
	s_waitcnt lgkmcnt(0)
	s_lshr_b32 s2, s0, 16
	s_mul_i32 s7, s7, s2
	v_add_u32_e32 v98, s7, v1
	v_cmp_gt_i32_e32 vcc, s44, v98
	s_and_saveexec_b64 s[0:1], vcc
	s_cbranch_execz .LBB21_102
; %bb.1:
	s_load_dwordx4 s[8:11], s[4:5], 0x20
	s_load_dwordx4 s[12:15], s[4:5], 0x8
	v_ashrrev_i32_e32 v99, 31, v98
	s_mulk_i32 s2, 0xb0
	s_waitcnt lgkmcnt(0)
	v_mul_lo_u32 v4, s9, v98
	v_mul_lo_u32 v5, s8, v99
	v_mad_u64_u32 v[2:3], s[0:1], s8, v98, 0
	s_load_dword s0, s[4:5], 0x18
	v_mov_b32_e32 v6, s13
	v_add3_u32 v3, v3, v5, v4
	v_lshlrev_b64 v[2:3], 4, v[2:3]
	s_lshl_b64 s[4:5], s[14:15], 4
	v_add_co_u32_e32 v2, vcc, s12, v2
	v_addc_co_u32_e32 v3, vcc, v6, v3, vcc
	s_waitcnt lgkmcnt(0)
	s_add_i32 s1, s0, s0
	v_mov_b32_e32 v4, s5
	v_add_co_u32_e32 v5, vcc, s4, v2
	v_add_u32_e32 v2, s1, v0
	v_addc_co_u32_e32 v6, vcc, v3, v4, vcc
	v_ashrrev_i32_e32 v3, 31, v2
	v_lshlrev_b64 v[3:4], 4, v[2:3]
	v_add_u32_e32 v2, s0, v2
	v_add_co_u32_e32 v90, vcc, v5, v3
	v_ashrrev_i32_e32 v3, 31, v2
	v_addc_co_u32_e32 v91, vcc, v6, v4, vcc
	v_lshlrev_b64 v[3:4], 4, v[2:3]
	v_add_u32_e32 v2, s0, v2
	v_add_co_u32_e32 v92, vcc, v5, v3
	v_ashrrev_i32_e32 v3, 31, v2
	v_addc_co_u32_e32 v93, vcc, v6, v4, vcc
	;; [unrolled: 5-line block ×7, first 2 shown]
	v_lshlrev_b64 v[3:4], 4, v[2:3]
	v_add_u32_e32 v2, s0, v2
	v_add_co_u32_e32 v106, vcc, v5, v3
	v_ashrrev_i32_e32 v3, 31, v2
	v_lshlrev_b64 v[2:3], 4, v[2:3]
	v_addc_co_u32_e32 v107, vcc, v6, v4, vcc
	v_add_co_u32_e32 v108, vcc, v5, v2
	v_addc_co_u32_e32 v109, vcc, v6, v3, vcc
	v_lshlrev_b32_e32 v2, 4, v0
	v_add_co_u32_e32 v110, vcc, v5, v2
	s_ashr_i32 s1, s0, 31
	v_addc_co_u32_e32 v111, vcc, 0, v6, vcc
	s_lshl_b64 s[0:1], s[0:1], 4
	v_mov_b32_e32 v2, s1
	v_add_co_u32_e32 v112, vcc, s0, v110
	v_addc_co_u32_e32 v113, vcc, v111, v2, vcc
	global_load_dwordx4 v[42:45], v[110:111], off
	global_load_dwordx4 v[38:41], v[112:113], off
	;; [unrolled: 1-line block ×11, first 2 shown]
	s_movk_i32 s0, 0xb0
	s_add_i32 s1, s2, 0
	v_mad_u32_u24 v114, v1, s0, 0
	v_lshl_add_u32 v1, v1, 4, s1
	v_cmp_ne_u32_e64 s[2:3], 0, v0
	v_cmp_eq_u32_e64 s[0:1], 0, v0
	s_and_saveexec_b64 s[6:7], s[0:1]
	s_cbranch_execz .LBB21_8
; %bb.2:
	s_waitcnt vmcnt(10)
	ds_write2_b64 v1, v[42:43], v[44:45] offset1:1
	s_waitcnt vmcnt(9)
	ds_write2_b64 v114, v[38:39], v[40:41] offset0:2 offset1:3
	s_waitcnt vmcnt(8)
	ds_write2_b64 v114, v[34:35], v[36:37] offset0:4 offset1:5
	;; [unrolled: 2-line block ×10, first 2 shown]
	ds_read2_b64 v[46:49], v1 offset1:1
	s_waitcnt lgkmcnt(0)
	v_cmp_neq_f64_e32 vcc, 0, v[46:47]
	v_cmp_neq_f64_e64 s[4:5], 0, v[48:49]
	s_or_b64 s[4:5], vcc, s[4:5]
	s_and_b64 exec, exec, s[4:5]
	s_cbranch_execz .LBB21_8
; %bb.3:
	v_cmp_ngt_f64_e64 s[4:5], |v[46:47]|, |v[48:49]|
                                        ; implicit-def: $vgpr50_vgpr51
	s_and_saveexec_b64 s[8:9], s[4:5]
	s_xor_b64 s[4:5], exec, s[8:9]
                                        ; implicit-def: $vgpr52_vgpr53
	s_cbranch_execz .LBB21_5
; %bb.4:
	v_div_scale_f64 v[50:51], s[8:9], v[48:49], v[48:49], v[46:47]
	v_rcp_f64_e32 v[52:53], v[50:51]
	v_fma_f64 v[54:55], -v[50:51], v[52:53], 1.0
	v_fma_f64 v[52:53], v[52:53], v[54:55], v[52:53]
	v_div_scale_f64 v[54:55], vcc, v[46:47], v[48:49], v[46:47]
	v_fma_f64 v[56:57], -v[50:51], v[52:53], 1.0
	v_fma_f64 v[52:53], v[52:53], v[56:57], v[52:53]
	v_mul_f64 v[56:57], v[54:55], v[52:53]
	v_fma_f64 v[50:51], -v[50:51], v[56:57], v[54:55]
	v_div_fmas_f64 v[50:51], v[50:51], v[52:53], v[56:57]
	v_div_fixup_f64 v[50:51], v[50:51], v[48:49], v[46:47]
	v_fma_f64 v[46:47], v[46:47], v[50:51], v[48:49]
	v_div_scale_f64 v[48:49], s[8:9], v[46:47], v[46:47], 1.0
	v_div_scale_f64 v[56:57], vcc, 1.0, v[46:47], 1.0
	v_rcp_f64_e32 v[52:53], v[48:49]
	v_fma_f64 v[54:55], -v[48:49], v[52:53], 1.0
	v_fma_f64 v[52:53], v[52:53], v[54:55], v[52:53]
	v_fma_f64 v[54:55], -v[48:49], v[52:53], 1.0
	v_fma_f64 v[52:53], v[52:53], v[54:55], v[52:53]
	v_mul_f64 v[54:55], v[56:57], v[52:53]
	v_fma_f64 v[48:49], -v[48:49], v[54:55], v[56:57]
	v_div_fmas_f64 v[48:49], v[48:49], v[52:53], v[54:55]
	v_div_fixup_f64 v[52:53], v[48:49], v[46:47], 1.0
                                        ; implicit-def: $vgpr46_vgpr47
	v_mul_f64 v[50:51], v[50:51], v[52:53]
	v_xor_b32_e32 v53, 0x80000000, v53
.LBB21_5:
	s_andn2_saveexec_b64 s[4:5], s[4:5]
	s_cbranch_execz .LBB21_7
; %bb.6:
	v_div_scale_f64 v[50:51], s[8:9], v[46:47], v[46:47], v[48:49]
	v_rcp_f64_e32 v[52:53], v[50:51]
	v_fma_f64 v[54:55], -v[50:51], v[52:53], 1.0
	v_fma_f64 v[52:53], v[52:53], v[54:55], v[52:53]
	v_div_scale_f64 v[54:55], vcc, v[48:49], v[46:47], v[48:49]
	v_fma_f64 v[56:57], -v[50:51], v[52:53], 1.0
	v_fma_f64 v[52:53], v[52:53], v[56:57], v[52:53]
	v_mul_f64 v[56:57], v[54:55], v[52:53]
	v_fma_f64 v[50:51], -v[50:51], v[56:57], v[54:55]
	v_div_fmas_f64 v[50:51], v[50:51], v[52:53], v[56:57]
	v_div_fixup_f64 v[52:53], v[50:51], v[46:47], v[48:49]
	v_fma_f64 v[46:47], v[48:49], v[52:53], v[46:47]
	v_div_scale_f64 v[48:49], s[8:9], v[46:47], v[46:47], 1.0
	v_div_scale_f64 v[56:57], vcc, 1.0, v[46:47], 1.0
	v_rcp_f64_e32 v[50:51], v[48:49]
	v_fma_f64 v[54:55], -v[48:49], v[50:51], 1.0
	v_fma_f64 v[50:51], v[50:51], v[54:55], v[50:51]
	v_fma_f64 v[54:55], -v[48:49], v[50:51], 1.0
	v_fma_f64 v[50:51], v[50:51], v[54:55], v[50:51]
	v_mul_f64 v[54:55], v[56:57], v[50:51]
	v_fma_f64 v[48:49], -v[48:49], v[54:55], v[56:57]
	v_div_fmas_f64 v[48:49], v[48:49], v[50:51], v[54:55]
	v_div_fixup_f64 v[50:51], v[48:49], v[46:47], 1.0
	v_mul_f64 v[52:53], v[52:53], -v[50:51]
.LBB21_7:
	s_or_b64 exec, exec, s[4:5]
	ds_write2_b64 v1, v[50:51], v[52:53] offset1:1
.LBB21_8:
	s_or_b64 exec, exec, s[6:7]
	s_waitcnt vmcnt(0) lgkmcnt(0)
	s_barrier
	ds_read2_b64 v[46:49], v1 offset1:1
	s_and_saveexec_b64 s[4:5], s[2:3]
	s_cbranch_execz .LBB21_10
; %bb.9:
	s_waitcnt lgkmcnt(0)
	v_mul_f64 v[50:51], v[46:47], v[44:45]
	v_mul_f64 v[44:45], v[48:49], v[44:45]
	v_fma_f64 v[74:75], v[48:49], v[42:43], v[50:51]
	ds_read2_b64 v[50:53], v114 offset0:2 offset1:3
	ds_read2_b64 v[54:57], v114 offset0:4 offset1:5
	;; [unrolled: 1-line block ×6, first 2 shown]
	v_fma_f64 v[42:43], v[46:47], v[42:43], -v[44:45]
	s_waitcnt lgkmcnt(5)
	v_mul_f64 v[44:45], v[52:53], v[74:75]
	v_mul_f64 v[76:77], v[50:51], v[74:75]
	s_waitcnt lgkmcnt(4)
	v_mul_f64 v[78:79], v[56:57], v[74:75]
	v_mul_f64 v[80:81], v[54:55], v[74:75]
	;; [unrolled: 3-line block ×3, first 2 shown]
	s_waitcnt lgkmcnt(2)
	v_mul_f64 v[86:87], v[64:65], v[74:75]
	s_waitcnt lgkmcnt(1)
	v_mul_f64 v[115:116], v[68:69], v[74:75]
	v_mul_f64 v[117:118], v[66:67], v[74:75]
	s_waitcnt lgkmcnt(0)
	v_mul_f64 v[119:120], v[72:73], v[74:75]
	v_fma_f64 v[44:45], v[50:51], v[42:43], -v[44:45]
	v_fma_f64 v[50:51], v[52:53], v[42:43], v[76:77]
	v_fma_f64 v[52:53], v[54:55], v[42:43], -v[78:79]
	v_fma_f64 v[54:55], v[56:57], v[42:43], v[80:81]
	v_mul_f64 v[56:57], v[70:71], v[74:75]
	v_fma_f64 v[58:59], v[58:59], v[42:43], -v[82:83]
	v_mul_f64 v[88:89], v[62:63], v[74:75]
	v_fma_f64 v[60:61], v[60:61], v[42:43], v[84:85]
	v_fma_f64 v[62:63], v[62:63], v[42:43], -v[86:87]
	v_add_f64 v[40:41], v[40:41], -v[50:51]
	v_fma_f64 v[50:51], v[66:67], v[42:43], -v[115:116]
	v_add_f64 v[36:37], v[36:37], -v[54:55]
	v_fma_f64 v[54:55], v[68:69], v[42:43], v[117:118]
	v_add_f64 v[30:31], v[30:31], -v[58:59]
	v_fma_f64 v[58:59], v[70:71], v[42:43], -v[119:120]
	v_fma_f64 v[56:57], v[72:73], v[42:43], v[56:57]
	v_add_f64 v[38:39], v[38:39], -v[44:45]
	v_fma_f64 v[44:45], v[64:65], v[42:43], v[88:89]
	v_add_f64 v[34:35], v[34:35], -v[52:53]
	v_add_f64 v[32:33], v[32:33], -v[60:61]
	;; [unrolled: 1-line block ×4, first 2 shown]
	ds_read2_b64 v[50:53], v114 offset0:14 offset1:15
	v_add_f64 v[24:25], v[24:25], -v[54:55]
	v_add_f64 v[18:19], v[18:19], -v[58:59]
	;; [unrolled: 1-line block ×3, first 2 shown]
	ds_read2_b64 v[54:57], v114 offset0:16 offset1:17
	ds_read2_b64 v[58:61], v114 offset0:18 offset1:19
	;; [unrolled: 1-line block ×3, first 2 shown]
	v_add_f64 v[28:29], v[28:29], -v[44:45]
	s_waitcnt lgkmcnt(3)
	v_mul_f64 v[44:45], v[52:53], v[74:75]
	v_mul_f64 v[66:67], v[50:51], v[74:75]
	s_waitcnt lgkmcnt(2)
	v_mul_f64 v[68:69], v[56:57], v[74:75]
	v_mul_f64 v[70:71], v[54:55], v[74:75]
	;; [unrolled: 3-line block ×4, first 2 shown]
	v_fma_f64 v[44:45], v[50:51], v[42:43], -v[44:45]
	v_fma_f64 v[50:51], v[52:53], v[42:43], v[66:67]
	v_fma_f64 v[52:53], v[54:55], v[42:43], -v[68:69]
	v_fma_f64 v[54:55], v[56:57], v[42:43], v[70:71]
	;; [unrolled: 2-line block ×4, first 2 shown]
	v_add_f64 v[14:15], v[14:15], -v[44:45]
	v_add_f64 v[16:17], v[16:17], -v[50:51]
	;; [unrolled: 1-line block ×8, first 2 shown]
	v_mov_b32_e32 v44, v74
	v_mov_b32_e32 v45, v75
.LBB21_10:
	s_or_b64 exec, exec, s[4:5]
	v_cmp_eq_u32_e32 vcc, 1, v0
	s_waitcnt lgkmcnt(0)
	s_barrier
	s_and_saveexec_b64 s[4:5], vcc
	s_cbranch_execz .LBB21_17
; %bb.11:
	ds_write2_b64 v1, v[38:39], v[40:41] offset1:1
	ds_write2_b64 v114, v[34:35], v[36:37] offset0:4 offset1:5
	ds_write2_b64 v114, v[30:31], v[32:33] offset0:6 offset1:7
	;; [unrolled: 1-line block ×9, first 2 shown]
	ds_read2_b64 v[50:53], v1 offset1:1
	s_waitcnt lgkmcnt(0)
	v_cmp_neq_f64_e32 vcc, 0, v[50:51]
	v_cmp_neq_f64_e64 s[2:3], 0, v[52:53]
	s_or_b64 s[2:3], vcc, s[2:3]
	s_and_b64 exec, exec, s[2:3]
	s_cbranch_execz .LBB21_17
; %bb.12:
	v_cmp_ngt_f64_e64 s[2:3], |v[50:51]|, |v[52:53]|
                                        ; implicit-def: $vgpr54_vgpr55
	s_and_saveexec_b64 s[6:7], s[2:3]
	s_xor_b64 s[2:3], exec, s[6:7]
                                        ; implicit-def: $vgpr56_vgpr57
	s_cbranch_execz .LBB21_14
; %bb.13:
	v_div_scale_f64 v[54:55], s[6:7], v[52:53], v[52:53], v[50:51]
	v_rcp_f64_e32 v[56:57], v[54:55]
	v_fma_f64 v[58:59], -v[54:55], v[56:57], 1.0
	v_fma_f64 v[56:57], v[56:57], v[58:59], v[56:57]
	v_div_scale_f64 v[58:59], vcc, v[50:51], v[52:53], v[50:51]
	v_fma_f64 v[60:61], -v[54:55], v[56:57], 1.0
	v_fma_f64 v[56:57], v[56:57], v[60:61], v[56:57]
	v_mul_f64 v[60:61], v[58:59], v[56:57]
	v_fma_f64 v[54:55], -v[54:55], v[60:61], v[58:59]
	v_div_fmas_f64 v[54:55], v[54:55], v[56:57], v[60:61]
	v_div_fixup_f64 v[54:55], v[54:55], v[52:53], v[50:51]
	v_fma_f64 v[50:51], v[50:51], v[54:55], v[52:53]
	v_div_scale_f64 v[52:53], s[6:7], v[50:51], v[50:51], 1.0
	v_div_scale_f64 v[60:61], vcc, 1.0, v[50:51], 1.0
	v_rcp_f64_e32 v[56:57], v[52:53]
	v_fma_f64 v[58:59], -v[52:53], v[56:57], 1.0
	v_fma_f64 v[56:57], v[56:57], v[58:59], v[56:57]
	v_fma_f64 v[58:59], -v[52:53], v[56:57], 1.0
	v_fma_f64 v[56:57], v[56:57], v[58:59], v[56:57]
	v_mul_f64 v[58:59], v[60:61], v[56:57]
	v_fma_f64 v[52:53], -v[52:53], v[58:59], v[60:61]
	v_div_fmas_f64 v[52:53], v[52:53], v[56:57], v[58:59]
	v_div_fixup_f64 v[56:57], v[52:53], v[50:51], 1.0
                                        ; implicit-def: $vgpr50_vgpr51
	v_mul_f64 v[54:55], v[54:55], v[56:57]
	v_xor_b32_e32 v57, 0x80000000, v57
.LBB21_14:
	s_andn2_saveexec_b64 s[2:3], s[2:3]
	s_cbranch_execz .LBB21_16
; %bb.15:
	v_div_scale_f64 v[54:55], s[6:7], v[50:51], v[50:51], v[52:53]
	v_rcp_f64_e32 v[56:57], v[54:55]
	v_fma_f64 v[58:59], -v[54:55], v[56:57], 1.0
	v_fma_f64 v[56:57], v[56:57], v[58:59], v[56:57]
	v_div_scale_f64 v[58:59], vcc, v[52:53], v[50:51], v[52:53]
	v_fma_f64 v[60:61], -v[54:55], v[56:57], 1.0
	v_fma_f64 v[56:57], v[56:57], v[60:61], v[56:57]
	v_mul_f64 v[60:61], v[58:59], v[56:57]
	v_fma_f64 v[54:55], -v[54:55], v[60:61], v[58:59]
	v_div_fmas_f64 v[54:55], v[54:55], v[56:57], v[60:61]
	v_div_fixup_f64 v[56:57], v[54:55], v[50:51], v[52:53]
	v_fma_f64 v[50:51], v[52:53], v[56:57], v[50:51]
	v_div_scale_f64 v[52:53], s[6:7], v[50:51], v[50:51], 1.0
	v_div_scale_f64 v[60:61], vcc, 1.0, v[50:51], 1.0
	v_rcp_f64_e32 v[54:55], v[52:53]
	v_fma_f64 v[58:59], -v[52:53], v[54:55], 1.0
	v_fma_f64 v[54:55], v[54:55], v[58:59], v[54:55]
	v_fma_f64 v[58:59], -v[52:53], v[54:55], 1.0
	v_fma_f64 v[54:55], v[54:55], v[58:59], v[54:55]
	v_mul_f64 v[58:59], v[60:61], v[54:55]
	v_fma_f64 v[52:53], -v[52:53], v[58:59], v[60:61]
	v_div_fmas_f64 v[52:53], v[52:53], v[54:55], v[58:59]
	v_div_fixup_f64 v[54:55], v[52:53], v[50:51], 1.0
	v_mul_f64 v[56:57], v[56:57], -v[54:55]
.LBB21_16:
	s_or_b64 exec, exec, s[2:3]
	ds_write2_b64 v1, v[54:55], v[56:57] offset1:1
.LBB21_17:
	s_or_b64 exec, exec, s[4:5]
	s_waitcnt lgkmcnt(0)
	s_barrier
	ds_read2_b64 v[50:53], v1 offset1:1
	v_cmp_lt_u32_e32 vcc, 1, v0
	s_and_saveexec_b64 s[2:3], vcc
	s_cbranch_execz .LBB21_19
; %bb.18:
	s_waitcnt lgkmcnt(0)
	v_mul_f64 v[54:55], v[50:51], v[40:41]
	v_mul_f64 v[40:41], v[52:53], v[40:41]
	v_fma_f64 v[78:79], v[52:53], v[38:39], v[54:55]
	ds_read2_b64 v[54:57], v114 offset0:4 offset1:5
	ds_read2_b64 v[58:61], v114 offset0:6 offset1:7
	ds_read2_b64 v[62:65], v114 offset0:8 offset1:9
	ds_read2_b64 v[66:69], v114 offset0:10 offset1:11
	ds_read2_b64 v[70:73], v114 offset0:12 offset1:13
	ds_read2_b64 v[74:77], v114 offset0:14 offset1:15
	v_fma_f64 v[38:39], v[50:51], v[38:39], -v[40:41]
	s_waitcnt lgkmcnt(5)
	v_mul_f64 v[40:41], v[56:57], v[78:79]
	v_mul_f64 v[80:81], v[54:55], v[78:79]
	s_waitcnt lgkmcnt(4)
	v_mul_f64 v[82:83], v[60:61], v[78:79]
	v_mul_f64 v[84:85], v[58:59], v[78:79]
	;; [unrolled: 3-line block ×5, first 2 shown]
	v_fma_f64 v[40:41], v[54:55], v[38:39], -v[40:41]
	v_fma_f64 v[54:55], v[56:57], v[38:39], v[80:81]
	v_fma_f64 v[56:57], v[58:59], v[38:39], -v[82:83]
	v_fma_f64 v[58:59], v[60:61], v[38:39], v[84:85]
	;; [unrolled: 2-line block ×5, first 2 shown]
	v_add_f64 v[36:37], v[36:37], -v[54:55]
	v_add_f64 v[30:31], v[30:31], -v[56:57]
	;; [unrolled: 1-line block ×6, first 2 shown]
	ds_read2_b64 v[54:57], v114 offset0:16 offset1:17
	ds_read2_b64 v[58:61], v114 offset0:18 offset1:19
	;; [unrolled: 1-line block ×3, first 2 shown]
	v_add_f64 v[34:35], v[34:35], -v[40:41]
	v_add_f64 v[24:25], v[24:25], -v[66:67]
	;; [unrolled: 1-line block ×4, first 2 shown]
	s_waitcnt lgkmcnt(3)
	v_mul_f64 v[40:41], v[76:77], v[78:79]
	v_mul_f64 v[66:67], v[74:75], v[78:79]
	s_waitcnt lgkmcnt(2)
	v_mul_f64 v[68:69], v[56:57], v[78:79]
	v_mul_f64 v[70:71], v[54:55], v[78:79]
	;; [unrolled: 3-line block ×4, first 2 shown]
	v_fma_f64 v[40:41], v[74:75], v[38:39], -v[40:41]
	v_fma_f64 v[66:67], v[76:77], v[38:39], v[66:67]
	v_fma_f64 v[54:55], v[54:55], v[38:39], -v[68:69]
	v_fma_f64 v[56:57], v[56:57], v[38:39], v[70:71]
	;; [unrolled: 2-line block ×4, first 2 shown]
	v_add_f64 v[14:15], v[14:15], -v[40:41]
	v_add_f64 v[16:17], v[16:17], -v[66:67]
	;; [unrolled: 1-line block ×8, first 2 shown]
	v_mov_b32_e32 v40, v78
	v_mov_b32_e32 v41, v79
.LBB21_19:
	s_or_b64 exec, exec, s[2:3]
	v_cmp_eq_u32_e32 vcc, 2, v0
	s_waitcnt lgkmcnt(0)
	s_barrier
	s_and_saveexec_b64 s[4:5], vcc
	s_cbranch_execz .LBB21_26
; %bb.20:
	ds_write2_b64 v1, v[34:35], v[36:37] offset1:1
	ds_write2_b64 v114, v[30:31], v[32:33] offset0:6 offset1:7
	ds_write2_b64 v114, v[26:27], v[28:29] offset0:8 offset1:9
	;; [unrolled: 1-line block ×8, first 2 shown]
	ds_read2_b64 v[54:57], v1 offset1:1
	s_waitcnt lgkmcnt(0)
	v_cmp_neq_f64_e32 vcc, 0, v[54:55]
	v_cmp_neq_f64_e64 s[2:3], 0, v[56:57]
	s_or_b64 s[2:3], vcc, s[2:3]
	s_and_b64 exec, exec, s[2:3]
	s_cbranch_execz .LBB21_26
; %bb.21:
	v_cmp_ngt_f64_e64 s[2:3], |v[54:55]|, |v[56:57]|
                                        ; implicit-def: $vgpr58_vgpr59
	s_and_saveexec_b64 s[6:7], s[2:3]
	s_xor_b64 s[2:3], exec, s[6:7]
                                        ; implicit-def: $vgpr60_vgpr61
	s_cbranch_execz .LBB21_23
; %bb.22:
	v_div_scale_f64 v[58:59], s[6:7], v[56:57], v[56:57], v[54:55]
	v_rcp_f64_e32 v[60:61], v[58:59]
	v_fma_f64 v[62:63], -v[58:59], v[60:61], 1.0
	v_fma_f64 v[60:61], v[60:61], v[62:63], v[60:61]
	v_div_scale_f64 v[62:63], vcc, v[54:55], v[56:57], v[54:55]
	v_fma_f64 v[64:65], -v[58:59], v[60:61], 1.0
	v_fma_f64 v[60:61], v[60:61], v[64:65], v[60:61]
	v_mul_f64 v[64:65], v[62:63], v[60:61]
	v_fma_f64 v[58:59], -v[58:59], v[64:65], v[62:63]
	v_div_fmas_f64 v[58:59], v[58:59], v[60:61], v[64:65]
	v_div_fixup_f64 v[58:59], v[58:59], v[56:57], v[54:55]
	v_fma_f64 v[54:55], v[54:55], v[58:59], v[56:57]
	v_div_scale_f64 v[56:57], s[6:7], v[54:55], v[54:55], 1.0
	v_div_scale_f64 v[64:65], vcc, 1.0, v[54:55], 1.0
	v_rcp_f64_e32 v[60:61], v[56:57]
	v_fma_f64 v[62:63], -v[56:57], v[60:61], 1.0
	v_fma_f64 v[60:61], v[60:61], v[62:63], v[60:61]
	v_fma_f64 v[62:63], -v[56:57], v[60:61], 1.0
	v_fma_f64 v[60:61], v[60:61], v[62:63], v[60:61]
	v_mul_f64 v[62:63], v[64:65], v[60:61]
	v_fma_f64 v[56:57], -v[56:57], v[62:63], v[64:65]
	v_div_fmas_f64 v[56:57], v[56:57], v[60:61], v[62:63]
	v_div_fixup_f64 v[60:61], v[56:57], v[54:55], 1.0
                                        ; implicit-def: $vgpr54_vgpr55
	v_mul_f64 v[58:59], v[58:59], v[60:61]
	v_xor_b32_e32 v61, 0x80000000, v61
.LBB21_23:
	s_andn2_saveexec_b64 s[2:3], s[2:3]
	s_cbranch_execz .LBB21_25
; %bb.24:
	v_div_scale_f64 v[58:59], s[6:7], v[54:55], v[54:55], v[56:57]
	v_rcp_f64_e32 v[60:61], v[58:59]
	v_fma_f64 v[62:63], -v[58:59], v[60:61], 1.0
	v_fma_f64 v[60:61], v[60:61], v[62:63], v[60:61]
	v_div_scale_f64 v[62:63], vcc, v[56:57], v[54:55], v[56:57]
	v_fma_f64 v[64:65], -v[58:59], v[60:61], 1.0
	v_fma_f64 v[60:61], v[60:61], v[64:65], v[60:61]
	v_mul_f64 v[64:65], v[62:63], v[60:61]
	v_fma_f64 v[58:59], -v[58:59], v[64:65], v[62:63]
	v_div_fmas_f64 v[58:59], v[58:59], v[60:61], v[64:65]
	v_div_fixup_f64 v[60:61], v[58:59], v[54:55], v[56:57]
	v_fma_f64 v[54:55], v[56:57], v[60:61], v[54:55]
	v_div_scale_f64 v[56:57], s[6:7], v[54:55], v[54:55], 1.0
	v_div_scale_f64 v[64:65], vcc, 1.0, v[54:55], 1.0
	v_rcp_f64_e32 v[58:59], v[56:57]
	v_fma_f64 v[62:63], -v[56:57], v[58:59], 1.0
	v_fma_f64 v[58:59], v[58:59], v[62:63], v[58:59]
	v_fma_f64 v[62:63], -v[56:57], v[58:59], 1.0
	v_fma_f64 v[58:59], v[58:59], v[62:63], v[58:59]
	v_mul_f64 v[62:63], v[64:65], v[58:59]
	v_fma_f64 v[56:57], -v[56:57], v[62:63], v[64:65]
	v_div_fmas_f64 v[56:57], v[56:57], v[58:59], v[62:63]
	v_div_fixup_f64 v[58:59], v[56:57], v[54:55], 1.0
	v_mul_f64 v[60:61], v[60:61], -v[58:59]
.LBB21_25:
	s_or_b64 exec, exec, s[2:3]
	ds_write2_b64 v1, v[58:59], v[60:61] offset1:1
.LBB21_26:
	s_or_b64 exec, exec, s[4:5]
	s_waitcnt lgkmcnt(0)
	s_barrier
	ds_read2_b64 v[54:57], v1 offset1:1
	v_cmp_lt_u32_e32 vcc, 2, v0
	s_and_saveexec_b64 s[2:3], vcc
	s_cbranch_execz .LBB21_28
; %bb.27:
	s_waitcnt lgkmcnt(0)
	v_mul_f64 v[58:59], v[54:55], v[36:37]
	v_mul_f64 v[36:37], v[56:57], v[36:37]
	v_fma_f64 v[78:79], v[56:57], v[34:35], v[58:59]
	ds_read2_b64 v[58:61], v114 offset0:6 offset1:7
	ds_read2_b64 v[62:65], v114 offset0:8 offset1:9
	;; [unrolled: 1-line block ×5, first 2 shown]
	v_fma_f64 v[34:35], v[54:55], v[34:35], -v[36:37]
	s_waitcnt lgkmcnt(4)
	v_mul_f64 v[36:37], v[60:61], v[78:79]
	v_mul_f64 v[80:81], v[58:59], v[78:79]
	s_waitcnt lgkmcnt(3)
	v_mul_f64 v[82:83], v[64:65], v[78:79]
	v_mul_f64 v[84:85], v[62:63], v[78:79]
	;; [unrolled: 3-line block ×4, first 2 shown]
	v_fma_f64 v[36:37], v[58:59], v[34:35], -v[36:37]
	v_fma_f64 v[58:59], v[60:61], v[34:35], v[80:81]
	v_fma_f64 v[60:61], v[62:63], v[34:35], -v[82:83]
	v_fma_f64 v[62:63], v[64:65], v[34:35], v[84:85]
	;; [unrolled: 2-line block ×4, first 2 shown]
	v_add_f64 v[30:31], v[30:31], -v[36:37]
	v_add_f64 v[32:33], v[32:33], -v[58:59]
	;; [unrolled: 1-line block ×7, first 2 shown]
	ds_read2_b64 v[58:61], v114 offset0:16 offset1:17
	ds_read2_b64 v[62:65], v114 offset0:18 offset1:19
	;; [unrolled: 1-line block ×3, first 2 shown]
	v_add_f64 v[20:21], v[20:21], -v[70:71]
	s_waitcnt lgkmcnt(3)
	v_mul_f64 v[36:37], v[76:77], v[78:79]
	v_mul_f64 v[70:71], v[74:75], v[78:79]
	s_waitcnt lgkmcnt(2)
	v_mul_f64 v[72:73], v[60:61], v[78:79]
	v_mul_f64 v[80:81], v[58:59], v[78:79]
	s_waitcnt lgkmcnt(1)
	v_mul_f64 v[82:83], v[64:65], v[78:79]
	v_mul_f64 v[84:85], v[62:63], v[78:79]
	s_waitcnt lgkmcnt(0)
	v_mul_f64 v[86:87], v[68:69], v[78:79]
	v_mul_f64 v[88:89], v[66:67], v[78:79]
	v_fma_f64 v[36:37], v[74:75], v[34:35], -v[36:37]
	v_fma_f64 v[70:71], v[76:77], v[34:35], v[70:71]
	v_fma_f64 v[58:59], v[58:59], v[34:35], -v[72:73]
	v_fma_f64 v[60:61], v[60:61], v[34:35], v[80:81]
	;; [unrolled: 2-line block ×4, first 2 shown]
	v_add_f64 v[14:15], v[14:15], -v[36:37]
	v_add_f64 v[16:17], v[16:17], -v[70:71]
	;; [unrolled: 1-line block ×8, first 2 shown]
	v_mov_b32_e32 v36, v78
	v_mov_b32_e32 v37, v79
.LBB21_28:
	s_or_b64 exec, exec, s[2:3]
	v_cmp_eq_u32_e32 vcc, 3, v0
	s_waitcnt lgkmcnt(0)
	s_barrier
	s_and_saveexec_b64 s[4:5], vcc
	s_cbranch_execz .LBB21_35
; %bb.29:
	ds_write2_b64 v1, v[30:31], v[32:33] offset1:1
	ds_write2_b64 v114, v[26:27], v[28:29] offset0:8 offset1:9
	ds_write2_b64 v114, v[22:23], v[24:25] offset0:10 offset1:11
	;; [unrolled: 1-line block ×7, first 2 shown]
	ds_read2_b64 v[58:61], v1 offset1:1
	s_waitcnt lgkmcnt(0)
	v_cmp_neq_f64_e32 vcc, 0, v[58:59]
	v_cmp_neq_f64_e64 s[2:3], 0, v[60:61]
	s_or_b64 s[2:3], vcc, s[2:3]
	s_and_b64 exec, exec, s[2:3]
	s_cbranch_execz .LBB21_35
; %bb.30:
	v_cmp_ngt_f64_e64 s[2:3], |v[58:59]|, |v[60:61]|
                                        ; implicit-def: $vgpr62_vgpr63
	s_and_saveexec_b64 s[6:7], s[2:3]
	s_xor_b64 s[2:3], exec, s[6:7]
                                        ; implicit-def: $vgpr64_vgpr65
	s_cbranch_execz .LBB21_32
; %bb.31:
	v_div_scale_f64 v[62:63], s[6:7], v[60:61], v[60:61], v[58:59]
	v_rcp_f64_e32 v[64:65], v[62:63]
	v_fma_f64 v[66:67], -v[62:63], v[64:65], 1.0
	v_fma_f64 v[64:65], v[64:65], v[66:67], v[64:65]
	v_div_scale_f64 v[66:67], vcc, v[58:59], v[60:61], v[58:59]
	v_fma_f64 v[68:69], -v[62:63], v[64:65], 1.0
	v_fma_f64 v[64:65], v[64:65], v[68:69], v[64:65]
	v_mul_f64 v[68:69], v[66:67], v[64:65]
	v_fma_f64 v[62:63], -v[62:63], v[68:69], v[66:67]
	v_div_fmas_f64 v[62:63], v[62:63], v[64:65], v[68:69]
	v_div_fixup_f64 v[62:63], v[62:63], v[60:61], v[58:59]
	v_fma_f64 v[58:59], v[58:59], v[62:63], v[60:61]
	v_div_scale_f64 v[60:61], s[6:7], v[58:59], v[58:59], 1.0
	v_div_scale_f64 v[68:69], vcc, 1.0, v[58:59], 1.0
	v_rcp_f64_e32 v[64:65], v[60:61]
	v_fma_f64 v[66:67], -v[60:61], v[64:65], 1.0
	v_fma_f64 v[64:65], v[64:65], v[66:67], v[64:65]
	v_fma_f64 v[66:67], -v[60:61], v[64:65], 1.0
	v_fma_f64 v[64:65], v[64:65], v[66:67], v[64:65]
	v_mul_f64 v[66:67], v[68:69], v[64:65]
	v_fma_f64 v[60:61], -v[60:61], v[66:67], v[68:69]
	v_div_fmas_f64 v[60:61], v[60:61], v[64:65], v[66:67]
	v_div_fixup_f64 v[64:65], v[60:61], v[58:59], 1.0
                                        ; implicit-def: $vgpr58_vgpr59
	v_mul_f64 v[62:63], v[62:63], v[64:65]
	v_xor_b32_e32 v65, 0x80000000, v65
.LBB21_32:
	s_andn2_saveexec_b64 s[2:3], s[2:3]
	s_cbranch_execz .LBB21_34
; %bb.33:
	v_div_scale_f64 v[62:63], s[6:7], v[58:59], v[58:59], v[60:61]
	v_rcp_f64_e32 v[64:65], v[62:63]
	v_fma_f64 v[66:67], -v[62:63], v[64:65], 1.0
	v_fma_f64 v[64:65], v[64:65], v[66:67], v[64:65]
	v_div_scale_f64 v[66:67], vcc, v[60:61], v[58:59], v[60:61]
	v_fma_f64 v[68:69], -v[62:63], v[64:65], 1.0
	v_fma_f64 v[64:65], v[64:65], v[68:69], v[64:65]
	v_mul_f64 v[68:69], v[66:67], v[64:65]
	v_fma_f64 v[62:63], -v[62:63], v[68:69], v[66:67]
	v_div_fmas_f64 v[62:63], v[62:63], v[64:65], v[68:69]
	v_div_fixup_f64 v[64:65], v[62:63], v[58:59], v[60:61]
	v_fma_f64 v[58:59], v[60:61], v[64:65], v[58:59]
	v_div_scale_f64 v[60:61], s[6:7], v[58:59], v[58:59], 1.0
	v_div_scale_f64 v[68:69], vcc, 1.0, v[58:59], 1.0
	v_rcp_f64_e32 v[62:63], v[60:61]
	v_fma_f64 v[66:67], -v[60:61], v[62:63], 1.0
	v_fma_f64 v[62:63], v[62:63], v[66:67], v[62:63]
	v_fma_f64 v[66:67], -v[60:61], v[62:63], 1.0
	v_fma_f64 v[62:63], v[62:63], v[66:67], v[62:63]
	v_mul_f64 v[66:67], v[68:69], v[62:63]
	v_fma_f64 v[60:61], -v[60:61], v[66:67], v[68:69]
	v_div_fmas_f64 v[60:61], v[60:61], v[62:63], v[66:67]
	v_div_fixup_f64 v[62:63], v[60:61], v[58:59], 1.0
	v_mul_f64 v[64:65], v[64:65], -v[62:63]
.LBB21_34:
	s_or_b64 exec, exec, s[2:3]
	ds_write2_b64 v1, v[62:63], v[64:65] offset1:1
.LBB21_35:
	s_or_b64 exec, exec, s[4:5]
	s_waitcnt lgkmcnt(0)
	s_barrier
	ds_read2_b64 v[58:61], v1 offset1:1
	v_cmp_lt_u32_e32 vcc, 3, v0
	s_and_saveexec_b64 s[2:3], vcc
	s_cbranch_execz .LBB21_37
; %bb.36:
	s_waitcnt lgkmcnt(0)
	v_mul_f64 v[62:63], v[58:59], v[32:33]
	v_mul_f64 v[32:33], v[60:61], v[32:33]
	ds_read2_b64 v[64:67], v114 offset0:8 offset1:9
	v_fma_f64 v[62:63], v[60:61], v[30:31], v[62:63]
	v_fma_f64 v[30:31], v[58:59], v[30:31], -v[32:33]
	s_waitcnt lgkmcnt(0)
	v_mul_f64 v[32:33], v[66:67], v[62:63]
	v_fma_f64 v[32:33], v[64:65], v[30:31], -v[32:33]
	v_mul_f64 v[64:65], v[64:65], v[62:63]
	v_add_f64 v[26:27], v[26:27], -v[32:33]
	v_fma_f64 v[64:65], v[66:67], v[30:31], v[64:65]
	v_add_f64 v[28:29], v[28:29], -v[64:65]
	ds_read2_b64 v[64:67], v114 offset0:10 offset1:11
	s_waitcnt lgkmcnt(0)
	v_mul_f64 v[32:33], v[66:67], v[62:63]
	v_fma_f64 v[32:33], v[64:65], v[30:31], -v[32:33]
	v_mul_f64 v[64:65], v[64:65], v[62:63]
	v_add_f64 v[22:23], v[22:23], -v[32:33]
	v_fma_f64 v[64:65], v[66:67], v[30:31], v[64:65]
	v_add_f64 v[24:25], v[24:25], -v[64:65]
	ds_read2_b64 v[64:67], v114 offset0:12 offset1:13
	;; [unrolled: 8-line block ×6, first 2 shown]
	s_waitcnt lgkmcnt(0)
	v_mul_f64 v[32:33], v[66:67], v[62:63]
	v_fma_f64 v[32:33], v[64:65], v[30:31], -v[32:33]
	v_mul_f64 v[64:65], v[64:65], v[62:63]
	v_add_f64 v[10:11], v[10:11], -v[32:33]
	v_fma_f64 v[64:65], v[66:67], v[30:31], v[64:65]
	v_mov_b32_e32 v32, v62
	v_mov_b32_e32 v33, v63
	v_add_f64 v[12:13], v[12:13], -v[64:65]
.LBB21_37:
	s_or_b64 exec, exec, s[2:3]
	v_cmp_eq_u32_e32 vcc, 4, v0
	s_waitcnt lgkmcnt(0)
	s_barrier
	s_and_saveexec_b64 s[4:5], vcc
	s_cbranch_execz .LBB21_44
; %bb.38:
	ds_write2_b64 v1, v[26:27], v[28:29] offset1:1
	ds_write2_b64 v114, v[22:23], v[24:25] offset0:10 offset1:11
	ds_write2_b64 v114, v[18:19], v[20:21] offset0:12 offset1:13
	;; [unrolled: 1-line block ×6, first 2 shown]
	ds_read2_b64 v[62:65], v1 offset1:1
	s_waitcnt lgkmcnt(0)
	v_cmp_neq_f64_e32 vcc, 0, v[62:63]
	v_cmp_neq_f64_e64 s[2:3], 0, v[64:65]
	s_or_b64 s[2:3], vcc, s[2:3]
	s_and_b64 exec, exec, s[2:3]
	s_cbranch_execz .LBB21_44
; %bb.39:
	v_cmp_ngt_f64_e64 s[2:3], |v[62:63]|, |v[64:65]|
                                        ; implicit-def: $vgpr66_vgpr67
	s_and_saveexec_b64 s[6:7], s[2:3]
	s_xor_b64 s[2:3], exec, s[6:7]
                                        ; implicit-def: $vgpr68_vgpr69
	s_cbranch_execz .LBB21_41
; %bb.40:
	v_div_scale_f64 v[66:67], s[6:7], v[64:65], v[64:65], v[62:63]
	v_rcp_f64_e32 v[68:69], v[66:67]
	v_fma_f64 v[70:71], -v[66:67], v[68:69], 1.0
	v_fma_f64 v[68:69], v[68:69], v[70:71], v[68:69]
	v_div_scale_f64 v[70:71], vcc, v[62:63], v[64:65], v[62:63]
	v_fma_f64 v[72:73], -v[66:67], v[68:69], 1.0
	v_fma_f64 v[68:69], v[68:69], v[72:73], v[68:69]
	v_mul_f64 v[72:73], v[70:71], v[68:69]
	v_fma_f64 v[66:67], -v[66:67], v[72:73], v[70:71]
	v_div_fmas_f64 v[66:67], v[66:67], v[68:69], v[72:73]
	v_div_fixup_f64 v[66:67], v[66:67], v[64:65], v[62:63]
	v_fma_f64 v[62:63], v[62:63], v[66:67], v[64:65]
	v_div_scale_f64 v[64:65], s[6:7], v[62:63], v[62:63], 1.0
	v_div_scale_f64 v[72:73], vcc, 1.0, v[62:63], 1.0
	v_rcp_f64_e32 v[68:69], v[64:65]
	v_fma_f64 v[70:71], -v[64:65], v[68:69], 1.0
	v_fma_f64 v[68:69], v[68:69], v[70:71], v[68:69]
	v_fma_f64 v[70:71], -v[64:65], v[68:69], 1.0
	v_fma_f64 v[68:69], v[68:69], v[70:71], v[68:69]
	v_mul_f64 v[70:71], v[72:73], v[68:69]
	v_fma_f64 v[64:65], -v[64:65], v[70:71], v[72:73]
	v_div_fmas_f64 v[64:65], v[64:65], v[68:69], v[70:71]
	v_div_fixup_f64 v[68:69], v[64:65], v[62:63], 1.0
                                        ; implicit-def: $vgpr62_vgpr63
	v_mul_f64 v[66:67], v[66:67], v[68:69]
	v_xor_b32_e32 v69, 0x80000000, v69
.LBB21_41:
	s_andn2_saveexec_b64 s[2:3], s[2:3]
	s_cbranch_execz .LBB21_43
; %bb.42:
	v_div_scale_f64 v[66:67], s[6:7], v[62:63], v[62:63], v[64:65]
	v_rcp_f64_e32 v[68:69], v[66:67]
	v_fma_f64 v[70:71], -v[66:67], v[68:69], 1.0
	v_fma_f64 v[68:69], v[68:69], v[70:71], v[68:69]
	v_div_scale_f64 v[70:71], vcc, v[64:65], v[62:63], v[64:65]
	v_fma_f64 v[72:73], -v[66:67], v[68:69], 1.0
	v_fma_f64 v[68:69], v[68:69], v[72:73], v[68:69]
	v_mul_f64 v[72:73], v[70:71], v[68:69]
	v_fma_f64 v[66:67], -v[66:67], v[72:73], v[70:71]
	v_div_fmas_f64 v[66:67], v[66:67], v[68:69], v[72:73]
	v_div_fixup_f64 v[68:69], v[66:67], v[62:63], v[64:65]
	v_fma_f64 v[62:63], v[64:65], v[68:69], v[62:63]
	v_div_scale_f64 v[64:65], s[6:7], v[62:63], v[62:63], 1.0
	v_div_scale_f64 v[72:73], vcc, 1.0, v[62:63], 1.0
	v_rcp_f64_e32 v[66:67], v[64:65]
	v_fma_f64 v[70:71], -v[64:65], v[66:67], 1.0
	v_fma_f64 v[66:67], v[66:67], v[70:71], v[66:67]
	v_fma_f64 v[70:71], -v[64:65], v[66:67], 1.0
	v_fma_f64 v[66:67], v[66:67], v[70:71], v[66:67]
	v_mul_f64 v[70:71], v[72:73], v[66:67]
	v_fma_f64 v[64:65], -v[64:65], v[70:71], v[72:73]
	v_div_fmas_f64 v[64:65], v[64:65], v[66:67], v[70:71]
	v_div_fixup_f64 v[66:67], v[64:65], v[62:63], 1.0
	v_mul_f64 v[68:69], v[68:69], -v[66:67]
.LBB21_43:
	s_or_b64 exec, exec, s[2:3]
	ds_write2_b64 v1, v[66:67], v[68:69] offset1:1
.LBB21_44:
	s_or_b64 exec, exec, s[4:5]
	s_waitcnt lgkmcnt(0)
	s_barrier
	ds_read2_b64 v[62:65], v1 offset1:1
	v_cmp_lt_u32_e32 vcc, 4, v0
	s_and_saveexec_b64 s[2:3], vcc
	s_cbranch_execz .LBB21_46
; %bb.45:
	s_waitcnt lgkmcnt(0)
	v_mul_f64 v[66:67], v[62:63], v[28:29]
	v_mul_f64 v[28:29], v[64:65], v[28:29]
	ds_read2_b64 v[68:71], v114 offset0:10 offset1:11
	v_fma_f64 v[66:67], v[64:65], v[26:27], v[66:67]
	v_fma_f64 v[26:27], v[62:63], v[26:27], -v[28:29]
	s_waitcnt lgkmcnt(0)
	v_mul_f64 v[28:29], v[70:71], v[66:67]
	v_fma_f64 v[28:29], v[68:69], v[26:27], -v[28:29]
	v_mul_f64 v[68:69], v[68:69], v[66:67]
	v_add_f64 v[22:23], v[22:23], -v[28:29]
	v_fma_f64 v[68:69], v[70:71], v[26:27], v[68:69]
	v_add_f64 v[24:25], v[24:25], -v[68:69]
	ds_read2_b64 v[68:71], v114 offset0:12 offset1:13
	s_waitcnt lgkmcnt(0)
	v_mul_f64 v[28:29], v[70:71], v[66:67]
	v_fma_f64 v[28:29], v[68:69], v[26:27], -v[28:29]
	v_mul_f64 v[68:69], v[68:69], v[66:67]
	v_add_f64 v[18:19], v[18:19], -v[28:29]
	v_fma_f64 v[68:69], v[70:71], v[26:27], v[68:69]
	v_add_f64 v[20:21], v[20:21], -v[68:69]
	ds_read2_b64 v[68:71], v114 offset0:14 offset1:15
	;; [unrolled: 8-line block ×5, first 2 shown]
	s_waitcnt lgkmcnt(0)
	v_mul_f64 v[28:29], v[70:71], v[66:67]
	v_fma_f64 v[28:29], v[68:69], v[26:27], -v[28:29]
	v_mul_f64 v[68:69], v[68:69], v[66:67]
	v_add_f64 v[10:11], v[10:11], -v[28:29]
	v_fma_f64 v[68:69], v[70:71], v[26:27], v[68:69]
	v_mov_b32_e32 v28, v66
	v_mov_b32_e32 v29, v67
	v_add_f64 v[12:13], v[12:13], -v[68:69]
.LBB21_46:
	s_or_b64 exec, exec, s[2:3]
	v_cmp_eq_u32_e32 vcc, 5, v0
	s_waitcnt lgkmcnt(0)
	s_barrier
	s_and_saveexec_b64 s[4:5], vcc
	s_cbranch_execz .LBB21_53
; %bb.47:
	ds_write2_b64 v1, v[22:23], v[24:25] offset1:1
	ds_write2_b64 v114, v[18:19], v[20:21] offset0:12 offset1:13
	ds_write2_b64 v114, v[14:15], v[16:17] offset0:14 offset1:15
	;; [unrolled: 1-line block ×5, first 2 shown]
	ds_read2_b64 v[66:69], v1 offset1:1
	s_waitcnt lgkmcnt(0)
	v_cmp_neq_f64_e32 vcc, 0, v[66:67]
	v_cmp_neq_f64_e64 s[2:3], 0, v[68:69]
	s_or_b64 s[2:3], vcc, s[2:3]
	s_and_b64 exec, exec, s[2:3]
	s_cbranch_execz .LBB21_53
; %bb.48:
	v_cmp_ngt_f64_e64 s[2:3], |v[66:67]|, |v[68:69]|
                                        ; implicit-def: $vgpr70_vgpr71
	s_and_saveexec_b64 s[6:7], s[2:3]
	s_xor_b64 s[2:3], exec, s[6:7]
                                        ; implicit-def: $vgpr72_vgpr73
	s_cbranch_execz .LBB21_50
; %bb.49:
	v_div_scale_f64 v[70:71], s[6:7], v[68:69], v[68:69], v[66:67]
	v_rcp_f64_e32 v[72:73], v[70:71]
	v_fma_f64 v[74:75], -v[70:71], v[72:73], 1.0
	v_fma_f64 v[72:73], v[72:73], v[74:75], v[72:73]
	v_div_scale_f64 v[74:75], vcc, v[66:67], v[68:69], v[66:67]
	v_fma_f64 v[76:77], -v[70:71], v[72:73], 1.0
	v_fma_f64 v[72:73], v[72:73], v[76:77], v[72:73]
	v_mul_f64 v[76:77], v[74:75], v[72:73]
	v_fma_f64 v[70:71], -v[70:71], v[76:77], v[74:75]
	v_div_fmas_f64 v[70:71], v[70:71], v[72:73], v[76:77]
	v_div_fixup_f64 v[70:71], v[70:71], v[68:69], v[66:67]
	v_fma_f64 v[66:67], v[66:67], v[70:71], v[68:69]
	v_div_scale_f64 v[68:69], s[6:7], v[66:67], v[66:67], 1.0
	v_div_scale_f64 v[76:77], vcc, 1.0, v[66:67], 1.0
	v_rcp_f64_e32 v[72:73], v[68:69]
	v_fma_f64 v[74:75], -v[68:69], v[72:73], 1.0
	v_fma_f64 v[72:73], v[72:73], v[74:75], v[72:73]
	v_fma_f64 v[74:75], -v[68:69], v[72:73], 1.0
	v_fma_f64 v[72:73], v[72:73], v[74:75], v[72:73]
	v_mul_f64 v[74:75], v[76:77], v[72:73]
	v_fma_f64 v[68:69], -v[68:69], v[74:75], v[76:77]
	v_div_fmas_f64 v[68:69], v[68:69], v[72:73], v[74:75]
	v_div_fixup_f64 v[72:73], v[68:69], v[66:67], 1.0
                                        ; implicit-def: $vgpr66_vgpr67
	v_mul_f64 v[70:71], v[70:71], v[72:73]
	v_xor_b32_e32 v73, 0x80000000, v73
.LBB21_50:
	s_andn2_saveexec_b64 s[2:3], s[2:3]
	s_cbranch_execz .LBB21_52
; %bb.51:
	v_div_scale_f64 v[70:71], s[6:7], v[66:67], v[66:67], v[68:69]
	v_rcp_f64_e32 v[72:73], v[70:71]
	v_fma_f64 v[74:75], -v[70:71], v[72:73], 1.0
	v_fma_f64 v[72:73], v[72:73], v[74:75], v[72:73]
	v_div_scale_f64 v[74:75], vcc, v[68:69], v[66:67], v[68:69]
	v_fma_f64 v[76:77], -v[70:71], v[72:73], 1.0
	v_fma_f64 v[72:73], v[72:73], v[76:77], v[72:73]
	v_mul_f64 v[76:77], v[74:75], v[72:73]
	v_fma_f64 v[70:71], -v[70:71], v[76:77], v[74:75]
	v_div_fmas_f64 v[70:71], v[70:71], v[72:73], v[76:77]
	v_div_fixup_f64 v[72:73], v[70:71], v[66:67], v[68:69]
	v_fma_f64 v[66:67], v[68:69], v[72:73], v[66:67]
	v_div_scale_f64 v[68:69], s[6:7], v[66:67], v[66:67], 1.0
	v_div_scale_f64 v[76:77], vcc, 1.0, v[66:67], 1.0
	v_rcp_f64_e32 v[70:71], v[68:69]
	v_fma_f64 v[74:75], -v[68:69], v[70:71], 1.0
	v_fma_f64 v[70:71], v[70:71], v[74:75], v[70:71]
	v_fma_f64 v[74:75], -v[68:69], v[70:71], 1.0
	v_fma_f64 v[70:71], v[70:71], v[74:75], v[70:71]
	v_mul_f64 v[74:75], v[76:77], v[70:71]
	v_fma_f64 v[68:69], -v[68:69], v[74:75], v[76:77]
	v_div_fmas_f64 v[68:69], v[68:69], v[70:71], v[74:75]
	v_div_fixup_f64 v[70:71], v[68:69], v[66:67], 1.0
	v_mul_f64 v[72:73], v[72:73], -v[70:71]
.LBB21_52:
	s_or_b64 exec, exec, s[2:3]
	ds_write2_b64 v1, v[70:71], v[72:73] offset1:1
.LBB21_53:
	s_or_b64 exec, exec, s[4:5]
	s_waitcnt lgkmcnt(0)
	s_barrier
	ds_read2_b64 v[66:69], v1 offset1:1
	v_cmp_lt_u32_e32 vcc, 5, v0
	s_and_saveexec_b64 s[2:3], vcc
	s_cbranch_execz .LBB21_55
; %bb.54:
	s_waitcnt lgkmcnt(0)
	v_mul_f64 v[70:71], v[66:67], v[24:25]
	v_mul_f64 v[24:25], v[68:69], v[24:25]
	v_fma_f64 v[74:75], v[68:69], v[22:23], v[70:71]
	ds_read2_b64 v[70:73], v114 offset0:12 offset1:13
	v_fma_f64 v[22:23], v[66:67], v[22:23], -v[24:25]
	s_waitcnt lgkmcnt(0)
	v_mul_f64 v[24:25], v[72:73], v[74:75]
	v_fma_f64 v[24:25], v[70:71], v[22:23], -v[24:25]
	v_mul_f64 v[70:71], v[70:71], v[74:75]
	v_add_f64 v[18:19], v[18:19], -v[24:25]
	v_fma_f64 v[70:71], v[72:73], v[22:23], v[70:71]
	v_add_f64 v[20:21], v[20:21], -v[70:71]
	ds_read2_b64 v[70:73], v114 offset0:14 offset1:15
	s_waitcnt lgkmcnt(0)
	v_mul_f64 v[24:25], v[72:73], v[74:75]
	v_fma_f64 v[24:25], v[70:71], v[22:23], -v[24:25]
	v_mul_f64 v[70:71], v[70:71], v[74:75]
	v_add_f64 v[14:15], v[14:15], -v[24:25]
	v_fma_f64 v[70:71], v[72:73], v[22:23], v[70:71]
	v_add_f64 v[16:17], v[16:17], -v[70:71]
	ds_read2_b64 v[70:73], v114 offset0:16 offset1:17
	;; [unrolled: 8-line block ×4, first 2 shown]
	s_waitcnt lgkmcnt(0)
	v_mul_f64 v[24:25], v[72:73], v[74:75]
	v_fma_f64 v[24:25], v[70:71], v[22:23], -v[24:25]
	v_mul_f64 v[70:71], v[70:71], v[74:75]
	v_add_f64 v[10:11], v[10:11], -v[24:25]
	v_fma_f64 v[70:71], v[72:73], v[22:23], v[70:71]
	v_mov_b32_e32 v24, v74
	v_mov_b32_e32 v25, v75
	v_add_f64 v[12:13], v[12:13], -v[70:71]
.LBB21_55:
	s_or_b64 exec, exec, s[2:3]
	v_cmp_eq_u32_e32 vcc, 6, v0
	s_waitcnt lgkmcnt(0)
	s_barrier
	s_and_saveexec_b64 s[4:5], vcc
	s_cbranch_execz .LBB21_62
; %bb.56:
	ds_write2_b64 v1, v[18:19], v[20:21] offset1:1
	ds_write2_b64 v114, v[14:15], v[16:17] offset0:14 offset1:15
	ds_write2_b64 v114, v[6:7], v[8:9] offset0:16 offset1:17
	;; [unrolled: 1-line block ×4, first 2 shown]
	ds_read2_b64 v[70:73], v1 offset1:1
	s_waitcnt lgkmcnt(0)
	v_cmp_neq_f64_e32 vcc, 0, v[70:71]
	v_cmp_neq_f64_e64 s[2:3], 0, v[72:73]
	s_or_b64 s[2:3], vcc, s[2:3]
	s_and_b64 exec, exec, s[2:3]
	s_cbranch_execz .LBB21_62
; %bb.57:
	v_cmp_ngt_f64_e64 s[2:3], |v[70:71]|, |v[72:73]|
                                        ; implicit-def: $vgpr74_vgpr75
	s_and_saveexec_b64 s[6:7], s[2:3]
	s_xor_b64 s[2:3], exec, s[6:7]
                                        ; implicit-def: $vgpr76_vgpr77
	s_cbranch_execz .LBB21_59
; %bb.58:
	v_div_scale_f64 v[74:75], s[6:7], v[72:73], v[72:73], v[70:71]
	v_rcp_f64_e32 v[76:77], v[74:75]
	v_fma_f64 v[78:79], -v[74:75], v[76:77], 1.0
	v_fma_f64 v[76:77], v[76:77], v[78:79], v[76:77]
	v_div_scale_f64 v[78:79], vcc, v[70:71], v[72:73], v[70:71]
	v_fma_f64 v[80:81], -v[74:75], v[76:77], 1.0
	v_fma_f64 v[76:77], v[76:77], v[80:81], v[76:77]
	v_mul_f64 v[80:81], v[78:79], v[76:77]
	v_fma_f64 v[74:75], -v[74:75], v[80:81], v[78:79]
	v_div_fmas_f64 v[74:75], v[74:75], v[76:77], v[80:81]
	v_div_fixup_f64 v[74:75], v[74:75], v[72:73], v[70:71]
	v_fma_f64 v[70:71], v[70:71], v[74:75], v[72:73]
	v_div_scale_f64 v[72:73], s[6:7], v[70:71], v[70:71], 1.0
	v_div_scale_f64 v[80:81], vcc, 1.0, v[70:71], 1.0
	v_rcp_f64_e32 v[76:77], v[72:73]
	v_fma_f64 v[78:79], -v[72:73], v[76:77], 1.0
	v_fma_f64 v[76:77], v[76:77], v[78:79], v[76:77]
	v_fma_f64 v[78:79], -v[72:73], v[76:77], 1.0
	v_fma_f64 v[76:77], v[76:77], v[78:79], v[76:77]
	v_mul_f64 v[78:79], v[80:81], v[76:77]
	v_fma_f64 v[72:73], -v[72:73], v[78:79], v[80:81]
	v_div_fmas_f64 v[72:73], v[72:73], v[76:77], v[78:79]
	v_div_fixup_f64 v[76:77], v[72:73], v[70:71], 1.0
                                        ; implicit-def: $vgpr70_vgpr71
	v_mul_f64 v[74:75], v[74:75], v[76:77]
	v_xor_b32_e32 v77, 0x80000000, v77
.LBB21_59:
	s_andn2_saveexec_b64 s[2:3], s[2:3]
	s_cbranch_execz .LBB21_61
; %bb.60:
	v_div_scale_f64 v[74:75], s[6:7], v[70:71], v[70:71], v[72:73]
	v_rcp_f64_e32 v[76:77], v[74:75]
	v_fma_f64 v[78:79], -v[74:75], v[76:77], 1.0
	v_fma_f64 v[76:77], v[76:77], v[78:79], v[76:77]
	v_div_scale_f64 v[78:79], vcc, v[72:73], v[70:71], v[72:73]
	v_fma_f64 v[80:81], -v[74:75], v[76:77], 1.0
	v_fma_f64 v[76:77], v[76:77], v[80:81], v[76:77]
	v_mul_f64 v[80:81], v[78:79], v[76:77]
	v_fma_f64 v[74:75], -v[74:75], v[80:81], v[78:79]
	v_div_fmas_f64 v[74:75], v[74:75], v[76:77], v[80:81]
	v_div_fixup_f64 v[76:77], v[74:75], v[70:71], v[72:73]
	v_fma_f64 v[70:71], v[72:73], v[76:77], v[70:71]
	v_div_scale_f64 v[72:73], s[6:7], v[70:71], v[70:71], 1.0
	v_div_scale_f64 v[80:81], vcc, 1.0, v[70:71], 1.0
	v_rcp_f64_e32 v[74:75], v[72:73]
	v_fma_f64 v[78:79], -v[72:73], v[74:75], 1.0
	v_fma_f64 v[74:75], v[74:75], v[78:79], v[74:75]
	v_fma_f64 v[78:79], -v[72:73], v[74:75], 1.0
	v_fma_f64 v[74:75], v[74:75], v[78:79], v[74:75]
	v_mul_f64 v[78:79], v[80:81], v[74:75]
	v_fma_f64 v[72:73], -v[72:73], v[78:79], v[80:81]
	v_div_fmas_f64 v[72:73], v[72:73], v[74:75], v[78:79]
	v_div_fixup_f64 v[74:75], v[72:73], v[70:71], 1.0
	v_mul_f64 v[76:77], v[76:77], -v[74:75]
.LBB21_61:
	s_or_b64 exec, exec, s[2:3]
	ds_write2_b64 v1, v[74:75], v[76:77] offset1:1
.LBB21_62:
	s_or_b64 exec, exec, s[4:5]
	s_waitcnt lgkmcnt(0)
	s_barrier
	ds_read2_b64 v[70:73], v1 offset1:1
	v_cmp_lt_u32_e32 vcc, 6, v0
	s_and_saveexec_b64 s[2:3], vcc
	s_cbranch_execz .LBB21_64
; %bb.63:
	s_waitcnt lgkmcnt(0)
	v_mul_f64 v[74:75], v[70:71], v[20:21]
	v_mul_f64 v[20:21], v[72:73], v[20:21]
	v_fma_f64 v[78:79], v[72:73], v[18:19], v[74:75]
	ds_read2_b64 v[74:77], v114 offset0:14 offset1:15
	v_fma_f64 v[18:19], v[70:71], v[18:19], -v[20:21]
	s_waitcnt lgkmcnt(0)
	v_mul_f64 v[20:21], v[76:77], v[78:79]
	v_fma_f64 v[20:21], v[74:75], v[18:19], -v[20:21]
	v_mul_f64 v[74:75], v[74:75], v[78:79]
	v_add_f64 v[14:15], v[14:15], -v[20:21]
	v_fma_f64 v[74:75], v[76:77], v[18:19], v[74:75]
	v_add_f64 v[16:17], v[16:17], -v[74:75]
	ds_read2_b64 v[74:77], v114 offset0:16 offset1:17
	s_waitcnt lgkmcnt(0)
	v_mul_f64 v[20:21], v[76:77], v[78:79]
	v_fma_f64 v[20:21], v[74:75], v[18:19], -v[20:21]
	v_mul_f64 v[74:75], v[74:75], v[78:79]
	v_add_f64 v[6:7], v[6:7], -v[20:21]
	v_fma_f64 v[74:75], v[76:77], v[18:19], v[74:75]
	v_add_f64 v[8:9], v[8:9], -v[74:75]
	ds_read2_b64 v[74:77], v114 offset0:18 offset1:19
	;; [unrolled: 8-line block ×3, first 2 shown]
	s_waitcnt lgkmcnt(0)
	v_mul_f64 v[20:21], v[76:77], v[78:79]
	v_fma_f64 v[20:21], v[74:75], v[18:19], -v[20:21]
	v_mul_f64 v[74:75], v[74:75], v[78:79]
	v_add_f64 v[10:11], v[10:11], -v[20:21]
	v_fma_f64 v[74:75], v[76:77], v[18:19], v[74:75]
	v_mov_b32_e32 v20, v78
	v_mov_b32_e32 v21, v79
	v_add_f64 v[12:13], v[12:13], -v[74:75]
.LBB21_64:
	s_or_b64 exec, exec, s[2:3]
	v_cmp_eq_u32_e32 vcc, 7, v0
	s_waitcnt lgkmcnt(0)
	s_barrier
	s_and_saveexec_b64 s[4:5], vcc
	s_cbranch_execz .LBB21_71
; %bb.65:
	ds_write2_b64 v1, v[14:15], v[16:17] offset1:1
	ds_write2_b64 v114, v[6:7], v[8:9] offset0:16 offset1:17
	ds_write2_b64 v114, v[2:3], v[4:5] offset0:18 offset1:19
	;; [unrolled: 1-line block ×3, first 2 shown]
	ds_read2_b64 v[74:77], v1 offset1:1
	s_waitcnt lgkmcnt(0)
	v_cmp_neq_f64_e32 vcc, 0, v[74:75]
	v_cmp_neq_f64_e64 s[2:3], 0, v[76:77]
	s_or_b64 s[2:3], vcc, s[2:3]
	s_and_b64 exec, exec, s[2:3]
	s_cbranch_execz .LBB21_71
; %bb.66:
	v_cmp_ngt_f64_e64 s[2:3], |v[74:75]|, |v[76:77]|
                                        ; implicit-def: $vgpr78_vgpr79
	s_and_saveexec_b64 s[6:7], s[2:3]
	s_xor_b64 s[2:3], exec, s[6:7]
                                        ; implicit-def: $vgpr80_vgpr81
	s_cbranch_execz .LBB21_68
; %bb.67:
	v_div_scale_f64 v[78:79], s[6:7], v[76:77], v[76:77], v[74:75]
	v_rcp_f64_e32 v[80:81], v[78:79]
	v_fma_f64 v[82:83], -v[78:79], v[80:81], 1.0
	v_fma_f64 v[80:81], v[80:81], v[82:83], v[80:81]
	v_div_scale_f64 v[82:83], vcc, v[74:75], v[76:77], v[74:75]
	v_fma_f64 v[84:85], -v[78:79], v[80:81], 1.0
	v_fma_f64 v[80:81], v[80:81], v[84:85], v[80:81]
	v_mul_f64 v[84:85], v[82:83], v[80:81]
	v_fma_f64 v[78:79], -v[78:79], v[84:85], v[82:83]
	v_div_fmas_f64 v[78:79], v[78:79], v[80:81], v[84:85]
	v_div_fixup_f64 v[78:79], v[78:79], v[76:77], v[74:75]
	v_fma_f64 v[74:75], v[74:75], v[78:79], v[76:77]
	v_div_scale_f64 v[76:77], s[6:7], v[74:75], v[74:75], 1.0
	v_div_scale_f64 v[84:85], vcc, 1.0, v[74:75], 1.0
	v_rcp_f64_e32 v[80:81], v[76:77]
	v_fma_f64 v[82:83], -v[76:77], v[80:81], 1.0
	v_fma_f64 v[80:81], v[80:81], v[82:83], v[80:81]
	v_fma_f64 v[82:83], -v[76:77], v[80:81], 1.0
	v_fma_f64 v[80:81], v[80:81], v[82:83], v[80:81]
	v_mul_f64 v[82:83], v[84:85], v[80:81]
	v_fma_f64 v[76:77], -v[76:77], v[82:83], v[84:85]
	v_div_fmas_f64 v[76:77], v[76:77], v[80:81], v[82:83]
	v_div_fixup_f64 v[80:81], v[76:77], v[74:75], 1.0
                                        ; implicit-def: $vgpr74_vgpr75
	v_mul_f64 v[78:79], v[78:79], v[80:81]
	v_xor_b32_e32 v81, 0x80000000, v81
.LBB21_68:
	s_andn2_saveexec_b64 s[2:3], s[2:3]
	s_cbranch_execz .LBB21_70
; %bb.69:
	v_div_scale_f64 v[78:79], s[6:7], v[74:75], v[74:75], v[76:77]
	v_rcp_f64_e32 v[80:81], v[78:79]
	v_fma_f64 v[82:83], -v[78:79], v[80:81], 1.0
	v_fma_f64 v[80:81], v[80:81], v[82:83], v[80:81]
	v_div_scale_f64 v[82:83], vcc, v[76:77], v[74:75], v[76:77]
	v_fma_f64 v[84:85], -v[78:79], v[80:81], 1.0
	v_fma_f64 v[80:81], v[80:81], v[84:85], v[80:81]
	v_mul_f64 v[84:85], v[82:83], v[80:81]
	v_fma_f64 v[78:79], -v[78:79], v[84:85], v[82:83]
	v_div_fmas_f64 v[78:79], v[78:79], v[80:81], v[84:85]
	v_div_fixup_f64 v[80:81], v[78:79], v[74:75], v[76:77]
	v_fma_f64 v[74:75], v[76:77], v[80:81], v[74:75]
	v_div_scale_f64 v[76:77], s[6:7], v[74:75], v[74:75], 1.0
	v_div_scale_f64 v[84:85], vcc, 1.0, v[74:75], 1.0
	v_rcp_f64_e32 v[78:79], v[76:77]
	v_fma_f64 v[82:83], -v[76:77], v[78:79], 1.0
	v_fma_f64 v[78:79], v[78:79], v[82:83], v[78:79]
	v_fma_f64 v[82:83], -v[76:77], v[78:79], 1.0
	v_fma_f64 v[78:79], v[78:79], v[82:83], v[78:79]
	v_mul_f64 v[82:83], v[84:85], v[78:79]
	v_fma_f64 v[76:77], -v[76:77], v[82:83], v[84:85]
	v_div_fmas_f64 v[76:77], v[76:77], v[78:79], v[82:83]
	v_div_fixup_f64 v[78:79], v[76:77], v[74:75], 1.0
	v_mul_f64 v[80:81], v[80:81], -v[78:79]
.LBB21_70:
	s_or_b64 exec, exec, s[2:3]
	ds_write2_b64 v1, v[78:79], v[80:81] offset1:1
.LBB21_71:
	s_or_b64 exec, exec, s[4:5]
	s_waitcnt lgkmcnt(0)
	s_barrier
	ds_read2_b64 v[74:77], v1 offset1:1
	v_cmp_lt_u32_e32 vcc, 7, v0
	s_and_saveexec_b64 s[2:3], vcc
	s_cbranch_execz .LBB21_73
; %bb.72:
	s_waitcnt lgkmcnt(0)
	v_mul_f64 v[78:79], v[74:75], v[16:17]
	v_mul_f64 v[16:17], v[76:77], v[16:17]
	v_fma_f64 v[82:83], v[76:77], v[14:15], v[78:79]
	ds_read2_b64 v[78:81], v114 offset0:16 offset1:17
	v_fma_f64 v[14:15], v[74:75], v[14:15], -v[16:17]
	s_waitcnt lgkmcnt(0)
	v_mul_f64 v[16:17], v[80:81], v[82:83]
	v_fma_f64 v[16:17], v[78:79], v[14:15], -v[16:17]
	v_mul_f64 v[78:79], v[78:79], v[82:83]
	v_add_f64 v[6:7], v[6:7], -v[16:17]
	v_fma_f64 v[78:79], v[80:81], v[14:15], v[78:79]
	v_add_f64 v[8:9], v[8:9], -v[78:79]
	ds_read2_b64 v[78:81], v114 offset0:18 offset1:19
	s_waitcnt lgkmcnt(0)
	v_mul_f64 v[16:17], v[80:81], v[82:83]
	v_fma_f64 v[16:17], v[78:79], v[14:15], -v[16:17]
	v_mul_f64 v[78:79], v[78:79], v[82:83]
	v_add_f64 v[2:3], v[2:3], -v[16:17]
	v_fma_f64 v[78:79], v[80:81], v[14:15], v[78:79]
	v_add_f64 v[4:5], v[4:5], -v[78:79]
	ds_read2_b64 v[78:81], v114 offset0:20 offset1:21
	s_waitcnt lgkmcnt(0)
	v_mul_f64 v[16:17], v[80:81], v[82:83]
	v_fma_f64 v[16:17], v[78:79], v[14:15], -v[16:17]
	v_mul_f64 v[78:79], v[78:79], v[82:83]
	v_add_f64 v[10:11], v[10:11], -v[16:17]
	v_fma_f64 v[78:79], v[80:81], v[14:15], v[78:79]
	v_mov_b32_e32 v16, v82
	v_mov_b32_e32 v17, v83
	v_add_f64 v[12:13], v[12:13], -v[78:79]
.LBB21_73:
	s_or_b64 exec, exec, s[2:3]
	v_cmp_eq_u32_e32 vcc, 8, v0
	s_waitcnt lgkmcnt(0)
	s_barrier
	s_and_saveexec_b64 s[4:5], vcc
	s_cbranch_execz .LBB21_80
; %bb.74:
	ds_write2_b64 v1, v[6:7], v[8:9] offset1:1
	ds_write2_b64 v114, v[2:3], v[4:5] offset0:18 offset1:19
	ds_write2_b64 v114, v[10:11], v[12:13] offset0:20 offset1:21
	ds_read2_b64 v[78:81], v1 offset1:1
	s_waitcnt lgkmcnt(0)
	v_cmp_neq_f64_e32 vcc, 0, v[78:79]
	v_cmp_neq_f64_e64 s[2:3], 0, v[80:81]
	s_or_b64 s[2:3], vcc, s[2:3]
	s_and_b64 exec, exec, s[2:3]
	s_cbranch_execz .LBB21_80
; %bb.75:
	v_cmp_ngt_f64_e64 s[2:3], |v[78:79]|, |v[80:81]|
                                        ; implicit-def: $vgpr82_vgpr83
	s_and_saveexec_b64 s[6:7], s[2:3]
	s_xor_b64 s[2:3], exec, s[6:7]
                                        ; implicit-def: $vgpr84_vgpr85
	s_cbranch_execz .LBB21_77
; %bb.76:
	v_div_scale_f64 v[82:83], s[6:7], v[80:81], v[80:81], v[78:79]
	v_rcp_f64_e32 v[84:85], v[82:83]
	v_fma_f64 v[86:87], -v[82:83], v[84:85], 1.0
	v_fma_f64 v[84:85], v[84:85], v[86:87], v[84:85]
	v_div_scale_f64 v[86:87], vcc, v[78:79], v[80:81], v[78:79]
	v_fma_f64 v[88:89], -v[82:83], v[84:85], 1.0
	v_fma_f64 v[84:85], v[84:85], v[88:89], v[84:85]
	v_mul_f64 v[88:89], v[86:87], v[84:85]
	v_fma_f64 v[82:83], -v[82:83], v[88:89], v[86:87]
	v_div_fmas_f64 v[82:83], v[82:83], v[84:85], v[88:89]
	v_div_fixup_f64 v[82:83], v[82:83], v[80:81], v[78:79]
	v_fma_f64 v[78:79], v[78:79], v[82:83], v[80:81]
	v_div_scale_f64 v[80:81], s[6:7], v[78:79], v[78:79], 1.0
	v_div_scale_f64 v[88:89], vcc, 1.0, v[78:79], 1.0
	v_rcp_f64_e32 v[84:85], v[80:81]
	v_fma_f64 v[86:87], -v[80:81], v[84:85], 1.0
	v_fma_f64 v[84:85], v[84:85], v[86:87], v[84:85]
	v_fma_f64 v[86:87], -v[80:81], v[84:85], 1.0
	v_fma_f64 v[84:85], v[84:85], v[86:87], v[84:85]
	v_mul_f64 v[86:87], v[88:89], v[84:85]
	v_fma_f64 v[80:81], -v[80:81], v[86:87], v[88:89]
	v_div_fmas_f64 v[80:81], v[80:81], v[84:85], v[86:87]
	v_div_fixup_f64 v[84:85], v[80:81], v[78:79], 1.0
                                        ; implicit-def: $vgpr78_vgpr79
	v_mul_f64 v[82:83], v[82:83], v[84:85]
	v_xor_b32_e32 v85, 0x80000000, v85
.LBB21_77:
	s_andn2_saveexec_b64 s[2:3], s[2:3]
	s_cbranch_execz .LBB21_79
; %bb.78:
	v_div_scale_f64 v[82:83], s[6:7], v[78:79], v[78:79], v[80:81]
	v_rcp_f64_e32 v[84:85], v[82:83]
	v_fma_f64 v[86:87], -v[82:83], v[84:85], 1.0
	v_fma_f64 v[84:85], v[84:85], v[86:87], v[84:85]
	v_div_scale_f64 v[86:87], vcc, v[80:81], v[78:79], v[80:81]
	v_fma_f64 v[88:89], -v[82:83], v[84:85], 1.0
	v_fma_f64 v[84:85], v[84:85], v[88:89], v[84:85]
	v_mul_f64 v[88:89], v[86:87], v[84:85]
	v_fma_f64 v[82:83], -v[82:83], v[88:89], v[86:87]
	v_div_fmas_f64 v[82:83], v[82:83], v[84:85], v[88:89]
	v_div_fixup_f64 v[84:85], v[82:83], v[78:79], v[80:81]
	v_fma_f64 v[78:79], v[80:81], v[84:85], v[78:79]
	v_div_scale_f64 v[80:81], s[6:7], v[78:79], v[78:79], 1.0
	v_div_scale_f64 v[88:89], vcc, 1.0, v[78:79], 1.0
	v_rcp_f64_e32 v[82:83], v[80:81]
	v_fma_f64 v[86:87], -v[80:81], v[82:83], 1.0
	v_fma_f64 v[82:83], v[82:83], v[86:87], v[82:83]
	v_fma_f64 v[86:87], -v[80:81], v[82:83], 1.0
	v_fma_f64 v[82:83], v[82:83], v[86:87], v[82:83]
	v_mul_f64 v[86:87], v[88:89], v[82:83]
	v_fma_f64 v[80:81], -v[80:81], v[86:87], v[88:89]
	v_div_fmas_f64 v[80:81], v[80:81], v[82:83], v[86:87]
	v_div_fixup_f64 v[82:83], v[80:81], v[78:79], 1.0
	v_mul_f64 v[84:85], v[84:85], -v[82:83]
.LBB21_79:
	s_or_b64 exec, exec, s[2:3]
	ds_write2_b64 v1, v[82:83], v[84:85] offset1:1
.LBB21_80:
	s_or_b64 exec, exec, s[4:5]
	s_waitcnt lgkmcnt(0)
	s_barrier
	ds_read2_b64 v[78:81], v1 offset1:1
	v_cmp_lt_u32_e32 vcc, 8, v0
	s_and_saveexec_b64 s[2:3], vcc
	s_cbranch_execz .LBB21_82
; %bb.81:
	s_waitcnt lgkmcnt(0)
	v_mul_f64 v[82:83], v[78:79], v[8:9]
	v_mul_f64 v[8:9], v[80:81], v[8:9]
	v_fma_f64 v[115:116], v[80:81], v[6:7], v[82:83]
	ds_read2_b64 v[82:85], v114 offset0:18 offset1:19
	ds_read2_b64 v[86:89], v114 offset0:20 offset1:21
	v_fma_f64 v[6:7], v[78:79], v[6:7], -v[8:9]
	s_waitcnt lgkmcnt(1)
	v_mul_f64 v[8:9], v[84:85], v[115:116]
	v_mul_f64 v[117:118], v[82:83], v[115:116]
	s_waitcnt lgkmcnt(0)
	v_mul_f64 v[119:120], v[88:89], v[115:116]
	v_mul_f64 v[121:122], v[86:87], v[115:116]
	v_fma_f64 v[8:9], v[82:83], v[6:7], -v[8:9]
	v_fma_f64 v[82:83], v[84:85], v[6:7], v[117:118]
	v_fma_f64 v[84:85], v[86:87], v[6:7], -v[119:120]
	v_fma_f64 v[86:87], v[88:89], v[6:7], v[121:122]
	v_add_f64 v[2:3], v[2:3], -v[8:9]
	v_add_f64 v[4:5], v[4:5], -v[82:83]
	;; [unrolled: 1-line block ×4, first 2 shown]
	v_mov_b32_e32 v8, v115
	v_mov_b32_e32 v9, v116
.LBB21_82:
	s_or_b64 exec, exec, s[2:3]
	v_cmp_eq_u32_e32 vcc, 9, v0
	s_waitcnt lgkmcnt(0)
	s_barrier
	s_and_saveexec_b64 s[4:5], vcc
	s_cbranch_execz .LBB21_89
; %bb.83:
	ds_write2_b64 v1, v[2:3], v[4:5] offset1:1
	ds_write2_b64 v114, v[10:11], v[12:13] offset0:20 offset1:21
	ds_read2_b64 v[82:85], v1 offset1:1
	s_waitcnt lgkmcnt(0)
	v_cmp_neq_f64_e32 vcc, 0, v[82:83]
	v_cmp_neq_f64_e64 s[2:3], 0, v[84:85]
	s_or_b64 s[2:3], vcc, s[2:3]
	s_and_b64 exec, exec, s[2:3]
	s_cbranch_execz .LBB21_89
; %bb.84:
	v_cmp_ngt_f64_e64 s[2:3], |v[82:83]|, |v[84:85]|
                                        ; implicit-def: $vgpr86_vgpr87
	s_and_saveexec_b64 s[6:7], s[2:3]
	s_xor_b64 s[2:3], exec, s[6:7]
                                        ; implicit-def: $vgpr88_vgpr89
	s_cbranch_execz .LBB21_86
; %bb.85:
	v_div_scale_f64 v[86:87], s[6:7], v[84:85], v[84:85], v[82:83]
	v_rcp_f64_e32 v[88:89], v[86:87]
	v_fma_f64 v[115:116], -v[86:87], v[88:89], 1.0
	v_fma_f64 v[88:89], v[88:89], v[115:116], v[88:89]
	v_div_scale_f64 v[115:116], vcc, v[82:83], v[84:85], v[82:83]
	v_fma_f64 v[117:118], -v[86:87], v[88:89], 1.0
	v_fma_f64 v[88:89], v[88:89], v[117:118], v[88:89]
	v_mul_f64 v[117:118], v[115:116], v[88:89]
	v_fma_f64 v[86:87], -v[86:87], v[117:118], v[115:116]
	v_div_fmas_f64 v[86:87], v[86:87], v[88:89], v[117:118]
	v_div_fixup_f64 v[86:87], v[86:87], v[84:85], v[82:83]
	v_fma_f64 v[82:83], v[82:83], v[86:87], v[84:85]
	v_div_scale_f64 v[84:85], s[6:7], v[82:83], v[82:83], 1.0
	v_div_scale_f64 v[117:118], vcc, 1.0, v[82:83], 1.0
	v_rcp_f64_e32 v[88:89], v[84:85]
	v_fma_f64 v[115:116], -v[84:85], v[88:89], 1.0
	v_fma_f64 v[88:89], v[88:89], v[115:116], v[88:89]
	v_fma_f64 v[115:116], -v[84:85], v[88:89], 1.0
	v_fma_f64 v[88:89], v[88:89], v[115:116], v[88:89]
	v_mul_f64 v[115:116], v[117:118], v[88:89]
	v_fma_f64 v[84:85], -v[84:85], v[115:116], v[117:118]
	v_div_fmas_f64 v[84:85], v[84:85], v[88:89], v[115:116]
	v_div_fixup_f64 v[88:89], v[84:85], v[82:83], 1.0
                                        ; implicit-def: $vgpr82_vgpr83
	v_mul_f64 v[86:87], v[86:87], v[88:89]
	v_xor_b32_e32 v89, 0x80000000, v89
.LBB21_86:
	s_andn2_saveexec_b64 s[2:3], s[2:3]
	s_cbranch_execz .LBB21_88
; %bb.87:
	v_div_scale_f64 v[86:87], s[6:7], v[82:83], v[82:83], v[84:85]
	v_rcp_f64_e32 v[88:89], v[86:87]
	v_fma_f64 v[115:116], -v[86:87], v[88:89], 1.0
	v_fma_f64 v[88:89], v[88:89], v[115:116], v[88:89]
	v_div_scale_f64 v[115:116], vcc, v[84:85], v[82:83], v[84:85]
	v_fma_f64 v[117:118], -v[86:87], v[88:89], 1.0
	v_fma_f64 v[88:89], v[88:89], v[117:118], v[88:89]
	v_mul_f64 v[117:118], v[115:116], v[88:89]
	v_fma_f64 v[86:87], -v[86:87], v[117:118], v[115:116]
	v_div_fmas_f64 v[86:87], v[86:87], v[88:89], v[117:118]
	v_div_fixup_f64 v[88:89], v[86:87], v[82:83], v[84:85]
	v_fma_f64 v[82:83], v[84:85], v[88:89], v[82:83]
	v_div_scale_f64 v[84:85], s[6:7], v[82:83], v[82:83], 1.0
	v_div_scale_f64 v[117:118], vcc, 1.0, v[82:83], 1.0
	v_rcp_f64_e32 v[86:87], v[84:85]
	v_fma_f64 v[115:116], -v[84:85], v[86:87], 1.0
	v_fma_f64 v[86:87], v[86:87], v[115:116], v[86:87]
	v_fma_f64 v[115:116], -v[84:85], v[86:87], 1.0
	v_fma_f64 v[86:87], v[86:87], v[115:116], v[86:87]
	v_mul_f64 v[115:116], v[117:118], v[86:87]
	v_fma_f64 v[84:85], -v[84:85], v[115:116], v[117:118]
	v_div_fmas_f64 v[84:85], v[84:85], v[86:87], v[115:116]
	v_div_fixup_f64 v[86:87], v[84:85], v[82:83], 1.0
	v_mul_f64 v[88:89], v[88:89], -v[86:87]
.LBB21_88:
	s_or_b64 exec, exec, s[2:3]
	ds_write2_b64 v1, v[86:87], v[88:89] offset1:1
.LBB21_89:
	s_or_b64 exec, exec, s[4:5]
	s_waitcnt lgkmcnt(0)
	s_barrier
	ds_read2_b64 v[82:85], v1 offset1:1
	v_cmp_lt_u32_e32 vcc, 9, v0
	s_and_saveexec_b64 s[2:3], vcc
	s_cbranch_execz .LBB21_91
; %bb.90:
	s_waitcnt lgkmcnt(0)
	v_mul_f64 v[86:87], v[82:83], v[4:5]
	v_mul_f64 v[4:5], v[84:85], v[4:5]
	v_fma_f64 v[115:116], v[84:85], v[2:3], v[86:87]
	ds_read2_b64 v[86:89], v114 offset0:20 offset1:21
	v_fma_f64 v[2:3], v[82:83], v[2:3], -v[4:5]
	s_waitcnt lgkmcnt(0)
	v_mul_f64 v[4:5], v[88:89], v[115:116]
	v_mul_f64 v[117:118], v[86:87], v[115:116]
	v_fma_f64 v[4:5], v[86:87], v[2:3], -v[4:5]
	v_fma_f64 v[86:87], v[88:89], v[2:3], v[117:118]
	v_add_f64 v[10:11], v[10:11], -v[4:5]
	v_add_f64 v[12:13], v[12:13], -v[86:87]
	v_mov_b32_e32 v4, v115
	v_mov_b32_e32 v5, v116
.LBB21_91:
	s_or_b64 exec, exec, s[2:3]
	v_cmp_eq_u32_e32 vcc, 10, v0
	s_waitcnt lgkmcnt(0)
	s_barrier
	s_and_saveexec_b64 s[4:5], vcc
	s_cbranch_execz .LBB21_98
; %bb.92:
	v_cmp_neq_f64_e32 vcc, 0, v[10:11]
	v_cmp_neq_f64_e64 s[2:3], 0, v[12:13]
	ds_write2_b64 v1, v[10:11], v[12:13] offset1:1
	s_or_b64 s[2:3], vcc, s[2:3]
	s_and_b64 exec, exec, s[2:3]
	s_cbranch_execz .LBB21_98
; %bb.93:
	v_cmp_ngt_f64_e64 s[2:3], |v[10:11]|, |v[12:13]|
                                        ; implicit-def: $vgpr86_vgpr87
	s_and_saveexec_b64 s[6:7], s[2:3]
	s_xor_b64 s[2:3], exec, s[6:7]
                                        ; implicit-def: $vgpr88_vgpr89
	s_cbranch_execz .LBB21_95
; %bb.94:
	v_div_scale_f64 v[86:87], s[6:7], v[12:13], v[12:13], v[10:11]
	v_rcp_f64_e32 v[88:89], v[86:87]
	v_fma_f64 v[114:115], -v[86:87], v[88:89], 1.0
	v_fma_f64 v[88:89], v[88:89], v[114:115], v[88:89]
	v_div_scale_f64 v[114:115], vcc, v[10:11], v[12:13], v[10:11]
	v_fma_f64 v[116:117], -v[86:87], v[88:89], 1.0
	v_fma_f64 v[88:89], v[88:89], v[116:117], v[88:89]
	v_mul_f64 v[116:117], v[114:115], v[88:89]
	v_fma_f64 v[86:87], -v[86:87], v[116:117], v[114:115]
	v_div_fmas_f64 v[86:87], v[86:87], v[88:89], v[116:117]
	v_div_fixup_f64 v[86:87], v[86:87], v[12:13], v[10:11]
	v_fma_f64 v[88:89], v[10:11], v[86:87], v[12:13]
	v_div_scale_f64 v[114:115], s[6:7], v[88:89], v[88:89], 1.0
	v_div_scale_f64 v[120:121], vcc, 1.0, v[88:89], 1.0
	v_rcp_f64_e32 v[116:117], v[114:115]
	v_fma_f64 v[118:119], -v[114:115], v[116:117], 1.0
	v_fma_f64 v[116:117], v[116:117], v[118:119], v[116:117]
	v_fma_f64 v[118:119], -v[114:115], v[116:117], 1.0
	v_fma_f64 v[116:117], v[116:117], v[118:119], v[116:117]
	v_mul_f64 v[118:119], v[120:121], v[116:117]
	v_fma_f64 v[114:115], -v[114:115], v[118:119], v[120:121]
	v_div_fmas_f64 v[114:115], v[114:115], v[116:117], v[118:119]
	v_div_fixup_f64 v[88:89], v[114:115], v[88:89], 1.0
	v_mul_f64 v[86:87], v[86:87], v[88:89]
	v_xor_b32_e32 v89, 0x80000000, v89
.LBB21_95:
	s_andn2_saveexec_b64 s[2:3], s[2:3]
	s_cbranch_execz .LBB21_97
; %bb.96:
	v_div_scale_f64 v[86:87], s[6:7], v[10:11], v[10:11], v[12:13]
	v_rcp_f64_e32 v[88:89], v[86:87]
	v_fma_f64 v[114:115], -v[86:87], v[88:89], 1.0
	v_fma_f64 v[88:89], v[88:89], v[114:115], v[88:89]
	v_div_scale_f64 v[114:115], vcc, v[12:13], v[10:11], v[12:13]
	v_fma_f64 v[116:117], -v[86:87], v[88:89], 1.0
	v_fma_f64 v[88:89], v[88:89], v[116:117], v[88:89]
	v_mul_f64 v[116:117], v[114:115], v[88:89]
	v_fma_f64 v[86:87], -v[86:87], v[116:117], v[114:115]
	v_div_fmas_f64 v[86:87], v[86:87], v[88:89], v[116:117]
	v_div_fixup_f64 v[88:89], v[86:87], v[10:11], v[12:13]
	v_fma_f64 v[86:87], v[12:13], v[88:89], v[10:11]
	v_div_scale_f64 v[114:115], s[6:7], v[86:87], v[86:87], 1.0
	v_div_scale_f64 v[120:121], vcc, 1.0, v[86:87], 1.0
	v_rcp_f64_e32 v[116:117], v[114:115]
	v_fma_f64 v[118:119], -v[114:115], v[116:117], 1.0
	v_fma_f64 v[116:117], v[116:117], v[118:119], v[116:117]
	v_fma_f64 v[118:119], -v[114:115], v[116:117], 1.0
	v_fma_f64 v[116:117], v[116:117], v[118:119], v[116:117]
	v_mul_f64 v[118:119], v[120:121], v[116:117]
	v_fma_f64 v[114:115], -v[114:115], v[118:119], v[120:121]
	v_div_fmas_f64 v[114:115], v[114:115], v[116:117], v[118:119]
	v_div_fixup_f64 v[86:87], v[114:115], v[86:87], 1.0
	v_mul_f64 v[88:89], v[88:89], -v[86:87]
.LBB21_97:
	s_or_b64 exec, exec, s[2:3]
	ds_write2_b64 v1, v[86:87], v[88:89] offset1:1
.LBB21_98:
	s_or_b64 exec, exec, s[4:5]
	s_waitcnt lgkmcnt(0)
	s_barrier
	ds_read2_b64 v[86:89], v1 offset1:1
	s_waitcnt lgkmcnt(0)
	s_barrier
	s_and_saveexec_b64 s[46:47], s[0:1]
	s_cbranch_execz .LBB21_101
; %bb.99:
	v_lshlrev_b64 v[98:99], 2, v[98:99]
	v_mov_b32_e32 v1, s11
	v_add_co_u32_e32 v98, vcc, s10, v98
	v_addc_co_u32_e32 v99, vcc, v1, v99, vcc
	global_load_dword v114, v[98:99], off
	v_cmp_eq_f64_e32 vcc, 0, v[46:47]
	v_cmp_eq_f64_e64 s[0:1], 0, v[48:49]
	v_cmp_neq_f64_e64 s[2:3], 0, v[50:51]
	v_cmp_neq_f64_e64 s[4:5], 0, v[52:53]
	v_cmp_eq_f64_e64 s[6:7], 0, v[54:55]
	v_cmp_eq_f64_e64 s[8:9], 0, v[56:57]
	;; [unrolled: 1-line block ×5, first 2 shown]
	s_and_b64 s[0:1], vcc, s[0:1]
	v_cmp_eq_f64_e64 s[16:17], 0, v[64:65]
	s_or_b64 s[2:3], s[2:3], s[4:5]
	v_cndmask_b32_e64 v1, 0, 1, s[0:1]
	s_or_b64 vcc, s[2:3], s[0:1]
	v_cndmask_b32_e32 v1, 2, v1, vcc
	s_and_b64 s[4:5], s[6:7], s[8:9]
	v_cmp_eq_u32_e32 vcc, 0, v1
	v_cmp_eq_f64_e64 s[18:19], 0, v[66:67]
	v_cmp_eq_f64_e64 s[20:21], 0, v[68:69]
	s_and_b64 s[0:1], s[4:5], vcc
	v_cndmask_b32_e64 v1, v1, 3, s[0:1]
	s_and_b64 s[6:7], s[10:11], s[12:13]
	v_cmp_eq_u32_e32 vcc, 0, v1
	v_cmp_eq_f64_e64 s[22:23], 0, v[70:71]
	v_cmp_eq_f64_e64 s[24:25], 0, v[72:73]
	s_and_b64 s[0:1], s[6:7], vcc
	v_cndmask_b32_e64 v1, v1, 4, s[0:1]
	;; [unrolled: 6-line block ×6, first 2 shown]
	s_and_b64 s[16:17], s[30:31], s[34:35]
	v_cmp_eq_u32_e32 vcc, 0, v1
	s_and_b64 s[0:1], s[16:17], vcc
	v_cndmask_b32_e64 v1, v1, 9, s[0:1]
	s_and_b64 s[18:19], s[36:37], s[38:39]
	v_cmp_eq_u32_e32 vcc, 0, v1
	s_and_b64 s[0:1], s[18:19], vcc
	v_cndmask_b32_e64 v1, v1, 10, s[0:1]
	;; [unrolled: 4-line block ×3, first 2 shown]
	v_cmp_ne_u32_e64 s[0:1], 0, v1
	s_waitcnt vmcnt(0)
	v_cmp_eq_u32_e32 vcc, 0, v114
	s_and_b64 s[0:1], vcc, s[0:1]
	s_and_b64 exec, exec, s[0:1]
	s_cbranch_execz .LBB21_101
; %bb.100:
	v_add_u32_e32 v1, s45, v1
	global_store_dword v[98:99], v1, off
.LBB21_101:
	s_or_b64 exec, exec, s[46:47]
	v_mul_f64 v[46:47], v[86:87], v[12:13]
	v_mul_f64 v[48:49], v[88:89], v[12:13]
	global_store_dwordx4 v[110:111], v[42:45], off
	global_store_dwordx4 v[112:113], v[38:41], off
	;; [unrolled: 1-line block ×4, first 2 shown]
	v_cmp_lt_u32_e32 vcc, 10, v0
	global_store_dwordx4 v[94:95], v[26:29], off
	global_store_dwordx4 v[96:97], v[22:25], off
	;; [unrolled: 1-line block ×4, first 2 shown]
	v_fma_f64 v[34:35], v[88:89], v[10:11], v[46:47]
	v_fma_f64 v[30:31], v[86:87], v[10:11], -v[48:49]
	v_cndmask_b32_e32 v13, v13, v35, vcc
	v_cndmask_b32_e32 v12, v12, v34, vcc
	;; [unrolled: 1-line block ×4, first 2 shown]
	global_store_dwordx4 v[104:105], v[6:9], off
	global_store_dwordx4 v[106:107], v[2:5], off
	global_store_dwordx4 v[108:109], v[10:13], off
.LBB21_102:
	s_endpgm
	.section	.rodata,"a",@progbits
	.p2align	6, 0x0
	.amdhsa_kernel _ZN9rocsolver6v33100L23getf2_npvt_small_kernelILi11E19rocblas_complex_numIdEiiPS3_EEvT1_T3_lS5_lPT2_S5_S5_
		.amdhsa_group_segment_fixed_size 0
		.amdhsa_private_segment_fixed_size 0
		.amdhsa_kernarg_size 312
		.amdhsa_user_sgpr_count 6
		.amdhsa_user_sgpr_private_segment_buffer 1
		.amdhsa_user_sgpr_dispatch_ptr 0
		.amdhsa_user_sgpr_queue_ptr 0
		.amdhsa_user_sgpr_kernarg_segment_ptr 1
		.amdhsa_user_sgpr_dispatch_id 0
		.amdhsa_user_sgpr_flat_scratch_init 0
		.amdhsa_user_sgpr_private_segment_size 0
		.amdhsa_uses_dynamic_stack 0
		.amdhsa_system_sgpr_private_segment_wavefront_offset 0
		.amdhsa_system_sgpr_workgroup_id_x 1
		.amdhsa_system_sgpr_workgroup_id_y 1
		.amdhsa_system_sgpr_workgroup_id_z 0
		.amdhsa_system_sgpr_workgroup_info 0
		.amdhsa_system_vgpr_workitem_id 1
		.amdhsa_next_free_vgpr 123
		.amdhsa_next_free_sgpr 48
		.amdhsa_reserve_vcc 1
		.amdhsa_reserve_flat_scratch 0
		.amdhsa_float_round_mode_32 0
		.amdhsa_float_round_mode_16_64 0
		.amdhsa_float_denorm_mode_32 3
		.amdhsa_float_denorm_mode_16_64 3
		.amdhsa_dx10_clamp 1
		.amdhsa_ieee_mode 1
		.amdhsa_fp16_overflow 0
		.amdhsa_exception_fp_ieee_invalid_op 0
		.amdhsa_exception_fp_denorm_src 0
		.amdhsa_exception_fp_ieee_div_zero 0
		.amdhsa_exception_fp_ieee_overflow 0
		.amdhsa_exception_fp_ieee_underflow 0
		.amdhsa_exception_fp_ieee_inexact 0
		.amdhsa_exception_int_div_zero 0
	.end_amdhsa_kernel
	.section	.text._ZN9rocsolver6v33100L23getf2_npvt_small_kernelILi11E19rocblas_complex_numIdEiiPS3_EEvT1_T3_lS5_lPT2_S5_S5_,"axG",@progbits,_ZN9rocsolver6v33100L23getf2_npvt_small_kernelILi11E19rocblas_complex_numIdEiiPS3_EEvT1_T3_lS5_lPT2_S5_S5_,comdat
.Lfunc_end21:
	.size	_ZN9rocsolver6v33100L23getf2_npvt_small_kernelILi11E19rocblas_complex_numIdEiiPS3_EEvT1_T3_lS5_lPT2_S5_S5_, .Lfunc_end21-_ZN9rocsolver6v33100L23getf2_npvt_small_kernelILi11E19rocblas_complex_numIdEiiPS3_EEvT1_T3_lS5_lPT2_S5_S5_
                                        ; -- End function
	.set _ZN9rocsolver6v33100L23getf2_npvt_small_kernelILi11E19rocblas_complex_numIdEiiPS3_EEvT1_T3_lS5_lPT2_S5_S5_.num_vgpr, 123
	.set _ZN9rocsolver6v33100L23getf2_npvt_small_kernelILi11E19rocblas_complex_numIdEiiPS3_EEvT1_T3_lS5_lPT2_S5_S5_.num_agpr, 0
	.set _ZN9rocsolver6v33100L23getf2_npvt_small_kernelILi11E19rocblas_complex_numIdEiiPS3_EEvT1_T3_lS5_lPT2_S5_S5_.numbered_sgpr, 48
	.set _ZN9rocsolver6v33100L23getf2_npvt_small_kernelILi11E19rocblas_complex_numIdEiiPS3_EEvT1_T3_lS5_lPT2_S5_S5_.num_named_barrier, 0
	.set _ZN9rocsolver6v33100L23getf2_npvt_small_kernelILi11E19rocblas_complex_numIdEiiPS3_EEvT1_T3_lS5_lPT2_S5_S5_.private_seg_size, 0
	.set _ZN9rocsolver6v33100L23getf2_npvt_small_kernelILi11E19rocblas_complex_numIdEiiPS3_EEvT1_T3_lS5_lPT2_S5_S5_.uses_vcc, 1
	.set _ZN9rocsolver6v33100L23getf2_npvt_small_kernelILi11E19rocblas_complex_numIdEiiPS3_EEvT1_T3_lS5_lPT2_S5_S5_.uses_flat_scratch, 0
	.set _ZN9rocsolver6v33100L23getf2_npvt_small_kernelILi11E19rocblas_complex_numIdEiiPS3_EEvT1_T3_lS5_lPT2_S5_S5_.has_dyn_sized_stack, 0
	.set _ZN9rocsolver6v33100L23getf2_npvt_small_kernelILi11E19rocblas_complex_numIdEiiPS3_EEvT1_T3_lS5_lPT2_S5_S5_.has_recursion, 0
	.set _ZN9rocsolver6v33100L23getf2_npvt_small_kernelILi11E19rocblas_complex_numIdEiiPS3_EEvT1_T3_lS5_lPT2_S5_S5_.has_indirect_call, 0
	.section	.AMDGPU.csdata,"",@progbits
; Kernel info:
; codeLenInByte = 10996
; TotalNumSgprs: 52
; NumVgprs: 123
; ScratchSize: 0
; MemoryBound: 0
; FloatMode: 240
; IeeeMode: 1
; LDSByteSize: 0 bytes/workgroup (compile time only)
; SGPRBlocks: 6
; VGPRBlocks: 30
; NumSGPRsForWavesPerEU: 52
; NumVGPRsForWavesPerEU: 123
; Occupancy: 2
; WaveLimiterHint : 0
; COMPUTE_PGM_RSRC2:SCRATCH_EN: 0
; COMPUTE_PGM_RSRC2:USER_SGPR: 6
; COMPUTE_PGM_RSRC2:TRAP_HANDLER: 0
; COMPUTE_PGM_RSRC2:TGID_X_EN: 1
; COMPUTE_PGM_RSRC2:TGID_Y_EN: 1
; COMPUTE_PGM_RSRC2:TGID_Z_EN: 0
; COMPUTE_PGM_RSRC2:TIDIG_COMP_CNT: 1
	.section	.text._ZN9rocsolver6v33100L18getf2_small_kernelILi12E19rocblas_complex_numIdEiiPS3_EEvT1_T3_lS5_lPS5_llPT2_S5_S5_S7_l,"axG",@progbits,_ZN9rocsolver6v33100L18getf2_small_kernelILi12E19rocblas_complex_numIdEiiPS3_EEvT1_T3_lS5_lPS5_llPT2_S5_S5_S7_l,comdat
	.globl	_ZN9rocsolver6v33100L18getf2_small_kernelILi12E19rocblas_complex_numIdEiiPS3_EEvT1_T3_lS5_lPS5_llPT2_S5_S5_S7_l ; -- Begin function _ZN9rocsolver6v33100L18getf2_small_kernelILi12E19rocblas_complex_numIdEiiPS3_EEvT1_T3_lS5_lPS5_llPT2_S5_S5_S7_l
	.p2align	8
	.type	_ZN9rocsolver6v33100L18getf2_small_kernelILi12E19rocblas_complex_numIdEiiPS3_EEvT1_T3_lS5_lPS5_llPT2_S5_S5_S7_l,@function
_ZN9rocsolver6v33100L18getf2_small_kernelILi12E19rocblas_complex_numIdEiiPS3_EEvT1_T3_lS5_lPS5_llPT2_S5_S5_S7_l: ; @_ZN9rocsolver6v33100L18getf2_small_kernelILi12E19rocblas_complex_numIdEiiPS3_EEvT1_T3_lS5_lPS5_llPT2_S5_S5_S7_l
; %bb.0:
	s_load_dword s0, s[4:5], 0x6c
	s_load_dwordx2 s[16:17], s[4:5], 0x48
	s_waitcnt lgkmcnt(0)
	s_lshr_b32 s0, s0, 16
	s_mul_i32 s7, s7, s0
	v_add_u32_e32 v54, s7, v1
	v_cmp_gt_i32_e32 vcc, s16, v54
	s_and_saveexec_b64 s[0:1], vcc
	s_cbranch_execz .LBB22_253
; %bb.1:
	s_load_dwordx4 s[0:3], s[4:5], 0x50
	v_mov_b32_e32 v56, 0
	v_ashrrev_i32_e32 v55, 31, v54
	v_mov_b32_e32 v57, 0
	s_waitcnt lgkmcnt(0)
	s_cmp_eq_u64 s[0:1], 0
	s_cselect_b64 s[18:19], -1, 0
	s_and_b64 vcc, exec, s[18:19]
	s_cbranch_vccnz .LBB22_3
; %bb.2:
	v_mul_lo_u32 v4, s3, v54
	v_mul_lo_u32 v5, s2, v55
	v_mad_u64_u32 v[2:3], s[2:3], s2, v54, 0
	v_add3_u32 v3, v3, v5, v4
	v_lshlrev_b64 v[2:3], 2, v[2:3]
	v_mov_b32_e32 v4, s1
	v_add_co_u32_e32 v56, vcc, s0, v2
	v_addc_co_u32_e32 v57, vcc, v4, v3, vcc
.LBB22_3:
	s_load_dwordx8 s[8:15], s[4:5], 0x20
	s_load_dwordx4 s[0:3], s[4:5], 0x8
	v_lshlrev_b32_e32 v60, 4, v0
	s_load_dwordx2 s[20:21], s[4:5], 0x40
	s_waitcnt lgkmcnt(0)
	v_mul_lo_u32 v4, s9, v54
	v_mul_lo_u32 v5, s8, v55
	v_mad_u64_u32 v[2:3], s[6:7], s8, v54, 0
	s_load_dword s6, s[4:5], 0x18
	s_load_dword s22, s[4:5], 0x0
	v_mov_b32_e32 v6, s1
	v_add3_u32 v3, v3, v5, v4
	v_lshlrev_b64 v[2:3], 4, v[2:3]
	s_waitcnt lgkmcnt(0)
	s_add_i32 s16, s6, s6
	v_add_co_u32_e32 v2, vcc, s0, v2
	v_addc_co_u32_e32 v3, vcc, v6, v3, vcc
	s_lshl_b64 s[0:1], s[2:3], 4
	v_mov_b32_e32 v4, s1
	v_add_co_u32_e32 v61, vcc, s0, v2
	v_add_u32_e32 v2, s16, v0
	v_addc_co_u32_e32 v62, vcc, v3, v4, vcc
	v_ashrrev_i32_e32 v3, 31, v2
	v_lshlrev_b64 v[3:4], 4, v[2:3]
	v_add_u32_e32 v5, s6, v2
	v_ashrrev_i32_e32 v6, 31, v5
	v_add_co_u32_e32 v3, vcc, v61, v3
	v_lshlrev_b64 v[6:7], 4, v[5:6]
	v_add_u32_e32 v8, s6, v5
	v_addc_co_u32_e32 v4, vcc, v62, v4, vcc
	v_ashrrev_i32_e32 v9, 31, v8
	v_add_co_u32_e32 v6, vcc, v61, v6
	v_lshlrev_b64 v[9:10], 4, v[8:9]
	v_add_u32_e32 v11, s6, v8
	v_addc_co_u32_e32 v7, vcc, v62, v7, vcc
	;; [unrolled: 5-line block ×4, first 2 shown]
	v_ashrrev_i32_e32 v18, 31, v17
	v_add_co_u32_e32 v15, vcc, v61, v15
	v_lshlrev_b64 v[18:19], 4, v[17:18]
	v_addc_co_u32_e32 v16, vcc, v62, v16, vcc
	v_add_u32_e32 v17, s6, v17
	v_add_co_u32_e32 v46, vcc, v61, v18
	v_ashrrev_i32_e32 v18, 31, v17
	v_addc_co_u32_e32 v47, vcc, v62, v19, vcc
	v_lshlrev_b64 v[18:19], 4, v[17:18]
	v_add_u32_e32 v17, s6, v17
	v_add_co_u32_e32 v48, vcc, v61, v18
	v_ashrrev_i32_e32 v18, 31, v17
	v_addc_co_u32_e32 v49, vcc, v62, v19, vcc
	v_lshlrev_b64 v[18:19], 4, v[17:18]
	;; [unrolled: 5-line block ×3, first 2 shown]
	v_add_u32_e32 v17, s6, v17
	v_add_co_u32_e32 v52, vcc, v61, v18
	v_ashrrev_i32_e32 v18, 31, v17
	v_lshlrev_b64 v[17:18], 4, v[17:18]
	v_addc_co_u32_e32 v53, vcc, v62, v19, vcc
	v_add_co_u32_e32 v58, vcc, v61, v17
	v_addc_co_u32_e32 v59, vcc, v62, v18, vcc
	v_add_co_u32_e32 v63, vcc, v61, v60
	s_ashr_i32 s7, s6, 31
	v_addc_co_u32_e32 v64, vcc, 0, v62, vcc
	s_lshl_b64 s[8:9], s[6:7], 4
	v_mov_b32_e32 v2, s9
	v_add_co_u32_e32 v65, vcc, s8, v63
	v_addc_co_u32_e32 v66, vcc, v64, v2, vcc
	global_load_dwordx4 v[42:45], v[63:64], off
	global_load_dwordx4 v[38:41], v[65:66], off
	global_load_dwordx4 v[34:37], v[3:4], off
	global_load_dwordx4 v[30:33], v[6:7], off
	global_load_dwordx4 v[26:29], v[9:10], off
	global_load_dwordx4 v[22:25], v[12:13], off
	global_load_dwordx4 v[18:21], v[15:16], off
                                        ; kill: killed $vgpr6 killed $vgpr7
                                        ; kill: killed $vgpr12 killed $vgpr13
                                        ; kill: killed $vgpr63 killed $vgpr64
                                        ; kill: killed $vgpr3 killed $vgpr4
                                        ; kill: killed $vgpr65 killed $vgpr66
                                        ; kill: killed $vgpr9 killed $vgpr10
                                        ; kill: killed $vgpr15 killed $vgpr16
	s_nop 0
	global_load_dwordx4 v[14:17], v[46:47], off
	global_load_dwordx4 v[10:13], v[48:49], off
	;; [unrolled: 1-line block ×4, first 2 shown]
                                        ; kill: killed $vgpr46 killed $vgpr47
                                        ; kill: killed $vgpr50 killed $vgpr51
                                        ; kill: killed $vgpr48 killed $vgpr49
                                        ; kill: killed $vgpr52 killed $vgpr53
	s_nop 0
	global_load_dwordx4 v[46:49], v[58:59], off
	s_max_i32 s0, s22, 12
	v_mul_lo_u32 v58, s0, v1
	s_cmp_lt_i32 s22, 2
	v_lshl_add_u32 v1, v58, 4, 0
	v_add_u32_e32 v50, v1, v60
	v_lshlrev_b32_e32 v64, 4, v58
	v_mov_b32_e32 v58, 0
	s_waitcnt vmcnt(11)
	ds_write2_b64 v50, v[42:43], v[44:45] offset1:1
	s_waitcnt vmcnt(0) lgkmcnt(0)
	s_barrier
	ds_read2_b64 v[50:53], v1 offset1:1
	s_cbranch_scc1 .LBB22_6
; %bb.4:
	v_add3_u32 v59, v64, 0, 16
	s_mov_b32 s7, 1
	v_mov_b32_e32 v58, 0
.LBB22_5:                               ; =>This Inner Loop Header: Depth=1
	ds_read2_b64 v[65:68], v59 offset1:1
	s_waitcnt lgkmcnt(1)
	v_cmp_gt_f64_e32 vcc, 0, v[52:53]
	v_cmp_gt_f64_e64 s[0:1], 0, v[50:51]
	v_xor_b32_e32 v60, 0x80000000, v51
	v_xor_b32_e32 v63, 0x80000000, v53
	s_waitcnt lgkmcnt(0)
	v_cmp_gt_f64_e64 s[2:3], 0, v[65:66]
	v_cmp_gt_f64_e64 s[4:5], 0, v[67:68]
	v_xor_b32_e32 v74, 0x80000000, v66
	v_xor_b32_e32 v76, 0x80000000, v68
	v_mov_b32_e32 v69, v50
	v_mov_b32_e32 v71, v52
	;; [unrolled: 1-line block ×4, first 2 shown]
	v_cndmask_b32_e64 v70, v51, v60, s[0:1]
	v_cndmask_b32_e32 v72, v53, v63, vcc
	v_cndmask_b32_e64 v74, v66, v74, s[2:3]
	v_cndmask_b32_e64 v76, v68, v76, s[4:5]
	v_add_f64 v[69:70], v[69:70], v[71:72]
	v_add_f64 v[71:72], v[73:74], v[75:76]
	v_mov_b32_e32 v60, s7
	s_add_i32 s7, s7, 1
	v_add_u32_e32 v59, 16, v59
	s_cmp_eq_u32 s22, s7
	v_cmp_lt_f64_e32 vcc, v[69:70], v[71:72]
	v_cndmask_b32_e32 v51, v51, v66, vcc
	v_cndmask_b32_e32 v50, v50, v65, vcc
	;; [unrolled: 1-line block ×5, first 2 shown]
	s_cbranch_scc0 .LBB22_5
.LBB22_6:
	s_waitcnt lgkmcnt(0)
	v_cmp_neq_f64_e32 vcc, 0, v[50:51]
	v_cmp_neq_f64_e64 s[0:1], 0, v[52:53]
	v_mov_b32_e32 v63, 1
	v_mov_b32_e32 v65, 1
	s_or_b64 s[2:3], vcc, s[0:1]
	s_and_saveexec_b64 s[0:1], s[2:3]
	s_cbranch_execz .LBB22_12
; %bb.7:
	v_cmp_ngt_f64_e64 s[2:3], |v[50:51]|, |v[52:53]|
	s_and_saveexec_b64 s[4:5], s[2:3]
	s_xor_b64 s[2:3], exec, s[4:5]
	s_cbranch_execz .LBB22_9
; %bb.8:
	v_div_scale_f64 v[59:60], s[4:5], v[52:53], v[52:53], v[50:51]
	v_rcp_f64_e32 v[65:66], v[59:60]
	v_fma_f64 v[67:68], -v[59:60], v[65:66], 1.0
	v_fma_f64 v[65:66], v[65:66], v[67:68], v[65:66]
	v_div_scale_f64 v[67:68], vcc, v[50:51], v[52:53], v[50:51]
	v_fma_f64 v[69:70], -v[59:60], v[65:66], 1.0
	v_fma_f64 v[65:66], v[65:66], v[69:70], v[65:66]
	v_mul_f64 v[69:70], v[67:68], v[65:66]
	v_fma_f64 v[59:60], -v[59:60], v[69:70], v[67:68]
	v_div_fmas_f64 v[59:60], v[59:60], v[65:66], v[69:70]
	v_div_fixup_f64 v[59:60], v[59:60], v[52:53], v[50:51]
	v_fma_f64 v[50:51], v[50:51], v[59:60], v[52:53]
	v_div_scale_f64 v[52:53], s[4:5], v[50:51], v[50:51], 1.0
	v_div_scale_f64 v[69:70], vcc, 1.0, v[50:51], 1.0
	v_rcp_f64_e32 v[65:66], v[52:53]
	v_fma_f64 v[67:68], -v[52:53], v[65:66], 1.0
	v_fma_f64 v[65:66], v[65:66], v[67:68], v[65:66]
	v_fma_f64 v[67:68], -v[52:53], v[65:66], 1.0
	v_fma_f64 v[65:66], v[65:66], v[67:68], v[65:66]
	v_mul_f64 v[67:68], v[69:70], v[65:66]
	v_fma_f64 v[52:53], -v[52:53], v[67:68], v[69:70]
	v_div_fmas_f64 v[52:53], v[52:53], v[65:66], v[67:68]
	v_div_fixup_f64 v[52:53], v[52:53], v[50:51], 1.0
	v_mul_f64 v[50:51], v[59:60], v[52:53]
	v_xor_b32_e32 v53, 0x80000000, v53
.LBB22_9:
	s_andn2_saveexec_b64 s[2:3], s[2:3]
	s_cbranch_execz .LBB22_11
; %bb.10:
	v_div_scale_f64 v[59:60], s[4:5], v[50:51], v[50:51], v[52:53]
	v_rcp_f64_e32 v[65:66], v[59:60]
	v_fma_f64 v[67:68], -v[59:60], v[65:66], 1.0
	v_fma_f64 v[65:66], v[65:66], v[67:68], v[65:66]
	v_div_scale_f64 v[67:68], vcc, v[52:53], v[50:51], v[52:53]
	v_fma_f64 v[69:70], -v[59:60], v[65:66], 1.0
	v_fma_f64 v[65:66], v[65:66], v[69:70], v[65:66]
	v_mul_f64 v[69:70], v[67:68], v[65:66]
	v_fma_f64 v[59:60], -v[59:60], v[69:70], v[67:68]
	v_div_fmas_f64 v[59:60], v[59:60], v[65:66], v[69:70]
	v_div_fixup_f64 v[59:60], v[59:60], v[50:51], v[52:53]
	v_fma_f64 v[50:51], v[52:53], v[59:60], v[50:51]
	v_div_scale_f64 v[52:53], s[4:5], v[50:51], v[50:51], 1.0
	v_div_scale_f64 v[69:70], vcc, 1.0, v[50:51], 1.0
	v_rcp_f64_e32 v[65:66], v[52:53]
	v_fma_f64 v[67:68], -v[52:53], v[65:66], 1.0
	v_fma_f64 v[65:66], v[65:66], v[67:68], v[65:66]
	v_fma_f64 v[67:68], -v[52:53], v[65:66], 1.0
	v_fma_f64 v[65:66], v[65:66], v[67:68], v[65:66]
	v_mul_f64 v[67:68], v[69:70], v[65:66]
	v_fma_f64 v[52:53], -v[52:53], v[67:68], v[69:70]
	v_div_fmas_f64 v[52:53], v[52:53], v[65:66], v[67:68]
	v_div_fixup_f64 v[50:51], v[52:53], v[50:51], 1.0
	v_mul_f64 v[52:53], v[59:60], -v[50:51]
.LBB22_11:
	s_or_b64 exec, exec, s[2:3]
	v_mov_b32_e32 v65, 0
	v_mov_b32_e32 v63, 2
.LBB22_12:
	s_or_b64 exec, exec, s[0:1]
	v_cmp_ne_u32_e32 vcc, v0, v58
	s_and_saveexec_b64 s[0:1], vcc
	s_xor_b64 s[0:1], exec, s[0:1]
	s_cbranch_execz .LBB22_18
; %bb.13:
	v_cmp_eq_u32_e32 vcc, 0, v0
	s_and_saveexec_b64 s[2:3], vcc
	s_cbranch_execz .LBB22_17
; %bb.14:
	v_cmp_ne_u32_e32 vcc, 0, v58
	s_xor_b64 s[4:5], s[18:19], -1
	s_and_b64 s[24:25], s[4:5], vcc
	s_and_saveexec_b64 s[4:5], s[24:25]
	s_cbranch_execz .LBB22_16
; %bb.15:
	v_ashrrev_i32_e32 v59, 31, v58
	v_lshlrev_b64 v[59:60], 2, v[58:59]
	v_add_co_u32_e32 v59, vcc, v56, v59
	v_addc_co_u32_e32 v60, vcc, v57, v60, vcc
	global_load_dword v0, v[59:60], off
	global_load_dword v66, v[56:57], off
	s_waitcnt vmcnt(1)
	global_store_dword v[56:57], v0, off
	s_waitcnt vmcnt(1)
	global_store_dword v[59:60], v66, off
.LBB22_16:
	s_or_b64 exec, exec, s[4:5]
	v_mov_b32_e32 v0, v58
.LBB22_17:
	s_or_b64 exec, exec, s[2:3]
.LBB22_18:
	s_or_saveexec_b64 s[0:1], s[0:1]
	v_mov_b32_e32 v60, v0
	s_xor_b64 exec, exec, s[0:1]
	s_cbranch_execz .LBB22_20
; %bb.19:
	v_mov_b32_e32 v60, 0
	ds_write2_b64 v1, v[38:39], v[40:41] offset0:2 offset1:3
	ds_write2_b64 v1, v[34:35], v[36:37] offset0:4 offset1:5
	;; [unrolled: 1-line block ×11, first 2 shown]
.LBB22_20:
	s_or_b64 exec, exec, s[0:1]
	v_cmp_lt_i32_e32 vcc, 0, v60
	s_waitcnt vmcnt(0) lgkmcnt(0)
	s_barrier
	s_and_saveexec_b64 s[0:1], vcc
	s_cbranch_execz .LBB22_22
; %bb.21:
	v_mul_f64 v[58:59], v[50:51], v[44:45]
	v_mul_f64 v[44:45], v[52:53], v[44:45]
	v_fma_f64 v[58:59], v[52:53], v[42:43], v[58:59]
	v_fma_f64 v[42:43], v[50:51], v[42:43], -v[44:45]
	ds_read2_b64 v[50:53], v1 offset0:2 offset1:3
	s_waitcnt lgkmcnt(0)
	v_mul_f64 v[44:45], v[52:53], v[58:59]
	v_fma_f64 v[44:45], v[50:51], v[42:43], -v[44:45]
	v_mul_f64 v[50:51], v[50:51], v[58:59]
	v_add_f64 v[38:39], v[38:39], -v[44:45]
	v_fma_f64 v[50:51], v[52:53], v[42:43], v[50:51]
	v_add_f64 v[40:41], v[40:41], -v[50:51]
	ds_read2_b64 v[50:53], v1 offset0:4 offset1:5
	s_waitcnt lgkmcnt(0)
	v_mul_f64 v[44:45], v[52:53], v[58:59]
	v_fma_f64 v[44:45], v[50:51], v[42:43], -v[44:45]
	v_mul_f64 v[50:51], v[50:51], v[58:59]
	v_add_f64 v[34:35], v[34:35], -v[44:45]
	v_fma_f64 v[50:51], v[52:53], v[42:43], v[50:51]
	v_add_f64 v[36:37], v[36:37], -v[50:51]
	;; [unrolled: 8-line block ×10, first 2 shown]
	ds_read2_b64 v[50:53], v1 offset0:22 offset1:23
	s_waitcnt lgkmcnt(0)
	v_mul_f64 v[44:45], v[52:53], v[58:59]
	v_fma_f64 v[44:45], v[50:51], v[42:43], -v[44:45]
	v_mul_f64 v[50:51], v[50:51], v[58:59]
	v_add_f64 v[46:47], v[46:47], -v[44:45]
	v_fma_f64 v[50:51], v[52:53], v[42:43], v[50:51]
	v_mov_b32_e32 v44, v58
	v_mov_b32_e32 v45, v59
	v_add_f64 v[48:49], v[48:49], -v[50:51]
.LBB22_22:
	s_or_b64 exec, exec, s[0:1]
	v_lshl_add_u32 v50, v60, 4, v1
	s_barrier
	ds_write2_b64 v50, v[38:39], v[40:41] offset1:1
	s_waitcnt lgkmcnt(0)
	s_barrier
	ds_read2_b64 v[50:53], v1 offset0:2 offset1:3
	s_cmp_lt_i32 s22, 3
	v_mov_b32_e32 v58, 1
	s_cbranch_scc1 .LBB22_25
; %bb.23:
	v_add3_u32 v59, v64, 0, 32
	s_mov_b32 s2, 2
	v_mov_b32_e32 v58, 1
.LBB22_24:                              ; =>This Inner Loop Header: Depth=1
	s_waitcnt lgkmcnt(0)
	v_cmp_gt_f64_e32 vcc, 0, v[52:53]
	v_cmp_gt_f64_e64 s[0:1], 0, v[50:51]
	ds_read2_b64 v[66:69], v59 offset1:1
	v_xor_b32_e32 v71, 0x80000000, v51
	v_xor_b32_e32 v73, 0x80000000, v53
	v_mov_b32_e32 v70, v50
	v_mov_b32_e32 v72, v52
	s_waitcnt lgkmcnt(0)
	v_xor_b32_e32 v75, 0x80000000, v69
	v_cndmask_b32_e32 v73, v53, v73, vcc
	v_cndmask_b32_e64 v71, v51, v71, s[0:1]
	v_cmp_gt_f64_e32 vcc, 0, v[68:69]
	v_cmp_gt_f64_e64 s[0:1], 0, v[66:67]
	v_add_f64 v[70:71], v[70:71], v[72:73]
	v_xor_b32_e32 v73, 0x80000000, v67
	v_mov_b32_e32 v72, v66
	v_mov_b32_e32 v74, v68
	v_add_u32_e32 v59, 16, v59
	v_cndmask_b32_e32 v75, v69, v75, vcc
	v_cndmask_b32_e64 v73, v67, v73, s[0:1]
	v_add_f64 v[72:73], v[72:73], v[74:75]
	v_mov_b32_e32 v74, s2
	s_add_i32 s2, s2, 1
	s_cmp_lg_u32 s22, s2
	v_cmp_lt_f64_e32 vcc, v[70:71], v[72:73]
	v_cndmask_b32_e32 v51, v51, v67, vcc
	v_cndmask_b32_e32 v50, v50, v66, vcc
	;; [unrolled: 1-line block ×5, first 2 shown]
	s_cbranch_scc1 .LBB22_24
.LBB22_25:
	s_waitcnt lgkmcnt(0)
	v_cmp_neq_f64_e32 vcc, 0, v[50:51]
	v_cmp_neq_f64_e64 s[0:1], 0, v[52:53]
	s_or_b64 s[2:3], vcc, s[0:1]
	s_and_saveexec_b64 s[0:1], s[2:3]
	s_cbranch_execz .LBB22_31
; %bb.26:
	v_cmp_ngt_f64_e64 s[2:3], |v[50:51]|, |v[52:53]|
	s_and_saveexec_b64 s[4:5], s[2:3]
	s_xor_b64 s[2:3], exec, s[4:5]
	s_cbranch_execz .LBB22_28
; %bb.27:
	v_div_scale_f64 v[66:67], s[4:5], v[52:53], v[52:53], v[50:51]
	v_rcp_f64_e32 v[68:69], v[66:67]
	v_fma_f64 v[70:71], -v[66:67], v[68:69], 1.0
	v_fma_f64 v[68:69], v[68:69], v[70:71], v[68:69]
	v_div_scale_f64 v[70:71], vcc, v[50:51], v[52:53], v[50:51]
	v_fma_f64 v[72:73], -v[66:67], v[68:69], 1.0
	v_fma_f64 v[68:69], v[68:69], v[72:73], v[68:69]
	v_mul_f64 v[72:73], v[70:71], v[68:69]
	v_fma_f64 v[66:67], -v[66:67], v[72:73], v[70:71]
	v_div_fmas_f64 v[66:67], v[66:67], v[68:69], v[72:73]
	v_div_fixup_f64 v[66:67], v[66:67], v[52:53], v[50:51]
	v_fma_f64 v[50:51], v[50:51], v[66:67], v[52:53]
	v_div_scale_f64 v[52:53], s[4:5], v[50:51], v[50:51], 1.0
	v_div_scale_f64 v[72:73], vcc, 1.0, v[50:51], 1.0
	v_rcp_f64_e32 v[68:69], v[52:53]
	v_fma_f64 v[70:71], -v[52:53], v[68:69], 1.0
	v_fma_f64 v[68:69], v[68:69], v[70:71], v[68:69]
	v_fma_f64 v[70:71], -v[52:53], v[68:69], 1.0
	v_fma_f64 v[68:69], v[68:69], v[70:71], v[68:69]
	v_mul_f64 v[70:71], v[72:73], v[68:69]
	v_fma_f64 v[52:53], -v[52:53], v[70:71], v[72:73]
	v_div_fmas_f64 v[52:53], v[52:53], v[68:69], v[70:71]
	v_div_fixup_f64 v[52:53], v[52:53], v[50:51], 1.0
	v_mul_f64 v[50:51], v[66:67], v[52:53]
	v_xor_b32_e32 v53, 0x80000000, v53
.LBB22_28:
	s_andn2_saveexec_b64 s[2:3], s[2:3]
	s_cbranch_execz .LBB22_30
; %bb.29:
	v_div_scale_f64 v[66:67], s[4:5], v[50:51], v[50:51], v[52:53]
	v_rcp_f64_e32 v[68:69], v[66:67]
	v_fma_f64 v[70:71], -v[66:67], v[68:69], 1.0
	v_fma_f64 v[68:69], v[68:69], v[70:71], v[68:69]
	v_div_scale_f64 v[70:71], vcc, v[52:53], v[50:51], v[52:53]
	v_fma_f64 v[72:73], -v[66:67], v[68:69], 1.0
	v_fma_f64 v[68:69], v[68:69], v[72:73], v[68:69]
	v_mul_f64 v[72:73], v[70:71], v[68:69]
	v_fma_f64 v[66:67], -v[66:67], v[72:73], v[70:71]
	v_div_fmas_f64 v[66:67], v[66:67], v[68:69], v[72:73]
	v_div_fixup_f64 v[66:67], v[66:67], v[50:51], v[52:53]
	v_fma_f64 v[50:51], v[52:53], v[66:67], v[50:51]
	v_div_scale_f64 v[52:53], s[4:5], v[50:51], v[50:51], 1.0
	v_div_scale_f64 v[72:73], vcc, 1.0, v[50:51], 1.0
	v_rcp_f64_e32 v[68:69], v[52:53]
	v_fma_f64 v[70:71], -v[52:53], v[68:69], 1.0
	v_fma_f64 v[68:69], v[68:69], v[70:71], v[68:69]
	v_fma_f64 v[70:71], -v[52:53], v[68:69], 1.0
	v_fma_f64 v[68:69], v[68:69], v[70:71], v[68:69]
	v_mul_f64 v[70:71], v[72:73], v[68:69]
	v_fma_f64 v[52:53], -v[52:53], v[70:71], v[72:73]
	v_div_fmas_f64 v[52:53], v[52:53], v[68:69], v[70:71]
	v_div_fixup_f64 v[50:51], v[52:53], v[50:51], 1.0
	v_mul_f64 v[52:53], v[66:67], -v[50:51]
.LBB22_30:
	s_or_b64 exec, exec, s[2:3]
	v_mov_b32_e32 v63, v65
.LBB22_31:
	s_or_b64 exec, exec, s[0:1]
	v_cmp_ne_u32_e32 vcc, v60, v58
	s_and_saveexec_b64 s[0:1], vcc
	s_xor_b64 s[0:1], exec, s[0:1]
	s_cbranch_execz .LBB22_37
; %bb.32:
	v_cmp_eq_u32_e32 vcc, 1, v60
	s_and_saveexec_b64 s[2:3], vcc
	s_cbranch_execz .LBB22_36
; %bb.33:
	v_cmp_ne_u32_e32 vcc, 1, v58
	s_xor_b64 s[4:5], s[18:19], -1
	s_and_b64 s[24:25], s[4:5], vcc
	s_and_saveexec_b64 s[4:5], s[24:25]
	s_cbranch_execz .LBB22_35
; %bb.34:
	v_ashrrev_i32_e32 v59, 31, v58
	v_lshlrev_b64 v[59:60], 2, v[58:59]
	v_add_co_u32_e32 v59, vcc, v56, v59
	v_addc_co_u32_e32 v60, vcc, v57, v60, vcc
	global_load_dword v0, v[59:60], off
	global_load_dword v65, v[56:57], off offset:4
	s_waitcnt vmcnt(1)
	global_store_dword v[56:57], v0, off offset:4
	s_waitcnt vmcnt(1)
	global_store_dword v[59:60], v65, off
.LBB22_35:
	s_or_b64 exec, exec, s[4:5]
	v_mov_b32_e32 v60, v58
	v_mov_b32_e32 v0, v58
.LBB22_36:
	s_or_b64 exec, exec, s[2:3]
.LBB22_37:
	s_andn2_saveexec_b64 s[0:1], s[0:1]
	s_cbranch_execz .LBB22_39
; %bb.38:
	v_mov_b32_e32 v60, 1
	ds_write2_b64 v1, v[34:35], v[36:37] offset0:4 offset1:5
	ds_write2_b64 v1, v[30:31], v[32:33] offset0:6 offset1:7
	;; [unrolled: 1-line block ×10, first 2 shown]
.LBB22_39:
	s_or_b64 exec, exec, s[0:1]
	v_cmp_lt_i32_e32 vcc, 1, v60
	s_waitcnt vmcnt(0) lgkmcnt(0)
	s_barrier
	s_and_saveexec_b64 s[0:1], vcc
	s_cbranch_execz .LBB22_41
; %bb.40:
	v_mul_f64 v[58:59], v[50:51], v[40:41]
	v_mul_f64 v[40:41], v[52:53], v[40:41]
	v_fma_f64 v[58:59], v[52:53], v[38:39], v[58:59]
	v_fma_f64 v[38:39], v[50:51], v[38:39], -v[40:41]
	ds_read2_b64 v[50:53], v1 offset0:4 offset1:5
	s_waitcnt lgkmcnt(0)
	v_mul_f64 v[40:41], v[52:53], v[58:59]
	v_fma_f64 v[40:41], v[50:51], v[38:39], -v[40:41]
	v_mul_f64 v[50:51], v[50:51], v[58:59]
	v_add_f64 v[34:35], v[34:35], -v[40:41]
	v_fma_f64 v[50:51], v[52:53], v[38:39], v[50:51]
	v_add_f64 v[36:37], v[36:37], -v[50:51]
	ds_read2_b64 v[50:53], v1 offset0:6 offset1:7
	s_waitcnt lgkmcnt(0)
	v_mul_f64 v[40:41], v[52:53], v[58:59]
	v_fma_f64 v[40:41], v[50:51], v[38:39], -v[40:41]
	v_mul_f64 v[50:51], v[50:51], v[58:59]
	v_add_f64 v[30:31], v[30:31], -v[40:41]
	v_fma_f64 v[50:51], v[52:53], v[38:39], v[50:51]
	v_add_f64 v[32:33], v[32:33], -v[50:51]
	;; [unrolled: 8-line block ×9, first 2 shown]
	ds_read2_b64 v[50:53], v1 offset0:22 offset1:23
	s_waitcnt lgkmcnt(0)
	v_mul_f64 v[40:41], v[52:53], v[58:59]
	v_fma_f64 v[40:41], v[50:51], v[38:39], -v[40:41]
	v_mul_f64 v[50:51], v[50:51], v[58:59]
	v_add_f64 v[46:47], v[46:47], -v[40:41]
	v_fma_f64 v[50:51], v[52:53], v[38:39], v[50:51]
	v_mov_b32_e32 v40, v58
	v_mov_b32_e32 v41, v59
	v_add_f64 v[48:49], v[48:49], -v[50:51]
.LBB22_41:
	s_or_b64 exec, exec, s[0:1]
	v_lshl_add_u32 v50, v60, 4, v1
	s_barrier
	ds_write2_b64 v50, v[34:35], v[36:37] offset1:1
	s_waitcnt lgkmcnt(0)
	s_barrier
	ds_read2_b64 v[50:53], v1 offset0:4 offset1:5
	s_cmp_lt_i32 s22, 4
	v_mov_b32_e32 v58, 2
	s_cbranch_scc1 .LBB22_44
; %bb.42:
	v_add3_u32 v59, v64, 0, 48
	s_mov_b32 s2, 3
	v_mov_b32_e32 v58, 2
.LBB22_43:                              ; =>This Inner Loop Header: Depth=1
	s_waitcnt lgkmcnt(0)
	v_cmp_gt_f64_e32 vcc, 0, v[52:53]
	v_cmp_gt_f64_e64 s[0:1], 0, v[50:51]
	ds_read2_b64 v[65:68], v59 offset1:1
	v_xor_b32_e32 v70, 0x80000000, v51
	v_xor_b32_e32 v72, 0x80000000, v53
	v_mov_b32_e32 v69, v50
	v_mov_b32_e32 v71, v52
	s_waitcnt lgkmcnt(0)
	v_xor_b32_e32 v74, 0x80000000, v68
	v_cndmask_b32_e32 v72, v53, v72, vcc
	v_cndmask_b32_e64 v70, v51, v70, s[0:1]
	v_cmp_gt_f64_e32 vcc, 0, v[67:68]
	v_cmp_gt_f64_e64 s[0:1], 0, v[65:66]
	v_add_f64 v[69:70], v[69:70], v[71:72]
	v_xor_b32_e32 v72, 0x80000000, v66
	v_mov_b32_e32 v71, v65
	v_mov_b32_e32 v73, v67
	v_add_u32_e32 v59, 16, v59
	v_cndmask_b32_e32 v74, v68, v74, vcc
	v_cndmask_b32_e64 v72, v66, v72, s[0:1]
	v_add_f64 v[71:72], v[71:72], v[73:74]
	v_mov_b32_e32 v73, s2
	s_add_i32 s2, s2, 1
	s_cmp_lg_u32 s22, s2
	v_cmp_lt_f64_e32 vcc, v[69:70], v[71:72]
	v_cndmask_b32_e32 v51, v51, v66, vcc
	v_cndmask_b32_e32 v50, v50, v65, vcc
	;; [unrolled: 1-line block ×5, first 2 shown]
	s_cbranch_scc1 .LBB22_43
.LBB22_44:
	s_waitcnt lgkmcnt(0)
	v_cmp_eq_f64_e32 vcc, 0, v[50:51]
	v_cmp_eq_f64_e64 s[0:1], 0, v[52:53]
	s_and_b64 s[0:1], vcc, s[0:1]
	s_and_saveexec_b64 s[2:3], s[0:1]
	s_xor_b64 s[0:1], exec, s[2:3]
; %bb.45:
	v_cmp_ne_u32_e32 vcc, 0, v63
	v_cndmask_b32_e32 v63, 3, v63, vcc
; %bb.46:
	s_andn2_saveexec_b64 s[0:1], s[0:1]
	s_cbranch_execz .LBB22_52
; %bb.47:
	v_cmp_ngt_f64_e64 s[2:3], |v[50:51]|, |v[52:53]|
	s_and_saveexec_b64 s[4:5], s[2:3]
	s_xor_b64 s[2:3], exec, s[4:5]
	s_cbranch_execz .LBB22_49
; %bb.48:
	v_div_scale_f64 v[65:66], s[4:5], v[52:53], v[52:53], v[50:51]
	v_rcp_f64_e32 v[67:68], v[65:66]
	v_fma_f64 v[69:70], -v[65:66], v[67:68], 1.0
	v_fma_f64 v[67:68], v[67:68], v[69:70], v[67:68]
	v_div_scale_f64 v[69:70], vcc, v[50:51], v[52:53], v[50:51]
	v_fma_f64 v[71:72], -v[65:66], v[67:68], 1.0
	v_fma_f64 v[67:68], v[67:68], v[71:72], v[67:68]
	v_mul_f64 v[71:72], v[69:70], v[67:68]
	v_fma_f64 v[65:66], -v[65:66], v[71:72], v[69:70]
	v_div_fmas_f64 v[65:66], v[65:66], v[67:68], v[71:72]
	v_div_fixup_f64 v[65:66], v[65:66], v[52:53], v[50:51]
	v_fma_f64 v[50:51], v[50:51], v[65:66], v[52:53]
	v_div_scale_f64 v[52:53], s[4:5], v[50:51], v[50:51], 1.0
	v_div_scale_f64 v[71:72], vcc, 1.0, v[50:51], 1.0
	v_rcp_f64_e32 v[67:68], v[52:53]
	v_fma_f64 v[69:70], -v[52:53], v[67:68], 1.0
	v_fma_f64 v[67:68], v[67:68], v[69:70], v[67:68]
	v_fma_f64 v[69:70], -v[52:53], v[67:68], 1.0
	v_fma_f64 v[67:68], v[67:68], v[69:70], v[67:68]
	v_mul_f64 v[69:70], v[71:72], v[67:68]
	v_fma_f64 v[52:53], -v[52:53], v[69:70], v[71:72]
	v_div_fmas_f64 v[52:53], v[52:53], v[67:68], v[69:70]
	v_div_fixup_f64 v[52:53], v[52:53], v[50:51], 1.0
	v_mul_f64 v[50:51], v[65:66], v[52:53]
	v_xor_b32_e32 v53, 0x80000000, v53
.LBB22_49:
	s_andn2_saveexec_b64 s[2:3], s[2:3]
	s_cbranch_execz .LBB22_51
; %bb.50:
	v_div_scale_f64 v[65:66], s[4:5], v[50:51], v[50:51], v[52:53]
	v_rcp_f64_e32 v[67:68], v[65:66]
	v_fma_f64 v[69:70], -v[65:66], v[67:68], 1.0
	v_fma_f64 v[67:68], v[67:68], v[69:70], v[67:68]
	v_div_scale_f64 v[69:70], vcc, v[52:53], v[50:51], v[52:53]
	v_fma_f64 v[71:72], -v[65:66], v[67:68], 1.0
	v_fma_f64 v[67:68], v[67:68], v[71:72], v[67:68]
	v_mul_f64 v[71:72], v[69:70], v[67:68]
	v_fma_f64 v[65:66], -v[65:66], v[71:72], v[69:70]
	v_div_fmas_f64 v[65:66], v[65:66], v[67:68], v[71:72]
	v_div_fixup_f64 v[65:66], v[65:66], v[50:51], v[52:53]
	v_fma_f64 v[50:51], v[52:53], v[65:66], v[50:51]
	v_div_scale_f64 v[52:53], s[4:5], v[50:51], v[50:51], 1.0
	v_div_scale_f64 v[71:72], vcc, 1.0, v[50:51], 1.0
	v_rcp_f64_e32 v[67:68], v[52:53]
	v_fma_f64 v[69:70], -v[52:53], v[67:68], 1.0
	v_fma_f64 v[67:68], v[67:68], v[69:70], v[67:68]
	v_fma_f64 v[69:70], -v[52:53], v[67:68], 1.0
	v_fma_f64 v[67:68], v[67:68], v[69:70], v[67:68]
	v_mul_f64 v[69:70], v[71:72], v[67:68]
	v_fma_f64 v[52:53], -v[52:53], v[69:70], v[71:72]
	v_div_fmas_f64 v[52:53], v[52:53], v[67:68], v[69:70]
	v_div_fixup_f64 v[50:51], v[52:53], v[50:51], 1.0
	v_mul_f64 v[52:53], v[65:66], -v[50:51]
.LBB22_51:
	s_or_b64 exec, exec, s[2:3]
.LBB22_52:
	s_or_b64 exec, exec, s[0:1]
	v_cmp_ne_u32_e32 vcc, v60, v58
	s_and_saveexec_b64 s[0:1], vcc
	s_xor_b64 s[0:1], exec, s[0:1]
	s_cbranch_execz .LBB22_58
; %bb.53:
	v_cmp_eq_u32_e32 vcc, 2, v60
	s_and_saveexec_b64 s[2:3], vcc
	s_cbranch_execz .LBB22_57
; %bb.54:
	v_cmp_ne_u32_e32 vcc, 2, v58
	s_xor_b64 s[4:5], s[18:19], -1
	s_and_b64 s[24:25], s[4:5], vcc
	s_and_saveexec_b64 s[4:5], s[24:25]
	s_cbranch_execz .LBB22_56
; %bb.55:
	v_ashrrev_i32_e32 v59, 31, v58
	v_lshlrev_b64 v[59:60], 2, v[58:59]
	v_add_co_u32_e32 v59, vcc, v56, v59
	v_addc_co_u32_e32 v60, vcc, v57, v60, vcc
	global_load_dword v0, v[59:60], off
	global_load_dword v65, v[56:57], off offset:8
	s_waitcnt vmcnt(1)
	global_store_dword v[56:57], v0, off offset:8
	s_waitcnt vmcnt(1)
	global_store_dword v[59:60], v65, off
.LBB22_56:
	s_or_b64 exec, exec, s[4:5]
	v_mov_b32_e32 v60, v58
	v_mov_b32_e32 v0, v58
.LBB22_57:
	s_or_b64 exec, exec, s[2:3]
.LBB22_58:
	s_andn2_saveexec_b64 s[0:1], s[0:1]
	s_cbranch_execz .LBB22_60
; %bb.59:
	v_mov_b32_e32 v60, 2
	ds_write2_b64 v1, v[30:31], v[32:33] offset0:6 offset1:7
	ds_write2_b64 v1, v[26:27], v[28:29] offset0:8 offset1:9
	;; [unrolled: 1-line block ×9, first 2 shown]
.LBB22_60:
	s_or_b64 exec, exec, s[0:1]
	v_cmp_lt_i32_e32 vcc, 2, v60
	s_waitcnt vmcnt(0) lgkmcnt(0)
	s_barrier
	s_and_saveexec_b64 s[0:1], vcc
	s_cbranch_execz .LBB22_62
; %bb.61:
	v_mul_f64 v[58:59], v[50:51], v[36:37]
	v_mul_f64 v[36:37], v[52:53], v[36:37]
	v_fma_f64 v[58:59], v[52:53], v[34:35], v[58:59]
	v_fma_f64 v[34:35], v[50:51], v[34:35], -v[36:37]
	ds_read2_b64 v[50:53], v1 offset0:6 offset1:7
	s_waitcnt lgkmcnt(0)
	v_mul_f64 v[36:37], v[52:53], v[58:59]
	v_fma_f64 v[36:37], v[50:51], v[34:35], -v[36:37]
	v_mul_f64 v[50:51], v[50:51], v[58:59]
	v_add_f64 v[30:31], v[30:31], -v[36:37]
	v_fma_f64 v[50:51], v[52:53], v[34:35], v[50:51]
	v_add_f64 v[32:33], v[32:33], -v[50:51]
	ds_read2_b64 v[50:53], v1 offset0:8 offset1:9
	s_waitcnt lgkmcnt(0)
	v_mul_f64 v[36:37], v[52:53], v[58:59]
	v_fma_f64 v[36:37], v[50:51], v[34:35], -v[36:37]
	v_mul_f64 v[50:51], v[50:51], v[58:59]
	v_add_f64 v[26:27], v[26:27], -v[36:37]
	v_fma_f64 v[50:51], v[52:53], v[34:35], v[50:51]
	v_add_f64 v[28:29], v[28:29], -v[50:51]
	;; [unrolled: 8-line block ×8, first 2 shown]
	ds_read2_b64 v[50:53], v1 offset0:22 offset1:23
	s_waitcnt lgkmcnt(0)
	v_mul_f64 v[36:37], v[52:53], v[58:59]
	v_fma_f64 v[36:37], v[50:51], v[34:35], -v[36:37]
	v_mul_f64 v[50:51], v[50:51], v[58:59]
	v_add_f64 v[46:47], v[46:47], -v[36:37]
	v_fma_f64 v[50:51], v[52:53], v[34:35], v[50:51]
	v_mov_b32_e32 v36, v58
	v_mov_b32_e32 v37, v59
	v_add_f64 v[48:49], v[48:49], -v[50:51]
.LBB22_62:
	s_or_b64 exec, exec, s[0:1]
	v_lshl_add_u32 v50, v60, 4, v1
	s_barrier
	ds_write2_b64 v50, v[30:31], v[32:33] offset1:1
	s_waitcnt lgkmcnt(0)
	s_barrier
	ds_read2_b64 v[50:53], v1 offset0:6 offset1:7
	s_mov_b32 s2, 4
	s_cmp_lt_i32 s22, 5
	v_mov_b32_e32 v58, 3
	s_cbranch_scc1 .LBB22_65
; %bb.63:
	v_add3_u32 v59, v64, 0, 64
	v_mov_b32_e32 v58, 3
.LBB22_64:                              ; =>This Inner Loop Header: Depth=1
	s_waitcnt lgkmcnt(0)
	v_cmp_gt_f64_e32 vcc, 0, v[52:53]
	v_cmp_gt_f64_e64 s[0:1], 0, v[50:51]
	ds_read2_b64 v[64:67], v59 offset1:1
	v_xor_b32_e32 v69, 0x80000000, v51
	v_xor_b32_e32 v71, 0x80000000, v53
	v_mov_b32_e32 v68, v50
	v_mov_b32_e32 v70, v52
	s_waitcnt lgkmcnt(0)
	v_xor_b32_e32 v73, 0x80000000, v67
	v_cndmask_b32_e32 v71, v53, v71, vcc
	v_cndmask_b32_e64 v69, v51, v69, s[0:1]
	v_cmp_gt_f64_e32 vcc, 0, v[66:67]
	v_cmp_gt_f64_e64 s[0:1], 0, v[64:65]
	v_add_f64 v[68:69], v[68:69], v[70:71]
	v_xor_b32_e32 v71, 0x80000000, v65
	v_mov_b32_e32 v70, v64
	v_mov_b32_e32 v72, v66
	v_add_u32_e32 v59, 16, v59
	v_cndmask_b32_e32 v73, v67, v73, vcc
	v_cndmask_b32_e64 v71, v65, v71, s[0:1]
	v_add_f64 v[70:71], v[70:71], v[72:73]
	v_mov_b32_e32 v72, s2
	s_add_i32 s2, s2, 1
	s_cmp_lg_u32 s22, s2
	v_cmp_lt_f64_e32 vcc, v[68:69], v[70:71]
	v_cndmask_b32_e32 v51, v51, v65, vcc
	v_cndmask_b32_e32 v50, v50, v64, vcc
	v_cndmask_b32_e32 v53, v53, v67, vcc
	v_cndmask_b32_e32 v52, v52, v66, vcc
	v_cndmask_b32_e32 v58, v58, v72, vcc
	s_cbranch_scc1 .LBB22_64
.LBB22_65:
	s_waitcnt lgkmcnt(0)
	v_cmp_eq_f64_e32 vcc, 0, v[50:51]
	v_cmp_eq_f64_e64 s[0:1], 0, v[52:53]
	s_and_b64 s[0:1], vcc, s[0:1]
	s_and_saveexec_b64 s[2:3], s[0:1]
	s_xor_b64 s[0:1], exec, s[2:3]
; %bb.66:
	v_cmp_ne_u32_e32 vcc, 0, v63
	v_cndmask_b32_e32 v63, 4, v63, vcc
; %bb.67:
	s_andn2_saveexec_b64 s[0:1], s[0:1]
	s_cbranch_execz .LBB22_73
; %bb.68:
	v_cmp_ngt_f64_e64 s[2:3], |v[50:51]|, |v[52:53]|
	s_and_saveexec_b64 s[4:5], s[2:3]
	s_xor_b64 s[2:3], exec, s[4:5]
	s_cbranch_execz .LBB22_70
; %bb.69:
	v_div_scale_f64 v[64:65], s[4:5], v[52:53], v[52:53], v[50:51]
	v_rcp_f64_e32 v[66:67], v[64:65]
	v_fma_f64 v[68:69], -v[64:65], v[66:67], 1.0
	v_fma_f64 v[66:67], v[66:67], v[68:69], v[66:67]
	v_div_scale_f64 v[68:69], vcc, v[50:51], v[52:53], v[50:51]
	v_fma_f64 v[70:71], -v[64:65], v[66:67], 1.0
	v_fma_f64 v[66:67], v[66:67], v[70:71], v[66:67]
	v_mul_f64 v[70:71], v[68:69], v[66:67]
	v_fma_f64 v[64:65], -v[64:65], v[70:71], v[68:69]
	v_div_fmas_f64 v[64:65], v[64:65], v[66:67], v[70:71]
	v_div_fixup_f64 v[64:65], v[64:65], v[52:53], v[50:51]
	v_fma_f64 v[50:51], v[50:51], v[64:65], v[52:53]
	v_div_scale_f64 v[52:53], s[4:5], v[50:51], v[50:51], 1.0
	v_div_scale_f64 v[70:71], vcc, 1.0, v[50:51], 1.0
	v_rcp_f64_e32 v[66:67], v[52:53]
	v_fma_f64 v[68:69], -v[52:53], v[66:67], 1.0
	v_fma_f64 v[66:67], v[66:67], v[68:69], v[66:67]
	v_fma_f64 v[68:69], -v[52:53], v[66:67], 1.0
	v_fma_f64 v[66:67], v[66:67], v[68:69], v[66:67]
	v_mul_f64 v[68:69], v[70:71], v[66:67]
	v_fma_f64 v[52:53], -v[52:53], v[68:69], v[70:71]
	v_div_fmas_f64 v[52:53], v[52:53], v[66:67], v[68:69]
	v_div_fixup_f64 v[52:53], v[52:53], v[50:51], 1.0
	v_mul_f64 v[50:51], v[64:65], v[52:53]
	v_xor_b32_e32 v53, 0x80000000, v53
.LBB22_70:
	s_andn2_saveexec_b64 s[2:3], s[2:3]
	s_cbranch_execz .LBB22_72
; %bb.71:
	v_div_scale_f64 v[64:65], s[4:5], v[50:51], v[50:51], v[52:53]
	v_rcp_f64_e32 v[66:67], v[64:65]
	v_fma_f64 v[68:69], -v[64:65], v[66:67], 1.0
	v_fma_f64 v[66:67], v[66:67], v[68:69], v[66:67]
	v_div_scale_f64 v[68:69], vcc, v[52:53], v[50:51], v[52:53]
	v_fma_f64 v[70:71], -v[64:65], v[66:67], 1.0
	v_fma_f64 v[66:67], v[66:67], v[70:71], v[66:67]
	v_mul_f64 v[70:71], v[68:69], v[66:67]
	v_fma_f64 v[64:65], -v[64:65], v[70:71], v[68:69]
	v_div_fmas_f64 v[64:65], v[64:65], v[66:67], v[70:71]
	v_div_fixup_f64 v[64:65], v[64:65], v[50:51], v[52:53]
	v_fma_f64 v[50:51], v[52:53], v[64:65], v[50:51]
	v_div_scale_f64 v[52:53], s[4:5], v[50:51], v[50:51], 1.0
	v_div_scale_f64 v[70:71], vcc, 1.0, v[50:51], 1.0
	v_rcp_f64_e32 v[66:67], v[52:53]
	v_fma_f64 v[68:69], -v[52:53], v[66:67], 1.0
	v_fma_f64 v[66:67], v[66:67], v[68:69], v[66:67]
	v_fma_f64 v[68:69], -v[52:53], v[66:67], 1.0
	v_fma_f64 v[66:67], v[66:67], v[68:69], v[66:67]
	v_mul_f64 v[68:69], v[70:71], v[66:67]
	v_fma_f64 v[52:53], -v[52:53], v[68:69], v[70:71]
	v_div_fmas_f64 v[52:53], v[52:53], v[66:67], v[68:69]
	v_div_fixup_f64 v[50:51], v[52:53], v[50:51], 1.0
	v_mul_f64 v[52:53], v[64:65], -v[50:51]
.LBB22_72:
	s_or_b64 exec, exec, s[2:3]
.LBB22_73:
	s_or_b64 exec, exec, s[0:1]
	v_cmp_ne_u32_e32 vcc, v60, v58
	s_and_saveexec_b64 s[0:1], vcc
	s_xor_b64 s[0:1], exec, s[0:1]
	s_cbranch_execz .LBB22_79
; %bb.74:
	v_cmp_eq_u32_e32 vcc, 3, v60
	s_and_saveexec_b64 s[2:3], vcc
	s_cbranch_execz .LBB22_78
; %bb.75:
	v_cmp_ne_u32_e32 vcc, 3, v58
	s_xor_b64 s[4:5], s[18:19], -1
	s_and_b64 s[24:25], s[4:5], vcc
	s_and_saveexec_b64 s[4:5], s[24:25]
	s_cbranch_execz .LBB22_77
; %bb.76:
	v_ashrrev_i32_e32 v59, 31, v58
	v_lshlrev_b64 v[59:60], 2, v[58:59]
	v_add_co_u32_e32 v59, vcc, v56, v59
	v_addc_co_u32_e32 v60, vcc, v57, v60, vcc
	global_load_dword v0, v[59:60], off
	global_load_dword v64, v[56:57], off offset:12
	s_waitcnt vmcnt(1)
	global_store_dword v[56:57], v0, off offset:12
	s_waitcnt vmcnt(1)
	global_store_dword v[59:60], v64, off
.LBB22_77:
	s_or_b64 exec, exec, s[4:5]
	v_mov_b32_e32 v60, v58
	v_mov_b32_e32 v0, v58
.LBB22_78:
	s_or_b64 exec, exec, s[2:3]
.LBB22_79:
	s_andn2_saveexec_b64 s[0:1], s[0:1]
	s_cbranch_execz .LBB22_81
; %bb.80:
	v_mov_b32_e32 v60, 3
	ds_write2_b64 v1, v[26:27], v[28:29] offset0:8 offset1:9
	ds_write2_b64 v1, v[22:23], v[24:25] offset0:10 offset1:11
	;; [unrolled: 1-line block ×8, first 2 shown]
.LBB22_81:
	s_or_b64 exec, exec, s[0:1]
	v_cmp_lt_i32_e32 vcc, 3, v60
	s_waitcnt vmcnt(0) lgkmcnt(0)
	s_barrier
	s_and_saveexec_b64 s[0:1], vcc
	s_cbranch_execz .LBB22_83
; %bb.82:
	v_mul_f64 v[58:59], v[50:51], v[32:33]
	v_mul_f64 v[32:33], v[52:53], v[32:33]
	v_fma_f64 v[58:59], v[52:53], v[30:31], v[58:59]
	v_fma_f64 v[30:31], v[50:51], v[30:31], -v[32:33]
	ds_read2_b64 v[50:53], v1 offset0:8 offset1:9
	s_waitcnt lgkmcnt(0)
	v_mul_f64 v[32:33], v[52:53], v[58:59]
	v_fma_f64 v[32:33], v[50:51], v[30:31], -v[32:33]
	v_mul_f64 v[50:51], v[50:51], v[58:59]
	v_add_f64 v[26:27], v[26:27], -v[32:33]
	v_fma_f64 v[50:51], v[52:53], v[30:31], v[50:51]
	v_add_f64 v[28:29], v[28:29], -v[50:51]
	ds_read2_b64 v[50:53], v1 offset0:10 offset1:11
	s_waitcnt lgkmcnt(0)
	v_mul_f64 v[32:33], v[52:53], v[58:59]
	v_fma_f64 v[32:33], v[50:51], v[30:31], -v[32:33]
	v_mul_f64 v[50:51], v[50:51], v[58:59]
	v_add_f64 v[22:23], v[22:23], -v[32:33]
	v_fma_f64 v[50:51], v[52:53], v[30:31], v[50:51]
	v_add_f64 v[24:25], v[24:25], -v[50:51]
	;; [unrolled: 8-line block ×7, first 2 shown]
	ds_read2_b64 v[50:53], v1 offset0:22 offset1:23
	s_waitcnt lgkmcnt(0)
	v_mul_f64 v[32:33], v[52:53], v[58:59]
	v_fma_f64 v[32:33], v[50:51], v[30:31], -v[32:33]
	v_mul_f64 v[50:51], v[50:51], v[58:59]
	v_add_f64 v[46:47], v[46:47], -v[32:33]
	v_fma_f64 v[50:51], v[52:53], v[30:31], v[50:51]
	v_mov_b32_e32 v32, v58
	v_mov_b32_e32 v33, v59
	v_add_f64 v[48:49], v[48:49], -v[50:51]
.LBB22_83:
	s_or_b64 exec, exec, s[0:1]
	v_lshl_add_u32 v50, v60, 4, v1
	s_barrier
	ds_write2_b64 v50, v[26:27], v[28:29] offset1:1
	s_waitcnt lgkmcnt(0)
	s_barrier
	ds_read2_b64 v[50:53], v1 offset0:8 offset1:9
	s_cmp_lt_i32 s22, 6
	v_mov_b32_e32 v58, 4
	s_cbranch_scc1 .LBB22_86
; %bb.84:
	v_mov_b32_e32 v58, 4
	v_add_u32_e32 v59, 0x50, v1
	s_mov_b32 s2, 5
.LBB22_85:                              ; =>This Inner Loop Header: Depth=1
	s_waitcnt lgkmcnt(0)
	v_cmp_gt_f64_e32 vcc, 0, v[52:53]
	v_cmp_gt_f64_e64 s[0:1], 0, v[50:51]
	ds_read2_b64 v[64:67], v59 offset1:1
	v_xor_b32_e32 v69, 0x80000000, v51
	v_xor_b32_e32 v71, 0x80000000, v53
	v_mov_b32_e32 v68, v50
	v_mov_b32_e32 v70, v52
	s_waitcnt lgkmcnt(0)
	v_xor_b32_e32 v73, 0x80000000, v67
	v_cndmask_b32_e32 v71, v53, v71, vcc
	v_cndmask_b32_e64 v69, v51, v69, s[0:1]
	v_cmp_gt_f64_e32 vcc, 0, v[66:67]
	v_cmp_gt_f64_e64 s[0:1], 0, v[64:65]
	v_add_f64 v[68:69], v[68:69], v[70:71]
	v_xor_b32_e32 v71, 0x80000000, v65
	v_mov_b32_e32 v70, v64
	v_mov_b32_e32 v72, v66
	v_add_u32_e32 v59, 16, v59
	v_cndmask_b32_e32 v73, v67, v73, vcc
	v_cndmask_b32_e64 v71, v65, v71, s[0:1]
	v_add_f64 v[70:71], v[70:71], v[72:73]
	v_mov_b32_e32 v72, s2
	s_add_i32 s2, s2, 1
	s_cmp_lg_u32 s22, s2
	v_cmp_lt_f64_e32 vcc, v[68:69], v[70:71]
	v_cndmask_b32_e32 v51, v51, v65, vcc
	v_cndmask_b32_e32 v50, v50, v64, vcc
	;; [unrolled: 1-line block ×5, first 2 shown]
	s_cbranch_scc1 .LBB22_85
.LBB22_86:
	s_waitcnt lgkmcnt(0)
	v_cmp_eq_f64_e32 vcc, 0, v[50:51]
	v_cmp_eq_f64_e64 s[0:1], 0, v[52:53]
	s_and_b64 s[0:1], vcc, s[0:1]
	s_and_saveexec_b64 s[2:3], s[0:1]
	s_xor_b64 s[0:1], exec, s[2:3]
; %bb.87:
	v_cmp_ne_u32_e32 vcc, 0, v63
	v_cndmask_b32_e32 v63, 5, v63, vcc
; %bb.88:
	s_andn2_saveexec_b64 s[0:1], s[0:1]
	s_cbranch_execz .LBB22_94
; %bb.89:
	v_cmp_ngt_f64_e64 s[2:3], |v[50:51]|, |v[52:53]|
	s_and_saveexec_b64 s[4:5], s[2:3]
	s_xor_b64 s[2:3], exec, s[4:5]
	s_cbranch_execz .LBB22_91
; %bb.90:
	v_div_scale_f64 v[64:65], s[4:5], v[52:53], v[52:53], v[50:51]
	v_rcp_f64_e32 v[66:67], v[64:65]
	v_fma_f64 v[68:69], -v[64:65], v[66:67], 1.0
	v_fma_f64 v[66:67], v[66:67], v[68:69], v[66:67]
	v_div_scale_f64 v[68:69], vcc, v[50:51], v[52:53], v[50:51]
	v_fma_f64 v[70:71], -v[64:65], v[66:67], 1.0
	v_fma_f64 v[66:67], v[66:67], v[70:71], v[66:67]
	v_mul_f64 v[70:71], v[68:69], v[66:67]
	v_fma_f64 v[64:65], -v[64:65], v[70:71], v[68:69]
	v_div_fmas_f64 v[64:65], v[64:65], v[66:67], v[70:71]
	v_div_fixup_f64 v[64:65], v[64:65], v[52:53], v[50:51]
	v_fma_f64 v[50:51], v[50:51], v[64:65], v[52:53]
	v_div_scale_f64 v[52:53], s[4:5], v[50:51], v[50:51], 1.0
	v_div_scale_f64 v[70:71], vcc, 1.0, v[50:51], 1.0
	v_rcp_f64_e32 v[66:67], v[52:53]
	v_fma_f64 v[68:69], -v[52:53], v[66:67], 1.0
	v_fma_f64 v[66:67], v[66:67], v[68:69], v[66:67]
	v_fma_f64 v[68:69], -v[52:53], v[66:67], 1.0
	v_fma_f64 v[66:67], v[66:67], v[68:69], v[66:67]
	v_mul_f64 v[68:69], v[70:71], v[66:67]
	v_fma_f64 v[52:53], -v[52:53], v[68:69], v[70:71]
	v_div_fmas_f64 v[52:53], v[52:53], v[66:67], v[68:69]
	v_div_fixup_f64 v[52:53], v[52:53], v[50:51], 1.0
	v_mul_f64 v[50:51], v[64:65], v[52:53]
	v_xor_b32_e32 v53, 0x80000000, v53
.LBB22_91:
	s_andn2_saveexec_b64 s[2:3], s[2:3]
	s_cbranch_execz .LBB22_93
; %bb.92:
	v_div_scale_f64 v[64:65], s[4:5], v[50:51], v[50:51], v[52:53]
	v_rcp_f64_e32 v[66:67], v[64:65]
	v_fma_f64 v[68:69], -v[64:65], v[66:67], 1.0
	v_fma_f64 v[66:67], v[66:67], v[68:69], v[66:67]
	v_div_scale_f64 v[68:69], vcc, v[52:53], v[50:51], v[52:53]
	v_fma_f64 v[70:71], -v[64:65], v[66:67], 1.0
	v_fma_f64 v[66:67], v[66:67], v[70:71], v[66:67]
	v_mul_f64 v[70:71], v[68:69], v[66:67]
	v_fma_f64 v[64:65], -v[64:65], v[70:71], v[68:69]
	v_div_fmas_f64 v[64:65], v[64:65], v[66:67], v[70:71]
	v_div_fixup_f64 v[64:65], v[64:65], v[50:51], v[52:53]
	v_fma_f64 v[50:51], v[52:53], v[64:65], v[50:51]
	v_div_scale_f64 v[52:53], s[4:5], v[50:51], v[50:51], 1.0
	v_div_scale_f64 v[70:71], vcc, 1.0, v[50:51], 1.0
	v_rcp_f64_e32 v[66:67], v[52:53]
	v_fma_f64 v[68:69], -v[52:53], v[66:67], 1.0
	v_fma_f64 v[66:67], v[66:67], v[68:69], v[66:67]
	v_fma_f64 v[68:69], -v[52:53], v[66:67], 1.0
	v_fma_f64 v[66:67], v[66:67], v[68:69], v[66:67]
	v_mul_f64 v[68:69], v[70:71], v[66:67]
	v_fma_f64 v[52:53], -v[52:53], v[68:69], v[70:71]
	v_div_fmas_f64 v[52:53], v[52:53], v[66:67], v[68:69]
	v_div_fixup_f64 v[50:51], v[52:53], v[50:51], 1.0
	v_mul_f64 v[52:53], v[64:65], -v[50:51]
.LBB22_93:
	s_or_b64 exec, exec, s[2:3]
.LBB22_94:
	s_or_b64 exec, exec, s[0:1]
	v_cmp_ne_u32_e32 vcc, v60, v58
	s_and_saveexec_b64 s[0:1], vcc
	s_xor_b64 s[0:1], exec, s[0:1]
	s_cbranch_execz .LBB22_100
; %bb.95:
	v_cmp_eq_u32_e32 vcc, 4, v60
	s_and_saveexec_b64 s[2:3], vcc
	s_cbranch_execz .LBB22_99
; %bb.96:
	v_cmp_ne_u32_e32 vcc, 4, v58
	s_xor_b64 s[4:5], s[18:19], -1
	s_and_b64 s[24:25], s[4:5], vcc
	s_and_saveexec_b64 s[4:5], s[24:25]
	s_cbranch_execz .LBB22_98
; %bb.97:
	v_ashrrev_i32_e32 v59, 31, v58
	v_lshlrev_b64 v[59:60], 2, v[58:59]
	v_add_co_u32_e32 v59, vcc, v56, v59
	v_addc_co_u32_e32 v60, vcc, v57, v60, vcc
	global_load_dword v0, v[59:60], off
	global_load_dword v64, v[56:57], off offset:16
	s_waitcnt vmcnt(1)
	global_store_dword v[56:57], v0, off offset:16
	s_waitcnt vmcnt(1)
	global_store_dword v[59:60], v64, off
.LBB22_98:
	s_or_b64 exec, exec, s[4:5]
	v_mov_b32_e32 v60, v58
	v_mov_b32_e32 v0, v58
.LBB22_99:
	s_or_b64 exec, exec, s[2:3]
.LBB22_100:
	s_andn2_saveexec_b64 s[0:1], s[0:1]
	s_cbranch_execz .LBB22_102
; %bb.101:
	v_mov_b32_e32 v60, 4
	ds_write2_b64 v1, v[22:23], v[24:25] offset0:10 offset1:11
	ds_write2_b64 v1, v[18:19], v[20:21] offset0:12 offset1:13
	;; [unrolled: 1-line block ×7, first 2 shown]
.LBB22_102:
	s_or_b64 exec, exec, s[0:1]
	v_cmp_lt_i32_e32 vcc, 4, v60
	s_waitcnt vmcnt(0) lgkmcnt(0)
	s_barrier
	s_and_saveexec_b64 s[0:1], vcc
	s_cbranch_execz .LBB22_104
; %bb.103:
	v_mul_f64 v[58:59], v[50:51], v[28:29]
	v_mul_f64 v[28:29], v[52:53], v[28:29]
	v_fma_f64 v[58:59], v[52:53], v[26:27], v[58:59]
	v_fma_f64 v[26:27], v[50:51], v[26:27], -v[28:29]
	ds_read2_b64 v[50:53], v1 offset0:10 offset1:11
	s_waitcnt lgkmcnt(0)
	v_mul_f64 v[28:29], v[52:53], v[58:59]
	v_fma_f64 v[28:29], v[50:51], v[26:27], -v[28:29]
	v_mul_f64 v[50:51], v[50:51], v[58:59]
	v_add_f64 v[22:23], v[22:23], -v[28:29]
	v_fma_f64 v[50:51], v[52:53], v[26:27], v[50:51]
	v_add_f64 v[24:25], v[24:25], -v[50:51]
	ds_read2_b64 v[50:53], v1 offset0:12 offset1:13
	s_waitcnt lgkmcnt(0)
	v_mul_f64 v[28:29], v[52:53], v[58:59]
	v_fma_f64 v[28:29], v[50:51], v[26:27], -v[28:29]
	v_mul_f64 v[50:51], v[50:51], v[58:59]
	v_add_f64 v[18:19], v[18:19], -v[28:29]
	v_fma_f64 v[50:51], v[52:53], v[26:27], v[50:51]
	v_add_f64 v[20:21], v[20:21], -v[50:51]
	;; [unrolled: 8-line block ×6, first 2 shown]
	ds_read2_b64 v[50:53], v1 offset0:22 offset1:23
	s_waitcnt lgkmcnt(0)
	v_mul_f64 v[28:29], v[52:53], v[58:59]
	v_fma_f64 v[28:29], v[50:51], v[26:27], -v[28:29]
	v_mul_f64 v[50:51], v[50:51], v[58:59]
	v_add_f64 v[46:47], v[46:47], -v[28:29]
	v_fma_f64 v[50:51], v[52:53], v[26:27], v[50:51]
	v_mov_b32_e32 v28, v58
	v_mov_b32_e32 v29, v59
	v_add_f64 v[48:49], v[48:49], -v[50:51]
.LBB22_104:
	s_or_b64 exec, exec, s[0:1]
	v_lshl_add_u32 v50, v60, 4, v1
	s_barrier
	ds_write2_b64 v50, v[22:23], v[24:25] offset1:1
	s_waitcnt lgkmcnt(0)
	s_barrier
	ds_read2_b64 v[50:53], v1 offset0:10 offset1:11
	s_cmp_lt_i32 s22, 7
	v_mov_b32_e32 v58, 5
	s_cbranch_scc1 .LBB22_107
; %bb.105:
	v_add_u32_e32 v59, 0x60, v1
	s_mov_b32 s2, 6
	v_mov_b32_e32 v58, 5
.LBB22_106:                             ; =>This Inner Loop Header: Depth=1
	s_waitcnt lgkmcnt(0)
	v_cmp_gt_f64_e32 vcc, 0, v[52:53]
	v_cmp_gt_f64_e64 s[0:1], 0, v[50:51]
	ds_read2_b64 v[64:67], v59 offset1:1
	v_xor_b32_e32 v69, 0x80000000, v51
	v_xor_b32_e32 v71, 0x80000000, v53
	v_mov_b32_e32 v68, v50
	v_mov_b32_e32 v70, v52
	s_waitcnt lgkmcnt(0)
	v_xor_b32_e32 v73, 0x80000000, v67
	v_cndmask_b32_e32 v71, v53, v71, vcc
	v_cndmask_b32_e64 v69, v51, v69, s[0:1]
	v_cmp_gt_f64_e32 vcc, 0, v[66:67]
	v_cmp_gt_f64_e64 s[0:1], 0, v[64:65]
	v_add_f64 v[68:69], v[68:69], v[70:71]
	v_xor_b32_e32 v71, 0x80000000, v65
	v_mov_b32_e32 v70, v64
	v_mov_b32_e32 v72, v66
	v_add_u32_e32 v59, 16, v59
	v_cndmask_b32_e32 v73, v67, v73, vcc
	v_cndmask_b32_e64 v71, v65, v71, s[0:1]
	v_add_f64 v[70:71], v[70:71], v[72:73]
	v_mov_b32_e32 v72, s2
	s_add_i32 s2, s2, 1
	s_cmp_lg_u32 s22, s2
	v_cmp_lt_f64_e32 vcc, v[68:69], v[70:71]
	v_cndmask_b32_e32 v51, v51, v65, vcc
	v_cndmask_b32_e32 v50, v50, v64, vcc
	;; [unrolled: 1-line block ×5, first 2 shown]
	s_cbranch_scc1 .LBB22_106
.LBB22_107:
	s_waitcnt lgkmcnt(0)
	v_cmp_eq_f64_e32 vcc, 0, v[50:51]
	v_cmp_eq_f64_e64 s[0:1], 0, v[52:53]
	s_and_b64 s[0:1], vcc, s[0:1]
	s_and_saveexec_b64 s[2:3], s[0:1]
	s_xor_b64 s[0:1], exec, s[2:3]
; %bb.108:
	v_cmp_ne_u32_e32 vcc, 0, v63
	v_cndmask_b32_e32 v63, 6, v63, vcc
; %bb.109:
	s_andn2_saveexec_b64 s[0:1], s[0:1]
	s_cbranch_execz .LBB22_115
; %bb.110:
	v_cmp_ngt_f64_e64 s[2:3], |v[50:51]|, |v[52:53]|
	s_and_saveexec_b64 s[4:5], s[2:3]
	s_xor_b64 s[2:3], exec, s[4:5]
	s_cbranch_execz .LBB22_112
; %bb.111:
	v_div_scale_f64 v[64:65], s[4:5], v[52:53], v[52:53], v[50:51]
	v_rcp_f64_e32 v[66:67], v[64:65]
	v_fma_f64 v[68:69], -v[64:65], v[66:67], 1.0
	v_fma_f64 v[66:67], v[66:67], v[68:69], v[66:67]
	v_div_scale_f64 v[68:69], vcc, v[50:51], v[52:53], v[50:51]
	v_fma_f64 v[70:71], -v[64:65], v[66:67], 1.0
	v_fma_f64 v[66:67], v[66:67], v[70:71], v[66:67]
	v_mul_f64 v[70:71], v[68:69], v[66:67]
	v_fma_f64 v[64:65], -v[64:65], v[70:71], v[68:69]
	v_div_fmas_f64 v[64:65], v[64:65], v[66:67], v[70:71]
	v_div_fixup_f64 v[64:65], v[64:65], v[52:53], v[50:51]
	v_fma_f64 v[50:51], v[50:51], v[64:65], v[52:53]
	v_div_scale_f64 v[52:53], s[4:5], v[50:51], v[50:51], 1.0
	v_div_scale_f64 v[70:71], vcc, 1.0, v[50:51], 1.0
	v_rcp_f64_e32 v[66:67], v[52:53]
	v_fma_f64 v[68:69], -v[52:53], v[66:67], 1.0
	v_fma_f64 v[66:67], v[66:67], v[68:69], v[66:67]
	v_fma_f64 v[68:69], -v[52:53], v[66:67], 1.0
	v_fma_f64 v[66:67], v[66:67], v[68:69], v[66:67]
	v_mul_f64 v[68:69], v[70:71], v[66:67]
	v_fma_f64 v[52:53], -v[52:53], v[68:69], v[70:71]
	v_div_fmas_f64 v[52:53], v[52:53], v[66:67], v[68:69]
	v_div_fixup_f64 v[52:53], v[52:53], v[50:51], 1.0
	v_mul_f64 v[50:51], v[64:65], v[52:53]
	v_xor_b32_e32 v53, 0x80000000, v53
.LBB22_112:
	s_andn2_saveexec_b64 s[2:3], s[2:3]
	s_cbranch_execz .LBB22_114
; %bb.113:
	v_div_scale_f64 v[64:65], s[4:5], v[50:51], v[50:51], v[52:53]
	v_rcp_f64_e32 v[66:67], v[64:65]
	v_fma_f64 v[68:69], -v[64:65], v[66:67], 1.0
	v_fma_f64 v[66:67], v[66:67], v[68:69], v[66:67]
	v_div_scale_f64 v[68:69], vcc, v[52:53], v[50:51], v[52:53]
	v_fma_f64 v[70:71], -v[64:65], v[66:67], 1.0
	v_fma_f64 v[66:67], v[66:67], v[70:71], v[66:67]
	v_mul_f64 v[70:71], v[68:69], v[66:67]
	v_fma_f64 v[64:65], -v[64:65], v[70:71], v[68:69]
	v_div_fmas_f64 v[64:65], v[64:65], v[66:67], v[70:71]
	v_div_fixup_f64 v[64:65], v[64:65], v[50:51], v[52:53]
	v_fma_f64 v[50:51], v[52:53], v[64:65], v[50:51]
	v_div_scale_f64 v[52:53], s[4:5], v[50:51], v[50:51], 1.0
	v_div_scale_f64 v[70:71], vcc, 1.0, v[50:51], 1.0
	v_rcp_f64_e32 v[66:67], v[52:53]
	v_fma_f64 v[68:69], -v[52:53], v[66:67], 1.0
	v_fma_f64 v[66:67], v[66:67], v[68:69], v[66:67]
	v_fma_f64 v[68:69], -v[52:53], v[66:67], 1.0
	v_fma_f64 v[66:67], v[66:67], v[68:69], v[66:67]
	v_mul_f64 v[68:69], v[70:71], v[66:67]
	v_fma_f64 v[52:53], -v[52:53], v[68:69], v[70:71]
	v_div_fmas_f64 v[52:53], v[52:53], v[66:67], v[68:69]
	v_div_fixup_f64 v[50:51], v[52:53], v[50:51], 1.0
	v_mul_f64 v[52:53], v[64:65], -v[50:51]
.LBB22_114:
	s_or_b64 exec, exec, s[2:3]
.LBB22_115:
	s_or_b64 exec, exec, s[0:1]
	v_cmp_ne_u32_e32 vcc, v60, v58
	s_and_saveexec_b64 s[0:1], vcc
	s_xor_b64 s[0:1], exec, s[0:1]
	s_cbranch_execz .LBB22_121
; %bb.116:
	v_cmp_eq_u32_e32 vcc, 5, v60
	s_and_saveexec_b64 s[2:3], vcc
	s_cbranch_execz .LBB22_120
; %bb.117:
	v_cmp_ne_u32_e32 vcc, 5, v58
	s_xor_b64 s[4:5], s[18:19], -1
	s_and_b64 s[24:25], s[4:5], vcc
	s_and_saveexec_b64 s[4:5], s[24:25]
	s_cbranch_execz .LBB22_119
; %bb.118:
	v_ashrrev_i32_e32 v59, 31, v58
	v_lshlrev_b64 v[59:60], 2, v[58:59]
	v_add_co_u32_e32 v59, vcc, v56, v59
	v_addc_co_u32_e32 v60, vcc, v57, v60, vcc
	global_load_dword v0, v[59:60], off
	global_load_dword v64, v[56:57], off offset:20
	s_waitcnt vmcnt(1)
	global_store_dword v[56:57], v0, off offset:20
	s_waitcnt vmcnt(1)
	global_store_dword v[59:60], v64, off
.LBB22_119:
	s_or_b64 exec, exec, s[4:5]
	v_mov_b32_e32 v60, v58
	v_mov_b32_e32 v0, v58
.LBB22_120:
	s_or_b64 exec, exec, s[2:3]
.LBB22_121:
	s_andn2_saveexec_b64 s[0:1], s[0:1]
	s_cbranch_execz .LBB22_123
; %bb.122:
	v_mov_b32_e32 v60, 5
	ds_write2_b64 v1, v[18:19], v[20:21] offset0:12 offset1:13
	ds_write2_b64 v1, v[14:15], v[16:17] offset0:14 offset1:15
	;; [unrolled: 1-line block ×6, first 2 shown]
.LBB22_123:
	s_or_b64 exec, exec, s[0:1]
	v_cmp_lt_i32_e32 vcc, 5, v60
	s_waitcnt vmcnt(0) lgkmcnt(0)
	s_barrier
	s_and_saveexec_b64 s[0:1], vcc
	s_cbranch_execz .LBB22_125
; %bb.124:
	v_mul_f64 v[58:59], v[50:51], v[24:25]
	v_mul_f64 v[24:25], v[52:53], v[24:25]
	v_fma_f64 v[58:59], v[52:53], v[22:23], v[58:59]
	v_fma_f64 v[22:23], v[50:51], v[22:23], -v[24:25]
	ds_read2_b64 v[50:53], v1 offset0:12 offset1:13
	s_waitcnt lgkmcnt(0)
	v_mul_f64 v[24:25], v[52:53], v[58:59]
	v_fma_f64 v[24:25], v[50:51], v[22:23], -v[24:25]
	v_mul_f64 v[50:51], v[50:51], v[58:59]
	v_add_f64 v[18:19], v[18:19], -v[24:25]
	v_fma_f64 v[50:51], v[52:53], v[22:23], v[50:51]
	v_add_f64 v[20:21], v[20:21], -v[50:51]
	ds_read2_b64 v[50:53], v1 offset0:14 offset1:15
	s_waitcnt lgkmcnt(0)
	v_mul_f64 v[24:25], v[52:53], v[58:59]
	v_fma_f64 v[24:25], v[50:51], v[22:23], -v[24:25]
	v_mul_f64 v[50:51], v[50:51], v[58:59]
	v_add_f64 v[14:15], v[14:15], -v[24:25]
	v_fma_f64 v[50:51], v[52:53], v[22:23], v[50:51]
	v_add_f64 v[16:17], v[16:17], -v[50:51]
	;; [unrolled: 8-line block ×5, first 2 shown]
	ds_read2_b64 v[50:53], v1 offset0:22 offset1:23
	s_waitcnt lgkmcnt(0)
	v_mul_f64 v[24:25], v[52:53], v[58:59]
	v_fma_f64 v[24:25], v[50:51], v[22:23], -v[24:25]
	v_mul_f64 v[50:51], v[50:51], v[58:59]
	v_add_f64 v[46:47], v[46:47], -v[24:25]
	v_fma_f64 v[50:51], v[52:53], v[22:23], v[50:51]
	v_mov_b32_e32 v24, v58
	v_mov_b32_e32 v25, v59
	v_add_f64 v[48:49], v[48:49], -v[50:51]
.LBB22_125:
	s_or_b64 exec, exec, s[0:1]
	v_lshl_add_u32 v50, v60, 4, v1
	s_barrier
	ds_write2_b64 v50, v[18:19], v[20:21] offset1:1
	s_waitcnt lgkmcnt(0)
	s_barrier
	ds_read2_b64 v[50:53], v1 offset0:12 offset1:13
	s_cmp_lt_i32 s22, 8
	v_mov_b32_e32 v58, 6
	s_cbranch_scc1 .LBB22_128
; %bb.126:
	v_add_u32_e32 v59, 0x70, v1
	s_mov_b32 s2, 7
	v_mov_b32_e32 v58, 6
.LBB22_127:                             ; =>This Inner Loop Header: Depth=1
	s_waitcnt lgkmcnt(0)
	v_cmp_gt_f64_e32 vcc, 0, v[52:53]
	v_cmp_gt_f64_e64 s[0:1], 0, v[50:51]
	ds_read2_b64 v[64:67], v59 offset1:1
	v_xor_b32_e32 v69, 0x80000000, v51
	v_xor_b32_e32 v71, 0x80000000, v53
	v_mov_b32_e32 v68, v50
	v_mov_b32_e32 v70, v52
	s_waitcnt lgkmcnt(0)
	v_xor_b32_e32 v73, 0x80000000, v67
	v_cndmask_b32_e32 v71, v53, v71, vcc
	v_cndmask_b32_e64 v69, v51, v69, s[0:1]
	v_cmp_gt_f64_e32 vcc, 0, v[66:67]
	v_cmp_gt_f64_e64 s[0:1], 0, v[64:65]
	v_add_f64 v[68:69], v[68:69], v[70:71]
	v_xor_b32_e32 v71, 0x80000000, v65
	v_mov_b32_e32 v70, v64
	v_mov_b32_e32 v72, v66
	v_add_u32_e32 v59, 16, v59
	v_cndmask_b32_e32 v73, v67, v73, vcc
	v_cndmask_b32_e64 v71, v65, v71, s[0:1]
	v_add_f64 v[70:71], v[70:71], v[72:73]
	v_mov_b32_e32 v72, s2
	s_add_i32 s2, s2, 1
	s_cmp_lg_u32 s22, s2
	v_cmp_lt_f64_e32 vcc, v[68:69], v[70:71]
	v_cndmask_b32_e32 v51, v51, v65, vcc
	v_cndmask_b32_e32 v50, v50, v64, vcc
	;; [unrolled: 1-line block ×5, first 2 shown]
	s_cbranch_scc1 .LBB22_127
.LBB22_128:
	s_waitcnt lgkmcnt(0)
	v_cmp_eq_f64_e32 vcc, 0, v[50:51]
	v_cmp_eq_f64_e64 s[0:1], 0, v[52:53]
	s_and_b64 s[0:1], vcc, s[0:1]
	s_and_saveexec_b64 s[2:3], s[0:1]
	s_xor_b64 s[0:1], exec, s[2:3]
; %bb.129:
	v_cmp_ne_u32_e32 vcc, 0, v63
	v_cndmask_b32_e32 v63, 7, v63, vcc
; %bb.130:
	s_andn2_saveexec_b64 s[0:1], s[0:1]
	s_cbranch_execz .LBB22_136
; %bb.131:
	v_cmp_ngt_f64_e64 s[2:3], |v[50:51]|, |v[52:53]|
	s_and_saveexec_b64 s[4:5], s[2:3]
	s_xor_b64 s[2:3], exec, s[4:5]
	s_cbranch_execz .LBB22_133
; %bb.132:
	v_div_scale_f64 v[64:65], s[4:5], v[52:53], v[52:53], v[50:51]
	v_rcp_f64_e32 v[66:67], v[64:65]
	v_fma_f64 v[68:69], -v[64:65], v[66:67], 1.0
	v_fma_f64 v[66:67], v[66:67], v[68:69], v[66:67]
	v_div_scale_f64 v[68:69], vcc, v[50:51], v[52:53], v[50:51]
	v_fma_f64 v[70:71], -v[64:65], v[66:67], 1.0
	v_fma_f64 v[66:67], v[66:67], v[70:71], v[66:67]
	v_mul_f64 v[70:71], v[68:69], v[66:67]
	v_fma_f64 v[64:65], -v[64:65], v[70:71], v[68:69]
	v_div_fmas_f64 v[64:65], v[64:65], v[66:67], v[70:71]
	v_div_fixup_f64 v[64:65], v[64:65], v[52:53], v[50:51]
	v_fma_f64 v[50:51], v[50:51], v[64:65], v[52:53]
	v_div_scale_f64 v[52:53], s[4:5], v[50:51], v[50:51], 1.0
	v_div_scale_f64 v[70:71], vcc, 1.0, v[50:51], 1.0
	v_rcp_f64_e32 v[66:67], v[52:53]
	v_fma_f64 v[68:69], -v[52:53], v[66:67], 1.0
	v_fma_f64 v[66:67], v[66:67], v[68:69], v[66:67]
	v_fma_f64 v[68:69], -v[52:53], v[66:67], 1.0
	v_fma_f64 v[66:67], v[66:67], v[68:69], v[66:67]
	v_mul_f64 v[68:69], v[70:71], v[66:67]
	v_fma_f64 v[52:53], -v[52:53], v[68:69], v[70:71]
	v_div_fmas_f64 v[52:53], v[52:53], v[66:67], v[68:69]
	v_div_fixup_f64 v[52:53], v[52:53], v[50:51], 1.0
	v_mul_f64 v[50:51], v[64:65], v[52:53]
	v_xor_b32_e32 v53, 0x80000000, v53
.LBB22_133:
	s_andn2_saveexec_b64 s[2:3], s[2:3]
	s_cbranch_execz .LBB22_135
; %bb.134:
	v_div_scale_f64 v[64:65], s[4:5], v[50:51], v[50:51], v[52:53]
	v_rcp_f64_e32 v[66:67], v[64:65]
	v_fma_f64 v[68:69], -v[64:65], v[66:67], 1.0
	v_fma_f64 v[66:67], v[66:67], v[68:69], v[66:67]
	v_div_scale_f64 v[68:69], vcc, v[52:53], v[50:51], v[52:53]
	v_fma_f64 v[70:71], -v[64:65], v[66:67], 1.0
	v_fma_f64 v[66:67], v[66:67], v[70:71], v[66:67]
	v_mul_f64 v[70:71], v[68:69], v[66:67]
	v_fma_f64 v[64:65], -v[64:65], v[70:71], v[68:69]
	v_div_fmas_f64 v[64:65], v[64:65], v[66:67], v[70:71]
	v_div_fixup_f64 v[64:65], v[64:65], v[50:51], v[52:53]
	v_fma_f64 v[50:51], v[52:53], v[64:65], v[50:51]
	v_div_scale_f64 v[52:53], s[4:5], v[50:51], v[50:51], 1.0
	v_div_scale_f64 v[70:71], vcc, 1.0, v[50:51], 1.0
	v_rcp_f64_e32 v[66:67], v[52:53]
	v_fma_f64 v[68:69], -v[52:53], v[66:67], 1.0
	v_fma_f64 v[66:67], v[66:67], v[68:69], v[66:67]
	v_fma_f64 v[68:69], -v[52:53], v[66:67], 1.0
	v_fma_f64 v[66:67], v[66:67], v[68:69], v[66:67]
	v_mul_f64 v[68:69], v[70:71], v[66:67]
	v_fma_f64 v[52:53], -v[52:53], v[68:69], v[70:71]
	v_div_fmas_f64 v[52:53], v[52:53], v[66:67], v[68:69]
	v_div_fixup_f64 v[50:51], v[52:53], v[50:51], 1.0
	v_mul_f64 v[52:53], v[64:65], -v[50:51]
.LBB22_135:
	s_or_b64 exec, exec, s[2:3]
.LBB22_136:
	s_or_b64 exec, exec, s[0:1]
	v_cmp_ne_u32_e32 vcc, v60, v58
	s_and_saveexec_b64 s[0:1], vcc
	s_xor_b64 s[0:1], exec, s[0:1]
	s_cbranch_execz .LBB22_142
; %bb.137:
	v_cmp_eq_u32_e32 vcc, 6, v60
	s_and_saveexec_b64 s[2:3], vcc
	s_cbranch_execz .LBB22_141
; %bb.138:
	v_cmp_ne_u32_e32 vcc, 6, v58
	s_xor_b64 s[4:5], s[18:19], -1
	s_and_b64 s[24:25], s[4:5], vcc
	s_and_saveexec_b64 s[4:5], s[24:25]
	s_cbranch_execz .LBB22_140
; %bb.139:
	v_ashrrev_i32_e32 v59, 31, v58
	v_lshlrev_b64 v[59:60], 2, v[58:59]
	v_add_co_u32_e32 v59, vcc, v56, v59
	v_addc_co_u32_e32 v60, vcc, v57, v60, vcc
	global_load_dword v0, v[59:60], off
	global_load_dword v64, v[56:57], off offset:24
	s_waitcnt vmcnt(1)
	global_store_dword v[56:57], v0, off offset:24
	s_waitcnt vmcnt(1)
	global_store_dword v[59:60], v64, off
.LBB22_140:
	s_or_b64 exec, exec, s[4:5]
	v_mov_b32_e32 v60, v58
	v_mov_b32_e32 v0, v58
.LBB22_141:
	s_or_b64 exec, exec, s[2:3]
.LBB22_142:
	s_andn2_saveexec_b64 s[0:1], s[0:1]
	s_cbranch_execz .LBB22_144
; %bb.143:
	v_mov_b32_e32 v60, 6
	ds_write2_b64 v1, v[14:15], v[16:17] offset0:14 offset1:15
	ds_write2_b64 v1, v[10:11], v[12:13] offset0:16 offset1:17
	;; [unrolled: 1-line block ×5, first 2 shown]
.LBB22_144:
	s_or_b64 exec, exec, s[0:1]
	v_cmp_lt_i32_e32 vcc, 6, v60
	s_waitcnt vmcnt(0) lgkmcnt(0)
	s_barrier
	s_and_saveexec_b64 s[0:1], vcc
	s_cbranch_execz .LBB22_146
; %bb.145:
	v_mul_f64 v[58:59], v[50:51], v[20:21]
	v_mul_f64 v[20:21], v[52:53], v[20:21]
	v_fma_f64 v[58:59], v[52:53], v[18:19], v[58:59]
	v_fma_f64 v[18:19], v[50:51], v[18:19], -v[20:21]
	ds_read2_b64 v[50:53], v1 offset0:14 offset1:15
	s_waitcnt lgkmcnt(0)
	v_mul_f64 v[20:21], v[52:53], v[58:59]
	v_fma_f64 v[20:21], v[50:51], v[18:19], -v[20:21]
	v_mul_f64 v[50:51], v[50:51], v[58:59]
	v_add_f64 v[14:15], v[14:15], -v[20:21]
	v_fma_f64 v[50:51], v[52:53], v[18:19], v[50:51]
	v_add_f64 v[16:17], v[16:17], -v[50:51]
	ds_read2_b64 v[50:53], v1 offset0:16 offset1:17
	s_waitcnt lgkmcnt(0)
	v_mul_f64 v[20:21], v[52:53], v[58:59]
	v_fma_f64 v[20:21], v[50:51], v[18:19], -v[20:21]
	v_mul_f64 v[50:51], v[50:51], v[58:59]
	v_add_f64 v[10:11], v[10:11], -v[20:21]
	v_fma_f64 v[50:51], v[52:53], v[18:19], v[50:51]
	v_add_f64 v[12:13], v[12:13], -v[50:51]
	;; [unrolled: 8-line block ×4, first 2 shown]
	ds_read2_b64 v[50:53], v1 offset0:22 offset1:23
	s_waitcnt lgkmcnt(0)
	v_mul_f64 v[20:21], v[52:53], v[58:59]
	v_fma_f64 v[20:21], v[50:51], v[18:19], -v[20:21]
	v_mul_f64 v[50:51], v[50:51], v[58:59]
	v_add_f64 v[46:47], v[46:47], -v[20:21]
	v_fma_f64 v[50:51], v[52:53], v[18:19], v[50:51]
	v_mov_b32_e32 v20, v58
	v_mov_b32_e32 v21, v59
	v_add_f64 v[48:49], v[48:49], -v[50:51]
.LBB22_146:
	s_or_b64 exec, exec, s[0:1]
	v_lshl_add_u32 v50, v60, 4, v1
	s_barrier
	ds_write2_b64 v50, v[14:15], v[16:17] offset1:1
	s_waitcnt lgkmcnt(0)
	s_barrier
	ds_read2_b64 v[50:53], v1 offset0:14 offset1:15
	s_cmp_lt_i32 s22, 9
	v_mov_b32_e32 v58, 7
	s_cbranch_scc1 .LBB22_149
; %bb.147:
	v_add_u32_e32 v59, 0x80, v1
	s_mov_b32 s2, 8
	v_mov_b32_e32 v58, 7
.LBB22_148:                             ; =>This Inner Loop Header: Depth=1
	s_waitcnt lgkmcnt(0)
	v_cmp_gt_f64_e32 vcc, 0, v[52:53]
	v_cmp_gt_f64_e64 s[0:1], 0, v[50:51]
	ds_read2_b64 v[64:67], v59 offset1:1
	v_xor_b32_e32 v69, 0x80000000, v51
	v_xor_b32_e32 v71, 0x80000000, v53
	v_mov_b32_e32 v68, v50
	v_mov_b32_e32 v70, v52
	s_waitcnt lgkmcnt(0)
	v_xor_b32_e32 v73, 0x80000000, v67
	v_cndmask_b32_e32 v71, v53, v71, vcc
	v_cndmask_b32_e64 v69, v51, v69, s[0:1]
	v_cmp_gt_f64_e32 vcc, 0, v[66:67]
	v_cmp_gt_f64_e64 s[0:1], 0, v[64:65]
	v_add_f64 v[68:69], v[68:69], v[70:71]
	v_xor_b32_e32 v71, 0x80000000, v65
	v_mov_b32_e32 v70, v64
	v_mov_b32_e32 v72, v66
	v_add_u32_e32 v59, 16, v59
	v_cndmask_b32_e32 v73, v67, v73, vcc
	v_cndmask_b32_e64 v71, v65, v71, s[0:1]
	v_add_f64 v[70:71], v[70:71], v[72:73]
	v_mov_b32_e32 v72, s2
	s_add_i32 s2, s2, 1
	s_cmp_lg_u32 s22, s2
	v_cmp_lt_f64_e32 vcc, v[68:69], v[70:71]
	v_cndmask_b32_e32 v51, v51, v65, vcc
	v_cndmask_b32_e32 v50, v50, v64, vcc
	;; [unrolled: 1-line block ×5, first 2 shown]
	s_cbranch_scc1 .LBB22_148
.LBB22_149:
	s_waitcnt lgkmcnt(0)
	v_cmp_eq_f64_e32 vcc, 0, v[50:51]
	v_cmp_eq_f64_e64 s[0:1], 0, v[52:53]
	s_and_b64 s[0:1], vcc, s[0:1]
	s_and_saveexec_b64 s[2:3], s[0:1]
	s_xor_b64 s[0:1], exec, s[2:3]
; %bb.150:
	v_cmp_ne_u32_e32 vcc, 0, v63
	v_cndmask_b32_e32 v63, 8, v63, vcc
; %bb.151:
	s_andn2_saveexec_b64 s[0:1], s[0:1]
	s_cbranch_execz .LBB22_157
; %bb.152:
	v_cmp_ngt_f64_e64 s[2:3], |v[50:51]|, |v[52:53]|
	s_and_saveexec_b64 s[4:5], s[2:3]
	s_xor_b64 s[2:3], exec, s[4:5]
	s_cbranch_execz .LBB22_154
; %bb.153:
	v_div_scale_f64 v[64:65], s[4:5], v[52:53], v[52:53], v[50:51]
	v_rcp_f64_e32 v[66:67], v[64:65]
	v_fma_f64 v[68:69], -v[64:65], v[66:67], 1.0
	v_fma_f64 v[66:67], v[66:67], v[68:69], v[66:67]
	v_div_scale_f64 v[68:69], vcc, v[50:51], v[52:53], v[50:51]
	v_fma_f64 v[70:71], -v[64:65], v[66:67], 1.0
	v_fma_f64 v[66:67], v[66:67], v[70:71], v[66:67]
	v_mul_f64 v[70:71], v[68:69], v[66:67]
	v_fma_f64 v[64:65], -v[64:65], v[70:71], v[68:69]
	v_div_fmas_f64 v[64:65], v[64:65], v[66:67], v[70:71]
	v_div_fixup_f64 v[64:65], v[64:65], v[52:53], v[50:51]
	v_fma_f64 v[50:51], v[50:51], v[64:65], v[52:53]
	v_div_scale_f64 v[52:53], s[4:5], v[50:51], v[50:51], 1.0
	v_div_scale_f64 v[70:71], vcc, 1.0, v[50:51], 1.0
	v_rcp_f64_e32 v[66:67], v[52:53]
	v_fma_f64 v[68:69], -v[52:53], v[66:67], 1.0
	v_fma_f64 v[66:67], v[66:67], v[68:69], v[66:67]
	v_fma_f64 v[68:69], -v[52:53], v[66:67], 1.0
	v_fma_f64 v[66:67], v[66:67], v[68:69], v[66:67]
	v_mul_f64 v[68:69], v[70:71], v[66:67]
	v_fma_f64 v[52:53], -v[52:53], v[68:69], v[70:71]
	v_div_fmas_f64 v[52:53], v[52:53], v[66:67], v[68:69]
	v_div_fixup_f64 v[52:53], v[52:53], v[50:51], 1.0
	v_mul_f64 v[50:51], v[64:65], v[52:53]
	v_xor_b32_e32 v53, 0x80000000, v53
.LBB22_154:
	s_andn2_saveexec_b64 s[2:3], s[2:3]
	s_cbranch_execz .LBB22_156
; %bb.155:
	v_div_scale_f64 v[64:65], s[4:5], v[50:51], v[50:51], v[52:53]
	v_rcp_f64_e32 v[66:67], v[64:65]
	v_fma_f64 v[68:69], -v[64:65], v[66:67], 1.0
	v_fma_f64 v[66:67], v[66:67], v[68:69], v[66:67]
	v_div_scale_f64 v[68:69], vcc, v[52:53], v[50:51], v[52:53]
	v_fma_f64 v[70:71], -v[64:65], v[66:67], 1.0
	v_fma_f64 v[66:67], v[66:67], v[70:71], v[66:67]
	v_mul_f64 v[70:71], v[68:69], v[66:67]
	v_fma_f64 v[64:65], -v[64:65], v[70:71], v[68:69]
	v_div_fmas_f64 v[64:65], v[64:65], v[66:67], v[70:71]
	v_div_fixup_f64 v[64:65], v[64:65], v[50:51], v[52:53]
	v_fma_f64 v[50:51], v[52:53], v[64:65], v[50:51]
	v_div_scale_f64 v[52:53], s[4:5], v[50:51], v[50:51], 1.0
	v_div_scale_f64 v[70:71], vcc, 1.0, v[50:51], 1.0
	v_rcp_f64_e32 v[66:67], v[52:53]
	v_fma_f64 v[68:69], -v[52:53], v[66:67], 1.0
	v_fma_f64 v[66:67], v[66:67], v[68:69], v[66:67]
	v_fma_f64 v[68:69], -v[52:53], v[66:67], 1.0
	v_fma_f64 v[66:67], v[66:67], v[68:69], v[66:67]
	v_mul_f64 v[68:69], v[70:71], v[66:67]
	v_fma_f64 v[52:53], -v[52:53], v[68:69], v[70:71]
	v_div_fmas_f64 v[52:53], v[52:53], v[66:67], v[68:69]
	v_div_fixup_f64 v[50:51], v[52:53], v[50:51], 1.0
	v_mul_f64 v[52:53], v[64:65], -v[50:51]
.LBB22_156:
	s_or_b64 exec, exec, s[2:3]
.LBB22_157:
	s_or_b64 exec, exec, s[0:1]
	v_cmp_ne_u32_e32 vcc, v60, v58
	s_and_saveexec_b64 s[0:1], vcc
	s_xor_b64 s[0:1], exec, s[0:1]
	s_cbranch_execz .LBB22_163
; %bb.158:
	v_cmp_eq_u32_e32 vcc, 7, v60
	s_and_saveexec_b64 s[2:3], vcc
	s_cbranch_execz .LBB22_162
; %bb.159:
	v_cmp_ne_u32_e32 vcc, 7, v58
	s_xor_b64 s[4:5], s[18:19], -1
	s_and_b64 s[24:25], s[4:5], vcc
	s_and_saveexec_b64 s[4:5], s[24:25]
	s_cbranch_execz .LBB22_161
; %bb.160:
	v_ashrrev_i32_e32 v59, 31, v58
	v_lshlrev_b64 v[59:60], 2, v[58:59]
	v_add_co_u32_e32 v59, vcc, v56, v59
	v_addc_co_u32_e32 v60, vcc, v57, v60, vcc
	global_load_dword v0, v[59:60], off
	global_load_dword v64, v[56:57], off offset:28
	s_waitcnt vmcnt(1)
	global_store_dword v[56:57], v0, off offset:28
	s_waitcnt vmcnt(1)
	global_store_dword v[59:60], v64, off
.LBB22_161:
	s_or_b64 exec, exec, s[4:5]
	v_mov_b32_e32 v60, v58
	v_mov_b32_e32 v0, v58
.LBB22_162:
	s_or_b64 exec, exec, s[2:3]
.LBB22_163:
	s_andn2_saveexec_b64 s[0:1], s[0:1]
	s_cbranch_execz .LBB22_165
; %bb.164:
	v_mov_b32_e32 v60, 7
	ds_write2_b64 v1, v[10:11], v[12:13] offset0:16 offset1:17
	ds_write2_b64 v1, v[6:7], v[8:9] offset0:18 offset1:19
	;; [unrolled: 1-line block ×4, first 2 shown]
.LBB22_165:
	s_or_b64 exec, exec, s[0:1]
	v_cmp_lt_i32_e32 vcc, 7, v60
	s_waitcnt vmcnt(0) lgkmcnt(0)
	s_barrier
	s_and_saveexec_b64 s[0:1], vcc
	s_cbranch_execz .LBB22_167
; %bb.166:
	v_mul_f64 v[58:59], v[50:51], v[16:17]
	v_mul_f64 v[16:17], v[52:53], v[16:17]
	v_fma_f64 v[58:59], v[52:53], v[14:15], v[58:59]
	v_fma_f64 v[14:15], v[50:51], v[14:15], -v[16:17]
	ds_read2_b64 v[50:53], v1 offset0:16 offset1:17
	s_waitcnt lgkmcnt(0)
	v_mul_f64 v[16:17], v[52:53], v[58:59]
	v_fma_f64 v[16:17], v[50:51], v[14:15], -v[16:17]
	v_mul_f64 v[50:51], v[50:51], v[58:59]
	v_add_f64 v[10:11], v[10:11], -v[16:17]
	v_fma_f64 v[50:51], v[52:53], v[14:15], v[50:51]
	v_add_f64 v[12:13], v[12:13], -v[50:51]
	ds_read2_b64 v[50:53], v1 offset0:18 offset1:19
	s_waitcnt lgkmcnt(0)
	v_mul_f64 v[16:17], v[52:53], v[58:59]
	v_fma_f64 v[16:17], v[50:51], v[14:15], -v[16:17]
	v_mul_f64 v[50:51], v[50:51], v[58:59]
	v_add_f64 v[6:7], v[6:7], -v[16:17]
	v_fma_f64 v[50:51], v[52:53], v[14:15], v[50:51]
	v_add_f64 v[8:9], v[8:9], -v[50:51]
	;; [unrolled: 8-line block ×3, first 2 shown]
	ds_read2_b64 v[50:53], v1 offset0:22 offset1:23
	s_waitcnt lgkmcnt(0)
	v_mul_f64 v[16:17], v[52:53], v[58:59]
	v_fma_f64 v[16:17], v[50:51], v[14:15], -v[16:17]
	v_mul_f64 v[50:51], v[50:51], v[58:59]
	v_add_f64 v[46:47], v[46:47], -v[16:17]
	v_fma_f64 v[50:51], v[52:53], v[14:15], v[50:51]
	v_mov_b32_e32 v16, v58
	v_mov_b32_e32 v17, v59
	v_add_f64 v[48:49], v[48:49], -v[50:51]
.LBB22_167:
	s_or_b64 exec, exec, s[0:1]
	v_lshl_add_u32 v50, v60, 4, v1
	s_barrier
	ds_write2_b64 v50, v[10:11], v[12:13] offset1:1
	s_waitcnt lgkmcnt(0)
	s_barrier
	ds_read2_b64 v[50:53], v1 offset0:16 offset1:17
	s_cmp_lt_i32 s22, 10
	v_mov_b32_e32 v58, 8
	s_cbranch_scc1 .LBB22_170
; %bb.168:
	v_add_u32_e32 v59, 0x90, v1
	s_mov_b32 s2, 9
	v_mov_b32_e32 v58, 8
.LBB22_169:                             ; =>This Inner Loop Header: Depth=1
	s_waitcnt lgkmcnt(0)
	v_cmp_gt_f64_e32 vcc, 0, v[52:53]
	v_cmp_gt_f64_e64 s[0:1], 0, v[50:51]
	ds_read2_b64 v[64:67], v59 offset1:1
	v_xor_b32_e32 v69, 0x80000000, v51
	v_xor_b32_e32 v71, 0x80000000, v53
	v_mov_b32_e32 v68, v50
	v_mov_b32_e32 v70, v52
	s_waitcnt lgkmcnt(0)
	v_xor_b32_e32 v73, 0x80000000, v67
	v_cndmask_b32_e32 v71, v53, v71, vcc
	v_cndmask_b32_e64 v69, v51, v69, s[0:1]
	v_cmp_gt_f64_e32 vcc, 0, v[66:67]
	v_cmp_gt_f64_e64 s[0:1], 0, v[64:65]
	v_add_f64 v[68:69], v[68:69], v[70:71]
	v_xor_b32_e32 v71, 0x80000000, v65
	v_mov_b32_e32 v70, v64
	v_mov_b32_e32 v72, v66
	v_add_u32_e32 v59, 16, v59
	v_cndmask_b32_e32 v73, v67, v73, vcc
	v_cndmask_b32_e64 v71, v65, v71, s[0:1]
	v_add_f64 v[70:71], v[70:71], v[72:73]
	v_mov_b32_e32 v72, s2
	s_add_i32 s2, s2, 1
	s_cmp_lg_u32 s22, s2
	v_cmp_lt_f64_e32 vcc, v[68:69], v[70:71]
	v_cndmask_b32_e32 v51, v51, v65, vcc
	v_cndmask_b32_e32 v50, v50, v64, vcc
	;; [unrolled: 1-line block ×5, first 2 shown]
	s_cbranch_scc1 .LBB22_169
.LBB22_170:
	s_waitcnt lgkmcnt(0)
	v_cmp_eq_f64_e32 vcc, 0, v[50:51]
	v_cmp_eq_f64_e64 s[0:1], 0, v[52:53]
	s_and_b64 s[0:1], vcc, s[0:1]
	s_and_saveexec_b64 s[2:3], s[0:1]
	s_xor_b64 s[0:1], exec, s[2:3]
; %bb.171:
	v_cmp_ne_u32_e32 vcc, 0, v63
	v_cndmask_b32_e32 v63, 9, v63, vcc
; %bb.172:
	s_andn2_saveexec_b64 s[0:1], s[0:1]
	s_cbranch_execz .LBB22_178
; %bb.173:
	v_cmp_ngt_f64_e64 s[2:3], |v[50:51]|, |v[52:53]|
	s_and_saveexec_b64 s[4:5], s[2:3]
	s_xor_b64 s[2:3], exec, s[4:5]
	s_cbranch_execz .LBB22_175
; %bb.174:
	v_div_scale_f64 v[64:65], s[4:5], v[52:53], v[52:53], v[50:51]
	v_rcp_f64_e32 v[66:67], v[64:65]
	v_fma_f64 v[68:69], -v[64:65], v[66:67], 1.0
	v_fma_f64 v[66:67], v[66:67], v[68:69], v[66:67]
	v_div_scale_f64 v[68:69], vcc, v[50:51], v[52:53], v[50:51]
	v_fma_f64 v[70:71], -v[64:65], v[66:67], 1.0
	v_fma_f64 v[66:67], v[66:67], v[70:71], v[66:67]
	v_mul_f64 v[70:71], v[68:69], v[66:67]
	v_fma_f64 v[64:65], -v[64:65], v[70:71], v[68:69]
	v_div_fmas_f64 v[64:65], v[64:65], v[66:67], v[70:71]
	v_div_fixup_f64 v[64:65], v[64:65], v[52:53], v[50:51]
	v_fma_f64 v[50:51], v[50:51], v[64:65], v[52:53]
	v_div_scale_f64 v[52:53], s[4:5], v[50:51], v[50:51], 1.0
	v_div_scale_f64 v[70:71], vcc, 1.0, v[50:51], 1.0
	v_rcp_f64_e32 v[66:67], v[52:53]
	v_fma_f64 v[68:69], -v[52:53], v[66:67], 1.0
	v_fma_f64 v[66:67], v[66:67], v[68:69], v[66:67]
	v_fma_f64 v[68:69], -v[52:53], v[66:67], 1.0
	v_fma_f64 v[66:67], v[66:67], v[68:69], v[66:67]
	v_mul_f64 v[68:69], v[70:71], v[66:67]
	v_fma_f64 v[52:53], -v[52:53], v[68:69], v[70:71]
	v_div_fmas_f64 v[52:53], v[52:53], v[66:67], v[68:69]
	v_div_fixup_f64 v[52:53], v[52:53], v[50:51], 1.0
	v_mul_f64 v[50:51], v[64:65], v[52:53]
	v_xor_b32_e32 v53, 0x80000000, v53
.LBB22_175:
	s_andn2_saveexec_b64 s[2:3], s[2:3]
	s_cbranch_execz .LBB22_177
; %bb.176:
	v_div_scale_f64 v[64:65], s[4:5], v[50:51], v[50:51], v[52:53]
	v_rcp_f64_e32 v[66:67], v[64:65]
	v_fma_f64 v[68:69], -v[64:65], v[66:67], 1.0
	v_fma_f64 v[66:67], v[66:67], v[68:69], v[66:67]
	v_div_scale_f64 v[68:69], vcc, v[52:53], v[50:51], v[52:53]
	v_fma_f64 v[70:71], -v[64:65], v[66:67], 1.0
	v_fma_f64 v[66:67], v[66:67], v[70:71], v[66:67]
	v_mul_f64 v[70:71], v[68:69], v[66:67]
	v_fma_f64 v[64:65], -v[64:65], v[70:71], v[68:69]
	v_div_fmas_f64 v[64:65], v[64:65], v[66:67], v[70:71]
	v_div_fixup_f64 v[64:65], v[64:65], v[50:51], v[52:53]
	v_fma_f64 v[50:51], v[52:53], v[64:65], v[50:51]
	v_div_scale_f64 v[52:53], s[4:5], v[50:51], v[50:51], 1.0
	v_div_scale_f64 v[70:71], vcc, 1.0, v[50:51], 1.0
	v_rcp_f64_e32 v[66:67], v[52:53]
	v_fma_f64 v[68:69], -v[52:53], v[66:67], 1.0
	v_fma_f64 v[66:67], v[66:67], v[68:69], v[66:67]
	v_fma_f64 v[68:69], -v[52:53], v[66:67], 1.0
	v_fma_f64 v[66:67], v[66:67], v[68:69], v[66:67]
	v_mul_f64 v[68:69], v[70:71], v[66:67]
	v_fma_f64 v[52:53], -v[52:53], v[68:69], v[70:71]
	v_div_fmas_f64 v[52:53], v[52:53], v[66:67], v[68:69]
	v_div_fixup_f64 v[50:51], v[52:53], v[50:51], 1.0
	v_mul_f64 v[52:53], v[64:65], -v[50:51]
.LBB22_177:
	s_or_b64 exec, exec, s[2:3]
.LBB22_178:
	s_or_b64 exec, exec, s[0:1]
	v_cmp_ne_u32_e32 vcc, v60, v58
	s_and_saveexec_b64 s[0:1], vcc
	s_xor_b64 s[0:1], exec, s[0:1]
	s_cbranch_execz .LBB22_184
; %bb.179:
	v_cmp_eq_u32_e32 vcc, 8, v60
	s_and_saveexec_b64 s[2:3], vcc
	s_cbranch_execz .LBB22_183
; %bb.180:
	v_cmp_ne_u32_e32 vcc, 8, v58
	s_xor_b64 s[4:5], s[18:19], -1
	s_and_b64 s[24:25], s[4:5], vcc
	s_and_saveexec_b64 s[4:5], s[24:25]
	s_cbranch_execz .LBB22_182
; %bb.181:
	v_ashrrev_i32_e32 v59, 31, v58
	v_lshlrev_b64 v[59:60], 2, v[58:59]
	v_add_co_u32_e32 v59, vcc, v56, v59
	v_addc_co_u32_e32 v60, vcc, v57, v60, vcc
	global_load_dword v0, v[59:60], off
	global_load_dword v64, v[56:57], off offset:32
	s_waitcnt vmcnt(1)
	global_store_dword v[56:57], v0, off offset:32
	s_waitcnt vmcnt(1)
	global_store_dword v[59:60], v64, off
.LBB22_182:
	s_or_b64 exec, exec, s[4:5]
	v_mov_b32_e32 v60, v58
	v_mov_b32_e32 v0, v58
.LBB22_183:
	s_or_b64 exec, exec, s[2:3]
.LBB22_184:
	s_andn2_saveexec_b64 s[0:1], s[0:1]
	s_cbranch_execz .LBB22_186
; %bb.185:
	v_mov_b32_e32 v60, 8
	ds_write2_b64 v1, v[6:7], v[8:9] offset0:18 offset1:19
	ds_write2_b64 v1, v[2:3], v[4:5] offset0:20 offset1:21
	;; [unrolled: 1-line block ×3, first 2 shown]
.LBB22_186:
	s_or_b64 exec, exec, s[0:1]
	v_cmp_lt_i32_e32 vcc, 8, v60
	s_waitcnt vmcnt(0) lgkmcnt(0)
	s_barrier
	s_and_saveexec_b64 s[0:1], vcc
	s_cbranch_execz .LBB22_188
; %bb.187:
	v_mul_f64 v[58:59], v[50:51], v[12:13]
	v_mul_f64 v[12:13], v[52:53], v[12:13]
	ds_read2_b64 v[64:67], v1 offset0:18 offset1:19
	ds_read2_b64 v[68:71], v1 offset0:20 offset1:21
	;; [unrolled: 1-line block ×3, first 2 shown]
	v_fma_f64 v[52:53], v[52:53], v[10:11], v[58:59]
	v_fma_f64 v[10:11], v[50:51], v[10:11], -v[12:13]
	s_waitcnt lgkmcnt(2)
	v_mul_f64 v[12:13], v[66:67], v[52:53]
	v_mul_f64 v[50:51], v[64:65], v[52:53]
	s_waitcnt lgkmcnt(1)
	v_mul_f64 v[58:59], v[70:71], v[52:53]
	v_mul_f64 v[76:77], v[68:69], v[52:53]
	;; [unrolled: 3-line block ×3, first 2 shown]
	v_fma_f64 v[12:13], v[64:65], v[10:11], -v[12:13]
	v_fma_f64 v[50:51], v[66:67], v[10:11], v[50:51]
	v_fma_f64 v[58:59], v[68:69], v[10:11], -v[58:59]
	v_fma_f64 v[64:65], v[70:71], v[10:11], v[76:77]
	;; [unrolled: 2-line block ×3, first 2 shown]
	v_add_f64 v[6:7], v[6:7], -v[12:13]
	v_add_f64 v[8:9], v[8:9], -v[50:51]
	;; [unrolled: 1-line block ×6, first 2 shown]
	v_mov_b32_e32 v12, v52
	v_mov_b32_e32 v13, v53
.LBB22_188:
	s_or_b64 exec, exec, s[0:1]
	v_lshl_add_u32 v50, v60, 4, v1
	s_barrier
	ds_write2_b64 v50, v[6:7], v[8:9] offset1:1
	s_waitcnt lgkmcnt(0)
	s_barrier
	ds_read2_b64 v[50:53], v1 offset0:18 offset1:19
	s_cmp_lt_i32 s22, 11
	v_mov_b32_e32 v58, 9
	s_cbranch_scc1 .LBB22_191
; %bb.189:
	v_add_u32_e32 v59, 0xa0, v1
	s_mov_b32 s2, 10
	v_mov_b32_e32 v58, 9
.LBB22_190:                             ; =>This Inner Loop Header: Depth=1
	s_waitcnt lgkmcnt(0)
	v_cmp_gt_f64_e32 vcc, 0, v[52:53]
	v_cmp_gt_f64_e64 s[0:1], 0, v[50:51]
	ds_read2_b64 v[64:67], v59 offset1:1
	v_xor_b32_e32 v69, 0x80000000, v51
	v_xor_b32_e32 v71, 0x80000000, v53
	v_mov_b32_e32 v68, v50
	v_mov_b32_e32 v70, v52
	s_waitcnt lgkmcnt(0)
	v_xor_b32_e32 v73, 0x80000000, v67
	v_cndmask_b32_e32 v71, v53, v71, vcc
	v_cndmask_b32_e64 v69, v51, v69, s[0:1]
	v_cmp_gt_f64_e32 vcc, 0, v[66:67]
	v_cmp_gt_f64_e64 s[0:1], 0, v[64:65]
	v_add_f64 v[68:69], v[68:69], v[70:71]
	v_xor_b32_e32 v71, 0x80000000, v65
	v_mov_b32_e32 v70, v64
	v_mov_b32_e32 v72, v66
	v_add_u32_e32 v59, 16, v59
	v_cndmask_b32_e32 v73, v67, v73, vcc
	v_cndmask_b32_e64 v71, v65, v71, s[0:1]
	v_add_f64 v[70:71], v[70:71], v[72:73]
	v_mov_b32_e32 v72, s2
	s_add_i32 s2, s2, 1
	s_cmp_lg_u32 s22, s2
	v_cmp_lt_f64_e32 vcc, v[68:69], v[70:71]
	v_cndmask_b32_e32 v51, v51, v65, vcc
	v_cndmask_b32_e32 v50, v50, v64, vcc
	;; [unrolled: 1-line block ×5, first 2 shown]
	s_cbranch_scc1 .LBB22_190
.LBB22_191:
	s_waitcnt lgkmcnt(0)
	v_cmp_eq_f64_e32 vcc, 0, v[50:51]
	v_cmp_eq_f64_e64 s[0:1], 0, v[52:53]
	s_and_b64 s[0:1], vcc, s[0:1]
	s_and_saveexec_b64 s[2:3], s[0:1]
	s_xor_b64 s[0:1], exec, s[2:3]
; %bb.192:
	v_cmp_ne_u32_e32 vcc, 0, v63
	v_cndmask_b32_e32 v63, 10, v63, vcc
; %bb.193:
	s_andn2_saveexec_b64 s[0:1], s[0:1]
	s_cbranch_execz .LBB22_199
; %bb.194:
	v_cmp_ngt_f64_e64 s[2:3], |v[50:51]|, |v[52:53]|
	s_and_saveexec_b64 s[4:5], s[2:3]
	s_xor_b64 s[2:3], exec, s[4:5]
	s_cbranch_execz .LBB22_196
; %bb.195:
	v_div_scale_f64 v[64:65], s[4:5], v[52:53], v[52:53], v[50:51]
	v_rcp_f64_e32 v[66:67], v[64:65]
	v_fma_f64 v[68:69], -v[64:65], v[66:67], 1.0
	v_fma_f64 v[66:67], v[66:67], v[68:69], v[66:67]
	v_div_scale_f64 v[68:69], vcc, v[50:51], v[52:53], v[50:51]
	v_fma_f64 v[70:71], -v[64:65], v[66:67], 1.0
	v_fma_f64 v[66:67], v[66:67], v[70:71], v[66:67]
	v_mul_f64 v[70:71], v[68:69], v[66:67]
	v_fma_f64 v[64:65], -v[64:65], v[70:71], v[68:69]
	v_div_fmas_f64 v[64:65], v[64:65], v[66:67], v[70:71]
	v_div_fixup_f64 v[64:65], v[64:65], v[52:53], v[50:51]
	v_fma_f64 v[50:51], v[50:51], v[64:65], v[52:53]
	v_div_scale_f64 v[52:53], s[4:5], v[50:51], v[50:51], 1.0
	v_div_scale_f64 v[70:71], vcc, 1.0, v[50:51], 1.0
	v_rcp_f64_e32 v[66:67], v[52:53]
	v_fma_f64 v[68:69], -v[52:53], v[66:67], 1.0
	v_fma_f64 v[66:67], v[66:67], v[68:69], v[66:67]
	v_fma_f64 v[68:69], -v[52:53], v[66:67], 1.0
	v_fma_f64 v[66:67], v[66:67], v[68:69], v[66:67]
	v_mul_f64 v[68:69], v[70:71], v[66:67]
	v_fma_f64 v[52:53], -v[52:53], v[68:69], v[70:71]
	v_div_fmas_f64 v[52:53], v[52:53], v[66:67], v[68:69]
	v_div_fixup_f64 v[52:53], v[52:53], v[50:51], 1.0
	v_mul_f64 v[50:51], v[64:65], v[52:53]
	v_xor_b32_e32 v53, 0x80000000, v53
.LBB22_196:
	s_andn2_saveexec_b64 s[2:3], s[2:3]
	s_cbranch_execz .LBB22_198
; %bb.197:
	v_div_scale_f64 v[64:65], s[4:5], v[50:51], v[50:51], v[52:53]
	v_rcp_f64_e32 v[66:67], v[64:65]
	v_fma_f64 v[68:69], -v[64:65], v[66:67], 1.0
	v_fma_f64 v[66:67], v[66:67], v[68:69], v[66:67]
	v_div_scale_f64 v[68:69], vcc, v[52:53], v[50:51], v[52:53]
	v_fma_f64 v[70:71], -v[64:65], v[66:67], 1.0
	v_fma_f64 v[66:67], v[66:67], v[70:71], v[66:67]
	v_mul_f64 v[70:71], v[68:69], v[66:67]
	v_fma_f64 v[64:65], -v[64:65], v[70:71], v[68:69]
	v_div_fmas_f64 v[64:65], v[64:65], v[66:67], v[70:71]
	v_div_fixup_f64 v[64:65], v[64:65], v[50:51], v[52:53]
	v_fma_f64 v[50:51], v[52:53], v[64:65], v[50:51]
	v_div_scale_f64 v[52:53], s[4:5], v[50:51], v[50:51], 1.0
	v_div_scale_f64 v[70:71], vcc, 1.0, v[50:51], 1.0
	v_rcp_f64_e32 v[66:67], v[52:53]
	v_fma_f64 v[68:69], -v[52:53], v[66:67], 1.0
	v_fma_f64 v[66:67], v[66:67], v[68:69], v[66:67]
	v_fma_f64 v[68:69], -v[52:53], v[66:67], 1.0
	v_fma_f64 v[66:67], v[66:67], v[68:69], v[66:67]
	v_mul_f64 v[68:69], v[70:71], v[66:67]
	v_fma_f64 v[52:53], -v[52:53], v[68:69], v[70:71]
	v_div_fmas_f64 v[52:53], v[52:53], v[66:67], v[68:69]
	v_div_fixup_f64 v[50:51], v[52:53], v[50:51], 1.0
	v_mul_f64 v[52:53], v[64:65], -v[50:51]
.LBB22_198:
	s_or_b64 exec, exec, s[2:3]
.LBB22_199:
	s_or_b64 exec, exec, s[0:1]
	v_cmp_ne_u32_e32 vcc, v60, v58
	s_and_saveexec_b64 s[0:1], vcc
	s_xor_b64 s[0:1], exec, s[0:1]
	s_cbranch_execz .LBB22_205
; %bb.200:
	v_cmp_eq_u32_e32 vcc, 9, v60
	s_and_saveexec_b64 s[2:3], vcc
	s_cbranch_execz .LBB22_204
; %bb.201:
	v_cmp_ne_u32_e32 vcc, 9, v58
	s_xor_b64 s[4:5], s[18:19], -1
	s_and_b64 s[24:25], s[4:5], vcc
	s_and_saveexec_b64 s[4:5], s[24:25]
	s_cbranch_execz .LBB22_203
; %bb.202:
	v_ashrrev_i32_e32 v59, 31, v58
	v_lshlrev_b64 v[59:60], 2, v[58:59]
	v_add_co_u32_e32 v59, vcc, v56, v59
	v_addc_co_u32_e32 v60, vcc, v57, v60, vcc
	global_load_dword v0, v[59:60], off
	global_load_dword v64, v[56:57], off offset:36
	s_waitcnt vmcnt(1)
	global_store_dword v[56:57], v0, off offset:36
	s_waitcnt vmcnt(1)
	global_store_dword v[59:60], v64, off
.LBB22_203:
	s_or_b64 exec, exec, s[4:5]
	v_mov_b32_e32 v60, v58
	v_mov_b32_e32 v0, v58
.LBB22_204:
	s_or_b64 exec, exec, s[2:3]
.LBB22_205:
	s_andn2_saveexec_b64 s[0:1], s[0:1]
	s_cbranch_execz .LBB22_207
; %bb.206:
	v_mov_b32_e32 v60, 9
	ds_write2_b64 v1, v[2:3], v[4:5] offset0:20 offset1:21
	ds_write2_b64 v1, v[46:47], v[48:49] offset0:22 offset1:23
.LBB22_207:
	s_or_b64 exec, exec, s[0:1]
	v_cmp_lt_i32_e32 vcc, 9, v60
	s_waitcnt vmcnt(0) lgkmcnt(0)
	s_barrier
	s_and_saveexec_b64 s[0:1], vcc
	s_cbranch_execz .LBB22_209
; %bb.208:
	v_mul_f64 v[58:59], v[50:51], v[8:9]
	v_mul_f64 v[8:9], v[52:53], v[8:9]
	ds_read2_b64 v[64:67], v1 offset0:20 offset1:21
	ds_read2_b64 v[68:71], v1 offset0:22 offset1:23
	v_fma_f64 v[52:53], v[52:53], v[6:7], v[58:59]
	v_fma_f64 v[6:7], v[50:51], v[6:7], -v[8:9]
	s_waitcnt lgkmcnt(1)
	v_mul_f64 v[8:9], v[66:67], v[52:53]
	v_mul_f64 v[50:51], v[64:65], v[52:53]
	s_waitcnt lgkmcnt(0)
	v_mul_f64 v[58:59], v[70:71], v[52:53]
	v_mul_f64 v[72:73], v[68:69], v[52:53]
	v_fma_f64 v[8:9], v[64:65], v[6:7], -v[8:9]
	v_fma_f64 v[50:51], v[66:67], v[6:7], v[50:51]
	v_fma_f64 v[58:59], v[68:69], v[6:7], -v[58:59]
	v_fma_f64 v[64:65], v[70:71], v[6:7], v[72:73]
	v_add_f64 v[2:3], v[2:3], -v[8:9]
	v_add_f64 v[4:5], v[4:5], -v[50:51]
	;; [unrolled: 1-line block ×4, first 2 shown]
	v_mov_b32_e32 v8, v52
	v_mov_b32_e32 v9, v53
.LBB22_209:
	s_or_b64 exec, exec, s[0:1]
	v_lshl_add_u32 v50, v60, 4, v1
	s_barrier
	ds_write2_b64 v50, v[2:3], v[4:5] offset1:1
	s_waitcnt lgkmcnt(0)
	s_barrier
	ds_read2_b64 v[50:53], v1 offset0:20 offset1:21
	s_cmp_lt_i32 s22, 12
	v_mov_b32_e32 v58, 10
	s_cbranch_scc1 .LBB22_212
; %bb.210:
	v_add_u32_e32 v59, 0xb0, v1
	s_mov_b32 s2, 11
	v_mov_b32_e32 v58, 10
.LBB22_211:                             ; =>This Inner Loop Header: Depth=1
	s_waitcnt lgkmcnt(0)
	v_cmp_gt_f64_e32 vcc, 0, v[52:53]
	v_cmp_gt_f64_e64 s[0:1], 0, v[50:51]
	ds_read2_b64 v[64:67], v59 offset1:1
	v_xor_b32_e32 v69, 0x80000000, v51
	v_xor_b32_e32 v71, 0x80000000, v53
	v_mov_b32_e32 v68, v50
	v_mov_b32_e32 v70, v52
	s_waitcnt lgkmcnt(0)
	v_xor_b32_e32 v73, 0x80000000, v67
	v_cndmask_b32_e32 v71, v53, v71, vcc
	v_cndmask_b32_e64 v69, v51, v69, s[0:1]
	v_cmp_gt_f64_e32 vcc, 0, v[66:67]
	v_cmp_gt_f64_e64 s[0:1], 0, v[64:65]
	v_add_f64 v[68:69], v[68:69], v[70:71]
	v_xor_b32_e32 v71, 0x80000000, v65
	v_mov_b32_e32 v70, v64
	v_mov_b32_e32 v72, v66
	v_add_u32_e32 v59, 16, v59
	v_cndmask_b32_e32 v73, v67, v73, vcc
	v_cndmask_b32_e64 v71, v65, v71, s[0:1]
	v_add_f64 v[70:71], v[70:71], v[72:73]
	v_mov_b32_e32 v72, s2
	s_add_i32 s2, s2, 1
	s_cmp_lg_u32 s22, s2
	v_cmp_lt_f64_e32 vcc, v[68:69], v[70:71]
	v_cndmask_b32_e32 v51, v51, v65, vcc
	v_cndmask_b32_e32 v50, v50, v64, vcc
	;; [unrolled: 1-line block ×5, first 2 shown]
	s_cbranch_scc1 .LBB22_211
.LBB22_212:
	s_waitcnt lgkmcnt(0)
	v_cmp_eq_f64_e32 vcc, 0, v[50:51]
	v_cmp_eq_f64_e64 s[0:1], 0, v[52:53]
	s_and_b64 s[0:1], vcc, s[0:1]
	s_and_saveexec_b64 s[2:3], s[0:1]
	s_xor_b64 s[0:1], exec, s[2:3]
; %bb.213:
	v_cmp_ne_u32_e32 vcc, 0, v63
	v_cndmask_b32_e32 v63, 11, v63, vcc
; %bb.214:
	s_andn2_saveexec_b64 s[0:1], s[0:1]
	s_cbranch_execz .LBB22_220
; %bb.215:
	v_cmp_ngt_f64_e64 s[2:3], |v[50:51]|, |v[52:53]|
	s_and_saveexec_b64 s[4:5], s[2:3]
	s_xor_b64 s[2:3], exec, s[4:5]
	s_cbranch_execz .LBB22_217
; %bb.216:
	v_div_scale_f64 v[64:65], s[4:5], v[52:53], v[52:53], v[50:51]
	v_rcp_f64_e32 v[66:67], v[64:65]
	v_fma_f64 v[68:69], -v[64:65], v[66:67], 1.0
	v_fma_f64 v[66:67], v[66:67], v[68:69], v[66:67]
	v_div_scale_f64 v[68:69], vcc, v[50:51], v[52:53], v[50:51]
	v_fma_f64 v[70:71], -v[64:65], v[66:67], 1.0
	v_fma_f64 v[66:67], v[66:67], v[70:71], v[66:67]
	v_mul_f64 v[70:71], v[68:69], v[66:67]
	v_fma_f64 v[64:65], -v[64:65], v[70:71], v[68:69]
	v_div_fmas_f64 v[64:65], v[64:65], v[66:67], v[70:71]
	v_div_fixup_f64 v[64:65], v[64:65], v[52:53], v[50:51]
	v_fma_f64 v[50:51], v[50:51], v[64:65], v[52:53]
	v_div_scale_f64 v[52:53], s[4:5], v[50:51], v[50:51], 1.0
	v_div_scale_f64 v[70:71], vcc, 1.0, v[50:51], 1.0
	v_rcp_f64_e32 v[66:67], v[52:53]
	v_fma_f64 v[68:69], -v[52:53], v[66:67], 1.0
	v_fma_f64 v[66:67], v[66:67], v[68:69], v[66:67]
	v_fma_f64 v[68:69], -v[52:53], v[66:67], 1.0
	v_fma_f64 v[66:67], v[66:67], v[68:69], v[66:67]
	v_mul_f64 v[68:69], v[70:71], v[66:67]
	v_fma_f64 v[52:53], -v[52:53], v[68:69], v[70:71]
	v_div_fmas_f64 v[52:53], v[52:53], v[66:67], v[68:69]
	v_div_fixup_f64 v[52:53], v[52:53], v[50:51], 1.0
	v_mul_f64 v[50:51], v[64:65], v[52:53]
	v_xor_b32_e32 v53, 0x80000000, v53
.LBB22_217:
	s_andn2_saveexec_b64 s[2:3], s[2:3]
	s_cbranch_execz .LBB22_219
; %bb.218:
	v_div_scale_f64 v[64:65], s[4:5], v[50:51], v[50:51], v[52:53]
	v_rcp_f64_e32 v[66:67], v[64:65]
	v_fma_f64 v[68:69], -v[64:65], v[66:67], 1.0
	v_fma_f64 v[66:67], v[66:67], v[68:69], v[66:67]
	v_div_scale_f64 v[68:69], vcc, v[52:53], v[50:51], v[52:53]
	v_fma_f64 v[70:71], -v[64:65], v[66:67], 1.0
	v_fma_f64 v[66:67], v[66:67], v[70:71], v[66:67]
	v_mul_f64 v[70:71], v[68:69], v[66:67]
	v_fma_f64 v[64:65], -v[64:65], v[70:71], v[68:69]
	v_div_fmas_f64 v[64:65], v[64:65], v[66:67], v[70:71]
	v_div_fixup_f64 v[64:65], v[64:65], v[50:51], v[52:53]
	v_fma_f64 v[50:51], v[52:53], v[64:65], v[50:51]
	v_div_scale_f64 v[52:53], s[4:5], v[50:51], v[50:51], 1.0
	v_div_scale_f64 v[70:71], vcc, 1.0, v[50:51], 1.0
	v_rcp_f64_e32 v[66:67], v[52:53]
	v_fma_f64 v[68:69], -v[52:53], v[66:67], 1.0
	v_fma_f64 v[66:67], v[66:67], v[68:69], v[66:67]
	v_fma_f64 v[68:69], -v[52:53], v[66:67], 1.0
	v_fma_f64 v[66:67], v[66:67], v[68:69], v[66:67]
	v_mul_f64 v[68:69], v[70:71], v[66:67]
	v_fma_f64 v[52:53], -v[52:53], v[68:69], v[70:71]
	v_div_fmas_f64 v[52:53], v[52:53], v[66:67], v[68:69]
	v_div_fixup_f64 v[50:51], v[52:53], v[50:51], 1.0
	v_mul_f64 v[52:53], v[64:65], -v[50:51]
.LBB22_219:
	s_or_b64 exec, exec, s[2:3]
.LBB22_220:
	s_or_b64 exec, exec, s[0:1]
	v_cmp_ne_u32_e32 vcc, v60, v58
	s_and_saveexec_b64 s[0:1], vcc
	s_xor_b64 s[0:1], exec, s[0:1]
	s_cbranch_execz .LBB22_226
; %bb.221:
	v_cmp_eq_u32_e32 vcc, 10, v60
	s_and_saveexec_b64 s[2:3], vcc
	s_cbranch_execz .LBB22_225
; %bb.222:
	v_cmp_ne_u32_e32 vcc, 10, v58
	s_xor_b64 s[4:5], s[18:19], -1
	s_and_b64 s[24:25], s[4:5], vcc
	s_and_saveexec_b64 s[4:5], s[24:25]
	s_cbranch_execz .LBB22_224
; %bb.223:
	v_ashrrev_i32_e32 v59, 31, v58
	v_lshlrev_b64 v[59:60], 2, v[58:59]
	v_add_co_u32_e32 v59, vcc, v56, v59
	v_addc_co_u32_e32 v60, vcc, v57, v60, vcc
	global_load_dword v0, v[59:60], off
	global_load_dword v64, v[56:57], off offset:40
	s_waitcnt vmcnt(1)
	global_store_dword v[56:57], v0, off offset:40
	s_waitcnt vmcnt(1)
	global_store_dword v[59:60], v64, off
.LBB22_224:
	s_or_b64 exec, exec, s[4:5]
	v_mov_b32_e32 v60, v58
	v_mov_b32_e32 v0, v58
.LBB22_225:
	s_or_b64 exec, exec, s[2:3]
.LBB22_226:
	s_andn2_saveexec_b64 s[0:1], s[0:1]
; %bb.227:
	v_mov_b32_e32 v60, 10
	ds_write2_b64 v1, v[46:47], v[48:49] offset0:22 offset1:23
; %bb.228:
	s_or_b64 exec, exec, s[0:1]
	v_cmp_lt_i32_e32 vcc, 10, v60
	s_waitcnt vmcnt(0) lgkmcnt(0)
	s_barrier
	s_and_saveexec_b64 s[0:1], vcc
	s_cbranch_execz .LBB22_230
; %bb.229:
	v_mul_f64 v[58:59], v[50:51], v[4:5]
	v_mul_f64 v[4:5], v[52:53], v[4:5]
	ds_read2_b64 v[64:67], v1 offset0:22 offset1:23
	v_fma_f64 v[52:53], v[52:53], v[2:3], v[58:59]
	v_fma_f64 v[2:3], v[50:51], v[2:3], -v[4:5]
	s_waitcnt lgkmcnt(0)
	v_mul_f64 v[4:5], v[66:67], v[52:53]
	v_mul_f64 v[50:51], v[64:65], v[52:53]
	v_fma_f64 v[4:5], v[64:65], v[2:3], -v[4:5]
	v_fma_f64 v[50:51], v[66:67], v[2:3], v[50:51]
	v_add_f64 v[46:47], v[46:47], -v[4:5]
	v_add_f64 v[48:49], v[48:49], -v[50:51]
	v_mov_b32_e32 v4, v52
	v_mov_b32_e32 v5, v53
.LBB22_230:
	s_or_b64 exec, exec, s[0:1]
	v_lshl_add_u32 v50, v60, 4, v1
	s_barrier
	ds_write2_b64 v50, v[46:47], v[48:49] offset1:1
	s_waitcnt lgkmcnt(0)
	s_barrier
	ds_read2_b64 v[50:53], v1 offset0:22 offset1:23
	s_cmp_lt_i32 s22, 13
	v_mov_b32_e32 v58, 11
	s_cbranch_scc1 .LBB22_233
; %bb.231:
	v_add_u32_e32 v1, 0xc0, v1
	s_mov_b32 s2, 12
	v_mov_b32_e32 v58, 11
.LBB22_232:                             ; =>This Inner Loop Header: Depth=1
	s_waitcnt lgkmcnt(0)
	v_cmp_gt_f64_e32 vcc, 0, v[52:53]
	v_cmp_gt_f64_e64 s[0:1], 0, v[50:51]
	ds_read2_b64 v[64:67], v1 offset1:1
	v_xor_b32_e32 v59, 0x80000000, v51
	v_xor_b32_e32 v71, 0x80000000, v53
	v_mov_b32_e32 v68, v50
	v_mov_b32_e32 v70, v52
	s_waitcnt lgkmcnt(0)
	v_xor_b32_e32 v73, 0x80000000, v67
	v_cndmask_b32_e32 v71, v53, v71, vcc
	v_cndmask_b32_e64 v69, v51, v59, s[0:1]
	v_cmp_gt_f64_e32 vcc, 0, v[66:67]
	v_cmp_gt_f64_e64 s[0:1], 0, v[64:65]
	v_xor_b32_e32 v59, 0x80000000, v65
	v_add_f64 v[68:69], v[68:69], v[70:71]
	v_mov_b32_e32 v70, v64
	v_mov_b32_e32 v72, v66
	v_add_u32_e32 v1, 16, v1
	v_cndmask_b32_e32 v73, v67, v73, vcc
	v_cndmask_b32_e64 v71, v65, v59, s[0:1]
	v_add_f64 v[70:71], v[70:71], v[72:73]
	v_mov_b32_e32 v59, s2
	s_add_i32 s2, s2, 1
	s_cmp_lg_u32 s22, s2
	v_cmp_lt_f64_e32 vcc, v[68:69], v[70:71]
	v_cndmask_b32_e32 v51, v51, v65, vcc
	v_cndmask_b32_e32 v50, v50, v64, vcc
	;; [unrolled: 1-line block ×5, first 2 shown]
	s_cbranch_scc1 .LBB22_232
.LBB22_233:
	s_waitcnt lgkmcnt(0)
	v_cmp_eq_f64_e32 vcc, 0, v[50:51]
	v_cmp_eq_f64_e64 s[0:1], 0, v[52:53]
	s_and_b64 s[0:1], vcc, s[0:1]
	s_and_saveexec_b64 s[2:3], s[0:1]
	s_xor_b64 s[0:1], exec, s[2:3]
; %bb.234:
	v_cmp_ne_u32_e32 vcc, 0, v63
	v_cndmask_b32_e32 v63, 12, v63, vcc
; %bb.235:
	s_andn2_saveexec_b64 s[0:1], s[0:1]
	s_cbranch_execz .LBB22_241
; %bb.236:
	v_cmp_ngt_f64_e64 s[2:3], |v[50:51]|, |v[52:53]|
	s_and_saveexec_b64 s[4:5], s[2:3]
	s_xor_b64 s[2:3], exec, s[4:5]
	s_cbranch_execz .LBB22_238
; %bb.237:
	v_div_scale_f64 v[64:65], s[4:5], v[52:53], v[52:53], v[50:51]
	v_rcp_f64_e32 v[66:67], v[64:65]
	v_fma_f64 v[68:69], -v[64:65], v[66:67], 1.0
	v_fma_f64 v[66:67], v[66:67], v[68:69], v[66:67]
	v_div_scale_f64 v[68:69], vcc, v[50:51], v[52:53], v[50:51]
	v_fma_f64 v[70:71], -v[64:65], v[66:67], 1.0
	v_fma_f64 v[66:67], v[66:67], v[70:71], v[66:67]
	v_mul_f64 v[70:71], v[68:69], v[66:67]
	v_fma_f64 v[64:65], -v[64:65], v[70:71], v[68:69]
	v_div_fmas_f64 v[64:65], v[64:65], v[66:67], v[70:71]
	v_div_fixup_f64 v[64:65], v[64:65], v[52:53], v[50:51]
	v_fma_f64 v[50:51], v[50:51], v[64:65], v[52:53]
	v_div_scale_f64 v[52:53], s[4:5], v[50:51], v[50:51], 1.0
	v_div_scale_f64 v[70:71], vcc, 1.0, v[50:51], 1.0
	v_rcp_f64_e32 v[66:67], v[52:53]
	v_fma_f64 v[68:69], -v[52:53], v[66:67], 1.0
	v_fma_f64 v[66:67], v[66:67], v[68:69], v[66:67]
	v_fma_f64 v[68:69], -v[52:53], v[66:67], 1.0
	v_fma_f64 v[66:67], v[66:67], v[68:69], v[66:67]
	v_mul_f64 v[68:69], v[70:71], v[66:67]
	v_fma_f64 v[52:53], -v[52:53], v[68:69], v[70:71]
	v_div_fmas_f64 v[52:53], v[52:53], v[66:67], v[68:69]
	v_div_fixup_f64 v[52:53], v[52:53], v[50:51], 1.0
	v_mul_f64 v[50:51], v[64:65], v[52:53]
	v_xor_b32_e32 v53, 0x80000000, v53
.LBB22_238:
	s_andn2_saveexec_b64 s[2:3], s[2:3]
	s_cbranch_execz .LBB22_240
; %bb.239:
	v_div_scale_f64 v[64:65], s[4:5], v[50:51], v[50:51], v[52:53]
	v_rcp_f64_e32 v[66:67], v[64:65]
	v_fma_f64 v[68:69], -v[64:65], v[66:67], 1.0
	v_fma_f64 v[66:67], v[66:67], v[68:69], v[66:67]
	v_div_scale_f64 v[68:69], vcc, v[52:53], v[50:51], v[52:53]
	v_fma_f64 v[70:71], -v[64:65], v[66:67], 1.0
	v_fma_f64 v[66:67], v[66:67], v[70:71], v[66:67]
	v_mul_f64 v[70:71], v[68:69], v[66:67]
	v_fma_f64 v[64:65], -v[64:65], v[70:71], v[68:69]
	v_div_fmas_f64 v[64:65], v[64:65], v[66:67], v[70:71]
	v_div_fixup_f64 v[64:65], v[64:65], v[50:51], v[52:53]
	v_fma_f64 v[50:51], v[52:53], v[64:65], v[50:51]
	v_div_scale_f64 v[52:53], s[4:5], v[50:51], v[50:51], 1.0
	v_div_scale_f64 v[70:71], vcc, 1.0, v[50:51], 1.0
	v_rcp_f64_e32 v[66:67], v[52:53]
	v_fma_f64 v[68:69], -v[52:53], v[66:67], 1.0
	v_fma_f64 v[66:67], v[66:67], v[68:69], v[66:67]
	v_fma_f64 v[68:69], -v[52:53], v[66:67], 1.0
	v_fma_f64 v[66:67], v[66:67], v[68:69], v[66:67]
	v_mul_f64 v[68:69], v[70:71], v[66:67]
	v_fma_f64 v[52:53], -v[52:53], v[68:69], v[70:71]
	v_div_fmas_f64 v[52:53], v[52:53], v[66:67], v[68:69]
	v_div_fixup_f64 v[50:51], v[52:53], v[50:51], 1.0
	v_mul_f64 v[52:53], v[64:65], -v[50:51]
.LBB22_240:
	s_or_b64 exec, exec, s[2:3]
.LBB22_241:
	s_or_b64 exec, exec, s[0:1]
	v_cmp_ne_u32_e32 vcc, v60, v58
	v_mov_b32_e32 v59, 11
	s_and_saveexec_b64 s[0:1], vcc
	s_cbranch_execz .LBB22_247
; %bb.242:
	v_cmp_eq_u32_e32 vcc, 11, v60
	s_and_saveexec_b64 s[2:3], vcc
	s_cbranch_execz .LBB22_246
; %bb.243:
	v_cmp_ne_u32_e32 vcc, 11, v58
	s_xor_b64 s[4:5], s[18:19], -1
	s_and_b64 s[18:19], s[4:5], vcc
	s_and_saveexec_b64 s[4:5], s[18:19]
	s_cbranch_execz .LBB22_245
; %bb.244:
	v_ashrrev_i32_e32 v59, 31, v58
	v_lshlrev_b64 v[0:1], 2, v[58:59]
	v_add_co_u32_e32 v0, vcc, v56, v0
	v_addc_co_u32_e32 v1, vcc, v57, v1, vcc
	global_load_dword v59, v[0:1], off
	global_load_dword v60, v[56:57], off offset:44
	s_waitcnt vmcnt(1)
	global_store_dword v[56:57], v59, off offset:44
	s_waitcnt vmcnt(1)
	global_store_dword v[0:1], v60, off
.LBB22_245:
	s_or_b64 exec, exec, s[4:5]
	v_mov_b32_e32 v60, v58
	v_mov_b32_e32 v0, v58
.LBB22_246:
	s_or_b64 exec, exec, s[2:3]
	v_mov_b32_e32 v59, v60
.LBB22_247:
	s_or_b64 exec, exec, s[0:1]
	v_cmp_gt_i32_e32 vcc, 12, v59
	v_ashrrev_i32_e32 v60, 31, v59
	s_waitcnt vmcnt(0)
	s_barrier
	s_barrier
	s_and_saveexec_b64 s[0:1], vcc
	s_cbranch_execz .LBB22_249
; %bb.248:
	v_mul_lo_u32 v1, s15, v54
	v_mul_lo_u32 v58, s14, v55
	v_mad_u64_u32 v[56:57], s[2:3], s14, v54, 0
	s_lshl_b64 s[2:3], s[12:13], 2
	v_add3_u32 v0, v0, s17, 1
	v_add3_u32 v57, v57, v58, v1
	v_lshlrev_b64 v[56:57], 2, v[56:57]
	v_mov_b32_e32 v1, s11
	v_add_co_u32_e32 v56, vcc, s10, v56
	v_addc_co_u32_e32 v1, vcc, v1, v57, vcc
	v_mov_b32_e32 v57, s3
	v_add_co_u32_e32 v58, vcc, s2, v56
	v_addc_co_u32_e32 v1, vcc, v1, v57, vcc
	v_lshlrev_b64 v[56:57], 2, v[59:60]
	v_add_co_u32_e32 v56, vcc, v58, v56
	v_addc_co_u32_e32 v57, vcc, v1, v57, vcc
	global_store_dword v[56:57], v0, off
.LBB22_249:
	s_or_b64 exec, exec, s[0:1]
	v_cmp_eq_u32_e32 vcc, 0, v59
	s_and_saveexec_b64 s[2:3], vcc
	s_cbranch_execz .LBB22_252
; %bb.250:
	v_lshlrev_b64 v[0:1], 2, v[54:55]
	v_mov_b32_e32 v54, s21
	v_add_co_u32_e32 v0, vcc, s20, v0
	v_addc_co_u32_e32 v1, vcc, v54, v1, vcc
	global_load_dword v54, v[0:1], off
	v_cmp_ne_u32_e64 s[0:1], 0, v63
	s_waitcnt vmcnt(0)
	v_cmp_eq_u32_e32 vcc, 0, v54
	s_and_b64 s[0:1], vcc, s[0:1]
	s_and_b64 exec, exec, s[0:1]
	s_cbranch_execz .LBB22_252
; %bb.251:
	v_add_u32_e32 v54, s17, v63
	global_store_dword v[0:1], v54, off
.LBB22_252:
	s_or_b64 exec, exec, s[2:3]
	v_mul_f64 v[0:1], v[50:51], v[48:49]
	v_mul_f64 v[54:55], v[52:53], v[48:49]
	v_lshlrev_b64 v[56:57], 4, v[59:60]
	v_mov_b32_e32 v58, s9
	v_fma_f64 v[0:1], v[52:53], v[46:47], v[0:1]
	v_fma_f64 v[50:51], v[50:51], v[46:47], -v[54:55]
	v_add_co_u32_e32 v52, vcc, v61, v56
	v_addc_co_u32_e32 v53, vcc, v62, v57, vcc
	v_cmp_lt_i32_e32 vcc, 11, v59
	global_store_dwordx4 v[52:53], v[42:45], off
	s_nop 0
	v_cndmask_b32_e32 v45, v49, v1, vcc
	v_cndmask_b32_e32 v44, v48, v0, vcc
	;; [unrolled: 1-line block ×4, first 2 shown]
	v_add_co_u32_e32 v0, vcc, s8, v52
	v_addc_co_u32_e32 v1, vcc, v53, v58, vcc
	global_store_dwordx4 v[0:1], v[38:41], off
	v_add_u32_e32 v0, s16, v59
	v_ashrrev_i32_e32 v1, 31, v0
	v_lshlrev_b64 v[38:39], 4, v[0:1]
	v_add_u32_e32 v0, s6, v0
	v_add_co_u32_e32 v38, vcc, v61, v38
	v_addc_co_u32_e32 v39, vcc, v62, v39, vcc
	v_ashrrev_i32_e32 v1, 31, v0
	global_store_dwordx4 v[38:39], v[34:37], off
	s_nop 0
	v_lshlrev_b64 v[34:35], 4, v[0:1]
	v_add_u32_e32 v0, s6, v0
	v_add_co_u32_e32 v34, vcc, v61, v34
	v_addc_co_u32_e32 v35, vcc, v62, v35, vcc
	v_ashrrev_i32_e32 v1, 31, v0
	global_store_dwordx4 v[34:35], v[30:33], off
	s_nop 0
	;; [unrolled: 7-line block ×8, first 2 shown]
	v_lshlrev_b64 v[6:7], 4, v[0:1]
	v_add_u32_e32 v0, s6, v0
	v_ashrrev_i32_e32 v1, 31, v0
	v_add_co_u32_e32 v6, vcc, v61, v6
	v_lshlrev_b64 v[0:1], 4, v[0:1]
	v_addc_co_u32_e32 v7, vcc, v62, v7, vcc
	v_add_co_u32_e32 v0, vcc, v61, v0
	v_addc_co_u32_e32 v1, vcc, v62, v1, vcc
	global_store_dwordx4 v[6:7], v[2:5], off
	global_store_dwordx4 v[0:1], v[42:45], off
.LBB22_253:
	s_endpgm
	.section	.rodata,"a",@progbits
	.p2align	6, 0x0
	.amdhsa_kernel _ZN9rocsolver6v33100L18getf2_small_kernelILi12E19rocblas_complex_numIdEiiPS3_EEvT1_T3_lS5_lPS5_llPT2_S5_S5_S7_l
		.amdhsa_group_segment_fixed_size 0
		.amdhsa_private_segment_fixed_size 0
		.amdhsa_kernarg_size 352
		.amdhsa_user_sgpr_count 6
		.amdhsa_user_sgpr_private_segment_buffer 1
		.amdhsa_user_sgpr_dispatch_ptr 0
		.amdhsa_user_sgpr_queue_ptr 0
		.amdhsa_user_sgpr_kernarg_segment_ptr 1
		.amdhsa_user_sgpr_dispatch_id 0
		.amdhsa_user_sgpr_flat_scratch_init 0
		.amdhsa_user_sgpr_private_segment_size 0
		.amdhsa_uses_dynamic_stack 0
		.amdhsa_system_sgpr_private_segment_wavefront_offset 0
		.amdhsa_system_sgpr_workgroup_id_x 1
		.amdhsa_system_sgpr_workgroup_id_y 1
		.amdhsa_system_sgpr_workgroup_id_z 0
		.amdhsa_system_sgpr_workgroup_info 0
		.amdhsa_system_vgpr_workitem_id 1
		.amdhsa_next_free_vgpr 82
		.amdhsa_next_free_sgpr 26
		.amdhsa_reserve_vcc 1
		.amdhsa_reserve_flat_scratch 0
		.amdhsa_float_round_mode_32 0
		.amdhsa_float_round_mode_16_64 0
		.amdhsa_float_denorm_mode_32 3
		.amdhsa_float_denorm_mode_16_64 3
		.amdhsa_dx10_clamp 1
		.amdhsa_ieee_mode 1
		.amdhsa_fp16_overflow 0
		.amdhsa_exception_fp_ieee_invalid_op 0
		.amdhsa_exception_fp_denorm_src 0
		.amdhsa_exception_fp_ieee_div_zero 0
		.amdhsa_exception_fp_ieee_overflow 0
		.amdhsa_exception_fp_ieee_underflow 0
		.amdhsa_exception_fp_ieee_inexact 0
		.amdhsa_exception_int_div_zero 0
	.end_amdhsa_kernel
	.section	.text._ZN9rocsolver6v33100L18getf2_small_kernelILi12E19rocblas_complex_numIdEiiPS3_EEvT1_T3_lS5_lPS5_llPT2_S5_S5_S7_l,"axG",@progbits,_ZN9rocsolver6v33100L18getf2_small_kernelILi12E19rocblas_complex_numIdEiiPS3_EEvT1_T3_lS5_lPS5_llPT2_S5_S5_S7_l,comdat
.Lfunc_end22:
	.size	_ZN9rocsolver6v33100L18getf2_small_kernelILi12E19rocblas_complex_numIdEiiPS3_EEvT1_T3_lS5_lPS5_llPT2_S5_S5_S7_l, .Lfunc_end22-_ZN9rocsolver6v33100L18getf2_small_kernelILi12E19rocblas_complex_numIdEiiPS3_EEvT1_T3_lS5_lPS5_llPT2_S5_S5_S7_l
                                        ; -- End function
	.set _ZN9rocsolver6v33100L18getf2_small_kernelILi12E19rocblas_complex_numIdEiiPS3_EEvT1_T3_lS5_lPS5_llPT2_S5_S5_S7_l.num_vgpr, 82
	.set _ZN9rocsolver6v33100L18getf2_small_kernelILi12E19rocblas_complex_numIdEiiPS3_EEvT1_T3_lS5_lPS5_llPT2_S5_S5_S7_l.num_agpr, 0
	.set _ZN9rocsolver6v33100L18getf2_small_kernelILi12E19rocblas_complex_numIdEiiPS3_EEvT1_T3_lS5_lPS5_llPT2_S5_S5_S7_l.numbered_sgpr, 26
	.set _ZN9rocsolver6v33100L18getf2_small_kernelILi12E19rocblas_complex_numIdEiiPS3_EEvT1_T3_lS5_lPS5_llPT2_S5_S5_S7_l.num_named_barrier, 0
	.set _ZN9rocsolver6v33100L18getf2_small_kernelILi12E19rocblas_complex_numIdEiiPS3_EEvT1_T3_lS5_lPS5_llPT2_S5_S5_S7_l.private_seg_size, 0
	.set _ZN9rocsolver6v33100L18getf2_small_kernelILi12E19rocblas_complex_numIdEiiPS3_EEvT1_T3_lS5_lPS5_llPT2_S5_S5_S7_l.uses_vcc, 1
	.set _ZN9rocsolver6v33100L18getf2_small_kernelILi12E19rocblas_complex_numIdEiiPS3_EEvT1_T3_lS5_lPS5_llPT2_S5_S5_S7_l.uses_flat_scratch, 0
	.set _ZN9rocsolver6v33100L18getf2_small_kernelILi12E19rocblas_complex_numIdEiiPS3_EEvT1_T3_lS5_lPS5_llPT2_S5_S5_S7_l.has_dyn_sized_stack, 0
	.set _ZN9rocsolver6v33100L18getf2_small_kernelILi12E19rocblas_complex_numIdEiiPS3_EEvT1_T3_lS5_lPS5_llPT2_S5_S5_S7_l.has_recursion, 0
	.set _ZN9rocsolver6v33100L18getf2_small_kernelILi12E19rocblas_complex_numIdEiiPS3_EEvT1_T3_lS5_lPS5_llPT2_S5_S5_S7_l.has_indirect_call, 0
	.section	.AMDGPU.csdata,"",@progbits
; Kernel info:
; codeLenInByte = 16488
; TotalNumSgprs: 30
; NumVgprs: 82
; ScratchSize: 0
; MemoryBound: 0
; FloatMode: 240
; IeeeMode: 1
; LDSByteSize: 0 bytes/workgroup (compile time only)
; SGPRBlocks: 3
; VGPRBlocks: 20
; NumSGPRsForWavesPerEU: 30
; NumVGPRsForWavesPerEU: 82
; Occupancy: 3
; WaveLimiterHint : 0
; COMPUTE_PGM_RSRC2:SCRATCH_EN: 0
; COMPUTE_PGM_RSRC2:USER_SGPR: 6
; COMPUTE_PGM_RSRC2:TRAP_HANDLER: 0
; COMPUTE_PGM_RSRC2:TGID_X_EN: 1
; COMPUTE_PGM_RSRC2:TGID_Y_EN: 1
; COMPUTE_PGM_RSRC2:TGID_Z_EN: 0
; COMPUTE_PGM_RSRC2:TIDIG_COMP_CNT: 1
	.section	.text._ZN9rocsolver6v33100L23getf2_npvt_small_kernelILi12E19rocblas_complex_numIdEiiPS3_EEvT1_T3_lS5_lPT2_S5_S5_,"axG",@progbits,_ZN9rocsolver6v33100L23getf2_npvt_small_kernelILi12E19rocblas_complex_numIdEiiPS3_EEvT1_T3_lS5_lPT2_S5_S5_,comdat
	.globl	_ZN9rocsolver6v33100L23getf2_npvt_small_kernelILi12E19rocblas_complex_numIdEiiPS3_EEvT1_T3_lS5_lPT2_S5_S5_ ; -- Begin function _ZN9rocsolver6v33100L23getf2_npvt_small_kernelILi12E19rocblas_complex_numIdEiiPS3_EEvT1_T3_lS5_lPT2_S5_S5_
	.p2align	8
	.type	_ZN9rocsolver6v33100L23getf2_npvt_small_kernelILi12E19rocblas_complex_numIdEiiPS3_EEvT1_T3_lS5_lPT2_S5_S5_,@function
_ZN9rocsolver6v33100L23getf2_npvt_small_kernelILi12E19rocblas_complex_numIdEiiPS3_EEvT1_T3_lS5_lPT2_S5_S5_: ; @_ZN9rocsolver6v33100L23getf2_npvt_small_kernelILi12E19rocblas_complex_numIdEiiPS3_EEvT1_T3_lS5_lPT2_S5_S5_
; %bb.0:
	s_mov_b64 s[54:55], s[2:3]
	s_mov_b64 s[52:53], s[0:1]
	s_load_dword s0, s[4:5], 0x44
	s_load_dwordx2 s[48:49], s[4:5], 0x30
	s_add_u32 s52, s52, s8
	s_addc_u32 s53, s53, 0
	s_waitcnt lgkmcnt(0)
	s_lshr_b32 s2, s0, 16
	s_mul_i32 s7, s7, s2
	v_add_u32_e32 v108, s7, v1
	v_cmp_gt_i32_e32 vcc, s48, v108
	s_and_saveexec_b64 s[0:1], vcc
	s_cbranch_execz .LBB23_111
; %bb.1:
	s_load_dwordx4 s[8:11], s[4:5], 0x20
	s_load_dwordx4 s[12:15], s[4:5], 0x8
	v_ashrrev_i32_e32 v109, 31, v108
	s_mulk_i32 s2, 0xc0
	s_waitcnt lgkmcnt(0)
	v_mul_lo_u32 v4, s9, v108
	v_mul_lo_u32 v5, s8, v109
	v_mad_u64_u32 v[2:3], s[0:1], s8, v108, 0
	s_load_dword s0, s[4:5], 0x18
	v_mov_b32_e32 v6, s13
	v_add3_u32 v3, v3, v5, v4
	v_lshlrev_b64 v[2:3], 4, v[2:3]
	s_lshl_b64 s[4:5], s[14:15], 4
	v_add_co_u32_e32 v2, vcc, s12, v2
	v_addc_co_u32_e32 v3, vcc, v6, v3, vcc
	s_waitcnt lgkmcnt(0)
	s_add_i32 s1, s0, s0
	v_mov_b32_e32 v4, s5
	v_add_co_u32_e32 v5, vcc, s4, v2
	v_add_u32_e32 v2, s1, v0
	v_addc_co_u32_e32 v6, vcc, v3, v4, vcc
	v_ashrrev_i32_e32 v3, 31, v2
	v_lshlrev_b64 v[3:4], 4, v[2:3]
	v_add_u32_e32 v2, s0, v2
	v_add_co_u32_e32 v98, vcc, v5, v3
	v_ashrrev_i32_e32 v3, 31, v2
	v_addc_co_u32_e32 v99, vcc, v6, v4, vcc
	v_lshlrev_b64 v[3:4], 4, v[2:3]
	v_add_u32_e32 v2, s0, v2
	v_add_co_u32_e32 v100, vcc, v5, v3
	v_ashrrev_i32_e32 v3, 31, v2
	v_addc_co_u32_e32 v101, vcc, v6, v4, vcc
	;; [unrolled: 5-line block ×8, first 2 shown]
	v_lshlrev_b64 v[3:4], 4, v[2:3]
	v_add_u32_e32 v2, s0, v2
	v_add_co_u32_e32 v116, vcc, v5, v3
	v_ashrrev_i32_e32 v3, 31, v2
	v_lshlrev_b64 v[2:3], 4, v[2:3]
	v_addc_co_u32_e32 v117, vcc, v6, v4, vcc
	v_add_co_u32_e32 v118, vcc, v5, v2
	v_addc_co_u32_e32 v119, vcc, v6, v3, vcc
	v_lshlrev_b32_e32 v2, 4, v0
	v_add_co_u32_e32 v120, vcc, v5, v2
	s_ashr_i32 s1, s0, 31
	v_addc_co_u32_e32 v121, vcc, 0, v6, vcc
	s_lshl_b64 s[0:1], s[0:1], 4
	v_mov_b32_e32 v2, s1
	v_add_co_u32_e32 v122, vcc, s0, v120
	v_addc_co_u32_e32 v123, vcc, v121, v2, vcc
	global_load_dwordx4 v[46:49], v[120:121], off
	global_load_dwordx4 v[42:45], v[122:123], off
	;; [unrolled: 1-line block ×12, first 2 shown]
	s_movk_i32 s0, 0xc0
	s_add_i32 s1, s2, 0
	v_mad_u32_u24 v124, v1, s0, 0
	v_lshl_add_u32 v1, v1, 4, s1
	v_cmp_ne_u32_e64 s[2:3], 0, v0
	v_cmp_eq_u32_e64 s[0:1], 0, v0
	s_and_saveexec_b64 s[6:7], s[0:1]
	s_cbranch_execz .LBB23_8
; %bb.2:
	s_waitcnt vmcnt(11)
	ds_write2_b64 v1, v[46:47], v[48:49] offset1:1
	s_waitcnt vmcnt(10)
	ds_write2_b64 v124, v[42:43], v[44:45] offset0:2 offset1:3
	s_waitcnt vmcnt(9)
	ds_write2_b64 v124, v[38:39], v[40:41] offset0:4 offset1:5
	;; [unrolled: 2-line block ×11, first 2 shown]
	ds_read2_b64 v[50:53], v1 offset1:1
	s_waitcnt lgkmcnt(0)
	v_cmp_neq_f64_e32 vcc, 0, v[50:51]
	v_cmp_neq_f64_e64 s[4:5], 0, v[52:53]
	s_or_b64 s[4:5], vcc, s[4:5]
	s_and_b64 exec, exec, s[4:5]
	s_cbranch_execz .LBB23_8
; %bb.3:
	v_cmp_ngt_f64_e64 s[4:5], |v[50:51]|, |v[52:53]|
                                        ; implicit-def: $vgpr54_vgpr55
	s_and_saveexec_b64 s[8:9], s[4:5]
	s_xor_b64 s[4:5], exec, s[8:9]
                                        ; implicit-def: $vgpr56_vgpr57
	s_cbranch_execz .LBB23_5
; %bb.4:
	v_div_scale_f64 v[54:55], s[8:9], v[52:53], v[52:53], v[50:51]
	v_rcp_f64_e32 v[56:57], v[54:55]
	v_fma_f64 v[58:59], -v[54:55], v[56:57], 1.0
	v_fma_f64 v[56:57], v[56:57], v[58:59], v[56:57]
	v_div_scale_f64 v[58:59], vcc, v[50:51], v[52:53], v[50:51]
	v_fma_f64 v[60:61], -v[54:55], v[56:57], 1.0
	v_fma_f64 v[56:57], v[56:57], v[60:61], v[56:57]
	v_mul_f64 v[60:61], v[58:59], v[56:57]
	v_fma_f64 v[54:55], -v[54:55], v[60:61], v[58:59]
	v_div_fmas_f64 v[54:55], v[54:55], v[56:57], v[60:61]
	v_div_fixup_f64 v[54:55], v[54:55], v[52:53], v[50:51]
	v_fma_f64 v[50:51], v[50:51], v[54:55], v[52:53]
	v_div_scale_f64 v[52:53], s[8:9], v[50:51], v[50:51], 1.0
	v_div_scale_f64 v[60:61], vcc, 1.0, v[50:51], 1.0
	v_rcp_f64_e32 v[56:57], v[52:53]
	v_fma_f64 v[58:59], -v[52:53], v[56:57], 1.0
	v_fma_f64 v[56:57], v[56:57], v[58:59], v[56:57]
	v_fma_f64 v[58:59], -v[52:53], v[56:57], 1.0
	v_fma_f64 v[56:57], v[56:57], v[58:59], v[56:57]
	v_mul_f64 v[58:59], v[60:61], v[56:57]
	v_fma_f64 v[52:53], -v[52:53], v[58:59], v[60:61]
	v_div_fmas_f64 v[52:53], v[52:53], v[56:57], v[58:59]
	v_div_fixup_f64 v[56:57], v[52:53], v[50:51], 1.0
                                        ; implicit-def: $vgpr50_vgpr51
	v_mul_f64 v[54:55], v[54:55], v[56:57]
	v_xor_b32_e32 v57, 0x80000000, v57
.LBB23_5:
	s_andn2_saveexec_b64 s[4:5], s[4:5]
	s_cbranch_execz .LBB23_7
; %bb.6:
	v_div_scale_f64 v[54:55], s[8:9], v[50:51], v[50:51], v[52:53]
	v_rcp_f64_e32 v[56:57], v[54:55]
	v_fma_f64 v[58:59], -v[54:55], v[56:57], 1.0
	v_fma_f64 v[56:57], v[56:57], v[58:59], v[56:57]
	v_div_scale_f64 v[58:59], vcc, v[52:53], v[50:51], v[52:53]
	v_fma_f64 v[60:61], -v[54:55], v[56:57], 1.0
	v_fma_f64 v[56:57], v[56:57], v[60:61], v[56:57]
	v_mul_f64 v[60:61], v[58:59], v[56:57]
	v_fma_f64 v[54:55], -v[54:55], v[60:61], v[58:59]
	v_div_fmas_f64 v[54:55], v[54:55], v[56:57], v[60:61]
	v_div_fixup_f64 v[56:57], v[54:55], v[50:51], v[52:53]
	v_fma_f64 v[50:51], v[52:53], v[56:57], v[50:51]
	v_div_scale_f64 v[52:53], s[8:9], v[50:51], v[50:51], 1.0
	v_div_scale_f64 v[60:61], vcc, 1.0, v[50:51], 1.0
	v_rcp_f64_e32 v[54:55], v[52:53]
	v_fma_f64 v[58:59], -v[52:53], v[54:55], 1.0
	v_fma_f64 v[54:55], v[54:55], v[58:59], v[54:55]
	v_fma_f64 v[58:59], -v[52:53], v[54:55], 1.0
	v_fma_f64 v[54:55], v[54:55], v[58:59], v[54:55]
	v_mul_f64 v[58:59], v[60:61], v[54:55]
	v_fma_f64 v[52:53], -v[52:53], v[58:59], v[60:61]
	v_div_fmas_f64 v[52:53], v[52:53], v[54:55], v[58:59]
	v_div_fixup_f64 v[54:55], v[52:53], v[50:51], 1.0
	v_mul_f64 v[56:57], v[56:57], -v[54:55]
.LBB23_7:
	s_or_b64 exec, exec, s[4:5]
	ds_write2_b64 v1, v[54:55], v[56:57] offset1:1
.LBB23_8:
	s_or_b64 exec, exec, s[6:7]
	s_waitcnt vmcnt(0) lgkmcnt(0)
	s_barrier
	ds_read2_b64 v[50:53], v1 offset1:1
	s_waitcnt lgkmcnt(0)
	buffer_store_dword v50, off, s[52:55], 0 ; 4-byte Folded Spill
	s_nop 0
	buffer_store_dword v51, off, s[52:55], 0 offset:4 ; 4-byte Folded Spill
	buffer_store_dword v52, off, s[52:55], 0 offset:8 ; 4-byte Folded Spill
	;; [unrolled: 1-line block ×3, first 2 shown]
	s_and_saveexec_b64 s[4:5], s[2:3]
	s_cbranch_execz .LBB23_10
; %bb.9:
	buffer_load_dword v50, off, s[52:55], 0 ; 4-byte Folded Reload
	buffer_load_dword v51, off, s[52:55], 0 offset:4 ; 4-byte Folded Reload
	buffer_load_dword v52, off, s[52:55], 0 offset:8 ; 4-byte Folded Reload
	;; [unrolled: 1-line block ×3, first 2 shown]
	s_waitcnt vmcnt(2)
	v_mul_f64 v[54:55], v[50:51], v[48:49]
	s_waitcnt vmcnt(0)
	v_mul_f64 v[48:49], v[52:53], v[48:49]
	v_fma_f64 v[82:83], v[52:53], v[46:47], v[54:55]
	ds_read2_b64 v[54:57], v124 offset0:2 offset1:3
	ds_read2_b64 v[58:61], v124 offset0:4 offset1:5
	;; [unrolled: 1-line block ×7, first 2 shown]
	v_fma_f64 v[46:47], v[50:51], v[46:47], -v[48:49]
	s_waitcnt lgkmcnt(6)
	v_mul_f64 v[48:49], v[56:57], v[82:83]
	v_mul_f64 v[84:85], v[54:55], v[82:83]
	s_waitcnt lgkmcnt(5)
	v_mul_f64 v[86:87], v[60:61], v[82:83]
	v_mul_f64 v[88:89], v[58:59], v[82:83]
	;; [unrolled: 3-line block ×4, first 2 shown]
	v_fma_f64 v[48:49], v[54:55], v[46:47], -v[48:49]
	v_fma_f64 v[54:55], v[56:57], v[46:47], v[84:85]
	v_fma_f64 v[56:57], v[58:59], v[46:47], -v[86:87]
	v_fma_f64 v[58:59], v[60:61], v[46:47], v[88:89]
	;; [unrolled: 2-line block ×3, first 2 shown]
	s_waitcnt lgkmcnt(2)
	v_mul_f64 v[64:65], v[72:73], v[82:83]
	v_mul_f64 v[84:85], v[70:71], v[82:83]
	v_add_f64 v[42:43], v[42:43], -v[48:49]
	s_waitcnt lgkmcnt(1)
	v_mul_f64 v[48:49], v[76:77], v[82:83]
	v_fma_f64 v[66:67], v[66:67], v[46:47], -v[94:95]
	v_add_f64 v[40:41], v[40:41], -v[58:59]
	v_add_f64 v[34:35], v[34:35], -v[60:61]
	;; [unrolled: 1-line block ×3, first 2 shown]
	v_mul_f64 v[58:59], v[74:75], v[82:83]
	s_waitcnt lgkmcnt(0)
	v_mul_f64 v[60:61], v[80:81], v[82:83]
	v_mul_f64 v[62:63], v[78:79], v[82:83]
	v_fma_f64 v[68:69], v[68:69], v[46:47], v[96:97]
	v_fma_f64 v[64:65], v[70:71], v[46:47], -v[64:65]
	v_fma_f64 v[70:71], v[72:73], v[46:47], v[84:85]
	v_fma_f64 v[48:49], v[74:75], v[46:47], -v[48:49]
	v_add_f64 v[44:45], v[44:45], -v[54:55]
	v_fma_f64 v[58:59], v[76:77], v[46:47], v[58:59]
	v_fma_f64 v[60:61], v[78:79], v[46:47], -v[60:61]
	v_fma_f64 v[62:63], v[80:81], v[46:47], v[62:63]
	v_add_f64 v[38:39], v[38:39], -v[56:57]
	ds_read2_b64 v[54:57], v124 offset0:16 offset1:17
	v_add_f64 v[30:31], v[30:31], -v[66:67]
	v_add_f64 v[32:33], v[32:33], -v[68:69]
	;; [unrolled: 1-line block ×6, first 2 shown]
	ds_read2_b64 v[58:61], v124 offset0:18 offset1:19
	ds_read2_b64 v[62:65], v124 offset0:20 offset1:21
	;; [unrolled: 1-line block ×3, first 2 shown]
	v_add_f64 v[28:29], v[28:29], -v[70:71]
	v_add_f64 v[22:23], v[22:23], -v[48:49]
	s_waitcnt lgkmcnt(3)
	v_mul_f64 v[48:49], v[56:57], v[82:83]
	v_mul_f64 v[70:71], v[54:55], v[82:83]
	s_waitcnt lgkmcnt(2)
	v_mul_f64 v[72:73], v[60:61], v[82:83]
	v_mul_f64 v[74:75], v[58:59], v[82:83]
	;; [unrolled: 3-line block ×4, first 2 shown]
	v_fma_f64 v[48:49], v[54:55], v[46:47], -v[48:49]
	v_fma_f64 v[54:55], v[56:57], v[46:47], v[70:71]
	v_fma_f64 v[56:57], v[58:59], v[46:47], -v[72:73]
	v_fma_f64 v[58:59], v[60:61], v[46:47], v[74:75]
	;; [unrolled: 2-line block ×4, first 2 shown]
	v_add_f64 v[10:11], v[10:11], -v[48:49]
	v_add_f64 v[12:13], v[12:13], -v[54:55]
	;; [unrolled: 1-line block ×8, first 2 shown]
	v_mov_b32_e32 v48, v82
	v_mov_b32_e32 v49, v83
.LBB23_10:
	s_or_b64 exec, exec, s[4:5]
	v_cmp_eq_u32_e32 vcc, 1, v0
	s_waitcnt vmcnt(0)
	s_barrier
	s_and_saveexec_b64 s[4:5], vcc
	s_cbranch_execz .LBB23_17
; %bb.11:
	ds_write2_b64 v1, v[42:43], v[44:45] offset1:1
	ds_write2_b64 v124, v[38:39], v[40:41] offset0:4 offset1:5
	ds_write2_b64 v124, v[34:35], v[36:37] offset0:6 offset1:7
	;; [unrolled: 1-line block ×10, first 2 shown]
	ds_read2_b64 v[54:57], v1 offset1:1
	s_waitcnt lgkmcnt(0)
	v_cmp_neq_f64_e32 vcc, 0, v[54:55]
	v_cmp_neq_f64_e64 s[2:3], 0, v[56:57]
	s_or_b64 s[2:3], vcc, s[2:3]
	s_and_b64 exec, exec, s[2:3]
	s_cbranch_execz .LBB23_17
; %bb.12:
	v_cmp_ngt_f64_e64 s[2:3], |v[54:55]|, |v[56:57]|
                                        ; implicit-def: $vgpr58_vgpr59
	s_and_saveexec_b64 s[6:7], s[2:3]
	s_xor_b64 s[2:3], exec, s[6:7]
                                        ; implicit-def: $vgpr60_vgpr61
	s_cbranch_execz .LBB23_14
; %bb.13:
	v_div_scale_f64 v[58:59], s[6:7], v[56:57], v[56:57], v[54:55]
	v_rcp_f64_e32 v[60:61], v[58:59]
	v_fma_f64 v[62:63], -v[58:59], v[60:61], 1.0
	v_fma_f64 v[60:61], v[60:61], v[62:63], v[60:61]
	v_div_scale_f64 v[62:63], vcc, v[54:55], v[56:57], v[54:55]
	v_fma_f64 v[64:65], -v[58:59], v[60:61], 1.0
	v_fma_f64 v[60:61], v[60:61], v[64:65], v[60:61]
	v_mul_f64 v[64:65], v[62:63], v[60:61]
	v_fma_f64 v[58:59], -v[58:59], v[64:65], v[62:63]
	v_div_fmas_f64 v[58:59], v[58:59], v[60:61], v[64:65]
	v_div_fixup_f64 v[58:59], v[58:59], v[56:57], v[54:55]
	v_fma_f64 v[54:55], v[54:55], v[58:59], v[56:57]
	v_div_scale_f64 v[56:57], s[6:7], v[54:55], v[54:55], 1.0
	v_div_scale_f64 v[64:65], vcc, 1.0, v[54:55], 1.0
	v_rcp_f64_e32 v[60:61], v[56:57]
	v_fma_f64 v[62:63], -v[56:57], v[60:61], 1.0
	v_fma_f64 v[60:61], v[60:61], v[62:63], v[60:61]
	v_fma_f64 v[62:63], -v[56:57], v[60:61], 1.0
	v_fma_f64 v[60:61], v[60:61], v[62:63], v[60:61]
	v_mul_f64 v[62:63], v[64:65], v[60:61]
	v_fma_f64 v[56:57], -v[56:57], v[62:63], v[64:65]
	v_div_fmas_f64 v[56:57], v[56:57], v[60:61], v[62:63]
	v_div_fixup_f64 v[60:61], v[56:57], v[54:55], 1.0
                                        ; implicit-def: $vgpr54_vgpr55
	v_mul_f64 v[58:59], v[58:59], v[60:61]
	v_xor_b32_e32 v61, 0x80000000, v61
.LBB23_14:
	s_andn2_saveexec_b64 s[2:3], s[2:3]
	s_cbranch_execz .LBB23_16
; %bb.15:
	v_div_scale_f64 v[58:59], s[6:7], v[54:55], v[54:55], v[56:57]
	v_rcp_f64_e32 v[60:61], v[58:59]
	v_fma_f64 v[62:63], -v[58:59], v[60:61], 1.0
	v_fma_f64 v[60:61], v[60:61], v[62:63], v[60:61]
	v_div_scale_f64 v[62:63], vcc, v[56:57], v[54:55], v[56:57]
	v_fma_f64 v[64:65], -v[58:59], v[60:61], 1.0
	v_fma_f64 v[60:61], v[60:61], v[64:65], v[60:61]
	v_mul_f64 v[64:65], v[62:63], v[60:61]
	v_fma_f64 v[58:59], -v[58:59], v[64:65], v[62:63]
	v_div_fmas_f64 v[58:59], v[58:59], v[60:61], v[64:65]
	v_div_fixup_f64 v[60:61], v[58:59], v[54:55], v[56:57]
	v_fma_f64 v[54:55], v[56:57], v[60:61], v[54:55]
	v_div_scale_f64 v[56:57], s[6:7], v[54:55], v[54:55], 1.0
	v_div_scale_f64 v[64:65], vcc, 1.0, v[54:55], 1.0
	v_rcp_f64_e32 v[58:59], v[56:57]
	v_fma_f64 v[62:63], -v[56:57], v[58:59], 1.0
	v_fma_f64 v[58:59], v[58:59], v[62:63], v[58:59]
	v_fma_f64 v[62:63], -v[56:57], v[58:59], 1.0
	v_fma_f64 v[58:59], v[58:59], v[62:63], v[58:59]
	v_mul_f64 v[62:63], v[64:65], v[58:59]
	v_fma_f64 v[56:57], -v[56:57], v[62:63], v[64:65]
	v_div_fmas_f64 v[56:57], v[56:57], v[58:59], v[62:63]
	v_div_fixup_f64 v[58:59], v[56:57], v[54:55], 1.0
	v_mul_f64 v[60:61], v[60:61], -v[58:59]
.LBB23_16:
	s_or_b64 exec, exec, s[2:3]
	ds_write2_b64 v1, v[58:59], v[60:61] offset1:1
.LBB23_17:
	s_or_b64 exec, exec, s[4:5]
	s_waitcnt lgkmcnt(0)
	s_barrier
	ds_read2_b64 v[54:57], v1 offset1:1
	v_cmp_lt_u32_e32 vcc, 1, v0
	s_and_saveexec_b64 s[2:3], vcc
	s_cbranch_execz .LBB23_19
; %bb.18:
	s_waitcnt lgkmcnt(0)
	v_mul_f64 v[58:59], v[54:55], v[44:45]
	v_mul_f64 v[44:45], v[56:57], v[44:45]
	ds_read2_b64 v[60:63], v124 offset0:4 offset1:5
	v_fma_f64 v[58:59], v[56:57], v[42:43], v[58:59]
	v_fma_f64 v[42:43], v[54:55], v[42:43], -v[44:45]
	s_waitcnt lgkmcnt(0)
	v_mul_f64 v[44:45], v[62:63], v[58:59]
	v_fma_f64 v[44:45], v[60:61], v[42:43], -v[44:45]
	v_mul_f64 v[60:61], v[60:61], v[58:59]
	v_add_f64 v[38:39], v[38:39], -v[44:45]
	v_fma_f64 v[60:61], v[62:63], v[42:43], v[60:61]
	v_add_f64 v[40:41], v[40:41], -v[60:61]
	ds_read2_b64 v[60:63], v124 offset0:6 offset1:7
	s_waitcnt lgkmcnt(0)
	v_mul_f64 v[44:45], v[62:63], v[58:59]
	v_fma_f64 v[44:45], v[60:61], v[42:43], -v[44:45]
	v_mul_f64 v[60:61], v[60:61], v[58:59]
	v_add_f64 v[34:35], v[34:35], -v[44:45]
	v_fma_f64 v[60:61], v[62:63], v[42:43], v[60:61]
	v_add_f64 v[36:37], v[36:37], -v[60:61]
	ds_read2_b64 v[60:63], v124 offset0:8 offset1:9
	;; [unrolled: 8-line block ×9, first 2 shown]
	s_waitcnt lgkmcnt(0)
	v_mul_f64 v[44:45], v[62:63], v[58:59]
	v_fma_f64 v[44:45], v[60:61], v[42:43], -v[44:45]
	v_mul_f64 v[60:61], v[60:61], v[58:59]
	v_add_f64 v[14:15], v[14:15], -v[44:45]
	v_fma_f64 v[60:61], v[62:63], v[42:43], v[60:61]
	v_mov_b32_e32 v44, v58
	v_mov_b32_e32 v45, v59
	v_add_f64 v[16:17], v[16:17], -v[60:61]
.LBB23_19:
	s_or_b64 exec, exec, s[2:3]
	v_cmp_eq_u32_e32 vcc, 2, v0
	s_waitcnt lgkmcnt(0)
	s_barrier
	s_and_saveexec_b64 s[4:5], vcc
	s_cbranch_execz .LBB23_26
; %bb.20:
	ds_write2_b64 v1, v[38:39], v[40:41] offset1:1
	ds_write2_b64 v124, v[34:35], v[36:37] offset0:6 offset1:7
	ds_write2_b64 v124, v[30:31], v[32:33] offset0:8 offset1:9
	;; [unrolled: 1-line block ×9, first 2 shown]
	ds_read2_b64 v[58:61], v1 offset1:1
	s_waitcnt lgkmcnt(0)
	v_cmp_neq_f64_e32 vcc, 0, v[58:59]
	v_cmp_neq_f64_e64 s[2:3], 0, v[60:61]
	s_or_b64 s[2:3], vcc, s[2:3]
	s_and_b64 exec, exec, s[2:3]
	s_cbranch_execz .LBB23_26
; %bb.21:
	v_cmp_ngt_f64_e64 s[2:3], |v[58:59]|, |v[60:61]|
                                        ; implicit-def: $vgpr62_vgpr63
	s_and_saveexec_b64 s[6:7], s[2:3]
	s_xor_b64 s[2:3], exec, s[6:7]
                                        ; implicit-def: $vgpr64_vgpr65
	s_cbranch_execz .LBB23_23
; %bb.22:
	v_div_scale_f64 v[62:63], s[6:7], v[60:61], v[60:61], v[58:59]
	v_rcp_f64_e32 v[64:65], v[62:63]
	v_fma_f64 v[66:67], -v[62:63], v[64:65], 1.0
	v_fma_f64 v[64:65], v[64:65], v[66:67], v[64:65]
	v_div_scale_f64 v[66:67], vcc, v[58:59], v[60:61], v[58:59]
	v_fma_f64 v[68:69], -v[62:63], v[64:65], 1.0
	v_fma_f64 v[64:65], v[64:65], v[68:69], v[64:65]
	v_mul_f64 v[68:69], v[66:67], v[64:65]
	v_fma_f64 v[62:63], -v[62:63], v[68:69], v[66:67]
	v_div_fmas_f64 v[62:63], v[62:63], v[64:65], v[68:69]
	v_div_fixup_f64 v[62:63], v[62:63], v[60:61], v[58:59]
	v_fma_f64 v[58:59], v[58:59], v[62:63], v[60:61]
	v_div_scale_f64 v[60:61], s[6:7], v[58:59], v[58:59], 1.0
	v_div_scale_f64 v[68:69], vcc, 1.0, v[58:59], 1.0
	v_rcp_f64_e32 v[64:65], v[60:61]
	v_fma_f64 v[66:67], -v[60:61], v[64:65], 1.0
	v_fma_f64 v[64:65], v[64:65], v[66:67], v[64:65]
	v_fma_f64 v[66:67], -v[60:61], v[64:65], 1.0
	v_fma_f64 v[64:65], v[64:65], v[66:67], v[64:65]
	v_mul_f64 v[66:67], v[68:69], v[64:65]
	v_fma_f64 v[60:61], -v[60:61], v[66:67], v[68:69]
	v_div_fmas_f64 v[60:61], v[60:61], v[64:65], v[66:67]
	v_div_fixup_f64 v[64:65], v[60:61], v[58:59], 1.0
                                        ; implicit-def: $vgpr58_vgpr59
	v_mul_f64 v[62:63], v[62:63], v[64:65]
	v_xor_b32_e32 v65, 0x80000000, v65
.LBB23_23:
	s_andn2_saveexec_b64 s[2:3], s[2:3]
	s_cbranch_execz .LBB23_25
; %bb.24:
	v_div_scale_f64 v[62:63], s[6:7], v[58:59], v[58:59], v[60:61]
	v_rcp_f64_e32 v[64:65], v[62:63]
	v_fma_f64 v[66:67], -v[62:63], v[64:65], 1.0
	v_fma_f64 v[64:65], v[64:65], v[66:67], v[64:65]
	v_div_scale_f64 v[66:67], vcc, v[60:61], v[58:59], v[60:61]
	v_fma_f64 v[68:69], -v[62:63], v[64:65], 1.0
	v_fma_f64 v[64:65], v[64:65], v[68:69], v[64:65]
	v_mul_f64 v[68:69], v[66:67], v[64:65]
	v_fma_f64 v[62:63], -v[62:63], v[68:69], v[66:67]
	v_div_fmas_f64 v[62:63], v[62:63], v[64:65], v[68:69]
	v_div_fixup_f64 v[64:65], v[62:63], v[58:59], v[60:61]
	v_fma_f64 v[58:59], v[60:61], v[64:65], v[58:59]
	v_div_scale_f64 v[60:61], s[6:7], v[58:59], v[58:59], 1.0
	v_div_scale_f64 v[68:69], vcc, 1.0, v[58:59], 1.0
	v_rcp_f64_e32 v[62:63], v[60:61]
	v_fma_f64 v[66:67], -v[60:61], v[62:63], 1.0
	v_fma_f64 v[62:63], v[62:63], v[66:67], v[62:63]
	v_fma_f64 v[66:67], -v[60:61], v[62:63], 1.0
	v_fma_f64 v[62:63], v[62:63], v[66:67], v[62:63]
	v_mul_f64 v[66:67], v[68:69], v[62:63]
	v_fma_f64 v[60:61], -v[60:61], v[66:67], v[68:69]
	v_div_fmas_f64 v[60:61], v[60:61], v[62:63], v[66:67]
	v_div_fixup_f64 v[62:63], v[60:61], v[58:59], 1.0
	v_mul_f64 v[64:65], v[64:65], -v[62:63]
.LBB23_25:
	s_or_b64 exec, exec, s[2:3]
	ds_write2_b64 v1, v[62:63], v[64:65] offset1:1
.LBB23_26:
	s_or_b64 exec, exec, s[4:5]
	s_waitcnt lgkmcnt(0)
	s_barrier
	ds_read2_b64 v[58:61], v1 offset1:1
	v_cmp_lt_u32_e32 vcc, 2, v0
	s_and_saveexec_b64 s[2:3], vcc
	s_cbranch_execz .LBB23_28
; %bb.27:
	s_waitcnt lgkmcnt(0)
	v_mul_f64 v[62:63], v[58:59], v[40:41]
	v_mul_f64 v[40:41], v[60:61], v[40:41]
	ds_read2_b64 v[64:67], v124 offset0:6 offset1:7
	v_fma_f64 v[62:63], v[60:61], v[38:39], v[62:63]
	v_fma_f64 v[38:39], v[58:59], v[38:39], -v[40:41]
	s_waitcnt lgkmcnt(0)
	v_mul_f64 v[40:41], v[66:67], v[62:63]
	v_fma_f64 v[40:41], v[64:65], v[38:39], -v[40:41]
	v_mul_f64 v[64:65], v[64:65], v[62:63]
	v_add_f64 v[34:35], v[34:35], -v[40:41]
	v_fma_f64 v[64:65], v[66:67], v[38:39], v[64:65]
	v_add_f64 v[36:37], v[36:37], -v[64:65]
	ds_read2_b64 v[64:67], v124 offset0:8 offset1:9
	s_waitcnt lgkmcnt(0)
	v_mul_f64 v[40:41], v[66:67], v[62:63]
	v_fma_f64 v[40:41], v[64:65], v[38:39], -v[40:41]
	v_mul_f64 v[64:65], v[64:65], v[62:63]
	v_add_f64 v[30:31], v[30:31], -v[40:41]
	v_fma_f64 v[64:65], v[66:67], v[38:39], v[64:65]
	v_add_f64 v[32:33], v[32:33], -v[64:65]
	ds_read2_b64 v[64:67], v124 offset0:10 offset1:11
	;; [unrolled: 8-line block ×8, first 2 shown]
	s_waitcnt lgkmcnt(0)
	v_mul_f64 v[40:41], v[66:67], v[62:63]
	v_fma_f64 v[40:41], v[64:65], v[38:39], -v[40:41]
	v_mul_f64 v[64:65], v[64:65], v[62:63]
	v_add_f64 v[14:15], v[14:15], -v[40:41]
	v_fma_f64 v[64:65], v[66:67], v[38:39], v[64:65]
	v_mov_b32_e32 v40, v62
	v_mov_b32_e32 v41, v63
	v_add_f64 v[16:17], v[16:17], -v[64:65]
.LBB23_28:
	s_or_b64 exec, exec, s[2:3]
	v_cmp_eq_u32_e32 vcc, 3, v0
	s_waitcnt lgkmcnt(0)
	s_barrier
	s_and_saveexec_b64 s[4:5], vcc
	s_cbranch_execz .LBB23_35
; %bb.29:
	ds_write2_b64 v1, v[34:35], v[36:37] offset1:1
	ds_write2_b64 v124, v[30:31], v[32:33] offset0:8 offset1:9
	ds_write2_b64 v124, v[26:27], v[28:29] offset0:10 offset1:11
	;; [unrolled: 1-line block ×8, first 2 shown]
	ds_read2_b64 v[62:65], v1 offset1:1
	s_waitcnt lgkmcnt(0)
	v_cmp_neq_f64_e32 vcc, 0, v[62:63]
	v_cmp_neq_f64_e64 s[2:3], 0, v[64:65]
	s_or_b64 s[2:3], vcc, s[2:3]
	s_and_b64 exec, exec, s[2:3]
	s_cbranch_execz .LBB23_35
; %bb.30:
	v_cmp_ngt_f64_e64 s[2:3], |v[62:63]|, |v[64:65]|
                                        ; implicit-def: $vgpr66_vgpr67
	s_and_saveexec_b64 s[6:7], s[2:3]
	s_xor_b64 s[2:3], exec, s[6:7]
                                        ; implicit-def: $vgpr68_vgpr69
	s_cbranch_execz .LBB23_32
; %bb.31:
	v_div_scale_f64 v[66:67], s[6:7], v[64:65], v[64:65], v[62:63]
	v_rcp_f64_e32 v[68:69], v[66:67]
	v_fma_f64 v[70:71], -v[66:67], v[68:69], 1.0
	v_fma_f64 v[68:69], v[68:69], v[70:71], v[68:69]
	v_div_scale_f64 v[70:71], vcc, v[62:63], v[64:65], v[62:63]
	v_fma_f64 v[72:73], -v[66:67], v[68:69], 1.0
	v_fma_f64 v[68:69], v[68:69], v[72:73], v[68:69]
	v_mul_f64 v[72:73], v[70:71], v[68:69]
	v_fma_f64 v[66:67], -v[66:67], v[72:73], v[70:71]
	v_div_fmas_f64 v[66:67], v[66:67], v[68:69], v[72:73]
	v_div_fixup_f64 v[66:67], v[66:67], v[64:65], v[62:63]
	v_fma_f64 v[62:63], v[62:63], v[66:67], v[64:65]
	v_div_scale_f64 v[64:65], s[6:7], v[62:63], v[62:63], 1.0
	v_div_scale_f64 v[72:73], vcc, 1.0, v[62:63], 1.0
	v_rcp_f64_e32 v[68:69], v[64:65]
	v_fma_f64 v[70:71], -v[64:65], v[68:69], 1.0
	v_fma_f64 v[68:69], v[68:69], v[70:71], v[68:69]
	v_fma_f64 v[70:71], -v[64:65], v[68:69], 1.0
	v_fma_f64 v[68:69], v[68:69], v[70:71], v[68:69]
	v_mul_f64 v[70:71], v[72:73], v[68:69]
	v_fma_f64 v[64:65], -v[64:65], v[70:71], v[72:73]
	v_div_fmas_f64 v[64:65], v[64:65], v[68:69], v[70:71]
	v_div_fixup_f64 v[68:69], v[64:65], v[62:63], 1.0
                                        ; implicit-def: $vgpr62_vgpr63
	v_mul_f64 v[66:67], v[66:67], v[68:69]
	v_xor_b32_e32 v69, 0x80000000, v69
.LBB23_32:
	s_andn2_saveexec_b64 s[2:3], s[2:3]
	s_cbranch_execz .LBB23_34
; %bb.33:
	v_div_scale_f64 v[66:67], s[6:7], v[62:63], v[62:63], v[64:65]
	v_rcp_f64_e32 v[68:69], v[66:67]
	v_fma_f64 v[70:71], -v[66:67], v[68:69], 1.0
	v_fma_f64 v[68:69], v[68:69], v[70:71], v[68:69]
	v_div_scale_f64 v[70:71], vcc, v[64:65], v[62:63], v[64:65]
	v_fma_f64 v[72:73], -v[66:67], v[68:69], 1.0
	v_fma_f64 v[68:69], v[68:69], v[72:73], v[68:69]
	v_mul_f64 v[72:73], v[70:71], v[68:69]
	v_fma_f64 v[66:67], -v[66:67], v[72:73], v[70:71]
	v_div_fmas_f64 v[66:67], v[66:67], v[68:69], v[72:73]
	v_div_fixup_f64 v[68:69], v[66:67], v[62:63], v[64:65]
	v_fma_f64 v[62:63], v[64:65], v[68:69], v[62:63]
	v_div_scale_f64 v[64:65], s[6:7], v[62:63], v[62:63], 1.0
	v_div_scale_f64 v[72:73], vcc, 1.0, v[62:63], 1.0
	v_rcp_f64_e32 v[66:67], v[64:65]
	v_fma_f64 v[70:71], -v[64:65], v[66:67], 1.0
	v_fma_f64 v[66:67], v[66:67], v[70:71], v[66:67]
	v_fma_f64 v[70:71], -v[64:65], v[66:67], 1.0
	v_fma_f64 v[66:67], v[66:67], v[70:71], v[66:67]
	v_mul_f64 v[70:71], v[72:73], v[66:67]
	v_fma_f64 v[64:65], -v[64:65], v[70:71], v[72:73]
	v_div_fmas_f64 v[64:65], v[64:65], v[66:67], v[70:71]
	v_div_fixup_f64 v[66:67], v[64:65], v[62:63], 1.0
	v_mul_f64 v[68:69], v[68:69], -v[66:67]
.LBB23_34:
	s_or_b64 exec, exec, s[2:3]
	ds_write2_b64 v1, v[66:67], v[68:69] offset1:1
.LBB23_35:
	s_or_b64 exec, exec, s[4:5]
	s_waitcnt lgkmcnt(0)
	s_barrier
	ds_read2_b64 v[62:65], v1 offset1:1
	v_cmp_lt_u32_e32 vcc, 3, v0
	s_and_saveexec_b64 s[2:3], vcc
	s_cbranch_execz .LBB23_37
; %bb.36:
	s_waitcnt lgkmcnt(0)
	v_mul_f64 v[66:67], v[62:63], v[36:37]
	v_mul_f64 v[36:37], v[64:65], v[36:37]
	ds_read2_b64 v[68:71], v124 offset0:8 offset1:9
	v_fma_f64 v[66:67], v[64:65], v[34:35], v[66:67]
	v_fma_f64 v[34:35], v[62:63], v[34:35], -v[36:37]
	s_waitcnt lgkmcnt(0)
	v_mul_f64 v[36:37], v[70:71], v[66:67]
	v_fma_f64 v[36:37], v[68:69], v[34:35], -v[36:37]
	v_mul_f64 v[68:69], v[68:69], v[66:67]
	v_add_f64 v[30:31], v[30:31], -v[36:37]
	v_fma_f64 v[68:69], v[70:71], v[34:35], v[68:69]
	v_add_f64 v[32:33], v[32:33], -v[68:69]
	ds_read2_b64 v[68:71], v124 offset0:10 offset1:11
	s_waitcnt lgkmcnt(0)
	v_mul_f64 v[36:37], v[70:71], v[66:67]
	v_fma_f64 v[36:37], v[68:69], v[34:35], -v[36:37]
	v_mul_f64 v[68:69], v[68:69], v[66:67]
	v_add_f64 v[26:27], v[26:27], -v[36:37]
	v_fma_f64 v[68:69], v[70:71], v[34:35], v[68:69]
	v_add_f64 v[28:29], v[28:29], -v[68:69]
	ds_read2_b64 v[68:71], v124 offset0:12 offset1:13
	;; [unrolled: 8-line block ×7, first 2 shown]
	s_waitcnt lgkmcnt(0)
	v_mul_f64 v[36:37], v[70:71], v[66:67]
	v_fma_f64 v[36:37], v[68:69], v[34:35], -v[36:37]
	v_mul_f64 v[68:69], v[68:69], v[66:67]
	v_add_f64 v[14:15], v[14:15], -v[36:37]
	v_fma_f64 v[68:69], v[70:71], v[34:35], v[68:69]
	v_mov_b32_e32 v36, v66
	v_mov_b32_e32 v37, v67
	v_add_f64 v[16:17], v[16:17], -v[68:69]
.LBB23_37:
	s_or_b64 exec, exec, s[2:3]
	v_cmp_eq_u32_e32 vcc, 4, v0
	s_waitcnt lgkmcnt(0)
	s_barrier
	s_and_saveexec_b64 s[4:5], vcc
	s_cbranch_execz .LBB23_44
; %bb.38:
	ds_write2_b64 v1, v[30:31], v[32:33] offset1:1
	ds_write2_b64 v124, v[26:27], v[28:29] offset0:10 offset1:11
	ds_write2_b64 v124, v[22:23], v[24:25] offset0:12 offset1:13
	;; [unrolled: 1-line block ×7, first 2 shown]
	ds_read2_b64 v[66:69], v1 offset1:1
	s_waitcnt lgkmcnt(0)
	v_cmp_neq_f64_e32 vcc, 0, v[66:67]
	v_cmp_neq_f64_e64 s[2:3], 0, v[68:69]
	s_or_b64 s[2:3], vcc, s[2:3]
	s_and_b64 exec, exec, s[2:3]
	s_cbranch_execz .LBB23_44
; %bb.39:
	v_cmp_ngt_f64_e64 s[2:3], |v[66:67]|, |v[68:69]|
                                        ; implicit-def: $vgpr70_vgpr71
	s_and_saveexec_b64 s[6:7], s[2:3]
	s_xor_b64 s[2:3], exec, s[6:7]
                                        ; implicit-def: $vgpr72_vgpr73
	s_cbranch_execz .LBB23_41
; %bb.40:
	v_div_scale_f64 v[70:71], s[6:7], v[68:69], v[68:69], v[66:67]
	v_rcp_f64_e32 v[72:73], v[70:71]
	v_fma_f64 v[74:75], -v[70:71], v[72:73], 1.0
	v_fma_f64 v[72:73], v[72:73], v[74:75], v[72:73]
	v_div_scale_f64 v[74:75], vcc, v[66:67], v[68:69], v[66:67]
	v_fma_f64 v[76:77], -v[70:71], v[72:73], 1.0
	v_fma_f64 v[72:73], v[72:73], v[76:77], v[72:73]
	v_mul_f64 v[76:77], v[74:75], v[72:73]
	v_fma_f64 v[70:71], -v[70:71], v[76:77], v[74:75]
	v_div_fmas_f64 v[70:71], v[70:71], v[72:73], v[76:77]
	v_div_fixup_f64 v[70:71], v[70:71], v[68:69], v[66:67]
	v_fma_f64 v[66:67], v[66:67], v[70:71], v[68:69]
	v_div_scale_f64 v[68:69], s[6:7], v[66:67], v[66:67], 1.0
	v_div_scale_f64 v[76:77], vcc, 1.0, v[66:67], 1.0
	v_rcp_f64_e32 v[72:73], v[68:69]
	v_fma_f64 v[74:75], -v[68:69], v[72:73], 1.0
	v_fma_f64 v[72:73], v[72:73], v[74:75], v[72:73]
	v_fma_f64 v[74:75], -v[68:69], v[72:73], 1.0
	v_fma_f64 v[72:73], v[72:73], v[74:75], v[72:73]
	v_mul_f64 v[74:75], v[76:77], v[72:73]
	v_fma_f64 v[68:69], -v[68:69], v[74:75], v[76:77]
	v_div_fmas_f64 v[68:69], v[68:69], v[72:73], v[74:75]
	v_div_fixup_f64 v[72:73], v[68:69], v[66:67], 1.0
                                        ; implicit-def: $vgpr66_vgpr67
	v_mul_f64 v[70:71], v[70:71], v[72:73]
	v_xor_b32_e32 v73, 0x80000000, v73
.LBB23_41:
	s_andn2_saveexec_b64 s[2:3], s[2:3]
	s_cbranch_execz .LBB23_43
; %bb.42:
	v_div_scale_f64 v[70:71], s[6:7], v[66:67], v[66:67], v[68:69]
	v_rcp_f64_e32 v[72:73], v[70:71]
	v_fma_f64 v[74:75], -v[70:71], v[72:73], 1.0
	v_fma_f64 v[72:73], v[72:73], v[74:75], v[72:73]
	v_div_scale_f64 v[74:75], vcc, v[68:69], v[66:67], v[68:69]
	v_fma_f64 v[76:77], -v[70:71], v[72:73], 1.0
	v_fma_f64 v[72:73], v[72:73], v[76:77], v[72:73]
	v_mul_f64 v[76:77], v[74:75], v[72:73]
	v_fma_f64 v[70:71], -v[70:71], v[76:77], v[74:75]
	v_div_fmas_f64 v[70:71], v[70:71], v[72:73], v[76:77]
	v_div_fixup_f64 v[72:73], v[70:71], v[66:67], v[68:69]
	v_fma_f64 v[66:67], v[68:69], v[72:73], v[66:67]
	v_div_scale_f64 v[68:69], s[6:7], v[66:67], v[66:67], 1.0
	v_div_scale_f64 v[76:77], vcc, 1.0, v[66:67], 1.0
	v_rcp_f64_e32 v[70:71], v[68:69]
	v_fma_f64 v[74:75], -v[68:69], v[70:71], 1.0
	v_fma_f64 v[70:71], v[70:71], v[74:75], v[70:71]
	v_fma_f64 v[74:75], -v[68:69], v[70:71], 1.0
	v_fma_f64 v[70:71], v[70:71], v[74:75], v[70:71]
	v_mul_f64 v[74:75], v[76:77], v[70:71]
	v_fma_f64 v[68:69], -v[68:69], v[74:75], v[76:77]
	v_div_fmas_f64 v[68:69], v[68:69], v[70:71], v[74:75]
	v_div_fixup_f64 v[70:71], v[68:69], v[66:67], 1.0
	v_mul_f64 v[72:73], v[72:73], -v[70:71]
.LBB23_43:
	s_or_b64 exec, exec, s[2:3]
	ds_write2_b64 v1, v[70:71], v[72:73] offset1:1
.LBB23_44:
	s_or_b64 exec, exec, s[4:5]
	s_waitcnt lgkmcnt(0)
	s_barrier
	ds_read2_b64 v[66:69], v1 offset1:1
	v_cmp_lt_u32_e32 vcc, 4, v0
	s_and_saveexec_b64 s[2:3], vcc
	s_cbranch_execz .LBB23_46
; %bb.45:
	s_waitcnt lgkmcnt(0)
	v_mul_f64 v[70:71], v[66:67], v[32:33]
	v_mul_f64 v[32:33], v[68:69], v[32:33]
	ds_read2_b64 v[72:75], v124 offset0:10 offset1:11
	v_fma_f64 v[70:71], v[68:69], v[30:31], v[70:71]
	v_fma_f64 v[30:31], v[66:67], v[30:31], -v[32:33]
	s_waitcnt lgkmcnt(0)
	v_mul_f64 v[32:33], v[74:75], v[70:71]
	v_fma_f64 v[32:33], v[72:73], v[30:31], -v[32:33]
	v_mul_f64 v[72:73], v[72:73], v[70:71]
	v_add_f64 v[26:27], v[26:27], -v[32:33]
	v_fma_f64 v[72:73], v[74:75], v[30:31], v[72:73]
	v_add_f64 v[28:29], v[28:29], -v[72:73]
	ds_read2_b64 v[72:75], v124 offset0:12 offset1:13
	s_waitcnt lgkmcnt(0)
	v_mul_f64 v[32:33], v[74:75], v[70:71]
	v_fma_f64 v[32:33], v[72:73], v[30:31], -v[32:33]
	v_mul_f64 v[72:73], v[72:73], v[70:71]
	v_add_f64 v[22:23], v[22:23], -v[32:33]
	v_fma_f64 v[72:73], v[74:75], v[30:31], v[72:73]
	v_add_f64 v[24:25], v[24:25], -v[72:73]
	ds_read2_b64 v[72:75], v124 offset0:14 offset1:15
	;; [unrolled: 8-line block ×6, first 2 shown]
	s_waitcnt lgkmcnt(0)
	v_mul_f64 v[32:33], v[74:75], v[70:71]
	v_fma_f64 v[32:33], v[72:73], v[30:31], -v[32:33]
	v_mul_f64 v[72:73], v[72:73], v[70:71]
	v_add_f64 v[14:15], v[14:15], -v[32:33]
	v_fma_f64 v[72:73], v[74:75], v[30:31], v[72:73]
	v_mov_b32_e32 v32, v70
	v_mov_b32_e32 v33, v71
	v_add_f64 v[16:17], v[16:17], -v[72:73]
.LBB23_46:
	s_or_b64 exec, exec, s[2:3]
	v_cmp_eq_u32_e32 vcc, 5, v0
	s_waitcnt lgkmcnt(0)
	s_barrier
	s_and_saveexec_b64 s[4:5], vcc
	s_cbranch_execz .LBB23_53
; %bb.47:
	ds_write2_b64 v1, v[26:27], v[28:29] offset1:1
	ds_write2_b64 v124, v[22:23], v[24:25] offset0:12 offset1:13
	ds_write2_b64 v124, v[18:19], v[20:21] offset0:14 offset1:15
	ds_write2_b64 v124, v[10:11], v[12:13] offset0:16 offset1:17
	ds_write2_b64 v124, v[6:7], v[8:9] offset0:18 offset1:19
	ds_write2_b64 v124, v[2:3], v[4:5] offset0:20 offset1:21
	ds_write2_b64 v124, v[14:15], v[16:17] offset0:22 offset1:23
	ds_read2_b64 v[70:73], v1 offset1:1
	s_waitcnt lgkmcnt(0)
	v_cmp_neq_f64_e32 vcc, 0, v[70:71]
	v_cmp_neq_f64_e64 s[2:3], 0, v[72:73]
	s_or_b64 s[2:3], vcc, s[2:3]
	s_and_b64 exec, exec, s[2:3]
	s_cbranch_execz .LBB23_53
; %bb.48:
	v_cmp_ngt_f64_e64 s[2:3], |v[70:71]|, |v[72:73]|
                                        ; implicit-def: $vgpr74_vgpr75
	s_and_saveexec_b64 s[6:7], s[2:3]
	s_xor_b64 s[2:3], exec, s[6:7]
                                        ; implicit-def: $vgpr76_vgpr77
	s_cbranch_execz .LBB23_50
; %bb.49:
	v_div_scale_f64 v[74:75], s[6:7], v[72:73], v[72:73], v[70:71]
	v_rcp_f64_e32 v[76:77], v[74:75]
	v_fma_f64 v[78:79], -v[74:75], v[76:77], 1.0
	v_fma_f64 v[76:77], v[76:77], v[78:79], v[76:77]
	v_div_scale_f64 v[78:79], vcc, v[70:71], v[72:73], v[70:71]
	v_fma_f64 v[80:81], -v[74:75], v[76:77], 1.0
	v_fma_f64 v[76:77], v[76:77], v[80:81], v[76:77]
	v_mul_f64 v[80:81], v[78:79], v[76:77]
	v_fma_f64 v[74:75], -v[74:75], v[80:81], v[78:79]
	v_div_fmas_f64 v[74:75], v[74:75], v[76:77], v[80:81]
	v_div_fixup_f64 v[74:75], v[74:75], v[72:73], v[70:71]
	v_fma_f64 v[70:71], v[70:71], v[74:75], v[72:73]
	v_div_scale_f64 v[72:73], s[6:7], v[70:71], v[70:71], 1.0
	v_div_scale_f64 v[80:81], vcc, 1.0, v[70:71], 1.0
	v_rcp_f64_e32 v[76:77], v[72:73]
	v_fma_f64 v[78:79], -v[72:73], v[76:77], 1.0
	v_fma_f64 v[76:77], v[76:77], v[78:79], v[76:77]
	v_fma_f64 v[78:79], -v[72:73], v[76:77], 1.0
	v_fma_f64 v[76:77], v[76:77], v[78:79], v[76:77]
	v_mul_f64 v[78:79], v[80:81], v[76:77]
	v_fma_f64 v[72:73], -v[72:73], v[78:79], v[80:81]
	v_div_fmas_f64 v[72:73], v[72:73], v[76:77], v[78:79]
	v_div_fixup_f64 v[76:77], v[72:73], v[70:71], 1.0
                                        ; implicit-def: $vgpr70_vgpr71
	v_mul_f64 v[74:75], v[74:75], v[76:77]
	v_xor_b32_e32 v77, 0x80000000, v77
.LBB23_50:
	s_andn2_saveexec_b64 s[2:3], s[2:3]
	s_cbranch_execz .LBB23_52
; %bb.51:
	v_div_scale_f64 v[74:75], s[6:7], v[70:71], v[70:71], v[72:73]
	v_rcp_f64_e32 v[76:77], v[74:75]
	v_fma_f64 v[78:79], -v[74:75], v[76:77], 1.0
	v_fma_f64 v[76:77], v[76:77], v[78:79], v[76:77]
	v_div_scale_f64 v[78:79], vcc, v[72:73], v[70:71], v[72:73]
	v_fma_f64 v[80:81], -v[74:75], v[76:77], 1.0
	v_fma_f64 v[76:77], v[76:77], v[80:81], v[76:77]
	v_mul_f64 v[80:81], v[78:79], v[76:77]
	v_fma_f64 v[74:75], -v[74:75], v[80:81], v[78:79]
	v_div_fmas_f64 v[74:75], v[74:75], v[76:77], v[80:81]
	v_div_fixup_f64 v[76:77], v[74:75], v[70:71], v[72:73]
	v_fma_f64 v[70:71], v[72:73], v[76:77], v[70:71]
	v_div_scale_f64 v[72:73], s[6:7], v[70:71], v[70:71], 1.0
	v_div_scale_f64 v[80:81], vcc, 1.0, v[70:71], 1.0
	v_rcp_f64_e32 v[74:75], v[72:73]
	v_fma_f64 v[78:79], -v[72:73], v[74:75], 1.0
	v_fma_f64 v[74:75], v[74:75], v[78:79], v[74:75]
	v_fma_f64 v[78:79], -v[72:73], v[74:75], 1.0
	v_fma_f64 v[74:75], v[74:75], v[78:79], v[74:75]
	v_mul_f64 v[78:79], v[80:81], v[74:75]
	v_fma_f64 v[72:73], -v[72:73], v[78:79], v[80:81]
	v_div_fmas_f64 v[72:73], v[72:73], v[74:75], v[78:79]
	v_div_fixup_f64 v[74:75], v[72:73], v[70:71], 1.0
	v_mul_f64 v[76:77], v[76:77], -v[74:75]
.LBB23_52:
	s_or_b64 exec, exec, s[2:3]
	ds_write2_b64 v1, v[74:75], v[76:77] offset1:1
.LBB23_53:
	s_or_b64 exec, exec, s[4:5]
	s_waitcnt lgkmcnt(0)
	s_barrier
	ds_read2_b64 v[70:73], v1 offset1:1
	v_cmp_lt_u32_e32 vcc, 5, v0
	s_and_saveexec_b64 s[2:3], vcc
	s_cbranch_execz .LBB23_55
; %bb.54:
	s_waitcnt lgkmcnt(0)
	v_mul_f64 v[74:75], v[70:71], v[28:29]
	v_mul_f64 v[28:29], v[72:73], v[28:29]
	ds_read2_b64 v[76:79], v124 offset0:12 offset1:13
	v_fma_f64 v[74:75], v[72:73], v[26:27], v[74:75]
	v_fma_f64 v[26:27], v[70:71], v[26:27], -v[28:29]
	s_waitcnt lgkmcnt(0)
	v_mul_f64 v[28:29], v[78:79], v[74:75]
	v_fma_f64 v[28:29], v[76:77], v[26:27], -v[28:29]
	v_mul_f64 v[76:77], v[76:77], v[74:75]
	v_add_f64 v[22:23], v[22:23], -v[28:29]
	v_fma_f64 v[76:77], v[78:79], v[26:27], v[76:77]
	v_add_f64 v[24:25], v[24:25], -v[76:77]
	ds_read2_b64 v[76:79], v124 offset0:14 offset1:15
	s_waitcnt lgkmcnt(0)
	v_mul_f64 v[28:29], v[78:79], v[74:75]
	v_fma_f64 v[28:29], v[76:77], v[26:27], -v[28:29]
	v_mul_f64 v[76:77], v[76:77], v[74:75]
	v_add_f64 v[18:19], v[18:19], -v[28:29]
	v_fma_f64 v[76:77], v[78:79], v[26:27], v[76:77]
	v_add_f64 v[20:21], v[20:21], -v[76:77]
	ds_read2_b64 v[76:79], v124 offset0:16 offset1:17
	s_waitcnt lgkmcnt(0)
	v_mul_f64 v[28:29], v[78:79], v[74:75]
	v_fma_f64 v[28:29], v[76:77], v[26:27], -v[28:29]
	v_mul_f64 v[76:77], v[76:77], v[74:75]
	v_add_f64 v[10:11], v[10:11], -v[28:29]
	v_fma_f64 v[76:77], v[78:79], v[26:27], v[76:77]
	v_add_f64 v[12:13], v[12:13], -v[76:77]
	ds_read2_b64 v[76:79], v124 offset0:18 offset1:19
	s_waitcnt lgkmcnt(0)
	v_mul_f64 v[28:29], v[78:79], v[74:75]
	v_fma_f64 v[28:29], v[76:77], v[26:27], -v[28:29]
	v_mul_f64 v[76:77], v[76:77], v[74:75]
	v_add_f64 v[6:7], v[6:7], -v[28:29]
	v_fma_f64 v[76:77], v[78:79], v[26:27], v[76:77]
	v_add_f64 v[8:9], v[8:9], -v[76:77]
	ds_read2_b64 v[76:79], v124 offset0:20 offset1:21
	s_waitcnt lgkmcnt(0)
	v_mul_f64 v[28:29], v[78:79], v[74:75]
	v_fma_f64 v[28:29], v[76:77], v[26:27], -v[28:29]
	v_mul_f64 v[76:77], v[76:77], v[74:75]
	v_add_f64 v[2:3], v[2:3], -v[28:29]
	v_fma_f64 v[76:77], v[78:79], v[26:27], v[76:77]
	v_add_f64 v[4:5], v[4:5], -v[76:77]
	ds_read2_b64 v[76:79], v124 offset0:22 offset1:23
	s_waitcnt lgkmcnt(0)
	v_mul_f64 v[28:29], v[78:79], v[74:75]
	v_fma_f64 v[28:29], v[76:77], v[26:27], -v[28:29]
	v_mul_f64 v[76:77], v[76:77], v[74:75]
	v_add_f64 v[14:15], v[14:15], -v[28:29]
	v_fma_f64 v[76:77], v[78:79], v[26:27], v[76:77]
	v_mov_b32_e32 v28, v74
	v_mov_b32_e32 v29, v75
	v_add_f64 v[16:17], v[16:17], -v[76:77]
.LBB23_55:
	s_or_b64 exec, exec, s[2:3]
	v_cmp_eq_u32_e32 vcc, 6, v0
	s_waitcnt lgkmcnt(0)
	s_barrier
	s_and_saveexec_b64 s[4:5], vcc
	s_cbranch_execz .LBB23_62
; %bb.56:
	ds_write2_b64 v1, v[22:23], v[24:25] offset1:1
	ds_write2_b64 v124, v[18:19], v[20:21] offset0:14 offset1:15
	ds_write2_b64 v124, v[10:11], v[12:13] offset0:16 offset1:17
	;; [unrolled: 1-line block ×5, first 2 shown]
	ds_read2_b64 v[74:77], v1 offset1:1
	s_waitcnt lgkmcnt(0)
	v_cmp_neq_f64_e32 vcc, 0, v[74:75]
	v_cmp_neq_f64_e64 s[2:3], 0, v[76:77]
	s_or_b64 s[2:3], vcc, s[2:3]
	s_and_b64 exec, exec, s[2:3]
	s_cbranch_execz .LBB23_62
; %bb.57:
	v_cmp_ngt_f64_e64 s[2:3], |v[74:75]|, |v[76:77]|
                                        ; implicit-def: $vgpr78_vgpr79
	s_and_saveexec_b64 s[6:7], s[2:3]
	s_xor_b64 s[2:3], exec, s[6:7]
                                        ; implicit-def: $vgpr80_vgpr81
	s_cbranch_execz .LBB23_59
; %bb.58:
	v_div_scale_f64 v[78:79], s[6:7], v[76:77], v[76:77], v[74:75]
	v_rcp_f64_e32 v[80:81], v[78:79]
	v_fma_f64 v[82:83], -v[78:79], v[80:81], 1.0
	v_fma_f64 v[80:81], v[80:81], v[82:83], v[80:81]
	v_div_scale_f64 v[82:83], vcc, v[74:75], v[76:77], v[74:75]
	v_fma_f64 v[84:85], -v[78:79], v[80:81], 1.0
	v_fma_f64 v[80:81], v[80:81], v[84:85], v[80:81]
	v_mul_f64 v[84:85], v[82:83], v[80:81]
	v_fma_f64 v[78:79], -v[78:79], v[84:85], v[82:83]
	v_div_fmas_f64 v[78:79], v[78:79], v[80:81], v[84:85]
	v_div_fixup_f64 v[78:79], v[78:79], v[76:77], v[74:75]
	v_fma_f64 v[74:75], v[74:75], v[78:79], v[76:77]
	v_div_scale_f64 v[76:77], s[6:7], v[74:75], v[74:75], 1.0
	v_div_scale_f64 v[84:85], vcc, 1.0, v[74:75], 1.0
	v_rcp_f64_e32 v[80:81], v[76:77]
	v_fma_f64 v[82:83], -v[76:77], v[80:81], 1.0
	v_fma_f64 v[80:81], v[80:81], v[82:83], v[80:81]
	v_fma_f64 v[82:83], -v[76:77], v[80:81], 1.0
	v_fma_f64 v[80:81], v[80:81], v[82:83], v[80:81]
	v_mul_f64 v[82:83], v[84:85], v[80:81]
	v_fma_f64 v[76:77], -v[76:77], v[82:83], v[84:85]
	v_div_fmas_f64 v[76:77], v[76:77], v[80:81], v[82:83]
	v_div_fixup_f64 v[80:81], v[76:77], v[74:75], 1.0
                                        ; implicit-def: $vgpr74_vgpr75
	v_mul_f64 v[78:79], v[78:79], v[80:81]
	v_xor_b32_e32 v81, 0x80000000, v81
.LBB23_59:
	s_andn2_saveexec_b64 s[2:3], s[2:3]
	s_cbranch_execz .LBB23_61
; %bb.60:
	v_div_scale_f64 v[78:79], s[6:7], v[74:75], v[74:75], v[76:77]
	v_rcp_f64_e32 v[80:81], v[78:79]
	v_fma_f64 v[82:83], -v[78:79], v[80:81], 1.0
	v_fma_f64 v[80:81], v[80:81], v[82:83], v[80:81]
	v_div_scale_f64 v[82:83], vcc, v[76:77], v[74:75], v[76:77]
	v_fma_f64 v[84:85], -v[78:79], v[80:81], 1.0
	v_fma_f64 v[80:81], v[80:81], v[84:85], v[80:81]
	v_mul_f64 v[84:85], v[82:83], v[80:81]
	v_fma_f64 v[78:79], -v[78:79], v[84:85], v[82:83]
	v_div_fmas_f64 v[78:79], v[78:79], v[80:81], v[84:85]
	v_div_fixup_f64 v[80:81], v[78:79], v[74:75], v[76:77]
	v_fma_f64 v[74:75], v[76:77], v[80:81], v[74:75]
	v_div_scale_f64 v[76:77], s[6:7], v[74:75], v[74:75], 1.0
	v_div_scale_f64 v[84:85], vcc, 1.0, v[74:75], 1.0
	v_rcp_f64_e32 v[78:79], v[76:77]
	v_fma_f64 v[82:83], -v[76:77], v[78:79], 1.0
	v_fma_f64 v[78:79], v[78:79], v[82:83], v[78:79]
	v_fma_f64 v[82:83], -v[76:77], v[78:79], 1.0
	v_fma_f64 v[78:79], v[78:79], v[82:83], v[78:79]
	v_mul_f64 v[82:83], v[84:85], v[78:79]
	v_fma_f64 v[76:77], -v[76:77], v[82:83], v[84:85]
	v_div_fmas_f64 v[76:77], v[76:77], v[78:79], v[82:83]
	v_div_fixup_f64 v[78:79], v[76:77], v[74:75], 1.0
	v_mul_f64 v[80:81], v[80:81], -v[78:79]
.LBB23_61:
	s_or_b64 exec, exec, s[2:3]
	ds_write2_b64 v1, v[78:79], v[80:81] offset1:1
.LBB23_62:
	s_or_b64 exec, exec, s[4:5]
	s_waitcnt lgkmcnt(0)
	s_barrier
	ds_read2_b64 v[74:77], v1 offset1:1
	v_cmp_lt_u32_e32 vcc, 6, v0
	s_and_saveexec_b64 s[2:3], vcc
	s_cbranch_execz .LBB23_64
; %bb.63:
	s_waitcnt lgkmcnt(0)
	v_mul_f64 v[78:79], v[74:75], v[24:25]
	v_mul_f64 v[24:25], v[76:77], v[24:25]
	v_fma_f64 v[82:83], v[76:77], v[22:23], v[78:79]
	ds_read2_b64 v[78:81], v124 offset0:14 offset1:15
	v_fma_f64 v[22:23], v[74:75], v[22:23], -v[24:25]
	s_waitcnt lgkmcnt(0)
	v_mul_f64 v[24:25], v[80:81], v[82:83]
	v_fma_f64 v[24:25], v[78:79], v[22:23], -v[24:25]
	v_mul_f64 v[78:79], v[78:79], v[82:83]
	v_add_f64 v[18:19], v[18:19], -v[24:25]
	v_fma_f64 v[78:79], v[80:81], v[22:23], v[78:79]
	v_add_f64 v[20:21], v[20:21], -v[78:79]
	ds_read2_b64 v[78:81], v124 offset0:16 offset1:17
	s_waitcnt lgkmcnt(0)
	v_mul_f64 v[24:25], v[80:81], v[82:83]
	v_fma_f64 v[24:25], v[78:79], v[22:23], -v[24:25]
	v_mul_f64 v[78:79], v[78:79], v[82:83]
	v_add_f64 v[10:11], v[10:11], -v[24:25]
	v_fma_f64 v[78:79], v[80:81], v[22:23], v[78:79]
	v_add_f64 v[12:13], v[12:13], -v[78:79]
	ds_read2_b64 v[78:81], v124 offset0:18 offset1:19
	;; [unrolled: 8-line block ×4, first 2 shown]
	s_waitcnt lgkmcnt(0)
	v_mul_f64 v[24:25], v[80:81], v[82:83]
	v_fma_f64 v[24:25], v[78:79], v[22:23], -v[24:25]
	v_mul_f64 v[78:79], v[78:79], v[82:83]
	v_add_f64 v[14:15], v[14:15], -v[24:25]
	v_fma_f64 v[78:79], v[80:81], v[22:23], v[78:79]
	v_mov_b32_e32 v24, v82
	v_mov_b32_e32 v25, v83
	v_add_f64 v[16:17], v[16:17], -v[78:79]
.LBB23_64:
	s_or_b64 exec, exec, s[2:3]
	v_cmp_eq_u32_e32 vcc, 7, v0
	s_waitcnt lgkmcnt(0)
	s_barrier
	s_and_saveexec_b64 s[4:5], vcc
	s_cbranch_execz .LBB23_71
; %bb.65:
	ds_write2_b64 v1, v[18:19], v[20:21] offset1:1
	ds_write2_b64 v124, v[10:11], v[12:13] offset0:16 offset1:17
	ds_write2_b64 v124, v[6:7], v[8:9] offset0:18 offset1:19
	;; [unrolled: 1-line block ×4, first 2 shown]
	ds_read2_b64 v[78:81], v1 offset1:1
	s_waitcnt lgkmcnt(0)
	v_cmp_neq_f64_e32 vcc, 0, v[78:79]
	v_cmp_neq_f64_e64 s[2:3], 0, v[80:81]
	s_or_b64 s[2:3], vcc, s[2:3]
	s_and_b64 exec, exec, s[2:3]
	s_cbranch_execz .LBB23_71
; %bb.66:
	v_cmp_ngt_f64_e64 s[2:3], |v[78:79]|, |v[80:81]|
                                        ; implicit-def: $vgpr82_vgpr83
	s_and_saveexec_b64 s[6:7], s[2:3]
	s_xor_b64 s[2:3], exec, s[6:7]
                                        ; implicit-def: $vgpr84_vgpr85
	s_cbranch_execz .LBB23_68
; %bb.67:
	v_div_scale_f64 v[82:83], s[6:7], v[80:81], v[80:81], v[78:79]
	v_rcp_f64_e32 v[84:85], v[82:83]
	v_fma_f64 v[86:87], -v[82:83], v[84:85], 1.0
	v_fma_f64 v[84:85], v[84:85], v[86:87], v[84:85]
	v_div_scale_f64 v[86:87], vcc, v[78:79], v[80:81], v[78:79]
	v_fma_f64 v[88:89], -v[82:83], v[84:85], 1.0
	v_fma_f64 v[84:85], v[84:85], v[88:89], v[84:85]
	v_mul_f64 v[88:89], v[86:87], v[84:85]
	v_fma_f64 v[82:83], -v[82:83], v[88:89], v[86:87]
	v_div_fmas_f64 v[82:83], v[82:83], v[84:85], v[88:89]
	v_div_fixup_f64 v[82:83], v[82:83], v[80:81], v[78:79]
	v_fma_f64 v[78:79], v[78:79], v[82:83], v[80:81]
	v_div_scale_f64 v[80:81], s[6:7], v[78:79], v[78:79], 1.0
	v_div_scale_f64 v[88:89], vcc, 1.0, v[78:79], 1.0
	v_rcp_f64_e32 v[84:85], v[80:81]
	v_fma_f64 v[86:87], -v[80:81], v[84:85], 1.0
	v_fma_f64 v[84:85], v[84:85], v[86:87], v[84:85]
	v_fma_f64 v[86:87], -v[80:81], v[84:85], 1.0
	v_fma_f64 v[84:85], v[84:85], v[86:87], v[84:85]
	v_mul_f64 v[86:87], v[88:89], v[84:85]
	v_fma_f64 v[80:81], -v[80:81], v[86:87], v[88:89]
	v_div_fmas_f64 v[80:81], v[80:81], v[84:85], v[86:87]
	v_div_fixup_f64 v[84:85], v[80:81], v[78:79], 1.0
                                        ; implicit-def: $vgpr78_vgpr79
	v_mul_f64 v[82:83], v[82:83], v[84:85]
	v_xor_b32_e32 v85, 0x80000000, v85
.LBB23_68:
	s_andn2_saveexec_b64 s[2:3], s[2:3]
	s_cbranch_execz .LBB23_70
; %bb.69:
	v_div_scale_f64 v[82:83], s[6:7], v[78:79], v[78:79], v[80:81]
	v_rcp_f64_e32 v[84:85], v[82:83]
	v_fma_f64 v[86:87], -v[82:83], v[84:85], 1.0
	v_fma_f64 v[84:85], v[84:85], v[86:87], v[84:85]
	v_div_scale_f64 v[86:87], vcc, v[80:81], v[78:79], v[80:81]
	v_fma_f64 v[88:89], -v[82:83], v[84:85], 1.0
	v_fma_f64 v[84:85], v[84:85], v[88:89], v[84:85]
	v_mul_f64 v[88:89], v[86:87], v[84:85]
	v_fma_f64 v[82:83], -v[82:83], v[88:89], v[86:87]
	v_div_fmas_f64 v[82:83], v[82:83], v[84:85], v[88:89]
	v_div_fixup_f64 v[84:85], v[82:83], v[78:79], v[80:81]
	v_fma_f64 v[78:79], v[80:81], v[84:85], v[78:79]
	v_div_scale_f64 v[80:81], s[6:7], v[78:79], v[78:79], 1.0
	v_div_scale_f64 v[88:89], vcc, 1.0, v[78:79], 1.0
	v_rcp_f64_e32 v[82:83], v[80:81]
	v_fma_f64 v[86:87], -v[80:81], v[82:83], 1.0
	v_fma_f64 v[82:83], v[82:83], v[86:87], v[82:83]
	v_fma_f64 v[86:87], -v[80:81], v[82:83], 1.0
	v_fma_f64 v[82:83], v[82:83], v[86:87], v[82:83]
	v_mul_f64 v[86:87], v[88:89], v[82:83]
	v_fma_f64 v[80:81], -v[80:81], v[86:87], v[88:89]
	v_div_fmas_f64 v[80:81], v[80:81], v[82:83], v[86:87]
	v_div_fixup_f64 v[82:83], v[80:81], v[78:79], 1.0
	v_mul_f64 v[84:85], v[84:85], -v[82:83]
.LBB23_70:
	s_or_b64 exec, exec, s[2:3]
	ds_write2_b64 v1, v[82:83], v[84:85] offset1:1
.LBB23_71:
	s_or_b64 exec, exec, s[4:5]
	s_waitcnt lgkmcnt(0)
	s_barrier
	ds_read2_b64 v[78:81], v1 offset1:1
	v_cmp_lt_u32_e32 vcc, 7, v0
	s_and_saveexec_b64 s[2:3], vcc
	s_cbranch_execz .LBB23_73
; %bb.72:
	s_waitcnt lgkmcnt(0)
	v_mul_f64 v[82:83], v[78:79], v[20:21]
	v_mul_f64 v[20:21], v[80:81], v[20:21]
	v_fma_f64 v[86:87], v[80:81], v[18:19], v[82:83]
	ds_read2_b64 v[82:85], v124 offset0:16 offset1:17
	v_fma_f64 v[18:19], v[78:79], v[18:19], -v[20:21]
	s_waitcnt lgkmcnt(0)
	v_mul_f64 v[20:21], v[84:85], v[86:87]
	v_fma_f64 v[20:21], v[82:83], v[18:19], -v[20:21]
	v_mul_f64 v[82:83], v[82:83], v[86:87]
	v_add_f64 v[10:11], v[10:11], -v[20:21]
	v_fma_f64 v[82:83], v[84:85], v[18:19], v[82:83]
	v_add_f64 v[12:13], v[12:13], -v[82:83]
	ds_read2_b64 v[82:85], v124 offset0:18 offset1:19
	s_waitcnt lgkmcnt(0)
	v_mul_f64 v[20:21], v[84:85], v[86:87]
	v_fma_f64 v[20:21], v[82:83], v[18:19], -v[20:21]
	v_mul_f64 v[82:83], v[82:83], v[86:87]
	v_add_f64 v[6:7], v[6:7], -v[20:21]
	v_fma_f64 v[82:83], v[84:85], v[18:19], v[82:83]
	v_add_f64 v[8:9], v[8:9], -v[82:83]
	ds_read2_b64 v[82:85], v124 offset0:20 offset1:21
	;; [unrolled: 8-line block ×3, first 2 shown]
	s_waitcnt lgkmcnt(0)
	v_mul_f64 v[20:21], v[84:85], v[86:87]
	v_fma_f64 v[20:21], v[82:83], v[18:19], -v[20:21]
	v_mul_f64 v[82:83], v[82:83], v[86:87]
	v_add_f64 v[14:15], v[14:15], -v[20:21]
	v_fma_f64 v[82:83], v[84:85], v[18:19], v[82:83]
	v_mov_b32_e32 v20, v86
	v_mov_b32_e32 v21, v87
	v_add_f64 v[16:17], v[16:17], -v[82:83]
.LBB23_73:
	s_or_b64 exec, exec, s[2:3]
	v_cmp_eq_u32_e32 vcc, 8, v0
	s_waitcnt lgkmcnt(0)
	s_barrier
	s_and_saveexec_b64 s[4:5], vcc
	s_cbranch_execz .LBB23_80
; %bb.74:
	ds_write2_b64 v1, v[10:11], v[12:13] offset1:1
	ds_write2_b64 v124, v[6:7], v[8:9] offset0:18 offset1:19
	ds_write2_b64 v124, v[2:3], v[4:5] offset0:20 offset1:21
	ds_write2_b64 v124, v[14:15], v[16:17] offset0:22 offset1:23
	ds_read2_b64 v[82:85], v1 offset1:1
	s_waitcnt lgkmcnt(0)
	v_cmp_neq_f64_e32 vcc, 0, v[82:83]
	v_cmp_neq_f64_e64 s[2:3], 0, v[84:85]
	s_or_b64 s[2:3], vcc, s[2:3]
	s_and_b64 exec, exec, s[2:3]
	s_cbranch_execz .LBB23_80
; %bb.75:
	v_cmp_ngt_f64_e64 s[2:3], |v[82:83]|, |v[84:85]|
                                        ; implicit-def: $vgpr86_vgpr87
	s_and_saveexec_b64 s[6:7], s[2:3]
	s_xor_b64 s[2:3], exec, s[6:7]
                                        ; implicit-def: $vgpr88_vgpr89
	s_cbranch_execz .LBB23_77
; %bb.76:
	v_div_scale_f64 v[86:87], s[6:7], v[84:85], v[84:85], v[82:83]
	v_rcp_f64_e32 v[88:89], v[86:87]
	v_fma_f64 v[90:91], -v[86:87], v[88:89], 1.0
	v_fma_f64 v[88:89], v[88:89], v[90:91], v[88:89]
	v_div_scale_f64 v[90:91], vcc, v[82:83], v[84:85], v[82:83]
	v_fma_f64 v[92:93], -v[86:87], v[88:89], 1.0
	v_fma_f64 v[88:89], v[88:89], v[92:93], v[88:89]
	v_mul_f64 v[92:93], v[90:91], v[88:89]
	v_fma_f64 v[86:87], -v[86:87], v[92:93], v[90:91]
	v_div_fmas_f64 v[86:87], v[86:87], v[88:89], v[92:93]
	v_div_fixup_f64 v[86:87], v[86:87], v[84:85], v[82:83]
	v_fma_f64 v[82:83], v[82:83], v[86:87], v[84:85]
	v_div_scale_f64 v[84:85], s[6:7], v[82:83], v[82:83], 1.0
	v_div_scale_f64 v[92:93], vcc, 1.0, v[82:83], 1.0
	v_rcp_f64_e32 v[88:89], v[84:85]
	v_fma_f64 v[90:91], -v[84:85], v[88:89], 1.0
	v_fma_f64 v[88:89], v[88:89], v[90:91], v[88:89]
	v_fma_f64 v[90:91], -v[84:85], v[88:89], 1.0
	v_fma_f64 v[88:89], v[88:89], v[90:91], v[88:89]
	v_mul_f64 v[90:91], v[92:93], v[88:89]
	v_fma_f64 v[84:85], -v[84:85], v[90:91], v[92:93]
	v_div_fmas_f64 v[84:85], v[84:85], v[88:89], v[90:91]
	v_div_fixup_f64 v[88:89], v[84:85], v[82:83], 1.0
                                        ; implicit-def: $vgpr82_vgpr83
	v_mul_f64 v[86:87], v[86:87], v[88:89]
	v_xor_b32_e32 v89, 0x80000000, v89
.LBB23_77:
	s_andn2_saveexec_b64 s[2:3], s[2:3]
	s_cbranch_execz .LBB23_79
; %bb.78:
	v_div_scale_f64 v[86:87], s[6:7], v[82:83], v[82:83], v[84:85]
	v_rcp_f64_e32 v[88:89], v[86:87]
	v_fma_f64 v[90:91], -v[86:87], v[88:89], 1.0
	v_fma_f64 v[88:89], v[88:89], v[90:91], v[88:89]
	v_div_scale_f64 v[90:91], vcc, v[84:85], v[82:83], v[84:85]
	v_fma_f64 v[92:93], -v[86:87], v[88:89], 1.0
	v_fma_f64 v[88:89], v[88:89], v[92:93], v[88:89]
	v_mul_f64 v[92:93], v[90:91], v[88:89]
	v_fma_f64 v[86:87], -v[86:87], v[92:93], v[90:91]
	v_div_fmas_f64 v[86:87], v[86:87], v[88:89], v[92:93]
	v_div_fixup_f64 v[88:89], v[86:87], v[82:83], v[84:85]
	v_fma_f64 v[82:83], v[84:85], v[88:89], v[82:83]
	v_div_scale_f64 v[84:85], s[6:7], v[82:83], v[82:83], 1.0
	v_div_scale_f64 v[92:93], vcc, 1.0, v[82:83], 1.0
	v_rcp_f64_e32 v[86:87], v[84:85]
	v_fma_f64 v[90:91], -v[84:85], v[86:87], 1.0
	v_fma_f64 v[86:87], v[86:87], v[90:91], v[86:87]
	v_fma_f64 v[90:91], -v[84:85], v[86:87], 1.0
	v_fma_f64 v[86:87], v[86:87], v[90:91], v[86:87]
	v_mul_f64 v[90:91], v[92:93], v[86:87]
	v_fma_f64 v[84:85], -v[84:85], v[90:91], v[92:93]
	v_div_fmas_f64 v[84:85], v[84:85], v[86:87], v[90:91]
	v_div_fixup_f64 v[86:87], v[84:85], v[82:83], 1.0
	v_mul_f64 v[88:89], v[88:89], -v[86:87]
.LBB23_79:
	s_or_b64 exec, exec, s[2:3]
	ds_write2_b64 v1, v[86:87], v[88:89] offset1:1
.LBB23_80:
	s_or_b64 exec, exec, s[4:5]
	s_waitcnt lgkmcnt(0)
	s_barrier
	ds_read2_b64 v[82:85], v1 offset1:1
	v_cmp_lt_u32_e32 vcc, 8, v0
	s_and_saveexec_b64 s[2:3], vcc
	s_cbranch_execz .LBB23_82
; %bb.81:
	s_waitcnt lgkmcnt(0)
	v_mul_f64 v[86:87], v[82:83], v[12:13]
	v_mul_f64 v[12:13], v[84:85], v[12:13]
	v_fma_f64 v[90:91], v[84:85], v[10:11], v[86:87]
	ds_read2_b64 v[86:89], v124 offset0:18 offset1:19
	v_fma_f64 v[10:11], v[82:83], v[10:11], -v[12:13]
	s_waitcnt lgkmcnt(0)
	v_mul_f64 v[12:13], v[88:89], v[90:91]
	v_fma_f64 v[12:13], v[86:87], v[10:11], -v[12:13]
	v_mul_f64 v[86:87], v[86:87], v[90:91]
	v_add_f64 v[6:7], v[6:7], -v[12:13]
	v_fma_f64 v[86:87], v[88:89], v[10:11], v[86:87]
	v_add_f64 v[8:9], v[8:9], -v[86:87]
	ds_read2_b64 v[86:89], v124 offset0:20 offset1:21
	s_waitcnt lgkmcnt(0)
	v_mul_f64 v[12:13], v[88:89], v[90:91]
	v_fma_f64 v[12:13], v[86:87], v[10:11], -v[12:13]
	v_mul_f64 v[86:87], v[86:87], v[90:91]
	v_add_f64 v[2:3], v[2:3], -v[12:13]
	v_fma_f64 v[86:87], v[88:89], v[10:11], v[86:87]
	v_add_f64 v[4:5], v[4:5], -v[86:87]
	ds_read2_b64 v[86:89], v124 offset0:22 offset1:23
	s_waitcnt lgkmcnt(0)
	v_mul_f64 v[12:13], v[88:89], v[90:91]
	v_fma_f64 v[12:13], v[86:87], v[10:11], -v[12:13]
	v_mul_f64 v[86:87], v[86:87], v[90:91]
	v_add_f64 v[14:15], v[14:15], -v[12:13]
	v_fma_f64 v[86:87], v[88:89], v[10:11], v[86:87]
	v_mov_b32_e32 v12, v90
	v_mov_b32_e32 v13, v91
	v_add_f64 v[16:17], v[16:17], -v[86:87]
.LBB23_82:
	s_or_b64 exec, exec, s[2:3]
	v_cmp_eq_u32_e32 vcc, 9, v0
	s_waitcnt lgkmcnt(0)
	s_barrier
	s_and_saveexec_b64 s[4:5], vcc
	s_cbranch_execz .LBB23_89
; %bb.83:
	ds_write2_b64 v1, v[6:7], v[8:9] offset1:1
	ds_write2_b64 v124, v[2:3], v[4:5] offset0:20 offset1:21
	ds_write2_b64 v124, v[14:15], v[16:17] offset0:22 offset1:23
	ds_read2_b64 v[86:89], v1 offset1:1
	s_waitcnt lgkmcnt(0)
	v_cmp_neq_f64_e32 vcc, 0, v[86:87]
	v_cmp_neq_f64_e64 s[2:3], 0, v[88:89]
	s_or_b64 s[2:3], vcc, s[2:3]
	s_and_b64 exec, exec, s[2:3]
	s_cbranch_execz .LBB23_89
; %bb.84:
	v_cmp_ngt_f64_e64 s[2:3], |v[86:87]|, |v[88:89]|
                                        ; implicit-def: $vgpr90_vgpr91
	s_and_saveexec_b64 s[6:7], s[2:3]
	s_xor_b64 s[2:3], exec, s[6:7]
                                        ; implicit-def: $vgpr92_vgpr93
	s_cbranch_execz .LBB23_86
; %bb.85:
	v_div_scale_f64 v[90:91], s[6:7], v[88:89], v[88:89], v[86:87]
	v_rcp_f64_e32 v[92:93], v[90:91]
	v_fma_f64 v[94:95], -v[90:91], v[92:93], 1.0
	v_fma_f64 v[92:93], v[92:93], v[94:95], v[92:93]
	v_div_scale_f64 v[94:95], vcc, v[86:87], v[88:89], v[86:87]
	v_fma_f64 v[96:97], -v[90:91], v[92:93], 1.0
	v_fma_f64 v[92:93], v[92:93], v[96:97], v[92:93]
	v_mul_f64 v[96:97], v[94:95], v[92:93]
	v_fma_f64 v[90:91], -v[90:91], v[96:97], v[94:95]
	v_div_fmas_f64 v[90:91], v[90:91], v[92:93], v[96:97]
	v_div_fixup_f64 v[90:91], v[90:91], v[88:89], v[86:87]
	v_fma_f64 v[86:87], v[86:87], v[90:91], v[88:89]
	v_div_scale_f64 v[88:89], s[6:7], v[86:87], v[86:87], 1.0
	v_div_scale_f64 v[96:97], vcc, 1.0, v[86:87], 1.0
	v_rcp_f64_e32 v[92:93], v[88:89]
	v_fma_f64 v[94:95], -v[88:89], v[92:93], 1.0
	v_fma_f64 v[92:93], v[92:93], v[94:95], v[92:93]
	v_fma_f64 v[94:95], -v[88:89], v[92:93], 1.0
	v_fma_f64 v[92:93], v[92:93], v[94:95], v[92:93]
	v_mul_f64 v[94:95], v[96:97], v[92:93]
	v_fma_f64 v[88:89], -v[88:89], v[94:95], v[96:97]
	v_div_fmas_f64 v[88:89], v[88:89], v[92:93], v[94:95]
	v_div_fixup_f64 v[92:93], v[88:89], v[86:87], 1.0
                                        ; implicit-def: $vgpr86_vgpr87
	v_mul_f64 v[90:91], v[90:91], v[92:93]
	v_xor_b32_e32 v93, 0x80000000, v93
.LBB23_86:
	s_andn2_saveexec_b64 s[2:3], s[2:3]
	s_cbranch_execz .LBB23_88
; %bb.87:
	v_div_scale_f64 v[90:91], s[6:7], v[86:87], v[86:87], v[88:89]
	v_rcp_f64_e32 v[92:93], v[90:91]
	v_fma_f64 v[94:95], -v[90:91], v[92:93], 1.0
	v_fma_f64 v[92:93], v[92:93], v[94:95], v[92:93]
	v_div_scale_f64 v[94:95], vcc, v[88:89], v[86:87], v[88:89]
	v_fma_f64 v[96:97], -v[90:91], v[92:93], 1.0
	v_fma_f64 v[92:93], v[92:93], v[96:97], v[92:93]
	v_mul_f64 v[96:97], v[94:95], v[92:93]
	v_fma_f64 v[90:91], -v[90:91], v[96:97], v[94:95]
	v_div_fmas_f64 v[90:91], v[90:91], v[92:93], v[96:97]
	v_div_fixup_f64 v[92:93], v[90:91], v[86:87], v[88:89]
	v_fma_f64 v[86:87], v[88:89], v[92:93], v[86:87]
	v_div_scale_f64 v[88:89], s[6:7], v[86:87], v[86:87], 1.0
	v_div_scale_f64 v[96:97], vcc, 1.0, v[86:87], 1.0
	v_rcp_f64_e32 v[90:91], v[88:89]
	v_fma_f64 v[94:95], -v[88:89], v[90:91], 1.0
	v_fma_f64 v[90:91], v[90:91], v[94:95], v[90:91]
	v_fma_f64 v[94:95], -v[88:89], v[90:91], 1.0
	v_fma_f64 v[90:91], v[90:91], v[94:95], v[90:91]
	v_mul_f64 v[94:95], v[96:97], v[90:91]
	v_fma_f64 v[88:89], -v[88:89], v[94:95], v[96:97]
	v_div_fmas_f64 v[88:89], v[88:89], v[90:91], v[94:95]
	v_div_fixup_f64 v[90:91], v[88:89], v[86:87], 1.0
	v_mul_f64 v[92:93], v[92:93], -v[90:91]
.LBB23_88:
	s_or_b64 exec, exec, s[2:3]
	ds_write2_b64 v1, v[90:91], v[92:93] offset1:1
.LBB23_89:
	s_or_b64 exec, exec, s[4:5]
	s_waitcnt lgkmcnt(0)
	s_barrier
	ds_read2_b64 v[86:89], v1 offset1:1
	v_cmp_lt_u32_e32 vcc, 9, v0
	s_and_saveexec_b64 s[2:3], vcc
	s_cbranch_execz .LBB23_91
; %bb.90:
	s_waitcnt lgkmcnt(0)
	v_mul_f64 v[90:91], v[86:87], v[8:9]
	v_mul_f64 v[8:9], v[88:89], v[8:9]
	v_fma_f64 v[94:95], v[88:89], v[6:7], v[90:91]
	ds_read2_b64 v[90:93], v124 offset0:20 offset1:21
	v_fma_f64 v[6:7], v[86:87], v[6:7], -v[8:9]
	s_waitcnt lgkmcnt(0)
	v_mul_f64 v[8:9], v[92:93], v[94:95]
	v_fma_f64 v[8:9], v[90:91], v[6:7], -v[8:9]
	v_mul_f64 v[90:91], v[90:91], v[94:95]
	v_add_f64 v[2:3], v[2:3], -v[8:9]
	v_fma_f64 v[90:91], v[92:93], v[6:7], v[90:91]
	v_add_f64 v[4:5], v[4:5], -v[90:91]
	ds_read2_b64 v[90:93], v124 offset0:22 offset1:23
	s_waitcnt lgkmcnt(0)
	v_mul_f64 v[8:9], v[92:93], v[94:95]
	v_fma_f64 v[8:9], v[90:91], v[6:7], -v[8:9]
	v_mul_f64 v[90:91], v[90:91], v[94:95]
	v_add_f64 v[14:15], v[14:15], -v[8:9]
	v_fma_f64 v[90:91], v[92:93], v[6:7], v[90:91]
	v_mov_b32_e32 v8, v94
	v_mov_b32_e32 v9, v95
	v_add_f64 v[16:17], v[16:17], -v[90:91]
.LBB23_91:
	s_or_b64 exec, exec, s[2:3]
	v_cmp_eq_u32_e32 vcc, 10, v0
	s_waitcnt lgkmcnt(0)
	s_barrier
	s_and_saveexec_b64 s[4:5], vcc
	s_cbranch_execz .LBB23_98
; %bb.92:
	ds_write2_b64 v1, v[2:3], v[4:5] offset1:1
	ds_write2_b64 v124, v[14:15], v[16:17] offset0:22 offset1:23
	ds_read2_b64 v[90:93], v1 offset1:1
	s_waitcnt lgkmcnt(0)
	v_cmp_neq_f64_e32 vcc, 0, v[90:91]
	v_cmp_neq_f64_e64 s[2:3], 0, v[92:93]
	s_or_b64 s[2:3], vcc, s[2:3]
	s_and_b64 exec, exec, s[2:3]
	s_cbranch_execz .LBB23_98
; %bb.93:
	v_cmp_ngt_f64_e64 s[2:3], |v[90:91]|, |v[92:93]|
                                        ; implicit-def: $vgpr94_vgpr95
	s_and_saveexec_b64 s[6:7], s[2:3]
	s_xor_b64 s[2:3], exec, s[6:7]
                                        ; implicit-def: $vgpr96_vgpr97
	s_cbranch_execz .LBB23_95
; %bb.94:
	v_div_scale_f64 v[94:95], s[6:7], v[92:93], v[92:93], v[90:91]
	v_rcp_f64_e32 v[96:97], v[94:95]
	v_fma_f64 v[125:126], -v[94:95], v[96:97], 1.0
	v_fma_f64 v[96:97], v[96:97], v[125:126], v[96:97]
	v_div_scale_f64 v[125:126], vcc, v[90:91], v[92:93], v[90:91]
	v_fma_f64 v[50:51], -v[94:95], v[96:97], 1.0
	v_fma_f64 v[50:51], v[96:97], v[50:51], v[96:97]
	v_mul_f64 v[52:53], v[125:126], v[50:51]
	v_fma_f64 v[94:95], -v[94:95], v[52:53], v[125:126]
	v_div_fmas_f64 v[50:51], v[94:95], v[50:51], v[52:53]
	v_div_fixup_f64 v[50:51], v[50:51], v[92:93], v[90:91]
	v_fma_f64 v[52:53], v[90:91], v[50:51], v[92:93]
	v_div_scale_f64 v[90:91], s[6:7], v[52:53], v[52:53], 1.0
	v_div_scale_f64 v[96:97], vcc, 1.0, v[52:53], 1.0
	v_rcp_f64_e32 v[92:93], v[90:91]
	v_fma_f64 v[94:95], -v[90:91], v[92:93], 1.0
	v_fma_f64 v[92:93], v[92:93], v[94:95], v[92:93]
	v_fma_f64 v[94:95], -v[90:91], v[92:93], 1.0
	v_fma_f64 v[92:93], v[92:93], v[94:95], v[92:93]
	v_mul_f64 v[94:95], v[96:97], v[92:93]
	v_fma_f64 v[90:91], -v[90:91], v[94:95], v[96:97]
	v_div_fmas_f64 v[90:91], v[90:91], v[92:93], v[94:95]
	v_div_fixup_f64 v[96:97], v[90:91], v[52:53], 1.0
                                        ; implicit-def: $vgpr90_vgpr91
	v_mul_f64 v[94:95], v[50:51], v[96:97]
	v_xor_b32_e32 v97, 0x80000000, v97
.LBB23_95:
	s_andn2_saveexec_b64 s[2:3], s[2:3]
	s_cbranch_execz .LBB23_97
; %bb.96:
	v_div_scale_f64 v[50:51], s[6:7], v[90:91], v[90:91], v[92:93]
	v_rcp_f64_e32 v[52:53], v[50:51]
	v_fma_f64 v[94:95], -v[50:51], v[52:53], 1.0
	v_fma_f64 v[52:53], v[52:53], v[94:95], v[52:53]
	v_div_scale_f64 v[94:95], vcc, v[92:93], v[90:91], v[92:93]
	v_fma_f64 v[96:97], -v[50:51], v[52:53], 1.0
	v_fma_f64 v[52:53], v[52:53], v[96:97], v[52:53]
	v_mul_f64 v[96:97], v[94:95], v[52:53]
	v_fma_f64 v[50:51], -v[50:51], v[96:97], v[94:95]
	v_div_fmas_f64 v[50:51], v[50:51], v[52:53], v[96:97]
	v_div_fixup_f64 v[50:51], v[50:51], v[90:91], v[92:93]
	v_fma_f64 v[52:53], v[92:93], v[50:51], v[90:91]
	v_div_scale_f64 v[90:91], s[6:7], v[52:53], v[52:53], 1.0
	v_div_scale_f64 v[96:97], vcc, 1.0, v[52:53], 1.0
	v_rcp_f64_e32 v[92:93], v[90:91]
	v_fma_f64 v[94:95], -v[90:91], v[92:93], 1.0
	v_fma_f64 v[92:93], v[92:93], v[94:95], v[92:93]
	v_fma_f64 v[94:95], -v[90:91], v[92:93], 1.0
	v_fma_f64 v[92:93], v[92:93], v[94:95], v[92:93]
	v_mul_f64 v[94:95], v[96:97], v[92:93]
	v_fma_f64 v[90:91], -v[90:91], v[94:95], v[96:97]
	v_div_fmas_f64 v[90:91], v[90:91], v[92:93], v[94:95]
	v_div_fixup_f64 v[94:95], v[90:91], v[52:53], 1.0
	v_mul_f64 v[96:97], v[50:51], -v[94:95]
.LBB23_97:
	s_or_b64 exec, exec, s[2:3]
	ds_write2_b64 v1, v[94:95], v[96:97] offset1:1
.LBB23_98:
	s_or_b64 exec, exec, s[4:5]
	s_waitcnt lgkmcnt(0)
	s_barrier
	ds_read2_b64 v[90:93], v1 offset1:1
	v_cmp_lt_u32_e32 vcc, 10, v0
	s_and_saveexec_b64 s[2:3], vcc
	s_cbranch_execz .LBB23_100
; %bb.99:
	s_waitcnt lgkmcnt(0)
	v_mul_f64 v[50:51], v[90:91], v[4:5]
	v_mul_f64 v[4:5], v[92:93], v[4:5]
	ds_read2_b64 v[94:97], v124 offset0:22 offset1:23
	v_fma_f64 v[50:51], v[92:93], v[2:3], v[50:51]
	v_fma_f64 v[2:3], v[90:91], v[2:3], -v[4:5]
	s_waitcnt lgkmcnt(0)
	v_mul_f64 v[4:5], v[96:97], v[50:51]
	v_mul_f64 v[52:53], v[94:95], v[50:51]
	v_fma_f64 v[4:5], v[94:95], v[2:3], -v[4:5]
	v_fma_f64 v[52:53], v[96:97], v[2:3], v[52:53]
	v_add_f64 v[14:15], v[14:15], -v[4:5]
	v_add_f64 v[16:17], v[16:17], -v[52:53]
	v_mov_b32_e32 v4, v50
	v_mov_b32_e32 v5, v51
.LBB23_100:
	s_or_b64 exec, exec, s[2:3]
	v_cmp_eq_u32_e32 vcc, 11, v0
	s_waitcnt lgkmcnt(0)
	s_barrier
	s_and_saveexec_b64 s[4:5], vcc
	s_cbranch_execz .LBB23_107
; %bb.101:
	v_cmp_neq_f64_e32 vcc, 0, v[14:15]
	v_cmp_neq_f64_e64 s[2:3], 0, v[16:17]
	ds_write2_b64 v1, v[14:15], v[16:17] offset1:1
	s_or_b64 s[2:3], vcc, s[2:3]
	s_and_b64 exec, exec, s[2:3]
	s_cbranch_execz .LBB23_107
; %bb.102:
	v_cmp_ngt_f64_e64 s[2:3], |v[14:15]|, |v[16:17]|
                                        ; implicit-def: $vgpr94_vgpr95
	s_and_saveexec_b64 s[6:7], s[2:3]
	s_xor_b64 s[2:3], exec, s[6:7]
                                        ; implicit-def: $vgpr96_vgpr97
	s_cbranch_execz .LBB23_104
; %bb.103:
	v_div_scale_f64 v[50:51], s[6:7], v[16:17], v[16:17], v[14:15]
	v_rcp_f64_e32 v[52:53], v[50:51]
	v_fma_f64 v[94:95], -v[50:51], v[52:53], 1.0
	v_fma_f64 v[52:53], v[52:53], v[94:95], v[52:53]
	v_div_scale_f64 v[94:95], vcc, v[14:15], v[16:17], v[14:15]
	v_fma_f64 v[96:97], -v[50:51], v[52:53], 1.0
	v_fma_f64 v[52:53], v[52:53], v[96:97], v[52:53]
	v_mul_f64 v[96:97], v[94:95], v[52:53]
	v_fma_f64 v[50:51], -v[50:51], v[96:97], v[94:95]
	v_div_fmas_f64 v[50:51], v[50:51], v[52:53], v[96:97]
	v_div_fixup_f64 v[50:51], v[50:51], v[16:17], v[14:15]
	v_fma_f64 v[52:53], v[14:15], v[50:51], v[16:17]
	v_div_scale_f64 v[94:95], s[6:7], v[52:53], v[52:53], 1.0
	v_div_scale_f64 v[126:127], vcc, 1.0, v[52:53], 1.0
	v_rcp_f64_e32 v[96:97], v[94:95]
	v_fma_f64 v[124:125], -v[94:95], v[96:97], 1.0
	v_fma_f64 v[96:97], v[96:97], v[124:125], v[96:97]
	v_fma_f64 v[124:125], -v[94:95], v[96:97], 1.0
	v_fma_f64 v[96:97], v[96:97], v[124:125], v[96:97]
	v_mul_f64 v[124:125], v[126:127], v[96:97]
	v_fma_f64 v[94:95], -v[94:95], v[124:125], v[126:127]
	v_div_fmas_f64 v[94:95], v[94:95], v[96:97], v[124:125]
	v_div_fixup_f64 v[96:97], v[94:95], v[52:53], 1.0
	v_mul_f64 v[94:95], v[50:51], v[96:97]
	v_xor_b32_e32 v97, 0x80000000, v97
.LBB23_104:
	s_andn2_saveexec_b64 s[2:3], s[2:3]
	s_cbranch_execz .LBB23_106
; %bb.105:
	v_div_scale_f64 v[50:51], s[6:7], v[14:15], v[14:15], v[16:17]
	v_rcp_f64_e32 v[52:53], v[50:51]
	v_fma_f64 v[94:95], -v[50:51], v[52:53], 1.0
	v_fma_f64 v[52:53], v[52:53], v[94:95], v[52:53]
	v_div_scale_f64 v[94:95], vcc, v[16:17], v[14:15], v[16:17]
	v_fma_f64 v[96:97], -v[50:51], v[52:53], 1.0
	v_fma_f64 v[52:53], v[52:53], v[96:97], v[52:53]
	v_mul_f64 v[96:97], v[94:95], v[52:53]
	v_fma_f64 v[50:51], -v[50:51], v[96:97], v[94:95]
	v_div_fmas_f64 v[50:51], v[50:51], v[52:53], v[96:97]
	v_div_fixup_f64 v[50:51], v[50:51], v[14:15], v[16:17]
	v_fma_f64 v[52:53], v[16:17], v[50:51], v[14:15]
	v_div_scale_f64 v[94:95], s[6:7], v[52:53], v[52:53], 1.0
	v_div_scale_f64 v[126:127], vcc, 1.0, v[52:53], 1.0
	v_rcp_f64_e32 v[96:97], v[94:95]
	v_fma_f64 v[124:125], -v[94:95], v[96:97], 1.0
	v_fma_f64 v[96:97], v[96:97], v[124:125], v[96:97]
	v_fma_f64 v[124:125], -v[94:95], v[96:97], 1.0
	v_fma_f64 v[96:97], v[96:97], v[124:125], v[96:97]
	v_mul_f64 v[124:125], v[126:127], v[96:97]
	v_fma_f64 v[94:95], -v[94:95], v[124:125], v[126:127]
	v_div_fmas_f64 v[94:95], v[94:95], v[96:97], v[124:125]
	v_div_fixup_f64 v[94:95], v[94:95], v[52:53], 1.0
	v_mul_f64 v[96:97], v[50:51], -v[94:95]
.LBB23_106:
	s_or_b64 exec, exec, s[2:3]
	ds_write2_b64 v1, v[94:95], v[96:97] offset1:1
.LBB23_107:
	s_or_b64 exec, exec, s[4:5]
	s_waitcnt lgkmcnt(0)
	s_barrier
	ds_read2_b64 v[94:97], v1 offset1:1
	s_waitcnt lgkmcnt(0)
	s_barrier
	s_and_saveexec_b64 s[50:51], s[0:1]
	s_cbranch_execz .LBB23_110
; %bb.108:
	v_lshlrev_b64 v[50:51], 2, v[108:109]
	v_mov_b32_e32 v1, s11
	v_add_co_u32_e32 v108, vcc, s10, v50
	v_addc_co_u32_e32 v109, vcc, v1, v51, vcc
	global_load_dword v50, v[108:109], off
	buffer_load_dword v124, off, s[52:55], 0 ; 4-byte Folded Reload
	buffer_load_dword v125, off, s[52:55], 0 offset:4 ; 4-byte Folded Reload
	buffer_load_dword v126, off, s[52:55], 0 offset:8 ; 4-byte Folded Reload
	buffer_load_dword v127, off, s[52:55], 0 offset:12 ; 4-byte Folded Reload
	v_cmp_neq_f64_e64 s[2:3], 0, v[54:55]
	v_cmp_neq_f64_e64 s[4:5], 0, v[56:57]
	v_cmp_eq_f64_e64 s[6:7], 0, v[58:59]
	v_cmp_eq_f64_e64 s[8:9], 0, v[60:61]
	;; [unrolled: 1-line block ×7, first 2 shown]
	s_or_b64 s[2:3], s[2:3], s[4:5]
	v_cmp_eq_f64_e64 s[20:21], 0, v[72:73]
	s_and_b64 s[4:5], s[6:7], s[8:9]
	v_cmp_eq_f64_e64 s[22:23], 0, v[74:75]
	s_and_b64 s[6:7], s[10:11], s[12:13]
	;; [unrolled: 2-line block ×3, first 2 shown]
	v_cmp_eq_f64_e64 s[26:27], 0, v[78:79]
	v_cmp_eq_f64_e64 s[28:29], 0, v[80:81]
	s_and_b64 s[10:11], s[18:19], s[20:21]
	v_cmp_eq_f64_e64 s[30:31], 0, v[82:83]
	v_cmp_eq_f64_e64 s[34:35], 0, v[84:85]
	;; [unrolled: 1-line block ×3, first 2 shown]
	s_and_b64 s[12:13], s[22:23], s[24:25]
	v_cmp_eq_f64_e64 s[38:39], 0, v[88:89]
	v_cmp_eq_f64_e64 s[40:41], 0, v[90:91]
	s_and_b64 s[14:15], s[26:27], s[28:29]
	v_cmp_eq_f64_e64 s[42:43], 0, v[92:93]
	v_cmp_eq_f64_e64 s[44:45], 0, v[94:95]
	s_and_b64 s[16:17], s[30:31], s[34:35]
	v_cmp_eq_f64_e64 s[46:47], 0, v[96:97]
	s_and_b64 s[18:19], s[36:37], s[38:39]
	s_and_b64 s[20:21], s[40:41], s[42:43]
	;; [unrolled: 1-line block ×3, first 2 shown]
	s_waitcnt vmcnt(2)
	v_cmp_eq_f64_e32 vcc, 0, v[124:125]
	s_waitcnt vmcnt(0)
	v_cmp_eq_f64_e64 s[0:1], 0, v[126:127]
	s_and_b64 s[0:1], vcc, s[0:1]
	v_cndmask_b32_e64 v1, 0, 1, s[0:1]
	s_or_b64 vcc, s[2:3], s[0:1]
	v_cndmask_b32_e32 v1, 2, v1, vcc
	v_cmp_eq_u32_e32 vcc, 0, v1
	s_and_b64 s[0:1], s[4:5], vcc
	v_cndmask_b32_e64 v1, v1, 3, s[0:1]
	v_cmp_eq_u32_e32 vcc, 0, v1
	s_and_b64 s[0:1], s[6:7], vcc
	v_cndmask_b32_e64 v1, v1, 4, s[0:1]
	;; [unrolled: 3-line block ×10, first 2 shown]
	v_cmp_eq_u32_e32 vcc, 0, v50
	v_cmp_ne_u32_e64 s[0:1], 0, v1
	s_and_b64 s[0:1], vcc, s[0:1]
	s_and_b64 exec, exec, s[0:1]
	s_cbranch_execz .LBB23_110
; %bb.109:
	v_add_u32_e32 v1, s49, v1
	global_store_dword v[108:109], v1, off
.LBB23_110:
	s_or_b64 exec, exec, s[50:51]
	v_mul_f64 v[50:51], v[94:95], v[16:17]
	v_mul_f64 v[52:53], v[96:97], v[16:17]
	global_store_dwordx4 v[120:121], v[46:49], off
	global_store_dwordx4 v[122:123], v[42:45], off
	global_store_dwordx4 v[98:99], v[38:41], off
	global_store_dwordx4 v[100:101], v[34:37], off
	v_cmp_lt_u32_e32 vcc, 11, v0
	global_store_dwordx4 v[102:103], v[30:33], off
	global_store_dwordx4 v[104:105], v[26:29], off
	global_store_dwordx4 v[106:107], v[22:25], off
	global_store_dwordx4 v[110:111], v[18:21], off
	v_fma_f64 v[38:39], v[96:97], v[14:15], v[50:51]
	v_fma_f64 v[34:35], v[94:95], v[14:15], -v[52:53]
	v_cndmask_b32_e32 v17, v17, v39, vcc
	v_cndmask_b32_e32 v16, v16, v38, vcc
	;; [unrolled: 1-line block ×4, first 2 shown]
	global_store_dwordx4 v[112:113], v[10:13], off
	global_store_dwordx4 v[114:115], v[6:9], off
	;; [unrolled: 1-line block ×4, first 2 shown]
.LBB23_111:
	s_endpgm
	.section	.rodata,"a",@progbits
	.p2align	6, 0x0
	.amdhsa_kernel _ZN9rocsolver6v33100L23getf2_npvt_small_kernelILi12E19rocblas_complex_numIdEiiPS3_EEvT1_T3_lS5_lPT2_S5_S5_
		.amdhsa_group_segment_fixed_size 0
		.amdhsa_private_segment_fixed_size 20
		.amdhsa_kernarg_size 312
		.amdhsa_user_sgpr_count 6
		.amdhsa_user_sgpr_private_segment_buffer 1
		.amdhsa_user_sgpr_dispatch_ptr 0
		.amdhsa_user_sgpr_queue_ptr 0
		.amdhsa_user_sgpr_kernarg_segment_ptr 1
		.amdhsa_user_sgpr_dispatch_id 0
		.amdhsa_user_sgpr_flat_scratch_init 0
		.amdhsa_user_sgpr_private_segment_size 0
		.amdhsa_uses_dynamic_stack 0
		.amdhsa_system_sgpr_private_segment_wavefront_offset 1
		.amdhsa_system_sgpr_workgroup_id_x 1
		.amdhsa_system_sgpr_workgroup_id_y 1
		.amdhsa_system_sgpr_workgroup_id_z 0
		.amdhsa_system_sgpr_workgroup_info 0
		.amdhsa_system_vgpr_workitem_id 1
		.amdhsa_next_free_vgpr 128
		.amdhsa_next_free_sgpr 56
		.amdhsa_reserve_vcc 1
		.amdhsa_reserve_flat_scratch 0
		.amdhsa_float_round_mode_32 0
		.amdhsa_float_round_mode_16_64 0
		.amdhsa_float_denorm_mode_32 3
		.amdhsa_float_denorm_mode_16_64 3
		.amdhsa_dx10_clamp 1
		.amdhsa_ieee_mode 1
		.amdhsa_fp16_overflow 0
		.amdhsa_exception_fp_ieee_invalid_op 0
		.amdhsa_exception_fp_denorm_src 0
		.amdhsa_exception_fp_ieee_div_zero 0
		.amdhsa_exception_fp_ieee_overflow 0
		.amdhsa_exception_fp_ieee_underflow 0
		.amdhsa_exception_fp_ieee_inexact 0
		.amdhsa_exception_int_div_zero 0
	.end_amdhsa_kernel
	.section	.text._ZN9rocsolver6v33100L23getf2_npvt_small_kernelILi12E19rocblas_complex_numIdEiiPS3_EEvT1_T3_lS5_lPT2_S5_S5_,"axG",@progbits,_ZN9rocsolver6v33100L23getf2_npvt_small_kernelILi12E19rocblas_complex_numIdEiiPS3_EEvT1_T3_lS5_lPT2_S5_S5_,comdat
.Lfunc_end23:
	.size	_ZN9rocsolver6v33100L23getf2_npvt_small_kernelILi12E19rocblas_complex_numIdEiiPS3_EEvT1_T3_lS5_lPT2_S5_S5_, .Lfunc_end23-_ZN9rocsolver6v33100L23getf2_npvt_small_kernelILi12E19rocblas_complex_numIdEiiPS3_EEvT1_T3_lS5_lPT2_S5_S5_
                                        ; -- End function
	.set _ZN9rocsolver6v33100L23getf2_npvt_small_kernelILi12E19rocblas_complex_numIdEiiPS3_EEvT1_T3_lS5_lPT2_S5_S5_.num_vgpr, 128
	.set _ZN9rocsolver6v33100L23getf2_npvt_small_kernelILi12E19rocblas_complex_numIdEiiPS3_EEvT1_T3_lS5_lPT2_S5_S5_.num_agpr, 0
	.set _ZN9rocsolver6v33100L23getf2_npvt_small_kernelILi12E19rocblas_complex_numIdEiiPS3_EEvT1_T3_lS5_lPT2_S5_S5_.numbered_sgpr, 56
	.set _ZN9rocsolver6v33100L23getf2_npvt_small_kernelILi12E19rocblas_complex_numIdEiiPS3_EEvT1_T3_lS5_lPT2_S5_S5_.num_named_barrier, 0
	.set _ZN9rocsolver6v33100L23getf2_npvt_small_kernelILi12E19rocblas_complex_numIdEiiPS3_EEvT1_T3_lS5_lPT2_S5_S5_.private_seg_size, 20
	.set _ZN9rocsolver6v33100L23getf2_npvt_small_kernelILi12E19rocblas_complex_numIdEiiPS3_EEvT1_T3_lS5_lPT2_S5_S5_.uses_vcc, 1
	.set _ZN9rocsolver6v33100L23getf2_npvt_small_kernelILi12E19rocblas_complex_numIdEiiPS3_EEvT1_T3_lS5_lPT2_S5_S5_.uses_flat_scratch, 0
	.set _ZN9rocsolver6v33100L23getf2_npvt_small_kernelILi12E19rocblas_complex_numIdEiiPS3_EEvT1_T3_lS5_lPT2_S5_S5_.has_dyn_sized_stack, 0
	.set _ZN9rocsolver6v33100L23getf2_npvt_small_kernelILi12E19rocblas_complex_numIdEiiPS3_EEvT1_T3_lS5_lPT2_S5_S5_.has_recursion, 0
	.set _ZN9rocsolver6v33100L23getf2_npvt_small_kernelILi12E19rocblas_complex_numIdEiiPS3_EEvT1_T3_lS5_lPT2_S5_S5_.has_indirect_call, 0
	.section	.AMDGPU.csdata,"",@progbits
; Kernel info:
; codeLenInByte = 12512
; TotalNumSgprs: 60
; NumVgprs: 128
; ScratchSize: 20
; MemoryBound: 0
; FloatMode: 240
; IeeeMode: 1
; LDSByteSize: 0 bytes/workgroup (compile time only)
; SGPRBlocks: 7
; VGPRBlocks: 31
; NumSGPRsForWavesPerEU: 60
; NumVGPRsForWavesPerEU: 128
; Occupancy: 2
; WaveLimiterHint : 0
; COMPUTE_PGM_RSRC2:SCRATCH_EN: 1
; COMPUTE_PGM_RSRC2:USER_SGPR: 6
; COMPUTE_PGM_RSRC2:TRAP_HANDLER: 0
; COMPUTE_PGM_RSRC2:TGID_X_EN: 1
; COMPUTE_PGM_RSRC2:TGID_Y_EN: 1
; COMPUTE_PGM_RSRC2:TGID_Z_EN: 0
; COMPUTE_PGM_RSRC2:TIDIG_COMP_CNT: 1
	.section	.text._ZN9rocsolver6v33100L18getf2_small_kernelILi13E19rocblas_complex_numIdEiiPS3_EEvT1_T3_lS5_lPS5_llPT2_S5_S5_S7_l,"axG",@progbits,_ZN9rocsolver6v33100L18getf2_small_kernelILi13E19rocblas_complex_numIdEiiPS3_EEvT1_T3_lS5_lPS5_llPT2_S5_S5_S7_l,comdat
	.globl	_ZN9rocsolver6v33100L18getf2_small_kernelILi13E19rocblas_complex_numIdEiiPS3_EEvT1_T3_lS5_lPS5_llPT2_S5_S5_S7_l ; -- Begin function _ZN9rocsolver6v33100L18getf2_small_kernelILi13E19rocblas_complex_numIdEiiPS3_EEvT1_T3_lS5_lPS5_llPT2_S5_S5_S7_l
	.p2align	8
	.type	_ZN9rocsolver6v33100L18getf2_small_kernelILi13E19rocblas_complex_numIdEiiPS3_EEvT1_T3_lS5_lPS5_llPT2_S5_S5_S7_l,@function
_ZN9rocsolver6v33100L18getf2_small_kernelILi13E19rocblas_complex_numIdEiiPS3_EEvT1_T3_lS5_lPS5_llPT2_S5_S5_S7_l: ; @_ZN9rocsolver6v33100L18getf2_small_kernelILi13E19rocblas_complex_numIdEiiPS3_EEvT1_T3_lS5_lPS5_llPT2_S5_S5_S7_l
; %bb.0:
	s_load_dword s0, s[4:5], 0x6c
	s_load_dwordx2 s[16:17], s[4:5], 0x48
	s_waitcnt lgkmcnt(0)
	s_lshr_b32 s0, s0, 16
	s_mul_i32 s7, s7, s0
	v_add_u32_e32 v58, s7, v1
	v_cmp_gt_i32_e32 vcc, s16, v58
	s_and_saveexec_b64 s[0:1], vcc
	s_cbranch_execz .LBB24_274
; %bb.1:
	s_load_dwordx4 s[0:3], s[4:5], 0x50
	v_mov_b32_e32 v60, 0
	v_ashrrev_i32_e32 v59, 31, v58
	v_mov_b32_e32 v61, 0
	s_waitcnt lgkmcnt(0)
	s_cmp_eq_u64 s[0:1], 0
	s_cselect_b64 s[18:19], -1, 0
	s_and_b64 vcc, exec, s[18:19]
	s_cbranch_vccnz .LBB24_3
; %bb.2:
	v_mul_lo_u32 v4, s3, v58
	v_mul_lo_u32 v5, s2, v59
	v_mad_u64_u32 v[2:3], s[2:3], s2, v58, 0
	v_add3_u32 v3, v3, v5, v4
	v_lshlrev_b64 v[2:3], 2, v[2:3]
	v_mov_b32_e32 v4, s1
	v_add_co_u32_e32 v60, vcc, s0, v2
	v_addc_co_u32_e32 v61, vcc, v4, v3, vcc
.LBB24_3:
	s_load_dwordx8 s[8:15], s[4:5], 0x20
	s_load_dwordx4 s[0:3], s[4:5], 0x8
	v_lshlrev_b32_e32 v64, 4, v0
	s_waitcnt lgkmcnt(0)
	v_mul_lo_u32 v4, s9, v58
	v_mul_lo_u32 v5, s8, v59
	v_mad_u64_u32 v[2:3], s[6:7], s8, v58, 0
	s_load_dword s6, s[4:5], 0x18
	s_load_dword s22, s[4:5], 0x0
	v_mov_b32_e32 v6, s1
	v_add3_u32 v3, v3, v5, v4
	v_lshlrev_b64 v[2:3], 4, v[2:3]
	s_waitcnt lgkmcnt(0)
	s_add_i32 s16, s6, s6
	v_add_co_u32_e32 v2, vcc, s0, v2
	v_addc_co_u32_e32 v3, vcc, v6, v3, vcc
	s_lshl_b64 s[0:1], s[2:3], 4
	v_mov_b32_e32 v4, s1
	v_add_co_u32_e32 v65, vcc, s0, v2
	v_add_u32_e32 v2, s16, v0
	v_addc_co_u32_e32 v66, vcc, v3, v4, vcc
	v_ashrrev_i32_e32 v3, 31, v2
	v_lshlrev_b64 v[3:4], 4, v[2:3]
	v_add_u32_e32 v5, s6, v2
	v_add_co_u32_e32 v3, vcc, v65, v3
	v_addc_co_u32_e32 v4, vcc, v66, v4, vcc
	v_ashrrev_i32_e32 v6, 31, v5
	v_lshlrev_b64 v[6:7], 4, v[5:6]
	v_add_co_u32_e32 v8, vcc, v65, v64
	v_add_u32_e32 v10, s6, v5
	v_addc_co_u32_e32 v9, vcc, 0, v66, vcc
	v_ashrrev_i32_e32 v11, 31, v10
	v_add_co_u32_e32 v6, vcc, v65, v6
	v_lshlrev_b64 v[11:12], 4, v[10:11]
	v_add_u32_e32 v13, s6, v10
	v_addc_co_u32_e32 v7, vcc, v66, v7, vcc
	v_ashrrev_i32_e32 v14, 31, v13
	v_add_co_u32_e32 v11, vcc, v65, v11
	v_lshlrev_b64 v[14:15], 4, v[13:14]
	;; [unrolled: 5-line block ×4, first 2 shown]
	v_addc_co_u32_e32 v18, vcc, v66, v18, vcc
	v_add_u32_e32 v19, s6, v19
	v_add_co_u32_e32 v50, vcc, v65, v20
	v_ashrrev_i32_e32 v20, 31, v19
	v_addc_co_u32_e32 v51, vcc, v66, v21, vcc
	v_lshlrev_b64 v[20:21], 4, v[19:20]
	v_add_u32_e32 v19, s6, v19
	v_add_co_u32_e32 v52, vcc, v65, v20
	v_ashrrev_i32_e32 v20, 31, v19
	v_addc_co_u32_e32 v53, vcc, v66, v21, vcc
	v_lshlrev_b64 v[20:21], 4, v[19:20]
	;; [unrolled: 5-line block ×4, first 2 shown]
	v_add_u32_e32 v19, s6, v19
	v_add_co_u32_e32 v62, vcc, v65, v20
	v_ashrrev_i32_e32 v20, 31, v19
	v_lshlrev_b64 v[19:20], 4, v[19:20]
	v_addc_co_u32_e32 v63, vcc, v66, v21, vcc
	v_add_co_u32_e32 v67, vcc, v65, v19
	s_ashr_i32 s7, s6, 31
	v_addc_co_u32_e32 v68, vcc, v66, v20, vcc
	s_lshl_b64 s[2:3], s[6:7], 4
	v_mov_b32_e32 v2, s3
	v_add_co_u32_e32 v19, vcc, s2, v8
	v_addc_co_u32_e32 v20, vcc, v9, v2, vcc
	global_load_dwordx4 v[46:49], v[8:9], off
	global_load_dwordx4 v[42:45], v[19:20], off
	;; [unrolled: 1-line block ×7, first 2 shown]
                                        ; kill: killed $vgpr6 killed $vgpr7
                                        ; kill: killed $vgpr14 killed $vgpr15
                                        ; kill: killed $vgpr8 killed $vgpr9
                                        ; kill: killed $vgpr3 killed $vgpr4
                                        ; kill: killed $vgpr19 killed $vgpr20
                                        ; kill: killed $vgpr11 killed $vgpr12
                                        ; kill: killed $vgpr17 killed $vgpr18
	s_nop 0
	global_load_dwordx4 v[18:21], v[50:51], off
	global_load_dwordx4 v[14:17], v[52:53], off
	;; [unrolled: 1-line block ×3, first 2 shown]
                                        ; kill: killed $vgpr50 killed $vgpr51
                                        ; kill: killed $vgpr54 killed $vgpr55
                                        ; kill: killed $vgpr52 killed $vgpr53
	global_load_dwordx4 v[6:9], v[56:57], off
	global_load_dwordx4 v[2:5], v[62:63], off
                                        ; kill: killed $vgpr62 killed $vgpr63
                                        ; kill: killed $vgpr56 killed $vgpr57
	s_nop 0
	global_load_dwordx4 v[50:53], v[67:68], off
	s_max_i32 s0, s22, 13
	v_mul_lo_u32 v62, s0, v1
	s_load_dwordx2 s[4:5], s[4:5], 0x40
	s_cmp_lt_i32 s22, 2
	v_lshl_add_u32 v1, v62, 4, 0
	v_add_u32_e32 v54, v1, v64
	v_lshlrev_b32_e32 v68, 4, v62
	v_mov_b32_e32 v62, 0
	s_waitcnt vmcnt(12)
	ds_write2_b64 v54, v[46:47], v[48:49] offset1:1
	s_waitcnt vmcnt(0) lgkmcnt(0)
	s_barrier
	ds_read2_b64 v[54:57], v1 offset1:1
	s_cbranch_scc1 .LBB24_6
; %bb.4:
	v_add3_u32 v63, v68, 0, 16
	s_mov_b32 s7, 1
	v_mov_b32_e32 v62, 0
.LBB24_5:                               ; =>This Inner Loop Header: Depth=1
	s_waitcnt lgkmcnt(0)
	v_cmp_gt_f64_e32 vcc, 0, v[56:57]
	v_cmp_gt_f64_e64 s[0:1], 0, v[54:55]
	ds_read2_b64 v[69:72], v63 offset1:1
	v_xor_b32_e32 v64, 0x80000000, v55
	v_xor_b32_e32 v67, 0x80000000, v57
	v_mov_b32_e32 v73, v54
	v_mov_b32_e32 v75, v56
	s_waitcnt lgkmcnt(0)
	v_mov_b32_e32 v77, v71
	v_cndmask_b32_e32 v76, v57, v67, vcc
	v_cndmask_b32_e64 v74, v55, v64, s[0:1]
	v_cmp_gt_f64_e32 vcc, 0, v[71:72]
	v_cmp_gt_f64_e64 s[0:1], 0, v[69:70]
	v_xor_b32_e32 v64, 0x80000000, v70
	v_xor_b32_e32 v67, 0x80000000, v72
	v_add_f64 v[73:74], v[73:74], v[75:76]
	v_mov_b32_e32 v75, v69
	v_add_u32_e32 v63, 16, v63
	v_cndmask_b32_e32 v78, v72, v67, vcc
	v_cndmask_b32_e64 v76, v70, v64, s[0:1]
	v_add_f64 v[75:76], v[75:76], v[77:78]
	v_mov_b32_e32 v64, s7
	s_add_i32 s7, s7, 1
	s_cmp_eq_u32 s22, s7
	v_cmp_lt_f64_e32 vcc, v[73:74], v[75:76]
	v_cndmask_b32_e32 v55, v55, v70, vcc
	v_cndmask_b32_e32 v54, v54, v69, vcc
	;; [unrolled: 1-line block ×5, first 2 shown]
	s_cbranch_scc0 .LBB24_5
.LBB24_6:
	s_waitcnt lgkmcnt(0)
	v_cmp_neq_f64_e32 vcc, 0, v[54:55]
	v_cmp_neq_f64_e64 s[0:1], 0, v[56:57]
	v_mov_b32_e32 v67, 1
	v_mov_b32_e32 v69, 1
	s_or_b64 s[8:9], vcc, s[0:1]
	s_and_saveexec_b64 s[0:1], s[8:9]
	s_cbranch_execz .LBB24_12
; %bb.7:
	v_cmp_ngt_f64_e64 s[8:9], |v[54:55]|, |v[56:57]|
	s_and_saveexec_b64 s[20:21], s[8:9]
	s_xor_b64 s[8:9], exec, s[20:21]
	s_cbranch_execz .LBB24_9
; %bb.8:
	v_div_scale_f64 v[63:64], s[20:21], v[56:57], v[56:57], v[54:55]
	v_rcp_f64_e32 v[69:70], v[63:64]
	v_fma_f64 v[71:72], -v[63:64], v[69:70], 1.0
	v_fma_f64 v[69:70], v[69:70], v[71:72], v[69:70]
	v_div_scale_f64 v[71:72], vcc, v[54:55], v[56:57], v[54:55]
	v_fma_f64 v[73:74], -v[63:64], v[69:70], 1.0
	v_fma_f64 v[69:70], v[69:70], v[73:74], v[69:70]
	v_mul_f64 v[73:74], v[71:72], v[69:70]
	v_fma_f64 v[63:64], -v[63:64], v[73:74], v[71:72]
	v_div_fmas_f64 v[63:64], v[63:64], v[69:70], v[73:74]
	v_div_fixup_f64 v[63:64], v[63:64], v[56:57], v[54:55]
	v_fma_f64 v[54:55], v[54:55], v[63:64], v[56:57]
	v_div_scale_f64 v[56:57], s[20:21], v[54:55], v[54:55], 1.0
	v_div_scale_f64 v[73:74], vcc, 1.0, v[54:55], 1.0
	v_rcp_f64_e32 v[69:70], v[56:57]
	v_fma_f64 v[71:72], -v[56:57], v[69:70], 1.0
	v_fma_f64 v[69:70], v[69:70], v[71:72], v[69:70]
	v_fma_f64 v[71:72], -v[56:57], v[69:70], 1.0
	v_fma_f64 v[69:70], v[69:70], v[71:72], v[69:70]
	v_mul_f64 v[71:72], v[73:74], v[69:70]
	v_fma_f64 v[56:57], -v[56:57], v[71:72], v[73:74]
	v_div_fmas_f64 v[56:57], v[56:57], v[69:70], v[71:72]
	v_div_fixup_f64 v[56:57], v[56:57], v[54:55], 1.0
	v_mul_f64 v[54:55], v[63:64], v[56:57]
	v_xor_b32_e32 v57, 0x80000000, v57
.LBB24_9:
	s_andn2_saveexec_b64 s[8:9], s[8:9]
	s_cbranch_execz .LBB24_11
; %bb.10:
	v_div_scale_f64 v[63:64], s[20:21], v[54:55], v[54:55], v[56:57]
	v_rcp_f64_e32 v[69:70], v[63:64]
	v_fma_f64 v[71:72], -v[63:64], v[69:70], 1.0
	v_fma_f64 v[69:70], v[69:70], v[71:72], v[69:70]
	v_div_scale_f64 v[71:72], vcc, v[56:57], v[54:55], v[56:57]
	v_fma_f64 v[73:74], -v[63:64], v[69:70], 1.0
	v_fma_f64 v[69:70], v[69:70], v[73:74], v[69:70]
	v_mul_f64 v[73:74], v[71:72], v[69:70]
	v_fma_f64 v[63:64], -v[63:64], v[73:74], v[71:72]
	v_div_fmas_f64 v[63:64], v[63:64], v[69:70], v[73:74]
	v_div_fixup_f64 v[63:64], v[63:64], v[54:55], v[56:57]
	v_fma_f64 v[54:55], v[56:57], v[63:64], v[54:55]
	v_div_scale_f64 v[56:57], s[20:21], v[54:55], v[54:55], 1.0
	v_div_scale_f64 v[73:74], vcc, 1.0, v[54:55], 1.0
	v_rcp_f64_e32 v[69:70], v[56:57]
	v_fma_f64 v[71:72], -v[56:57], v[69:70], 1.0
	v_fma_f64 v[69:70], v[69:70], v[71:72], v[69:70]
	v_fma_f64 v[71:72], -v[56:57], v[69:70], 1.0
	v_fma_f64 v[69:70], v[69:70], v[71:72], v[69:70]
	v_mul_f64 v[71:72], v[73:74], v[69:70]
	v_fma_f64 v[56:57], -v[56:57], v[71:72], v[73:74]
	v_div_fmas_f64 v[56:57], v[56:57], v[69:70], v[71:72]
	v_div_fixup_f64 v[54:55], v[56:57], v[54:55], 1.0
	v_mul_f64 v[56:57], v[63:64], -v[54:55]
.LBB24_11:
	s_or_b64 exec, exec, s[8:9]
	v_mov_b32_e32 v69, 0
	v_mov_b32_e32 v67, 2
.LBB24_12:
	s_or_b64 exec, exec, s[0:1]
	v_cmp_ne_u32_e32 vcc, v0, v62
	s_and_saveexec_b64 s[0:1], vcc
	s_xor_b64 s[0:1], exec, s[0:1]
	s_cbranch_execz .LBB24_18
; %bb.13:
	v_cmp_eq_u32_e32 vcc, 0, v0
	s_and_saveexec_b64 s[8:9], vcc
	s_cbranch_execz .LBB24_17
; %bb.14:
	v_cmp_ne_u32_e32 vcc, 0, v62
	s_xor_b64 s[20:21], s[18:19], -1
	s_and_b64 s[24:25], s[20:21], vcc
	s_and_saveexec_b64 s[20:21], s[24:25]
	s_cbranch_execz .LBB24_16
; %bb.15:
	v_ashrrev_i32_e32 v63, 31, v62
	v_lshlrev_b64 v[63:64], 2, v[62:63]
	v_add_co_u32_e32 v63, vcc, v60, v63
	v_addc_co_u32_e32 v64, vcc, v61, v64, vcc
	global_load_dword v0, v[63:64], off
	global_load_dword v70, v[60:61], off
	s_waitcnt vmcnt(1)
	global_store_dword v[60:61], v0, off
	s_waitcnt vmcnt(1)
	global_store_dword v[63:64], v70, off
.LBB24_16:
	s_or_b64 exec, exec, s[20:21]
	v_mov_b32_e32 v0, v62
.LBB24_17:
	s_or_b64 exec, exec, s[8:9]
.LBB24_18:
	s_or_saveexec_b64 s[0:1], s[0:1]
	v_mov_b32_e32 v64, v0
	s_xor_b64 exec, exec, s[0:1]
	s_cbranch_execz .LBB24_20
; %bb.19:
	v_mov_b32_e32 v64, 0
	ds_write2_b64 v1, v[42:43], v[44:45] offset0:2 offset1:3
	ds_write2_b64 v1, v[38:39], v[40:41] offset0:4 offset1:5
	;; [unrolled: 1-line block ×12, first 2 shown]
.LBB24_20:
	s_or_b64 exec, exec, s[0:1]
	v_cmp_lt_i32_e32 vcc, 0, v64
	s_waitcnt vmcnt(0) lgkmcnt(0)
	s_barrier
	s_and_saveexec_b64 s[0:1], vcc
	s_cbranch_execz .LBB24_22
; %bb.21:
	v_mul_f64 v[62:63], v[54:55], v[48:49]
	v_mul_f64 v[48:49], v[56:57], v[48:49]
	v_fma_f64 v[62:63], v[56:57], v[46:47], v[62:63]
	v_fma_f64 v[46:47], v[54:55], v[46:47], -v[48:49]
	ds_read2_b64 v[54:57], v1 offset0:2 offset1:3
	s_waitcnt lgkmcnt(0)
	v_mul_f64 v[48:49], v[56:57], v[62:63]
	v_fma_f64 v[48:49], v[54:55], v[46:47], -v[48:49]
	v_mul_f64 v[54:55], v[54:55], v[62:63]
	v_add_f64 v[42:43], v[42:43], -v[48:49]
	v_fma_f64 v[54:55], v[56:57], v[46:47], v[54:55]
	v_add_f64 v[44:45], v[44:45], -v[54:55]
	ds_read2_b64 v[54:57], v1 offset0:4 offset1:5
	s_waitcnt lgkmcnt(0)
	v_mul_f64 v[48:49], v[56:57], v[62:63]
	v_fma_f64 v[48:49], v[54:55], v[46:47], -v[48:49]
	v_mul_f64 v[54:55], v[54:55], v[62:63]
	v_add_f64 v[38:39], v[38:39], -v[48:49]
	v_fma_f64 v[54:55], v[56:57], v[46:47], v[54:55]
	v_add_f64 v[40:41], v[40:41], -v[54:55]
	;; [unrolled: 8-line block ×11, first 2 shown]
	ds_read2_b64 v[54:57], v1 offset0:24 offset1:25
	s_waitcnt lgkmcnt(0)
	v_mul_f64 v[48:49], v[56:57], v[62:63]
	v_fma_f64 v[48:49], v[54:55], v[46:47], -v[48:49]
	v_mul_f64 v[54:55], v[54:55], v[62:63]
	v_add_f64 v[50:51], v[50:51], -v[48:49]
	v_fma_f64 v[54:55], v[56:57], v[46:47], v[54:55]
	v_mov_b32_e32 v48, v62
	v_mov_b32_e32 v49, v63
	v_add_f64 v[52:53], v[52:53], -v[54:55]
.LBB24_22:
	s_or_b64 exec, exec, s[0:1]
	v_lshl_add_u32 v54, v64, 4, v1
	s_barrier
	ds_write2_b64 v54, v[42:43], v[44:45] offset1:1
	s_waitcnt lgkmcnt(0)
	s_barrier
	ds_read2_b64 v[54:57], v1 offset0:2 offset1:3
	s_cmp_lt_i32 s22, 3
	v_mov_b32_e32 v62, 1
	s_cbranch_scc1 .LBB24_25
; %bb.23:
	v_add3_u32 v63, v68, 0, 32
	s_mov_b32 s7, 2
	v_mov_b32_e32 v62, 1
.LBB24_24:                              ; =>This Inner Loop Header: Depth=1
	s_waitcnt lgkmcnt(0)
	v_cmp_gt_f64_e32 vcc, 0, v[56:57]
	v_cmp_gt_f64_e64 s[0:1], 0, v[54:55]
	ds_read2_b64 v[70:73], v63 offset1:1
	v_xor_b32_e32 v75, 0x80000000, v55
	v_xor_b32_e32 v77, 0x80000000, v57
	v_mov_b32_e32 v74, v54
	v_mov_b32_e32 v76, v56
	s_waitcnt lgkmcnt(0)
	v_xor_b32_e32 v79, 0x80000000, v73
	v_cndmask_b32_e32 v77, v57, v77, vcc
	v_cndmask_b32_e64 v75, v55, v75, s[0:1]
	v_cmp_gt_f64_e32 vcc, 0, v[72:73]
	v_cmp_gt_f64_e64 s[0:1], 0, v[70:71]
	v_add_f64 v[74:75], v[74:75], v[76:77]
	v_xor_b32_e32 v77, 0x80000000, v71
	v_mov_b32_e32 v76, v70
	v_mov_b32_e32 v78, v72
	v_add_u32_e32 v63, 16, v63
	v_cndmask_b32_e32 v79, v73, v79, vcc
	v_cndmask_b32_e64 v77, v71, v77, s[0:1]
	v_add_f64 v[76:77], v[76:77], v[78:79]
	v_mov_b32_e32 v78, s7
	s_add_i32 s7, s7, 1
	s_cmp_lg_u32 s22, s7
	v_cmp_lt_f64_e32 vcc, v[74:75], v[76:77]
	v_cndmask_b32_e32 v55, v55, v71, vcc
	v_cndmask_b32_e32 v54, v54, v70, vcc
	;; [unrolled: 1-line block ×5, first 2 shown]
	s_cbranch_scc1 .LBB24_24
.LBB24_25:
	s_waitcnt lgkmcnt(0)
	v_cmp_neq_f64_e32 vcc, 0, v[54:55]
	v_cmp_neq_f64_e64 s[0:1], 0, v[56:57]
	s_or_b64 s[8:9], vcc, s[0:1]
	s_and_saveexec_b64 s[0:1], s[8:9]
	s_cbranch_execz .LBB24_31
; %bb.26:
	v_cmp_ngt_f64_e64 s[8:9], |v[54:55]|, |v[56:57]|
	s_and_saveexec_b64 s[20:21], s[8:9]
	s_xor_b64 s[8:9], exec, s[20:21]
	s_cbranch_execz .LBB24_28
; %bb.27:
	v_div_scale_f64 v[70:71], s[20:21], v[56:57], v[56:57], v[54:55]
	v_rcp_f64_e32 v[72:73], v[70:71]
	v_fma_f64 v[74:75], -v[70:71], v[72:73], 1.0
	v_fma_f64 v[72:73], v[72:73], v[74:75], v[72:73]
	v_div_scale_f64 v[74:75], vcc, v[54:55], v[56:57], v[54:55]
	v_fma_f64 v[76:77], -v[70:71], v[72:73], 1.0
	v_fma_f64 v[72:73], v[72:73], v[76:77], v[72:73]
	v_mul_f64 v[76:77], v[74:75], v[72:73]
	v_fma_f64 v[70:71], -v[70:71], v[76:77], v[74:75]
	v_div_fmas_f64 v[70:71], v[70:71], v[72:73], v[76:77]
	v_div_fixup_f64 v[70:71], v[70:71], v[56:57], v[54:55]
	v_fma_f64 v[54:55], v[54:55], v[70:71], v[56:57]
	v_div_scale_f64 v[56:57], s[20:21], v[54:55], v[54:55], 1.0
	v_div_scale_f64 v[76:77], vcc, 1.0, v[54:55], 1.0
	v_rcp_f64_e32 v[72:73], v[56:57]
	v_fma_f64 v[74:75], -v[56:57], v[72:73], 1.0
	v_fma_f64 v[72:73], v[72:73], v[74:75], v[72:73]
	v_fma_f64 v[74:75], -v[56:57], v[72:73], 1.0
	v_fma_f64 v[72:73], v[72:73], v[74:75], v[72:73]
	v_mul_f64 v[74:75], v[76:77], v[72:73]
	v_fma_f64 v[56:57], -v[56:57], v[74:75], v[76:77]
	v_div_fmas_f64 v[56:57], v[56:57], v[72:73], v[74:75]
	v_div_fixup_f64 v[56:57], v[56:57], v[54:55], 1.0
	v_mul_f64 v[54:55], v[70:71], v[56:57]
	v_xor_b32_e32 v57, 0x80000000, v57
.LBB24_28:
	s_andn2_saveexec_b64 s[8:9], s[8:9]
	s_cbranch_execz .LBB24_30
; %bb.29:
	v_div_scale_f64 v[70:71], s[20:21], v[54:55], v[54:55], v[56:57]
	v_rcp_f64_e32 v[72:73], v[70:71]
	v_fma_f64 v[74:75], -v[70:71], v[72:73], 1.0
	v_fma_f64 v[72:73], v[72:73], v[74:75], v[72:73]
	v_div_scale_f64 v[74:75], vcc, v[56:57], v[54:55], v[56:57]
	v_fma_f64 v[76:77], -v[70:71], v[72:73], 1.0
	v_fma_f64 v[72:73], v[72:73], v[76:77], v[72:73]
	v_mul_f64 v[76:77], v[74:75], v[72:73]
	v_fma_f64 v[70:71], -v[70:71], v[76:77], v[74:75]
	v_div_fmas_f64 v[70:71], v[70:71], v[72:73], v[76:77]
	v_div_fixup_f64 v[70:71], v[70:71], v[54:55], v[56:57]
	v_fma_f64 v[54:55], v[56:57], v[70:71], v[54:55]
	v_div_scale_f64 v[56:57], s[20:21], v[54:55], v[54:55], 1.0
	v_div_scale_f64 v[76:77], vcc, 1.0, v[54:55], 1.0
	v_rcp_f64_e32 v[72:73], v[56:57]
	v_fma_f64 v[74:75], -v[56:57], v[72:73], 1.0
	v_fma_f64 v[72:73], v[72:73], v[74:75], v[72:73]
	v_fma_f64 v[74:75], -v[56:57], v[72:73], 1.0
	v_fma_f64 v[72:73], v[72:73], v[74:75], v[72:73]
	v_mul_f64 v[74:75], v[76:77], v[72:73]
	v_fma_f64 v[56:57], -v[56:57], v[74:75], v[76:77]
	v_div_fmas_f64 v[56:57], v[56:57], v[72:73], v[74:75]
	v_div_fixup_f64 v[54:55], v[56:57], v[54:55], 1.0
	v_mul_f64 v[56:57], v[70:71], -v[54:55]
.LBB24_30:
	s_or_b64 exec, exec, s[8:9]
	v_mov_b32_e32 v67, v69
.LBB24_31:
	s_or_b64 exec, exec, s[0:1]
	v_cmp_ne_u32_e32 vcc, v64, v62
	s_and_saveexec_b64 s[0:1], vcc
	s_xor_b64 s[0:1], exec, s[0:1]
	s_cbranch_execz .LBB24_37
; %bb.32:
	v_cmp_eq_u32_e32 vcc, 1, v64
	s_and_saveexec_b64 s[8:9], vcc
	s_cbranch_execz .LBB24_36
; %bb.33:
	v_cmp_ne_u32_e32 vcc, 1, v62
	s_xor_b64 s[20:21], s[18:19], -1
	s_and_b64 s[24:25], s[20:21], vcc
	s_and_saveexec_b64 s[20:21], s[24:25]
	s_cbranch_execz .LBB24_35
; %bb.34:
	v_ashrrev_i32_e32 v63, 31, v62
	v_lshlrev_b64 v[63:64], 2, v[62:63]
	v_add_co_u32_e32 v63, vcc, v60, v63
	v_addc_co_u32_e32 v64, vcc, v61, v64, vcc
	global_load_dword v0, v[63:64], off
	global_load_dword v69, v[60:61], off offset:4
	s_waitcnt vmcnt(1)
	global_store_dword v[60:61], v0, off offset:4
	s_waitcnt vmcnt(1)
	global_store_dword v[63:64], v69, off
.LBB24_35:
	s_or_b64 exec, exec, s[20:21]
	v_mov_b32_e32 v64, v62
	v_mov_b32_e32 v0, v62
.LBB24_36:
	s_or_b64 exec, exec, s[8:9]
.LBB24_37:
	s_andn2_saveexec_b64 s[0:1], s[0:1]
	s_cbranch_execz .LBB24_39
; %bb.38:
	v_mov_b32_e32 v64, 1
	ds_write2_b64 v1, v[38:39], v[40:41] offset0:4 offset1:5
	ds_write2_b64 v1, v[34:35], v[36:37] offset0:6 offset1:7
	;; [unrolled: 1-line block ×11, first 2 shown]
.LBB24_39:
	s_or_b64 exec, exec, s[0:1]
	v_cmp_lt_i32_e32 vcc, 1, v64
	s_waitcnt vmcnt(0) lgkmcnt(0)
	s_barrier
	s_and_saveexec_b64 s[0:1], vcc
	s_cbranch_execz .LBB24_41
; %bb.40:
	v_mul_f64 v[62:63], v[54:55], v[44:45]
	v_mul_f64 v[44:45], v[56:57], v[44:45]
	v_fma_f64 v[62:63], v[56:57], v[42:43], v[62:63]
	v_fma_f64 v[42:43], v[54:55], v[42:43], -v[44:45]
	ds_read2_b64 v[54:57], v1 offset0:4 offset1:5
	s_waitcnt lgkmcnt(0)
	v_mul_f64 v[44:45], v[56:57], v[62:63]
	v_fma_f64 v[44:45], v[54:55], v[42:43], -v[44:45]
	v_mul_f64 v[54:55], v[54:55], v[62:63]
	v_add_f64 v[38:39], v[38:39], -v[44:45]
	v_fma_f64 v[54:55], v[56:57], v[42:43], v[54:55]
	v_add_f64 v[40:41], v[40:41], -v[54:55]
	ds_read2_b64 v[54:57], v1 offset0:6 offset1:7
	s_waitcnt lgkmcnt(0)
	v_mul_f64 v[44:45], v[56:57], v[62:63]
	v_fma_f64 v[44:45], v[54:55], v[42:43], -v[44:45]
	v_mul_f64 v[54:55], v[54:55], v[62:63]
	v_add_f64 v[34:35], v[34:35], -v[44:45]
	v_fma_f64 v[54:55], v[56:57], v[42:43], v[54:55]
	v_add_f64 v[36:37], v[36:37], -v[54:55]
	;; [unrolled: 8-line block ×10, first 2 shown]
	ds_read2_b64 v[54:57], v1 offset0:24 offset1:25
	s_waitcnt lgkmcnt(0)
	v_mul_f64 v[44:45], v[56:57], v[62:63]
	v_fma_f64 v[44:45], v[54:55], v[42:43], -v[44:45]
	v_mul_f64 v[54:55], v[54:55], v[62:63]
	v_add_f64 v[50:51], v[50:51], -v[44:45]
	v_fma_f64 v[54:55], v[56:57], v[42:43], v[54:55]
	v_mov_b32_e32 v44, v62
	v_mov_b32_e32 v45, v63
	v_add_f64 v[52:53], v[52:53], -v[54:55]
.LBB24_41:
	s_or_b64 exec, exec, s[0:1]
	v_lshl_add_u32 v54, v64, 4, v1
	s_barrier
	ds_write2_b64 v54, v[38:39], v[40:41] offset1:1
	s_waitcnt lgkmcnt(0)
	s_barrier
	ds_read2_b64 v[54:57], v1 offset0:4 offset1:5
	s_cmp_lt_i32 s22, 4
	v_mov_b32_e32 v62, 2
	s_cbranch_scc1 .LBB24_44
; %bb.42:
	v_add3_u32 v63, v68, 0, 48
	s_mov_b32 s7, 3
	v_mov_b32_e32 v62, 2
.LBB24_43:                              ; =>This Inner Loop Header: Depth=1
	s_waitcnt lgkmcnt(0)
	v_cmp_gt_f64_e32 vcc, 0, v[56:57]
	v_cmp_gt_f64_e64 s[0:1], 0, v[54:55]
	ds_read2_b64 v[69:72], v63 offset1:1
	v_xor_b32_e32 v74, 0x80000000, v55
	v_xor_b32_e32 v76, 0x80000000, v57
	v_mov_b32_e32 v73, v54
	v_mov_b32_e32 v75, v56
	s_waitcnt lgkmcnt(0)
	v_xor_b32_e32 v78, 0x80000000, v72
	v_cndmask_b32_e32 v76, v57, v76, vcc
	v_cndmask_b32_e64 v74, v55, v74, s[0:1]
	v_cmp_gt_f64_e32 vcc, 0, v[71:72]
	v_cmp_gt_f64_e64 s[0:1], 0, v[69:70]
	v_add_f64 v[73:74], v[73:74], v[75:76]
	v_xor_b32_e32 v76, 0x80000000, v70
	v_mov_b32_e32 v75, v69
	v_mov_b32_e32 v77, v71
	v_add_u32_e32 v63, 16, v63
	v_cndmask_b32_e32 v78, v72, v78, vcc
	v_cndmask_b32_e64 v76, v70, v76, s[0:1]
	v_add_f64 v[75:76], v[75:76], v[77:78]
	v_mov_b32_e32 v77, s7
	s_add_i32 s7, s7, 1
	s_cmp_lg_u32 s22, s7
	v_cmp_lt_f64_e32 vcc, v[73:74], v[75:76]
	v_cndmask_b32_e32 v55, v55, v70, vcc
	v_cndmask_b32_e32 v54, v54, v69, vcc
	;; [unrolled: 1-line block ×5, first 2 shown]
	s_cbranch_scc1 .LBB24_43
.LBB24_44:
	s_waitcnt lgkmcnt(0)
	v_cmp_eq_f64_e32 vcc, 0, v[54:55]
	v_cmp_eq_f64_e64 s[0:1], 0, v[56:57]
	s_and_b64 s[0:1], vcc, s[0:1]
	s_and_saveexec_b64 s[8:9], s[0:1]
	s_xor_b64 s[0:1], exec, s[8:9]
; %bb.45:
	v_cmp_ne_u32_e32 vcc, 0, v67
	v_cndmask_b32_e32 v67, 3, v67, vcc
; %bb.46:
	s_andn2_saveexec_b64 s[0:1], s[0:1]
	s_cbranch_execz .LBB24_52
; %bb.47:
	v_cmp_ngt_f64_e64 s[8:9], |v[54:55]|, |v[56:57]|
	s_and_saveexec_b64 s[20:21], s[8:9]
	s_xor_b64 s[8:9], exec, s[20:21]
	s_cbranch_execz .LBB24_49
; %bb.48:
	v_div_scale_f64 v[69:70], s[20:21], v[56:57], v[56:57], v[54:55]
	v_rcp_f64_e32 v[71:72], v[69:70]
	v_fma_f64 v[73:74], -v[69:70], v[71:72], 1.0
	v_fma_f64 v[71:72], v[71:72], v[73:74], v[71:72]
	v_div_scale_f64 v[73:74], vcc, v[54:55], v[56:57], v[54:55]
	v_fma_f64 v[75:76], -v[69:70], v[71:72], 1.0
	v_fma_f64 v[71:72], v[71:72], v[75:76], v[71:72]
	v_mul_f64 v[75:76], v[73:74], v[71:72]
	v_fma_f64 v[69:70], -v[69:70], v[75:76], v[73:74]
	v_div_fmas_f64 v[69:70], v[69:70], v[71:72], v[75:76]
	v_div_fixup_f64 v[69:70], v[69:70], v[56:57], v[54:55]
	v_fma_f64 v[54:55], v[54:55], v[69:70], v[56:57]
	v_div_scale_f64 v[56:57], s[20:21], v[54:55], v[54:55], 1.0
	v_div_scale_f64 v[75:76], vcc, 1.0, v[54:55], 1.0
	v_rcp_f64_e32 v[71:72], v[56:57]
	v_fma_f64 v[73:74], -v[56:57], v[71:72], 1.0
	v_fma_f64 v[71:72], v[71:72], v[73:74], v[71:72]
	v_fma_f64 v[73:74], -v[56:57], v[71:72], 1.0
	v_fma_f64 v[71:72], v[71:72], v[73:74], v[71:72]
	v_mul_f64 v[73:74], v[75:76], v[71:72]
	v_fma_f64 v[56:57], -v[56:57], v[73:74], v[75:76]
	v_div_fmas_f64 v[56:57], v[56:57], v[71:72], v[73:74]
	v_div_fixup_f64 v[56:57], v[56:57], v[54:55], 1.0
	v_mul_f64 v[54:55], v[69:70], v[56:57]
	v_xor_b32_e32 v57, 0x80000000, v57
.LBB24_49:
	s_andn2_saveexec_b64 s[8:9], s[8:9]
	s_cbranch_execz .LBB24_51
; %bb.50:
	v_div_scale_f64 v[69:70], s[20:21], v[54:55], v[54:55], v[56:57]
	v_rcp_f64_e32 v[71:72], v[69:70]
	v_fma_f64 v[73:74], -v[69:70], v[71:72], 1.0
	v_fma_f64 v[71:72], v[71:72], v[73:74], v[71:72]
	v_div_scale_f64 v[73:74], vcc, v[56:57], v[54:55], v[56:57]
	v_fma_f64 v[75:76], -v[69:70], v[71:72], 1.0
	v_fma_f64 v[71:72], v[71:72], v[75:76], v[71:72]
	v_mul_f64 v[75:76], v[73:74], v[71:72]
	v_fma_f64 v[69:70], -v[69:70], v[75:76], v[73:74]
	v_div_fmas_f64 v[69:70], v[69:70], v[71:72], v[75:76]
	v_div_fixup_f64 v[69:70], v[69:70], v[54:55], v[56:57]
	v_fma_f64 v[54:55], v[56:57], v[69:70], v[54:55]
	v_div_scale_f64 v[56:57], s[20:21], v[54:55], v[54:55], 1.0
	v_div_scale_f64 v[75:76], vcc, 1.0, v[54:55], 1.0
	v_rcp_f64_e32 v[71:72], v[56:57]
	v_fma_f64 v[73:74], -v[56:57], v[71:72], 1.0
	v_fma_f64 v[71:72], v[71:72], v[73:74], v[71:72]
	v_fma_f64 v[73:74], -v[56:57], v[71:72], 1.0
	v_fma_f64 v[71:72], v[71:72], v[73:74], v[71:72]
	v_mul_f64 v[73:74], v[75:76], v[71:72]
	v_fma_f64 v[56:57], -v[56:57], v[73:74], v[75:76]
	v_div_fmas_f64 v[56:57], v[56:57], v[71:72], v[73:74]
	v_div_fixup_f64 v[54:55], v[56:57], v[54:55], 1.0
	v_mul_f64 v[56:57], v[69:70], -v[54:55]
.LBB24_51:
	s_or_b64 exec, exec, s[8:9]
.LBB24_52:
	s_or_b64 exec, exec, s[0:1]
	v_cmp_ne_u32_e32 vcc, v64, v62
	s_and_saveexec_b64 s[0:1], vcc
	s_xor_b64 s[0:1], exec, s[0:1]
	s_cbranch_execz .LBB24_58
; %bb.53:
	v_cmp_eq_u32_e32 vcc, 2, v64
	s_and_saveexec_b64 s[8:9], vcc
	s_cbranch_execz .LBB24_57
; %bb.54:
	v_cmp_ne_u32_e32 vcc, 2, v62
	s_xor_b64 s[20:21], s[18:19], -1
	s_and_b64 s[24:25], s[20:21], vcc
	s_and_saveexec_b64 s[20:21], s[24:25]
	s_cbranch_execz .LBB24_56
; %bb.55:
	v_ashrrev_i32_e32 v63, 31, v62
	v_lshlrev_b64 v[63:64], 2, v[62:63]
	v_add_co_u32_e32 v63, vcc, v60, v63
	v_addc_co_u32_e32 v64, vcc, v61, v64, vcc
	global_load_dword v0, v[63:64], off
	global_load_dword v69, v[60:61], off offset:8
	s_waitcnt vmcnt(1)
	global_store_dword v[60:61], v0, off offset:8
	s_waitcnt vmcnt(1)
	global_store_dword v[63:64], v69, off
.LBB24_56:
	s_or_b64 exec, exec, s[20:21]
	v_mov_b32_e32 v64, v62
	v_mov_b32_e32 v0, v62
.LBB24_57:
	s_or_b64 exec, exec, s[8:9]
.LBB24_58:
	s_andn2_saveexec_b64 s[0:1], s[0:1]
	s_cbranch_execz .LBB24_60
; %bb.59:
	v_mov_b32_e32 v64, 2
	ds_write2_b64 v1, v[34:35], v[36:37] offset0:6 offset1:7
	ds_write2_b64 v1, v[30:31], v[32:33] offset0:8 offset1:9
	;; [unrolled: 1-line block ×10, first 2 shown]
.LBB24_60:
	s_or_b64 exec, exec, s[0:1]
	v_cmp_lt_i32_e32 vcc, 2, v64
	s_waitcnt vmcnt(0) lgkmcnt(0)
	s_barrier
	s_and_saveexec_b64 s[0:1], vcc
	s_cbranch_execz .LBB24_62
; %bb.61:
	v_mul_f64 v[62:63], v[54:55], v[40:41]
	v_mul_f64 v[40:41], v[56:57], v[40:41]
	v_fma_f64 v[62:63], v[56:57], v[38:39], v[62:63]
	v_fma_f64 v[38:39], v[54:55], v[38:39], -v[40:41]
	ds_read2_b64 v[54:57], v1 offset0:6 offset1:7
	s_waitcnt lgkmcnt(0)
	v_mul_f64 v[40:41], v[56:57], v[62:63]
	v_fma_f64 v[40:41], v[54:55], v[38:39], -v[40:41]
	v_mul_f64 v[54:55], v[54:55], v[62:63]
	v_add_f64 v[34:35], v[34:35], -v[40:41]
	v_fma_f64 v[54:55], v[56:57], v[38:39], v[54:55]
	v_add_f64 v[36:37], v[36:37], -v[54:55]
	ds_read2_b64 v[54:57], v1 offset0:8 offset1:9
	s_waitcnt lgkmcnt(0)
	v_mul_f64 v[40:41], v[56:57], v[62:63]
	v_fma_f64 v[40:41], v[54:55], v[38:39], -v[40:41]
	v_mul_f64 v[54:55], v[54:55], v[62:63]
	v_add_f64 v[30:31], v[30:31], -v[40:41]
	v_fma_f64 v[54:55], v[56:57], v[38:39], v[54:55]
	v_add_f64 v[32:33], v[32:33], -v[54:55]
	;; [unrolled: 8-line block ×9, first 2 shown]
	ds_read2_b64 v[54:57], v1 offset0:24 offset1:25
	s_waitcnt lgkmcnt(0)
	v_mul_f64 v[40:41], v[56:57], v[62:63]
	v_fma_f64 v[40:41], v[54:55], v[38:39], -v[40:41]
	v_mul_f64 v[54:55], v[54:55], v[62:63]
	v_add_f64 v[50:51], v[50:51], -v[40:41]
	v_fma_f64 v[54:55], v[56:57], v[38:39], v[54:55]
	v_mov_b32_e32 v40, v62
	v_mov_b32_e32 v41, v63
	v_add_f64 v[52:53], v[52:53], -v[54:55]
.LBB24_62:
	s_or_b64 exec, exec, s[0:1]
	v_lshl_add_u32 v54, v64, 4, v1
	s_barrier
	ds_write2_b64 v54, v[34:35], v[36:37] offset1:1
	s_waitcnt lgkmcnt(0)
	s_barrier
	ds_read2_b64 v[54:57], v1 offset0:6 offset1:7
	s_mov_b32 s7, 4
	s_cmp_lt_i32 s22, 5
	v_mov_b32_e32 v62, 3
	s_cbranch_scc1 .LBB24_65
; %bb.63:
	v_add3_u32 v63, v68, 0, 64
	v_mov_b32_e32 v62, 3
.LBB24_64:                              ; =>This Inner Loop Header: Depth=1
	s_waitcnt lgkmcnt(0)
	v_cmp_gt_f64_e32 vcc, 0, v[56:57]
	v_cmp_gt_f64_e64 s[0:1], 0, v[54:55]
	ds_read2_b64 v[68:71], v63 offset1:1
	v_xor_b32_e32 v73, 0x80000000, v55
	v_xor_b32_e32 v75, 0x80000000, v57
	v_mov_b32_e32 v72, v54
	v_mov_b32_e32 v74, v56
	s_waitcnt lgkmcnt(0)
	v_xor_b32_e32 v77, 0x80000000, v71
	v_cndmask_b32_e32 v75, v57, v75, vcc
	v_cndmask_b32_e64 v73, v55, v73, s[0:1]
	v_cmp_gt_f64_e32 vcc, 0, v[70:71]
	v_cmp_gt_f64_e64 s[0:1], 0, v[68:69]
	v_add_f64 v[72:73], v[72:73], v[74:75]
	v_xor_b32_e32 v75, 0x80000000, v69
	v_mov_b32_e32 v74, v68
	v_mov_b32_e32 v76, v70
	v_add_u32_e32 v63, 16, v63
	v_cndmask_b32_e32 v77, v71, v77, vcc
	v_cndmask_b32_e64 v75, v69, v75, s[0:1]
	v_add_f64 v[74:75], v[74:75], v[76:77]
	v_mov_b32_e32 v76, s7
	s_add_i32 s7, s7, 1
	s_cmp_lg_u32 s22, s7
	v_cmp_lt_f64_e32 vcc, v[72:73], v[74:75]
	v_cndmask_b32_e32 v55, v55, v69, vcc
	v_cndmask_b32_e32 v54, v54, v68, vcc
	;; [unrolled: 1-line block ×5, first 2 shown]
	s_cbranch_scc1 .LBB24_64
.LBB24_65:
	s_waitcnt lgkmcnt(0)
	v_cmp_eq_f64_e32 vcc, 0, v[54:55]
	v_cmp_eq_f64_e64 s[0:1], 0, v[56:57]
	s_and_b64 s[0:1], vcc, s[0:1]
	s_and_saveexec_b64 s[8:9], s[0:1]
	s_xor_b64 s[0:1], exec, s[8:9]
; %bb.66:
	v_cmp_ne_u32_e32 vcc, 0, v67
	v_cndmask_b32_e32 v67, 4, v67, vcc
; %bb.67:
	s_andn2_saveexec_b64 s[0:1], s[0:1]
	s_cbranch_execz .LBB24_73
; %bb.68:
	v_cmp_ngt_f64_e64 s[8:9], |v[54:55]|, |v[56:57]|
	s_and_saveexec_b64 s[20:21], s[8:9]
	s_xor_b64 s[8:9], exec, s[20:21]
	s_cbranch_execz .LBB24_70
; %bb.69:
	v_div_scale_f64 v[68:69], s[20:21], v[56:57], v[56:57], v[54:55]
	v_rcp_f64_e32 v[70:71], v[68:69]
	v_fma_f64 v[72:73], -v[68:69], v[70:71], 1.0
	v_fma_f64 v[70:71], v[70:71], v[72:73], v[70:71]
	v_div_scale_f64 v[72:73], vcc, v[54:55], v[56:57], v[54:55]
	v_fma_f64 v[74:75], -v[68:69], v[70:71], 1.0
	v_fma_f64 v[70:71], v[70:71], v[74:75], v[70:71]
	v_mul_f64 v[74:75], v[72:73], v[70:71]
	v_fma_f64 v[68:69], -v[68:69], v[74:75], v[72:73]
	v_div_fmas_f64 v[68:69], v[68:69], v[70:71], v[74:75]
	v_div_fixup_f64 v[68:69], v[68:69], v[56:57], v[54:55]
	v_fma_f64 v[54:55], v[54:55], v[68:69], v[56:57]
	v_div_scale_f64 v[56:57], s[20:21], v[54:55], v[54:55], 1.0
	v_div_scale_f64 v[74:75], vcc, 1.0, v[54:55], 1.0
	v_rcp_f64_e32 v[70:71], v[56:57]
	v_fma_f64 v[72:73], -v[56:57], v[70:71], 1.0
	v_fma_f64 v[70:71], v[70:71], v[72:73], v[70:71]
	v_fma_f64 v[72:73], -v[56:57], v[70:71], 1.0
	v_fma_f64 v[70:71], v[70:71], v[72:73], v[70:71]
	v_mul_f64 v[72:73], v[74:75], v[70:71]
	v_fma_f64 v[56:57], -v[56:57], v[72:73], v[74:75]
	v_div_fmas_f64 v[56:57], v[56:57], v[70:71], v[72:73]
	v_div_fixup_f64 v[56:57], v[56:57], v[54:55], 1.0
	v_mul_f64 v[54:55], v[68:69], v[56:57]
	v_xor_b32_e32 v57, 0x80000000, v57
.LBB24_70:
	s_andn2_saveexec_b64 s[8:9], s[8:9]
	s_cbranch_execz .LBB24_72
; %bb.71:
	v_div_scale_f64 v[68:69], s[20:21], v[54:55], v[54:55], v[56:57]
	v_rcp_f64_e32 v[70:71], v[68:69]
	v_fma_f64 v[72:73], -v[68:69], v[70:71], 1.0
	v_fma_f64 v[70:71], v[70:71], v[72:73], v[70:71]
	v_div_scale_f64 v[72:73], vcc, v[56:57], v[54:55], v[56:57]
	v_fma_f64 v[74:75], -v[68:69], v[70:71], 1.0
	v_fma_f64 v[70:71], v[70:71], v[74:75], v[70:71]
	v_mul_f64 v[74:75], v[72:73], v[70:71]
	v_fma_f64 v[68:69], -v[68:69], v[74:75], v[72:73]
	v_div_fmas_f64 v[68:69], v[68:69], v[70:71], v[74:75]
	v_div_fixup_f64 v[68:69], v[68:69], v[54:55], v[56:57]
	v_fma_f64 v[54:55], v[56:57], v[68:69], v[54:55]
	v_div_scale_f64 v[56:57], s[20:21], v[54:55], v[54:55], 1.0
	v_div_scale_f64 v[74:75], vcc, 1.0, v[54:55], 1.0
	v_rcp_f64_e32 v[70:71], v[56:57]
	v_fma_f64 v[72:73], -v[56:57], v[70:71], 1.0
	v_fma_f64 v[70:71], v[70:71], v[72:73], v[70:71]
	v_fma_f64 v[72:73], -v[56:57], v[70:71], 1.0
	v_fma_f64 v[70:71], v[70:71], v[72:73], v[70:71]
	v_mul_f64 v[72:73], v[74:75], v[70:71]
	v_fma_f64 v[56:57], -v[56:57], v[72:73], v[74:75]
	v_div_fmas_f64 v[56:57], v[56:57], v[70:71], v[72:73]
	v_div_fixup_f64 v[54:55], v[56:57], v[54:55], 1.0
	v_mul_f64 v[56:57], v[68:69], -v[54:55]
.LBB24_72:
	s_or_b64 exec, exec, s[8:9]
.LBB24_73:
	s_or_b64 exec, exec, s[0:1]
	v_cmp_ne_u32_e32 vcc, v64, v62
	s_and_saveexec_b64 s[0:1], vcc
	s_xor_b64 s[0:1], exec, s[0:1]
	s_cbranch_execz .LBB24_79
; %bb.74:
	v_cmp_eq_u32_e32 vcc, 3, v64
	s_and_saveexec_b64 s[8:9], vcc
	s_cbranch_execz .LBB24_78
; %bb.75:
	v_cmp_ne_u32_e32 vcc, 3, v62
	s_xor_b64 s[20:21], s[18:19], -1
	s_and_b64 s[24:25], s[20:21], vcc
	s_and_saveexec_b64 s[20:21], s[24:25]
	s_cbranch_execz .LBB24_77
; %bb.76:
	v_ashrrev_i32_e32 v63, 31, v62
	v_lshlrev_b64 v[63:64], 2, v[62:63]
	v_add_co_u32_e32 v63, vcc, v60, v63
	v_addc_co_u32_e32 v64, vcc, v61, v64, vcc
	global_load_dword v0, v[63:64], off
	global_load_dword v68, v[60:61], off offset:12
	s_waitcnt vmcnt(1)
	global_store_dword v[60:61], v0, off offset:12
	s_waitcnt vmcnt(1)
	global_store_dword v[63:64], v68, off
.LBB24_77:
	s_or_b64 exec, exec, s[20:21]
	v_mov_b32_e32 v64, v62
	v_mov_b32_e32 v0, v62
.LBB24_78:
	s_or_b64 exec, exec, s[8:9]
.LBB24_79:
	s_andn2_saveexec_b64 s[0:1], s[0:1]
	s_cbranch_execz .LBB24_81
; %bb.80:
	v_mov_b32_e32 v64, 3
	ds_write2_b64 v1, v[30:31], v[32:33] offset0:8 offset1:9
	ds_write2_b64 v1, v[26:27], v[28:29] offset0:10 offset1:11
	;; [unrolled: 1-line block ×9, first 2 shown]
.LBB24_81:
	s_or_b64 exec, exec, s[0:1]
	v_cmp_lt_i32_e32 vcc, 3, v64
	s_waitcnt vmcnt(0) lgkmcnt(0)
	s_barrier
	s_and_saveexec_b64 s[0:1], vcc
	s_cbranch_execz .LBB24_83
; %bb.82:
	v_mul_f64 v[62:63], v[54:55], v[36:37]
	v_mul_f64 v[36:37], v[56:57], v[36:37]
	v_fma_f64 v[62:63], v[56:57], v[34:35], v[62:63]
	v_fma_f64 v[34:35], v[54:55], v[34:35], -v[36:37]
	ds_read2_b64 v[54:57], v1 offset0:8 offset1:9
	s_waitcnt lgkmcnt(0)
	v_mul_f64 v[36:37], v[56:57], v[62:63]
	v_fma_f64 v[36:37], v[54:55], v[34:35], -v[36:37]
	v_mul_f64 v[54:55], v[54:55], v[62:63]
	v_add_f64 v[30:31], v[30:31], -v[36:37]
	v_fma_f64 v[54:55], v[56:57], v[34:35], v[54:55]
	v_add_f64 v[32:33], v[32:33], -v[54:55]
	ds_read2_b64 v[54:57], v1 offset0:10 offset1:11
	s_waitcnt lgkmcnt(0)
	v_mul_f64 v[36:37], v[56:57], v[62:63]
	v_fma_f64 v[36:37], v[54:55], v[34:35], -v[36:37]
	v_mul_f64 v[54:55], v[54:55], v[62:63]
	v_add_f64 v[26:27], v[26:27], -v[36:37]
	v_fma_f64 v[54:55], v[56:57], v[34:35], v[54:55]
	v_add_f64 v[28:29], v[28:29], -v[54:55]
	;; [unrolled: 8-line block ×8, first 2 shown]
	ds_read2_b64 v[54:57], v1 offset0:24 offset1:25
	s_waitcnt lgkmcnt(0)
	v_mul_f64 v[36:37], v[56:57], v[62:63]
	v_fma_f64 v[36:37], v[54:55], v[34:35], -v[36:37]
	v_mul_f64 v[54:55], v[54:55], v[62:63]
	v_add_f64 v[50:51], v[50:51], -v[36:37]
	v_fma_f64 v[54:55], v[56:57], v[34:35], v[54:55]
	v_mov_b32_e32 v36, v62
	v_mov_b32_e32 v37, v63
	v_add_f64 v[52:53], v[52:53], -v[54:55]
.LBB24_83:
	s_or_b64 exec, exec, s[0:1]
	v_lshl_add_u32 v54, v64, 4, v1
	s_barrier
	ds_write2_b64 v54, v[30:31], v[32:33] offset1:1
	s_waitcnt lgkmcnt(0)
	s_barrier
	ds_read2_b64 v[54:57], v1 offset0:8 offset1:9
	s_cmp_lt_i32 s22, 6
	v_mov_b32_e32 v62, 4
	s_cbranch_scc1 .LBB24_86
; %bb.84:
	v_mov_b32_e32 v62, 4
	v_add_u32_e32 v63, 0x50, v1
	s_mov_b32 s7, 5
.LBB24_85:                              ; =>This Inner Loop Header: Depth=1
	s_waitcnt lgkmcnt(0)
	v_cmp_gt_f64_e32 vcc, 0, v[56:57]
	v_cmp_gt_f64_e64 s[0:1], 0, v[54:55]
	ds_read2_b64 v[68:71], v63 offset1:1
	v_xor_b32_e32 v73, 0x80000000, v55
	v_xor_b32_e32 v75, 0x80000000, v57
	v_mov_b32_e32 v72, v54
	v_mov_b32_e32 v74, v56
	s_waitcnt lgkmcnt(0)
	v_xor_b32_e32 v77, 0x80000000, v71
	v_cndmask_b32_e32 v75, v57, v75, vcc
	v_cndmask_b32_e64 v73, v55, v73, s[0:1]
	v_cmp_gt_f64_e32 vcc, 0, v[70:71]
	v_cmp_gt_f64_e64 s[0:1], 0, v[68:69]
	v_add_f64 v[72:73], v[72:73], v[74:75]
	v_xor_b32_e32 v75, 0x80000000, v69
	v_mov_b32_e32 v74, v68
	v_mov_b32_e32 v76, v70
	v_add_u32_e32 v63, 16, v63
	v_cndmask_b32_e32 v77, v71, v77, vcc
	v_cndmask_b32_e64 v75, v69, v75, s[0:1]
	v_add_f64 v[74:75], v[74:75], v[76:77]
	v_mov_b32_e32 v76, s7
	s_add_i32 s7, s7, 1
	s_cmp_lg_u32 s22, s7
	v_cmp_lt_f64_e32 vcc, v[72:73], v[74:75]
	v_cndmask_b32_e32 v55, v55, v69, vcc
	v_cndmask_b32_e32 v54, v54, v68, vcc
	v_cndmask_b32_e32 v57, v57, v71, vcc
	v_cndmask_b32_e32 v56, v56, v70, vcc
	v_cndmask_b32_e32 v62, v62, v76, vcc
	s_cbranch_scc1 .LBB24_85
.LBB24_86:
	s_waitcnt lgkmcnt(0)
	v_cmp_eq_f64_e32 vcc, 0, v[54:55]
	v_cmp_eq_f64_e64 s[0:1], 0, v[56:57]
	s_and_b64 s[0:1], vcc, s[0:1]
	s_and_saveexec_b64 s[8:9], s[0:1]
	s_xor_b64 s[0:1], exec, s[8:9]
; %bb.87:
	v_cmp_ne_u32_e32 vcc, 0, v67
	v_cndmask_b32_e32 v67, 5, v67, vcc
; %bb.88:
	s_andn2_saveexec_b64 s[0:1], s[0:1]
	s_cbranch_execz .LBB24_94
; %bb.89:
	v_cmp_ngt_f64_e64 s[8:9], |v[54:55]|, |v[56:57]|
	s_and_saveexec_b64 s[20:21], s[8:9]
	s_xor_b64 s[8:9], exec, s[20:21]
	s_cbranch_execz .LBB24_91
; %bb.90:
	v_div_scale_f64 v[68:69], s[20:21], v[56:57], v[56:57], v[54:55]
	v_rcp_f64_e32 v[70:71], v[68:69]
	v_fma_f64 v[72:73], -v[68:69], v[70:71], 1.0
	v_fma_f64 v[70:71], v[70:71], v[72:73], v[70:71]
	v_div_scale_f64 v[72:73], vcc, v[54:55], v[56:57], v[54:55]
	v_fma_f64 v[74:75], -v[68:69], v[70:71], 1.0
	v_fma_f64 v[70:71], v[70:71], v[74:75], v[70:71]
	v_mul_f64 v[74:75], v[72:73], v[70:71]
	v_fma_f64 v[68:69], -v[68:69], v[74:75], v[72:73]
	v_div_fmas_f64 v[68:69], v[68:69], v[70:71], v[74:75]
	v_div_fixup_f64 v[68:69], v[68:69], v[56:57], v[54:55]
	v_fma_f64 v[54:55], v[54:55], v[68:69], v[56:57]
	v_div_scale_f64 v[56:57], s[20:21], v[54:55], v[54:55], 1.0
	v_div_scale_f64 v[74:75], vcc, 1.0, v[54:55], 1.0
	v_rcp_f64_e32 v[70:71], v[56:57]
	v_fma_f64 v[72:73], -v[56:57], v[70:71], 1.0
	v_fma_f64 v[70:71], v[70:71], v[72:73], v[70:71]
	v_fma_f64 v[72:73], -v[56:57], v[70:71], 1.0
	v_fma_f64 v[70:71], v[70:71], v[72:73], v[70:71]
	v_mul_f64 v[72:73], v[74:75], v[70:71]
	v_fma_f64 v[56:57], -v[56:57], v[72:73], v[74:75]
	v_div_fmas_f64 v[56:57], v[56:57], v[70:71], v[72:73]
	v_div_fixup_f64 v[56:57], v[56:57], v[54:55], 1.0
	v_mul_f64 v[54:55], v[68:69], v[56:57]
	v_xor_b32_e32 v57, 0x80000000, v57
.LBB24_91:
	s_andn2_saveexec_b64 s[8:9], s[8:9]
	s_cbranch_execz .LBB24_93
; %bb.92:
	v_div_scale_f64 v[68:69], s[20:21], v[54:55], v[54:55], v[56:57]
	v_rcp_f64_e32 v[70:71], v[68:69]
	v_fma_f64 v[72:73], -v[68:69], v[70:71], 1.0
	v_fma_f64 v[70:71], v[70:71], v[72:73], v[70:71]
	v_div_scale_f64 v[72:73], vcc, v[56:57], v[54:55], v[56:57]
	v_fma_f64 v[74:75], -v[68:69], v[70:71], 1.0
	v_fma_f64 v[70:71], v[70:71], v[74:75], v[70:71]
	v_mul_f64 v[74:75], v[72:73], v[70:71]
	v_fma_f64 v[68:69], -v[68:69], v[74:75], v[72:73]
	v_div_fmas_f64 v[68:69], v[68:69], v[70:71], v[74:75]
	v_div_fixup_f64 v[68:69], v[68:69], v[54:55], v[56:57]
	v_fma_f64 v[54:55], v[56:57], v[68:69], v[54:55]
	v_div_scale_f64 v[56:57], s[20:21], v[54:55], v[54:55], 1.0
	v_div_scale_f64 v[74:75], vcc, 1.0, v[54:55], 1.0
	v_rcp_f64_e32 v[70:71], v[56:57]
	v_fma_f64 v[72:73], -v[56:57], v[70:71], 1.0
	v_fma_f64 v[70:71], v[70:71], v[72:73], v[70:71]
	v_fma_f64 v[72:73], -v[56:57], v[70:71], 1.0
	v_fma_f64 v[70:71], v[70:71], v[72:73], v[70:71]
	v_mul_f64 v[72:73], v[74:75], v[70:71]
	v_fma_f64 v[56:57], -v[56:57], v[72:73], v[74:75]
	v_div_fmas_f64 v[56:57], v[56:57], v[70:71], v[72:73]
	v_div_fixup_f64 v[54:55], v[56:57], v[54:55], 1.0
	v_mul_f64 v[56:57], v[68:69], -v[54:55]
.LBB24_93:
	s_or_b64 exec, exec, s[8:9]
.LBB24_94:
	s_or_b64 exec, exec, s[0:1]
	v_cmp_ne_u32_e32 vcc, v64, v62
	s_and_saveexec_b64 s[0:1], vcc
	s_xor_b64 s[0:1], exec, s[0:1]
	s_cbranch_execz .LBB24_100
; %bb.95:
	v_cmp_eq_u32_e32 vcc, 4, v64
	s_and_saveexec_b64 s[8:9], vcc
	s_cbranch_execz .LBB24_99
; %bb.96:
	v_cmp_ne_u32_e32 vcc, 4, v62
	s_xor_b64 s[20:21], s[18:19], -1
	s_and_b64 s[24:25], s[20:21], vcc
	s_and_saveexec_b64 s[20:21], s[24:25]
	s_cbranch_execz .LBB24_98
; %bb.97:
	v_ashrrev_i32_e32 v63, 31, v62
	v_lshlrev_b64 v[63:64], 2, v[62:63]
	v_add_co_u32_e32 v63, vcc, v60, v63
	v_addc_co_u32_e32 v64, vcc, v61, v64, vcc
	global_load_dword v0, v[63:64], off
	global_load_dword v68, v[60:61], off offset:16
	s_waitcnt vmcnt(1)
	global_store_dword v[60:61], v0, off offset:16
	s_waitcnt vmcnt(1)
	global_store_dword v[63:64], v68, off
.LBB24_98:
	s_or_b64 exec, exec, s[20:21]
	v_mov_b32_e32 v64, v62
	v_mov_b32_e32 v0, v62
.LBB24_99:
	s_or_b64 exec, exec, s[8:9]
.LBB24_100:
	s_andn2_saveexec_b64 s[0:1], s[0:1]
	s_cbranch_execz .LBB24_102
; %bb.101:
	v_mov_b32_e32 v64, 4
	ds_write2_b64 v1, v[26:27], v[28:29] offset0:10 offset1:11
	ds_write2_b64 v1, v[22:23], v[24:25] offset0:12 offset1:13
	;; [unrolled: 1-line block ×8, first 2 shown]
.LBB24_102:
	s_or_b64 exec, exec, s[0:1]
	v_cmp_lt_i32_e32 vcc, 4, v64
	s_waitcnt vmcnt(0) lgkmcnt(0)
	s_barrier
	s_and_saveexec_b64 s[0:1], vcc
	s_cbranch_execz .LBB24_104
; %bb.103:
	v_mul_f64 v[62:63], v[54:55], v[32:33]
	v_mul_f64 v[32:33], v[56:57], v[32:33]
	v_fma_f64 v[62:63], v[56:57], v[30:31], v[62:63]
	v_fma_f64 v[30:31], v[54:55], v[30:31], -v[32:33]
	ds_read2_b64 v[54:57], v1 offset0:10 offset1:11
	s_waitcnt lgkmcnt(0)
	v_mul_f64 v[32:33], v[56:57], v[62:63]
	v_fma_f64 v[32:33], v[54:55], v[30:31], -v[32:33]
	v_mul_f64 v[54:55], v[54:55], v[62:63]
	v_add_f64 v[26:27], v[26:27], -v[32:33]
	v_fma_f64 v[54:55], v[56:57], v[30:31], v[54:55]
	v_add_f64 v[28:29], v[28:29], -v[54:55]
	ds_read2_b64 v[54:57], v1 offset0:12 offset1:13
	s_waitcnt lgkmcnt(0)
	v_mul_f64 v[32:33], v[56:57], v[62:63]
	v_fma_f64 v[32:33], v[54:55], v[30:31], -v[32:33]
	v_mul_f64 v[54:55], v[54:55], v[62:63]
	v_add_f64 v[22:23], v[22:23], -v[32:33]
	v_fma_f64 v[54:55], v[56:57], v[30:31], v[54:55]
	v_add_f64 v[24:25], v[24:25], -v[54:55]
	ds_read2_b64 v[54:57], v1 offset0:14 offset1:15
	s_waitcnt lgkmcnt(0)
	v_mul_f64 v[32:33], v[56:57], v[62:63]
	v_fma_f64 v[32:33], v[54:55], v[30:31], -v[32:33]
	v_mul_f64 v[54:55], v[54:55], v[62:63]
	v_add_f64 v[18:19], v[18:19], -v[32:33]
	v_fma_f64 v[54:55], v[56:57], v[30:31], v[54:55]
	v_add_f64 v[20:21], v[20:21], -v[54:55]
	ds_read2_b64 v[54:57], v1 offset0:16 offset1:17
	s_waitcnt lgkmcnt(0)
	v_mul_f64 v[32:33], v[56:57], v[62:63]
	v_fma_f64 v[32:33], v[54:55], v[30:31], -v[32:33]
	v_mul_f64 v[54:55], v[54:55], v[62:63]
	v_add_f64 v[14:15], v[14:15], -v[32:33]
	v_fma_f64 v[54:55], v[56:57], v[30:31], v[54:55]
	v_add_f64 v[16:17], v[16:17], -v[54:55]
	ds_read2_b64 v[54:57], v1 offset0:18 offset1:19
	s_waitcnt lgkmcnt(0)
	v_mul_f64 v[32:33], v[56:57], v[62:63]
	v_fma_f64 v[32:33], v[54:55], v[30:31], -v[32:33]
	v_mul_f64 v[54:55], v[54:55], v[62:63]
	v_add_f64 v[10:11], v[10:11], -v[32:33]
	v_fma_f64 v[54:55], v[56:57], v[30:31], v[54:55]
	v_add_f64 v[12:13], v[12:13], -v[54:55]
	ds_read2_b64 v[54:57], v1 offset0:20 offset1:21
	s_waitcnt lgkmcnt(0)
	v_mul_f64 v[32:33], v[56:57], v[62:63]
	v_fma_f64 v[32:33], v[54:55], v[30:31], -v[32:33]
	v_mul_f64 v[54:55], v[54:55], v[62:63]
	v_add_f64 v[6:7], v[6:7], -v[32:33]
	v_fma_f64 v[54:55], v[56:57], v[30:31], v[54:55]
	v_add_f64 v[8:9], v[8:9], -v[54:55]
	ds_read2_b64 v[54:57], v1 offset0:22 offset1:23
	s_waitcnt lgkmcnt(0)
	v_mul_f64 v[32:33], v[56:57], v[62:63]
	v_fma_f64 v[32:33], v[54:55], v[30:31], -v[32:33]
	v_mul_f64 v[54:55], v[54:55], v[62:63]
	v_add_f64 v[2:3], v[2:3], -v[32:33]
	v_fma_f64 v[54:55], v[56:57], v[30:31], v[54:55]
	v_add_f64 v[4:5], v[4:5], -v[54:55]
	ds_read2_b64 v[54:57], v1 offset0:24 offset1:25
	s_waitcnt lgkmcnt(0)
	v_mul_f64 v[32:33], v[56:57], v[62:63]
	v_fma_f64 v[32:33], v[54:55], v[30:31], -v[32:33]
	v_mul_f64 v[54:55], v[54:55], v[62:63]
	v_add_f64 v[50:51], v[50:51], -v[32:33]
	v_fma_f64 v[54:55], v[56:57], v[30:31], v[54:55]
	v_mov_b32_e32 v32, v62
	v_mov_b32_e32 v33, v63
	v_add_f64 v[52:53], v[52:53], -v[54:55]
.LBB24_104:
	s_or_b64 exec, exec, s[0:1]
	v_lshl_add_u32 v54, v64, 4, v1
	s_barrier
	ds_write2_b64 v54, v[26:27], v[28:29] offset1:1
	s_waitcnt lgkmcnt(0)
	s_barrier
	ds_read2_b64 v[54:57], v1 offset0:10 offset1:11
	s_cmp_lt_i32 s22, 7
	v_mov_b32_e32 v62, 5
	s_cbranch_scc1 .LBB24_107
; %bb.105:
	v_add_u32_e32 v63, 0x60, v1
	s_mov_b32 s7, 6
	v_mov_b32_e32 v62, 5
.LBB24_106:                             ; =>This Inner Loop Header: Depth=1
	s_waitcnt lgkmcnt(0)
	v_cmp_gt_f64_e32 vcc, 0, v[56:57]
	v_cmp_gt_f64_e64 s[0:1], 0, v[54:55]
	ds_read2_b64 v[68:71], v63 offset1:1
	v_xor_b32_e32 v73, 0x80000000, v55
	v_xor_b32_e32 v75, 0x80000000, v57
	v_mov_b32_e32 v72, v54
	v_mov_b32_e32 v74, v56
	s_waitcnt lgkmcnt(0)
	v_xor_b32_e32 v77, 0x80000000, v71
	v_cndmask_b32_e32 v75, v57, v75, vcc
	v_cndmask_b32_e64 v73, v55, v73, s[0:1]
	v_cmp_gt_f64_e32 vcc, 0, v[70:71]
	v_cmp_gt_f64_e64 s[0:1], 0, v[68:69]
	v_add_f64 v[72:73], v[72:73], v[74:75]
	v_xor_b32_e32 v75, 0x80000000, v69
	v_mov_b32_e32 v74, v68
	v_mov_b32_e32 v76, v70
	v_add_u32_e32 v63, 16, v63
	v_cndmask_b32_e32 v77, v71, v77, vcc
	v_cndmask_b32_e64 v75, v69, v75, s[0:1]
	v_add_f64 v[74:75], v[74:75], v[76:77]
	v_mov_b32_e32 v76, s7
	s_add_i32 s7, s7, 1
	s_cmp_lg_u32 s22, s7
	v_cmp_lt_f64_e32 vcc, v[72:73], v[74:75]
	v_cndmask_b32_e32 v55, v55, v69, vcc
	v_cndmask_b32_e32 v54, v54, v68, vcc
	;; [unrolled: 1-line block ×5, first 2 shown]
	s_cbranch_scc1 .LBB24_106
.LBB24_107:
	s_waitcnt lgkmcnt(0)
	v_cmp_eq_f64_e32 vcc, 0, v[54:55]
	v_cmp_eq_f64_e64 s[0:1], 0, v[56:57]
	s_and_b64 s[0:1], vcc, s[0:1]
	s_and_saveexec_b64 s[8:9], s[0:1]
	s_xor_b64 s[0:1], exec, s[8:9]
; %bb.108:
	v_cmp_ne_u32_e32 vcc, 0, v67
	v_cndmask_b32_e32 v67, 6, v67, vcc
; %bb.109:
	s_andn2_saveexec_b64 s[0:1], s[0:1]
	s_cbranch_execz .LBB24_115
; %bb.110:
	v_cmp_ngt_f64_e64 s[8:9], |v[54:55]|, |v[56:57]|
	s_and_saveexec_b64 s[20:21], s[8:9]
	s_xor_b64 s[8:9], exec, s[20:21]
	s_cbranch_execz .LBB24_112
; %bb.111:
	v_div_scale_f64 v[68:69], s[20:21], v[56:57], v[56:57], v[54:55]
	v_rcp_f64_e32 v[70:71], v[68:69]
	v_fma_f64 v[72:73], -v[68:69], v[70:71], 1.0
	v_fma_f64 v[70:71], v[70:71], v[72:73], v[70:71]
	v_div_scale_f64 v[72:73], vcc, v[54:55], v[56:57], v[54:55]
	v_fma_f64 v[74:75], -v[68:69], v[70:71], 1.0
	v_fma_f64 v[70:71], v[70:71], v[74:75], v[70:71]
	v_mul_f64 v[74:75], v[72:73], v[70:71]
	v_fma_f64 v[68:69], -v[68:69], v[74:75], v[72:73]
	v_div_fmas_f64 v[68:69], v[68:69], v[70:71], v[74:75]
	v_div_fixup_f64 v[68:69], v[68:69], v[56:57], v[54:55]
	v_fma_f64 v[54:55], v[54:55], v[68:69], v[56:57]
	v_div_scale_f64 v[56:57], s[20:21], v[54:55], v[54:55], 1.0
	v_div_scale_f64 v[74:75], vcc, 1.0, v[54:55], 1.0
	v_rcp_f64_e32 v[70:71], v[56:57]
	v_fma_f64 v[72:73], -v[56:57], v[70:71], 1.0
	v_fma_f64 v[70:71], v[70:71], v[72:73], v[70:71]
	v_fma_f64 v[72:73], -v[56:57], v[70:71], 1.0
	v_fma_f64 v[70:71], v[70:71], v[72:73], v[70:71]
	v_mul_f64 v[72:73], v[74:75], v[70:71]
	v_fma_f64 v[56:57], -v[56:57], v[72:73], v[74:75]
	v_div_fmas_f64 v[56:57], v[56:57], v[70:71], v[72:73]
	v_div_fixup_f64 v[56:57], v[56:57], v[54:55], 1.0
	v_mul_f64 v[54:55], v[68:69], v[56:57]
	v_xor_b32_e32 v57, 0x80000000, v57
.LBB24_112:
	s_andn2_saveexec_b64 s[8:9], s[8:9]
	s_cbranch_execz .LBB24_114
; %bb.113:
	v_div_scale_f64 v[68:69], s[20:21], v[54:55], v[54:55], v[56:57]
	v_rcp_f64_e32 v[70:71], v[68:69]
	v_fma_f64 v[72:73], -v[68:69], v[70:71], 1.0
	v_fma_f64 v[70:71], v[70:71], v[72:73], v[70:71]
	v_div_scale_f64 v[72:73], vcc, v[56:57], v[54:55], v[56:57]
	v_fma_f64 v[74:75], -v[68:69], v[70:71], 1.0
	v_fma_f64 v[70:71], v[70:71], v[74:75], v[70:71]
	v_mul_f64 v[74:75], v[72:73], v[70:71]
	v_fma_f64 v[68:69], -v[68:69], v[74:75], v[72:73]
	v_div_fmas_f64 v[68:69], v[68:69], v[70:71], v[74:75]
	v_div_fixup_f64 v[68:69], v[68:69], v[54:55], v[56:57]
	v_fma_f64 v[54:55], v[56:57], v[68:69], v[54:55]
	v_div_scale_f64 v[56:57], s[20:21], v[54:55], v[54:55], 1.0
	v_div_scale_f64 v[74:75], vcc, 1.0, v[54:55], 1.0
	v_rcp_f64_e32 v[70:71], v[56:57]
	v_fma_f64 v[72:73], -v[56:57], v[70:71], 1.0
	v_fma_f64 v[70:71], v[70:71], v[72:73], v[70:71]
	v_fma_f64 v[72:73], -v[56:57], v[70:71], 1.0
	v_fma_f64 v[70:71], v[70:71], v[72:73], v[70:71]
	v_mul_f64 v[72:73], v[74:75], v[70:71]
	v_fma_f64 v[56:57], -v[56:57], v[72:73], v[74:75]
	v_div_fmas_f64 v[56:57], v[56:57], v[70:71], v[72:73]
	v_div_fixup_f64 v[54:55], v[56:57], v[54:55], 1.0
	v_mul_f64 v[56:57], v[68:69], -v[54:55]
.LBB24_114:
	s_or_b64 exec, exec, s[8:9]
.LBB24_115:
	s_or_b64 exec, exec, s[0:1]
	v_cmp_ne_u32_e32 vcc, v64, v62
	s_and_saveexec_b64 s[0:1], vcc
	s_xor_b64 s[0:1], exec, s[0:1]
	s_cbranch_execz .LBB24_121
; %bb.116:
	v_cmp_eq_u32_e32 vcc, 5, v64
	s_and_saveexec_b64 s[8:9], vcc
	s_cbranch_execz .LBB24_120
; %bb.117:
	v_cmp_ne_u32_e32 vcc, 5, v62
	s_xor_b64 s[20:21], s[18:19], -1
	s_and_b64 s[24:25], s[20:21], vcc
	s_and_saveexec_b64 s[20:21], s[24:25]
	s_cbranch_execz .LBB24_119
; %bb.118:
	v_ashrrev_i32_e32 v63, 31, v62
	v_lshlrev_b64 v[63:64], 2, v[62:63]
	v_add_co_u32_e32 v63, vcc, v60, v63
	v_addc_co_u32_e32 v64, vcc, v61, v64, vcc
	global_load_dword v0, v[63:64], off
	global_load_dword v68, v[60:61], off offset:20
	s_waitcnt vmcnt(1)
	global_store_dword v[60:61], v0, off offset:20
	s_waitcnt vmcnt(1)
	global_store_dword v[63:64], v68, off
.LBB24_119:
	s_or_b64 exec, exec, s[20:21]
	v_mov_b32_e32 v64, v62
	v_mov_b32_e32 v0, v62
.LBB24_120:
	s_or_b64 exec, exec, s[8:9]
.LBB24_121:
	s_andn2_saveexec_b64 s[0:1], s[0:1]
	s_cbranch_execz .LBB24_123
; %bb.122:
	v_mov_b32_e32 v64, 5
	ds_write2_b64 v1, v[22:23], v[24:25] offset0:12 offset1:13
	ds_write2_b64 v1, v[18:19], v[20:21] offset0:14 offset1:15
	;; [unrolled: 1-line block ×7, first 2 shown]
.LBB24_123:
	s_or_b64 exec, exec, s[0:1]
	v_cmp_lt_i32_e32 vcc, 5, v64
	s_waitcnt vmcnt(0) lgkmcnt(0)
	s_barrier
	s_and_saveexec_b64 s[0:1], vcc
	s_cbranch_execz .LBB24_125
; %bb.124:
	v_mul_f64 v[62:63], v[54:55], v[28:29]
	v_mul_f64 v[28:29], v[56:57], v[28:29]
	v_fma_f64 v[62:63], v[56:57], v[26:27], v[62:63]
	v_fma_f64 v[26:27], v[54:55], v[26:27], -v[28:29]
	ds_read2_b64 v[54:57], v1 offset0:12 offset1:13
	s_waitcnt lgkmcnt(0)
	v_mul_f64 v[28:29], v[56:57], v[62:63]
	v_fma_f64 v[28:29], v[54:55], v[26:27], -v[28:29]
	v_mul_f64 v[54:55], v[54:55], v[62:63]
	v_add_f64 v[22:23], v[22:23], -v[28:29]
	v_fma_f64 v[54:55], v[56:57], v[26:27], v[54:55]
	v_add_f64 v[24:25], v[24:25], -v[54:55]
	ds_read2_b64 v[54:57], v1 offset0:14 offset1:15
	s_waitcnt lgkmcnt(0)
	v_mul_f64 v[28:29], v[56:57], v[62:63]
	v_fma_f64 v[28:29], v[54:55], v[26:27], -v[28:29]
	v_mul_f64 v[54:55], v[54:55], v[62:63]
	v_add_f64 v[18:19], v[18:19], -v[28:29]
	v_fma_f64 v[54:55], v[56:57], v[26:27], v[54:55]
	v_add_f64 v[20:21], v[20:21], -v[54:55]
	;; [unrolled: 8-line block ×6, first 2 shown]
	ds_read2_b64 v[54:57], v1 offset0:24 offset1:25
	s_waitcnt lgkmcnt(0)
	v_mul_f64 v[28:29], v[56:57], v[62:63]
	v_fma_f64 v[28:29], v[54:55], v[26:27], -v[28:29]
	v_mul_f64 v[54:55], v[54:55], v[62:63]
	v_add_f64 v[50:51], v[50:51], -v[28:29]
	v_fma_f64 v[54:55], v[56:57], v[26:27], v[54:55]
	v_mov_b32_e32 v28, v62
	v_mov_b32_e32 v29, v63
	v_add_f64 v[52:53], v[52:53], -v[54:55]
.LBB24_125:
	s_or_b64 exec, exec, s[0:1]
	v_lshl_add_u32 v54, v64, 4, v1
	s_barrier
	ds_write2_b64 v54, v[22:23], v[24:25] offset1:1
	s_waitcnt lgkmcnt(0)
	s_barrier
	ds_read2_b64 v[54:57], v1 offset0:12 offset1:13
	s_cmp_lt_i32 s22, 8
	v_mov_b32_e32 v62, 6
	s_cbranch_scc1 .LBB24_128
; %bb.126:
	v_add_u32_e32 v63, 0x70, v1
	s_mov_b32 s7, 7
	v_mov_b32_e32 v62, 6
.LBB24_127:                             ; =>This Inner Loop Header: Depth=1
	s_waitcnt lgkmcnt(0)
	v_cmp_gt_f64_e32 vcc, 0, v[56:57]
	v_cmp_gt_f64_e64 s[0:1], 0, v[54:55]
	ds_read2_b64 v[68:71], v63 offset1:1
	v_xor_b32_e32 v73, 0x80000000, v55
	v_xor_b32_e32 v75, 0x80000000, v57
	v_mov_b32_e32 v72, v54
	v_mov_b32_e32 v74, v56
	s_waitcnt lgkmcnt(0)
	v_xor_b32_e32 v77, 0x80000000, v71
	v_cndmask_b32_e32 v75, v57, v75, vcc
	v_cndmask_b32_e64 v73, v55, v73, s[0:1]
	v_cmp_gt_f64_e32 vcc, 0, v[70:71]
	v_cmp_gt_f64_e64 s[0:1], 0, v[68:69]
	v_add_f64 v[72:73], v[72:73], v[74:75]
	v_xor_b32_e32 v75, 0x80000000, v69
	v_mov_b32_e32 v74, v68
	v_mov_b32_e32 v76, v70
	v_add_u32_e32 v63, 16, v63
	v_cndmask_b32_e32 v77, v71, v77, vcc
	v_cndmask_b32_e64 v75, v69, v75, s[0:1]
	v_add_f64 v[74:75], v[74:75], v[76:77]
	v_mov_b32_e32 v76, s7
	s_add_i32 s7, s7, 1
	s_cmp_lg_u32 s22, s7
	v_cmp_lt_f64_e32 vcc, v[72:73], v[74:75]
	v_cndmask_b32_e32 v55, v55, v69, vcc
	v_cndmask_b32_e32 v54, v54, v68, vcc
	;; [unrolled: 1-line block ×5, first 2 shown]
	s_cbranch_scc1 .LBB24_127
.LBB24_128:
	s_waitcnt lgkmcnt(0)
	v_cmp_eq_f64_e32 vcc, 0, v[54:55]
	v_cmp_eq_f64_e64 s[0:1], 0, v[56:57]
	s_and_b64 s[0:1], vcc, s[0:1]
	s_and_saveexec_b64 s[8:9], s[0:1]
	s_xor_b64 s[0:1], exec, s[8:9]
; %bb.129:
	v_cmp_ne_u32_e32 vcc, 0, v67
	v_cndmask_b32_e32 v67, 7, v67, vcc
; %bb.130:
	s_andn2_saveexec_b64 s[0:1], s[0:1]
	s_cbranch_execz .LBB24_136
; %bb.131:
	v_cmp_ngt_f64_e64 s[8:9], |v[54:55]|, |v[56:57]|
	s_and_saveexec_b64 s[20:21], s[8:9]
	s_xor_b64 s[8:9], exec, s[20:21]
	s_cbranch_execz .LBB24_133
; %bb.132:
	v_div_scale_f64 v[68:69], s[20:21], v[56:57], v[56:57], v[54:55]
	v_rcp_f64_e32 v[70:71], v[68:69]
	v_fma_f64 v[72:73], -v[68:69], v[70:71], 1.0
	v_fma_f64 v[70:71], v[70:71], v[72:73], v[70:71]
	v_div_scale_f64 v[72:73], vcc, v[54:55], v[56:57], v[54:55]
	v_fma_f64 v[74:75], -v[68:69], v[70:71], 1.0
	v_fma_f64 v[70:71], v[70:71], v[74:75], v[70:71]
	v_mul_f64 v[74:75], v[72:73], v[70:71]
	v_fma_f64 v[68:69], -v[68:69], v[74:75], v[72:73]
	v_div_fmas_f64 v[68:69], v[68:69], v[70:71], v[74:75]
	v_div_fixup_f64 v[68:69], v[68:69], v[56:57], v[54:55]
	v_fma_f64 v[54:55], v[54:55], v[68:69], v[56:57]
	v_div_scale_f64 v[56:57], s[20:21], v[54:55], v[54:55], 1.0
	v_div_scale_f64 v[74:75], vcc, 1.0, v[54:55], 1.0
	v_rcp_f64_e32 v[70:71], v[56:57]
	v_fma_f64 v[72:73], -v[56:57], v[70:71], 1.0
	v_fma_f64 v[70:71], v[70:71], v[72:73], v[70:71]
	v_fma_f64 v[72:73], -v[56:57], v[70:71], 1.0
	v_fma_f64 v[70:71], v[70:71], v[72:73], v[70:71]
	v_mul_f64 v[72:73], v[74:75], v[70:71]
	v_fma_f64 v[56:57], -v[56:57], v[72:73], v[74:75]
	v_div_fmas_f64 v[56:57], v[56:57], v[70:71], v[72:73]
	v_div_fixup_f64 v[56:57], v[56:57], v[54:55], 1.0
	v_mul_f64 v[54:55], v[68:69], v[56:57]
	v_xor_b32_e32 v57, 0x80000000, v57
.LBB24_133:
	s_andn2_saveexec_b64 s[8:9], s[8:9]
	s_cbranch_execz .LBB24_135
; %bb.134:
	v_div_scale_f64 v[68:69], s[20:21], v[54:55], v[54:55], v[56:57]
	v_rcp_f64_e32 v[70:71], v[68:69]
	v_fma_f64 v[72:73], -v[68:69], v[70:71], 1.0
	v_fma_f64 v[70:71], v[70:71], v[72:73], v[70:71]
	v_div_scale_f64 v[72:73], vcc, v[56:57], v[54:55], v[56:57]
	v_fma_f64 v[74:75], -v[68:69], v[70:71], 1.0
	v_fma_f64 v[70:71], v[70:71], v[74:75], v[70:71]
	v_mul_f64 v[74:75], v[72:73], v[70:71]
	v_fma_f64 v[68:69], -v[68:69], v[74:75], v[72:73]
	v_div_fmas_f64 v[68:69], v[68:69], v[70:71], v[74:75]
	v_div_fixup_f64 v[68:69], v[68:69], v[54:55], v[56:57]
	v_fma_f64 v[54:55], v[56:57], v[68:69], v[54:55]
	v_div_scale_f64 v[56:57], s[20:21], v[54:55], v[54:55], 1.0
	v_div_scale_f64 v[74:75], vcc, 1.0, v[54:55], 1.0
	v_rcp_f64_e32 v[70:71], v[56:57]
	v_fma_f64 v[72:73], -v[56:57], v[70:71], 1.0
	v_fma_f64 v[70:71], v[70:71], v[72:73], v[70:71]
	v_fma_f64 v[72:73], -v[56:57], v[70:71], 1.0
	v_fma_f64 v[70:71], v[70:71], v[72:73], v[70:71]
	v_mul_f64 v[72:73], v[74:75], v[70:71]
	v_fma_f64 v[56:57], -v[56:57], v[72:73], v[74:75]
	v_div_fmas_f64 v[56:57], v[56:57], v[70:71], v[72:73]
	v_div_fixup_f64 v[54:55], v[56:57], v[54:55], 1.0
	v_mul_f64 v[56:57], v[68:69], -v[54:55]
.LBB24_135:
	s_or_b64 exec, exec, s[8:9]
.LBB24_136:
	s_or_b64 exec, exec, s[0:1]
	v_cmp_ne_u32_e32 vcc, v64, v62
	s_and_saveexec_b64 s[0:1], vcc
	s_xor_b64 s[0:1], exec, s[0:1]
	s_cbranch_execz .LBB24_142
; %bb.137:
	v_cmp_eq_u32_e32 vcc, 6, v64
	s_and_saveexec_b64 s[8:9], vcc
	s_cbranch_execz .LBB24_141
; %bb.138:
	v_cmp_ne_u32_e32 vcc, 6, v62
	s_xor_b64 s[20:21], s[18:19], -1
	s_and_b64 s[24:25], s[20:21], vcc
	s_and_saveexec_b64 s[20:21], s[24:25]
	s_cbranch_execz .LBB24_140
; %bb.139:
	v_ashrrev_i32_e32 v63, 31, v62
	v_lshlrev_b64 v[63:64], 2, v[62:63]
	v_add_co_u32_e32 v63, vcc, v60, v63
	v_addc_co_u32_e32 v64, vcc, v61, v64, vcc
	global_load_dword v0, v[63:64], off
	global_load_dword v68, v[60:61], off offset:24
	s_waitcnt vmcnt(1)
	global_store_dword v[60:61], v0, off offset:24
	s_waitcnt vmcnt(1)
	global_store_dword v[63:64], v68, off
.LBB24_140:
	s_or_b64 exec, exec, s[20:21]
	v_mov_b32_e32 v64, v62
	v_mov_b32_e32 v0, v62
.LBB24_141:
	s_or_b64 exec, exec, s[8:9]
.LBB24_142:
	s_andn2_saveexec_b64 s[0:1], s[0:1]
	s_cbranch_execz .LBB24_144
; %bb.143:
	v_mov_b32_e32 v64, 6
	ds_write2_b64 v1, v[18:19], v[20:21] offset0:14 offset1:15
	ds_write2_b64 v1, v[14:15], v[16:17] offset0:16 offset1:17
	;; [unrolled: 1-line block ×6, first 2 shown]
.LBB24_144:
	s_or_b64 exec, exec, s[0:1]
	v_cmp_lt_i32_e32 vcc, 6, v64
	s_waitcnt vmcnt(0) lgkmcnt(0)
	s_barrier
	s_and_saveexec_b64 s[0:1], vcc
	s_cbranch_execz .LBB24_146
; %bb.145:
	v_mul_f64 v[62:63], v[54:55], v[24:25]
	v_mul_f64 v[24:25], v[56:57], v[24:25]
	v_fma_f64 v[62:63], v[56:57], v[22:23], v[62:63]
	v_fma_f64 v[22:23], v[54:55], v[22:23], -v[24:25]
	ds_read2_b64 v[54:57], v1 offset0:14 offset1:15
	s_waitcnt lgkmcnt(0)
	v_mul_f64 v[24:25], v[56:57], v[62:63]
	v_fma_f64 v[24:25], v[54:55], v[22:23], -v[24:25]
	v_mul_f64 v[54:55], v[54:55], v[62:63]
	v_add_f64 v[18:19], v[18:19], -v[24:25]
	v_fma_f64 v[54:55], v[56:57], v[22:23], v[54:55]
	v_add_f64 v[20:21], v[20:21], -v[54:55]
	ds_read2_b64 v[54:57], v1 offset0:16 offset1:17
	s_waitcnt lgkmcnt(0)
	v_mul_f64 v[24:25], v[56:57], v[62:63]
	v_fma_f64 v[24:25], v[54:55], v[22:23], -v[24:25]
	v_mul_f64 v[54:55], v[54:55], v[62:63]
	v_add_f64 v[14:15], v[14:15], -v[24:25]
	v_fma_f64 v[54:55], v[56:57], v[22:23], v[54:55]
	v_add_f64 v[16:17], v[16:17], -v[54:55]
	ds_read2_b64 v[54:57], v1 offset0:18 offset1:19
	s_waitcnt lgkmcnt(0)
	v_mul_f64 v[24:25], v[56:57], v[62:63]
	v_fma_f64 v[24:25], v[54:55], v[22:23], -v[24:25]
	v_mul_f64 v[54:55], v[54:55], v[62:63]
	v_add_f64 v[10:11], v[10:11], -v[24:25]
	v_fma_f64 v[54:55], v[56:57], v[22:23], v[54:55]
	v_add_f64 v[12:13], v[12:13], -v[54:55]
	ds_read2_b64 v[54:57], v1 offset0:20 offset1:21
	s_waitcnt lgkmcnt(0)
	v_mul_f64 v[24:25], v[56:57], v[62:63]
	v_fma_f64 v[24:25], v[54:55], v[22:23], -v[24:25]
	v_mul_f64 v[54:55], v[54:55], v[62:63]
	v_add_f64 v[6:7], v[6:7], -v[24:25]
	v_fma_f64 v[54:55], v[56:57], v[22:23], v[54:55]
	v_add_f64 v[8:9], v[8:9], -v[54:55]
	ds_read2_b64 v[54:57], v1 offset0:22 offset1:23
	s_waitcnt lgkmcnt(0)
	v_mul_f64 v[24:25], v[56:57], v[62:63]
	v_fma_f64 v[24:25], v[54:55], v[22:23], -v[24:25]
	v_mul_f64 v[54:55], v[54:55], v[62:63]
	v_add_f64 v[2:3], v[2:3], -v[24:25]
	v_fma_f64 v[54:55], v[56:57], v[22:23], v[54:55]
	v_add_f64 v[4:5], v[4:5], -v[54:55]
	ds_read2_b64 v[54:57], v1 offset0:24 offset1:25
	s_waitcnt lgkmcnt(0)
	v_mul_f64 v[24:25], v[56:57], v[62:63]
	v_fma_f64 v[24:25], v[54:55], v[22:23], -v[24:25]
	v_mul_f64 v[54:55], v[54:55], v[62:63]
	v_add_f64 v[50:51], v[50:51], -v[24:25]
	v_fma_f64 v[54:55], v[56:57], v[22:23], v[54:55]
	v_mov_b32_e32 v24, v62
	v_mov_b32_e32 v25, v63
	v_add_f64 v[52:53], v[52:53], -v[54:55]
.LBB24_146:
	s_or_b64 exec, exec, s[0:1]
	v_lshl_add_u32 v54, v64, 4, v1
	s_barrier
	ds_write2_b64 v54, v[18:19], v[20:21] offset1:1
	s_waitcnt lgkmcnt(0)
	s_barrier
	ds_read2_b64 v[54:57], v1 offset0:14 offset1:15
	s_cmp_lt_i32 s22, 9
	v_mov_b32_e32 v62, 7
	s_cbranch_scc1 .LBB24_149
; %bb.147:
	v_add_u32_e32 v63, 0x80, v1
	s_mov_b32 s7, 8
	v_mov_b32_e32 v62, 7
.LBB24_148:                             ; =>This Inner Loop Header: Depth=1
	s_waitcnt lgkmcnt(0)
	v_cmp_gt_f64_e32 vcc, 0, v[56:57]
	v_cmp_gt_f64_e64 s[0:1], 0, v[54:55]
	ds_read2_b64 v[68:71], v63 offset1:1
	v_xor_b32_e32 v73, 0x80000000, v55
	v_xor_b32_e32 v75, 0x80000000, v57
	v_mov_b32_e32 v72, v54
	v_mov_b32_e32 v74, v56
	s_waitcnt lgkmcnt(0)
	v_xor_b32_e32 v77, 0x80000000, v71
	v_cndmask_b32_e32 v75, v57, v75, vcc
	v_cndmask_b32_e64 v73, v55, v73, s[0:1]
	v_cmp_gt_f64_e32 vcc, 0, v[70:71]
	v_cmp_gt_f64_e64 s[0:1], 0, v[68:69]
	v_add_f64 v[72:73], v[72:73], v[74:75]
	v_xor_b32_e32 v75, 0x80000000, v69
	v_mov_b32_e32 v74, v68
	v_mov_b32_e32 v76, v70
	v_add_u32_e32 v63, 16, v63
	v_cndmask_b32_e32 v77, v71, v77, vcc
	v_cndmask_b32_e64 v75, v69, v75, s[0:1]
	v_add_f64 v[74:75], v[74:75], v[76:77]
	v_mov_b32_e32 v76, s7
	s_add_i32 s7, s7, 1
	s_cmp_lg_u32 s22, s7
	v_cmp_lt_f64_e32 vcc, v[72:73], v[74:75]
	v_cndmask_b32_e32 v55, v55, v69, vcc
	v_cndmask_b32_e32 v54, v54, v68, vcc
	;; [unrolled: 1-line block ×5, first 2 shown]
	s_cbranch_scc1 .LBB24_148
.LBB24_149:
	s_waitcnt lgkmcnt(0)
	v_cmp_eq_f64_e32 vcc, 0, v[54:55]
	v_cmp_eq_f64_e64 s[0:1], 0, v[56:57]
	s_and_b64 s[0:1], vcc, s[0:1]
	s_and_saveexec_b64 s[8:9], s[0:1]
	s_xor_b64 s[0:1], exec, s[8:9]
; %bb.150:
	v_cmp_ne_u32_e32 vcc, 0, v67
	v_cndmask_b32_e32 v67, 8, v67, vcc
; %bb.151:
	s_andn2_saveexec_b64 s[0:1], s[0:1]
	s_cbranch_execz .LBB24_157
; %bb.152:
	v_cmp_ngt_f64_e64 s[8:9], |v[54:55]|, |v[56:57]|
	s_and_saveexec_b64 s[20:21], s[8:9]
	s_xor_b64 s[8:9], exec, s[20:21]
	s_cbranch_execz .LBB24_154
; %bb.153:
	v_div_scale_f64 v[68:69], s[20:21], v[56:57], v[56:57], v[54:55]
	v_rcp_f64_e32 v[70:71], v[68:69]
	v_fma_f64 v[72:73], -v[68:69], v[70:71], 1.0
	v_fma_f64 v[70:71], v[70:71], v[72:73], v[70:71]
	v_div_scale_f64 v[72:73], vcc, v[54:55], v[56:57], v[54:55]
	v_fma_f64 v[74:75], -v[68:69], v[70:71], 1.0
	v_fma_f64 v[70:71], v[70:71], v[74:75], v[70:71]
	v_mul_f64 v[74:75], v[72:73], v[70:71]
	v_fma_f64 v[68:69], -v[68:69], v[74:75], v[72:73]
	v_div_fmas_f64 v[68:69], v[68:69], v[70:71], v[74:75]
	v_div_fixup_f64 v[68:69], v[68:69], v[56:57], v[54:55]
	v_fma_f64 v[54:55], v[54:55], v[68:69], v[56:57]
	v_div_scale_f64 v[56:57], s[20:21], v[54:55], v[54:55], 1.0
	v_div_scale_f64 v[74:75], vcc, 1.0, v[54:55], 1.0
	v_rcp_f64_e32 v[70:71], v[56:57]
	v_fma_f64 v[72:73], -v[56:57], v[70:71], 1.0
	v_fma_f64 v[70:71], v[70:71], v[72:73], v[70:71]
	v_fma_f64 v[72:73], -v[56:57], v[70:71], 1.0
	v_fma_f64 v[70:71], v[70:71], v[72:73], v[70:71]
	v_mul_f64 v[72:73], v[74:75], v[70:71]
	v_fma_f64 v[56:57], -v[56:57], v[72:73], v[74:75]
	v_div_fmas_f64 v[56:57], v[56:57], v[70:71], v[72:73]
	v_div_fixup_f64 v[56:57], v[56:57], v[54:55], 1.0
	v_mul_f64 v[54:55], v[68:69], v[56:57]
	v_xor_b32_e32 v57, 0x80000000, v57
.LBB24_154:
	s_andn2_saveexec_b64 s[8:9], s[8:9]
	s_cbranch_execz .LBB24_156
; %bb.155:
	v_div_scale_f64 v[68:69], s[20:21], v[54:55], v[54:55], v[56:57]
	v_rcp_f64_e32 v[70:71], v[68:69]
	v_fma_f64 v[72:73], -v[68:69], v[70:71], 1.0
	v_fma_f64 v[70:71], v[70:71], v[72:73], v[70:71]
	v_div_scale_f64 v[72:73], vcc, v[56:57], v[54:55], v[56:57]
	v_fma_f64 v[74:75], -v[68:69], v[70:71], 1.0
	v_fma_f64 v[70:71], v[70:71], v[74:75], v[70:71]
	v_mul_f64 v[74:75], v[72:73], v[70:71]
	v_fma_f64 v[68:69], -v[68:69], v[74:75], v[72:73]
	v_div_fmas_f64 v[68:69], v[68:69], v[70:71], v[74:75]
	v_div_fixup_f64 v[68:69], v[68:69], v[54:55], v[56:57]
	v_fma_f64 v[54:55], v[56:57], v[68:69], v[54:55]
	v_div_scale_f64 v[56:57], s[20:21], v[54:55], v[54:55], 1.0
	v_div_scale_f64 v[74:75], vcc, 1.0, v[54:55], 1.0
	v_rcp_f64_e32 v[70:71], v[56:57]
	v_fma_f64 v[72:73], -v[56:57], v[70:71], 1.0
	v_fma_f64 v[70:71], v[70:71], v[72:73], v[70:71]
	v_fma_f64 v[72:73], -v[56:57], v[70:71], 1.0
	v_fma_f64 v[70:71], v[70:71], v[72:73], v[70:71]
	v_mul_f64 v[72:73], v[74:75], v[70:71]
	v_fma_f64 v[56:57], -v[56:57], v[72:73], v[74:75]
	v_div_fmas_f64 v[56:57], v[56:57], v[70:71], v[72:73]
	v_div_fixup_f64 v[54:55], v[56:57], v[54:55], 1.0
	v_mul_f64 v[56:57], v[68:69], -v[54:55]
.LBB24_156:
	s_or_b64 exec, exec, s[8:9]
.LBB24_157:
	s_or_b64 exec, exec, s[0:1]
	v_cmp_ne_u32_e32 vcc, v64, v62
	s_and_saveexec_b64 s[0:1], vcc
	s_xor_b64 s[0:1], exec, s[0:1]
	s_cbranch_execz .LBB24_163
; %bb.158:
	v_cmp_eq_u32_e32 vcc, 7, v64
	s_and_saveexec_b64 s[8:9], vcc
	s_cbranch_execz .LBB24_162
; %bb.159:
	v_cmp_ne_u32_e32 vcc, 7, v62
	s_xor_b64 s[20:21], s[18:19], -1
	s_and_b64 s[24:25], s[20:21], vcc
	s_and_saveexec_b64 s[20:21], s[24:25]
	s_cbranch_execz .LBB24_161
; %bb.160:
	v_ashrrev_i32_e32 v63, 31, v62
	v_lshlrev_b64 v[63:64], 2, v[62:63]
	v_add_co_u32_e32 v63, vcc, v60, v63
	v_addc_co_u32_e32 v64, vcc, v61, v64, vcc
	global_load_dword v0, v[63:64], off
	global_load_dword v68, v[60:61], off offset:28
	s_waitcnt vmcnt(1)
	global_store_dword v[60:61], v0, off offset:28
	s_waitcnt vmcnt(1)
	global_store_dword v[63:64], v68, off
.LBB24_161:
	s_or_b64 exec, exec, s[20:21]
	v_mov_b32_e32 v64, v62
	v_mov_b32_e32 v0, v62
.LBB24_162:
	s_or_b64 exec, exec, s[8:9]
.LBB24_163:
	s_andn2_saveexec_b64 s[0:1], s[0:1]
	s_cbranch_execz .LBB24_165
; %bb.164:
	v_mov_b32_e32 v64, 7
	ds_write2_b64 v1, v[14:15], v[16:17] offset0:16 offset1:17
	ds_write2_b64 v1, v[10:11], v[12:13] offset0:18 offset1:19
	;; [unrolled: 1-line block ×5, first 2 shown]
.LBB24_165:
	s_or_b64 exec, exec, s[0:1]
	v_cmp_lt_i32_e32 vcc, 7, v64
	s_waitcnt vmcnt(0) lgkmcnt(0)
	s_barrier
	s_and_saveexec_b64 s[0:1], vcc
	s_cbranch_execz .LBB24_167
; %bb.166:
	v_mul_f64 v[62:63], v[54:55], v[20:21]
	v_mul_f64 v[20:21], v[56:57], v[20:21]
	v_fma_f64 v[62:63], v[56:57], v[18:19], v[62:63]
	v_fma_f64 v[18:19], v[54:55], v[18:19], -v[20:21]
	ds_read2_b64 v[54:57], v1 offset0:16 offset1:17
	s_waitcnt lgkmcnt(0)
	v_mul_f64 v[20:21], v[56:57], v[62:63]
	v_fma_f64 v[20:21], v[54:55], v[18:19], -v[20:21]
	v_mul_f64 v[54:55], v[54:55], v[62:63]
	v_add_f64 v[14:15], v[14:15], -v[20:21]
	v_fma_f64 v[54:55], v[56:57], v[18:19], v[54:55]
	v_add_f64 v[16:17], v[16:17], -v[54:55]
	ds_read2_b64 v[54:57], v1 offset0:18 offset1:19
	s_waitcnt lgkmcnt(0)
	v_mul_f64 v[20:21], v[56:57], v[62:63]
	v_fma_f64 v[20:21], v[54:55], v[18:19], -v[20:21]
	v_mul_f64 v[54:55], v[54:55], v[62:63]
	v_add_f64 v[10:11], v[10:11], -v[20:21]
	v_fma_f64 v[54:55], v[56:57], v[18:19], v[54:55]
	v_add_f64 v[12:13], v[12:13], -v[54:55]
	;; [unrolled: 8-line block ×4, first 2 shown]
	ds_read2_b64 v[54:57], v1 offset0:24 offset1:25
	s_waitcnt lgkmcnt(0)
	v_mul_f64 v[20:21], v[56:57], v[62:63]
	v_fma_f64 v[20:21], v[54:55], v[18:19], -v[20:21]
	v_mul_f64 v[54:55], v[54:55], v[62:63]
	v_add_f64 v[50:51], v[50:51], -v[20:21]
	v_fma_f64 v[54:55], v[56:57], v[18:19], v[54:55]
	v_mov_b32_e32 v20, v62
	v_mov_b32_e32 v21, v63
	v_add_f64 v[52:53], v[52:53], -v[54:55]
.LBB24_167:
	s_or_b64 exec, exec, s[0:1]
	v_lshl_add_u32 v54, v64, 4, v1
	s_barrier
	ds_write2_b64 v54, v[14:15], v[16:17] offset1:1
	s_waitcnt lgkmcnt(0)
	s_barrier
	ds_read2_b64 v[54:57], v1 offset0:16 offset1:17
	s_cmp_lt_i32 s22, 10
	v_mov_b32_e32 v62, 8
	s_cbranch_scc1 .LBB24_170
; %bb.168:
	v_add_u32_e32 v63, 0x90, v1
	s_mov_b32 s7, 9
	v_mov_b32_e32 v62, 8
.LBB24_169:                             ; =>This Inner Loop Header: Depth=1
	s_waitcnt lgkmcnt(0)
	v_cmp_gt_f64_e32 vcc, 0, v[56:57]
	v_cmp_gt_f64_e64 s[0:1], 0, v[54:55]
	ds_read2_b64 v[68:71], v63 offset1:1
	v_xor_b32_e32 v73, 0x80000000, v55
	v_xor_b32_e32 v75, 0x80000000, v57
	v_mov_b32_e32 v72, v54
	v_mov_b32_e32 v74, v56
	s_waitcnt lgkmcnt(0)
	v_xor_b32_e32 v77, 0x80000000, v71
	v_cndmask_b32_e32 v75, v57, v75, vcc
	v_cndmask_b32_e64 v73, v55, v73, s[0:1]
	v_cmp_gt_f64_e32 vcc, 0, v[70:71]
	v_cmp_gt_f64_e64 s[0:1], 0, v[68:69]
	v_add_f64 v[72:73], v[72:73], v[74:75]
	v_xor_b32_e32 v75, 0x80000000, v69
	v_mov_b32_e32 v74, v68
	v_mov_b32_e32 v76, v70
	v_add_u32_e32 v63, 16, v63
	v_cndmask_b32_e32 v77, v71, v77, vcc
	v_cndmask_b32_e64 v75, v69, v75, s[0:1]
	v_add_f64 v[74:75], v[74:75], v[76:77]
	v_mov_b32_e32 v76, s7
	s_add_i32 s7, s7, 1
	s_cmp_lg_u32 s22, s7
	v_cmp_lt_f64_e32 vcc, v[72:73], v[74:75]
	v_cndmask_b32_e32 v55, v55, v69, vcc
	v_cndmask_b32_e32 v54, v54, v68, vcc
	;; [unrolled: 1-line block ×5, first 2 shown]
	s_cbranch_scc1 .LBB24_169
.LBB24_170:
	s_waitcnt lgkmcnt(0)
	v_cmp_eq_f64_e32 vcc, 0, v[54:55]
	v_cmp_eq_f64_e64 s[0:1], 0, v[56:57]
	s_and_b64 s[0:1], vcc, s[0:1]
	s_and_saveexec_b64 s[8:9], s[0:1]
	s_xor_b64 s[0:1], exec, s[8:9]
; %bb.171:
	v_cmp_ne_u32_e32 vcc, 0, v67
	v_cndmask_b32_e32 v67, 9, v67, vcc
; %bb.172:
	s_andn2_saveexec_b64 s[0:1], s[0:1]
	s_cbranch_execz .LBB24_178
; %bb.173:
	v_cmp_ngt_f64_e64 s[8:9], |v[54:55]|, |v[56:57]|
	s_and_saveexec_b64 s[20:21], s[8:9]
	s_xor_b64 s[8:9], exec, s[20:21]
	s_cbranch_execz .LBB24_175
; %bb.174:
	v_div_scale_f64 v[68:69], s[20:21], v[56:57], v[56:57], v[54:55]
	v_rcp_f64_e32 v[70:71], v[68:69]
	v_fma_f64 v[72:73], -v[68:69], v[70:71], 1.0
	v_fma_f64 v[70:71], v[70:71], v[72:73], v[70:71]
	v_div_scale_f64 v[72:73], vcc, v[54:55], v[56:57], v[54:55]
	v_fma_f64 v[74:75], -v[68:69], v[70:71], 1.0
	v_fma_f64 v[70:71], v[70:71], v[74:75], v[70:71]
	v_mul_f64 v[74:75], v[72:73], v[70:71]
	v_fma_f64 v[68:69], -v[68:69], v[74:75], v[72:73]
	v_div_fmas_f64 v[68:69], v[68:69], v[70:71], v[74:75]
	v_div_fixup_f64 v[68:69], v[68:69], v[56:57], v[54:55]
	v_fma_f64 v[54:55], v[54:55], v[68:69], v[56:57]
	v_div_scale_f64 v[56:57], s[20:21], v[54:55], v[54:55], 1.0
	v_div_scale_f64 v[74:75], vcc, 1.0, v[54:55], 1.0
	v_rcp_f64_e32 v[70:71], v[56:57]
	v_fma_f64 v[72:73], -v[56:57], v[70:71], 1.0
	v_fma_f64 v[70:71], v[70:71], v[72:73], v[70:71]
	v_fma_f64 v[72:73], -v[56:57], v[70:71], 1.0
	v_fma_f64 v[70:71], v[70:71], v[72:73], v[70:71]
	v_mul_f64 v[72:73], v[74:75], v[70:71]
	v_fma_f64 v[56:57], -v[56:57], v[72:73], v[74:75]
	v_div_fmas_f64 v[56:57], v[56:57], v[70:71], v[72:73]
	v_div_fixup_f64 v[56:57], v[56:57], v[54:55], 1.0
	v_mul_f64 v[54:55], v[68:69], v[56:57]
	v_xor_b32_e32 v57, 0x80000000, v57
.LBB24_175:
	s_andn2_saveexec_b64 s[8:9], s[8:9]
	s_cbranch_execz .LBB24_177
; %bb.176:
	v_div_scale_f64 v[68:69], s[20:21], v[54:55], v[54:55], v[56:57]
	v_rcp_f64_e32 v[70:71], v[68:69]
	v_fma_f64 v[72:73], -v[68:69], v[70:71], 1.0
	v_fma_f64 v[70:71], v[70:71], v[72:73], v[70:71]
	v_div_scale_f64 v[72:73], vcc, v[56:57], v[54:55], v[56:57]
	v_fma_f64 v[74:75], -v[68:69], v[70:71], 1.0
	v_fma_f64 v[70:71], v[70:71], v[74:75], v[70:71]
	v_mul_f64 v[74:75], v[72:73], v[70:71]
	v_fma_f64 v[68:69], -v[68:69], v[74:75], v[72:73]
	v_div_fmas_f64 v[68:69], v[68:69], v[70:71], v[74:75]
	v_div_fixup_f64 v[68:69], v[68:69], v[54:55], v[56:57]
	v_fma_f64 v[54:55], v[56:57], v[68:69], v[54:55]
	v_div_scale_f64 v[56:57], s[20:21], v[54:55], v[54:55], 1.0
	v_div_scale_f64 v[74:75], vcc, 1.0, v[54:55], 1.0
	v_rcp_f64_e32 v[70:71], v[56:57]
	v_fma_f64 v[72:73], -v[56:57], v[70:71], 1.0
	v_fma_f64 v[70:71], v[70:71], v[72:73], v[70:71]
	v_fma_f64 v[72:73], -v[56:57], v[70:71], 1.0
	v_fma_f64 v[70:71], v[70:71], v[72:73], v[70:71]
	v_mul_f64 v[72:73], v[74:75], v[70:71]
	v_fma_f64 v[56:57], -v[56:57], v[72:73], v[74:75]
	v_div_fmas_f64 v[56:57], v[56:57], v[70:71], v[72:73]
	v_div_fixup_f64 v[54:55], v[56:57], v[54:55], 1.0
	v_mul_f64 v[56:57], v[68:69], -v[54:55]
.LBB24_177:
	s_or_b64 exec, exec, s[8:9]
.LBB24_178:
	s_or_b64 exec, exec, s[0:1]
	v_cmp_ne_u32_e32 vcc, v64, v62
	s_and_saveexec_b64 s[0:1], vcc
	s_xor_b64 s[0:1], exec, s[0:1]
	s_cbranch_execz .LBB24_184
; %bb.179:
	v_cmp_eq_u32_e32 vcc, 8, v64
	s_and_saveexec_b64 s[8:9], vcc
	s_cbranch_execz .LBB24_183
; %bb.180:
	v_cmp_ne_u32_e32 vcc, 8, v62
	s_xor_b64 s[20:21], s[18:19], -1
	s_and_b64 s[24:25], s[20:21], vcc
	s_and_saveexec_b64 s[20:21], s[24:25]
	s_cbranch_execz .LBB24_182
; %bb.181:
	v_ashrrev_i32_e32 v63, 31, v62
	v_lshlrev_b64 v[63:64], 2, v[62:63]
	v_add_co_u32_e32 v63, vcc, v60, v63
	v_addc_co_u32_e32 v64, vcc, v61, v64, vcc
	global_load_dword v0, v[63:64], off
	global_load_dword v68, v[60:61], off offset:32
	s_waitcnt vmcnt(1)
	global_store_dword v[60:61], v0, off offset:32
	s_waitcnt vmcnt(1)
	global_store_dword v[63:64], v68, off
.LBB24_182:
	s_or_b64 exec, exec, s[20:21]
	v_mov_b32_e32 v64, v62
	v_mov_b32_e32 v0, v62
.LBB24_183:
	s_or_b64 exec, exec, s[8:9]
.LBB24_184:
	s_andn2_saveexec_b64 s[0:1], s[0:1]
	s_cbranch_execz .LBB24_186
; %bb.185:
	v_mov_b32_e32 v64, 8
	ds_write2_b64 v1, v[10:11], v[12:13] offset0:18 offset1:19
	ds_write2_b64 v1, v[6:7], v[8:9] offset0:20 offset1:21
	;; [unrolled: 1-line block ×4, first 2 shown]
.LBB24_186:
	s_or_b64 exec, exec, s[0:1]
	v_cmp_lt_i32_e32 vcc, 8, v64
	s_waitcnt vmcnt(0) lgkmcnt(0)
	s_barrier
	s_and_saveexec_b64 s[0:1], vcc
	s_cbranch_execz .LBB24_188
; %bb.187:
	v_mul_f64 v[62:63], v[54:55], v[16:17]
	v_mul_f64 v[16:17], v[56:57], v[16:17]
	v_fma_f64 v[62:63], v[56:57], v[14:15], v[62:63]
	v_fma_f64 v[14:15], v[54:55], v[14:15], -v[16:17]
	ds_read2_b64 v[54:57], v1 offset0:18 offset1:19
	s_waitcnt lgkmcnt(0)
	v_mul_f64 v[16:17], v[56:57], v[62:63]
	v_fma_f64 v[16:17], v[54:55], v[14:15], -v[16:17]
	v_mul_f64 v[54:55], v[54:55], v[62:63]
	v_add_f64 v[10:11], v[10:11], -v[16:17]
	v_fma_f64 v[54:55], v[56:57], v[14:15], v[54:55]
	v_add_f64 v[12:13], v[12:13], -v[54:55]
	ds_read2_b64 v[54:57], v1 offset0:20 offset1:21
	s_waitcnt lgkmcnt(0)
	v_mul_f64 v[16:17], v[56:57], v[62:63]
	v_fma_f64 v[16:17], v[54:55], v[14:15], -v[16:17]
	v_mul_f64 v[54:55], v[54:55], v[62:63]
	v_add_f64 v[6:7], v[6:7], -v[16:17]
	v_fma_f64 v[54:55], v[56:57], v[14:15], v[54:55]
	v_add_f64 v[8:9], v[8:9], -v[54:55]
	;; [unrolled: 8-line block ×3, first 2 shown]
	ds_read2_b64 v[54:57], v1 offset0:24 offset1:25
	s_waitcnt lgkmcnt(0)
	v_mul_f64 v[16:17], v[56:57], v[62:63]
	v_fma_f64 v[16:17], v[54:55], v[14:15], -v[16:17]
	v_mul_f64 v[54:55], v[54:55], v[62:63]
	v_add_f64 v[50:51], v[50:51], -v[16:17]
	v_fma_f64 v[54:55], v[56:57], v[14:15], v[54:55]
	v_mov_b32_e32 v16, v62
	v_mov_b32_e32 v17, v63
	v_add_f64 v[52:53], v[52:53], -v[54:55]
.LBB24_188:
	s_or_b64 exec, exec, s[0:1]
	v_lshl_add_u32 v54, v64, 4, v1
	s_barrier
	ds_write2_b64 v54, v[10:11], v[12:13] offset1:1
	s_waitcnt lgkmcnt(0)
	s_barrier
	ds_read2_b64 v[54:57], v1 offset0:18 offset1:19
	s_cmp_lt_i32 s22, 11
	v_mov_b32_e32 v62, 9
	s_cbranch_scc1 .LBB24_191
; %bb.189:
	v_add_u32_e32 v63, 0xa0, v1
	s_mov_b32 s7, 10
	v_mov_b32_e32 v62, 9
.LBB24_190:                             ; =>This Inner Loop Header: Depth=1
	s_waitcnt lgkmcnt(0)
	v_cmp_gt_f64_e32 vcc, 0, v[56:57]
	v_cmp_gt_f64_e64 s[0:1], 0, v[54:55]
	ds_read2_b64 v[68:71], v63 offset1:1
	v_xor_b32_e32 v73, 0x80000000, v55
	v_xor_b32_e32 v75, 0x80000000, v57
	v_mov_b32_e32 v72, v54
	v_mov_b32_e32 v74, v56
	s_waitcnt lgkmcnt(0)
	v_xor_b32_e32 v77, 0x80000000, v71
	v_cndmask_b32_e32 v75, v57, v75, vcc
	v_cndmask_b32_e64 v73, v55, v73, s[0:1]
	v_cmp_gt_f64_e32 vcc, 0, v[70:71]
	v_cmp_gt_f64_e64 s[0:1], 0, v[68:69]
	v_add_f64 v[72:73], v[72:73], v[74:75]
	v_xor_b32_e32 v75, 0x80000000, v69
	v_mov_b32_e32 v74, v68
	v_mov_b32_e32 v76, v70
	v_add_u32_e32 v63, 16, v63
	v_cndmask_b32_e32 v77, v71, v77, vcc
	v_cndmask_b32_e64 v75, v69, v75, s[0:1]
	v_add_f64 v[74:75], v[74:75], v[76:77]
	v_mov_b32_e32 v76, s7
	s_add_i32 s7, s7, 1
	s_cmp_lg_u32 s22, s7
	v_cmp_lt_f64_e32 vcc, v[72:73], v[74:75]
	v_cndmask_b32_e32 v55, v55, v69, vcc
	v_cndmask_b32_e32 v54, v54, v68, vcc
	v_cndmask_b32_e32 v57, v57, v71, vcc
	v_cndmask_b32_e32 v56, v56, v70, vcc
	v_cndmask_b32_e32 v62, v62, v76, vcc
	s_cbranch_scc1 .LBB24_190
.LBB24_191:
	s_waitcnt lgkmcnt(0)
	v_cmp_eq_f64_e32 vcc, 0, v[54:55]
	v_cmp_eq_f64_e64 s[0:1], 0, v[56:57]
	s_and_b64 s[0:1], vcc, s[0:1]
	s_and_saveexec_b64 s[8:9], s[0:1]
	s_xor_b64 s[0:1], exec, s[8:9]
; %bb.192:
	v_cmp_ne_u32_e32 vcc, 0, v67
	v_cndmask_b32_e32 v67, 10, v67, vcc
; %bb.193:
	s_andn2_saveexec_b64 s[0:1], s[0:1]
	s_cbranch_execz .LBB24_199
; %bb.194:
	v_cmp_ngt_f64_e64 s[8:9], |v[54:55]|, |v[56:57]|
	s_and_saveexec_b64 s[20:21], s[8:9]
	s_xor_b64 s[8:9], exec, s[20:21]
	s_cbranch_execz .LBB24_196
; %bb.195:
	v_div_scale_f64 v[68:69], s[20:21], v[56:57], v[56:57], v[54:55]
	v_rcp_f64_e32 v[70:71], v[68:69]
	v_fma_f64 v[72:73], -v[68:69], v[70:71], 1.0
	v_fma_f64 v[70:71], v[70:71], v[72:73], v[70:71]
	v_div_scale_f64 v[72:73], vcc, v[54:55], v[56:57], v[54:55]
	v_fma_f64 v[74:75], -v[68:69], v[70:71], 1.0
	v_fma_f64 v[70:71], v[70:71], v[74:75], v[70:71]
	v_mul_f64 v[74:75], v[72:73], v[70:71]
	v_fma_f64 v[68:69], -v[68:69], v[74:75], v[72:73]
	v_div_fmas_f64 v[68:69], v[68:69], v[70:71], v[74:75]
	v_div_fixup_f64 v[68:69], v[68:69], v[56:57], v[54:55]
	v_fma_f64 v[54:55], v[54:55], v[68:69], v[56:57]
	v_div_scale_f64 v[56:57], s[20:21], v[54:55], v[54:55], 1.0
	v_div_scale_f64 v[74:75], vcc, 1.0, v[54:55], 1.0
	v_rcp_f64_e32 v[70:71], v[56:57]
	v_fma_f64 v[72:73], -v[56:57], v[70:71], 1.0
	v_fma_f64 v[70:71], v[70:71], v[72:73], v[70:71]
	v_fma_f64 v[72:73], -v[56:57], v[70:71], 1.0
	v_fma_f64 v[70:71], v[70:71], v[72:73], v[70:71]
	v_mul_f64 v[72:73], v[74:75], v[70:71]
	v_fma_f64 v[56:57], -v[56:57], v[72:73], v[74:75]
	v_div_fmas_f64 v[56:57], v[56:57], v[70:71], v[72:73]
	v_div_fixup_f64 v[56:57], v[56:57], v[54:55], 1.0
	v_mul_f64 v[54:55], v[68:69], v[56:57]
	v_xor_b32_e32 v57, 0x80000000, v57
.LBB24_196:
	s_andn2_saveexec_b64 s[8:9], s[8:9]
	s_cbranch_execz .LBB24_198
; %bb.197:
	v_div_scale_f64 v[68:69], s[20:21], v[54:55], v[54:55], v[56:57]
	v_rcp_f64_e32 v[70:71], v[68:69]
	v_fma_f64 v[72:73], -v[68:69], v[70:71], 1.0
	v_fma_f64 v[70:71], v[70:71], v[72:73], v[70:71]
	v_div_scale_f64 v[72:73], vcc, v[56:57], v[54:55], v[56:57]
	v_fma_f64 v[74:75], -v[68:69], v[70:71], 1.0
	v_fma_f64 v[70:71], v[70:71], v[74:75], v[70:71]
	v_mul_f64 v[74:75], v[72:73], v[70:71]
	v_fma_f64 v[68:69], -v[68:69], v[74:75], v[72:73]
	v_div_fmas_f64 v[68:69], v[68:69], v[70:71], v[74:75]
	v_div_fixup_f64 v[68:69], v[68:69], v[54:55], v[56:57]
	v_fma_f64 v[54:55], v[56:57], v[68:69], v[54:55]
	v_div_scale_f64 v[56:57], s[20:21], v[54:55], v[54:55], 1.0
	v_div_scale_f64 v[74:75], vcc, 1.0, v[54:55], 1.0
	v_rcp_f64_e32 v[70:71], v[56:57]
	v_fma_f64 v[72:73], -v[56:57], v[70:71], 1.0
	v_fma_f64 v[70:71], v[70:71], v[72:73], v[70:71]
	v_fma_f64 v[72:73], -v[56:57], v[70:71], 1.0
	v_fma_f64 v[70:71], v[70:71], v[72:73], v[70:71]
	v_mul_f64 v[72:73], v[74:75], v[70:71]
	v_fma_f64 v[56:57], -v[56:57], v[72:73], v[74:75]
	v_div_fmas_f64 v[56:57], v[56:57], v[70:71], v[72:73]
	v_div_fixup_f64 v[54:55], v[56:57], v[54:55], 1.0
	v_mul_f64 v[56:57], v[68:69], -v[54:55]
.LBB24_198:
	s_or_b64 exec, exec, s[8:9]
.LBB24_199:
	s_or_b64 exec, exec, s[0:1]
	v_cmp_ne_u32_e32 vcc, v64, v62
	s_and_saveexec_b64 s[0:1], vcc
	s_xor_b64 s[0:1], exec, s[0:1]
	s_cbranch_execz .LBB24_205
; %bb.200:
	v_cmp_eq_u32_e32 vcc, 9, v64
	s_and_saveexec_b64 s[8:9], vcc
	s_cbranch_execz .LBB24_204
; %bb.201:
	v_cmp_ne_u32_e32 vcc, 9, v62
	s_xor_b64 s[20:21], s[18:19], -1
	s_and_b64 s[24:25], s[20:21], vcc
	s_and_saveexec_b64 s[20:21], s[24:25]
	s_cbranch_execz .LBB24_203
; %bb.202:
	v_ashrrev_i32_e32 v63, 31, v62
	v_lshlrev_b64 v[63:64], 2, v[62:63]
	v_add_co_u32_e32 v63, vcc, v60, v63
	v_addc_co_u32_e32 v64, vcc, v61, v64, vcc
	global_load_dword v0, v[63:64], off
	global_load_dword v68, v[60:61], off offset:36
	s_waitcnt vmcnt(1)
	global_store_dword v[60:61], v0, off offset:36
	s_waitcnt vmcnt(1)
	global_store_dword v[63:64], v68, off
.LBB24_203:
	s_or_b64 exec, exec, s[20:21]
	v_mov_b32_e32 v64, v62
	v_mov_b32_e32 v0, v62
.LBB24_204:
	s_or_b64 exec, exec, s[8:9]
.LBB24_205:
	s_andn2_saveexec_b64 s[0:1], s[0:1]
	s_cbranch_execz .LBB24_207
; %bb.206:
	v_mov_b32_e32 v64, 9
	ds_write2_b64 v1, v[6:7], v[8:9] offset0:20 offset1:21
	ds_write2_b64 v1, v[2:3], v[4:5] offset0:22 offset1:23
	;; [unrolled: 1-line block ×3, first 2 shown]
.LBB24_207:
	s_or_b64 exec, exec, s[0:1]
	v_cmp_lt_i32_e32 vcc, 9, v64
	s_waitcnt vmcnt(0) lgkmcnt(0)
	s_barrier
	s_and_saveexec_b64 s[0:1], vcc
	s_cbranch_execz .LBB24_209
; %bb.208:
	v_mul_f64 v[62:63], v[54:55], v[12:13]
	v_mul_f64 v[12:13], v[56:57], v[12:13]
	v_fma_f64 v[62:63], v[56:57], v[10:11], v[62:63]
	v_fma_f64 v[10:11], v[54:55], v[10:11], -v[12:13]
	ds_read2_b64 v[54:57], v1 offset0:20 offset1:21
	s_waitcnt lgkmcnt(0)
	v_mul_f64 v[12:13], v[56:57], v[62:63]
	v_fma_f64 v[12:13], v[54:55], v[10:11], -v[12:13]
	v_mul_f64 v[54:55], v[54:55], v[62:63]
	v_add_f64 v[6:7], v[6:7], -v[12:13]
	v_fma_f64 v[54:55], v[56:57], v[10:11], v[54:55]
	v_add_f64 v[8:9], v[8:9], -v[54:55]
	ds_read2_b64 v[54:57], v1 offset0:22 offset1:23
	s_waitcnt lgkmcnt(0)
	v_mul_f64 v[12:13], v[56:57], v[62:63]
	v_fma_f64 v[12:13], v[54:55], v[10:11], -v[12:13]
	v_mul_f64 v[54:55], v[54:55], v[62:63]
	v_add_f64 v[2:3], v[2:3], -v[12:13]
	v_fma_f64 v[54:55], v[56:57], v[10:11], v[54:55]
	v_add_f64 v[4:5], v[4:5], -v[54:55]
	ds_read2_b64 v[54:57], v1 offset0:24 offset1:25
	s_waitcnt lgkmcnt(0)
	v_mul_f64 v[12:13], v[56:57], v[62:63]
	v_fma_f64 v[12:13], v[54:55], v[10:11], -v[12:13]
	v_mul_f64 v[54:55], v[54:55], v[62:63]
	v_add_f64 v[50:51], v[50:51], -v[12:13]
	v_fma_f64 v[54:55], v[56:57], v[10:11], v[54:55]
	v_mov_b32_e32 v12, v62
	v_mov_b32_e32 v13, v63
	v_add_f64 v[52:53], v[52:53], -v[54:55]
.LBB24_209:
	s_or_b64 exec, exec, s[0:1]
	v_lshl_add_u32 v54, v64, 4, v1
	s_barrier
	ds_write2_b64 v54, v[6:7], v[8:9] offset1:1
	s_waitcnt lgkmcnt(0)
	s_barrier
	ds_read2_b64 v[54:57], v1 offset0:20 offset1:21
	s_cmp_lt_i32 s22, 12
	v_mov_b32_e32 v62, 10
	s_cbranch_scc1 .LBB24_212
; %bb.210:
	v_add_u32_e32 v63, 0xb0, v1
	s_mov_b32 s7, 11
	v_mov_b32_e32 v62, 10
.LBB24_211:                             ; =>This Inner Loop Header: Depth=1
	s_waitcnt lgkmcnt(0)
	v_cmp_gt_f64_e32 vcc, 0, v[56:57]
	v_cmp_gt_f64_e64 s[0:1], 0, v[54:55]
	ds_read2_b64 v[68:71], v63 offset1:1
	v_xor_b32_e32 v73, 0x80000000, v55
	v_xor_b32_e32 v75, 0x80000000, v57
	v_mov_b32_e32 v72, v54
	v_mov_b32_e32 v74, v56
	s_waitcnt lgkmcnt(0)
	v_xor_b32_e32 v77, 0x80000000, v71
	v_cndmask_b32_e32 v75, v57, v75, vcc
	v_cndmask_b32_e64 v73, v55, v73, s[0:1]
	v_cmp_gt_f64_e32 vcc, 0, v[70:71]
	v_cmp_gt_f64_e64 s[0:1], 0, v[68:69]
	v_add_f64 v[72:73], v[72:73], v[74:75]
	v_xor_b32_e32 v75, 0x80000000, v69
	v_mov_b32_e32 v74, v68
	v_mov_b32_e32 v76, v70
	v_add_u32_e32 v63, 16, v63
	v_cndmask_b32_e32 v77, v71, v77, vcc
	v_cndmask_b32_e64 v75, v69, v75, s[0:1]
	v_add_f64 v[74:75], v[74:75], v[76:77]
	v_mov_b32_e32 v76, s7
	s_add_i32 s7, s7, 1
	s_cmp_lg_u32 s22, s7
	v_cmp_lt_f64_e32 vcc, v[72:73], v[74:75]
	v_cndmask_b32_e32 v55, v55, v69, vcc
	v_cndmask_b32_e32 v54, v54, v68, vcc
	;; [unrolled: 1-line block ×5, first 2 shown]
	s_cbranch_scc1 .LBB24_211
.LBB24_212:
	s_waitcnt lgkmcnt(0)
	v_cmp_eq_f64_e32 vcc, 0, v[54:55]
	v_cmp_eq_f64_e64 s[0:1], 0, v[56:57]
	s_and_b64 s[0:1], vcc, s[0:1]
	s_and_saveexec_b64 s[8:9], s[0:1]
	s_xor_b64 s[0:1], exec, s[8:9]
; %bb.213:
	v_cmp_ne_u32_e32 vcc, 0, v67
	v_cndmask_b32_e32 v67, 11, v67, vcc
; %bb.214:
	s_andn2_saveexec_b64 s[0:1], s[0:1]
	s_cbranch_execz .LBB24_220
; %bb.215:
	v_cmp_ngt_f64_e64 s[8:9], |v[54:55]|, |v[56:57]|
	s_and_saveexec_b64 s[20:21], s[8:9]
	s_xor_b64 s[8:9], exec, s[20:21]
	s_cbranch_execz .LBB24_217
; %bb.216:
	v_div_scale_f64 v[68:69], s[20:21], v[56:57], v[56:57], v[54:55]
	v_rcp_f64_e32 v[70:71], v[68:69]
	v_fma_f64 v[72:73], -v[68:69], v[70:71], 1.0
	v_fma_f64 v[70:71], v[70:71], v[72:73], v[70:71]
	v_div_scale_f64 v[72:73], vcc, v[54:55], v[56:57], v[54:55]
	v_fma_f64 v[74:75], -v[68:69], v[70:71], 1.0
	v_fma_f64 v[70:71], v[70:71], v[74:75], v[70:71]
	v_mul_f64 v[74:75], v[72:73], v[70:71]
	v_fma_f64 v[68:69], -v[68:69], v[74:75], v[72:73]
	v_div_fmas_f64 v[68:69], v[68:69], v[70:71], v[74:75]
	v_div_fixup_f64 v[68:69], v[68:69], v[56:57], v[54:55]
	v_fma_f64 v[54:55], v[54:55], v[68:69], v[56:57]
	v_div_scale_f64 v[56:57], s[20:21], v[54:55], v[54:55], 1.0
	v_div_scale_f64 v[74:75], vcc, 1.0, v[54:55], 1.0
	v_rcp_f64_e32 v[70:71], v[56:57]
	v_fma_f64 v[72:73], -v[56:57], v[70:71], 1.0
	v_fma_f64 v[70:71], v[70:71], v[72:73], v[70:71]
	v_fma_f64 v[72:73], -v[56:57], v[70:71], 1.0
	v_fma_f64 v[70:71], v[70:71], v[72:73], v[70:71]
	v_mul_f64 v[72:73], v[74:75], v[70:71]
	v_fma_f64 v[56:57], -v[56:57], v[72:73], v[74:75]
	v_div_fmas_f64 v[56:57], v[56:57], v[70:71], v[72:73]
	v_div_fixup_f64 v[56:57], v[56:57], v[54:55], 1.0
	v_mul_f64 v[54:55], v[68:69], v[56:57]
	v_xor_b32_e32 v57, 0x80000000, v57
.LBB24_217:
	s_andn2_saveexec_b64 s[8:9], s[8:9]
	s_cbranch_execz .LBB24_219
; %bb.218:
	v_div_scale_f64 v[68:69], s[20:21], v[54:55], v[54:55], v[56:57]
	v_rcp_f64_e32 v[70:71], v[68:69]
	v_fma_f64 v[72:73], -v[68:69], v[70:71], 1.0
	v_fma_f64 v[70:71], v[70:71], v[72:73], v[70:71]
	v_div_scale_f64 v[72:73], vcc, v[56:57], v[54:55], v[56:57]
	v_fma_f64 v[74:75], -v[68:69], v[70:71], 1.0
	v_fma_f64 v[70:71], v[70:71], v[74:75], v[70:71]
	v_mul_f64 v[74:75], v[72:73], v[70:71]
	v_fma_f64 v[68:69], -v[68:69], v[74:75], v[72:73]
	v_div_fmas_f64 v[68:69], v[68:69], v[70:71], v[74:75]
	v_div_fixup_f64 v[68:69], v[68:69], v[54:55], v[56:57]
	v_fma_f64 v[54:55], v[56:57], v[68:69], v[54:55]
	v_div_scale_f64 v[56:57], s[20:21], v[54:55], v[54:55], 1.0
	v_div_scale_f64 v[74:75], vcc, 1.0, v[54:55], 1.0
	v_rcp_f64_e32 v[70:71], v[56:57]
	v_fma_f64 v[72:73], -v[56:57], v[70:71], 1.0
	v_fma_f64 v[70:71], v[70:71], v[72:73], v[70:71]
	v_fma_f64 v[72:73], -v[56:57], v[70:71], 1.0
	v_fma_f64 v[70:71], v[70:71], v[72:73], v[70:71]
	v_mul_f64 v[72:73], v[74:75], v[70:71]
	v_fma_f64 v[56:57], -v[56:57], v[72:73], v[74:75]
	v_div_fmas_f64 v[56:57], v[56:57], v[70:71], v[72:73]
	v_div_fixup_f64 v[54:55], v[56:57], v[54:55], 1.0
	v_mul_f64 v[56:57], v[68:69], -v[54:55]
.LBB24_219:
	s_or_b64 exec, exec, s[8:9]
.LBB24_220:
	s_or_b64 exec, exec, s[0:1]
	v_cmp_ne_u32_e32 vcc, v64, v62
	s_and_saveexec_b64 s[0:1], vcc
	s_xor_b64 s[0:1], exec, s[0:1]
	s_cbranch_execz .LBB24_226
; %bb.221:
	v_cmp_eq_u32_e32 vcc, 10, v64
	s_and_saveexec_b64 s[8:9], vcc
	s_cbranch_execz .LBB24_225
; %bb.222:
	v_cmp_ne_u32_e32 vcc, 10, v62
	s_xor_b64 s[20:21], s[18:19], -1
	s_and_b64 s[24:25], s[20:21], vcc
	s_and_saveexec_b64 s[20:21], s[24:25]
	s_cbranch_execz .LBB24_224
; %bb.223:
	v_ashrrev_i32_e32 v63, 31, v62
	v_lshlrev_b64 v[63:64], 2, v[62:63]
	v_add_co_u32_e32 v63, vcc, v60, v63
	v_addc_co_u32_e32 v64, vcc, v61, v64, vcc
	global_load_dword v0, v[63:64], off
	global_load_dword v68, v[60:61], off offset:40
	s_waitcnt vmcnt(1)
	global_store_dword v[60:61], v0, off offset:40
	s_waitcnt vmcnt(1)
	global_store_dword v[63:64], v68, off
.LBB24_224:
	s_or_b64 exec, exec, s[20:21]
	v_mov_b32_e32 v64, v62
	v_mov_b32_e32 v0, v62
.LBB24_225:
	s_or_b64 exec, exec, s[8:9]
.LBB24_226:
	s_andn2_saveexec_b64 s[0:1], s[0:1]
	s_cbranch_execz .LBB24_228
; %bb.227:
	v_mov_b32_e32 v64, 10
	ds_write2_b64 v1, v[2:3], v[4:5] offset0:22 offset1:23
	ds_write2_b64 v1, v[50:51], v[52:53] offset0:24 offset1:25
.LBB24_228:
	s_or_b64 exec, exec, s[0:1]
	v_cmp_lt_i32_e32 vcc, 10, v64
	s_waitcnt vmcnt(0) lgkmcnt(0)
	s_barrier
	s_and_saveexec_b64 s[0:1], vcc
	s_cbranch_execz .LBB24_230
; %bb.229:
	v_mul_f64 v[62:63], v[54:55], v[8:9]
	v_mul_f64 v[8:9], v[56:57], v[8:9]
	ds_read2_b64 v[68:71], v1 offset0:22 offset1:23
	ds_read2_b64 v[72:75], v1 offset0:24 offset1:25
	v_fma_f64 v[56:57], v[56:57], v[6:7], v[62:63]
	v_fma_f64 v[6:7], v[54:55], v[6:7], -v[8:9]
	s_waitcnt lgkmcnt(1)
	v_mul_f64 v[8:9], v[70:71], v[56:57]
	v_mul_f64 v[54:55], v[68:69], v[56:57]
	s_waitcnt lgkmcnt(0)
	v_mul_f64 v[62:63], v[74:75], v[56:57]
	v_mul_f64 v[76:77], v[72:73], v[56:57]
	v_fma_f64 v[8:9], v[68:69], v[6:7], -v[8:9]
	v_fma_f64 v[54:55], v[70:71], v[6:7], v[54:55]
	v_fma_f64 v[62:63], v[72:73], v[6:7], -v[62:63]
	v_fma_f64 v[68:69], v[74:75], v[6:7], v[76:77]
	v_add_f64 v[2:3], v[2:3], -v[8:9]
	v_add_f64 v[4:5], v[4:5], -v[54:55]
	;; [unrolled: 1-line block ×4, first 2 shown]
	v_mov_b32_e32 v8, v56
	v_mov_b32_e32 v9, v57
.LBB24_230:
	s_or_b64 exec, exec, s[0:1]
	v_lshl_add_u32 v54, v64, 4, v1
	s_barrier
	ds_write2_b64 v54, v[2:3], v[4:5] offset1:1
	s_waitcnt lgkmcnt(0)
	s_barrier
	ds_read2_b64 v[54:57], v1 offset0:22 offset1:23
	s_cmp_lt_i32 s22, 13
	v_mov_b32_e32 v62, 11
	s_cbranch_scc1 .LBB24_233
; %bb.231:
	v_add_u32_e32 v63, 0xc0, v1
	s_mov_b32 s7, 12
	v_mov_b32_e32 v62, 11
.LBB24_232:                             ; =>This Inner Loop Header: Depth=1
	s_waitcnt lgkmcnt(0)
	v_cmp_gt_f64_e32 vcc, 0, v[56:57]
	v_cmp_gt_f64_e64 s[0:1], 0, v[54:55]
	ds_read2_b64 v[68:71], v63 offset1:1
	v_xor_b32_e32 v73, 0x80000000, v55
	v_xor_b32_e32 v75, 0x80000000, v57
	v_mov_b32_e32 v72, v54
	v_mov_b32_e32 v74, v56
	s_waitcnt lgkmcnt(0)
	v_xor_b32_e32 v77, 0x80000000, v71
	v_cndmask_b32_e32 v75, v57, v75, vcc
	v_cndmask_b32_e64 v73, v55, v73, s[0:1]
	v_cmp_gt_f64_e32 vcc, 0, v[70:71]
	v_cmp_gt_f64_e64 s[0:1], 0, v[68:69]
	v_add_f64 v[72:73], v[72:73], v[74:75]
	v_xor_b32_e32 v75, 0x80000000, v69
	v_mov_b32_e32 v74, v68
	v_mov_b32_e32 v76, v70
	v_add_u32_e32 v63, 16, v63
	v_cndmask_b32_e32 v77, v71, v77, vcc
	v_cndmask_b32_e64 v75, v69, v75, s[0:1]
	v_add_f64 v[74:75], v[74:75], v[76:77]
	v_mov_b32_e32 v76, s7
	s_add_i32 s7, s7, 1
	s_cmp_lg_u32 s22, s7
	v_cmp_lt_f64_e32 vcc, v[72:73], v[74:75]
	v_cndmask_b32_e32 v55, v55, v69, vcc
	v_cndmask_b32_e32 v54, v54, v68, vcc
	;; [unrolled: 1-line block ×5, first 2 shown]
	s_cbranch_scc1 .LBB24_232
.LBB24_233:
	s_waitcnt lgkmcnt(0)
	v_cmp_eq_f64_e32 vcc, 0, v[54:55]
	v_cmp_eq_f64_e64 s[0:1], 0, v[56:57]
	s_and_b64 s[0:1], vcc, s[0:1]
	s_and_saveexec_b64 s[8:9], s[0:1]
	s_xor_b64 s[0:1], exec, s[8:9]
; %bb.234:
	v_cmp_ne_u32_e32 vcc, 0, v67
	v_cndmask_b32_e32 v67, 12, v67, vcc
; %bb.235:
	s_andn2_saveexec_b64 s[0:1], s[0:1]
	s_cbranch_execz .LBB24_241
; %bb.236:
	v_cmp_ngt_f64_e64 s[8:9], |v[54:55]|, |v[56:57]|
	s_and_saveexec_b64 s[20:21], s[8:9]
	s_xor_b64 s[8:9], exec, s[20:21]
	s_cbranch_execz .LBB24_238
; %bb.237:
	v_div_scale_f64 v[68:69], s[20:21], v[56:57], v[56:57], v[54:55]
	v_rcp_f64_e32 v[70:71], v[68:69]
	v_fma_f64 v[72:73], -v[68:69], v[70:71], 1.0
	v_fma_f64 v[70:71], v[70:71], v[72:73], v[70:71]
	v_div_scale_f64 v[72:73], vcc, v[54:55], v[56:57], v[54:55]
	v_fma_f64 v[74:75], -v[68:69], v[70:71], 1.0
	v_fma_f64 v[70:71], v[70:71], v[74:75], v[70:71]
	v_mul_f64 v[74:75], v[72:73], v[70:71]
	v_fma_f64 v[68:69], -v[68:69], v[74:75], v[72:73]
	v_div_fmas_f64 v[68:69], v[68:69], v[70:71], v[74:75]
	v_div_fixup_f64 v[68:69], v[68:69], v[56:57], v[54:55]
	v_fma_f64 v[54:55], v[54:55], v[68:69], v[56:57]
	v_div_scale_f64 v[56:57], s[20:21], v[54:55], v[54:55], 1.0
	v_div_scale_f64 v[74:75], vcc, 1.0, v[54:55], 1.0
	v_rcp_f64_e32 v[70:71], v[56:57]
	v_fma_f64 v[72:73], -v[56:57], v[70:71], 1.0
	v_fma_f64 v[70:71], v[70:71], v[72:73], v[70:71]
	v_fma_f64 v[72:73], -v[56:57], v[70:71], 1.0
	v_fma_f64 v[70:71], v[70:71], v[72:73], v[70:71]
	v_mul_f64 v[72:73], v[74:75], v[70:71]
	v_fma_f64 v[56:57], -v[56:57], v[72:73], v[74:75]
	v_div_fmas_f64 v[56:57], v[56:57], v[70:71], v[72:73]
	v_div_fixup_f64 v[56:57], v[56:57], v[54:55], 1.0
	v_mul_f64 v[54:55], v[68:69], v[56:57]
	v_xor_b32_e32 v57, 0x80000000, v57
.LBB24_238:
	s_andn2_saveexec_b64 s[8:9], s[8:9]
	s_cbranch_execz .LBB24_240
; %bb.239:
	v_div_scale_f64 v[68:69], s[20:21], v[54:55], v[54:55], v[56:57]
	v_rcp_f64_e32 v[70:71], v[68:69]
	v_fma_f64 v[72:73], -v[68:69], v[70:71], 1.0
	v_fma_f64 v[70:71], v[70:71], v[72:73], v[70:71]
	v_div_scale_f64 v[72:73], vcc, v[56:57], v[54:55], v[56:57]
	v_fma_f64 v[74:75], -v[68:69], v[70:71], 1.0
	v_fma_f64 v[70:71], v[70:71], v[74:75], v[70:71]
	v_mul_f64 v[74:75], v[72:73], v[70:71]
	v_fma_f64 v[68:69], -v[68:69], v[74:75], v[72:73]
	v_div_fmas_f64 v[68:69], v[68:69], v[70:71], v[74:75]
	v_div_fixup_f64 v[68:69], v[68:69], v[54:55], v[56:57]
	v_fma_f64 v[54:55], v[56:57], v[68:69], v[54:55]
	v_div_scale_f64 v[56:57], s[20:21], v[54:55], v[54:55], 1.0
	v_div_scale_f64 v[74:75], vcc, 1.0, v[54:55], 1.0
	v_rcp_f64_e32 v[70:71], v[56:57]
	v_fma_f64 v[72:73], -v[56:57], v[70:71], 1.0
	v_fma_f64 v[70:71], v[70:71], v[72:73], v[70:71]
	v_fma_f64 v[72:73], -v[56:57], v[70:71], 1.0
	v_fma_f64 v[70:71], v[70:71], v[72:73], v[70:71]
	v_mul_f64 v[72:73], v[74:75], v[70:71]
	v_fma_f64 v[56:57], -v[56:57], v[72:73], v[74:75]
	v_div_fmas_f64 v[56:57], v[56:57], v[70:71], v[72:73]
	v_div_fixup_f64 v[54:55], v[56:57], v[54:55], 1.0
	v_mul_f64 v[56:57], v[68:69], -v[54:55]
.LBB24_240:
	s_or_b64 exec, exec, s[8:9]
.LBB24_241:
	s_or_b64 exec, exec, s[0:1]
	v_cmp_ne_u32_e32 vcc, v64, v62
	s_and_saveexec_b64 s[0:1], vcc
	s_xor_b64 s[0:1], exec, s[0:1]
	s_cbranch_execz .LBB24_247
; %bb.242:
	v_cmp_eq_u32_e32 vcc, 11, v64
	s_and_saveexec_b64 s[8:9], vcc
	s_cbranch_execz .LBB24_246
; %bb.243:
	v_cmp_ne_u32_e32 vcc, 11, v62
	s_xor_b64 s[20:21], s[18:19], -1
	s_and_b64 s[24:25], s[20:21], vcc
	s_and_saveexec_b64 s[20:21], s[24:25]
	s_cbranch_execz .LBB24_245
; %bb.244:
	v_ashrrev_i32_e32 v63, 31, v62
	v_lshlrev_b64 v[63:64], 2, v[62:63]
	v_add_co_u32_e32 v63, vcc, v60, v63
	v_addc_co_u32_e32 v64, vcc, v61, v64, vcc
	global_load_dword v0, v[63:64], off
	global_load_dword v68, v[60:61], off offset:44
	s_waitcnt vmcnt(1)
	global_store_dword v[60:61], v0, off offset:44
	s_waitcnt vmcnt(1)
	global_store_dword v[63:64], v68, off
.LBB24_245:
	s_or_b64 exec, exec, s[20:21]
	v_mov_b32_e32 v64, v62
	v_mov_b32_e32 v0, v62
.LBB24_246:
	s_or_b64 exec, exec, s[8:9]
.LBB24_247:
	s_andn2_saveexec_b64 s[0:1], s[0:1]
; %bb.248:
	v_mov_b32_e32 v64, 11
	ds_write2_b64 v1, v[50:51], v[52:53] offset0:24 offset1:25
; %bb.249:
	s_or_b64 exec, exec, s[0:1]
	v_cmp_lt_i32_e32 vcc, 11, v64
	s_waitcnt vmcnt(0) lgkmcnt(0)
	s_barrier
	s_and_saveexec_b64 s[0:1], vcc
	s_cbranch_execz .LBB24_251
; %bb.250:
	v_mul_f64 v[62:63], v[54:55], v[4:5]
	v_mul_f64 v[4:5], v[56:57], v[4:5]
	ds_read2_b64 v[68:71], v1 offset0:24 offset1:25
	v_fma_f64 v[56:57], v[56:57], v[2:3], v[62:63]
	v_fma_f64 v[2:3], v[54:55], v[2:3], -v[4:5]
	s_waitcnt lgkmcnt(0)
	v_mul_f64 v[4:5], v[70:71], v[56:57]
	v_mul_f64 v[54:55], v[68:69], v[56:57]
	v_fma_f64 v[4:5], v[68:69], v[2:3], -v[4:5]
	v_fma_f64 v[54:55], v[70:71], v[2:3], v[54:55]
	v_add_f64 v[50:51], v[50:51], -v[4:5]
	v_add_f64 v[52:53], v[52:53], -v[54:55]
	v_mov_b32_e32 v4, v56
	v_mov_b32_e32 v5, v57
.LBB24_251:
	s_or_b64 exec, exec, s[0:1]
	v_lshl_add_u32 v54, v64, 4, v1
	s_barrier
	ds_write2_b64 v54, v[50:51], v[52:53] offset1:1
	s_waitcnt lgkmcnt(0)
	s_barrier
	ds_read2_b64 v[54:57], v1 offset0:24 offset1:25
	s_cmp_lt_i32 s22, 14
	v_mov_b32_e32 v62, 12
	s_cbranch_scc1 .LBB24_254
; %bb.252:
	v_add_u32_e32 v1, 0xd0, v1
	s_mov_b32 s7, 13
	v_mov_b32_e32 v62, 12
.LBB24_253:                             ; =>This Inner Loop Header: Depth=1
	s_waitcnt lgkmcnt(0)
	v_cmp_gt_f64_e32 vcc, 0, v[56:57]
	v_cmp_gt_f64_e64 s[0:1], 0, v[54:55]
	ds_read2_b64 v[68:71], v1 offset1:1
	v_xor_b32_e32 v63, 0x80000000, v55
	v_xor_b32_e32 v75, 0x80000000, v57
	v_mov_b32_e32 v72, v54
	v_mov_b32_e32 v74, v56
	s_waitcnt lgkmcnt(0)
	v_xor_b32_e32 v77, 0x80000000, v71
	v_cndmask_b32_e32 v75, v57, v75, vcc
	v_cndmask_b32_e64 v73, v55, v63, s[0:1]
	v_cmp_gt_f64_e32 vcc, 0, v[70:71]
	v_cmp_gt_f64_e64 s[0:1], 0, v[68:69]
	v_xor_b32_e32 v63, 0x80000000, v69
	v_add_f64 v[72:73], v[72:73], v[74:75]
	v_mov_b32_e32 v74, v68
	v_mov_b32_e32 v76, v70
	v_add_u32_e32 v1, 16, v1
	v_cndmask_b32_e32 v77, v71, v77, vcc
	v_cndmask_b32_e64 v75, v69, v63, s[0:1]
	v_add_f64 v[74:75], v[74:75], v[76:77]
	v_mov_b32_e32 v63, s7
	s_add_i32 s7, s7, 1
	s_cmp_lg_u32 s22, s7
	v_cmp_lt_f64_e32 vcc, v[72:73], v[74:75]
	v_cndmask_b32_e32 v55, v55, v69, vcc
	v_cndmask_b32_e32 v54, v54, v68, vcc
	;; [unrolled: 1-line block ×5, first 2 shown]
	s_cbranch_scc1 .LBB24_253
.LBB24_254:
	s_waitcnt lgkmcnt(0)
	v_cmp_eq_f64_e32 vcc, 0, v[54:55]
	v_cmp_eq_f64_e64 s[0:1], 0, v[56:57]
	s_and_b64 s[0:1], vcc, s[0:1]
	s_and_saveexec_b64 s[8:9], s[0:1]
	s_xor_b64 s[0:1], exec, s[8:9]
; %bb.255:
	v_cmp_ne_u32_e32 vcc, 0, v67
	v_cndmask_b32_e32 v67, 13, v67, vcc
; %bb.256:
	s_andn2_saveexec_b64 s[0:1], s[0:1]
	s_cbranch_execz .LBB24_262
; %bb.257:
	v_cmp_ngt_f64_e64 s[8:9], |v[54:55]|, |v[56:57]|
	s_and_saveexec_b64 s[20:21], s[8:9]
	s_xor_b64 s[8:9], exec, s[20:21]
	s_cbranch_execz .LBB24_259
; %bb.258:
	v_div_scale_f64 v[68:69], s[20:21], v[56:57], v[56:57], v[54:55]
	v_rcp_f64_e32 v[70:71], v[68:69]
	v_fma_f64 v[72:73], -v[68:69], v[70:71], 1.0
	v_fma_f64 v[70:71], v[70:71], v[72:73], v[70:71]
	v_div_scale_f64 v[72:73], vcc, v[54:55], v[56:57], v[54:55]
	v_fma_f64 v[74:75], -v[68:69], v[70:71], 1.0
	v_fma_f64 v[70:71], v[70:71], v[74:75], v[70:71]
	v_mul_f64 v[74:75], v[72:73], v[70:71]
	v_fma_f64 v[68:69], -v[68:69], v[74:75], v[72:73]
	v_div_fmas_f64 v[68:69], v[68:69], v[70:71], v[74:75]
	v_div_fixup_f64 v[68:69], v[68:69], v[56:57], v[54:55]
	v_fma_f64 v[54:55], v[54:55], v[68:69], v[56:57]
	v_div_scale_f64 v[56:57], s[20:21], v[54:55], v[54:55], 1.0
	v_div_scale_f64 v[74:75], vcc, 1.0, v[54:55], 1.0
	v_rcp_f64_e32 v[70:71], v[56:57]
	v_fma_f64 v[72:73], -v[56:57], v[70:71], 1.0
	v_fma_f64 v[70:71], v[70:71], v[72:73], v[70:71]
	v_fma_f64 v[72:73], -v[56:57], v[70:71], 1.0
	v_fma_f64 v[70:71], v[70:71], v[72:73], v[70:71]
	v_mul_f64 v[72:73], v[74:75], v[70:71]
	v_fma_f64 v[56:57], -v[56:57], v[72:73], v[74:75]
	v_div_fmas_f64 v[56:57], v[56:57], v[70:71], v[72:73]
	v_div_fixup_f64 v[56:57], v[56:57], v[54:55], 1.0
	v_mul_f64 v[54:55], v[68:69], v[56:57]
	v_xor_b32_e32 v57, 0x80000000, v57
.LBB24_259:
	s_andn2_saveexec_b64 s[8:9], s[8:9]
	s_cbranch_execz .LBB24_261
; %bb.260:
	v_div_scale_f64 v[68:69], s[20:21], v[54:55], v[54:55], v[56:57]
	v_rcp_f64_e32 v[70:71], v[68:69]
	v_fma_f64 v[72:73], -v[68:69], v[70:71], 1.0
	v_fma_f64 v[70:71], v[70:71], v[72:73], v[70:71]
	v_div_scale_f64 v[72:73], vcc, v[56:57], v[54:55], v[56:57]
	v_fma_f64 v[74:75], -v[68:69], v[70:71], 1.0
	v_fma_f64 v[70:71], v[70:71], v[74:75], v[70:71]
	v_mul_f64 v[74:75], v[72:73], v[70:71]
	v_fma_f64 v[68:69], -v[68:69], v[74:75], v[72:73]
	v_div_fmas_f64 v[68:69], v[68:69], v[70:71], v[74:75]
	v_div_fixup_f64 v[68:69], v[68:69], v[54:55], v[56:57]
	v_fma_f64 v[54:55], v[56:57], v[68:69], v[54:55]
	v_div_scale_f64 v[56:57], s[20:21], v[54:55], v[54:55], 1.0
	v_div_scale_f64 v[74:75], vcc, 1.0, v[54:55], 1.0
	v_rcp_f64_e32 v[70:71], v[56:57]
	v_fma_f64 v[72:73], -v[56:57], v[70:71], 1.0
	v_fma_f64 v[70:71], v[70:71], v[72:73], v[70:71]
	v_fma_f64 v[72:73], -v[56:57], v[70:71], 1.0
	v_fma_f64 v[70:71], v[70:71], v[72:73], v[70:71]
	v_mul_f64 v[72:73], v[74:75], v[70:71]
	v_fma_f64 v[56:57], -v[56:57], v[72:73], v[74:75]
	v_div_fmas_f64 v[56:57], v[56:57], v[70:71], v[72:73]
	v_div_fixup_f64 v[54:55], v[56:57], v[54:55], 1.0
	v_mul_f64 v[56:57], v[68:69], -v[54:55]
.LBB24_261:
	s_or_b64 exec, exec, s[8:9]
.LBB24_262:
	s_or_b64 exec, exec, s[0:1]
	v_cmp_ne_u32_e32 vcc, v64, v62
	v_mov_b32_e32 v63, 12
	s_and_saveexec_b64 s[0:1], vcc
	s_cbranch_execz .LBB24_268
; %bb.263:
	v_cmp_eq_u32_e32 vcc, 12, v64
	s_and_saveexec_b64 s[8:9], vcc
	s_cbranch_execz .LBB24_267
; %bb.264:
	v_cmp_ne_u32_e32 vcc, 12, v62
	s_xor_b64 s[18:19], s[18:19], -1
	s_and_b64 s[20:21], s[18:19], vcc
	s_and_saveexec_b64 s[18:19], s[20:21]
	s_cbranch_execz .LBB24_266
; %bb.265:
	v_ashrrev_i32_e32 v63, 31, v62
	v_lshlrev_b64 v[0:1], 2, v[62:63]
	v_add_co_u32_e32 v0, vcc, v60, v0
	v_addc_co_u32_e32 v1, vcc, v61, v1, vcc
	global_load_dword v63, v[0:1], off
	global_load_dword v64, v[60:61], off offset:48
	s_waitcnt vmcnt(1)
	global_store_dword v[60:61], v63, off offset:48
	s_waitcnt vmcnt(1)
	global_store_dword v[0:1], v64, off
.LBB24_266:
	s_or_b64 exec, exec, s[18:19]
	v_mov_b32_e32 v64, v62
	v_mov_b32_e32 v0, v62
.LBB24_267:
	s_or_b64 exec, exec, s[8:9]
	v_mov_b32_e32 v63, v64
.LBB24_268:
	s_or_b64 exec, exec, s[0:1]
	v_cmp_gt_i32_e32 vcc, 13, v63
	v_ashrrev_i32_e32 v64, 31, v63
	s_waitcnt vmcnt(0)
	s_barrier
	s_barrier
	s_and_saveexec_b64 s[0:1], vcc
	s_cbranch_execz .LBB24_270
; %bb.269:
	v_mul_lo_u32 v1, s15, v58
	v_mul_lo_u32 v62, s14, v59
	v_mad_u64_u32 v[60:61], s[8:9], s14, v58, 0
	s_lshl_b64 s[8:9], s[12:13], 2
	v_add3_u32 v0, v0, s17, 1
	v_add3_u32 v61, v61, v62, v1
	v_lshlrev_b64 v[60:61], 2, v[60:61]
	v_mov_b32_e32 v1, s11
	v_add_co_u32_e32 v60, vcc, s10, v60
	v_addc_co_u32_e32 v1, vcc, v1, v61, vcc
	v_mov_b32_e32 v61, s9
	v_add_co_u32_e32 v62, vcc, s8, v60
	v_addc_co_u32_e32 v1, vcc, v1, v61, vcc
	v_lshlrev_b64 v[60:61], 2, v[63:64]
	v_add_co_u32_e32 v60, vcc, v62, v60
	v_addc_co_u32_e32 v61, vcc, v1, v61, vcc
	global_store_dword v[60:61], v0, off
.LBB24_270:
	s_or_b64 exec, exec, s[0:1]
	v_cmp_eq_u32_e32 vcc, 0, v63
	s_and_saveexec_b64 s[8:9], vcc
	s_cbranch_execz .LBB24_273
; %bb.271:
	v_lshlrev_b64 v[0:1], 2, v[58:59]
	v_mov_b32_e32 v58, s5
	v_add_co_u32_e32 v0, vcc, s4, v0
	v_addc_co_u32_e32 v1, vcc, v58, v1, vcc
	global_load_dword v58, v[0:1], off
	v_cmp_ne_u32_e64 s[0:1], 0, v67
	s_waitcnt vmcnt(0)
	v_cmp_eq_u32_e32 vcc, 0, v58
	s_and_b64 s[0:1], vcc, s[0:1]
	s_and_b64 exec, exec, s[0:1]
	s_cbranch_execz .LBB24_273
; %bb.272:
	v_add_u32_e32 v58, s17, v67
	global_store_dword v[0:1], v58, off
.LBB24_273:
	s_or_b64 exec, exec, s[8:9]
	v_mul_f64 v[0:1], v[54:55], v[52:53]
	v_mul_f64 v[58:59], v[56:57], v[52:53]
	v_lshlrev_b64 v[60:61], 4, v[63:64]
	v_mov_b32_e32 v62, s3
	v_fma_f64 v[0:1], v[56:57], v[50:51], v[0:1]
	v_fma_f64 v[54:55], v[54:55], v[50:51], -v[58:59]
	v_add_co_u32_e32 v56, vcc, v65, v60
	v_addc_co_u32_e32 v57, vcc, v66, v61, vcc
	v_cmp_lt_i32_e32 vcc, 12, v63
	global_store_dwordx4 v[56:57], v[46:49], off
	s_nop 0
	v_cndmask_b32_e32 v49, v53, v1, vcc
	v_cndmask_b32_e32 v48, v52, v0, vcc
	;; [unrolled: 1-line block ×4, first 2 shown]
	v_add_co_u32_e32 v0, vcc, s2, v56
	v_addc_co_u32_e32 v1, vcc, v57, v62, vcc
	global_store_dwordx4 v[0:1], v[42:45], off
	v_add_u32_e32 v0, s16, v63
	v_ashrrev_i32_e32 v1, 31, v0
	v_lshlrev_b64 v[42:43], 4, v[0:1]
	v_add_u32_e32 v0, s6, v0
	v_add_co_u32_e32 v42, vcc, v65, v42
	v_addc_co_u32_e32 v43, vcc, v66, v43, vcc
	v_ashrrev_i32_e32 v1, 31, v0
	global_store_dwordx4 v[42:43], v[38:41], off
	s_nop 0
	v_lshlrev_b64 v[38:39], 4, v[0:1]
	v_add_u32_e32 v0, s6, v0
	v_add_co_u32_e32 v38, vcc, v65, v38
	v_addc_co_u32_e32 v39, vcc, v66, v39, vcc
	v_ashrrev_i32_e32 v1, 31, v0
	global_store_dwordx4 v[38:39], v[34:37], off
	s_nop 0
	;; [unrolled: 7-line block ×9, first 2 shown]
	v_lshlrev_b64 v[6:7], 4, v[0:1]
	v_add_u32_e32 v0, s6, v0
	v_ashrrev_i32_e32 v1, 31, v0
	v_add_co_u32_e32 v6, vcc, v65, v6
	v_lshlrev_b64 v[0:1], 4, v[0:1]
	v_addc_co_u32_e32 v7, vcc, v66, v7, vcc
	v_add_co_u32_e32 v0, vcc, v65, v0
	v_addc_co_u32_e32 v1, vcc, v66, v1, vcc
	global_store_dwordx4 v[6:7], v[2:5], off
	global_store_dwordx4 v[0:1], v[46:49], off
.LBB24_274:
	s_endpgm
	.section	.rodata,"a",@progbits
	.p2align	6, 0x0
	.amdhsa_kernel _ZN9rocsolver6v33100L18getf2_small_kernelILi13E19rocblas_complex_numIdEiiPS3_EEvT1_T3_lS5_lPS5_llPT2_S5_S5_S7_l
		.amdhsa_group_segment_fixed_size 0
		.amdhsa_private_segment_fixed_size 0
		.amdhsa_kernarg_size 352
		.amdhsa_user_sgpr_count 6
		.amdhsa_user_sgpr_private_segment_buffer 1
		.amdhsa_user_sgpr_dispatch_ptr 0
		.amdhsa_user_sgpr_queue_ptr 0
		.amdhsa_user_sgpr_kernarg_segment_ptr 1
		.amdhsa_user_sgpr_dispatch_id 0
		.amdhsa_user_sgpr_flat_scratch_init 0
		.amdhsa_user_sgpr_private_segment_size 0
		.amdhsa_uses_dynamic_stack 0
		.amdhsa_system_sgpr_private_segment_wavefront_offset 0
		.amdhsa_system_sgpr_workgroup_id_x 1
		.amdhsa_system_sgpr_workgroup_id_y 1
		.amdhsa_system_sgpr_workgroup_id_z 0
		.amdhsa_system_sgpr_workgroup_info 0
		.amdhsa_system_vgpr_workitem_id 1
		.amdhsa_next_free_vgpr 80
		.amdhsa_next_free_sgpr 26
		.amdhsa_reserve_vcc 1
		.amdhsa_reserve_flat_scratch 0
		.amdhsa_float_round_mode_32 0
		.amdhsa_float_round_mode_16_64 0
		.amdhsa_float_denorm_mode_32 3
		.amdhsa_float_denorm_mode_16_64 3
		.amdhsa_dx10_clamp 1
		.amdhsa_ieee_mode 1
		.amdhsa_fp16_overflow 0
		.amdhsa_exception_fp_ieee_invalid_op 0
		.amdhsa_exception_fp_denorm_src 0
		.amdhsa_exception_fp_ieee_div_zero 0
		.amdhsa_exception_fp_ieee_overflow 0
		.amdhsa_exception_fp_ieee_underflow 0
		.amdhsa_exception_fp_ieee_inexact 0
		.amdhsa_exception_int_div_zero 0
	.end_amdhsa_kernel
	.section	.text._ZN9rocsolver6v33100L18getf2_small_kernelILi13E19rocblas_complex_numIdEiiPS3_EEvT1_T3_lS5_lPS5_llPT2_S5_S5_S7_l,"axG",@progbits,_ZN9rocsolver6v33100L18getf2_small_kernelILi13E19rocblas_complex_numIdEiiPS3_EEvT1_T3_lS5_lPS5_llPT2_S5_S5_S7_l,comdat
.Lfunc_end24:
	.size	_ZN9rocsolver6v33100L18getf2_small_kernelILi13E19rocblas_complex_numIdEiiPS3_EEvT1_T3_lS5_lPS5_llPT2_S5_S5_S7_l, .Lfunc_end24-_ZN9rocsolver6v33100L18getf2_small_kernelILi13E19rocblas_complex_numIdEiiPS3_EEvT1_T3_lS5_lPS5_llPT2_S5_S5_S7_l
                                        ; -- End function
	.set _ZN9rocsolver6v33100L18getf2_small_kernelILi13E19rocblas_complex_numIdEiiPS3_EEvT1_T3_lS5_lPS5_llPT2_S5_S5_S7_l.num_vgpr, 80
	.set _ZN9rocsolver6v33100L18getf2_small_kernelILi13E19rocblas_complex_numIdEiiPS3_EEvT1_T3_lS5_lPS5_llPT2_S5_S5_S7_l.num_agpr, 0
	.set _ZN9rocsolver6v33100L18getf2_small_kernelILi13E19rocblas_complex_numIdEiiPS3_EEvT1_T3_lS5_lPS5_llPT2_S5_S5_S7_l.numbered_sgpr, 26
	.set _ZN9rocsolver6v33100L18getf2_small_kernelILi13E19rocblas_complex_numIdEiiPS3_EEvT1_T3_lS5_lPS5_llPT2_S5_S5_S7_l.num_named_barrier, 0
	.set _ZN9rocsolver6v33100L18getf2_small_kernelILi13E19rocblas_complex_numIdEiiPS3_EEvT1_T3_lS5_lPS5_llPT2_S5_S5_S7_l.private_seg_size, 0
	.set _ZN9rocsolver6v33100L18getf2_small_kernelILi13E19rocblas_complex_numIdEiiPS3_EEvT1_T3_lS5_lPS5_llPT2_S5_S5_S7_l.uses_vcc, 1
	.set _ZN9rocsolver6v33100L18getf2_small_kernelILi13E19rocblas_complex_numIdEiiPS3_EEvT1_T3_lS5_lPS5_llPT2_S5_S5_S7_l.uses_flat_scratch, 0
	.set _ZN9rocsolver6v33100L18getf2_small_kernelILi13E19rocblas_complex_numIdEiiPS3_EEvT1_T3_lS5_lPS5_llPT2_S5_S5_S7_l.has_dyn_sized_stack, 0
	.set _ZN9rocsolver6v33100L18getf2_small_kernelILi13E19rocblas_complex_numIdEiiPS3_EEvT1_T3_lS5_lPS5_llPT2_S5_S5_S7_l.has_recursion, 0
	.set _ZN9rocsolver6v33100L18getf2_small_kernelILi13E19rocblas_complex_numIdEiiPS3_EEvT1_T3_lS5_lPS5_llPT2_S5_S5_S7_l.has_indirect_call, 0
	.section	.AMDGPU.csdata,"",@progbits
; Kernel info:
; codeLenInByte = 18260
; TotalNumSgprs: 30
; NumVgprs: 80
; ScratchSize: 0
; MemoryBound: 0
; FloatMode: 240
; IeeeMode: 1
; LDSByteSize: 0 bytes/workgroup (compile time only)
; SGPRBlocks: 3
; VGPRBlocks: 19
; NumSGPRsForWavesPerEU: 30
; NumVGPRsForWavesPerEU: 80
; Occupancy: 3
; WaveLimiterHint : 0
; COMPUTE_PGM_RSRC2:SCRATCH_EN: 0
; COMPUTE_PGM_RSRC2:USER_SGPR: 6
; COMPUTE_PGM_RSRC2:TRAP_HANDLER: 0
; COMPUTE_PGM_RSRC2:TGID_X_EN: 1
; COMPUTE_PGM_RSRC2:TGID_Y_EN: 1
; COMPUTE_PGM_RSRC2:TGID_Z_EN: 0
; COMPUTE_PGM_RSRC2:TIDIG_COMP_CNT: 1
	.section	.text._ZN9rocsolver6v33100L23getf2_npvt_small_kernelILi13E19rocblas_complex_numIdEiiPS3_EEvT1_T3_lS5_lPT2_S5_S5_,"axG",@progbits,_ZN9rocsolver6v33100L23getf2_npvt_small_kernelILi13E19rocblas_complex_numIdEiiPS3_EEvT1_T3_lS5_lPT2_S5_S5_,comdat
	.globl	_ZN9rocsolver6v33100L23getf2_npvt_small_kernelILi13E19rocblas_complex_numIdEiiPS3_EEvT1_T3_lS5_lPT2_S5_S5_ ; -- Begin function _ZN9rocsolver6v33100L23getf2_npvt_small_kernelILi13E19rocblas_complex_numIdEiiPS3_EEvT1_T3_lS5_lPT2_S5_S5_
	.p2align	8
	.type	_ZN9rocsolver6v33100L23getf2_npvt_small_kernelILi13E19rocblas_complex_numIdEiiPS3_EEvT1_T3_lS5_lPT2_S5_S5_,@function
_ZN9rocsolver6v33100L23getf2_npvt_small_kernelILi13E19rocblas_complex_numIdEiiPS3_EEvT1_T3_lS5_lPT2_S5_S5_: ; @_ZN9rocsolver6v33100L23getf2_npvt_small_kernelILi13E19rocblas_complex_numIdEiiPS3_EEvT1_T3_lS5_lPT2_S5_S5_
; %bb.0:
	s_mov_b64 s[22:23], s[2:3]
	s_mov_b64 s[20:21], s[0:1]
	s_load_dword s0, s[4:5], 0x44
	s_load_dwordx2 s[12:13], s[4:5], 0x30
	s_add_u32 s20, s20, s8
	s_addc_u32 s21, s21, 0
	s_waitcnt lgkmcnt(0)
	s_lshr_b32 s2, s0, 16
	s_mul_i32 s7, s7, s2
	v_add_u32_e32 v110, s7, v1
	v_cmp_gt_i32_e32 vcc, s12, v110
	s_and_saveexec_b64 s[0:1], vcc
	s_cbranch_execz .LBB25_120
; %bb.1:
	s_load_dwordx4 s[8:11], s[4:5], 0x20
	s_load_dwordx4 s[16:19], s[4:5], 0x8
	v_ashrrev_i32_e32 v111, 31, v110
	s_mulk_i32 s2, 0xd0
	s_waitcnt lgkmcnt(0)
	v_mul_lo_u32 v4, s9, v110
	v_mul_lo_u32 v5, s8, v111
	v_mad_u64_u32 v[2:3], s[0:1], s8, v110, 0
	s_load_dword s0, s[4:5], 0x18
	v_mov_b32_e32 v6, s17
	v_add3_u32 v3, v3, v5, v4
	v_lshlrev_b64 v[2:3], 4, v[2:3]
	s_lshl_b64 s[4:5], s[18:19], 4
	v_add_co_u32_e32 v2, vcc, s16, v2
	v_addc_co_u32_e32 v3, vcc, v6, v3, vcc
	s_waitcnt lgkmcnt(0)
	s_add_i32 s1, s0, s0
	v_mov_b32_e32 v4, s5
	v_add_co_u32_e32 v5, vcc, s4, v2
	v_add_u32_e32 v2, s1, v0
	v_addc_co_u32_e32 v6, vcc, v3, v4, vcc
	v_ashrrev_i32_e32 v3, 31, v2
	v_lshlrev_b64 v[3:4], 4, v[2:3]
	v_add_u32_e32 v2, s0, v2
	v_add_co_u32_e32 v9, vcc, v5, v3
	v_ashrrev_i32_e32 v3, 31, v2
	v_addc_co_u32_e32 v10, vcc, v6, v4, vcc
	v_lshlrev_b64 v[3:4], 4, v[2:3]
	v_add_u32_e32 v2, s0, v2
	v_add_co_u32_e32 v11, vcc, v5, v3
	v_ashrrev_i32_e32 v3, 31, v2
	v_addc_co_u32_e32 v12, vcc, v6, v4, vcc
	;; [unrolled: 5-line block ×9, first 2 shown]
	v_lshlrev_b64 v[3:4], 4, v[2:3]
	v_add_u32_e32 v2, s0, v2
	v_add_co_u32_e32 v18, vcc, v5, v3
	v_ashrrev_i32_e32 v3, 31, v2
	v_lshlrev_b64 v[2:3], 4, v[2:3]
	v_addc_co_u32_e32 v19, vcc, v6, v4, vcc
	v_add_co_u32_e32 v20, vcc, v5, v2
	v_addc_co_u32_e32 v21, vcc, v6, v3, vcc
	v_lshlrev_b32_e32 v2, 4, v0
	v_add_co_u32_e32 v106, vcc, v5, v2
	s_ashr_i32 s1, s0, 31
	v_addc_co_u32_e32 v107, vcc, 0, v6, vcc
	s_lshl_b64 s[0:1], s[0:1], 4
	v_mov_b32_e32 v2, s1
	v_add_co_u32_e32 v3, vcc, s0, v106
	v_addc_co_u32_e32 v4, vcc, v107, v2, vcc
	global_load_dwordx4 v[120:123], v[106:107], off
	s_nop 0
	buffer_store_dword v3, off, s[20:23], 0 offset:24 ; 4-byte Folded Spill
	s_nop 0
	buffer_store_dword v4, off, s[20:23], 0 offset:28 ; 4-byte Folded Spill
	s_movk_i32 s0, 0xd0
	s_add_i32 s1, s2, 0
	v_mad_u32_u24 v112, v1, s0, 0
	v_lshl_add_u32 v1, v1, 4, s1
	v_cmp_ne_u32_e64 s[2:3], 0, v0
	v_cmp_eq_u32_e64 s[0:1], 0, v0
	global_load_dwordx4 v[46:49], v[3:4], off
	s_nop 0
	buffer_store_dword v9, off, s[20:23], 0 offset:56 ; 4-byte Folded Spill
	s_nop 0
	buffer_store_dword v10, off, s[20:23], 0 offset:60 ; 4-byte Folded Spill
	global_load_dwordx4 v[42:45], v[9:10], off
	s_nop 0
	buffer_store_dword v11, off, s[20:23], 0 offset:48 ; 4-byte Folded Spill
	s_nop 0
	buffer_store_dword v12, off, s[20:23], 0 offset:52 ; 4-byte Folded Spill
	global_load_dwordx4 v[38:41], v[11:12], off
	global_load_dwordx4 v[34:37], v[113:114], off
	s_nop 0
	buffer_store_dword v13, off, s[20:23], 0 offset:80 ; 4-byte Folded Spill
	s_nop 0
	buffer_store_dword v14, off, s[20:23], 0 offset:84 ; 4-byte Folded Spill
	global_load_dwordx4 v[30:33], v[13:14], off
	s_nop 0
	buffer_store_dword v15, off, s[20:23], 0 offset:72 ; 4-byte Folded Spill
	s_nop 0
	buffer_store_dword v16, off, s[20:23], 0 offset:76 ; 4-byte Folded Spill
	global_load_dwordx4 v[26:29], v[15:16], off
	s_nop 0
	buffer_store_dword v22, off, s[20:23], 0 offset:64 ; 4-byte Folded Spill
	s_nop 0
	buffer_store_dword v23, off, s[20:23], 0 offset:68 ; 4-byte Folded Spill
	global_load_dwordx4 v[22:25], v[22:23], off
	s_nop 0
	global_load_dwordx4 v[14:17], v[125:126], off
	global_load_dwordx4 v[10:13], v[108:109], off
	s_nop 0
	buffer_store_dword v7, off, s[20:23], 0 ; 4-byte Folded Spill
	s_nop 0
	buffer_store_dword v8, off, s[20:23], 0 offset:4 ; 4-byte Folded Spill
	global_load_dwordx4 v[6:9], v[7:8], off
	s_nop 0
	buffer_store_dword v18, off, s[20:23], 0 offset:8 ; 4-byte Folded Spill
	s_nop 0
	buffer_store_dword v19, off, s[20:23], 0 offset:12 ; 4-byte Folded Spill
	global_load_dwordx4 v[2:5], v[18:19], off
	s_nop 0
	buffer_store_dword v20, off, s[20:23], 0 offset:16 ; 4-byte Folded Spill
	s_nop 0
	buffer_store_dword v21, off, s[20:23], 0 offset:20 ; 4-byte Folded Spill
	global_load_dwordx4 v[18:21], v[20:21], off
	s_and_saveexec_b64 s[6:7], s[0:1]
	s_cbranch_execz .LBB25_8
; %bb.2:
	s_waitcnt vmcnt(30)
	ds_write2_b64 v1, v[120:121], v[122:123] offset1:1
	s_waitcnt vmcnt(27)
	ds_write2_b64 v112, v[46:47], v[48:49] offset0:2 offset1:3
	s_waitcnt vmcnt(24)
	ds_write2_b64 v112, v[42:43], v[44:45] offset0:4 offset1:5
	;; [unrolled: 2-line block ×12, first 2 shown]
	ds_read2_b64 v[54:57], v1 offset1:1
	s_waitcnt lgkmcnt(0)
	v_cmp_neq_f64_e32 vcc, 0, v[54:55]
	v_cmp_neq_f64_e64 s[4:5], 0, v[56:57]
	s_or_b64 s[4:5], vcc, s[4:5]
	s_and_b64 exec, exec, s[4:5]
	s_cbranch_execz .LBB25_8
; %bb.3:
	v_cmp_ngt_f64_e64 s[4:5], |v[54:55]|, |v[56:57]|
                                        ; implicit-def: $vgpr58_vgpr59
	s_and_saveexec_b64 s[8:9], s[4:5]
	s_xor_b64 s[4:5], exec, s[8:9]
                                        ; implicit-def: $vgpr60_vgpr61
	s_cbranch_execz .LBB25_5
; %bb.4:
	v_div_scale_f64 v[58:59], s[8:9], v[56:57], v[56:57], v[54:55]
	v_rcp_f64_e32 v[60:61], v[58:59]
	v_fma_f64 v[62:63], -v[58:59], v[60:61], 1.0
	v_fma_f64 v[60:61], v[60:61], v[62:63], v[60:61]
	v_div_scale_f64 v[62:63], vcc, v[54:55], v[56:57], v[54:55]
	v_fma_f64 v[64:65], -v[58:59], v[60:61], 1.0
	v_fma_f64 v[60:61], v[60:61], v[64:65], v[60:61]
	v_mul_f64 v[64:65], v[62:63], v[60:61]
	v_fma_f64 v[58:59], -v[58:59], v[64:65], v[62:63]
	v_div_fmas_f64 v[58:59], v[58:59], v[60:61], v[64:65]
	v_div_fixup_f64 v[58:59], v[58:59], v[56:57], v[54:55]
	v_fma_f64 v[54:55], v[54:55], v[58:59], v[56:57]
	v_div_scale_f64 v[56:57], s[8:9], v[54:55], v[54:55], 1.0
	v_div_scale_f64 v[64:65], vcc, 1.0, v[54:55], 1.0
	v_rcp_f64_e32 v[60:61], v[56:57]
	v_fma_f64 v[62:63], -v[56:57], v[60:61], 1.0
	v_fma_f64 v[60:61], v[60:61], v[62:63], v[60:61]
	v_fma_f64 v[62:63], -v[56:57], v[60:61], 1.0
	v_fma_f64 v[60:61], v[60:61], v[62:63], v[60:61]
	v_mul_f64 v[62:63], v[64:65], v[60:61]
	v_fma_f64 v[56:57], -v[56:57], v[62:63], v[64:65]
	v_div_fmas_f64 v[56:57], v[56:57], v[60:61], v[62:63]
	v_div_fixup_f64 v[60:61], v[56:57], v[54:55], 1.0
                                        ; implicit-def: $vgpr54_vgpr55
	v_mul_f64 v[58:59], v[58:59], v[60:61]
	v_xor_b32_e32 v61, 0x80000000, v61
.LBB25_5:
	s_andn2_saveexec_b64 s[4:5], s[4:5]
	s_cbranch_execz .LBB25_7
; %bb.6:
	v_div_scale_f64 v[58:59], s[8:9], v[54:55], v[54:55], v[56:57]
	v_rcp_f64_e32 v[60:61], v[58:59]
	v_fma_f64 v[62:63], -v[58:59], v[60:61], 1.0
	v_fma_f64 v[60:61], v[60:61], v[62:63], v[60:61]
	v_div_scale_f64 v[62:63], vcc, v[56:57], v[54:55], v[56:57]
	v_fma_f64 v[64:65], -v[58:59], v[60:61], 1.0
	v_fma_f64 v[60:61], v[60:61], v[64:65], v[60:61]
	v_mul_f64 v[64:65], v[62:63], v[60:61]
	v_fma_f64 v[58:59], -v[58:59], v[64:65], v[62:63]
	v_div_fmas_f64 v[58:59], v[58:59], v[60:61], v[64:65]
	v_div_fixup_f64 v[60:61], v[58:59], v[54:55], v[56:57]
	v_fma_f64 v[54:55], v[56:57], v[60:61], v[54:55]
	v_div_scale_f64 v[56:57], s[8:9], v[54:55], v[54:55], 1.0
	v_div_scale_f64 v[64:65], vcc, 1.0, v[54:55], 1.0
	v_rcp_f64_e32 v[58:59], v[56:57]
	v_fma_f64 v[62:63], -v[56:57], v[58:59], 1.0
	v_fma_f64 v[58:59], v[58:59], v[62:63], v[58:59]
	v_fma_f64 v[62:63], -v[56:57], v[58:59], 1.0
	v_fma_f64 v[58:59], v[58:59], v[62:63], v[58:59]
	v_mul_f64 v[62:63], v[64:65], v[58:59]
	v_fma_f64 v[56:57], -v[56:57], v[62:63], v[64:65]
	v_div_fmas_f64 v[56:57], v[56:57], v[58:59], v[62:63]
	v_div_fixup_f64 v[58:59], v[56:57], v[54:55], 1.0
	v_mul_f64 v[60:61], v[60:61], -v[58:59]
.LBB25_7:
	s_or_b64 exec, exec, s[4:5]
	ds_write2_b64 v1, v[58:59], v[60:61] offset1:1
.LBB25_8:
	s_or_b64 exec, exec, s[6:7]
	s_waitcnt vmcnt(0) lgkmcnt(0)
	s_barrier
	ds_read2_b64 v[54:57], v1 offset1:1
	s_waitcnt lgkmcnt(0)
	buffer_store_dword v54, off, s[20:23], 0 offset:32 ; 4-byte Folded Spill
	s_nop 0
	buffer_store_dword v55, off, s[20:23], 0 offset:36 ; 4-byte Folded Spill
	buffer_store_dword v56, off, s[20:23], 0 offset:40 ; 4-byte Folded Spill
	;; [unrolled: 1-line block ×3, first 2 shown]
	s_and_saveexec_b64 s[4:5], s[2:3]
	s_cbranch_execz .LBB25_10
; %bb.9:
	buffer_load_dword v54, off, s[20:23], 0 offset:32 ; 4-byte Folded Reload
	buffer_load_dword v55, off, s[20:23], 0 offset:36 ; 4-byte Folded Reload
	;; [unrolled: 1-line block ×4, first 2 shown]
	ds_read2_b64 v[60:63], v112 offset0:2 offset1:3
	s_waitcnt vmcnt(2)
	v_mul_f64 v[58:59], v[54:55], v[122:123]
	s_waitcnt vmcnt(0)
	v_mul_f64 v[52:53], v[56:57], v[122:123]
	v_fma_f64 v[58:59], v[56:57], v[120:121], v[58:59]
	v_fma_f64 v[120:121], v[54:55], v[120:121], -v[52:53]
	s_waitcnt lgkmcnt(0)
	v_mul_f64 v[52:53], v[62:63], v[58:59]
	v_mov_b32_e32 v123, v59
	v_mov_b32_e32 v122, v58
	v_fma_f64 v[52:53], v[60:61], v[120:121], -v[52:53]
	v_mul_f64 v[60:61], v[60:61], v[58:59]
	v_add_f64 v[46:47], v[46:47], -v[52:53]
	v_fma_f64 v[60:61], v[62:63], v[120:121], v[60:61]
	v_add_f64 v[48:49], v[48:49], -v[60:61]
	ds_read2_b64 v[60:63], v112 offset0:4 offset1:5
	s_waitcnt lgkmcnt(0)
	v_mul_f64 v[52:53], v[62:63], v[58:59]
	v_fma_f64 v[52:53], v[60:61], v[120:121], -v[52:53]
	v_mul_f64 v[60:61], v[60:61], v[58:59]
	v_add_f64 v[42:43], v[42:43], -v[52:53]
	v_fma_f64 v[60:61], v[62:63], v[120:121], v[60:61]
	v_add_f64 v[44:45], v[44:45], -v[60:61]
	ds_read2_b64 v[60:63], v112 offset0:6 offset1:7
	s_waitcnt lgkmcnt(0)
	v_mul_f64 v[52:53], v[62:63], v[58:59]
	;; [unrolled: 8-line block ×11, first 2 shown]
	v_fma_f64 v[52:53], v[60:61], v[120:121], -v[52:53]
	v_mul_f64 v[60:61], v[60:61], v[58:59]
	v_add_f64 v[18:19], v[18:19], -v[52:53]
	v_fma_f64 v[60:61], v[62:63], v[120:121], v[60:61]
	v_add_f64 v[20:21], v[20:21], -v[60:61]
.LBB25_10:
	s_or_b64 exec, exec, s[4:5]
	v_cmp_eq_u32_e32 vcc, 1, v0
	s_waitcnt vmcnt(0)
	s_barrier
	s_and_saveexec_b64 s[4:5], vcc
	s_cbranch_execz .LBB25_17
; %bb.11:
	ds_write2_b64 v1, v[46:47], v[48:49] offset1:1
	ds_write2_b64 v112, v[42:43], v[44:45] offset0:4 offset1:5
	ds_write2_b64 v112, v[38:39], v[40:41] offset0:6 offset1:7
	;; [unrolled: 1-line block ×11, first 2 shown]
	ds_read2_b64 v[58:61], v1 offset1:1
	s_waitcnt lgkmcnt(0)
	v_cmp_neq_f64_e32 vcc, 0, v[58:59]
	v_cmp_neq_f64_e64 s[2:3], 0, v[60:61]
	s_or_b64 s[2:3], vcc, s[2:3]
	s_and_b64 exec, exec, s[2:3]
	s_cbranch_execz .LBB25_17
; %bb.12:
	v_cmp_ngt_f64_e64 s[2:3], |v[58:59]|, |v[60:61]|
                                        ; implicit-def: $vgpr62_vgpr63
	s_and_saveexec_b64 s[6:7], s[2:3]
	s_xor_b64 s[2:3], exec, s[6:7]
                                        ; implicit-def: $vgpr64_vgpr65
	s_cbranch_execz .LBB25_14
; %bb.13:
	v_div_scale_f64 v[62:63], s[6:7], v[60:61], v[60:61], v[58:59]
	v_rcp_f64_e32 v[64:65], v[62:63]
	v_fma_f64 v[66:67], -v[62:63], v[64:65], 1.0
	v_fma_f64 v[64:65], v[64:65], v[66:67], v[64:65]
	v_div_scale_f64 v[66:67], vcc, v[58:59], v[60:61], v[58:59]
	v_fma_f64 v[68:69], -v[62:63], v[64:65], 1.0
	v_fma_f64 v[64:65], v[64:65], v[68:69], v[64:65]
	v_mul_f64 v[68:69], v[66:67], v[64:65]
	v_fma_f64 v[62:63], -v[62:63], v[68:69], v[66:67]
	v_div_fmas_f64 v[62:63], v[62:63], v[64:65], v[68:69]
	v_div_fixup_f64 v[62:63], v[62:63], v[60:61], v[58:59]
	v_fma_f64 v[58:59], v[58:59], v[62:63], v[60:61]
	v_div_scale_f64 v[60:61], s[6:7], v[58:59], v[58:59], 1.0
	v_div_scale_f64 v[68:69], vcc, 1.0, v[58:59], 1.0
	v_rcp_f64_e32 v[64:65], v[60:61]
	v_fma_f64 v[66:67], -v[60:61], v[64:65], 1.0
	v_fma_f64 v[64:65], v[64:65], v[66:67], v[64:65]
	v_fma_f64 v[66:67], -v[60:61], v[64:65], 1.0
	v_fma_f64 v[64:65], v[64:65], v[66:67], v[64:65]
	v_mul_f64 v[66:67], v[68:69], v[64:65]
	v_fma_f64 v[60:61], -v[60:61], v[66:67], v[68:69]
	v_div_fmas_f64 v[60:61], v[60:61], v[64:65], v[66:67]
	v_div_fixup_f64 v[64:65], v[60:61], v[58:59], 1.0
                                        ; implicit-def: $vgpr58_vgpr59
	v_mul_f64 v[62:63], v[62:63], v[64:65]
	v_xor_b32_e32 v65, 0x80000000, v65
.LBB25_14:
	s_andn2_saveexec_b64 s[2:3], s[2:3]
	s_cbranch_execz .LBB25_16
; %bb.15:
	v_div_scale_f64 v[62:63], s[6:7], v[58:59], v[58:59], v[60:61]
	v_rcp_f64_e32 v[64:65], v[62:63]
	v_fma_f64 v[66:67], -v[62:63], v[64:65], 1.0
	v_fma_f64 v[64:65], v[64:65], v[66:67], v[64:65]
	v_div_scale_f64 v[66:67], vcc, v[60:61], v[58:59], v[60:61]
	v_fma_f64 v[68:69], -v[62:63], v[64:65], 1.0
	v_fma_f64 v[64:65], v[64:65], v[68:69], v[64:65]
	v_mul_f64 v[68:69], v[66:67], v[64:65]
	v_fma_f64 v[62:63], -v[62:63], v[68:69], v[66:67]
	v_div_fmas_f64 v[62:63], v[62:63], v[64:65], v[68:69]
	v_div_fixup_f64 v[64:65], v[62:63], v[58:59], v[60:61]
	v_fma_f64 v[58:59], v[60:61], v[64:65], v[58:59]
	v_div_scale_f64 v[60:61], s[6:7], v[58:59], v[58:59], 1.0
	v_div_scale_f64 v[68:69], vcc, 1.0, v[58:59], 1.0
	v_rcp_f64_e32 v[62:63], v[60:61]
	v_fma_f64 v[66:67], -v[60:61], v[62:63], 1.0
	v_fma_f64 v[62:63], v[62:63], v[66:67], v[62:63]
	v_fma_f64 v[66:67], -v[60:61], v[62:63], 1.0
	v_fma_f64 v[62:63], v[62:63], v[66:67], v[62:63]
	v_mul_f64 v[66:67], v[68:69], v[62:63]
	v_fma_f64 v[60:61], -v[60:61], v[66:67], v[68:69]
	v_div_fmas_f64 v[60:61], v[60:61], v[62:63], v[66:67]
	v_div_fixup_f64 v[62:63], v[60:61], v[58:59], 1.0
	v_mul_f64 v[64:65], v[64:65], -v[62:63]
.LBB25_16:
	s_or_b64 exec, exec, s[2:3]
	ds_write2_b64 v1, v[62:63], v[64:65] offset1:1
.LBB25_17:
	s_or_b64 exec, exec, s[4:5]
	s_waitcnt lgkmcnt(0)
	s_barrier
	ds_read2_b64 v[58:61], v1 offset1:1
	v_cmp_lt_u32_e32 vcc, 1, v0
	s_and_saveexec_b64 s[2:3], vcc
	s_cbranch_execz .LBB25_19
; %bb.18:
	s_waitcnt lgkmcnt(0)
	v_mul_f64 v[62:63], v[58:59], v[48:49]
	v_mul_f64 v[48:49], v[60:61], v[48:49]
	ds_read2_b64 v[64:67], v112 offset0:4 offset1:5
	v_fma_f64 v[62:63], v[60:61], v[46:47], v[62:63]
	v_fma_f64 v[46:47], v[58:59], v[46:47], -v[48:49]
	s_waitcnt lgkmcnt(0)
	v_mul_f64 v[48:49], v[66:67], v[62:63]
	v_fma_f64 v[48:49], v[64:65], v[46:47], -v[48:49]
	v_mul_f64 v[64:65], v[64:65], v[62:63]
	v_add_f64 v[42:43], v[42:43], -v[48:49]
	v_fma_f64 v[64:65], v[66:67], v[46:47], v[64:65]
	v_add_f64 v[44:45], v[44:45], -v[64:65]
	ds_read2_b64 v[64:67], v112 offset0:6 offset1:7
	s_waitcnt lgkmcnt(0)
	v_mul_f64 v[48:49], v[66:67], v[62:63]
	v_fma_f64 v[48:49], v[64:65], v[46:47], -v[48:49]
	v_mul_f64 v[64:65], v[64:65], v[62:63]
	v_add_f64 v[38:39], v[38:39], -v[48:49]
	v_fma_f64 v[64:65], v[66:67], v[46:47], v[64:65]
	v_add_f64 v[40:41], v[40:41], -v[64:65]
	ds_read2_b64 v[64:67], v112 offset0:8 offset1:9
	;; [unrolled: 8-line block ×10, first 2 shown]
	s_waitcnt lgkmcnt(0)
	v_mul_f64 v[48:49], v[66:67], v[62:63]
	v_fma_f64 v[48:49], v[64:65], v[46:47], -v[48:49]
	v_mul_f64 v[64:65], v[64:65], v[62:63]
	v_add_f64 v[18:19], v[18:19], -v[48:49]
	v_fma_f64 v[64:65], v[66:67], v[46:47], v[64:65]
	v_mov_b32_e32 v48, v62
	v_mov_b32_e32 v49, v63
	v_add_f64 v[20:21], v[20:21], -v[64:65]
.LBB25_19:
	s_or_b64 exec, exec, s[2:3]
	v_cmp_eq_u32_e32 vcc, 2, v0
	s_waitcnt lgkmcnt(0)
	s_barrier
	s_and_saveexec_b64 s[4:5], vcc
	s_cbranch_execz .LBB25_26
; %bb.20:
	ds_write2_b64 v1, v[42:43], v[44:45] offset1:1
	ds_write2_b64 v112, v[38:39], v[40:41] offset0:6 offset1:7
	ds_write2_b64 v112, v[34:35], v[36:37] offset0:8 offset1:9
	;; [unrolled: 1-line block ×10, first 2 shown]
	ds_read2_b64 v[62:65], v1 offset1:1
	s_waitcnt lgkmcnt(0)
	v_cmp_neq_f64_e32 vcc, 0, v[62:63]
	v_cmp_neq_f64_e64 s[2:3], 0, v[64:65]
	s_or_b64 s[2:3], vcc, s[2:3]
	s_and_b64 exec, exec, s[2:3]
	s_cbranch_execz .LBB25_26
; %bb.21:
	v_cmp_ngt_f64_e64 s[2:3], |v[62:63]|, |v[64:65]|
                                        ; implicit-def: $vgpr66_vgpr67
	s_and_saveexec_b64 s[6:7], s[2:3]
	s_xor_b64 s[2:3], exec, s[6:7]
                                        ; implicit-def: $vgpr68_vgpr69
	s_cbranch_execz .LBB25_23
; %bb.22:
	v_div_scale_f64 v[66:67], s[6:7], v[64:65], v[64:65], v[62:63]
	v_rcp_f64_e32 v[68:69], v[66:67]
	v_fma_f64 v[70:71], -v[66:67], v[68:69], 1.0
	v_fma_f64 v[68:69], v[68:69], v[70:71], v[68:69]
	v_div_scale_f64 v[70:71], vcc, v[62:63], v[64:65], v[62:63]
	v_fma_f64 v[72:73], -v[66:67], v[68:69], 1.0
	v_fma_f64 v[68:69], v[68:69], v[72:73], v[68:69]
	v_mul_f64 v[72:73], v[70:71], v[68:69]
	v_fma_f64 v[66:67], -v[66:67], v[72:73], v[70:71]
	v_div_fmas_f64 v[66:67], v[66:67], v[68:69], v[72:73]
	v_div_fixup_f64 v[66:67], v[66:67], v[64:65], v[62:63]
	v_fma_f64 v[62:63], v[62:63], v[66:67], v[64:65]
	v_div_scale_f64 v[64:65], s[6:7], v[62:63], v[62:63], 1.0
	v_div_scale_f64 v[72:73], vcc, 1.0, v[62:63], 1.0
	v_rcp_f64_e32 v[68:69], v[64:65]
	v_fma_f64 v[70:71], -v[64:65], v[68:69], 1.0
	v_fma_f64 v[68:69], v[68:69], v[70:71], v[68:69]
	v_fma_f64 v[70:71], -v[64:65], v[68:69], 1.0
	v_fma_f64 v[68:69], v[68:69], v[70:71], v[68:69]
	v_mul_f64 v[70:71], v[72:73], v[68:69]
	v_fma_f64 v[64:65], -v[64:65], v[70:71], v[72:73]
	v_div_fmas_f64 v[64:65], v[64:65], v[68:69], v[70:71]
	v_div_fixup_f64 v[68:69], v[64:65], v[62:63], 1.0
                                        ; implicit-def: $vgpr62_vgpr63
	v_mul_f64 v[66:67], v[66:67], v[68:69]
	v_xor_b32_e32 v69, 0x80000000, v69
.LBB25_23:
	s_andn2_saveexec_b64 s[2:3], s[2:3]
	s_cbranch_execz .LBB25_25
; %bb.24:
	v_div_scale_f64 v[66:67], s[6:7], v[62:63], v[62:63], v[64:65]
	v_rcp_f64_e32 v[68:69], v[66:67]
	v_fma_f64 v[70:71], -v[66:67], v[68:69], 1.0
	v_fma_f64 v[68:69], v[68:69], v[70:71], v[68:69]
	v_div_scale_f64 v[70:71], vcc, v[64:65], v[62:63], v[64:65]
	v_fma_f64 v[72:73], -v[66:67], v[68:69], 1.0
	v_fma_f64 v[68:69], v[68:69], v[72:73], v[68:69]
	v_mul_f64 v[72:73], v[70:71], v[68:69]
	v_fma_f64 v[66:67], -v[66:67], v[72:73], v[70:71]
	v_div_fmas_f64 v[66:67], v[66:67], v[68:69], v[72:73]
	v_div_fixup_f64 v[68:69], v[66:67], v[62:63], v[64:65]
	v_fma_f64 v[62:63], v[64:65], v[68:69], v[62:63]
	v_div_scale_f64 v[64:65], s[6:7], v[62:63], v[62:63], 1.0
	v_div_scale_f64 v[72:73], vcc, 1.0, v[62:63], 1.0
	v_rcp_f64_e32 v[66:67], v[64:65]
	v_fma_f64 v[70:71], -v[64:65], v[66:67], 1.0
	v_fma_f64 v[66:67], v[66:67], v[70:71], v[66:67]
	v_fma_f64 v[70:71], -v[64:65], v[66:67], 1.0
	v_fma_f64 v[66:67], v[66:67], v[70:71], v[66:67]
	v_mul_f64 v[70:71], v[72:73], v[66:67]
	v_fma_f64 v[64:65], -v[64:65], v[70:71], v[72:73]
	v_div_fmas_f64 v[64:65], v[64:65], v[66:67], v[70:71]
	v_div_fixup_f64 v[66:67], v[64:65], v[62:63], 1.0
	v_mul_f64 v[68:69], v[68:69], -v[66:67]
.LBB25_25:
	s_or_b64 exec, exec, s[2:3]
	ds_write2_b64 v1, v[66:67], v[68:69] offset1:1
.LBB25_26:
	s_or_b64 exec, exec, s[4:5]
	s_waitcnt lgkmcnt(0)
	s_barrier
	ds_read2_b64 v[62:65], v1 offset1:1
	v_cmp_lt_u32_e32 vcc, 2, v0
	s_and_saveexec_b64 s[2:3], vcc
	s_cbranch_execz .LBB25_28
; %bb.27:
	s_waitcnt lgkmcnt(0)
	v_mul_f64 v[66:67], v[62:63], v[44:45]
	v_mul_f64 v[44:45], v[64:65], v[44:45]
	ds_read2_b64 v[68:71], v112 offset0:6 offset1:7
	v_fma_f64 v[66:67], v[64:65], v[42:43], v[66:67]
	v_fma_f64 v[42:43], v[62:63], v[42:43], -v[44:45]
	s_waitcnt lgkmcnt(0)
	v_mul_f64 v[44:45], v[70:71], v[66:67]
	v_fma_f64 v[44:45], v[68:69], v[42:43], -v[44:45]
	v_mul_f64 v[68:69], v[68:69], v[66:67]
	v_add_f64 v[38:39], v[38:39], -v[44:45]
	v_fma_f64 v[68:69], v[70:71], v[42:43], v[68:69]
	v_add_f64 v[40:41], v[40:41], -v[68:69]
	ds_read2_b64 v[68:71], v112 offset0:8 offset1:9
	s_waitcnt lgkmcnt(0)
	v_mul_f64 v[44:45], v[70:71], v[66:67]
	v_fma_f64 v[44:45], v[68:69], v[42:43], -v[44:45]
	v_mul_f64 v[68:69], v[68:69], v[66:67]
	v_add_f64 v[34:35], v[34:35], -v[44:45]
	v_fma_f64 v[68:69], v[70:71], v[42:43], v[68:69]
	v_add_f64 v[36:37], v[36:37], -v[68:69]
	ds_read2_b64 v[68:71], v112 offset0:10 offset1:11
	;; [unrolled: 8-line block ×9, first 2 shown]
	s_waitcnt lgkmcnt(0)
	v_mul_f64 v[44:45], v[70:71], v[66:67]
	v_fma_f64 v[44:45], v[68:69], v[42:43], -v[44:45]
	v_mul_f64 v[68:69], v[68:69], v[66:67]
	v_add_f64 v[18:19], v[18:19], -v[44:45]
	v_fma_f64 v[68:69], v[70:71], v[42:43], v[68:69]
	v_mov_b32_e32 v44, v66
	v_mov_b32_e32 v45, v67
	v_add_f64 v[20:21], v[20:21], -v[68:69]
.LBB25_28:
	s_or_b64 exec, exec, s[2:3]
	v_cmp_eq_u32_e32 vcc, 3, v0
	s_waitcnt lgkmcnt(0)
	s_barrier
	s_and_saveexec_b64 s[4:5], vcc
	s_cbranch_execz .LBB25_35
; %bb.29:
	ds_write2_b64 v1, v[38:39], v[40:41] offset1:1
	ds_write2_b64 v112, v[34:35], v[36:37] offset0:8 offset1:9
	ds_write2_b64 v112, v[30:31], v[32:33] offset0:10 offset1:11
	;; [unrolled: 1-line block ×9, first 2 shown]
	ds_read2_b64 v[66:69], v1 offset1:1
	s_waitcnt lgkmcnt(0)
	v_cmp_neq_f64_e32 vcc, 0, v[66:67]
	v_cmp_neq_f64_e64 s[2:3], 0, v[68:69]
	s_or_b64 s[2:3], vcc, s[2:3]
	s_and_b64 exec, exec, s[2:3]
	s_cbranch_execz .LBB25_35
; %bb.30:
	v_cmp_ngt_f64_e64 s[2:3], |v[66:67]|, |v[68:69]|
                                        ; implicit-def: $vgpr70_vgpr71
	s_and_saveexec_b64 s[6:7], s[2:3]
	s_xor_b64 s[2:3], exec, s[6:7]
                                        ; implicit-def: $vgpr72_vgpr73
	s_cbranch_execz .LBB25_32
; %bb.31:
	v_div_scale_f64 v[70:71], s[6:7], v[68:69], v[68:69], v[66:67]
	v_rcp_f64_e32 v[72:73], v[70:71]
	v_fma_f64 v[74:75], -v[70:71], v[72:73], 1.0
	v_fma_f64 v[72:73], v[72:73], v[74:75], v[72:73]
	v_div_scale_f64 v[74:75], vcc, v[66:67], v[68:69], v[66:67]
	v_fma_f64 v[76:77], -v[70:71], v[72:73], 1.0
	v_fma_f64 v[72:73], v[72:73], v[76:77], v[72:73]
	v_mul_f64 v[76:77], v[74:75], v[72:73]
	v_fma_f64 v[70:71], -v[70:71], v[76:77], v[74:75]
	v_div_fmas_f64 v[70:71], v[70:71], v[72:73], v[76:77]
	v_div_fixup_f64 v[70:71], v[70:71], v[68:69], v[66:67]
	v_fma_f64 v[66:67], v[66:67], v[70:71], v[68:69]
	v_div_scale_f64 v[68:69], s[6:7], v[66:67], v[66:67], 1.0
	v_div_scale_f64 v[76:77], vcc, 1.0, v[66:67], 1.0
	v_rcp_f64_e32 v[72:73], v[68:69]
	v_fma_f64 v[74:75], -v[68:69], v[72:73], 1.0
	v_fma_f64 v[72:73], v[72:73], v[74:75], v[72:73]
	v_fma_f64 v[74:75], -v[68:69], v[72:73], 1.0
	v_fma_f64 v[72:73], v[72:73], v[74:75], v[72:73]
	v_mul_f64 v[74:75], v[76:77], v[72:73]
	v_fma_f64 v[68:69], -v[68:69], v[74:75], v[76:77]
	v_div_fmas_f64 v[68:69], v[68:69], v[72:73], v[74:75]
	v_div_fixup_f64 v[72:73], v[68:69], v[66:67], 1.0
                                        ; implicit-def: $vgpr66_vgpr67
	v_mul_f64 v[70:71], v[70:71], v[72:73]
	v_xor_b32_e32 v73, 0x80000000, v73
.LBB25_32:
	s_andn2_saveexec_b64 s[2:3], s[2:3]
	s_cbranch_execz .LBB25_34
; %bb.33:
	v_div_scale_f64 v[70:71], s[6:7], v[66:67], v[66:67], v[68:69]
	v_rcp_f64_e32 v[72:73], v[70:71]
	v_fma_f64 v[74:75], -v[70:71], v[72:73], 1.0
	v_fma_f64 v[72:73], v[72:73], v[74:75], v[72:73]
	v_div_scale_f64 v[74:75], vcc, v[68:69], v[66:67], v[68:69]
	v_fma_f64 v[76:77], -v[70:71], v[72:73], 1.0
	v_fma_f64 v[72:73], v[72:73], v[76:77], v[72:73]
	v_mul_f64 v[76:77], v[74:75], v[72:73]
	v_fma_f64 v[70:71], -v[70:71], v[76:77], v[74:75]
	v_div_fmas_f64 v[70:71], v[70:71], v[72:73], v[76:77]
	v_div_fixup_f64 v[72:73], v[70:71], v[66:67], v[68:69]
	v_fma_f64 v[66:67], v[68:69], v[72:73], v[66:67]
	v_div_scale_f64 v[68:69], s[6:7], v[66:67], v[66:67], 1.0
	v_div_scale_f64 v[76:77], vcc, 1.0, v[66:67], 1.0
	v_rcp_f64_e32 v[70:71], v[68:69]
	v_fma_f64 v[74:75], -v[68:69], v[70:71], 1.0
	v_fma_f64 v[70:71], v[70:71], v[74:75], v[70:71]
	v_fma_f64 v[74:75], -v[68:69], v[70:71], 1.0
	v_fma_f64 v[70:71], v[70:71], v[74:75], v[70:71]
	v_mul_f64 v[74:75], v[76:77], v[70:71]
	v_fma_f64 v[68:69], -v[68:69], v[74:75], v[76:77]
	v_div_fmas_f64 v[68:69], v[68:69], v[70:71], v[74:75]
	v_div_fixup_f64 v[70:71], v[68:69], v[66:67], 1.0
	v_mul_f64 v[72:73], v[72:73], -v[70:71]
.LBB25_34:
	s_or_b64 exec, exec, s[2:3]
	ds_write2_b64 v1, v[70:71], v[72:73] offset1:1
.LBB25_35:
	s_or_b64 exec, exec, s[4:5]
	s_waitcnt lgkmcnt(0)
	s_barrier
	ds_read2_b64 v[66:69], v1 offset1:1
	v_cmp_lt_u32_e32 vcc, 3, v0
	s_and_saveexec_b64 s[2:3], vcc
	s_cbranch_execz .LBB25_37
; %bb.36:
	s_waitcnt lgkmcnt(0)
	v_mul_f64 v[70:71], v[66:67], v[40:41]
	v_mul_f64 v[40:41], v[68:69], v[40:41]
	ds_read2_b64 v[72:75], v112 offset0:8 offset1:9
	v_fma_f64 v[70:71], v[68:69], v[38:39], v[70:71]
	v_fma_f64 v[38:39], v[66:67], v[38:39], -v[40:41]
	s_waitcnt lgkmcnt(0)
	v_mul_f64 v[40:41], v[74:75], v[70:71]
	v_fma_f64 v[40:41], v[72:73], v[38:39], -v[40:41]
	v_mul_f64 v[72:73], v[72:73], v[70:71]
	v_add_f64 v[34:35], v[34:35], -v[40:41]
	v_fma_f64 v[72:73], v[74:75], v[38:39], v[72:73]
	v_add_f64 v[36:37], v[36:37], -v[72:73]
	ds_read2_b64 v[72:75], v112 offset0:10 offset1:11
	s_waitcnt lgkmcnt(0)
	v_mul_f64 v[40:41], v[74:75], v[70:71]
	v_fma_f64 v[40:41], v[72:73], v[38:39], -v[40:41]
	v_mul_f64 v[72:73], v[72:73], v[70:71]
	v_add_f64 v[30:31], v[30:31], -v[40:41]
	v_fma_f64 v[72:73], v[74:75], v[38:39], v[72:73]
	v_add_f64 v[32:33], v[32:33], -v[72:73]
	ds_read2_b64 v[72:75], v112 offset0:12 offset1:13
	;; [unrolled: 8-line block ×8, first 2 shown]
	s_waitcnt lgkmcnt(0)
	v_mul_f64 v[40:41], v[74:75], v[70:71]
	v_fma_f64 v[40:41], v[72:73], v[38:39], -v[40:41]
	v_mul_f64 v[72:73], v[72:73], v[70:71]
	v_add_f64 v[18:19], v[18:19], -v[40:41]
	v_fma_f64 v[72:73], v[74:75], v[38:39], v[72:73]
	v_mov_b32_e32 v40, v70
	v_mov_b32_e32 v41, v71
	v_add_f64 v[20:21], v[20:21], -v[72:73]
.LBB25_37:
	s_or_b64 exec, exec, s[2:3]
	v_cmp_eq_u32_e32 vcc, 4, v0
	s_waitcnt lgkmcnt(0)
	s_barrier
	s_and_saveexec_b64 s[4:5], vcc
	s_cbranch_execz .LBB25_44
; %bb.38:
	ds_write2_b64 v1, v[34:35], v[36:37] offset1:1
	ds_write2_b64 v112, v[30:31], v[32:33] offset0:10 offset1:11
	ds_write2_b64 v112, v[26:27], v[28:29] offset0:12 offset1:13
	;; [unrolled: 1-line block ×8, first 2 shown]
	ds_read2_b64 v[70:73], v1 offset1:1
	s_waitcnt lgkmcnt(0)
	v_cmp_neq_f64_e32 vcc, 0, v[70:71]
	v_cmp_neq_f64_e64 s[2:3], 0, v[72:73]
	s_or_b64 s[2:3], vcc, s[2:3]
	s_and_b64 exec, exec, s[2:3]
	s_cbranch_execz .LBB25_44
; %bb.39:
	v_cmp_ngt_f64_e64 s[2:3], |v[70:71]|, |v[72:73]|
                                        ; implicit-def: $vgpr74_vgpr75
	s_and_saveexec_b64 s[6:7], s[2:3]
	s_xor_b64 s[2:3], exec, s[6:7]
                                        ; implicit-def: $vgpr76_vgpr77
	s_cbranch_execz .LBB25_41
; %bb.40:
	v_div_scale_f64 v[74:75], s[6:7], v[72:73], v[72:73], v[70:71]
	v_rcp_f64_e32 v[76:77], v[74:75]
	v_fma_f64 v[78:79], -v[74:75], v[76:77], 1.0
	v_fma_f64 v[76:77], v[76:77], v[78:79], v[76:77]
	v_div_scale_f64 v[78:79], vcc, v[70:71], v[72:73], v[70:71]
	v_fma_f64 v[80:81], -v[74:75], v[76:77], 1.0
	v_fma_f64 v[76:77], v[76:77], v[80:81], v[76:77]
	v_mul_f64 v[80:81], v[78:79], v[76:77]
	v_fma_f64 v[74:75], -v[74:75], v[80:81], v[78:79]
	v_div_fmas_f64 v[74:75], v[74:75], v[76:77], v[80:81]
	v_div_fixup_f64 v[74:75], v[74:75], v[72:73], v[70:71]
	v_fma_f64 v[70:71], v[70:71], v[74:75], v[72:73]
	v_div_scale_f64 v[72:73], s[6:7], v[70:71], v[70:71], 1.0
	v_div_scale_f64 v[80:81], vcc, 1.0, v[70:71], 1.0
	v_rcp_f64_e32 v[76:77], v[72:73]
	v_fma_f64 v[78:79], -v[72:73], v[76:77], 1.0
	v_fma_f64 v[76:77], v[76:77], v[78:79], v[76:77]
	v_fma_f64 v[78:79], -v[72:73], v[76:77], 1.0
	v_fma_f64 v[76:77], v[76:77], v[78:79], v[76:77]
	v_mul_f64 v[78:79], v[80:81], v[76:77]
	v_fma_f64 v[72:73], -v[72:73], v[78:79], v[80:81]
	v_div_fmas_f64 v[72:73], v[72:73], v[76:77], v[78:79]
	v_div_fixup_f64 v[76:77], v[72:73], v[70:71], 1.0
                                        ; implicit-def: $vgpr70_vgpr71
	v_mul_f64 v[74:75], v[74:75], v[76:77]
	v_xor_b32_e32 v77, 0x80000000, v77
.LBB25_41:
	s_andn2_saveexec_b64 s[2:3], s[2:3]
	s_cbranch_execz .LBB25_43
; %bb.42:
	v_div_scale_f64 v[74:75], s[6:7], v[70:71], v[70:71], v[72:73]
	v_rcp_f64_e32 v[76:77], v[74:75]
	v_fma_f64 v[78:79], -v[74:75], v[76:77], 1.0
	v_fma_f64 v[76:77], v[76:77], v[78:79], v[76:77]
	v_div_scale_f64 v[78:79], vcc, v[72:73], v[70:71], v[72:73]
	v_fma_f64 v[80:81], -v[74:75], v[76:77], 1.0
	v_fma_f64 v[76:77], v[76:77], v[80:81], v[76:77]
	v_mul_f64 v[80:81], v[78:79], v[76:77]
	v_fma_f64 v[74:75], -v[74:75], v[80:81], v[78:79]
	v_div_fmas_f64 v[74:75], v[74:75], v[76:77], v[80:81]
	v_div_fixup_f64 v[76:77], v[74:75], v[70:71], v[72:73]
	v_fma_f64 v[70:71], v[72:73], v[76:77], v[70:71]
	v_div_scale_f64 v[72:73], s[6:7], v[70:71], v[70:71], 1.0
	v_div_scale_f64 v[80:81], vcc, 1.0, v[70:71], 1.0
	v_rcp_f64_e32 v[74:75], v[72:73]
	v_fma_f64 v[78:79], -v[72:73], v[74:75], 1.0
	v_fma_f64 v[74:75], v[74:75], v[78:79], v[74:75]
	v_fma_f64 v[78:79], -v[72:73], v[74:75], 1.0
	v_fma_f64 v[74:75], v[74:75], v[78:79], v[74:75]
	v_mul_f64 v[78:79], v[80:81], v[74:75]
	v_fma_f64 v[72:73], -v[72:73], v[78:79], v[80:81]
	v_div_fmas_f64 v[72:73], v[72:73], v[74:75], v[78:79]
	v_div_fixup_f64 v[74:75], v[72:73], v[70:71], 1.0
	v_mul_f64 v[76:77], v[76:77], -v[74:75]
.LBB25_43:
	s_or_b64 exec, exec, s[2:3]
	ds_write2_b64 v1, v[74:75], v[76:77] offset1:1
.LBB25_44:
	s_or_b64 exec, exec, s[4:5]
	s_waitcnt lgkmcnt(0)
	s_barrier
	ds_read2_b64 v[70:73], v1 offset1:1
	v_cmp_lt_u32_e32 vcc, 4, v0
	s_and_saveexec_b64 s[2:3], vcc
	s_cbranch_execz .LBB25_46
; %bb.45:
	s_waitcnt lgkmcnt(0)
	v_mul_f64 v[74:75], v[70:71], v[36:37]
	v_mul_f64 v[36:37], v[72:73], v[36:37]
	ds_read2_b64 v[76:79], v112 offset0:10 offset1:11
	v_fma_f64 v[74:75], v[72:73], v[34:35], v[74:75]
	v_fma_f64 v[34:35], v[70:71], v[34:35], -v[36:37]
	s_waitcnt lgkmcnt(0)
	v_mul_f64 v[36:37], v[78:79], v[74:75]
	v_fma_f64 v[36:37], v[76:77], v[34:35], -v[36:37]
	v_mul_f64 v[76:77], v[76:77], v[74:75]
	v_add_f64 v[30:31], v[30:31], -v[36:37]
	v_fma_f64 v[76:77], v[78:79], v[34:35], v[76:77]
	v_add_f64 v[32:33], v[32:33], -v[76:77]
	ds_read2_b64 v[76:79], v112 offset0:12 offset1:13
	s_waitcnt lgkmcnt(0)
	v_mul_f64 v[36:37], v[78:79], v[74:75]
	v_fma_f64 v[36:37], v[76:77], v[34:35], -v[36:37]
	v_mul_f64 v[76:77], v[76:77], v[74:75]
	v_add_f64 v[26:27], v[26:27], -v[36:37]
	v_fma_f64 v[76:77], v[78:79], v[34:35], v[76:77]
	v_add_f64 v[28:29], v[28:29], -v[76:77]
	ds_read2_b64 v[76:79], v112 offset0:14 offset1:15
	;; [unrolled: 8-line block ×7, first 2 shown]
	s_waitcnt lgkmcnt(0)
	v_mul_f64 v[36:37], v[78:79], v[74:75]
	v_fma_f64 v[36:37], v[76:77], v[34:35], -v[36:37]
	v_mul_f64 v[76:77], v[76:77], v[74:75]
	v_add_f64 v[18:19], v[18:19], -v[36:37]
	v_fma_f64 v[76:77], v[78:79], v[34:35], v[76:77]
	v_mov_b32_e32 v36, v74
	v_mov_b32_e32 v37, v75
	v_add_f64 v[20:21], v[20:21], -v[76:77]
.LBB25_46:
	s_or_b64 exec, exec, s[2:3]
	v_cmp_eq_u32_e32 vcc, 5, v0
	s_waitcnt lgkmcnt(0)
	s_barrier
	s_and_saveexec_b64 s[4:5], vcc
	s_cbranch_execz .LBB25_53
; %bb.47:
	ds_write2_b64 v1, v[30:31], v[32:33] offset1:1
	ds_write2_b64 v112, v[26:27], v[28:29] offset0:12 offset1:13
	ds_write2_b64 v112, v[22:23], v[24:25] offset0:14 offset1:15
	;; [unrolled: 1-line block ×7, first 2 shown]
	ds_read2_b64 v[74:77], v1 offset1:1
	s_waitcnt lgkmcnt(0)
	v_cmp_neq_f64_e32 vcc, 0, v[74:75]
	v_cmp_neq_f64_e64 s[2:3], 0, v[76:77]
	s_or_b64 s[2:3], vcc, s[2:3]
	s_and_b64 exec, exec, s[2:3]
	s_cbranch_execz .LBB25_53
; %bb.48:
	v_cmp_ngt_f64_e64 s[2:3], |v[74:75]|, |v[76:77]|
                                        ; implicit-def: $vgpr78_vgpr79
	s_and_saveexec_b64 s[6:7], s[2:3]
	s_xor_b64 s[2:3], exec, s[6:7]
                                        ; implicit-def: $vgpr80_vgpr81
	s_cbranch_execz .LBB25_50
; %bb.49:
	v_div_scale_f64 v[78:79], s[6:7], v[76:77], v[76:77], v[74:75]
	v_rcp_f64_e32 v[80:81], v[78:79]
	v_fma_f64 v[82:83], -v[78:79], v[80:81], 1.0
	v_fma_f64 v[80:81], v[80:81], v[82:83], v[80:81]
	v_div_scale_f64 v[82:83], vcc, v[74:75], v[76:77], v[74:75]
	v_fma_f64 v[84:85], -v[78:79], v[80:81], 1.0
	v_fma_f64 v[80:81], v[80:81], v[84:85], v[80:81]
	v_mul_f64 v[84:85], v[82:83], v[80:81]
	v_fma_f64 v[78:79], -v[78:79], v[84:85], v[82:83]
	v_div_fmas_f64 v[78:79], v[78:79], v[80:81], v[84:85]
	v_div_fixup_f64 v[78:79], v[78:79], v[76:77], v[74:75]
	v_fma_f64 v[74:75], v[74:75], v[78:79], v[76:77]
	v_div_scale_f64 v[76:77], s[6:7], v[74:75], v[74:75], 1.0
	v_div_scale_f64 v[84:85], vcc, 1.0, v[74:75], 1.0
	v_rcp_f64_e32 v[80:81], v[76:77]
	v_fma_f64 v[82:83], -v[76:77], v[80:81], 1.0
	v_fma_f64 v[80:81], v[80:81], v[82:83], v[80:81]
	v_fma_f64 v[82:83], -v[76:77], v[80:81], 1.0
	v_fma_f64 v[80:81], v[80:81], v[82:83], v[80:81]
	v_mul_f64 v[82:83], v[84:85], v[80:81]
	v_fma_f64 v[76:77], -v[76:77], v[82:83], v[84:85]
	v_div_fmas_f64 v[76:77], v[76:77], v[80:81], v[82:83]
	v_div_fixup_f64 v[80:81], v[76:77], v[74:75], 1.0
                                        ; implicit-def: $vgpr74_vgpr75
	v_mul_f64 v[78:79], v[78:79], v[80:81]
	v_xor_b32_e32 v81, 0x80000000, v81
.LBB25_50:
	s_andn2_saveexec_b64 s[2:3], s[2:3]
	s_cbranch_execz .LBB25_52
; %bb.51:
	v_div_scale_f64 v[78:79], s[6:7], v[74:75], v[74:75], v[76:77]
	v_rcp_f64_e32 v[80:81], v[78:79]
	v_fma_f64 v[82:83], -v[78:79], v[80:81], 1.0
	v_fma_f64 v[80:81], v[80:81], v[82:83], v[80:81]
	v_div_scale_f64 v[82:83], vcc, v[76:77], v[74:75], v[76:77]
	v_fma_f64 v[84:85], -v[78:79], v[80:81], 1.0
	v_fma_f64 v[80:81], v[80:81], v[84:85], v[80:81]
	v_mul_f64 v[84:85], v[82:83], v[80:81]
	v_fma_f64 v[78:79], -v[78:79], v[84:85], v[82:83]
	v_div_fmas_f64 v[78:79], v[78:79], v[80:81], v[84:85]
	v_div_fixup_f64 v[80:81], v[78:79], v[74:75], v[76:77]
	v_fma_f64 v[74:75], v[76:77], v[80:81], v[74:75]
	v_div_scale_f64 v[76:77], s[6:7], v[74:75], v[74:75], 1.0
	v_div_scale_f64 v[84:85], vcc, 1.0, v[74:75], 1.0
	v_rcp_f64_e32 v[78:79], v[76:77]
	v_fma_f64 v[82:83], -v[76:77], v[78:79], 1.0
	v_fma_f64 v[78:79], v[78:79], v[82:83], v[78:79]
	v_fma_f64 v[82:83], -v[76:77], v[78:79], 1.0
	v_fma_f64 v[78:79], v[78:79], v[82:83], v[78:79]
	v_mul_f64 v[82:83], v[84:85], v[78:79]
	v_fma_f64 v[76:77], -v[76:77], v[82:83], v[84:85]
	v_div_fmas_f64 v[76:77], v[76:77], v[78:79], v[82:83]
	v_div_fixup_f64 v[78:79], v[76:77], v[74:75], 1.0
	v_mul_f64 v[80:81], v[80:81], -v[78:79]
.LBB25_52:
	s_or_b64 exec, exec, s[2:3]
	ds_write2_b64 v1, v[78:79], v[80:81] offset1:1
.LBB25_53:
	s_or_b64 exec, exec, s[4:5]
	s_waitcnt lgkmcnt(0)
	s_barrier
	ds_read2_b64 v[74:77], v1 offset1:1
	v_cmp_lt_u32_e32 vcc, 5, v0
	s_and_saveexec_b64 s[2:3], vcc
	s_cbranch_execz .LBB25_55
; %bb.54:
	s_waitcnt lgkmcnt(0)
	v_mul_f64 v[78:79], v[74:75], v[32:33]
	v_mul_f64 v[32:33], v[76:77], v[32:33]
	ds_read2_b64 v[80:83], v112 offset0:12 offset1:13
	v_fma_f64 v[78:79], v[76:77], v[30:31], v[78:79]
	v_fma_f64 v[30:31], v[74:75], v[30:31], -v[32:33]
	s_waitcnt lgkmcnt(0)
	v_mul_f64 v[32:33], v[82:83], v[78:79]
	v_fma_f64 v[32:33], v[80:81], v[30:31], -v[32:33]
	v_mul_f64 v[80:81], v[80:81], v[78:79]
	v_add_f64 v[26:27], v[26:27], -v[32:33]
	v_fma_f64 v[80:81], v[82:83], v[30:31], v[80:81]
	v_add_f64 v[28:29], v[28:29], -v[80:81]
	ds_read2_b64 v[80:83], v112 offset0:14 offset1:15
	s_waitcnt lgkmcnt(0)
	v_mul_f64 v[32:33], v[82:83], v[78:79]
	v_fma_f64 v[32:33], v[80:81], v[30:31], -v[32:33]
	v_mul_f64 v[80:81], v[80:81], v[78:79]
	v_add_f64 v[22:23], v[22:23], -v[32:33]
	v_fma_f64 v[80:81], v[82:83], v[30:31], v[80:81]
	v_add_f64 v[24:25], v[24:25], -v[80:81]
	ds_read2_b64 v[80:83], v112 offset0:16 offset1:17
	;; [unrolled: 8-line block ×6, first 2 shown]
	s_waitcnt lgkmcnt(0)
	v_mul_f64 v[32:33], v[82:83], v[78:79]
	v_fma_f64 v[32:33], v[80:81], v[30:31], -v[32:33]
	v_mul_f64 v[80:81], v[80:81], v[78:79]
	v_add_f64 v[18:19], v[18:19], -v[32:33]
	v_fma_f64 v[80:81], v[82:83], v[30:31], v[80:81]
	v_mov_b32_e32 v32, v78
	v_mov_b32_e32 v33, v79
	v_add_f64 v[20:21], v[20:21], -v[80:81]
.LBB25_55:
	s_or_b64 exec, exec, s[2:3]
	v_cmp_eq_u32_e32 vcc, 6, v0
	s_waitcnt lgkmcnt(0)
	s_barrier
	s_and_saveexec_b64 s[4:5], vcc
	s_cbranch_execz .LBB25_62
; %bb.56:
	ds_write2_b64 v1, v[26:27], v[28:29] offset1:1
	ds_write2_b64 v112, v[22:23], v[24:25] offset0:14 offset1:15
	ds_write2_b64 v112, v[14:15], v[16:17] offset0:16 offset1:17
	;; [unrolled: 1-line block ×6, first 2 shown]
	ds_read2_b64 v[78:81], v1 offset1:1
	s_waitcnt lgkmcnt(0)
	v_cmp_neq_f64_e32 vcc, 0, v[78:79]
	v_cmp_neq_f64_e64 s[2:3], 0, v[80:81]
	s_or_b64 s[2:3], vcc, s[2:3]
	s_and_b64 exec, exec, s[2:3]
	s_cbranch_execz .LBB25_62
; %bb.57:
	v_cmp_ngt_f64_e64 s[2:3], |v[78:79]|, |v[80:81]|
                                        ; implicit-def: $vgpr82_vgpr83
	s_and_saveexec_b64 s[6:7], s[2:3]
	s_xor_b64 s[2:3], exec, s[6:7]
                                        ; implicit-def: $vgpr84_vgpr85
	s_cbranch_execz .LBB25_59
; %bb.58:
	v_div_scale_f64 v[82:83], s[6:7], v[80:81], v[80:81], v[78:79]
	v_rcp_f64_e32 v[84:85], v[82:83]
	v_fma_f64 v[86:87], -v[82:83], v[84:85], 1.0
	v_fma_f64 v[84:85], v[84:85], v[86:87], v[84:85]
	v_div_scale_f64 v[86:87], vcc, v[78:79], v[80:81], v[78:79]
	v_fma_f64 v[88:89], -v[82:83], v[84:85], 1.0
	v_fma_f64 v[84:85], v[84:85], v[88:89], v[84:85]
	v_mul_f64 v[88:89], v[86:87], v[84:85]
	v_fma_f64 v[82:83], -v[82:83], v[88:89], v[86:87]
	v_div_fmas_f64 v[82:83], v[82:83], v[84:85], v[88:89]
	v_div_fixup_f64 v[82:83], v[82:83], v[80:81], v[78:79]
	v_fma_f64 v[78:79], v[78:79], v[82:83], v[80:81]
	v_div_scale_f64 v[80:81], s[6:7], v[78:79], v[78:79], 1.0
	v_div_scale_f64 v[88:89], vcc, 1.0, v[78:79], 1.0
	v_rcp_f64_e32 v[84:85], v[80:81]
	v_fma_f64 v[86:87], -v[80:81], v[84:85], 1.0
	v_fma_f64 v[84:85], v[84:85], v[86:87], v[84:85]
	v_fma_f64 v[86:87], -v[80:81], v[84:85], 1.0
	v_fma_f64 v[84:85], v[84:85], v[86:87], v[84:85]
	v_mul_f64 v[86:87], v[88:89], v[84:85]
	v_fma_f64 v[80:81], -v[80:81], v[86:87], v[88:89]
	v_div_fmas_f64 v[80:81], v[80:81], v[84:85], v[86:87]
	v_div_fixup_f64 v[84:85], v[80:81], v[78:79], 1.0
                                        ; implicit-def: $vgpr78_vgpr79
	v_mul_f64 v[82:83], v[82:83], v[84:85]
	v_xor_b32_e32 v85, 0x80000000, v85
.LBB25_59:
	s_andn2_saveexec_b64 s[2:3], s[2:3]
	s_cbranch_execz .LBB25_61
; %bb.60:
	v_div_scale_f64 v[82:83], s[6:7], v[78:79], v[78:79], v[80:81]
	v_rcp_f64_e32 v[84:85], v[82:83]
	v_fma_f64 v[86:87], -v[82:83], v[84:85], 1.0
	v_fma_f64 v[84:85], v[84:85], v[86:87], v[84:85]
	v_div_scale_f64 v[86:87], vcc, v[80:81], v[78:79], v[80:81]
	v_fma_f64 v[88:89], -v[82:83], v[84:85], 1.0
	v_fma_f64 v[84:85], v[84:85], v[88:89], v[84:85]
	v_mul_f64 v[88:89], v[86:87], v[84:85]
	v_fma_f64 v[82:83], -v[82:83], v[88:89], v[86:87]
	v_div_fmas_f64 v[82:83], v[82:83], v[84:85], v[88:89]
	v_div_fixup_f64 v[84:85], v[82:83], v[78:79], v[80:81]
	v_fma_f64 v[78:79], v[80:81], v[84:85], v[78:79]
	v_div_scale_f64 v[80:81], s[6:7], v[78:79], v[78:79], 1.0
	v_div_scale_f64 v[88:89], vcc, 1.0, v[78:79], 1.0
	v_rcp_f64_e32 v[82:83], v[80:81]
	v_fma_f64 v[86:87], -v[80:81], v[82:83], 1.0
	v_fma_f64 v[82:83], v[82:83], v[86:87], v[82:83]
	v_fma_f64 v[86:87], -v[80:81], v[82:83], 1.0
	v_fma_f64 v[82:83], v[82:83], v[86:87], v[82:83]
	v_mul_f64 v[86:87], v[88:89], v[82:83]
	v_fma_f64 v[80:81], -v[80:81], v[86:87], v[88:89]
	v_div_fmas_f64 v[80:81], v[80:81], v[82:83], v[86:87]
	v_div_fixup_f64 v[82:83], v[80:81], v[78:79], 1.0
	v_mul_f64 v[84:85], v[84:85], -v[82:83]
.LBB25_61:
	s_or_b64 exec, exec, s[2:3]
	ds_write2_b64 v1, v[82:83], v[84:85] offset1:1
.LBB25_62:
	s_or_b64 exec, exec, s[4:5]
	s_waitcnt lgkmcnt(0)
	s_barrier
	ds_read2_b64 v[78:81], v1 offset1:1
	v_cmp_lt_u32_e32 vcc, 6, v0
	s_and_saveexec_b64 s[2:3], vcc
	s_cbranch_execz .LBB25_64
; %bb.63:
	s_waitcnt lgkmcnt(0)
	v_mul_f64 v[82:83], v[78:79], v[28:29]
	v_mul_f64 v[28:29], v[80:81], v[28:29]
	ds_read2_b64 v[84:87], v112 offset0:14 offset1:15
	v_fma_f64 v[82:83], v[80:81], v[26:27], v[82:83]
	v_fma_f64 v[26:27], v[78:79], v[26:27], -v[28:29]
	s_waitcnt lgkmcnt(0)
	v_mul_f64 v[28:29], v[86:87], v[82:83]
	v_fma_f64 v[28:29], v[84:85], v[26:27], -v[28:29]
	v_mul_f64 v[84:85], v[84:85], v[82:83]
	v_add_f64 v[22:23], v[22:23], -v[28:29]
	v_fma_f64 v[84:85], v[86:87], v[26:27], v[84:85]
	v_add_f64 v[24:25], v[24:25], -v[84:85]
	ds_read2_b64 v[84:87], v112 offset0:16 offset1:17
	s_waitcnt lgkmcnt(0)
	v_mul_f64 v[28:29], v[86:87], v[82:83]
	v_fma_f64 v[28:29], v[84:85], v[26:27], -v[28:29]
	v_mul_f64 v[84:85], v[84:85], v[82:83]
	v_add_f64 v[14:15], v[14:15], -v[28:29]
	v_fma_f64 v[84:85], v[86:87], v[26:27], v[84:85]
	v_add_f64 v[16:17], v[16:17], -v[84:85]
	ds_read2_b64 v[84:87], v112 offset0:18 offset1:19
	;; [unrolled: 8-line block ×5, first 2 shown]
	s_waitcnt lgkmcnt(0)
	v_mul_f64 v[28:29], v[86:87], v[82:83]
	v_fma_f64 v[28:29], v[84:85], v[26:27], -v[28:29]
	v_mul_f64 v[84:85], v[84:85], v[82:83]
	v_add_f64 v[18:19], v[18:19], -v[28:29]
	v_fma_f64 v[84:85], v[86:87], v[26:27], v[84:85]
	v_mov_b32_e32 v28, v82
	v_mov_b32_e32 v29, v83
	v_add_f64 v[20:21], v[20:21], -v[84:85]
.LBB25_64:
	s_or_b64 exec, exec, s[2:3]
	v_cmp_eq_u32_e32 vcc, 7, v0
	s_waitcnt lgkmcnt(0)
	s_barrier
	s_and_saveexec_b64 s[4:5], vcc
	s_cbranch_execz .LBB25_71
; %bb.65:
	ds_write2_b64 v1, v[22:23], v[24:25] offset1:1
	ds_write2_b64 v112, v[14:15], v[16:17] offset0:16 offset1:17
	ds_write2_b64 v112, v[10:11], v[12:13] offset0:18 offset1:19
	;; [unrolled: 1-line block ×5, first 2 shown]
	ds_read2_b64 v[82:85], v1 offset1:1
	s_waitcnt lgkmcnt(0)
	v_cmp_neq_f64_e32 vcc, 0, v[82:83]
	v_cmp_neq_f64_e64 s[2:3], 0, v[84:85]
	s_or_b64 s[2:3], vcc, s[2:3]
	s_and_b64 exec, exec, s[2:3]
	s_cbranch_execz .LBB25_71
; %bb.66:
	v_cmp_ngt_f64_e64 s[2:3], |v[82:83]|, |v[84:85]|
                                        ; implicit-def: $vgpr86_vgpr87
	s_and_saveexec_b64 s[6:7], s[2:3]
	s_xor_b64 s[2:3], exec, s[6:7]
                                        ; implicit-def: $vgpr88_vgpr89
	s_cbranch_execz .LBB25_68
; %bb.67:
	v_div_scale_f64 v[86:87], s[6:7], v[84:85], v[84:85], v[82:83]
	v_rcp_f64_e32 v[88:89], v[86:87]
	v_fma_f64 v[90:91], -v[86:87], v[88:89], 1.0
	v_fma_f64 v[88:89], v[88:89], v[90:91], v[88:89]
	v_div_scale_f64 v[90:91], vcc, v[82:83], v[84:85], v[82:83]
	v_fma_f64 v[92:93], -v[86:87], v[88:89], 1.0
	v_fma_f64 v[88:89], v[88:89], v[92:93], v[88:89]
	v_mul_f64 v[92:93], v[90:91], v[88:89]
	v_fma_f64 v[86:87], -v[86:87], v[92:93], v[90:91]
	v_div_fmas_f64 v[86:87], v[86:87], v[88:89], v[92:93]
	v_div_fixup_f64 v[86:87], v[86:87], v[84:85], v[82:83]
	v_fma_f64 v[82:83], v[82:83], v[86:87], v[84:85]
	v_div_scale_f64 v[84:85], s[6:7], v[82:83], v[82:83], 1.0
	v_div_scale_f64 v[92:93], vcc, 1.0, v[82:83], 1.0
	v_rcp_f64_e32 v[88:89], v[84:85]
	v_fma_f64 v[90:91], -v[84:85], v[88:89], 1.0
	v_fma_f64 v[88:89], v[88:89], v[90:91], v[88:89]
	v_fma_f64 v[90:91], -v[84:85], v[88:89], 1.0
	v_fma_f64 v[88:89], v[88:89], v[90:91], v[88:89]
	v_mul_f64 v[90:91], v[92:93], v[88:89]
	v_fma_f64 v[84:85], -v[84:85], v[90:91], v[92:93]
	v_div_fmas_f64 v[84:85], v[84:85], v[88:89], v[90:91]
	v_div_fixup_f64 v[88:89], v[84:85], v[82:83], 1.0
                                        ; implicit-def: $vgpr82_vgpr83
	v_mul_f64 v[86:87], v[86:87], v[88:89]
	v_xor_b32_e32 v89, 0x80000000, v89
.LBB25_68:
	s_andn2_saveexec_b64 s[2:3], s[2:3]
	s_cbranch_execz .LBB25_70
; %bb.69:
	v_div_scale_f64 v[86:87], s[6:7], v[82:83], v[82:83], v[84:85]
	v_rcp_f64_e32 v[88:89], v[86:87]
	v_fma_f64 v[90:91], -v[86:87], v[88:89], 1.0
	v_fma_f64 v[88:89], v[88:89], v[90:91], v[88:89]
	v_div_scale_f64 v[90:91], vcc, v[84:85], v[82:83], v[84:85]
	v_fma_f64 v[92:93], -v[86:87], v[88:89], 1.0
	v_fma_f64 v[88:89], v[88:89], v[92:93], v[88:89]
	v_mul_f64 v[92:93], v[90:91], v[88:89]
	v_fma_f64 v[86:87], -v[86:87], v[92:93], v[90:91]
	v_div_fmas_f64 v[86:87], v[86:87], v[88:89], v[92:93]
	v_div_fixup_f64 v[88:89], v[86:87], v[82:83], v[84:85]
	v_fma_f64 v[82:83], v[84:85], v[88:89], v[82:83]
	v_div_scale_f64 v[84:85], s[6:7], v[82:83], v[82:83], 1.0
	v_div_scale_f64 v[92:93], vcc, 1.0, v[82:83], 1.0
	v_rcp_f64_e32 v[86:87], v[84:85]
	v_fma_f64 v[90:91], -v[84:85], v[86:87], 1.0
	v_fma_f64 v[86:87], v[86:87], v[90:91], v[86:87]
	v_fma_f64 v[90:91], -v[84:85], v[86:87], 1.0
	v_fma_f64 v[86:87], v[86:87], v[90:91], v[86:87]
	v_mul_f64 v[90:91], v[92:93], v[86:87]
	v_fma_f64 v[84:85], -v[84:85], v[90:91], v[92:93]
	v_div_fmas_f64 v[84:85], v[84:85], v[86:87], v[90:91]
	v_div_fixup_f64 v[86:87], v[84:85], v[82:83], 1.0
	v_mul_f64 v[88:89], v[88:89], -v[86:87]
.LBB25_70:
	s_or_b64 exec, exec, s[2:3]
	ds_write2_b64 v1, v[86:87], v[88:89] offset1:1
.LBB25_71:
	s_or_b64 exec, exec, s[4:5]
	s_waitcnt lgkmcnt(0)
	s_barrier
	ds_read2_b64 v[50:53], v1 offset1:1
	v_cmp_lt_u32_e32 vcc, 7, v0
	s_and_saveexec_b64 s[2:3], vcc
	s_cbranch_execz .LBB25_73
; %bb.72:
	s_waitcnt lgkmcnt(0)
	v_mul_f64 v[86:87], v[50:51], v[24:25]
	v_mul_f64 v[24:25], v[52:53], v[24:25]
	v_fma_f64 v[90:91], v[52:53], v[22:23], v[86:87]
	ds_read2_b64 v[86:89], v112 offset0:16 offset1:17
	v_fma_f64 v[22:23], v[50:51], v[22:23], -v[24:25]
	s_waitcnt lgkmcnt(0)
	v_mul_f64 v[24:25], v[88:89], v[90:91]
	v_fma_f64 v[24:25], v[86:87], v[22:23], -v[24:25]
	v_mul_f64 v[86:87], v[86:87], v[90:91]
	v_add_f64 v[14:15], v[14:15], -v[24:25]
	v_fma_f64 v[86:87], v[88:89], v[22:23], v[86:87]
	v_add_f64 v[16:17], v[16:17], -v[86:87]
	ds_read2_b64 v[86:89], v112 offset0:18 offset1:19
	s_waitcnt lgkmcnt(0)
	v_mul_f64 v[24:25], v[88:89], v[90:91]
	v_fma_f64 v[24:25], v[86:87], v[22:23], -v[24:25]
	v_mul_f64 v[86:87], v[86:87], v[90:91]
	v_add_f64 v[10:11], v[10:11], -v[24:25]
	v_fma_f64 v[86:87], v[88:89], v[22:23], v[86:87]
	v_add_f64 v[12:13], v[12:13], -v[86:87]
	ds_read2_b64 v[86:89], v112 offset0:20 offset1:21
	;; [unrolled: 8-line block ×4, first 2 shown]
	s_waitcnt lgkmcnt(0)
	v_mul_f64 v[24:25], v[88:89], v[90:91]
	v_fma_f64 v[24:25], v[86:87], v[22:23], -v[24:25]
	v_mul_f64 v[86:87], v[86:87], v[90:91]
	v_add_f64 v[18:19], v[18:19], -v[24:25]
	v_fma_f64 v[86:87], v[88:89], v[22:23], v[86:87]
	v_mov_b32_e32 v24, v90
	v_mov_b32_e32 v25, v91
	v_add_f64 v[20:21], v[20:21], -v[86:87]
.LBB25_73:
	s_or_b64 exec, exec, s[2:3]
	v_cmp_eq_u32_e32 vcc, 8, v0
	s_waitcnt lgkmcnt(0)
	s_barrier
	s_and_saveexec_b64 s[4:5], vcc
	s_cbranch_execz .LBB25_80
; %bb.74:
	ds_write2_b64 v1, v[14:15], v[16:17] offset1:1
	ds_write2_b64 v112, v[10:11], v[12:13] offset0:18 offset1:19
	ds_write2_b64 v112, v[6:7], v[8:9] offset0:20 offset1:21
	;; [unrolled: 1-line block ×4, first 2 shown]
	ds_read2_b64 v[86:89], v1 offset1:1
	s_waitcnt lgkmcnt(0)
	v_cmp_neq_f64_e32 vcc, 0, v[86:87]
	v_cmp_neq_f64_e64 s[2:3], 0, v[88:89]
	s_or_b64 s[2:3], vcc, s[2:3]
	s_and_b64 exec, exec, s[2:3]
	s_cbranch_execz .LBB25_80
; %bb.75:
	v_cmp_ngt_f64_e64 s[2:3], |v[86:87]|, |v[88:89]|
                                        ; implicit-def: $vgpr90_vgpr91
	s_and_saveexec_b64 s[6:7], s[2:3]
	s_xor_b64 s[2:3], exec, s[6:7]
                                        ; implicit-def: $vgpr92_vgpr93
	s_cbranch_execz .LBB25_77
; %bb.76:
	v_div_scale_f64 v[90:91], s[6:7], v[88:89], v[88:89], v[86:87]
	v_rcp_f64_e32 v[92:93], v[90:91]
	v_fma_f64 v[94:95], -v[90:91], v[92:93], 1.0
	v_fma_f64 v[92:93], v[92:93], v[94:95], v[92:93]
	v_div_scale_f64 v[94:95], vcc, v[86:87], v[88:89], v[86:87]
	v_fma_f64 v[96:97], -v[90:91], v[92:93], 1.0
	v_fma_f64 v[92:93], v[92:93], v[96:97], v[92:93]
	v_mul_f64 v[96:97], v[94:95], v[92:93]
	v_fma_f64 v[90:91], -v[90:91], v[96:97], v[94:95]
	v_div_fmas_f64 v[90:91], v[90:91], v[92:93], v[96:97]
	v_div_fixup_f64 v[90:91], v[90:91], v[88:89], v[86:87]
	v_fma_f64 v[86:87], v[86:87], v[90:91], v[88:89]
	v_div_scale_f64 v[88:89], s[6:7], v[86:87], v[86:87], 1.0
	v_div_scale_f64 v[96:97], vcc, 1.0, v[86:87], 1.0
	v_rcp_f64_e32 v[92:93], v[88:89]
	v_fma_f64 v[94:95], -v[88:89], v[92:93], 1.0
	v_fma_f64 v[92:93], v[92:93], v[94:95], v[92:93]
	v_fma_f64 v[94:95], -v[88:89], v[92:93], 1.0
	v_fma_f64 v[92:93], v[92:93], v[94:95], v[92:93]
	v_mul_f64 v[94:95], v[96:97], v[92:93]
	v_fma_f64 v[88:89], -v[88:89], v[94:95], v[96:97]
	v_div_fmas_f64 v[88:89], v[88:89], v[92:93], v[94:95]
	v_div_fixup_f64 v[92:93], v[88:89], v[86:87], 1.0
                                        ; implicit-def: $vgpr86_vgpr87
	v_mul_f64 v[90:91], v[90:91], v[92:93]
	v_xor_b32_e32 v93, 0x80000000, v93
.LBB25_77:
	s_andn2_saveexec_b64 s[2:3], s[2:3]
	s_cbranch_execz .LBB25_79
; %bb.78:
	v_div_scale_f64 v[90:91], s[6:7], v[86:87], v[86:87], v[88:89]
	v_rcp_f64_e32 v[92:93], v[90:91]
	v_fma_f64 v[94:95], -v[90:91], v[92:93], 1.0
	v_fma_f64 v[92:93], v[92:93], v[94:95], v[92:93]
	v_div_scale_f64 v[94:95], vcc, v[88:89], v[86:87], v[88:89]
	v_fma_f64 v[96:97], -v[90:91], v[92:93], 1.0
	v_fma_f64 v[92:93], v[92:93], v[96:97], v[92:93]
	v_mul_f64 v[96:97], v[94:95], v[92:93]
	v_fma_f64 v[90:91], -v[90:91], v[96:97], v[94:95]
	v_div_fmas_f64 v[90:91], v[90:91], v[92:93], v[96:97]
	v_div_fixup_f64 v[92:93], v[90:91], v[86:87], v[88:89]
	v_fma_f64 v[86:87], v[88:89], v[92:93], v[86:87]
	v_div_scale_f64 v[88:89], s[6:7], v[86:87], v[86:87], 1.0
	v_div_scale_f64 v[96:97], vcc, 1.0, v[86:87], 1.0
	v_rcp_f64_e32 v[90:91], v[88:89]
	v_fma_f64 v[94:95], -v[88:89], v[90:91], 1.0
	v_fma_f64 v[90:91], v[90:91], v[94:95], v[90:91]
	v_fma_f64 v[94:95], -v[88:89], v[90:91], 1.0
	v_fma_f64 v[90:91], v[90:91], v[94:95], v[90:91]
	v_mul_f64 v[94:95], v[96:97], v[90:91]
	v_fma_f64 v[88:89], -v[88:89], v[94:95], v[96:97]
	v_div_fmas_f64 v[88:89], v[88:89], v[90:91], v[94:95]
	v_div_fixup_f64 v[90:91], v[88:89], v[86:87], 1.0
	v_mul_f64 v[92:93], v[92:93], -v[90:91]
.LBB25_79:
	s_or_b64 exec, exec, s[2:3]
	ds_write2_b64 v1, v[90:91], v[92:93] offset1:1
.LBB25_80:
	s_or_b64 exec, exec, s[4:5]
	s_waitcnt lgkmcnt(0)
	s_barrier
	ds_read2_b64 v[116:119], v1 offset1:1
	v_cmp_lt_u32_e32 vcc, 8, v0
	s_and_saveexec_b64 s[2:3], vcc
	s_cbranch_execz .LBB25_82
; %bb.81:
	s_waitcnt lgkmcnt(0)
	v_mul_f64 v[90:91], v[116:117], v[16:17]
	v_mul_f64 v[16:17], v[118:119], v[16:17]
	v_fma_f64 v[94:95], v[118:119], v[14:15], v[90:91]
	ds_read2_b64 v[90:93], v112 offset0:18 offset1:19
	v_fma_f64 v[14:15], v[116:117], v[14:15], -v[16:17]
	s_waitcnt lgkmcnt(0)
	v_mul_f64 v[16:17], v[92:93], v[94:95]
	v_fma_f64 v[16:17], v[90:91], v[14:15], -v[16:17]
	v_mul_f64 v[90:91], v[90:91], v[94:95]
	v_add_f64 v[10:11], v[10:11], -v[16:17]
	v_fma_f64 v[90:91], v[92:93], v[14:15], v[90:91]
	v_add_f64 v[12:13], v[12:13], -v[90:91]
	ds_read2_b64 v[90:93], v112 offset0:20 offset1:21
	s_waitcnt lgkmcnt(0)
	v_mul_f64 v[16:17], v[92:93], v[94:95]
	v_fma_f64 v[16:17], v[90:91], v[14:15], -v[16:17]
	v_mul_f64 v[90:91], v[90:91], v[94:95]
	v_add_f64 v[6:7], v[6:7], -v[16:17]
	v_fma_f64 v[90:91], v[92:93], v[14:15], v[90:91]
	v_add_f64 v[8:9], v[8:9], -v[90:91]
	ds_read2_b64 v[90:93], v112 offset0:22 offset1:23
	;; [unrolled: 8-line block ×3, first 2 shown]
	s_waitcnt lgkmcnt(0)
	v_mul_f64 v[16:17], v[92:93], v[94:95]
	v_fma_f64 v[16:17], v[90:91], v[14:15], -v[16:17]
	v_mul_f64 v[90:91], v[90:91], v[94:95]
	v_add_f64 v[18:19], v[18:19], -v[16:17]
	v_fma_f64 v[90:91], v[92:93], v[14:15], v[90:91]
	v_mov_b32_e32 v16, v94
	v_mov_b32_e32 v17, v95
	v_add_f64 v[20:21], v[20:21], -v[90:91]
.LBB25_82:
	s_or_b64 exec, exec, s[2:3]
	v_cmp_eq_u32_e32 vcc, 9, v0
	s_waitcnt lgkmcnt(0)
	s_barrier
	s_and_saveexec_b64 s[4:5], vcc
	s_cbranch_execz .LBB25_89
; %bb.83:
	ds_write2_b64 v1, v[10:11], v[12:13] offset1:1
	ds_write2_b64 v112, v[6:7], v[8:9] offset0:20 offset1:21
	ds_write2_b64 v112, v[2:3], v[4:5] offset0:22 offset1:23
	;; [unrolled: 1-line block ×3, first 2 shown]
	ds_read2_b64 v[90:93], v1 offset1:1
	s_waitcnt lgkmcnt(0)
	v_cmp_neq_f64_e32 vcc, 0, v[90:91]
	v_cmp_neq_f64_e64 s[2:3], 0, v[92:93]
	s_or_b64 s[2:3], vcc, s[2:3]
	s_and_b64 exec, exec, s[2:3]
	s_cbranch_execz .LBB25_89
; %bb.84:
	v_cmp_ngt_f64_e64 s[2:3], |v[90:91]|, |v[92:93]|
                                        ; implicit-def: $vgpr94_vgpr95
	s_and_saveexec_b64 s[6:7], s[2:3]
	s_xor_b64 s[2:3], exec, s[6:7]
                                        ; implicit-def: $vgpr96_vgpr97
	s_cbranch_execz .LBB25_86
; %bb.85:
	v_div_scale_f64 v[94:95], s[6:7], v[92:93], v[92:93], v[90:91]
	v_rcp_f64_e32 v[96:97], v[94:95]
	v_fma_f64 v[98:99], -v[94:95], v[96:97], 1.0
	v_fma_f64 v[96:97], v[96:97], v[98:99], v[96:97]
	v_div_scale_f64 v[98:99], vcc, v[90:91], v[92:93], v[90:91]
	v_fma_f64 v[100:101], -v[94:95], v[96:97], 1.0
	v_fma_f64 v[96:97], v[96:97], v[100:101], v[96:97]
	v_mul_f64 v[100:101], v[98:99], v[96:97]
	v_fma_f64 v[94:95], -v[94:95], v[100:101], v[98:99]
	v_div_fmas_f64 v[94:95], v[94:95], v[96:97], v[100:101]
	v_div_fixup_f64 v[94:95], v[94:95], v[92:93], v[90:91]
	v_fma_f64 v[90:91], v[90:91], v[94:95], v[92:93]
	v_div_scale_f64 v[92:93], s[6:7], v[90:91], v[90:91], 1.0
	v_div_scale_f64 v[100:101], vcc, 1.0, v[90:91], 1.0
	v_rcp_f64_e32 v[96:97], v[92:93]
	v_fma_f64 v[98:99], -v[92:93], v[96:97], 1.0
	v_fma_f64 v[96:97], v[96:97], v[98:99], v[96:97]
	v_fma_f64 v[98:99], -v[92:93], v[96:97], 1.0
	v_fma_f64 v[96:97], v[96:97], v[98:99], v[96:97]
	v_mul_f64 v[98:99], v[100:101], v[96:97]
	v_fma_f64 v[92:93], -v[92:93], v[98:99], v[100:101]
	v_div_fmas_f64 v[92:93], v[92:93], v[96:97], v[98:99]
	v_div_fixup_f64 v[96:97], v[92:93], v[90:91], 1.0
                                        ; implicit-def: $vgpr90_vgpr91
	v_mul_f64 v[94:95], v[94:95], v[96:97]
	v_xor_b32_e32 v97, 0x80000000, v97
.LBB25_86:
	s_andn2_saveexec_b64 s[2:3], s[2:3]
	s_cbranch_execz .LBB25_88
; %bb.87:
	v_div_scale_f64 v[94:95], s[6:7], v[90:91], v[90:91], v[92:93]
	v_rcp_f64_e32 v[96:97], v[94:95]
	v_fma_f64 v[98:99], -v[94:95], v[96:97], 1.0
	v_fma_f64 v[96:97], v[96:97], v[98:99], v[96:97]
	v_div_scale_f64 v[98:99], vcc, v[92:93], v[90:91], v[92:93]
	v_fma_f64 v[100:101], -v[94:95], v[96:97], 1.0
	v_fma_f64 v[96:97], v[96:97], v[100:101], v[96:97]
	v_mul_f64 v[100:101], v[98:99], v[96:97]
	v_fma_f64 v[94:95], -v[94:95], v[100:101], v[98:99]
	v_div_fmas_f64 v[94:95], v[94:95], v[96:97], v[100:101]
	v_div_fixup_f64 v[96:97], v[94:95], v[90:91], v[92:93]
	v_fma_f64 v[90:91], v[92:93], v[96:97], v[90:91]
	v_div_scale_f64 v[92:93], s[6:7], v[90:91], v[90:91], 1.0
	v_div_scale_f64 v[100:101], vcc, 1.0, v[90:91], 1.0
	v_rcp_f64_e32 v[94:95], v[92:93]
	v_fma_f64 v[98:99], -v[92:93], v[94:95], 1.0
	v_fma_f64 v[94:95], v[94:95], v[98:99], v[94:95]
	v_fma_f64 v[98:99], -v[92:93], v[94:95], 1.0
	v_fma_f64 v[94:95], v[94:95], v[98:99], v[94:95]
	v_mul_f64 v[98:99], v[100:101], v[94:95]
	v_fma_f64 v[92:93], -v[92:93], v[98:99], v[100:101]
	v_div_fmas_f64 v[92:93], v[92:93], v[94:95], v[98:99]
	v_div_fixup_f64 v[94:95], v[92:93], v[90:91], 1.0
	v_mul_f64 v[96:97], v[96:97], -v[94:95]
.LBB25_88:
	s_or_b64 exec, exec, s[2:3]
	ds_write2_b64 v1, v[94:95], v[96:97] offset1:1
.LBB25_89:
	s_or_b64 exec, exec, s[4:5]
	s_waitcnt lgkmcnt(0)
	s_barrier
	ds_read2_b64 v[90:93], v1 offset1:1
	v_cmp_lt_u32_e32 vcc, 9, v0
	s_and_saveexec_b64 s[2:3], vcc
	s_cbranch_execz .LBB25_91
; %bb.90:
	s_waitcnt lgkmcnt(0)
	v_mul_f64 v[94:95], v[90:91], v[12:13]
	v_mul_f64 v[12:13], v[92:93], v[12:13]
	v_fma_f64 v[98:99], v[92:93], v[10:11], v[94:95]
	ds_read2_b64 v[94:97], v112 offset0:20 offset1:21
	v_fma_f64 v[10:11], v[90:91], v[10:11], -v[12:13]
	s_waitcnt lgkmcnt(0)
	v_mul_f64 v[12:13], v[96:97], v[98:99]
	v_fma_f64 v[12:13], v[94:95], v[10:11], -v[12:13]
	v_mul_f64 v[94:95], v[94:95], v[98:99]
	v_add_f64 v[6:7], v[6:7], -v[12:13]
	v_fma_f64 v[94:95], v[96:97], v[10:11], v[94:95]
	v_add_f64 v[8:9], v[8:9], -v[94:95]
	ds_read2_b64 v[94:97], v112 offset0:22 offset1:23
	s_waitcnt lgkmcnt(0)
	v_mul_f64 v[12:13], v[96:97], v[98:99]
	v_fma_f64 v[12:13], v[94:95], v[10:11], -v[12:13]
	v_mul_f64 v[94:95], v[94:95], v[98:99]
	v_add_f64 v[2:3], v[2:3], -v[12:13]
	v_fma_f64 v[94:95], v[96:97], v[10:11], v[94:95]
	v_add_f64 v[4:5], v[4:5], -v[94:95]
	ds_read2_b64 v[94:97], v112 offset0:24 offset1:25
	s_waitcnt lgkmcnt(0)
	v_mul_f64 v[12:13], v[96:97], v[98:99]
	v_fma_f64 v[12:13], v[94:95], v[10:11], -v[12:13]
	v_mul_f64 v[94:95], v[94:95], v[98:99]
	v_add_f64 v[18:19], v[18:19], -v[12:13]
	v_fma_f64 v[94:95], v[96:97], v[10:11], v[94:95]
	v_mov_b32_e32 v12, v98
	v_mov_b32_e32 v13, v99
	v_add_f64 v[20:21], v[20:21], -v[94:95]
.LBB25_91:
	s_or_b64 exec, exec, s[2:3]
	v_cmp_eq_u32_e32 vcc, 10, v0
	s_waitcnt lgkmcnt(0)
	s_barrier
	s_and_saveexec_b64 s[4:5], vcc
	s_cbranch_execz .LBB25_98
; %bb.92:
	ds_write2_b64 v1, v[6:7], v[8:9] offset1:1
	ds_write2_b64 v112, v[2:3], v[4:5] offset0:22 offset1:23
	ds_write2_b64 v112, v[18:19], v[20:21] offset0:24 offset1:25
	ds_read2_b64 v[94:97], v1 offset1:1
	s_waitcnt lgkmcnt(0)
	v_cmp_neq_f64_e32 vcc, 0, v[94:95]
	v_cmp_neq_f64_e64 s[2:3], 0, v[96:97]
	s_or_b64 s[2:3], vcc, s[2:3]
	s_and_b64 exec, exec, s[2:3]
	s_cbranch_execz .LBB25_98
; %bb.93:
	v_cmp_ngt_f64_e64 s[2:3], |v[94:95]|, |v[96:97]|
                                        ; implicit-def: $vgpr98_vgpr99
	s_and_saveexec_b64 s[6:7], s[2:3]
	s_xor_b64 s[2:3], exec, s[6:7]
                                        ; implicit-def: $vgpr100_vgpr101
	s_cbranch_execz .LBB25_95
; %bb.94:
	v_div_scale_f64 v[98:99], s[6:7], v[96:97], v[96:97], v[94:95]
	v_rcp_f64_e32 v[100:101], v[98:99]
	v_fma_f64 v[102:103], -v[98:99], v[100:101], 1.0
	v_fma_f64 v[100:101], v[100:101], v[102:103], v[100:101]
	v_div_scale_f64 v[102:103], vcc, v[94:95], v[96:97], v[94:95]
	v_fma_f64 v[104:105], -v[98:99], v[100:101], 1.0
	v_fma_f64 v[100:101], v[100:101], v[104:105], v[100:101]
	v_mul_f64 v[104:105], v[102:103], v[100:101]
	v_fma_f64 v[98:99], -v[98:99], v[104:105], v[102:103]
	v_div_fmas_f64 v[98:99], v[98:99], v[100:101], v[104:105]
	v_div_fixup_f64 v[98:99], v[98:99], v[96:97], v[94:95]
	v_fma_f64 v[94:95], v[94:95], v[98:99], v[96:97]
	v_div_scale_f64 v[96:97], s[6:7], v[94:95], v[94:95], 1.0
	v_div_scale_f64 v[104:105], vcc, 1.0, v[94:95], 1.0
	v_rcp_f64_e32 v[100:101], v[96:97]
	v_fma_f64 v[102:103], -v[96:97], v[100:101], 1.0
	v_fma_f64 v[100:101], v[100:101], v[102:103], v[100:101]
	v_fma_f64 v[102:103], -v[96:97], v[100:101], 1.0
	v_fma_f64 v[100:101], v[100:101], v[102:103], v[100:101]
	v_mul_f64 v[102:103], v[104:105], v[100:101]
	v_fma_f64 v[96:97], -v[96:97], v[102:103], v[104:105]
	v_div_fmas_f64 v[96:97], v[96:97], v[100:101], v[102:103]
	v_div_fixup_f64 v[100:101], v[96:97], v[94:95], 1.0
                                        ; implicit-def: $vgpr94_vgpr95
	v_mul_f64 v[98:99], v[98:99], v[100:101]
	v_xor_b32_e32 v101, 0x80000000, v101
.LBB25_95:
	s_andn2_saveexec_b64 s[2:3], s[2:3]
	s_cbranch_execz .LBB25_97
; %bb.96:
	v_div_scale_f64 v[98:99], s[6:7], v[94:95], v[94:95], v[96:97]
	v_rcp_f64_e32 v[100:101], v[98:99]
	v_fma_f64 v[102:103], -v[98:99], v[100:101], 1.0
	v_fma_f64 v[100:101], v[100:101], v[102:103], v[100:101]
	v_div_scale_f64 v[102:103], vcc, v[96:97], v[94:95], v[96:97]
	v_fma_f64 v[104:105], -v[98:99], v[100:101], 1.0
	v_fma_f64 v[100:101], v[100:101], v[104:105], v[100:101]
	v_mul_f64 v[104:105], v[102:103], v[100:101]
	v_fma_f64 v[98:99], -v[98:99], v[104:105], v[102:103]
	v_div_fmas_f64 v[98:99], v[98:99], v[100:101], v[104:105]
	v_div_fixup_f64 v[100:101], v[98:99], v[94:95], v[96:97]
	v_fma_f64 v[94:95], v[96:97], v[100:101], v[94:95]
	v_div_scale_f64 v[96:97], s[6:7], v[94:95], v[94:95], 1.0
	v_div_scale_f64 v[104:105], vcc, 1.0, v[94:95], 1.0
	v_rcp_f64_e32 v[98:99], v[96:97]
	v_fma_f64 v[102:103], -v[96:97], v[98:99], 1.0
	v_fma_f64 v[98:99], v[98:99], v[102:103], v[98:99]
	v_fma_f64 v[102:103], -v[96:97], v[98:99], 1.0
	v_fma_f64 v[98:99], v[98:99], v[102:103], v[98:99]
	v_mul_f64 v[102:103], v[104:105], v[98:99]
	v_fma_f64 v[96:97], -v[96:97], v[102:103], v[104:105]
	v_div_fmas_f64 v[96:97], v[96:97], v[98:99], v[102:103]
	v_div_fixup_f64 v[98:99], v[96:97], v[94:95], 1.0
	v_mul_f64 v[100:101], v[100:101], -v[98:99]
.LBB25_97:
	s_or_b64 exec, exec, s[2:3]
	ds_write2_b64 v1, v[98:99], v[100:101] offset1:1
.LBB25_98:
	s_or_b64 exec, exec, s[4:5]
	s_waitcnt lgkmcnt(0)
	s_barrier
	ds_read2_b64 v[98:101], v1 offset1:1
	v_cmp_lt_u32_e32 vcc, 10, v0
	s_and_saveexec_b64 s[2:3], vcc
	s_cbranch_execz .LBB25_100
; %bb.99:
	s_waitcnt lgkmcnt(0)
	v_mul_f64 v[94:95], v[98:99], v[8:9]
	v_mul_f64 v[8:9], v[100:101], v[8:9]
	v_fma_f64 v[102:103], v[100:101], v[6:7], v[94:95]
	ds_read2_b64 v[94:97], v112 offset0:22 offset1:23
	v_fma_f64 v[6:7], v[98:99], v[6:7], -v[8:9]
	s_waitcnt lgkmcnt(0)
	v_mul_f64 v[8:9], v[96:97], v[102:103]
	v_fma_f64 v[8:9], v[94:95], v[6:7], -v[8:9]
	v_mul_f64 v[94:95], v[94:95], v[102:103]
	v_add_f64 v[2:3], v[2:3], -v[8:9]
	v_fma_f64 v[94:95], v[96:97], v[6:7], v[94:95]
	v_add_f64 v[4:5], v[4:5], -v[94:95]
	ds_read2_b64 v[94:97], v112 offset0:24 offset1:25
	s_waitcnt lgkmcnt(0)
	v_mul_f64 v[8:9], v[96:97], v[102:103]
	v_fma_f64 v[8:9], v[94:95], v[6:7], -v[8:9]
	v_mul_f64 v[94:95], v[94:95], v[102:103]
	v_add_f64 v[18:19], v[18:19], -v[8:9]
	v_fma_f64 v[94:95], v[96:97], v[6:7], v[94:95]
	v_mov_b32_e32 v8, v102
	v_mov_b32_e32 v9, v103
	v_add_f64 v[20:21], v[20:21], -v[94:95]
.LBB25_100:
	s_or_b64 exec, exec, s[2:3]
	v_cmp_eq_u32_e32 vcc, 11, v0
	s_waitcnt lgkmcnt(0)
	s_barrier
	s_and_saveexec_b64 s[4:5], vcc
	s_cbranch_execz .LBB25_107
; %bb.101:
	ds_write2_b64 v1, v[2:3], v[4:5] offset1:1
	ds_write2_b64 v112, v[18:19], v[20:21] offset0:24 offset1:25
	ds_read2_b64 v[94:97], v1 offset1:1
	s_waitcnt lgkmcnt(0)
	v_cmp_neq_f64_e32 vcc, 0, v[94:95]
	v_cmp_neq_f64_e64 s[2:3], 0, v[96:97]
	s_or_b64 s[2:3], vcc, s[2:3]
	s_and_b64 exec, exec, s[2:3]
	s_cbranch_execz .LBB25_107
; %bb.102:
	v_cmp_ngt_f64_e64 s[2:3], |v[94:95]|, |v[96:97]|
                                        ; implicit-def: $vgpr102_vgpr103
	s_and_saveexec_b64 s[6:7], s[2:3]
	s_xor_b64 s[2:3], exec, s[6:7]
                                        ; implicit-def: $vgpr104_vgpr105
	s_cbranch_execz .LBB25_104
; %bb.103:
	v_div_scale_f64 v[102:103], s[6:7], v[96:97], v[96:97], v[94:95]
	v_div_scale_f64 v[56:57], vcc, v[94:95], v[96:97], v[94:95]
	v_rcp_f64_e32 v[104:105], v[102:103]
	v_fma_f64 v[54:55], -v[102:103], v[104:105], 1.0
	v_fma_f64 v[54:55], v[104:105], v[54:55], v[104:105]
	v_fma_f64 v[104:105], -v[102:103], v[54:55], 1.0
	v_fma_f64 v[54:55], v[54:55], v[104:105], v[54:55]
	v_mul_f64 v[104:105], v[56:57], v[54:55]
	v_fma_f64 v[56:57], -v[102:103], v[104:105], v[56:57]
	v_div_fmas_f64 v[54:55], v[56:57], v[54:55], v[104:105]
	v_div_fixup_f64 v[54:55], v[54:55], v[96:97], v[94:95]
	v_fma_f64 v[56:57], v[94:95], v[54:55], v[96:97]
	v_div_scale_f64 v[94:95], s[6:7], v[56:57], v[56:57], 1.0
	v_div_scale_f64 v[104:105], vcc, 1.0, v[56:57], 1.0
	v_rcp_f64_e32 v[96:97], v[94:95]
	v_fma_f64 v[102:103], -v[94:95], v[96:97], 1.0
	v_fma_f64 v[96:97], v[96:97], v[102:103], v[96:97]
	v_fma_f64 v[102:103], -v[94:95], v[96:97], 1.0
	v_fma_f64 v[96:97], v[96:97], v[102:103], v[96:97]
	v_mul_f64 v[102:103], v[104:105], v[96:97]
	v_fma_f64 v[94:95], -v[94:95], v[102:103], v[104:105]
	v_div_fmas_f64 v[94:95], v[94:95], v[96:97], v[102:103]
	v_div_fixup_f64 v[104:105], v[94:95], v[56:57], 1.0
                                        ; implicit-def: $vgpr94_vgpr95
	v_mul_f64 v[102:103], v[54:55], v[104:105]
	v_xor_b32_e32 v105, 0x80000000, v105
.LBB25_104:
	s_andn2_saveexec_b64 s[2:3], s[2:3]
	s_cbranch_execz .LBB25_106
; %bb.105:
	v_div_scale_f64 v[54:55], s[6:7], v[94:95], v[94:95], v[96:97]
	v_rcp_f64_e32 v[56:57], v[54:55]
	v_fma_f64 v[102:103], -v[54:55], v[56:57], 1.0
	v_fma_f64 v[56:57], v[56:57], v[102:103], v[56:57]
	v_div_scale_f64 v[102:103], vcc, v[96:97], v[94:95], v[96:97]
	v_fma_f64 v[104:105], -v[54:55], v[56:57], 1.0
	v_fma_f64 v[56:57], v[56:57], v[104:105], v[56:57]
	v_mul_f64 v[104:105], v[102:103], v[56:57]
	v_fma_f64 v[54:55], -v[54:55], v[104:105], v[102:103]
	v_div_fmas_f64 v[54:55], v[54:55], v[56:57], v[104:105]
	v_div_fixup_f64 v[54:55], v[54:55], v[94:95], v[96:97]
	v_fma_f64 v[56:57], v[96:97], v[54:55], v[94:95]
	v_div_scale_f64 v[94:95], s[6:7], v[56:57], v[56:57], 1.0
	v_div_scale_f64 v[104:105], vcc, 1.0, v[56:57], 1.0
	v_rcp_f64_e32 v[96:97], v[94:95]
	v_fma_f64 v[102:103], -v[94:95], v[96:97], 1.0
	v_fma_f64 v[96:97], v[96:97], v[102:103], v[96:97]
	v_fma_f64 v[102:103], -v[94:95], v[96:97], 1.0
	v_fma_f64 v[96:97], v[96:97], v[102:103], v[96:97]
	v_mul_f64 v[102:103], v[104:105], v[96:97]
	v_fma_f64 v[94:95], -v[94:95], v[102:103], v[104:105]
	v_div_fmas_f64 v[94:95], v[94:95], v[96:97], v[102:103]
	v_div_fixup_f64 v[102:103], v[94:95], v[56:57], 1.0
	v_mul_f64 v[104:105], v[54:55], -v[102:103]
.LBB25_106:
	s_or_b64 exec, exec, s[2:3]
	ds_write2_b64 v1, v[102:103], v[104:105] offset1:1
.LBB25_107:
	s_or_b64 exec, exec, s[4:5]
	s_waitcnt lgkmcnt(0)
	s_barrier
	ds_read2_b64 v[102:105], v1 offset1:1
	v_cmp_lt_u32_e32 vcc, 11, v0
	s_and_saveexec_b64 s[2:3], vcc
	s_cbranch_execz .LBB25_109
; %bb.108:
	s_waitcnt lgkmcnt(0)
	v_mul_f64 v[54:55], v[102:103], v[4:5]
	v_mul_f64 v[4:5], v[104:105], v[4:5]
	ds_read2_b64 v[94:97], v112 offset0:24 offset1:25
	v_fma_f64 v[54:55], v[104:105], v[2:3], v[54:55]
	v_fma_f64 v[2:3], v[102:103], v[2:3], -v[4:5]
	s_waitcnt lgkmcnt(0)
	v_mul_f64 v[4:5], v[96:97], v[54:55]
	v_mul_f64 v[56:57], v[94:95], v[54:55]
	v_fma_f64 v[4:5], v[94:95], v[2:3], -v[4:5]
	v_fma_f64 v[56:57], v[96:97], v[2:3], v[56:57]
	v_add_f64 v[18:19], v[18:19], -v[4:5]
	v_add_f64 v[20:21], v[20:21], -v[56:57]
	v_mov_b32_e32 v4, v54
	v_mov_b32_e32 v5, v55
.LBB25_109:
	s_or_b64 exec, exec, s[2:3]
	v_cmp_eq_u32_e32 vcc, 12, v0
	s_waitcnt lgkmcnt(0)
	s_barrier
	s_and_saveexec_b64 s[4:5], vcc
	s_cbranch_execz .LBB25_116
; %bb.110:
	v_cmp_neq_f64_e32 vcc, 0, v[18:19]
	v_cmp_neq_f64_e64 s[2:3], 0, v[20:21]
	ds_write2_b64 v1, v[18:19], v[20:21] offset1:1
	s_or_b64 s[2:3], vcc, s[2:3]
	s_and_b64 exec, exec, s[2:3]
	s_cbranch_execz .LBB25_116
; %bb.111:
	v_cmp_ngt_f64_e64 s[2:3], |v[18:19]|, |v[20:21]|
                                        ; implicit-def: $vgpr94_vgpr95
	s_and_saveexec_b64 s[6:7], s[2:3]
	s_xor_b64 s[2:3], exec, s[6:7]
                                        ; implicit-def: $vgpr96_vgpr97
	s_cbranch_execz .LBB25_113
; %bb.112:
	v_div_scale_f64 v[54:55], s[6:7], v[20:21], v[20:21], v[18:19]
	v_mov_b32_e32 v87, v41
	v_mov_b32_e32 v86, v40
	;; [unrolled: 1-line block ×14, first 2 shown]
	v_rcp_f64_e32 v[56:57], v[54:55]
	v_mov_b32_e32 v48, v122
	v_mov_b32_e32 v49, v123
	v_mov_b32_e32 v121, v114
	v_mov_b32_e32 v120, v113
	v_mov_b32_e32 v83, v81
	v_mov_b32_e32 v82, v80
	v_mov_b32_e32 v81, v79
	v_mov_b32_e32 v80, v78
	v_mov_b32_e32 v79, v77
	v_mov_b32_e32 v78, v76
	v_mov_b32_e32 v77, v75
	v_mov_b32_e32 v76, v74
	v_mov_b32_e32 v75, v73
	v_mov_b32_e32 v74, v72
	v_mov_b32_e32 v73, v71
	v_fma_f64 v[94:95], -v[54:55], v[56:57], 1.0
	v_mov_b32_e32 v72, v70
	v_mov_b32_e32 v71, v69
	;; [unrolled: 1-line block ×7, first 2 shown]
	v_fma_f64 v[56:57], v[56:57], v[94:95], v[56:57]
	v_div_scale_f64 v[94:95], vcc, v[18:19], v[20:21], v[18:19]
	v_mov_b32_e32 v65, v63
	v_mov_b32_e32 v64, v62
	;; [unrolled: 1-line block ×5, first 2 shown]
	v_fma_f64 v[96:97], -v[54:55], v[56:57], 1.0
	v_mov_b32_e32 v60, v58
	v_mov_b32_e32 v58, v60
	;; [unrolled: 1-line block ×7, first 2 shown]
	v_fma_f64 v[56:57], v[56:57], v[96:97], v[56:57]
	v_mov_b32_e32 v64, v66
	v_mov_b32_e32 v65, v67
	;; [unrolled: 1-line block ×7, first 2 shown]
	v_mul_f64 v[96:97], v[94:95], v[56:57]
	v_mov_b32_e32 v71, v73
	v_mov_b32_e32 v72, v74
	;; [unrolled: 1-line block ×7, first 2 shown]
	v_fma_f64 v[54:55], -v[54:55], v[96:97], v[94:95]
	v_mov_b32_e32 v78, v80
	v_mov_b32_e32 v79, v81
	;; [unrolled: 1-line block ×4, first 2 shown]
	v_div_fmas_f64 v[54:55], v[54:55], v[56:57], v[96:97]
	v_div_fixup_f64 v[54:55], v[54:55], v[20:21], v[18:19]
	v_fma_f64 v[56:57], v[18:19], v[54:55], v[20:21]
	v_div_scale_f64 v[94:95], s[6:7], v[56:57], v[56:57], 1.0
	v_div_scale_f64 v[114:115], vcc, 1.0, v[56:57], 1.0
	v_rcp_f64_e32 v[96:97], v[94:95]
	v_fma_f64 v[112:113], -v[94:95], v[96:97], 1.0
	v_fma_f64 v[96:97], v[96:97], v[112:113], v[96:97]
	v_fma_f64 v[112:113], -v[94:95], v[96:97], 1.0
	v_fma_f64 v[96:97], v[96:97], v[112:113], v[96:97]
	v_mul_f64 v[112:113], v[114:115], v[96:97]
	v_fma_f64 v[94:95], -v[94:95], v[112:113], v[114:115]
	v_div_fmas_f64 v[94:95], v[94:95], v[96:97], v[112:113]
	v_mov_b32_e32 v113, v120
	v_mov_b32_e32 v114, v121
	;; [unrolled: 1-line block ×15, first 2 shown]
	v_div_fixup_f64 v[96:97], v[94:95], v[56:57], 1.0
	v_mov_b32_e32 v39, v85
	v_mov_b32_e32 v40, v86
	;; [unrolled: 1-line block ×3, first 2 shown]
	v_mul_f64 v[94:95], v[54:55], v[96:97]
	v_xor_b32_e32 v97, 0x80000000, v97
.LBB25_113:
	s_andn2_saveexec_b64 s[2:3], s[2:3]
	s_cbranch_execz .LBB25_115
; %bb.114:
	v_div_scale_f64 v[54:55], s[6:7], v[18:19], v[18:19], v[20:21]
	v_mov_b32_e32 v87, v41
	v_mov_b32_e32 v86, v40
	;; [unrolled: 1-line block ×14, first 2 shown]
	v_rcp_f64_e32 v[56:57], v[54:55]
	v_mov_b32_e32 v48, v122
	v_mov_b32_e32 v49, v123
	;; [unrolled: 1-line block ×15, first 2 shown]
	v_fma_f64 v[94:95], -v[54:55], v[56:57], 1.0
	v_mov_b32_e32 v72, v70
	v_mov_b32_e32 v71, v69
	;; [unrolled: 1-line block ×7, first 2 shown]
	v_fma_f64 v[56:57], v[56:57], v[94:95], v[56:57]
	v_div_scale_f64 v[94:95], vcc, v[20:21], v[18:19], v[20:21]
	v_mov_b32_e32 v65, v63
	v_mov_b32_e32 v64, v62
	;; [unrolled: 1-line block ×5, first 2 shown]
	v_fma_f64 v[96:97], -v[54:55], v[56:57], 1.0
	v_mov_b32_e32 v60, v58
	v_mov_b32_e32 v58, v60
	;; [unrolled: 1-line block ×7, first 2 shown]
	v_fma_f64 v[56:57], v[56:57], v[96:97], v[56:57]
	v_mov_b32_e32 v64, v66
	v_mov_b32_e32 v65, v67
	;; [unrolled: 1-line block ×7, first 2 shown]
	v_mul_f64 v[96:97], v[94:95], v[56:57]
	v_mov_b32_e32 v71, v73
	v_mov_b32_e32 v72, v74
	;; [unrolled: 1-line block ×7, first 2 shown]
	v_fma_f64 v[54:55], -v[54:55], v[96:97], v[94:95]
	v_mov_b32_e32 v78, v80
	v_mov_b32_e32 v79, v81
	;; [unrolled: 1-line block ×4, first 2 shown]
	v_div_fmas_f64 v[54:55], v[54:55], v[56:57], v[96:97]
	v_div_fixup_f64 v[54:55], v[54:55], v[18:19], v[20:21]
	v_fma_f64 v[56:57], v[20:21], v[54:55], v[18:19]
	v_div_scale_f64 v[94:95], s[6:7], v[56:57], v[56:57], 1.0
	v_div_scale_f64 v[114:115], vcc, 1.0, v[56:57], 1.0
	v_rcp_f64_e32 v[96:97], v[94:95]
	v_fma_f64 v[112:113], -v[94:95], v[96:97], 1.0
	v_fma_f64 v[96:97], v[96:97], v[112:113], v[96:97]
	v_fma_f64 v[112:113], -v[94:95], v[96:97], 1.0
	v_fma_f64 v[96:97], v[96:97], v[112:113], v[96:97]
	v_mul_f64 v[112:113], v[114:115], v[96:97]
	v_fma_f64 v[94:95], -v[94:95], v[112:113], v[114:115]
	v_div_fmas_f64 v[94:95], v[94:95], v[96:97], v[112:113]
	v_mov_b32_e32 v113, v120
	v_mov_b32_e32 v114, v121
	;; [unrolled: 1-line block ×15, first 2 shown]
	v_div_fixup_f64 v[94:95], v[94:95], v[56:57], 1.0
	v_mov_b32_e32 v39, v85
	v_mov_b32_e32 v40, v86
	v_mov_b32_e32 v41, v87
	v_mul_f64 v[96:97], v[54:55], -v[94:95]
.LBB25_115:
	s_or_b64 exec, exec, s[2:3]
	ds_write2_b64 v1, v[94:95], v[96:97] offset1:1
.LBB25_116:
	s_or_b64 exec, exec, s[4:5]
	s_waitcnt lgkmcnt(0)
	s_barrier
	ds_read2_b64 v[94:97], v1 offset1:1
	s_waitcnt lgkmcnt(0)
	s_barrier
	s_and_saveexec_b64 s[2:3], s[0:1]
	s_cbranch_execz .LBB25_119
; %bb.117:
	buffer_load_dword v54, off, s[20:23], 0 offset:32 ; 4-byte Folded Reload
	buffer_load_dword v55, off, s[20:23], 0 offset:36 ; 4-byte Folded Reload
	;; [unrolled: 1-line block ×4, first 2 shown]
	s_waitcnt vmcnt(2)
	v_cmp_eq_f64_e32 vcc, 0, v[54:55]
	v_lshlrev_b64 v[54:55], 2, v[110:111]
	s_waitcnt vmcnt(0)
	v_cmp_eq_f64_e64 s[0:1], 0, v[56:57]
	v_mov_b32_e32 v56, s11
	s_and_b64 s[4:5], vcc, s[0:1]
	v_cmp_neq_f64_e32 vcc, 0, v[58:59]
	v_cmp_neq_f64_e64 s[0:1], 0, v[60:61]
	v_cndmask_b32_e64 v1, 0, 1, s[4:5]
	s_or_b64 s[0:1], vcc, s[0:1]
	s_or_b64 vcc, s[0:1], s[4:5]
	v_cndmask_b32_e32 v1, 2, v1, vcc
	v_cmp_eq_f64_e32 vcc, 0, v[62:63]
	v_cmp_eq_f64_e64 s[0:1], 0, v[64:65]
	s_and_b64 s[0:1], vcc, s[0:1]
	v_cmp_eq_u32_e32 vcc, 0, v1
	s_and_b64 s[0:1], s[0:1], vcc
	v_cndmask_b32_e64 v1, v1, 3, s[0:1]
	v_cmp_eq_f64_e32 vcc, 0, v[66:67]
	v_cmp_eq_f64_e64 s[0:1], 0, v[68:69]
	s_and_b64 s[0:1], vcc, s[0:1]
	v_cmp_eq_u32_e32 vcc, 0, v1
	s_and_b64 s[0:1], s[0:1], vcc
	v_cndmask_b32_e64 v1, v1, 4, s[0:1]
	;; [unrolled: 6-line block ×10, first 2 shown]
	v_cmp_eq_f64_e32 vcc, 0, v[94:95]
	v_cmp_eq_f64_e64 s[0:1], 0, v[96:97]
	s_and_b64 s[0:1], vcc, s[0:1]
	v_cmp_eq_u32_e32 vcc, 0, v1
	s_and_b64 s[0:1], s[0:1], vcc
	v_add_co_u32_e32 v54, vcc, s10, v54
	v_addc_co_u32_e32 v55, vcc, v56, v55, vcc
	global_load_dword v56, v[54:55], off
	v_cndmask_b32_e64 v1, v1, 13, s[0:1]
	v_cmp_ne_u32_e64 s[0:1], 0, v1
	s_waitcnt vmcnt(0)
	v_cmp_eq_u32_e32 vcc, 0, v56
	s_and_b64 s[0:1], vcc, s[0:1]
	s_and_b64 exec, exec, s[0:1]
	s_cbranch_execz .LBB25_119
; %bb.118:
	v_add_u32_e32 v1, s13, v1
	global_store_dword v[54:55], v1, off
.LBB25_119:
	s_or_b64 exec, exec, s[2:3]
	global_store_dwordx4 v[106:107], v[120:123], off
	buffer_load_dword v50, off, s[20:23], 0 offset:24 ; 4-byte Folded Reload
	buffer_load_dword v51, off, s[20:23], 0 offset:28 ; 4-byte Folded Reload
	v_cmp_lt_u32_e32 vcc, 12, v0
	v_mul_f64 v[54:55], v[94:95], v[20:21]
	v_mul_f64 v[56:57], v[96:97], v[20:21]
	s_waitcnt vmcnt(0)
	global_store_dwordx4 v[50:51], v[46:49], off
	buffer_load_dword v46, off, s[20:23], 0 offset:56 ; 4-byte Folded Reload
	s_nop 0
	buffer_load_dword v47, off, s[20:23], 0 offset:60 ; 4-byte Folded Reload
	s_waitcnt vmcnt(0)
	global_store_dwordx4 v[46:47], v[42:45], off
	buffer_load_dword v44, off, s[20:23], 0 offset:48 ; 4-byte Folded Reload
	s_nop 0
	buffer_load_dword v45, off, s[20:23], 0 offset:52 ; 4-byte Folded Reload
	v_fma_f64 v[42:43], v[96:97], v[18:19], v[54:55]
	v_cndmask_b32_e32 v21, v21, v43, vcc
	v_cndmask_b32_e32 v20, v20, v42, vcc
	s_waitcnt vmcnt(0)
	global_store_dwordx4 v[44:45], v[38:41], off
	global_store_dwordx4 v[113:114], v[34:37], off
	buffer_load_dword v34, off, s[20:23], 0 offset:80 ; 4-byte Folded Reload
	s_nop 0
	buffer_load_dword v35, off, s[20:23], 0 offset:84 ; 4-byte Folded Reload
	v_fma_f64 v[38:39], v[94:95], v[18:19], -v[56:57]
	v_cndmask_b32_e32 v19, v19, v39, vcc
	v_cndmask_b32_e32 v18, v18, v38, vcc
	s_waitcnt vmcnt(0)
	global_store_dwordx4 v[34:35], v[30:33], off
	buffer_load_dword v30, off, s[20:23], 0 offset:72 ; 4-byte Folded Reload
	s_nop 0
	buffer_load_dword v31, off, s[20:23], 0 offset:76 ; 4-byte Folded Reload
	s_waitcnt vmcnt(0)
	global_store_dwordx4 v[30:31], v[26:29], off
	buffer_load_dword v26, off, s[20:23], 0 offset:64 ; 4-byte Folded Reload
	s_nop 0
	buffer_load_dword v27, off, s[20:23], 0 offset:68 ; 4-byte Folded Reload
	s_waitcnt vmcnt(0)
	global_store_dwordx4 v[26:27], v[22:25], off
	global_store_dwordx4 v[125:126], v[14:17], off
	;; [unrolled: 1-line block ×3, first 2 shown]
	buffer_load_dword v0, off, s[20:23], 0  ; 4-byte Folded Reload
	buffer_load_dword v1, off, s[20:23], 0 offset:4 ; 4-byte Folded Reload
	s_waitcnt vmcnt(0)
	global_store_dwordx4 v[0:1], v[6:9], off
	buffer_load_dword v0, off, s[20:23], 0 offset:8 ; 4-byte Folded Reload
	s_nop 0
	buffer_load_dword v1, off, s[20:23], 0 offset:12 ; 4-byte Folded Reload
	s_waitcnt vmcnt(0)
	global_store_dwordx4 v[0:1], v[2:5], off
	buffer_load_dword v0, off, s[20:23], 0 offset:16 ; 4-byte Folded Reload
	s_nop 0
	buffer_load_dword v1, off, s[20:23], 0 offset:20 ; 4-byte Folded Reload
	s_waitcnt vmcnt(0)
	global_store_dwordx4 v[0:1], v[18:21], off
.LBB25_120:
	s_endpgm
	.section	.rodata,"a",@progbits
	.p2align	6, 0x0
	.amdhsa_kernel _ZN9rocsolver6v33100L23getf2_npvt_small_kernelILi13E19rocblas_complex_numIdEiiPS3_EEvT1_T3_lS5_lPT2_S5_S5_
		.amdhsa_group_segment_fixed_size 0
		.amdhsa_private_segment_fixed_size 92
		.amdhsa_kernarg_size 312
		.amdhsa_user_sgpr_count 6
		.amdhsa_user_sgpr_private_segment_buffer 1
		.amdhsa_user_sgpr_dispatch_ptr 0
		.amdhsa_user_sgpr_queue_ptr 0
		.amdhsa_user_sgpr_kernarg_segment_ptr 1
		.amdhsa_user_sgpr_dispatch_id 0
		.amdhsa_user_sgpr_flat_scratch_init 0
		.amdhsa_user_sgpr_private_segment_size 0
		.amdhsa_uses_dynamic_stack 0
		.amdhsa_system_sgpr_private_segment_wavefront_offset 1
		.amdhsa_system_sgpr_workgroup_id_x 1
		.amdhsa_system_sgpr_workgroup_id_y 1
		.amdhsa_system_sgpr_workgroup_id_z 0
		.amdhsa_system_sgpr_workgroup_info 0
		.amdhsa_system_vgpr_workitem_id 1
		.amdhsa_next_free_vgpr 127
		.amdhsa_next_free_sgpr 24
		.amdhsa_reserve_vcc 1
		.amdhsa_reserve_flat_scratch 0
		.amdhsa_float_round_mode_32 0
		.amdhsa_float_round_mode_16_64 0
		.amdhsa_float_denorm_mode_32 3
		.amdhsa_float_denorm_mode_16_64 3
		.amdhsa_dx10_clamp 1
		.amdhsa_ieee_mode 1
		.amdhsa_fp16_overflow 0
		.amdhsa_exception_fp_ieee_invalid_op 0
		.amdhsa_exception_fp_denorm_src 0
		.amdhsa_exception_fp_ieee_div_zero 0
		.amdhsa_exception_fp_ieee_overflow 0
		.amdhsa_exception_fp_ieee_underflow 0
		.amdhsa_exception_fp_ieee_inexact 0
		.amdhsa_exception_int_div_zero 0
	.end_amdhsa_kernel
	.section	.text._ZN9rocsolver6v33100L23getf2_npvt_small_kernelILi13E19rocblas_complex_numIdEiiPS3_EEvT1_T3_lS5_lPT2_S5_S5_,"axG",@progbits,_ZN9rocsolver6v33100L23getf2_npvt_small_kernelILi13E19rocblas_complex_numIdEiiPS3_EEvT1_T3_lS5_lPT2_S5_S5_,comdat
.Lfunc_end25:
	.size	_ZN9rocsolver6v33100L23getf2_npvt_small_kernelILi13E19rocblas_complex_numIdEiiPS3_EEvT1_T3_lS5_lPT2_S5_S5_, .Lfunc_end25-_ZN9rocsolver6v33100L23getf2_npvt_small_kernelILi13E19rocblas_complex_numIdEiiPS3_EEvT1_T3_lS5_lPT2_S5_S5_
                                        ; -- End function
	.set _ZN9rocsolver6v33100L23getf2_npvt_small_kernelILi13E19rocblas_complex_numIdEiiPS3_EEvT1_T3_lS5_lPT2_S5_S5_.num_vgpr, 127
	.set _ZN9rocsolver6v33100L23getf2_npvt_small_kernelILi13E19rocblas_complex_numIdEiiPS3_EEvT1_T3_lS5_lPT2_S5_S5_.num_agpr, 0
	.set _ZN9rocsolver6v33100L23getf2_npvt_small_kernelILi13E19rocblas_complex_numIdEiiPS3_EEvT1_T3_lS5_lPT2_S5_S5_.numbered_sgpr, 24
	.set _ZN9rocsolver6v33100L23getf2_npvt_small_kernelILi13E19rocblas_complex_numIdEiiPS3_EEvT1_T3_lS5_lPT2_S5_S5_.num_named_barrier, 0
	.set _ZN9rocsolver6v33100L23getf2_npvt_small_kernelILi13E19rocblas_complex_numIdEiiPS3_EEvT1_T3_lS5_lPT2_S5_S5_.private_seg_size, 92
	.set _ZN9rocsolver6v33100L23getf2_npvt_small_kernelILi13E19rocblas_complex_numIdEiiPS3_EEvT1_T3_lS5_lPT2_S5_S5_.uses_vcc, 1
	.set _ZN9rocsolver6v33100L23getf2_npvt_small_kernelILi13E19rocblas_complex_numIdEiiPS3_EEvT1_T3_lS5_lPT2_S5_S5_.uses_flat_scratch, 0
	.set _ZN9rocsolver6v33100L23getf2_npvt_small_kernelILi13E19rocblas_complex_numIdEiiPS3_EEvT1_T3_lS5_lPT2_S5_S5_.has_dyn_sized_stack, 0
	.set _ZN9rocsolver6v33100L23getf2_npvt_small_kernelILi13E19rocblas_complex_numIdEiiPS3_EEvT1_T3_lS5_lPT2_S5_S5_.has_recursion, 0
	.set _ZN9rocsolver6v33100L23getf2_npvt_small_kernelILi13E19rocblas_complex_numIdEiiPS3_EEvT1_T3_lS5_lPT2_S5_S5_.has_indirect_call, 0
	.section	.AMDGPU.csdata,"",@progbits
; Kernel info:
; codeLenInByte = 15024
; TotalNumSgprs: 28
; NumVgprs: 127
; ScratchSize: 92
; MemoryBound: 0
; FloatMode: 240
; IeeeMode: 1
; LDSByteSize: 0 bytes/workgroup (compile time only)
; SGPRBlocks: 3
; VGPRBlocks: 31
; NumSGPRsForWavesPerEU: 28
; NumVGPRsForWavesPerEU: 127
; Occupancy: 2
; WaveLimiterHint : 0
; COMPUTE_PGM_RSRC2:SCRATCH_EN: 1
; COMPUTE_PGM_RSRC2:USER_SGPR: 6
; COMPUTE_PGM_RSRC2:TRAP_HANDLER: 0
; COMPUTE_PGM_RSRC2:TGID_X_EN: 1
; COMPUTE_PGM_RSRC2:TGID_Y_EN: 1
; COMPUTE_PGM_RSRC2:TGID_Z_EN: 0
; COMPUTE_PGM_RSRC2:TIDIG_COMP_CNT: 1
	.section	.text._ZN9rocsolver6v33100L18getf2_small_kernelILi14E19rocblas_complex_numIdEiiPS3_EEvT1_T3_lS5_lPS5_llPT2_S5_S5_S7_l,"axG",@progbits,_ZN9rocsolver6v33100L18getf2_small_kernelILi14E19rocblas_complex_numIdEiiPS3_EEvT1_T3_lS5_lPS5_llPT2_S5_S5_S7_l,comdat
	.globl	_ZN9rocsolver6v33100L18getf2_small_kernelILi14E19rocblas_complex_numIdEiiPS3_EEvT1_T3_lS5_lPS5_llPT2_S5_S5_S7_l ; -- Begin function _ZN9rocsolver6v33100L18getf2_small_kernelILi14E19rocblas_complex_numIdEiiPS3_EEvT1_T3_lS5_lPS5_llPT2_S5_S5_S7_l
	.p2align	8
	.type	_ZN9rocsolver6v33100L18getf2_small_kernelILi14E19rocblas_complex_numIdEiiPS3_EEvT1_T3_lS5_lPS5_llPT2_S5_S5_S7_l,@function
_ZN9rocsolver6v33100L18getf2_small_kernelILi14E19rocblas_complex_numIdEiiPS3_EEvT1_T3_lS5_lPS5_llPT2_S5_S5_S7_l: ; @_ZN9rocsolver6v33100L18getf2_small_kernelILi14E19rocblas_complex_numIdEiiPS3_EEvT1_T3_lS5_lPS5_llPT2_S5_S5_S7_l
; %bb.0:
	s_load_dword s0, s[4:5], 0x6c
	s_load_dwordx2 s[16:17], s[4:5], 0x48
	s_waitcnt lgkmcnt(0)
	s_lshr_b32 s0, s0, 16
	s_mul_i32 s7, s7, s0
	v_add_u32_e32 v62, s7, v1
	v_cmp_gt_i32_e32 vcc, s16, v62
	s_and_saveexec_b64 s[0:1], vcc
	s_cbranch_execz .LBB26_295
; %bb.1:
	s_load_dwordx4 s[0:3], s[4:5], 0x50
	v_mov_b32_e32 v64, 0
	v_ashrrev_i32_e32 v63, 31, v62
	v_mov_b32_e32 v65, 0
	s_waitcnt lgkmcnt(0)
	s_cmp_eq_u64 s[0:1], 0
	s_cselect_b64 s[18:19], -1, 0
	s_and_b64 vcc, exec, s[18:19]
	s_cbranch_vccnz .LBB26_3
; %bb.2:
	v_mul_lo_u32 v4, s3, v62
	v_mul_lo_u32 v5, s2, v63
	v_mad_u64_u32 v[2:3], s[2:3], s2, v62, 0
	v_add3_u32 v3, v3, v5, v4
	v_lshlrev_b64 v[2:3], 2, v[2:3]
	v_mov_b32_e32 v4, s1
	v_add_co_u32_e32 v64, vcc, s0, v2
	v_addc_co_u32_e32 v65, vcc, v4, v3, vcc
.LBB26_3:
	s_load_dwordx8 s[8:15], s[4:5], 0x20
	s_load_dwordx4 s[0:3], s[4:5], 0x8
	v_lshlrev_b32_e32 v68, 4, v0
	s_load_dwordx2 s[20:21], s[4:5], 0x40
	s_waitcnt lgkmcnt(0)
	v_mul_lo_u32 v4, s9, v62
	v_mul_lo_u32 v5, s8, v63
	v_mad_u64_u32 v[2:3], s[6:7], s8, v62, 0
	s_load_dword s6, s[4:5], 0x18
	s_load_dword s22, s[4:5], 0x0
	v_mov_b32_e32 v6, s1
	v_add3_u32 v3, v3, v5, v4
	v_lshlrev_b64 v[2:3], 4, v[2:3]
	s_waitcnt lgkmcnt(0)
	s_add_i32 s16, s6, s6
	v_add_co_u32_e32 v2, vcc, s0, v2
	v_addc_co_u32_e32 v3, vcc, v6, v3, vcc
	s_lshl_b64 s[0:1], s[2:3], 4
	v_mov_b32_e32 v4, s1
	v_add_co_u32_e32 v69, vcc, s0, v2
	v_add_u32_e32 v2, s16, v0
	v_addc_co_u32_e32 v70, vcc, v3, v4, vcc
	v_ashrrev_i32_e32 v3, 31, v2
	v_lshlrev_b64 v[3:4], 4, v[2:3]
	v_add_u32_e32 v5, s6, v2
	v_ashrrev_i32_e32 v6, 31, v5
	v_add_co_u32_e32 v3, vcc, v69, v3
	v_lshlrev_b64 v[6:7], 4, v[5:6]
	v_add_u32_e32 v8, s6, v5
	v_addc_co_u32_e32 v4, vcc, v70, v4, vcc
	v_ashrrev_i32_e32 v9, 31, v8
	v_add_co_u32_e32 v6, vcc, v69, v6
	v_lshlrev_b64 v[9:10], 4, v[8:9]
	v_add_u32_e32 v11, s6, v8
	v_addc_co_u32_e32 v7, vcc, v70, v7, vcc
	;; [unrolled: 5-line block ×4, first 2 shown]
	v_ashrrev_i32_e32 v18, 31, v17
	v_add_co_u32_e32 v15, vcc, v69, v15
	v_lshlrev_b64 v[18:19], 4, v[17:18]
	v_addc_co_u32_e32 v16, vcc, v70, v16, vcc
	v_add_u32_e32 v17, s6, v17
	v_add_co_u32_e32 v54, vcc, v69, v18
	v_ashrrev_i32_e32 v18, 31, v17
	v_addc_co_u32_e32 v55, vcc, v70, v19, vcc
	v_lshlrev_b64 v[18:19], 4, v[17:18]
	v_add_u32_e32 v17, s6, v17
	v_add_co_u32_e32 v56, vcc, v69, v18
	v_ashrrev_i32_e32 v18, 31, v17
	v_addc_co_u32_e32 v57, vcc, v70, v19, vcc
	v_lshlrev_b64 v[18:19], 4, v[17:18]
	;; [unrolled: 5-line block ×5, first 2 shown]
	v_add_u32_e32 v17, s6, v17
	v_add_co_u32_e32 v71, vcc, v69, v18
	v_ashrrev_i32_e32 v18, 31, v17
	v_lshlrev_b64 v[17:18], 4, v[17:18]
	v_addc_co_u32_e32 v72, vcc, v70, v19, vcc
	v_add_co_u32_e32 v73, vcc, v69, v17
	v_addc_co_u32_e32 v74, vcc, v70, v18, vcc
	v_add_co_u32_e32 v17, vcc, v69, v68
	s_ashr_i32 s7, s6, 31
	v_addc_co_u32_e32 v18, vcc, 0, v70, vcc
	s_lshl_b64 s[8:9], s[6:7], 4
	v_mov_b32_e32 v2, s9
	v_add_co_u32_e32 v19, vcc, s8, v17
	v_addc_co_u32_e32 v20, vcc, v18, v2, vcc
	global_load_dwordx4 v[50:53], v[17:18], off
	global_load_dwordx4 v[46:49], v[19:20], off
	;; [unrolled: 1-line block ×6, first 2 shown]
                                        ; kill: killed $vgpr17 killed $vgpr18
                                        ; kill: killed $vgpr3 killed $vgpr4
                                        ; kill: killed $vgpr19 killed $vgpr20
                                        ; kill: killed $vgpr9 killed $vgpr10
                                        ; kill: killed $vgpr6 killed $vgpr7
                                        ; kill: killed $vgpr12 killed $vgpr13
	global_load_dwordx4 v[26:29], v[15:16], off
	global_load_dwordx4 v[22:25], v[54:55], off
	;; [unrolled: 1-line block ×3, first 2 shown]
                                        ; kill: killed $vgpr54 killed $vgpr55
                                        ; kill: killed $vgpr15 killed $vgpr16
                                        ; kill: killed $vgpr56 killed $vgpr57
	s_nop 0
	global_load_dwordx4 v[14:17], v[58:59], off
	global_load_dwordx4 v[10:13], v[60:61], off
                                        ; kill: killed $vgpr58 killed $vgpr59
                                        ; kill: killed $vgpr60 killed $vgpr61
	global_load_dwordx4 v[6:9], v[66:67], off
	global_load_dwordx4 v[2:5], v[71:72], off
	;; [unrolled: 1-line block ×3, first 2 shown]
	s_max_i32 s0, s22, 14
	v_mul_lo_u32 v66, s0, v1
	s_cmp_lt_i32 s22, 2
	v_lshl_add_u32 v1, v66, 4, 0
	v_add_u32_e32 v58, v1, v68
	v_lshlrev_b32_e32 v72, 4, v66
	v_mov_b32_e32 v66, 0
	s_waitcnt vmcnt(13)
	ds_write2_b64 v58, v[50:51], v[52:53] offset1:1
	s_waitcnt vmcnt(0) lgkmcnt(0)
	s_barrier
	ds_read2_b64 v[58:61], v1 offset1:1
	s_cbranch_scc1 .LBB26_6
; %bb.4:
	v_add3_u32 v67, v72, 0, 16
	s_mov_b32 s2, 1
	v_mov_b32_e32 v66, 0
.LBB26_5:                               ; =>This Inner Loop Header: Depth=1
	s_waitcnt lgkmcnt(0)
	v_cmp_gt_f64_e32 vcc, 0, v[60:61]
	v_cmp_gt_f64_e64 s[0:1], 0, v[58:59]
	ds_read2_b64 v[73:76], v67 offset1:1
	v_xor_b32_e32 v68, 0x80000000, v59
	v_xor_b32_e32 v71, 0x80000000, v61
	v_mov_b32_e32 v77, v58
	v_mov_b32_e32 v79, v60
	s_waitcnt lgkmcnt(0)
	v_mov_b32_e32 v81, v75
	v_cndmask_b32_e32 v80, v61, v71, vcc
	v_cndmask_b32_e64 v78, v59, v68, s[0:1]
	v_cmp_gt_f64_e32 vcc, 0, v[75:76]
	v_cmp_gt_f64_e64 s[0:1], 0, v[73:74]
	v_xor_b32_e32 v68, 0x80000000, v74
	v_xor_b32_e32 v71, 0x80000000, v76
	v_add_f64 v[77:78], v[77:78], v[79:80]
	v_mov_b32_e32 v79, v73
	v_add_u32_e32 v67, 16, v67
	v_cndmask_b32_e32 v82, v76, v71, vcc
	v_cndmask_b32_e64 v80, v74, v68, s[0:1]
	v_add_f64 v[79:80], v[79:80], v[81:82]
	v_mov_b32_e32 v68, s2
	s_add_i32 s2, s2, 1
	s_cmp_eq_u32 s22, s2
	v_cmp_lt_f64_e32 vcc, v[77:78], v[79:80]
	v_cndmask_b32_e32 v59, v59, v74, vcc
	v_cndmask_b32_e32 v58, v58, v73, vcc
	;; [unrolled: 1-line block ×5, first 2 shown]
	s_cbranch_scc0 .LBB26_5
.LBB26_6:
	s_waitcnt lgkmcnt(0)
	v_cmp_neq_f64_e32 vcc, 0, v[58:59]
	v_cmp_neq_f64_e64 s[0:1], 0, v[60:61]
	v_mov_b32_e32 v71, 1
	v_mov_b32_e32 v73, 1
	s_or_b64 s[2:3], vcc, s[0:1]
	s_and_saveexec_b64 s[0:1], s[2:3]
	s_cbranch_execz .LBB26_12
; %bb.7:
	v_cmp_ngt_f64_e64 s[2:3], |v[58:59]|, |v[60:61]|
	s_and_saveexec_b64 s[4:5], s[2:3]
	s_xor_b64 s[2:3], exec, s[4:5]
	s_cbranch_execz .LBB26_9
; %bb.8:
	v_div_scale_f64 v[67:68], s[4:5], v[60:61], v[60:61], v[58:59]
	v_rcp_f64_e32 v[73:74], v[67:68]
	v_fma_f64 v[75:76], -v[67:68], v[73:74], 1.0
	v_fma_f64 v[73:74], v[73:74], v[75:76], v[73:74]
	v_div_scale_f64 v[75:76], vcc, v[58:59], v[60:61], v[58:59]
	v_fma_f64 v[77:78], -v[67:68], v[73:74], 1.0
	v_fma_f64 v[73:74], v[73:74], v[77:78], v[73:74]
	v_mul_f64 v[77:78], v[75:76], v[73:74]
	v_fma_f64 v[67:68], -v[67:68], v[77:78], v[75:76]
	v_div_fmas_f64 v[67:68], v[67:68], v[73:74], v[77:78]
	v_div_fixup_f64 v[67:68], v[67:68], v[60:61], v[58:59]
	v_fma_f64 v[58:59], v[58:59], v[67:68], v[60:61]
	v_div_scale_f64 v[60:61], s[4:5], v[58:59], v[58:59], 1.0
	v_div_scale_f64 v[77:78], vcc, 1.0, v[58:59], 1.0
	v_rcp_f64_e32 v[73:74], v[60:61]
	v_fma_f64 v[75:76], -v[60:61], v[73:74], 1.0
	v_fma_f64 v[73:74], v[73:74], v[75:76], v[73:74]
	v_fma_f64 v[75:76], -v[60:61], v[73:74], 1.0
	v_fma_f64 v[73:74], v[73:74], v[75:76], v[73:74]
	v_mul_f64 v[75:76], v[77:78], v[73:74]
	v_fma_f64 v[60:61], -v[60:61], v[75:76], v[77:78]
	v_div_fmas_f64 v[60:61], v[60:61], v[73:74], v[75:76]
	v_div_fixup_f64 v[60:61], v[60:61], v[58:59], 1.0
	v_mul_f64 v[58:59], v[67:68], v[60:61]
	v_xor_b32_e32 v61, 0x80000000, v61
.LBB26_9:
	s_andn2_saveexec_b64 s[2:3], s[2:3]
	s_cbranch_execz .LBB26_11
; %bb.10:
	v_div_scale_f64 v[67:68], s[4:5], v[58:59], v[58:59], v[60:61]
	v_rcp_f64_e32 v[73:74], v[67:68]
	v_fma_f64 v[75:76], -v[67:68], v[73:74], 1.0
	v_fma_f64 v[73:74], v[73:74], v[75:76], v[73:74]
	v_div_scale_f64 v[75:76], vcc, v[60:61], v[58:59], v[60:61]
	v_fma_f64 v[77:78], -v[67:68], v[73:74], 1.0
	v_fma_f64 v[73:74], v[73:74], v[77:78], v[73:74]
	v_mul_f64 v[77:78], v[75:76], v[73:74]
	v_fma_f64 v[67:68], -v[67:68], v[77:78], v[75:76]
	v_div_fmas_f64 v[67:68], v[67:68], v[73:74], v[77:78]
	v_div_fixup_f64 v[67:68], v[67:68], v[58:59], v[60:61]
	v_fma_f64 v[58:59], v[60:61], v[67:68], v[58:59]
	v_div_scale_f64 v[60:61], s[4:5], v[58:59], v[58:59], 1.0
	v_div_scale_f64 v[77:78], vcc, 1.0, v[58:59], 1.0
	v_rcp_f64_e32 v[73:74], v[60:61]
	v_fma_f64 v[75:76], -v[60:61], v[73:74], 1.0
	v_fma_f64 v[73:74], v[73:74], v[75:76], v[73:74]
	v_fma_f64 v[75:76], -v[60:61], v[73:74], 1.0
	v_fma_f64 v[73:74], v[73:74], v[75:76], v[73:74]
	v_mul_f64 v[75:76], v[77:78], v[73:74]
	v_fma_f64 v[60:61], -v[60:61], v[75:76], v[77:78]
	v_div_fmas_f64 v[60:61], v[60:61], v[73:74], v[75:76]
	v_div_fixup_f64 v[58:59], v[60:61], v[58:59], 1.0
	v_mul_f64 v[60:61], v[67:68], -v[58:59]
.LBB26_11:
	s_or_b64 exec, exec, s[2:3]
	v_mov_b32_e32 v73, 0
	v_mov_b32_e32 v71, 2
.LBB26_12:
	s_or_b64 exec, exec, s[0:1]
	v_cmp_ne_u32_e32 vcc, v0, v66
	s_and_saveexec_b64 s[0:1], vcc
	s_xor_b64 s[0:1], exec, s[0:1]
	s_cbranch_execz .LBB26_18
; %bb.13:
	v_cmp_eq_u32_e32 vcc, 0, v0
	s_and_saveexec_b64 s[2:3], vcc
	s_cbranch_execz .LBB26_17
; %bb.14:
	v_cmp_ne_u32_e32 vcc, 0, v66
	s_xor_b64 s[4:5], s[18:19], -1
	s_and_b64 s[24:25], s[4:5], vcc
	s_and_saveexec_b64 s[4:5], s[24:25]
	s_cbranch_execz .LBB26_16
; %bb.15:
	v_ashrrev_i32_e32 v67, 31, v66
	v_lshlrev_b64 v[67:68], 2, v[66:67]
	v_add_co_u32_e32 v67, vcc, v64, v67
	v_addc_co_u32_e32 v68, vcc, v65, v68, vcc
	global_load_dword v0, v[67:68], off
	global_load_dword v74, v[64:65], off
	s_waitcnt vmcnt(1)
	global_store_dword v[64:65], v0, off
	s_waitcnt vmcnt(1)
	global_store_dword v[67:68], v74, off
.LBB26_16:
	s_or_b64 exec, exec, s[4:5]
	v_mov_b32_e32 v0, v66
.LBB26_17:
	s_or_b64 exec, exec, s[2:3]
.LBB26_18:
	s_or_saveexec_b64 s[0:1], s[0:1]
	v_mov_b32_e32 v68, v0
	s_xor_b64 exec, exec, s[0:1]
	s_cbranch_execz .LBB26_20
; %bb.19:
	v_mov_b32_e32 v68, 0
	ds_write2_b64 v1, v[46:47], v[48:49] offset0:2 offset1:3
	ds_write2_b64 v1, v[42:43], v[44:45] offset0:4 offset1:5
	;; [unrolled: 1-line block ×13, first 2 shown]
.LBB26_20:
	s_or_b64 exec, exec, s[0:1]
	v_cmp_lt_i32_e32 vcc, 0, v68
	s_waitcnt vmcnt(0) lgkmcnt(0)
	s_barrier
	s_and_saveexec_b64 s[0:1], vcc
	s_cbranch_execz .LBB26_22
; %bb.21:
	v_mul_f64 v[66:67], v[58:59], v[52:53]
	v_mul_f64 v[98:99], v[60:61], v[52:53]
	ds_read2_b64 v[74:77], v1 offset0:2 offset1:3
	ds_read2_b64 v[78:81], v1 offset0:4 offset1:5
	;; [unrolled: 1-line block ×6, first 2 shown]
	v_fma_f64 v[52:53], v[60:61], v[50:51], v[66:67]
	v_fma_f64 v[50:51], v[58:59], v[50:51], -v[98:99]
	s_waitcnt lgkmcnt(5)
	v_mul_f64 v[58:59], v[76:77], v[52:53]
	v_mul_f64 v[60:61], v[74:75], v[52:53]
	s_waitcnt lgkmcnt(4)
	v_mul_f64 v[66:67], v[80:81], v[52:53]
	v_mul_f64 v[98:99], v[78:79], v[52:53]
	;; [unrolled: 3-line block ×4, first 2 shown]
	s_waitcnt lgkmcnt(1)
	v_mul_f64 v[108:109], v[92:93], v[52:53]
	v_fma_f64 v[58:59], v[74:75], v[50:51], -v[58:59]
	v_fma_f64 v[60:61], v[76:77], v[50:51], v[60:61]
	v_fma_f64 v[66:67], v[78:79], v[50:51], -v[66:67]
	v_fma_f64 v[74:75], v[80:81], v[50:51], v[98:99]
	;; [unrolled: 2-line block ×3, first 2 shown]
	v_fma_f64 v[80:81], v[86:87], v[50:51], -v[104:105]
	v_mul_f64 v[110:111], v[90:91], v[52:53]
	v_fma_f64 v[82:83], v[88:89], v[50:51], v[106:107]
	v_fma_f64 v[84:85], v[90:91], v[50:51], -v[108:109]
	v_add_f64 v[46:47], v[46:47], -v[58:59]
	v_add_f64 v[48:49], v[48:49], -v[60:61]
	;; [unrolled: 1-line block ×6, first 2 shown]
	ds_read2_b64 v[58:61], v1 offset0:14 offset1:15
	ds_read2_b64 v[74:77], v1 offset0:16 offset1:17
	ds_read2_b64 v[78:81], v1 offset0:18 offset1:19
	v_fma_f64 v[86:87], v[92:93], v[50:51], v[110:111]
	v_add_f64 v[36:37], v[36:37], -v[82:83]
	v_add_f64 v[30:31], v[30:31], -v[84:85]
	s_waitcnt lgkmcnt(2)
	v_mul_f64 v[88:89], v[60:61], v[52:53]
	v_mul_f64 v[90:91], v[58:59], v[52:53]
	s_waitcnt lgkmcnt(1)
	v_mul_f64 v[92:93], v[76:77], v[52:53]
	v_mul_f64 v[98:99], v[74:75], v[52:53]
	ds_read2_b64 v[82:85], v1 offset0:20 offset1:21
	s_waitcnt lgkmcnt(1)
	v_mul_f64 v[100:101], v[80:81], v[52:53]
	v_mul_f64 v[102:103], v[78:79], v[52:53]
	v_add_f64 v[42:43], v[42:43], -v[66:67]
	v_add_f64 v[32:33], v[32:33], -v[86:87]
	v_mul_f64 v[66:67], v[96:97], v[52:53]
	v_mul_f64 v[86:87], v[94:95], v[52:53]
	v_fma_f64 v[58:59], v[58:59], v[50:51], -v[88:89]
	v_fma_f64 v[60:61], v[60:61], v[50:51], v[90:91]
	v_fma_f64 v[74:75], v[74:75], v[50:51], -v[92:93]
	v_fma_f64 v[76:77], v[76:77], v[50:51], v[98:99]
	;; [unrolled: 2-line block ×4, first 2 shown]
	v_add_f64 v[22:23], v[22:23], -v[58:59]
	v_add_f64 v[24:25], v[24:25], -v[60:61]
	v_add_f64 v[18:19], v[18:19], -v[74:75]
	v_add_f64 v[20:21], v[20:21], -v[76:77]
	v_add_f64 v[14:15], v[14:15], -v[78:79]
	v_add_f64 v[16:17], v[16:17], -v[80:81]
	ds_read2_b64 v[58:61], v1 offset0:22 offset1:23
	ds_read2_b64 v[74:77], v1 offset0:24 offset1:25
	;; [unrolled: 1-line block ×3, first 2 shown]
	v_add_f64 v[26:27], v[26:27], -v[66:67]
	v_add_f64 v[28:29], v[28:29], -v[86:87]
	s_waitcnt lgkmcnt(3)
	v_mul_f64 v[66:67], v[84:85], v[52:53]
	v_mul_f64 v[86:87], v[82:83], v[52:53]
	s_waitcnt lgkmcnt(2)
	v_mul_f64 v[88:89], v[60:61], v[52:53]
	v_mul_f64 v[90:91], v[58:59], v[52:53]
	s_waitcnt lgkmcnt(1)
	v_mul_f64 v[92:93], v[76:77], v[52:53]
	v_mul_f64 v[94:95], v[74:75], v[52:53]
	s_waitcnt lgkmcnt(0)
	v_mul_f64 v[96:97], v[80:81], v[52:53]
	v_mul_f64 v[98:99], v[78:79], v[52:53]
	v_fma_f64 v[66:67], v[82:83], v[50:51], -v[66:67]
	v_fma_f64 v[82:83], v[84:85], v[50:51], v[86:87]
	v_fma_f64 v[58:59], v[58:59], v[50:51], -v[88:89]
	v_fma_f64 v[60:61], v[60:61], v[50:51], v[90:91]
	;; [unrolled: 2-line block ×4, first 2 shown]
	v_add_f64 v[10:11], v[10:11], -v[66:67]
	v_add_f64 v[12:13], v[12:13], -v[82:83]
	;; [unrolled: 1-line block ×8, first 2 shown]
.LBB26_22:
	s_or_b64 exec, exec, s[0:1]
	v_lshl_add_u32 v58, v68, 4, v1
	s_barrier
	ds_write2_b64 v58, v[46:47], v[48:49] offset1:1
	s_waitcnt lgkmcnt(0)
	s_barrier
	ds_read2_b64 v[58:61], v1 offset0:2 offset1:3
	s_cmp_lt_i32 s22, 3
	v_mov_b32_e32 v66, 1
	s_cbranch_scc1 .LBB26_25
; %bb.23:
	v_add3_u32 v67, v72, 0, 32
	s_mov_b32 s7, 2
	v_mov_b32_e32 v66, 1
.LBB26_24:                              ; =>This Inner Loop Header: Depth=1
	ds_read2_b64 v[74:77], v67 offset1:1
	s_waitcnt lgkmcnt(1)
	v_cmp_gt_f64_e32 vcc, 0, v[60:61]
	v_cmp_gt_f64_e64 s[0:1], 0, v[58:59]
	v_xor_b32_e32 v79, 0x80000000, v59
	v_xor_b32_e32 v81, 0x80000000, v61
	s_waitcnt lgkmcnt(0)
	v_cmp_gt_f64_e64 s[2:3], 0, v[74:75]
	v_cmp_gt_f64_e64 s[4:5], 0, v[76:77]
	v_xor_b32_e32 v83, 0x80000000, v75
	v_xor_b32_e32 v85, 0x80000000, v77
	v_mov_b32_e32 v78, v58
	v_mov_b32_e32 v80, v60
	;; [unrolled: 1-line block ×4, first 2 shown]
	v_cndmask_b32_e64 v79, v59, v79, s[0:1]
	v_cndmask_b32_e32 v81, v61, v81, vcc
	v_cndmask_b32_e64 v83, v75, v83, s[2:3]
	v_cndmask_b32_e64 v85, v77, v85, s[4:5]
	v_add_f64 v[78:79], v[78:79], v[80:81]
	v_add_f64 v[80:81], v[82:83], v[84:85]
	v_mov_b32_e32 v82, s7
	s_add_i32 s7, s7, 1
	v_add_u32_e32 v67, 16, v67
	s_cmp_lg_u32 s22, s7
	v_cmp_lt_f64_e32 vcc, v[78:79], v[80:81]
	v_cndmask_b32_e32 v59, v59, v75, vcc
	v_cndmask_b32_e32 v58, v58, v74, vcc
	;; [unrolled: 1-line block ×5, first 2 shown]
	s_cbranch_scc1 .LBB26_24
.LBB26_25:
	s_waitcnt lgkmcnt(0)
	v_cmp_neq_f64_e32 vcc, 0, v[58:59]
	v_cmp_neq_f64_e64 s[0:1], 0, v[60:61]
	s_or_b64 s[2:3], vcc, s[0:1]
	s_and_saveexec_b64 s[0:1], s[2:3]
	s_cbranch_execz .LBB26_31
; %bb.26:
	v_cmp_ngt_f64_e64 s[2:3], |v[58:59]|, |v[60:61]|
	s_and_saveexec_b64 s[4:5], s[2:3]
	s_xor_b64 s[2:3], exec, s[4:5]
	s_cbranch_execz .LBB26_28
; %bb.27:
	v_div_scale_f64 v[74:75], s[4:5], v[60:61], v[60:61], v[58:59]
	v_rcp_f64_e32 v[76:77], v[74:75]
	v_fma_f64 v[78:79], -v[74:75], v[76:77], 1.0
	v_fma_f64 v[76:77], v[76:77], v[78:79], v[76:77]
	v_div_scale_f64 v[78:79], vcc, v[58:59], v[60:61], v[58:59]
	v_fma_f64 v[80:81], -v[74:75], v[76:77], 1.0
	v_fma_f64 v[76:77], v[76:77], v[80:81], v[76:77]
	v_mul_f64 v[80:81], v[78:79], v[76:77]
	v_fma_f64 v[74:75], -v[74:75], v[80:81], v[78:79]
	v_div_fmas_f64 v[74:75], v[74:75], v[76:77], v[80:81]
	v_div_fixup_f64 v[74:75], v[74:75], v[60:61], v[58:59]
	v_fma_f64 v[58:59], v[58:59], v[74:75], v[60:61]
	v_div_scale_f64 v[60:61], s[4:5], v[58:59], v[58:59], 1.0
	v_div_scale_f64 v[80:81], vcc, 1.0, v[58:59], 1.0
	v_rcp_f64_e32 v[76:77], v[60:61]
	v_fma_f64 v[78:79], -v[60:61], v[76:77], 1.0
	v_fma_f64 v[76:77], v[76:77], v[78:79], v[76:77]
	v_fma_f64 v[78:79], -v[60:61], v[76:77], 1.0
	v_fma_f64 v[76:77], v[76:77], v[78:79], v[76:77]
	v_mul_f64 v[78:79], v[80:81], v[76:77]
	v_fma_f64 v[60:61], -v[60:61], v[78:79], v[80:81]
	v_div_fmas_f64 v[60:61], v[60:61], v[76:77], v[78:79]
	v_div_fixup_f64 v[60:61], v[60:61], v[58:59], 1.0
	v_mul_f64 v[58:59], v[74:75], v[60:61]
	v_xor_b32_e32 v61, 0x80000000, v61
.LBB26_28:
	s_andn2_saveexec_b64 s[2:3], s[2:3]
	s_cbranch_execz .LBB26_30
; %bb.29:
	v_div_scale_f64 v[74:75], s[4:5], v[58:59], v[58:59], v[60:61]
	v_rcp_f64_e32 v[76:77], v[74:75]
	v_fma_f64 v[78:79], -v[74:75], v[76:77], 1.0
	v_fma_f64 v[76:77], v[76:77], v[78:79], v[76:77]
	v_div_scale_f64 v[78:79], vcc, v[60:61], v[58:59], v[60:61]
	v_fma_f64 v[80:81], -v[74:75], v[76:77], 1.0
	v_fma_f64 v[76:77], v[76:77], v[80:81], v[76:77]
	v_mul_f64 v[80:81], v[78:79], v[76:77]
	v_fma_f64 v[74:75], -v[74:75], v[80:81], v[78:79]
	v_div_fmas_f64 v[74:75], v[74:75], v[76:77], v[80:81]
	v_div_fixup_f64 v[74:75], v[74:75], v[58:59], v[60:61]
	v_fma_f64 v[58:59], v[60:61], v[74:75], v[58:59]
	v_div_scale_f64 v[60:61], s[4:5], v[58:59], v[58:59], 1.0
	v_div_scale_f64 v[80:81], vcc, 1.0, v[58:59], 1.0
	v_rcp_f64_e32 v[76:77], v[60:61]
	v_fma_f64 v[78:79], -v[60:61], v[76:77], 1.0
	v_fma_f64 v[76:77], v[76:77], v[78:79], v[76:77]
	v_fma_f64 v[78:79], -v[60:61], v[76:77], 1.0
	v_fma_f64 v[76:77], v[76:77], v[78:79], v[76:77]
	v_mul_f64 v[78:79], v[80:81], v[76:77]
	v_fma_f64 v[60:61], -v[60:61], v[78:79], v[80:81]
	v_div_fmas_f64 v[60:61], v[60:61], v[76:77], v[78:79]
	v_div_fixup_f64 v[58:59], v[60:61], v[58:59], 1.0
	v_mul_f64 v[60:61], v[74:75], -v[58:59]
.LBB26_30:
	s_or_b64 exec, exec, s[2:3]
	v_mov_b32_e32 v71, v73
.LBB26_31:
	s_or_b64 exec, exec, s[0:1]
	v_cmp_ne_u32_e32 vcc, v68, v66
	s_and_saveexec_b64 s[0:1], vcc
	s_xor_b64 s[0:1], exec, s[0:1]
	s_cbranch_execz .LBB26_37
; %bb.32:
	v_cmp_eq_u32_e32 vcc, 1, v68
	s_and_saveexec_b64 s[2:3], vcc
	s_cbranch_execz .LBB26_36
; %bb.33:
	v_cmp_ne_u32_e32 vcc, 1, v66
	s_xor_b64 s[4:5], s[18:19], -1
	s_and_b64 s[24:25], s[4:5], vcc
	s_and_saveexec_b64 s[4:5], s[24:25]
	s_cbranch_execz .LBB26_35
; %bb.34:
	v_ashrrev_i32_e32 v67, 31, v66
	v_lshlrev_b64 v[67:68], 2, v[66:67]
	v_add_co_u32_e32 v67, vcc, v64, v67
	v_addc_co_u32_e32 v68, vcc, v65, v68, vcc
	global_load_dword v0, v[67:68], off
	global_load_dword v73, v[64:65], off offset:4
	s_waitcnt vmcnt(1)
	global_store_dword v[64:65], v0, off offset:4
	s_waitcnt vmcnt(1)
	global_store_dword v[67:68], v73, off
.LBB26_35:
	s_or_b64 exec, exec, s[4:5]
	v_mov_b32_e32 v68, v66
	v_mov_b32_e32 v0, v66
.LBB26_36:
	s_or_b64 exec, exec, s[2:3]
.LBB26_37:
	s_andn2_saveexec_b64 s[0:1], s[0:1]
	s_cbranch_execz .LBB26_39
; %bb.38:
	v_mov_b32_e32 v68, 1
	ds_write2_b64 v1, v[42:43], v[44:45] offset0:4 offset1:5
	ds_write2_b64 v1, v[38:39], v[40:41] offset0:6 offset1:7
	;; [unrolled: 1-line block ×12, first 2 shown]
.LBB26_39:
	s_or_b64 exec, exec, s[0:1]
	v_cmp_lt_i32_e32 vcc, 1, v68
	s_waitcnt vmcnt(0) lgkmcnt(0)
	s_barrier
	s_and_saveexec_b64 s[0:1], vcc
	s_cbranch_execz .LBB26_41
; %bb.40:
	v_mul_f64 v[66:67], v[58:59], v[48:49]
	v_mul_f64 v[48:49], v[60:61], v[48:49]
	ds_read2_b64 v[73:76], v1 offset0:4 offset1:5
	ds_read2_b64 v[77:80], v1 offset0:6 offset1:7
	;; [unrolled: 1-line block ×6, first 2 shown]
	v_fma_f64 v[66:67], v[60:61], v[46:47], v[66:67]
	v_fma_f64 v[46:47], v[58:59], v[46:47], -v[48:49]
	s_waitcnt lgkmcnt(5)
	v_mul_f64 v[48:49], v[75:76], v[66:67]
	v_mul_f64 v[58:59], v[73:74], v[66:67]
	s_waitcnt lgkmcnt(4)
	v_mul_f64 v[60:61], v[79:80], v[66:67]
	v_mul_f64 v[97:98], v[77:78], v[66:67]
	s_waitcnt lgkmcnt(3)
	v_mul_f64 v[99:100], v[83:84], v[66:67]
	v_mul_f64 v[101:102], v[81:82], v[66:67]
	s_waitcnt lgkmcnt(2)
	v_mul_f64 v[103:104], v[87:88], v[66:67]
	v_mul_f64 v[105:106], v[85:86], v[66:67]
	v_fma_f64 v[48:49], v[73:74], v[46:47], -v[48:49]
	v_fma_f64 v[58:59], v[75:76], v[46:47], v[58:59]
	v_fma_f64 v[60:61], v[77:78], v[46:47], -v[60:61]
	v_fma_f64 v[73:74], v[79:80], v[46:47], v[97:98]
	;; [unrolled: 2-line block ×4, first 2 shown]
	v_add_f64 v[42:43], v[42:43], -v[48:49]
	s_waitcnt lgkmcnt(1)
	v_mul_f64 v[48:49], v[91:92], v[66:67]
	v_add_f64 v[44:45], v[44:45], -v[58:59]
	v_add_f64 v[38:39], v[38:39], -v[60:61]
	;; [unrolled: 1-line block ×4, first 2 shown]
	ds_read2_b64 v[58:61], v1 offset0:16 offset1:17
	ds_read2_b64 v[73:76], v1 offset0:18 offset1:19
	v_add_f64 v[36:37], v[36:37], -v[77:78]
	v_add_f64 v[30:31], v[30:31], -v[79:80]
	;; [unrolled: 1-line block ×3, first 2 shown]
	v_mul_f64 v[77:78], v[89:90], v[66:67]
	s_waitcnt lgkmcnt(2)
	v_mul_f64 v[79:80], v[95:96], v[66:67]
	v_mul_f64 v[81:82], v[93:94], v[66:67]
	s_waitcnt lgkmcnt(1)
	v_mul_f64 v[83:84], v[60:61], v[66:67]
	v_fma_f64 v[48:49], v[89:90], v[46:47], -v[48:49]
	s_waitcnt lgkmcnt(0)
	v_mul_f64 v[87:88], v[75:76], v[66:67]
	v_mul_f64 v[89:90], v[73:74], v[66:67]
	;; [unrolled: 1-line block ×3, first 2 shown]
	v_fma_f64 v[77:78], v[91:92], v[46:47], v[77:78]
	v_fma_f64 v[79:80], v[93:94], v[46:47], -v[79:80]
	v_fma_f64 v[81:82], v[95:96], v[46:47], v[81:82]
	v_fma_f64 v[58:59], v[58:59], v[46:47], -v[83:84]
	v_add_f64 v[26:27], v[26:27], -v[48:49]
	v_fma_f64 v[73:74], v[73:74], v[46:47], -v[87:88]
	v_fma_f64 v[75:76], v[75:76], v[46:47], v[89:90]
	v_fma_f64 v[48:49], v[60:61], v[46:47], v[85:86]
	v_add_f64 v[28:29], v[28:29], -v[77:78]
	v_add_f64 v[22:23], v[22:23], -v[79:80]
	;; [unrolled: 1-line block ×4, first 2 shown]
	ds_read2_b64 v[58:61], v1 offset0:20 offset1:21
	v_add_f64 v[14:15], v[14:15], -v[73:74]
	v_add_f64 v[16:17], v[16:17], -v[75:76]
	ds_read2_b64 v[73:76], v1 offset0:22 offset1:23
	ds_read2_b64 v[77:80], v1 offset0:24 offset1:25
	;; [unrolled: 1-line block ×3, first 2 shown]
	v_add_f64 v[20:21], v[20:21], -v[48:49]
	s_waitcnt lgkmcnt(3)
	v_mul_f64 v[48:49], v[60:61], v[66:67]
	v_mul_f64 v[85:86], v[58:59], v[66:67]
	s_waitcnt lgkmcnt(2)
	v_mul_f64 v[87:88], v[75:76], v[66:67]
	v_mul_f64 v[89:90], v[73:74], v[66:67]
	;; [unrolled: 3-line block ×4, first 2 shown]
	v_fma_f64 v[48:49], v[58:59], v[46:47], -v[48:49]
	v_fma_f64 v[58:59], v[60:61], v[46:47], v[85:86]
	v_fma_f64 v[60:61], v[73:74], v[46:47], -v[87:88]
	v_fma_f64 v[73:74], v[75:76], v[46:47], v[89:90]
	;; [unrolled: 2-line block ×4, first 2 shown]
	v_add_f64 v[10:11], v[10:11], -v[48:49]
	v_add_f64 v[12:13], v[12:13], -v[58:59]
	;; [unrolled: 1-line block ×8, first 2 shown]
	v_mov_b32_e32 v48, v66
	v_mov_b32_e32 v49, v67
.LBB26_41:
	s_or_b64 exec, exec, s[0:1]
	v_lshl_add_u32 v58, v68, 4, v1
	s_barrier
	ds_write2_b64 v58, v[42:43], v[44:45] offset1:1
	s_waitcnt lgkmcnt(0)
	s_barrier
	ds_read2_b64 v[58:61], v1 offset0:4 offset1:5
	s_cmp_lt_i32 s22, 4
	v_mov_b32_e32 v66, 2
	s_cbranch_scc1 .LBB26_44
; %bb.42:
	v_add3_u32 v67, v72, 0, 48
	s_mov_b32 s2, 3
	v_mov_b32_e32 v66, 2
.LBB26_43:                              ; =>This Inner Loop Header: Depth=1
	s_waitcnt lgkmcnt(0)
	v_cmp_gt_f64_e32 vcc, 0, v[60:61]
	v_cmp_gt_f64_e64 s[0:1], 0, v[58:59]
	ds_read2_b64 v[73:76], v67 offset1:1
	v_xor_b32_e32 v78, 0x80000000, v59
	v_xor_b32_e32 v80, 0x80000000, v61
	v_mov_b32_e32 v77, v58
	v_mov_b32_e32 v79, v60
	s_waitcnt lgkmcnt(0)
	v_xor_b32_e32 v82, 0x80000000, v76
	v_cndmask_b32_e32 v80, v61, v80, vcc
	v_cndmask_b32_e64 v78, v59, v78, s[0:1]
	v_cmp_gt_f64_e32 vcc, 0, v[75:76]
	v_cmp_gt_f64_e64 s[0:1], 0, v[73:74]
	v_add_f64 v[77:78], v[77:78], v[79:80]
	v_xor_b32_e32 v80, 0x80000000, v74
	v_mov_b32_e32 v79, v73
	v_mov_b32_e32 v81, v75
	v_add_u32_e32 v67, 16, v67
	v_cndmask_b32_e32 v82, v76, v82, vcc
	v_cndmask_b32_e64 v80, v74, v80, s[0:1]
	v_add_f64 v[79:80], v[79:80], v[81:82]
	v_mov_b32_e32 v81, s2
	s_add_i32 s2, s2, 1
	s_cmp_lg_u32 s22, s2
	v_cmp_lt_f64_e32 vcc, v[77:78], v[79:80]
	v_cndmask_b32_e32 v59, v59, v74, vcc
	v_cndmask_b32_e32 v58, v58, v73, vcc
	;; [unrolled: 1-line block ×5, first 2 shown]
	s_cbranch_scc1 .LBB26_43
.LBB26_44:
	s_waitcnt lgkmcnt(0)
	v_cmp_eq_f64_e32 vcc, 0, v[58:59]
	v_cmp_eq_f64_e64 s[0:1], 0, v[60:61]
	s_and_b64 s[0:1], vcc, s[0:1]
	s_and_saveexec_b64 s[2:3], s[0:1]
	s_xor_b64 s[0:1], exec, s[2:3]
; %bb.45:
	v_cmp_ne_u32_e32 vcc, 0, v71
	v_cndmask_b32_e32 v71, 3, v71, vcc
; %bb.46:
	s_andn2_saveexec_b64 s[0:1], s[0:1]
	s_cbranch_execz .LBB26_52
; %bb.47:
	v_cmp_ngt_f64_e64 s[2:3], |v[58:59]|, |v[60:61]|
	s_and_saveexec_b64 s[4:5], s[2:3]
	s_xor_b64 s[2:3], exec, s[4:5]
	s_cbranch_execz .LBB26_49
; %bb.48:
	v_div_scale_f64 v[73:74], s[4:5], v[60:61], v[60:61], v[58:59]
	v_rcp_f64_e32 v[75:76], v[73:74]
	v_fma_f64 v[77:78], -v[73:74], v[75:76], 1.0
	v_fma_f64 v[75:76], v[75:76], v[77:78], v[75:76]
	v_div_scale_f64 v[77:78], vcc, v[58:59], v[60:61], v[58:59]
	v_fma_f64 v[79:80], -v[73:74], v[75:76], 1.0
	v_fma_f64 v[75:76], v[75:76], v[79:80], v[75:76]
	v_mul_f64 v[79:80], v[77:78], v[75:76]
	v_fma_f64 v[73:74], -v[73:74], v[79:80], v[77:78]
	v_div_fmas_f64 v[73:74], v[73:74], v[75:76], v[79:80]
	v_div_fixup_f64 v[73:74], v[73:74], v[60:61], v[58:59]
	v_fma_f64 v[58:59], v[58:59], v[73:74], v[60:61]
	v_div_scale_f64 v[60:61], s[4:5], v[58:59], v[58:59], 1.0
	v_div_scale_f64 v[79:80], vcc, 1.0, v[58:59], 1.0
	v_rcp_f64_e32 v[75:76], v[60:61]
	v_fma_f64 v[77:78], -v[60:61], v[75:76], 1.0
	v_fma_f64 v[75:76], v[75:76], v[77:78], v[75:76]
	v_fma_f64 v[77:78], -v[60:61], v[75:76], 1.0
	v_fma_f64 v[75:76], v[75:76], v[77:78], v[75:76]
	v_mul_f64 v[77:78], v[79:80], v[75:76]
	v_fma_f64 v[60:61], -v[60:61], v[77:78], v[79:80]
	v_div_fmas_f64 v[60:61], v[60:61], v[75:76], v[77:78]
	v_div_fixup_f64 v[60:61], v[60:61], v[58:59], 1.0
	v_mul_f64 v[58:59], v[73:74], v[60:61]
	v_xor_b32_e32 v61, 0x80000000, v61
.LBB26_49:
	s_andn2_saveexec_b64 s[2:3], s[2:3]
	s_cbranch_execz .LBB26_51
; %bb.50:
	v_div_scale_f64 v[73:74], s[4:5], v[58:59], v[58:59], v[60:61]
	v_rcp_f64_e32 v[75:76], v[73:74]
	v_fma_f64 v[77:78], -v[73:74], v[75:76], 1.0
	v_fma_f64 v[75:76], v[75:76], v[77:78], v[75:76]
	v_div_scale_f64 v[77:78], vcc, v[60:61], v[58:59], v[60:61]
	v_fma_f64 v[79:80], -v[73:74], v[75:76], 1.0
	v_fma_f64 v[75:76], v[75:76], v[79:80], v[75:76]
	v_mul_f64 v[79:80], v[77:78], v[75:76]
	v_fma_f64 v[73:74], -v[73:74], v[79:80], v[77:78]
	v_div_fmas_f64 v[73:74], v[73:74], v[75:76], v[79:80]
	v_div_fixup_f64 v[73:74], v[73:74], v[58:59], v[60:61]
	v_fma_f64 v[58:59], v[60:61], v[73:74], v[58:59]
	v_div_scale_f64 v[60:61], s[4:5], v[58:59], v[58:59], 1.0
	v_div_scale_f64 v[79:80], vcc, 1.0, v[58:59], 1.0
	v_rcp_f64_e32 v[75:76], v[60:61]
	v_fma_f64 v[77:78], -v[60:61], v[75:76], 1.0
	v_fma_f64 v[75:76], v[75:76], v[77:78], v[75:76]
	v_fma_f64 v[77:78], -v[60:61], v[75:76], 1.0
	v_fma_f64 v[75:76], v[75:76], v[77:78], v[75:76]
	v_mul_f64 v[77:78], v[79:80], v[75:76]
	v_fma_f64 v[60:61], -v[60:61], v[77:78], v[79:80]
	v_div_fmas_f64 v[60:61], v[60:61], v[75:76], v[77:78]
	v_div_fixup_f64 v[58:59], v[60:61], v[58:59], 1.0
	v_mul_f64 v[60:61], v[73:74], -v[58:59]
.LBB26_51:
	s_or_b64 exec, exec, s[2:3]
.LBB26_52:
	s_or_b64 exec, exec, s[0:1]
	v_cmp_ne_u32_e32 vcc, v68, v66
	s_and_saveexec_b64 s[0:1], vcc
	s_xor_b64 s[0:1], exec, s[0:1]
	s_cbranch_execz .LBB26_58
; %bb.53:
	v_cmp_eq_u32_e32 vcc, 2, v68
	s_and_saveexec_b64 s[2:3], vcc
	s_cbranch_execz .LBB26_57
; %bb.54:
	v_cmp_ne_u32_e32 vcc, 2, v66
	s_xor_b64 s[4:5], s[18:19], -1
	s_and_b64 s[24:25], s[4:5], vcc
	s_and_saveexec_b64 s[4:5], s[24:25]
	s_cbranch_execz .LBB26_56
; %bb.55:
	v_ashrrev_i32_e32 v67, 31, v66
	v_lshlrev_b64 v[67:68], 2, v[66:67]
	v_add_co_u32_e32 v67, vcc, v64, v67
	v_addc_co_u32_e32 v68, vcc, v65, v68, vcc
	global_load_dword v0, v[67:68], off
	global_load_dword v73, v[64:65], off offset:8
	s_waitcnt vmcnt(1)
	global_store_dword v[64:65], v0, off offset:8
	s_waitcnt vmcnt(1)
	global_store_dword v[67:68], v73, off
.LBB26_56:
	s_or_b64 exec, exec, s[4:5]
	v_mov_b32_e32 v68, v66
	v_mov_b32_e32 v0, v66
.LBB26_57:
	s_or_b64 exec, exec, s[2:3]
.LBB26_58:
	s_andn2_saveexec_b64 s[0:1], s[0:1]
	s_cbranch_execz .LBB26_60
; %bb.59:
	v_mov_b32_e32 v68, 2
	ds_write2_b64 v1, v[38:39], v[40:41] offset0:6 offset1:7
	ds_write2_b64 v1, v[34:35], v[36:37] offset0:8 offset1:9
	;; [unrolled: 1-line block ×11, first 2 shown]
.LBB26_60:
	s_or_b64 exec, exec, s[0:1]
	v_cmp_lt_i32_e32 vcc, 2, v68
	s_waitcnt vmcnt(0) lgkmcnt(0)
	s_barrier
	s_and_saveexec_b64 s[0:1], vcc
	s_cbranch_execz .LBB26_62
; %bb.61:
	v_mul_f64 v[66:67], v[58:59], v[44:45]
	v_mul_f64 v[44:45], v[60:61], v[44:45]
	ds_read2_b64 v[73:76], v1 offset0:6 offset1:7
	ds_read2_b64 v[77:80], v1 offset0:8 offset1:9
	;; [unrolled: 1-line block ×7, first 2 shown]
	v_fma_f64 v[66:67], v[60:61], v[42:43], v[66:67]
	v_fma_f64 v[42:43], v[58:59], v[42:43], -v[44:45]
	s_waitcnt lgkmcnt(6)
	v_mul_f64 v[44:45], v[75:76], v[66:67]
	v_mul_f64 v[58:59], v[73:74], v[66:67]
	s_waitcnt lgkmcnt(5)
	v_mul_f64 v[60:61], v[79:80], v[66:67]
	v_mul_f64 v[101:102], v[77:78], v[66:67]
	;; [unrolled: 3-line block ×4, first 2 shown]
	v_fma_f64 v[44:45], v[73:74], v[42:43], -v[44:45]
	v_fma_f64 v[58:59], v[75:76], v[42:43], v[58:59]
	v_fma_f64 v[60:61], v[77:78], v[42:43], -v[60:61]
	v_fma_f64 v[73:74], v[79:80], v[42:43], v[101:102]
	;; [unrolled: 2-line block ×3, first 2 shown]
	s_waitcnt lgkmcnt(2)
	v_mul_f64 v[79:80], v[91:92], v[66:67]
	v_mul_f64 v[81:82], v[89:90], v[66:67]
	v_add_f64 v[38:39], v[38:39], -v[44:45]
	s_waitcnt lgkmcnt(1)
	v_mul_f64 v[44:45], v[95:96], v[66:67]
	v_fma_f64 v[83:84], v[85:86], v[42:43], -v[107:108]
	v_add_f64 v[36:37], v[36:37], -v[73:74]
	v_add_f64 v[30:31], v[30:31], -v[75:76]
	;; [unrolled: 1-line block ×3, first 2 shown]
	v_mul_f64 v[73:74], v[93:94], v[66:67]
	s_waitcnt lgkmcnt(0)
	v_mul_f64 v[75:76], v[99:100], v[66:67]
	v_mul_f64 v[77:78], v[97:98], v[66:67]
	v_fma_f64 v[79:80], v[89:90], v[42:43], -v[79:80]
	v_fma_f64 v[81:82], v[91:92], v[42:43], v[81:82]
	v_fma_f64 v[85:86], v[87:88], v[42:43], v[109:110]
	v_fma_f64 v[44:45], v[93:94], v[42:43], -v[44:45]
	v_add_f64 v[40:41], v[40:41], -v[58:59]
	v_fma_f64 v[73:74], v[95:96], v[42:43], v[73:74]
	v_fma_f64 v[75:76], v[97:98], v[42:43], -v[75:76]
	v_fma_f64 v[77:78], v[99:100], v[42:43], v[77:78]
	v_add_f64 v[34:35], v[34:35], -v[60:61]
	ds_read2_b64 v[58:61], v1 offset0:20 offset1:21
	v_add_f64 v[26:27], v[26:27], -v[83:84]
	v_add_f64 v[22:23], v[22:23], -v[79:80]
	;; [unrolled: 1-line block ×6, first 2 shown]
	ds_read2_b64 v[73:76], v1 offset0:22 offset1:23
	ds_read2_b64 v[77:80], v1 offset0:24 offset1:25
	;; [unrolled: 1-line block ×3, first 2 shown]
	v_add_f64 v[28:29], v[28:29], -v[85:86]
	v_add_f64 v[18:19], v[18:19], -v[44:45]
	s_waitcnt lgkmcnt(3)
	v_mul_f64 v[44:45], v[60:61], v[66:67]
	v_mul_f64 v[85:86], v[58:59], v[66:67]
	s_waitcnt lgkmcnt(2)
	v_mul_f64 v[87:88], v[75:76], v[66:67]
	v_mul_f64 v[89:90], v[73:74], v[66:67]
	;; [unrolled: 3-line block ×4, first 2 shown]
	v_fma_f64 v[44:45], v[58:59], v[42:43], -v[44:45]
	v_fma_f64 v[58:59], v[60:61], v[42:43], v[85:86]
	v_fma_f64 v[60:61], v[73:74], v[42:43], -v[87:88]
	v_fma_f64 v[73:74], v[75:76], v[42:43], v[89:90]
	;; [unrolled: 2-line block ×4, first 2 shown]
	v_add_f64 v[10:11], v[10:11], -v[44:45]
	v_add_f64 v[12:13], v[12:13], -v[58:59]
	;; [unrolled: 1-line block ×8, first 2 shown]
	v_mov_b32_e32 v44, v66
	v_mov_b32_e32 v45, v67
.LBB26_62:
	s_or_b64 exec, exec, s[0:1]
	v_lshl_add_u32 v58, v68, 4, v1
	s_barrier
	ds_write2_b64 v58, v[38:39], v[40:41] offset1:1
	s_waitcnt lgkmcnt(0)
	s_barrier
	ds_read2_b64 v[58:61], v1 offset0:6 offset1:7
	s_mov_b32 s2, 4
	s_cmp_lt_i32 s22, 5
	v_mov_b32_e32 v66, 3
	s_cbranch_scc1 .LBB26_65
; %bb.63:
	v_add3_u32 v67, v72, 0, 64
	v_mov_b32_e32 v66, 3
.LBB26_64:                              ; =>This Inner Loop Header: Depth=1
	s_waitcnt lgkmcnt(0)
	v_cmp_gt_f64_e32 vcc, 0, v[60:61]
	v_cmp_gt_f64_e64 s[0:1], 0, v[58:59]
	ds_read2_b64 v[72:75], v67 offset1:1
	v_xor_b32_e32 v77, 0x80000000, v59
	v_xor_b32_e32 v79, 0x80000000, v61
	v_mov_b32_e32 v76, v58
	v_mov_b32_e32 v78, v60
	s_waitcnt lgkmcnt(0)
	v_xor_b32_e32 v81, 0x80000000, v75
	v_cndmask_b32_e32 v79, v61, v79, vcc
	v_cndmask_b32_e64 v77, v59, v77, s[0:1]
	v_cmp_gt_f64_e32 vcc, 0, v[74:75]
	v_cmp_gt_f64_e64 s[0:1], 0, v[72:73]
	v_add_f64 v[76:77], v[76:77], v[78:79]
	v_xor_b32_e32 v79, 0x80000000, v73
	v_mov_b32_e32 v78, v72
	v_mov_b32_e32 v80, v74
	v_add_u32_e32 v67, 16, v67
	v_cndmask_b32_e32 v81, v75, v81, vcc
	v_cndmask_b32_e64 v79, v73, v79, s[0:1]
	v_add_f64 v[78:79], v[78:79], v[80:81]
	v_mov_b32_e32 v80, s2
	s_add_i32 s2, s2, 1
	s_cmp_lg_u32 s22, s2
	v_cmp_lt_f64_e32 vcc, v[76:77], v[78:79]
	v_cndmask_b32_e32 v59, v59, v73, vcc
	v_cndmask_b32_e32 v58, v58, v72, vcc
	;; [unrolled: 1-line block ×5, first 2 shown]
	s_cbranch_scc1 .LBB26_64
.LBB26_65:
	s_waitcnt lgkmcnt(0)
	v_cmp_eq_f64_e32 vcc, 0, v[58:59]
	v_cmp_eq_f64_e64 s[0:1], 0, v[60:61]
	s_and_b64 s[0:1], vcc, s[0:1]
	s_and_saveexec_b64 s[2:3], s[0:1]
	s_xor_b64 s[0:1], exec, s[2:3]
; %bb.66:
	v_cmp_ne_u32_e32 vcc, 0, v71
	v_cndmask_b32_e32 v71, 4, v71, vcc
; %bb.67:
	s_andn2_saveexec_b64 s[0:1], s[0:1]
	s_cbranch_execz .LBB26_73
; %bb.68:
	v_cmp_ngt_f64_e64 s[2:3], |v[58:59]|, |v[60:61]|
	s_and_saveexec_b64 s[4:5], s[2:3]
	s_xor_b64 s[2:3], exec, s[4:5]
	s_cbranch_execz .LBB26_70
; %bb.69:
	v_div_scale_f64 v[72:73], s[4:5], v[60:61], v[60:61], v[58:59]
	v_rcp_f64_e32 v[74:75], v[72:73]
	v_fma_f64 v[76:77], -v[72:73], v[74:75], 1.0
	v_fma_f64 v[74:75], v[74:75], v[76:77], v[74:75]
	v_div_scale_f64 v[76:77], vcc, v[58:59], v[60:61], v[58:59]
	v_fma_f64 v[78:79], -v[72:73], v[74:75], 1.0
	v_fma_f64 v[74:75], v[74:75], v[78:79], v[74:75]
	v_mul_f64 v[78:79], v[76:77], v[74:75]
	v_fma_f64 v[72:73], -v[72:73], v[78:79], v[76:77]
	v_div_fmas_f64 v[72:73], v[72:73], v[74:75], v[78:79]
	v_div_fixup_f64 v[72:73], v[72:73], v[60:61], v[58:59]
	v_fma_f64 v[58:59], v[58:59], v[72:73], v[60:61]
	v_div_scale_f64 v[60:61], s[4:5], v[58:59], v[58:59], 1.0
	v_div_scale_f64 v[78:79], vcc, 1.0, v[58:59], 1.0
	v_rcp_f64_e32 v[74:75], v[60:61]
	v_fma_f64 v[76:77], -v[60:61], v[74:75], 1.0
	v_fma_f64 v[74:75], v[74:75], v[76:77], v[74:75]
	v_fma_f64 v[76:77], -v[60:61], v[74:75], 1.0
	v_fma_f64 v[74:75], v[74:75], v[76:77], v[74:75]
	v_mul_f64 v[76:77], v[78:79], v[74:75]
	v_fma_f64 v[60:61], -v[60:61], v[76:77], v[78:79]
	v_div_fmas_f64 v[60:61], v[60:61], v[74:75], v[76:77]
	v_div_fixup_f64 v[60:61], v[60:61], v[58:59], 1.0
	v_mul_f64 v[58:59], v[72:73], v[60:61]
	v_xor_b32_e32 v61, 0x80000000, v61
.LBB26_70:
	s_andn2_saveexec_b64 s[2:3], s[2:3]
	s_cbranch_execz .LBB26_72
; %bb.71:
	v_div_scale_f64 v[72:73], s[4:5], v[58:59], v[58:59], v[60:61]
	v_rcp_f64_e32 v[74:75], v[72:73]
	v_fma_f64 v[76:77], -v[72:73], v[74:75], 1.0
	v_fma_f64 v[74:75], v[74:75], v[76:77], v[74:75]
	v_div_scale_f64 v[76:77], vcc, v[60:61], v[58:59], v[60:61]
	v_fma_f64 v[78:79], -v[72:73], v[74:75], 1.0
	v_fma_f64 v[74:75], v[74:75], v[78:79], v[74:75]
	v_mul_f64 v[78:79], v[76:77], v[74:75]
	v_fma_f64 v[72:73], -v[72:73], v[78:79], v[76:77]
	v_div_fmas_f64 v[72:73], v[72:73], v[74:75], v[78:79]
	v_div_fixup_f64 v[72:73], v[72:73], v[58:59], v[60:61]
	v_fma_f64 v[58:59], v[60:61], v[72:73], v[58:59]
	v_div_scale_f64 v[60:61], s[4:5], v[58:59], v[58:59], 1.0
	v_div_scale_f64 v[78:79], vcc, 1.0, v[58:59], 1.0
	v_rcp_f64_e32 v[74:75], v[60:61]
	v_fma_f64 v[76:77], -v[60:61], v[74:75], 1.0
	v_fma_f64 v[74:75], v[74:75], v[76:77], v[74:75]
	v_fma_f64 v[76:77], -v[60:61], v[74:75], 1.0
	v_fma_f64 v[74:75], v[74:75], v[76:77], v[74:75]
	v_mul_f64 v[76:77], v[78:79], v[74:75]
	v_fma_f64 v[60:61], -v[60:61], v[76:77], v[78:79]
	v_div_fmas_f64 v[60:61], v[60:61], v[74:75], v[76:77]
	v_div_fixup_f64 v[58:59], v[60:61], v[58:59], 1.0
	v_mul_f64 v[60:61], v[72:73], -v[58:59]
.LBB26_72:
	s_or_b64 exec, exec, s[2:3]
.LBB26_73:
	s_or_b64 exec, exec, s[0:1]
	v_cmp_ne_u32_e32 vcc, v68, v66
	s_and_saveexec_b64 s[0:1], vcc
	s_xor_b64 s[0:1], exec, s[0:1]
	s_cbranch_execz .LBB26_79
; %bb.74:
	v_cmp_eq_u32_e32 vcc, 3, v68
	s_and_saveexec_b64 s[2:3], vcc
	s_cbranch_execz .LBB26_78
; %bb.75:
	v_cmp_ne_u32_e32 vcc, 3, v66
	s_xor_b64 s[4:5], s[18:19], -1
	s_and_b64 s[24:25], s[4:5], vcc
	s_and_saveexec_b64 s[4:5], s[24:25]
	s_cbranch_execz .LBB26_77
; %bb.76:
	v_ashrrev_i32_e32 v67, 31, v66
	v_lshlrev_b64 v[67:68], 2, v[66:67]
	v_add_co_u32_e32 v67, vcc, v64, v67
	v_addc_co_u32_e32 v68, vcc, v65, v68, vcc
	global_load_dword v0, v[67:68], off
	global_load_dword v72, v[64:65], off offset:12
	s_waitcnt vmcnt(1)
	global_store_dword v[64:65], v0, off offset:12
	s_waitcnt vmcnt(1)
	global_store_dword v[67:68], v72, off
.LBB26_77:
	s_or_b64 exec, exec, s[4:5]
	v_mov_b32_e32 v68, v66
	v_mov_b32_e32 v0, v66
.LBB26_78:
	s_or_b64 exec, exec, s[2:3]
.LBB26_79:
	s_andn2_saveexec_b64 s[0:1], s[0:1]
	s_cbranch_execz .LBB26_81
; %bb.80:
	v_mov_b32_e32 v68, 3
	ds_write2_b64 v1, v[34:35], v[36:37] offset0:8 offset1:9
	ds_write2_b64 v1, v[30:31], v[32:33] offset0:10 offset1:11
	;; [unrolled: 1-line block ×10, first 2 shown]
.LBB26_81:
	s_or_b64 exec, exec, s[0:1]
	v_cmp_lt_i32_e32 vcc, 3, v68
	s_waitcnt vmcnt(0) lgkmcnt(0)
	s_barrier
	s_and_saveexec_b64 s[0:1], vcc
	s_cbranch_execz .LBB26_83
; %bb.82:
	v_mul_f64 v[66:67], v[58:59], v[40:41]
	v_mul_f64 v[40:41], v[60:61], v[40:41]
	ds_read2_b64 v[72:75], v1 offset0:8 offset1:9
	ds_read2_b64 v[76:79], v1 offset0:10 offset1:11
	;; [unrolled: 1-line block ×6, first 2 shown]
	v_fma_f64 v[66:67], v[60:61], v[38:39], v[66:67]
	v_fma_f64 v[38:39], v[58:59], v[38:39], -v[40:41]
	s_waitcnt lgkmcnt(5)
	v_mul_f64 v[40:41], v[74:75], v[66:67]
	v_mul_f64 v[58:59], v[72:73], v[66:67]
	s_waitcnt lgkmcnt(4)
	v_mul_f64 v[60:61], v[78:79], v[66:67]
	v_mul_f64 v[96:97], v[76:77], v[66:67]
	;; [unrolled: 3-line block ×3, first 2 shown]
	s_waitcnt lgkmcnt(2)
	v_mul_f64 v[102:103], v[86:87], v[66:67]
	s_waitcnt lgkmcnt(1)
	v_mul_f64 v[106:107], v[90:91], v[66:67]
	v_mul_f64 v[108:109], v[88:89], v[66:67]
	s_waitcnt lgkmcnt(0)
	v_mul_f64 v[110:111], v[94:95], v[66:67]
	v_fma_f64 v[40:41], v[72:73], v[38:39], -v[40:41]
	v_fma_f64 v[58:59], v[74:75], v[38:39], v[58:59]
	v_fma_f64 v[60:61], v[76:77], v[38:39], -v[60:61]
	v_fma_f64 v[72:73], v[78:79], v[38:39], v[96:97]
	v_mul_f64 v[74:75], v[92:93], v[66:67]
	v_fma_f64 v[76:77], v[80:81], v[38:39], -v[98:99]
	v_mul_f64 v[104:105], v[84:85], v[66:67]
	v_fma_f64 v[78:79], v[82:83], v[38:39], v[100:101]
	v_fma_f64 v[80:81], v[84:85], v[38:39], -v[102:103]
	v_add_f64 v[36:37], v[36:37], -v[58:59]
	v_fma_f64 v[58:59], v[88:89], v[38:39], -v[106:107]
	v_add_f64 v[32:33], v[32:33], -v[72:73]
	v_fma_f64 v[72:73], v[90:91], v[38:39], v[108:109]
	v_add_f64 v[26:27], v[26:27], -v[76:77]
	v_fma_f64 v[76:77], v[92:93], v[38:39], -v[110:111]
	v_fma_f64 v[74:75], v[94:95], v[38:39], v[74:75]
	v_add_f64 v[34:35], v[34:35], -v[40:41]
	v_fma_f64 v[40:41], v[86:87], v[38:39], v[104:105]
	v_add_f64 v[30:31], v[30:31], -v[60:61]
	v_add_f64 v[28:29], v[28:29], -v[78:79]
	;; [unrolled: 1-line block ×4, first 2 shown]
	ds_read2_b64 v[58:61], v1 offset0:20 offset1:21
	v_add_f64 v[20:21], v[20:21], -v[72:73]
	v_add_f64 v[14:15], v[14:15], -v[76:77]
	;; [unrolled: 1-line block ×3, first 2 shown]
	ds_read2_b64 v[72:75], v1 offset0:22 offset1:23
	ds_read2_b64 v[76:79], v1 offset0:24 offset1:25
	;; [unrolled: 1-line block ×3, first 2 shown]
	v_add_f64 v[24:25], v[24:25], -v[40:41]
	s_waitcnt lgkmcnt(3)
	v_mul_f64 v[40:41], v[60:61], v[66:67]
	v_mul_f64 v[84:85], v[58:59], v[66:67]
	s_waitcnt lgkmcnt(2)
	v_mul_f64 v[86:87], v[74:75], v[66:67]
	v_mul_f64 v[88:89], v[72:73], v[66:67]
	;; [unrolled: 3-line block ×4, first 2 shown]
	v_fma_f64 v[40:41], v[58:59], v[38:39], -v[40:41]
	v_fma_f64 v[58:59], v[60:61], v[38:39], v[84:85]
	v_fma_f64 v[60:61], v[72:73], v[38:39], -v[86:87]
	v_fma_f64 v[72:73], v[74:75], v[38:39], v[88:89]
	;; [unrolled: 2-line block ×4, first 2 shown]
	v_add_f64 v[10:11], v[10:11], -v[40:41]
	v_add_f64 v[12:13], v[12:13], -v[58:59]
	;; [unrolled: 1-line block ×8, first 2 shown]
	v_mov_b32_e32 v40, v66
	v_mov_b32_e32 v41, v67
.LBB26_83:
	s_or_b64 exec, exec, s[0:1]
	v_lshl_add_u32 v58, v68, 4, v1
	s_barrier
	ds_write2_b64 v58, v[34:35], v[36:37] offset1:1
	s_waitcnt lgkmcnt(0)
	s_barrier
	ds_read2_b64 v[58:61], v1 offset0:8 offset1:9
	s_cmp_lt_i32 s22, 6
	v_mov_b32_e32 v66, 4
	s_cbranch_scc1 .LBB26_86
; %bb.84:
	v_mov_b32_e32 v66, 4
	v_add_u32_e32 v67, 0x50, v1
	s_mov_b32 s2, 5
.LBB26_85:                              ; =>This Inner Loop Header: Depth=1
	s_waitcnt lgkmcnt(0)
	v_cmp_gt_f64_e32 vcc, 0, v[60:61]
	v_cmp_gt_f64_e64 s[0:1], 0, v[58:59]
	ds_read2_b64 v[72:75], v67 offset1:1
	v_xor_b32_e32 v77, 0x80000000, v59
	v_xor_b32_e32 v79, 0x80000000, v61
	v_mov_b32_e32 v76, v58
	v_mov_b32_e32 v78, v60
	s_waitcnt lgkmcnt(0)
	v_xor_b32_e32 v81, 0x80000000, v75
	v_cndmask_b32_e32 v79, v61, v79, vcc
	v_cndmask_b32_e64 v77, v59, v77, s[0:1]
	v_cmp_gt_f64_e32 vcc, 0, v[74:75]
	v_cmp_gt_f64_e64 s[0:1], 0, v[72:73]
	v_add_f64 v[76:77], v[76:77], v[78:79]
	v_xor_b32_e32 v79, 0x80000000, v73
	v_mov_b32_e32 v78, v72
	v_mov_b32_e32 v80, v74
	v_add_u32_e32 v67, 16, v67
	v_cndmask_b32_e32 v81, v75, v81, vcc
	v_cndmask_b32_e64 v79, v73, v79, s[0:1]
	v_add_f64 v[78:79], v[78:79], v[80:81]
	v_mov_b32_e32 v80, s2
	s_add_i32 s2, s2, 1
	s_cmp_lg_u32 s22, s2
	v_cmp_lt_f64_e32 vcc, v[76:77], v[78:79]
	v_cndmask_b32_e32 v59, v59, v73, vcc
	v_cndmask_b32_e32 v58, v58, v72, vcc
	;; [unrolled: 1-line block ×5, first 2 shown]
	s_cbranch_scc1 .LBB26_85
.LBB26_86:
	s_waitcnt lgkmcnt(0)
	v_cmp_eq_f64_e32 vcc, 0, v[58:59]
	v_cmp_eq_f64_e64 s[0:1], 0, v[60:61]
	s_and_b64 s[0:1], vcc, s[0:1]
	s_and_saveexec_b64 s[2:3], s[0:1]
	s_xor_b64 s[0:1], exec, s[2:3]
; %bb.87:
	v_cmp_ne_u32_e32 vcc, 0, v71
	v_cndmask_b32_e32 v71, 5, v71, vcc
; %bb.88:
	s_andn2_saveexec_b64 s[0:1], s[0:1]
	s_cbranch_execz .LBB26_94
; %bb.89:
	v_cmp_ngt_f64_e64 s[2:3], |v[58:59]|, |v[60:61]|
	s_and_saveexec_b64 s[4:5], s[2:3]
	s_xor_b64 s[2:3], exec, s[4:5]
	s_cbranch_execz .LBB26_91
; %bb.90:
	v_div_scale_f64 v[72:73], s[4:5], v[60:61], v[60:61], v[58:59]
	v_rcp_f64_e32 v[74:75], v[72:73]
	v_fma_f64 v[76:77], -v[72:73], v[74:75], 1.0
	v_fma_f64 v[74:75], v[74:75], v[76:77], v[74:75]
	v_div_scale_f64 v[76:77], vcc, v[58:59], v[60:61], v[58:59]
	v_fma_f64 v[78:79], -v[72:73], v[74:75], 1.0
	v_fma_f64 v[74:75], v[74:75], v[78:79], v[74:75]
	v_mul_f64 v[78:79], v[76:77], v[74:75]
	v_fma_f64 v[72:73], -v[72:73], v[78:79], v[76:77]
	v_div_fmas_f64 v[72:73], v[72:73], v[74:75], v[78:79]
	v_div_fixup_f64 v[72:73], v[72:73], v[60:61], v[58:59]
	v_fma_f64 v[58:59], v[58:59], v[72:73], v[60:61]
	v_div_scale_f64 v[60:61], s[4:5], v[58:59], v[58:59], 1.0
	v_div_scale_f64 v[78:79], vcc, 1.0, v[58:59], 1.0
	v_rcp_f64_e32 v[74:75], v[60:61]
	v_fma_f64 v[76:77], -v[60:61], v[74:75], 1.0
	v_fma_f64 v[74:75], v[74:75], v[76:77], v[74:75]
	v_fma_f64 v[76:77], -v[60:61], v[74:75], 1.0
	v_fma_f64 v[74:75], v[74:75], v[76:77], v[74:75]
	v_mul_f64 v[76:77], v[78:79], v[74:75]
	v_fma_f64 v[60:61], -v[60:61], v[76:77], v[78:79]
	v_div_fmas_f64 v[60:61], v[60:61], v[74:75], v[76:77]
	v_div_fixup_f64 v[60:61], v[60:61], v[58:59], 1.0
	v_mul_f64 v[58:59], v[72:73], v[60:61]
	v_xor_b32_e32 v61, 0x80000000, v61
.LBB26_91:
	s_andn2_saveexec_b64 s[2:3], s[2:3]
	s_cbranch_execz .LBB26_93
; %bb.92:
	v_div_scale_f64 v[72:73], s[4:5], v[58:59], v[58:59], v[60:61]
	v_rcp_f64_e32 v[74:75], v[72:73]
	v_fma_f64 v[76:77], -v[72:73], v[74:75], 1.0
	v_fma_f64 v[74:75], v[74:75], v[76:77], v[74:75]
	v_div_scale_f64 v[76:77], vcc, v[60:61], v[58:59], v[60:61]
	v_fma_f64 v[78:79], -v[72:73], v[74:75], 1.0
	v_fma_f64 v[74:75], v[74:75], v[78:79], v[74:75]
	v_mul_f64 v[78:79], v[76:77], v[74:75]
	v_fma_f64 v[72:73], -v[72:73], v[78:79], v[76:77]
	v_div_fmas_f64 v[72:73], v[72:73], v[74:75], v[78:79]
	v_div_fixup_f64 v[72:73], v[72:73], v[58:59], v[60:61]
	v_fma_f64 v[58:59], v[60:61], v[72:73], v[58:59]
	v_div_scale_f64 v[60:61], s[4:5], v[58:59], v[58:59], 1.0
	v_div_scale_f64 v[78:79], vcc, 1.0, v[58:59], 1.0
	v_rcp_f64_e32 v[74:75], v[60:61]
	v_fma_f64 v[76:77], -v[60:61], v[74:75], 1.0
	v_fma_f64 v[74:75], v[74:75], v[76:77], v[74:75]
	v_fma_f64 v[76:77], -v[60:61], v[74:75], 1.0
	v_fma_f64 v[74:75], v[74:75], v[76:77], v[74:75]
	v_mul_f64 v[76:77], v[78:79], v[74:75]
	v_fma_f64 v[60:61], -v[60:61], v[76:77], v[78:79]
	v_div_fmas_f64 v[60:61], v[60:61], v[74:75], v[76:77]
	v_div_fixup_f64 v[58:59], v[60:61], v[58:59], 1.0
	v_mul_f64 v[60:61], v[72:73], -v[58:59]
.LBB26_93:
	s_or_b64 exec, exec, s[2:3]
.LBB26_94:
	s_or_b64 exec, exec, s[0:1]
	v_cmp_ne_u32_e32 vcc, v68, v66
	s_and_saveexec_b64 s[0:1], vcc
	s_xor_b64 s[0:1], exec, s[0:1]
	s_cbranch_execz .LBB26_100
; %bb.95:
	v_cmp_eq_u32_e32 vcc, 4, v68
	s_and_saveexec_b64 s[2:3], vcc
	s_cbranch_execz .LBB26_99
; %bb.96:
	v_cmp_ne_u32_e32 vcc, 4, v66
	s_xor_b64 s[4:5], s[18:19], -1
	s_and_b64 s[24:25], s[4:5], vcc
	s_and_saveexec_b64 s[4:5], s[24:25]
	s_cbranch_execz .LBB26_98
; %bb.97:
	v_ashrrev_i32_e32 v67, 31, v66
	v_lshlrev_b64 v[67:68], 2, v[66:67]
	v_add_co_u32_e32 v67, vcc, v64, v67
	v_addc_co_u32_e32 v68, vcc, v65, v68, vcc
	global_load_dword v0, v[67:68], off
	global_load_dword v72, v[64:65], off offset:16
	s_waitcnt vmcnt(1)
	global_store_dword v[64:65], v0, off offset:16
	s_waitcnt vmcnt(1)
	global_store_dword v[67:68], v72, off
.LBB26_98:
	s_or_b64 exec, exec, s[4:5]
	v_mov_b32_e32 v68, v66
	v_mov_b32_e32 v0, v66
.LBB26_99:
	s_or_b64 exec, exec, s[2:3]
.LBB26_100:
	s_andn2_saveexec_b64 s[0:1], s[0:1]
	s_cbranch_execz .LBB26_102
; %bb.101:
	v_mov_b32_e32 v68, 4
	ds_write2_b64 v1, v[30:31], v[32:33] offset0:10 offset1:11
	ds_write2_b64 v1, v[26:27], v[28:29] offset0:12 offset1:13
	;; [unrolled: 1-line block ×9, first 2 shown]
.LBB26_102:
	s_or_b64 exec, exec, s[0:1]
	v_cmp_lt_i32_e32 vcc, 4, v68
	s_waitcnt vmcnt(0) lgkmcnt(0)
	s_barrier
	s_and_saveexec_b64 s[0:1], vcc
	s_cbranch_execz .LBB26_104
; %bb.103:
	v_mul_f64 v[66:67], v[58:59], v[36:37]
	v_mul_f64 v[36:37], v[60:61], v[36:37]
	ds_read2_b64 v[72:75], v1 offset0:10 offset1:11
	ds_read2_b64 v[76:79], v1 offset0:12 offset1:13
	;; [unrolled: 1-line block ×6, first 2 shown]
	v_fma_f64 v[66:67], v[60:61], v[34:35], v[66:67]
	v_fma_f64 v[34:35], v[58:59], v[34:35], -v[36:37]
	s_waitcnt lgkmcnt(5)
	v_mul_f64 v[36:37], v[74:75], v[66:67]
	v_mul_f64 v[58:59], v[72:73], v[66:67]
	s_waitcnt lgkmcnt(4)
	v_mul_f64 v[60:61], v[78:79], v[66:67]
	v_mul_f64 v[96:97], v[76:77], v[66:67]
	s_waitcnt lgkmcnt(3)
	v_mul_f64 v[98:99], v[82:83], v[66:67]
	v_mul_f64 v[100:101], v[80:81], v[66:67]
	s_waitcnt lgkmcnt(2)
	v_mul_f64 v[102:103], v[86:87], v[66:67]
	v_mul_f64 v[104:105], v[84:85], v[66:67]
	s_waitcnt lgkmcnt(1)
	v_mul_f64 v[106:107], v[90:91], v[66:67]
	v_mul_f64 v[108:109], v[88:89], v[66:67]
	v_fma_f64 v[36:37], v[72:73], v[34:35], -v[36:37]
	v_fma_f64 v[58:59], v[74:75], v[34:35], v[58:59]
	v_fma_f64 v[60:61], v[76:77], v[34:35], -v[60:61]
	v_fma_f64 v[72:73], v[78:79], v[34:35], v[96:97]
	;; [unrolled: 2-line block ×5, first 2 shown]
	v_add_f64 v[32:33], v[32:33], -v[58:59]
	v_add_f64 v[26:27], v[26:27], -v[60:61]
	;; [unrolled: 1-line block ×6, first 2 shown]
	ds_read2_b64 v[58:61], v1 offset0:22 offset1:23
	ds_read2_b64 v[72:75], v1 offset0:24 offset1:25
	;; [unrolled: 1-line block ×3, first 2 shown]
	v_add_f64 v[30:31], v[30:31], -v[36:37]
	v_add_f64 v[20:21], v[20:21], -v[80:81]
	;; [unrolled: 1-line block ×4, first 2 shown]
	s_waitcnt lgkmcnt(3)
	v_mul_f64 v[36:37], v[94:95], v[66:67]
	v_mul_f64 v[80:81], v[92:93], v[66:67]
	s_waitcnt lgkmcnt(2)
	v_mul_f64 v[82:83], v[60:61], v[66:67]
	v_mul_f64 v[84:85], v[58:59], v[66:67]
	;; [unrolled: 3-line block ×4, first 2 shown]
	v_fma_f64 v[36:37], v[92:93], v[34:35], -v[36:37]
	v_fma_f64 v[80:81], v[94:95], v[34:35], v[80:81]
	v_fma_f64 v[58:59], v[58:59], v[34:35], -v[82:83]
	v_fma_f64 v[60:61], v[60:61], v[34:35], v[84:85]
	;; [unrolled: 2-line block ×4, first 2 shown]
	v_add_f64 v[10:11], v[10:11], -v[36:37]
	v_add_f64 v[12:13], v[12:13], -v[80:81]
	;; [unrolled: 1-line block ×8, first 2 shown]
	v_mov_b32_e32 v36, v66
	v_mov_b32_e32 v37, v67
.LBB26_104:
	s_or_b64 exec, exec, s[0:1]
	v_lshl_add_u32 v58, v68, 4, v1
	s_barrier
	ds_write2_b64 v58, v[30:31], v[32:33] offset1:1
	s_waitcnt lgkmcnt(0)
	s_barrier
	ds_read2_b64 v[58:61], v1 offset0:10 offset1:11
	s_cmp_lt_i32 s22, 7
	v_mov_b32_e32 v66, 5
	s_cbranch_scc1 .LBB26_107
; %bb.105:
	v_add_u32_e32 v67, 0x60, v1
	s_mov_b32 s2, 6
	v_mov_b32_e32 v66, 5
.LBB26_106:                             ; =>This Inner Loop Header: Depth=1
	s_waitcnt lgkmcnt(0)
	v_cmp_gt_f64_e32 vcc, 0, v[60:61]
	v_cmp_gt_f64_e64 s[0:1], 0, v[58:59]
	ds_read2_b64 v[72:75], v67 offset1:1
	v_xor_b32_e32 v77, 0x80000000, v59
	v_xor_b32_e32 v79, 0x80000000, v61
	v_mov_b32_e32 v76, v58
	v_mov_b32_e32 v78, v60
	s_waitcnt lgkmcnt(0)
	v_xor_b32_e32 v81, 0x80000000, v75
	v_cndmask_b32_e32 v79, v61, v79, vcc
	v_cndmask_b32_e64 v77, v59, v77, s[0:1]
	v_cmp_gt_f64_e32 vcc, 0, v[74:75]
	v_cmp_gt_f64_e64 s[0:1], 0, v[72:73]
	v_add_f64 v[76:77], v[76:77], v[78:79]
	v_xor_b32_e32 v79, 0x80000000, v73
	v_mov_b32_e32 v78, v72
	v_mov_b32_e32 v80, v74
	v_add_u32_e32 v67, 16, v67
	v_cndmask_b32_e32 v81, v75, v81, vcc
	v_cndmask_b32_e64 v79, v73, v79, s[0:1]
	v_add_f64 v[78:79], v[78:79], v[80:81]
	v_mov_b32_e32 v80, s2
	s_add_i32 s2, s2, 1
	s_cmp_lg_u32 s22, s2
	v_cmp_lt_f64_e32 vcc, v[76:77], v[78:79]
	v_cndmask_b32_e32 v59, v59, v73, vcc
	v_cndmask_b32_e32 v58, v58, v72, vcc
	;; [unrolled: 1-line block ×5, first 2 shown]
	s_cbranch_scc1 .LBB26_106
.LBB26_107:
	s_waitcnt lgkmcnt(0)
	v_cmp_eq_f64_e32 vcc, 0, v[58:59]
	v_cmp_eq_f64_e64 s[0:1], 0, v[60:61]
	s_and_b64 s[0:1], vcc, s[0:1]
	s_and_saveexec_b64 s[2:3], s[0:1]
	s_xor_b64 s[0:1], exec, s[2:3]
; %bb.108:
	v_cmp_ne_u32_e32 vcc, 0, v71
	v_cndmask_b32_e32 v71, 6, v71, vcc
; %bb.109:
	s_andn2_saveexec_b64 s[0:1], s[0:1]
	s_cbranch_execz .LBB26_115
; %bb.110:
	v_cmp_ngt_f64_e64 s[2:3], |v[58:59]|, |v[60:61]|
	s_and_saveexec_b64 s[4:5], s[2:3]
	s_xor_b64 s[2:3], exec, s[4:5]
	s_cbranch_execz .LBB26_112
; %bb.111:
	v_div_scale_f64 v[72:73], s[4:5], v[60:61], v[60:61], v[58:59]
	v_rcp_f64_e32 v[74:75], v[72:73]
	v_fma_f64 v[76:77], -v[72:73], v[74:75], 1.0
	v_fma_f64 v[74:75], v[74:75], v[76:77], v[74:75]
	v_div_scale_f64 v[76:77], vcc, v[58:59], v[60:61], v[58:59]
	v_fma_f64 v[78:79], -v[72:73], v[74:75], 1.0
	v_fma_f64 v[74:75], v[74:75], v[78:79], v[74:75]
	v_mul_f64 v[78:79], v[76:77], v[74:75]
	v_fma_f64 v[72:73], -v[72:73], v[78:79], v[76:77]
	v_div_fmas_f64 v[72:73], v[72:73], v[74:75], v[78:79]
	v_div_fixup_f64 v[72:73], v[72:73], v[60:61], v[58:59]
	v_fma_f64 v[58:59], v[58:59], v[72:73], v[60:61]
	v_div_scale_f64 v[60:61], s[4:5], v[58:59], v[58:59], 1.0
	v_div_scale_f64 v[78:79], vcc, 1.0, v[58:59], 1.0
	v_rcp_f64_e32 v[74:75], v[60:61]
	v_fma_f64 v[76:77], -v[60:61], v[74:75], 1.0
	v_fma_f64 v[74:75], v[74:75], v[76:77], v[74:75]
	v_fma_f64 v[76:77], -v[60:61], v[74:75], 1.0
	v_fma_f64 v[74:75], v[74:75], v[76:77], v[74:75]
	v_mul_f64 v[76:77], v[78:79], v[74:75]
	v_fma_f64 v[60:61], -v[60:61], v[76:77], v[78:79]
	v_div_fmas_f64 v[60:61], v[60:61], v[74:75], v[76:77]
	v_div_fixup_f64 v[60:61], v[60:61], v[58:59], 1.0
	v_mul_f64 v[58:59], v[72:73], v[60:61]
	v_xor_b32_e32 v61, 0x80000000, v61
.LBB26_112:
	s_andn2_saveexec_b64 s[2:3], s[2:3]
	s_cbranch_execz .LBB26_114
; %bb.113:
	v_div_scale_f64 v[72:73], s[4:5], v[58:59], v[58:59], v[60:61]
	v_rcp_f64_e32 v[74:75], v[72:73]
	v_fma_f64 v[76:77], -v[72:73], v[74:75], 1.0
	v_fma_f64 v[74:75], v[74:75], v[76:77], v[74:75]
	v_div_scale_f64 v[76:77], vcc, v[60:61], v[58:59], v[60:61]
	v_fma_f64 v[78:79], -v[72:73], v[74:75], 1.0
	v_fma_f64 v[74:75], v[74:75], v[78:79], v[74:75]
	v_mul_f64 v[78:79], v[76:77], v[74:75]
	v_fma_f64 v[72:73], -v[72:73], v[78:79], v[76:77]
	v_div_fmas_f64 v[72:73], v[72:73], v[74:75], v[78:79]
	v_div_fixup_f64 v[72:73], v[72:73], v[58:59], v[60:61]
	v_fma_f64 v[58:59], v[60:61], v[72:73], v[58:59]
	v_div_scale_f64 v[60:61], s[4:5], v[58:59], v[58:59], 1.0
	v_div_scale_f64 v[78:79], vcc, 1.0, v[58:59], 1.0
	v_rcp_f64_e32 v[74:75], v[60:61]
	v_fma_f64 v[76:77], -v[60:61], v[74:75], 1.0
	v_fma_f64 v[74:75], v[74:75], v[76:77], v[74:75]
	v_fma_f64 v[76:77], -v[60:61], v[74:75], 1.0
	v_fma_f64 v[74:75], v[74:75], v[76:77], v[74:75]
	v_mul_f64 v[76:77], v[78:79], v[74:75]
	v_fma_f64 v[60:61], -v[60:61], v[76:77], v[78:79]
	v_div_fmas_f64 v[60:61], v[60:61], v[74:75], v[76:77]
	v_div_fixup_f64 v[58:59], v[60:61], v[58:59], 1.0
	v_mul_f64 v[60:61], v[72:73], -v[58:59]
.LBB26_114:
	s_or_b64 exec, exec, s[2:3]
.LBB26_115:
	s_or_b64 exec, exec, s[0:1]
	v_cmp_ne_u32_e32 vcc, v68, v66
	s_and_saveexec_b64 s[0:1], vcc
	s_xor_b64 s[0:1], exec, s[0:1]
	s_cbranch_execz .LBB26_121
; %bb.116:
	v_cmp_eq_u32_e32 vcc, 5, v68
	s_and_saveexec_b64 s[2:3], vcc
	s_cbranch_execz .LBB26_120
; %bb.117:
	v_cmp_ne_u32_e32 vcc, 5, v66
	s_xor_b64 s[4:5], s[18:19], -1
	s_and_b64 s[24:25], s[4:5], vcc
	s_and_saveexec_b64 s[4:5], s[24:25]
	s_cbranch_execz .LBB26_119
; %bb.118:
	v_ashrrev_i32_e32 v67, 31, v66
	v_lshlrev_b64 v[67:68], 2, v[66:67]
	v_add_co_u32_e32 v67, vcc, v64, v67
	v_addc_co_u32_e32 v68, vcc, v65, v68, vcc
	global_load_dword v0, v[67:68], off
	global_load_dword v72, v[64:65], off offset:20
	s_waitcnt vmcnt(1)
	global_store_dword v[64:65], v0, off offset:20
	s_waitcnt vmcnt(1)
	global_store_dword v[67:68], v72, off
.LBB26_119:
	s_or_b64 exec, exec, s[4:5]
	v_mov_b32_e32 v68, v66
	v_mov_b32_e32 v0, v66
.LBB26_120:
	s_or_b64 exec, exec, s[2:3]
.LBB26_121:
	s_andn2_saveexec_b64 s[0:1], s[0:1]
	s_cbranch_execz .LBB26_123
; %bb.122:
	v_mov_b32_e32 v68, 5
	ds_write2_b64 v1, v[26:27], v[28:29] offset0:12 offset1:13
	ds_write2_b64 v1, v[22:23], v[24:25] offset0:14 offset1:15
	;; [unrolled: 1-line block ×8, first 2 shown]
.LBB26_123:
	s_or_b64 exec, exec, s[0:1]
	v_cmp_lt_i32_e32 vcc, 5, v68
	s_waitcnt vmcnt(0) lgkmcnt(0)
	s_barrier
	s_and_saveexec_b64 s[0:1], vcc
	s_cbranch_execz .LBB26_125
; %bb.124:
	v_mul_f64 v[66:67], v[58:59], v[32:33]
	v_mul_f64 v[32:33], v[60:61], v[32:33]
	ds_read2_b64 v[72:75], v1 offset0:12 offset1:13
	ds_read2_b64 v[76:79], v1 offset0:14 offset1:15
	;; [unrolled: 1-line block ×5, first 2 shown]
	v_fma_f64 v[66:67], v[60:61], v[30:31], v[66:67]
	v_fma_f64 v[30:31], v[58:59], v[30:31], -v[32:33]
	s_waitcnt lgkmcnt(4)
	v_mul_f64 v[32:33], v[74:75], v[66:67]
	v_mul_f64 v[58:59], v[72:73], v[66:67]
	s_waitcnt lgkmcnt(3)
	v_mul_f64 v[60:61], v[78:79], v[66:67]
	v_mul_f64 v[92:93], v[76:77], v[66:67]
	;; [unrolled: 3-line block ×4, first 2 shown]
	v_fma_f64 v[32:33], v[72:73], v[30:31], -v[32:33]
	v_fma_f64 v[58:59], v[74:75], v[30:31], v[58:59]
	v_fma_f64 v[60:61], v[76:77], v[30:31], -v[60:61]
	v_fma_f64 v[72:73], v[78:79], v[30:31], v[92:93]
	;; [unrolled: 2-line block ×4, first 2 shown]
	v_add_f64 v[26:27], v[26:27], -v[32:33]
	v_add_f64 v[28:29], v[28:29], -v[58:59]
	v_add_f64 v[22:23], v[22:23], -v[60:61]
	v_add_f64 v[24:25], v[24:25], -v[72:73]
	v_add_f64 v[18:19], v[18:19], -v[74:75]
	v_add_f64 v[20:21], v[20:21], -v[76:77]
	v_add_f64 v[14:15], v[14:15], -v[78:79]
	ds_read2_b64 v[58:61], v1 offset0:22 offset1:23
	ds_read2_b64 v[72:75], v1 offset0:24 offset1:25
	ds_read2_b64 v[76:79], v1 offset0:26 offset1:27
	v_add_f64 v[16:17], v[16:17], -v[80:81]
	s_waitcnt lgkmcnt(3)
	v_mul_f64 v[32:33], v[90:91], v[66:67]
	v_mul_f64 v[80:81], v[88:89], v[66:67]
	s_waitcnt lgkmcnt(2)
	v_mul_f64 v[82:83], v[60:61], v[66:67]
	v_mul_f64 v[84:85], v[58:59], v[66:67]
	;; [unrolled: 3-line block ×4, first 2 shown]
	v_fma_f64 v[32:33], v[88:89], v[30:31], -v[32:33]
	v_fma_f64 v[80:81], v[90:91], v[30:31], v[80:81]
	v_fma_f64 v[58:59], v[58:59], v[30:31], -v[82:83]
	v_fma_f64 v[60:61], v[60:61], v[30:31], v[84:85]
	;; [unrolled: 2-line block ×4, first 2 shown]
	v_add_f64 v[10:11], v[10:11], -v[32:33]
	v_add_f64 v[12:13], v[12:13], -v[80:81]
	;; [unrolled: 1-line block ×8, first 2 shown]
	v_mov_b32_e32 v32, v66
	v_mov_b32_e32 v33, v67
.LBB26_125:
	s_or_b64 exec, exec, s[0:1]
	v_lshl_add_u32 v58, v68, 4, v1
	s_barrier
	ds_write2_b64 v58, v[26:27], v[28:29] offset1:1
	s_waitcnt lgkmcnt(0)
	s_barrier
	ds_read2_b64 v[58:61], v1 offset0:12 offset1:13
	s_cmp_lt_i32 s22, 8
	v_mov_b32_e32 v66, 6
	s_cbranch_scc1 .LBB26_128
; %bb.126:
	v_add_u32_e32 v67, 0x70, v1
	s_mov_b32 s2, 7
	v_mov_b32_e32 v66, 6
.LBB26_127:                             ; =>This Inner Loop Header: Depth=1
	s_waitcnt lgkmcnt(0)
	v_cmp_gt_f64_e32 vcc, 0, v[60:61]
	v_cmp_gt_f64_e64 s[0:1], 0, v[58:59]
	ds_read2_b64 v[72:75], v67 offset1:1
	v_xor_b32_e32 v77, 0x80000000, v59
	v_xor_b32_e32 v79, 0x80000000, v61
	v_mov_b32_e32 v76, v58
	v_mov_b32_e32 v78, v60
	s_waitcnt lgkmcnt(0)
	v_xor_b32_e32 v81, 0x80000000, v75
	v_cndmask_b32_e32 v79, v61, v79, vcc
	v_cndmask_b32_e64 v77, v59, v77, s[0:1]
	v_cmp_gt_f64_e32 vcc, 0, v[74:75]
	v_cmp_gt_f64_e64 s[0:1], 0, v[72:73]
	v_add_f64 v[76:77], v[76:77], v[78:79]
	v_xor_b32_e32 v79, 0x80000000, v73
	v_mov_b32_e32 v78, v72
	v_mov_b32_e32 v80, v74
	v_add_u32_e32 v67, 16, v67
	v_cndmask_b32_e32 v81, v75, v81, vcc
	v_cndmask_b32_e64 v79, v73, v79, s[0:1]
	v_add_f64 v[78:79], v[78:79], v[80:81]
	v_mov_b32_e32 v80, s2
	s_add_i32 s2, s2, 1
	s_cmp_lg_u32 s22, s2
	v_cmp_lt_f64_e32 vcc, v[76:77], v[78:79]
	v_cndmask_b32_e32 v59, v59, v73, vcc
	v_cndmask_b32_e32 v58, v58, v72, vcc
	;; [unrolled: 1-line block ×5, first 2 shown]
	s_cbranch_scc1 .LBB26_127
.LBB26_128:
	s_waitcnt lgkmcnt(0)
	v_cmp_eq_f64_e32 vcc, 0, v[58:59]
	v_cmp_eq_f64_e64 s[0:1], 0, v[60:61]
	s_and_b64 s[0:1], vcc, s[0:1]
	s_and_saveexec_b64 s[2:3], s[0:1]
	s_xor_b64 s[0:1], exec, s[2:3]
; %bb.129:
	v_cmp_ne_u32_e32 vcc, 0, v71
	v_cndmask_b32_e32 v71, 7, v71, vcc
; %bb.130:
	s_andn2_saveexec_b64 s[0:1], s[0:1]
	s_cbranch_execz .LBB26_136
; %bb.131:
	v_cmp_ngt_f64_e64 s[2:3], |v[58:59]|, |v[60:61]|
	s_and_saveexec_b64 s[4:5], s[2:3]
	s_xor_b64 s[2:3], exec, s[4:5]
	s_cbranch_execz .LBB26_133
; %bb.132:
	v_div_scale_f64 v[72:73], s[4:5], v[60:61], v[60:61], v[58:59]
	v_rcp_f64_e32 v[74:75], v[72:73]
	v_fma_f64 v[76:77], -v[72:73], v[74:75], 1.0
	v_fma_f64 v[74:75], v[74:75], v[76:77], v[74:75]
	v_div_scale_f64 v[76:77], vcc, v[58:59], v[60:61], v[58:59]
	v_fma_f64 v[78:79], -v[72:73], v[74:75], 1.0
	v_fma_f64 v[74:75], v[74:75], v[78:79], v[74:75]
	v_mul_f64 v[78:79], v[76:77], v[74:75]
	v_fma_f64 v[72:73], -v[72:73], v[78:79], v[76:77]
	v_div_fmas_f64 v[72:73], v[72:73], v[74:75], v[78:79]
	v_div_fixup_f64 v[72:73], v[72:73], v[60:61], v[58:59]
	v_fma_f64 v[58:59], v[58:59], v[72:73], v[60:61]
	v_div_scale_f64 v[60:61], s[4:5], v[58:59], v[58:59], 1.0
	v_div_scale_f64 v[78:79], vcc, 1.0, v[58:59], 1.0
	v_rcp_f64_e32 v[74:75], v[60:61]
	v_fma_f64 v[76:77], -v[60:61], v[74:75], 1.0
	v_fma_f64 v[74:75], v[74:75], v[76:77], v[74:75]
	v_fma_f64 v[76:77], -v[60:61], v[74:75], 1.0
	v_fma_f64 v[74:75], v[74:75], v[76:77], v[74:75]
	v_mul_f64 v[76:77], v[78:79], v[74:75]
	v_fma_f64 v[60:61], -v[60:61], v[76:77], v[78:79]
	v_div_fmas_f64 v[60:61], v[60:61], v[74:75], v[76:77]
	v_div_fixup_f64 v[60:61], v[60:61], v[58:59], 1.0
	v_mul_f64 v[58:59], v[72:73], v[60:61]
	v_xor_b32_e32 v61, 0x80000000, v61
.LBB26_133:
	s_andn2_saveexec_b64 s[2:3], s[2:3]
	s_cbranch_execz .LBB26_135
; %bb.134:
	v_div_scale_f64 v[72:73], s[4:5], v[58:59], v[58:59], v[60:61]
	v_rcp_f64_e32 v[74:75], v[72:73]
	v_fma_f64 v[76:77], -v[72:73], v[74:75], 1.0
	v_fma_f64 v[74:75], v[74:75], v[76:77], v[74:75]
	v_div_scale_f64 v[76:77], vcc, v[60:61], v[58:59], v[60:61]
	v_fma_f64 v[78:79], -v[72:73], v[74:75], 1.0
	v_fma_f64 v[74:75], v[74:75], v[78:79], v[74:75]
	v_mul_f64 v[78:79], v[76:77], v[74:75]
	v_fma_f64 v[72:73], -v[72:73], v[78:79], v[76:77]
	v_div_fmas_f64 v[72:73], v[72:73], v[74:75], v[78:79]
	v_div_fixup_f64 v[72:73], v[72:73], v[58:59], v[60:61]
	v_fma_f64 v[58:59], v[60:61], v[72:73], v[58:59]
	v_div_scale_f64 v[60:61], s[4:5], v[58:59], v[58:59], 1.0
	v_div_scale_f64 v[78:79], vcc, 1.0, v[58:59], 1.0
	v_rcp_f64_e32 v[74:75], v[60:61]
	v_fma_f64 v[76:77], -v[60:61], v[74:75], 1.0
	v_fma_f64 v[74:75], v[74:75], v[76:77], v[74:75]
	v_fma_f64 v[76:77], -v[60:61], v[74:75], 1.0
	v_fma_f64 v[74:75], v[74:75], v[76:77], v[74:75]
	v_mul_f64 v[76:77], v[78:79], v[74:75]
	v_fma_f64 v[60:61], -v[60:61], v[76:77], v[78:79]
	v_div_fmas_f64 v[60:61], v[60:61], v[74:75], v[76:77]
	v_div_fixup_f64 v[58:59], v[60:61], v[58:59], 1.0
	v_mul_f64 v[60:61], v[72:73], -v[58:59]
.LBB26_135:
	s_or_b64 exec, exec, s[2:3]
.LBB26_136:
	s_or_b64 exec, exec, s[0:1]
	v_cmp_ne_u32_e32 vcc, v68, v66
	s_and_saveexec_b64 s[0:1], vcc
	s_xor_b64 s[0:1], exec, s[0:1]
	s_cbranch_execz .LBB26_142
; %bb.137:
	v_cmp_eq_u32_e32 vcc, 6, v68
	s_and_saveexec_b64 s[2:3], vcc
	s_cbranch_execz .LBB26_141
; %bb.138:
	v_cmp_ne_u32_e32 vcc, 6, v66
	s_xor_b64 s[4:5], s[18:19], -1
	s_and_b64 s[24:25], s[4:5], vcc
	s_and_saveexec_b64 s[4:5], s[24:25]
	s_cbranch_execz .LBB26_140
; %bb.139:
	v_ashrrev_i32_e32 v67, 31, v66
	v_lshlrev_b64 v[67:68], 2, v[66:67]
	v_add_co_u32_e32 v67, vcc, v64, v67
	v_addc_co_u32_e32 v68, vcc, v65, v68, vcc
	global_load_dword v0, v[67:68], off
	global_load_dword v72, v[64:65], off offset:24
	s_waitcnt vmcnt(1)
	global_store_dword v[64:65], v0, off offset:24
	s_waitcnt vmcnt(1)
	global_store_dword v[67:68], v72, off
.LBB26_140:
	s_or_b64 exec, exec, s[4:5]
	v_mov_b32_e32 v68, v66
	v_mov_b32_e32 v0, v66
.LBB26_141:
	s_or_b64 exec, exec, s[2:3]
.LBB26_142:
	s_andn2_saveexec_b64 s[0:1], s[0:1]
	s_cbranch_execz .LBB26_144
; %bb.143:
	v_mov_b32_e32 v68, 6
	ds_write2_b64 v1, v[22:23], v[24:25] offset0:14 offset1:15
	ds_write2_b64 v1, v[18:19], v[20:21] offset0:16 offset1:17
	ds_write2_b64 v1, v[14:15], v[16:17] offset0:18 offset1:19
	ds_write2_b64 v1, v[10:11], v[12:13] offset0:20 offset1:21
	ds_write2_b64 v1, v[6:7], v[8:9] offset0:22 offset1:23
	ds_write2_b64 v1, v[2:3], v[4:5] offset0:24 offset1:25
	ds_write2_b64 v1, v[54:55], v[56:57] offset0:26 offset1:27
.LBB26_144:
	s_or_b64 exec, exec, s[0:1]
	v_cmp_lt_i32_e32 vcc, 6, v68
	s_waitcnt vmcnt(0) lgkmcnt(0)
	s_barrier
	s_and_saveexec_b64 s[0:1], vcc
	s_cbranch_execz .LBB26_146
; %bb.145:
	v_mul_f64 v[66:67], v[58:59], v[28:29]
	v_mul_f64 v[28:29], v[60:61], v[28:29]
	ds_read2_b64 v[72:75], v1 offset0:14 offset1:15
	ds_read2_b64 v[76:79], v1 offset0:16 offset1:17
	;; [unrolled: 1-line block ×7, first 2 shown]
	v_fma_f64 v[60:61], v[60:61], v[26:27], v[66:67]
	v_fma_f64 v[26:27], v[58:59], v[26:27], -v[28:29]
	s_waitcnt lgkmcnt(6)
	v_mul_f64 v[28:29], v[74:75], v[60:61]
	v_mul_f64 v[58:59], v[72:73], v[60:61]
	s_waitcnt lgkmcnt(5)
	v_mul_f64 v[66:67], v[78:79], v[60:61]
	v_mul_f64 v[100:101], v[76:77], v[60:61]
	;; [unrolled: 3-line block ×4, first 2 shown]
	v_fma_f64 v[28:29], v[72:73], v[26:27], -v[28:29]
	v_fma_f64 v[58:59], v[74:75], v[26:27], v[58:59]
	v_fma_f64 v[66:67], v[76:77], v[26:27], -v[66:67]
	v_fma_f64 v[72:73], v[78:79], v[26:27], v[100:101]
	v_fma_f64 v[74:75], v[80:81], v[26:27], -v[102:103]
	v_fma_f64 v[76:77], v[82:83], v[26:27], v[104:105]
	s_waitcnt lgkmcnt(2)
	v_mul_f64 v[78:79], v[90:91], v[60:61]
	v_mul_f64 v[80:81], v[88:89], v[60:61]
	v_add_f64 v[22:23], v[22:23], -v[28:29]
	v_add_f64 v[24:25], v[24:25], -v[58:59]
	;; [unrolled: 1-line block ×4, first 2 shown]
	s_waitcnt lgkmcnt(1)
	v_mul_f64 v[28:29], v[94:95], v[60:61]
	v_mul_f64 v[58:59], v[92:93], v[60:61]
	s_waitcnt lgkmcnt(0)
	v_mul_f64 v[66:67], v[98:99], v[60:61]
	v_mul_f64 v[72:73], v[96:97], v[60:61]
	v_add_f64 v[14:15], v[14:15], -v[74:75]
	v_add_f64 v[16:17], v[16:17], -v[76:77]
	v_fma_f64 v[74:75], v[84:85], v[26:27], -v[106:107]
	v_fma_f64 v[76:77], v[86:87], v[26:27], v[108:109]
	v_fma_f64 v[78:79], v[88:89], v[26:27], -v[78:79]
	v_fma_f64 v[80:81], v[90:91], v[26:27], v[80:81]
	v_fma_f64 v[28:29], v[92:93], v[26:27], -v[28:29]
	v_fma_f64 v[58:59], v[94:95], v[26:27], v[58:59]
	v_fma_f64 v[66:67], v[96:97], v[26:27], -v[66:67]
	v_fma_f64 v[72:73], v[98:99], v[26:27], v[72:73]
	v_add_f64 v[10:11], v[10:11], -v[74:75]
	v_add_f64 v[12:13], v[12:13], -v[76:77]
	;; [unrolled: 1-line block ×8, first 2 shown]
	v_mov_b32_e32 v28, v60
	v_mov_b32_e32 v29, v61
.LBB26_146:
	s_or_b64 exec, exec, s[0:1]
	v_lshl_add_u32 v58, v68, 4, v1
	s_barrier
	ds_write2_b64 v58, v[22:23], v[24:25] offset1:1
	s_waitcnt lgkmcnt(0)
	s_barrier
	ds_read2_b64 v[58:61], v1 offset0:14 offset1:15
	s_cmp_lt_i32 s22, 9
	v_mov_b32_e32 v66, 7
	s_cbranch_scc1 .LBB26_149
; %bb.147:
	v_add_u32_e32 v67, 0x80, v1
	s_mov_b32 s2, 8
	v_mov_b32_e32 v66, 7
.LBB26_148:                             ; =>This Inner Loop Header: Depth=1
	s_waitcnt lgkmcnt(0)
	v_cmp_gt_f64_e32 vcc, 0, v[60:61]
	v_cmp_gt_f64_e64 s[0:1], 0, v[58:59]
	ds_read2_b64 v[72:75], v67 offset1:1
	v_xor_b32_e32 v77, 0x80000000, v59
	v_xor_b32_e32 v79, 0x80000000, v61
	v_mov_b32_e32 v76, v58
	v_mov_b32_e32 v78, v60
	s_waitcnt lgkmcnt(0)
	v_xor_b32_e32 v81, 0x80000000, v75
	v_cndmask_b32_e32 v79, v61, v79, vcc
	v_cndmask_b32_e64 v77, v59, v77, s[0:1]
	v_cmp_gt_f64_e32 vcc, 0, v[74:75]
	v_cmp_gt_f64_e64 s[0:1], 0, v[72:73]
	v_add_f64 v[76:77], v[76:77], v[78:79]
	v_xor_b32_e32 v79, 0x80000000, v73
	v_mov_b32_e32 v78, v72
	v_mov_b32_e32 v80, v74
	v_add_u32_e32 v67, 16, v67
	v_cndmask_b32_e32 v81, v75, v81, vcc
	v_cndmask_b32_e64 v79, v73, v79, s[0:1]
	v_add_f64 v[78:79], v[78:79], v[80:81]
	v_mov_b32_e32 v80, s2
	s_add_i32 s2, s2, 1
	s_cmp_lg_u32 s22, s2
	v_cmp_lt_f64_e32 vcc, v[76:77], v[78:79]
	v_cndmask_b32_e32 v59, v59, v73, vcc
	v_cndmask_b32_e32 v58, v58, v72, vcc
	;; [unrolled: 1-line block ×5, first 2 shown]
	s_cbranch_scc1 .LBB26_148
.LBB26_149:
	s_waitcnt lgkmcnt(0)
	v_cmp_eq_f64_e32 vcc, 0, v[58:59]
	v_cmp_eq_f64_e64 s[0:1], 0, v[60:61]
	s_and_b64 s[0:1], vcc, s[0:1]
	s_and_saveexec_b64 s[2:3], s[0:1]
	s_xor_b64 s[0:1], exec, s[2:3]
; %bb.150:
	v_cmp_ne_u32_e32 vcc, 0, v71
	v_cndmask_b32_e32 v71, 8, v71, vcc
; %bb.151:
	s_andn2_saveexec_b64 s[0:1], s[0:1]
	s_cbranch_execz .LBB26_157
; %bb.152:
	v_cmp_ngt_f64_e64 s[2:3], |v[58:59]|, |v[60:61]|
	s_and_saveexec_b64 s[4:5], s[2:3]
	s_xor_b64 s[2:3], exec, s[4:5]
	s_cbranch_execz .LBB26_154
; %bb.153:
	v_div_scale_f64 v[72:73], s[4:5], v[60:61], v[60:61], v[58:59]
	v_rcp_f64_e32 v[74:75], v[72:73]
	v_fma_f64 v[76:77], -v[72:73], v[74:75], 1.0
	v_fma_f64 v[74:75], v[74:75], v[76:77], v[74:75]
	v_div_scale_f64 v[76:77], vcc, v[58:59], v[60:61], v[58:59]
	v_fma_f64 v[78:79], -v[72:73], v[74:75], 1.0
	v_fma_f64 v[74:75], v[74:75], v[78:79], v[74:75]
	v_mul_f64 v[78:79], v[76:77], v[74:75]
	v_fma_f64 v[72:73], -v[72:73], v[78:79], v[76:77]
	v_div_fmas_f64 v[72:73], v[72:73], v[74:75], v[78:79]
	v_div_fixup_f64 v[72:73], v[72:73], v[60:61], v[58:59]
	v_fma_f64 v[58:59], v[58:59], v[72:73], v[60:61]
	v_div_scale_f64 v[60:61], s[4:5], v[58:59], v[58:59], 1.0
	v_div_scale_f64 v[78:79], vcc, 1.0, v[58:59], 1.0
	v_rcp_f64_e32 v[74:75], v[60:61]
	v_fma_f64 v[76:77], -v[60:61], v[74:75], 1.0
	v_fma_f64 v[74:75], v[74:75], v[76:77], v[74:75]
	v_fma_f64 v[76:77], -v[60:61], v[74:75], 1.0
	v_fma_f64 v[74:75], v[74:75], v[76:77], v[74:75]
	v_mul_f64 v[76:77], v[78:79], v[74:75]
	v_fma_f64 v[60:61], -v[60:61], v[76:77], v[78:79]
	v_div_fmas_f64 v[60:61], v[60:61], v[74:75], v[76:77]
	v_div_fixup_f64 v[60:61], v[60:61], v[58:59], 1.0
	v_mul_f64 v[58:59], v[72:73], v[60:61]
	v_xor_b32_e32 v61, 0x80000000, v61
.LBB26_154:
	s_andn2_saveexec_b64 s[2:3], s[2:3]
	s_cbranch_execz .LBB26_156
; %bb.155:
	v_div_scale_f64 v[72:73], s[4:5], v[58:59], v[58:59], v[60:61]
	v_rcp_f64_e32 v[74:75], v[72:73]
	v_fma_f64 v[76:77], -v[72:73], v[74:75], 1.0
	v_fma_f64 v[74:75], v[74:75], v[76:77], v[74:75]
	v_div_scale_f64 v[76:77], vcc, v[60:61], v[58:59], v[60:61]
	v_fma_f64 v[78:79], -v[72:73], v[74:75], 1.0
	v_fma_f64 v[74:75], v[74:75], v[78:79], v[74:75]
	v_mul_f64 v[78:79], v[76:77], v[74:75]
	v_fma_f64 v[72:73], -v[72:73], v[78:79], v[76:77]
	v_div_fmas_f64 v[72:73], v[72:73], v[74:75], v[78:79]
	v_div_fixup_f64 v[72:73], v[72:73], v[58:59], v[60:61]
	v_fma_f64 v[58:59], v[60:61], v[72:73], v[58:59]
	v_div_scale_f64 v[60:61], s[4:5], v[58:59], v[58:59], 1.0
	v_div_scale_f64 v[78:79], vcc, 1.0, v[58:59], 1.0
	v_rcp_f64_e32 v[74:75], v[60:61]
	v_fma_f64 v[76:77], -v[60:61], v[74:75], 1.0
	v_fma_f64 v[74:75], v[74:75], v[76:77], v[74:75]
	v_fma_f64 v[76:77], -v[60:61], v[74:75], 1.0
	v_fma_f64 v[74:75], v[74:75], v[76:77], v[74:75]
	v_mul_f64 v[76:77], v[78:79], v[74:75]
	v_fma_f64 v[60:61], -v[60:61], v[76:77], v[78:79]
	v_div_fmas_f64 v[60:61], v[60:61], v[74:75], v[76:77]
	v_div_fixup_f64 v[58:59], v[60:61], v[58:59], 1.0
	v_mul_f64 v[60:61], v[72:73], -v[58:59]
.LBB26_156:
	s_or_b64 exec, exec, s[2:3]
.LBB26_157:
	s_or_b64 exec, exec, s[0:1]
	v_cmp_ne_u32_e32 vcc, v68, v66
	s_and_saveexec_b64 s[0:1], vcc
	s_xor_b64 s[0:1], exec, s[0:1]
	s_cbranch_execz .LBB26_163
; %bb.158:
	v_cmp_eq_u32_e32 vcc, 7, v68
	s_and_saveexec_b64 s[2:3], vcc
	s_cbranch_execz .LBB26_162
; %bb.159:
	v_cmp_ne_u32_e32 vcc, 7, v66
	s_xor_b64 s[4:5], s[18:19], -1
	s_and_b64 s[24:25], s[4:5], vcc
	s_and_saveexec_b64 s[4:5], s[24:25]
	s_cbranch_execz .LBB26_161
; %bb.160:
	v_ashrrev_i32_e32 v67, 31, v66
	v_lshlrev_b64 v[67:68], 2, v[66:67]
	v_add_co_u32_e32 v67, vcc, v64, v67
	v_addc_co_u32_e32 v68, vcc, v65, v68, vcc
	global_load_dword v0, v[67:68], off
	global_load_dword v72, v[64:65], off offset:28
	s_waitcnt vmcnt(1)
	global_store_dword v[64:65], v0, off offset:28
	s_waitcnt vmcnt(1)
	global_store_dword v[67:68], v72, off
.LBB26_161:
	s_or_b64 exec, exec, s[4:5]
	v_mov_b32_e32 v68, v66
	v_mov_b32_e32 v0, v66
.LBB26_162:
	s_or_b64 exec, exec, s[2:3]
.LBB26_163:
	s_andn2_saveexec_b64 s[0:1], s[0:1]
	s_cbranch_execz .LBB26_165
; %bb.164:
	v_mov_b32_e32 v68, 7
	ds_write2_b64 v1, v[18:19], v[20:21] offset0:16 offset1:17
	ds_write2_b64 v1, v[14:15], v[16:17] offset0:18 offset1:19
	ds_write2_b64 v1, v[10:11], v[12:13] offset0:20 offset1:21
	ds_write2_b64 v1, v[6:7], v[8:9] offset0:22 offset1:23
	ds_write2_b64 v1, v[2:3], v[4:5] offset0:24 offset1:25
	ds_write2_b64 v1, v[54:55], v[56:57] offset0:26 offset1:27
.LBB26_165:
	s_or_b64 exec, exec, s[0:1]
	v_cmp_lt_i32_e32 vcc, 7, v68
	s_waitcnt vmcnt(0) lgkmcnt(0)
	s_barrier
	s_and_saveexec_b64 s[0:1], vcc
	s_cbranch_execz .LBB26_167
; %bb.166:
	v_mul_f64 v[66:67], v[58:59], v[24:25]
	v_mul_f64 v[24:25], v[60:61], v[24:25]
	ds_read2_b64 v[72:75], v1 offset0:16 offset1:17
	ds_read2_b64 v[76:79], v1 offset0:18 offset1:19
	;; [unrolled: 1-line block ×6, first 2 shown]
	v_fma_f64 v[60:61], v[60:61], v[22:23], v[66:67]
	v_fma_f64 v[22:23], v[58:59], v[22:23], -v[24:25]
	s_waitcnt lgkmcnt(5)
	v_mul_f64 v[24:25], v[74:75], v[60:61]
	v_mul_f64 v[58:59], v[72:73], v[60:61]
	s_waitcnt lgkmcnt(4)
	v_mul_f64 v[66:67], v[78:79], v[60:61]
	v_mul_f64 v[96:97], v[76:77], v[60:61]
	;; [unrolled: 3-line block ×5, first 2 shown]
	s_waitcnt lgkmcnt(0)
	v_mul_f64 v[110:111], v[94:95], v[60:61]
	v_fma_f64 v[24:25], v[72:73], v[22:23], -v[24:25]
	v_fma_f64 v[58:59], v[74:75], v[22:23], v[58:59]
	v_fma_f64 v[66:67], v[76:77], v[22:23], -v[66:67]
	v_fma_f64 v[72:73], v[78:79], v[22:23], v[96:97]
	v_mul_f64 v[74:75], v[92:93], v[60:61]
	v_fma_f64 v[76:77], v[80:81], v[22:23], -v[98:99]
	v_fma_f64 v[78:79], v[82:83], v[22:23], v[100:101]
	v_fma_f64 v[80:81], v[84:85], v[22:23], -v[102:103]
	v_add_f64 v[18:19], v[18:19], -v[24:25]
	v_add_f64 v[20:21], v[20:21], -v[58:59]
	;; [unrolled: 1-line block ×4, first 2 shown]
	v_fma_f64 v[24:25], v[86:87], v[22:23], v[104:105]
	v_fma_f64 v[58:59], v[88:89], v[22:23], -v[106:107]
	v_fma_f64 v[66:67], v[90:91], v[22:23], v[108:109]
	v_fma_f64 v[72:73], v[92:93], v[22:23], -v[110:111]
	v_fma_f64 v[74:75], v[94:95], v[22:23], v[74:75]
	v_add_f64 v[10:11], v[10:11], -v[76:77]
	v_add_f64 v[12:13], v[12:13], -v[78:79]
	;; [unrolled: 1-line block ×8, first 2 shown]
	v_mov_b32_e32 v24, v60
	v_mov_b32_e32 v25, v61
.LBB26_167:
	s_or_b64 exec, exec, s[0:1]
	v_lshl_add_u32 v58, v68, 4, v1
	s_barrier
	ds_write2_b64 v58, v[18:19], v[20:21] offset1:1
	s_waitcnt lgkmcnt(0)
	s_barrier
	ds_read2_b64 v[58:61], v1 offset0:16 offset1:17
	s_cmp_lt_i32 s22, 10
	v_mov_b32_e32 v66, 8
	s_cbranch_scc1 .LBB26_170
; %bb.168:
	v_add_u32_e32 v67, 0x90, v1
	s_mov_b32 s2, 9
	v_mov_b32_e32 v66, 8
.LBB26_169:                             ; =>This Inner Loop Header: Depth=1
	s_waitcnt lgkmcnt(0)
	v_cmp_gt_f64_e32 vcc, 0, v[60:61]
	v_cmp_gt_f64_e64 s[0:1], 0, v[58:59]
	ds_read2_b64 v[72:75], v67 offset1:1
	v_xor_b32_e32 v77, 0x80000000, v59
	v_xor_b32_e32 v79, 0x80000000, v61
	v_mov_b32_e32 v76, v58
	v_mov_b32_e32 v78, v60
	s_waitcnt lgkmcnt(0)
	v_xor_b32_e32 v81, 0x80000000, v75
	v_cndmask_b32_e32 v79, v61, v79, vcc
	v_cndmask_b32_e64 v77, v59, v77, s[0:1]
	v_cmp_gt_f64_e32 vcc, 0, v[74:75]
	v_cmp_gt_f64_e64 s[0:1], 0, v[72:73]
	v_add_f64 v[76:77], v[76:77], v[78:79]
	v_xor_b32_e32 v79, 0x80000000, v73
	v_mov_b32_e32 v78, v72
	v_mov_b32_e32 v80, v74
	v_add_u32_e32 v67, 16, v67
	v_cndmask_b32_e32 v81, v75, v81, vcc
	v_cndmask_b32_e64 v79, v73, v79, s[0:1]
	v_add_f64 v[78:79], v[78:79], v[80:81]
	v_mov_b32_e32 v80, s2
	s_add_i32 s2, s2, 1
	s_cmp_lg_u32 s22, s2
	v_cmp_lt_f64_e32 vcc, v[76:77], v[78:79]
	v_cndmask_b32_e32 v59, v59, v73, vcc
	v_cndmask_b32_e32 v58, v58, v72, vcc
	;; [unrolled: 1-line block ×5, first 2 shown]
	s_cbranch_scc1 .LBB26_169
.LBB26_170:
	s_waitcnt lgkmcnt(0)
	v_cmp_eq_f64_e32 vcc, 0, v[58:59]
	v_cmp_eq_f64_e64 s[0:1], 0, v[60:61]
	s_and_b64 s[0:1], vcc, s[0:1]
	s_and_saveexec_b64 s[2:3], s[0:1]
	s_xor_b64 s[0:1], exec, s[2:3]
; %bb.171:
	v_cmp_ne_u32_e32 vcc, 0, v71
	v_cndmask_b32_e32 v71, 9, v71, vcc
; %bb.172:
	s_andn2_saveexec_b64 s[0:1], s[0:1]
	s_cbranch_execz .LBB26_178
; %bb.173:
	v_cmp_ngt_f64_e64 s[2:3], |v[58:59]|, |v[60:61]|
	s_and_saveexec_b64 s[4:5], s[2:3]
	s_xor_b64 s[2:3], exec, s[4:5]
	s_cbranch_execz .LBB26_175
; %bb.174:
	v_div_scale_f64 v[72:73], s[4:5], v[60:61], v[60:61], v[58:59]
	v_rcp_f64_e32 v[74:75], v[72:73]
	v_fma_f64 v[76:77], -v[72:73], v[74:75], 1.0
	v_fma_f64 v[74:75], v[74:75], v[76:77], v[74:75]
	v_div_scale_f64 v[76:77], vcc, v[58:59], v[60:61], v[58:59]
	v_fma_f64 v[78:79], -v[72:73], v[74:75], 1.0
	v_fma_f64 v[74:75], v[74:75], v[78:79], v[74:75]
	v_mul_f64 v[78:79], v[76:77], v[74:75]
	v_fma_f64 v[72:73], -v[72:73], v[78:79], v[76:77]
	v_div_fmas_f64 v[72:73], v[72:73], v[74:75], v[78:79]
	v_div_fixup_f64 v[72:73], v[72:73], v[60:61], v[58:59]
	v_fma_f64 v[58:59], v[58:59], v[72:73], v[60:61]
	v_div_scale_f64 v[60:61], s[4:5], v[58:59], v[58:59], 1.0
	v_div_scale_f64 v[78:79], vcc, 1.0, v[58:59], 1.0
	v_rcp_f64_e32 v[74:75], v[60:61]
	v_fma_f64 v[76:77], -v[60:61], v[74:75], 1.0
	v_fma_f64 v[74:75], v[74:75], v[76:77], v[74:75]
	v_fma_f64 v[76:77], -v[60:61], v[74:75], 1.0
	v_fma_f64 v[74:75], v[74:75], v[76:77], v[74:75]
	v_mul_f64 v[76:77], v[78:79], v[74:75]
	v_fma_f64 v[60:61], -v[60:61], v[76:77], v[78:79]
	v_div_fmas_f64 v[60:61], v[60:61], v[74:75], v[76:77]
	v_div_fixup_f64 v[60:61], v[60:61], v[58:59], 1.0
	v_mul_f64 v[58:59], v[72:73], v[60:61]
	v_xor_b32_e32 v61, 0x80000000, v61
.LBB26_175:
	s_andn2_saveexec_b64 s[2:3], s[2:3]
	s_cbranch_execz .LBB26_177
; %bb.176:
	v_div_scale_f64 v[72:73], s[4:5], v[58:59], v[58:59], v[60:61]
	v_rcp_f64_e32 v[74:75], v[72:73]
	v_fma_f64 v[76:77], -v[72:73], v[74:75], 1.0
	v_fma_f64 v[74:75], v[74:75], v[76:77], v[74:75]
	v_div_scale_f64 v[76:77], vcc, v[60:61], v[58:59], v[60:61]
	v_fma_f64 v[78:79], -v[72:73], v[74:75], 1.0
	v_fma_f64 v[74:75], v[74:75], v[78:79], v[74:75]
	v_mul_f64 v[78:79], v[76:77], v[74:75]
	v_fma_f64 v[72:73], -v[72:73], v[78:79], v[76:77]
	v_div_fmas_f64 v[72:73], v[72:73], v[74:75], v[78:79]
	v_div_fixup_f64 v[72:73], v[72:73], v[58:59], v[60:61]
	v_fma_f64 v[58:59], v[60:61], v[72:73], v[58:59]
	v_div_scale_f64 v[60:61], s[4:5], v[58:59], v[58:59], 1.0
	v_div_scale_f64 v[78:79], vcc, 1.0, v[58:59], 1.0
	v_rcp_f64_e32 v[74:75], v[60:61]
	v_fma_f64 v[76:77], -v[60:61], v[74:75], 1.0
	v_fma_f64 v[74:75], v[74:75], v[76:77], v[74:75]
	v_fma_f64 v[76:77], -v[60:61], v[74:75], 1.0
	v_fma_f64 v[74:75], v[74:75], v[76:77], v[74:75]
	v_mul_f64 v[76:77], v[78:79], v[74:75]
	v_fma_f64 v[60:61], -v[60:61], v[76:77], v[78:79]
	v_div_fmas_f64 v[60:61], v[60:61], v[74:75], v[76:77]
	v_div_fixup_f64 v[58:59], v[60:61], v[58:59], 1.0
	v_mul_f64 v[60:61], v[72:73], -v[58:59]
.LBB26_177:
	s_or_b64 exec, exec, s[2:3]
.LBB26_178:
	s_or_b64 exec, exec, s[0:1]
	v_cmp_ne_u32_e32 vcc, v68, v66
	s_and_saveexec_b64 s[0:1], vcc
	s_xor_b64 s[0:1], exec, s[0:1]
	s_cbranch_execz .LBB26_184
; %bb.179:
	v_cmp_eq_u32_e32 vcc, 8, v68
	s_and_saveexec_b64 s[2:3], vcc
	s_cbranch_execz .LBB26_183
; %bb.180:
	v_cmp_ne_u32_e32 vcc, 8, v66
	s_xor_b64 s[4:5], s[18:19], -1
	s_and_b64 s[24:25], s[4:5], vcc
	s_and_saveexec_b64 s[4:5], s[24:25]
	s_cbranch_execz .LBB26_182
; %bb.181:
	v_ashrrev_i32_e32 v67, 31, v66
	v_lshlrev_b64 v[67:68], 2, v[66:67]
	v_add_co_u32_e32 v67, vcc, v64, v67
	v_addc_co_u32_e32 v68, vcc, v65, v68, vcc
	global_load_dword v0, v[67:68], off
	global_load_dword v72, v[64:65], off offset:32
	s_waitcnt vmcnt(1)
	global_store_dword v[64:65], v0, off offset:32
	s_waitcnt vmcnt(1)
	global_store_dword v[67:68], v72, off
.LBB26_182:
	s_or_b64 exec, exec, s[4:5]
	v_mov_b32_e32 v68, v66
	v_mov_b32_e32 v0, v66
.LBB26_183:
	s_or_b64 exec, exec, s[2:3]
.LBB26_184:
	s_andn2_saveexec_b64 s[0:1], s[0:1]
	s_cbranch_execz .LBB26_186
; %bb.185:
	v_mov_b32_e32 v68, 8
	ds_write2_b64 v1, v[14:15], v[16:17] offset0:18 offset1:19
	ds_write2_b64 v1, v[10:11], v[12:13] offset0:20 offset1:21
	;; [unrolled: 1-line block ×5, first 2 shown]
.LBB26_186:
	s_or_b64 exec, exec, s[0:1]
	v_cmp_lt_i32_e32 vcc, 8, v68
	s_waitcnt vmcnt(0) lgkmcnt(0)
	s_barrier
	s_and_saveexec_b64 s[0:1], vcc
	s_cbranch_execz .LBB26_188
; %bb.187:
	v_mul_f64 v[66:67], v[58:59], v[20:21]
	v_mul_f64 v[20:21], v[60:61], v[20:21]
	ds_read2_b64 v[72:75], v1 offset0:18 offset1:19
	ds_read2_b64 v[76:79], v1 offset0:20 offset1:21
	;; [unrolled: 1-line block ×5, first 2 shown]
	v_fma_f64 v[60:61], v[60:61], v[18:19], v[66:67]
	v_fma_f64 v[18:19], v[58:59], v[18:19], -v[20:21]
	s_waitcnt lgkmcnt(4)
	v_mul_f64 v[20:21], v[74:75], v[60:61]
	v_mul_f64 v[58:59], v[72:73], v[60:61]
	s_waitcnt lgkmcnt(3)
	v_mul_f64 v[66:67], v[78:79], v[60:61]
	v_mul_f64 v[92:93], v[76:77], v[60:61]
	;; [unrolled: 3-line block ×5, first 2 shown]
	v_fma_f64 v[20:21], v[72:73], v[18:19], -v[20:21]
	v_fma_f64 v[58:59], v[74:75], v[18:19], v[58:59]
	v_fma_f64 v[66:67], v[76:77], v[18:19], -v[66:67]
	v_fma_f64 v[72:73], v[78:79], v[18:19], v[92:93]
	;; [unrolled: 2-line block ×5, first 2 shown]
	v_add_f64 v[14:15], v[14:15], -v[20:21]
	v_add_f64 v[16:17], v[16:17], -v[58:59]
	;; [unrolled: 1-line block ×10, first 2 shown]
	v_mov_b32_e32 v20, v60
	v_mov_b32_e32 v21, v61
.LBB26_188:
	s_or_b64 exec, exec, s[0:1]
	v_lshl_add_u32 v58, v68, 4, v1
	s_barrier
	ds_write2_b64 v58, v[14:15], v[16:17] offset1:1
	s_waitcnt lgkmcnt(0)
	s_barrier
	ds_read2_b64 v[58:61], v1 offset0:18 offset1:19
	s_cmp_lt_i32 s22, 11
	v_mov_b32_e32 v66, 9
	s_cbranch_scc1 .LBB26_191
; %bb.189:
	v_add_u32_e32 v67, 0xa0, v1
	s_mov_b32 s2, 10
	v_mov_b32_e32 v66, 9
.LBB26_190:                             ; =>This Inner Loop Header: Depth=1
	s_waitcnt lgkmcnt(0)
	v_cmp_gt_f64_e32 vcc, 0, v[60:61]
	v_cmp_gt_f64_e64 s[0:1], 0, v[58:59]
	ds_read2_b64 v[72:75], v67 offset1:1
	v_xor_b32_e32 v77, 0x80000000, v59
	v_xor_b32_e32 v79, 0x80000000, v61
	v_mov_b32_e32 v76, v58
	v_mov_b32_e32 v78, v60
	s_waitcnt lgkmcnt(0)
	v_xor_b32_e32 v81, 0x80000000, v75
	v_cndmask_b32_e32 v79, v61, v79, vcc
	v_cndmask_b32_e64 v77, v59, v77, s[0:1]
	v_cmp_gt_f64_e32 vcc, 0, v[74:75]
	v_cmp_gt_f64_e64 s[0:1], 0, v[72:73]
	v_add_f64 v[76:77], v[76:77], v[78:79]
	v_xor_b32_e32 v79, 0x80000000, v73
	v_mov_b32_e32 v78, v72
	v_mov_b32_e32 v80, v74
	v_add_u32_e32 v67, 16, v67
	v_cndmask_b32_e32 v81, v75, v81, vcc
	v_cndmask_b32_e64 v79, v73, v79, s[0:1]
	v_add_f64 v[78:79], v[78:79], v[80:81]
	v_mov_b32_e32 v80, s2
	s_add_i32 s2, s2, 1
	s_cmp_lg_u32 s22, s2
	v_cmp_lt_f64_e32 vcc, v[76:77], v[78:79]
	v_cndmask_b32_e32 v59, v59, v73, vcc
	v_cndmask_b32_e32 v58, v58, v72, vcc
	;; [unrolled: 1-line block ×5, first 2 shown]
	s_cbranch_scc1 .LBB26_190
.LBB26_191:
	s_waitcnt lgkmcnt(0)
	v_cmp_eq_f64_e32 vcc, 0, v[58:59]
	v_cmp_eq_f64_e64 s[0:1], 0, v[60:61]
	s_and_b64 s[0:1], vcc, s[0:1]
	s_and_saveexec_b64 s[2:3], s[0:1]
	s_xor_b64 s[0:1], exec, s[2:3]
; %bb.192:
	v_cmp_ne_u32_e32 vcc, 0, v71
	v_cndmask_b32_e32 v71, 10, v71, vcc
; %bb.193:
	s_andn2_saveexec_b64 s[0:1], s[0:1]
	s_cbranch_execz .LBB26_199
; %bb.194:
	v_cmp_ngt_f64_e64 s[2:3], |v[58:59]|, |v[60:61]|
	s_and_saveexec_b64 s[4:5], s[2:3]
	s_xor_b64 s[2:3], exec, s[4:5]
	s_cbranch_execz .LBB26_196
; %bb.195:
	v_div_scale_f64 v[72:73], s[4:5], v[60:61], v[60:61], v[58:59]
	v_rcp_f64_e32 v[74:75], v[72:73]
	v_fma_f64 v[76:77], -v[72:73], v[74:75], 1.0
	v_fma_f64 v[74:75], v[74:75], v[76:77], v[74:75]
	v_div_scale_f64 v[76:77], vcc, v[58:59], v[60:61], v[58:59]
	v_fma_f64 v[78:79], -v[72:73], v[74:75], 1.0
	v_fma_f64 v[74:75], v[74:75], v[78:79], v[74:75]
	v_mul_f64 v[78:79], v[76:77], v[74:75]
	v_fma_f64 v[72:73], -v[72:73], v[78:79], v[76:77]
	v_div_fmas_f64 v[72:73], v[72:73], v[74:75], v[78:79]
	v_div_fixup_f64 v[72:73], v[72:73], v[60:61], v[58:59]
	v_fma_f64 v[58:59], v[58:59], v[72:73], v[60:61]
	v_div_scale_f64 v[60:61], s[4:5], v[58:59], v[58:59], 1.0
	v_div_scale_f64 v[78:79], vcc, 1.0, v[58:59], 1.0
	v_rcp_f64_e32 v[74:75], v[60:61]
	v_fma_f64 v[76:77], -v[60:61], v[74:75], 1.0
	v_fma_f64 v[74:75], v[74:75], v[76:77], v[74:75]
	v_fma_f64 v[76:77], -v[60:61], v[74:75], 1.0
	v_fma_f64 v[74:75], v[74:75], v[76:77], v[74:75]
	v_mul_f64 v[76:77], v[78:79], v[74:75]
	v_fma_f64 v[60:61], -v[60:61], v[76:77], v[78:79]
	v_div_fmas_f64 v[60:61], v[60:61], v[74:75], v[76:77]
	v_div_fixup_f64 v[60:61], v[60:61], v[58:59], 1.0
	v_mul_f64 v[58:59], v[72:73], v[60:61]
	v_xor_b32_e32 v61, 0x80000000, v61
.LBB26_196:
	s_andn2_saveexec_b64 s[2:3], s[2:3]
	s_cbranch_execz .LBB26_198
; %bb.197:
	v_div_scale_f64 v[72:73], s[4:5], v[58:59], v[58:59], v[60:61]
	v_rcp_f64_e32 v[74:75], v[72:73]
	v_fma_f64 v[76:77], -v[72:73], v[74:75], 1.0
	v_fma_f64 v[74:75], v[74:75], v[76:77], v[74:75]
	v_div_scale_f64 v[76:77], vcc, v[60:61], v[58:59], v[60:61]
	v_fma_f64 v[78:79], -v[72:73], v[74:75], 1.0
	v_fma_f64 v[74:75], v[74:75], v[78:79], v[74:75]
	v_mul_f64 v[78:79], v[76:77], v[74:75]
	v_fma_f64 v[72:73], -v[72:73], v[78:79], v[76:77]
	v_div_fmas_f64 v[72:73], v[72:73], v[74:75], v[78:79]
	v_div_fixup_f64 v[72:73], v[72:73], v[58:59], v[60:61]
	v_fma_f64 v[58:59], v[60:61], v[72:73], v[58:59]
	v_div_scale_f64 v[60:61], s[4:5], v[58:59], v[58:59], 1.0
	v_div_scale_f64 v[78:79], vcc, 1.0, v[58:59], 1.0
	v_rcp_f64_e32 v[74:75], v[60:61]
	v_fma_f64 v[76:77], -v[60:61], v[74:75], 1.0
	v_fma_f64 v[74:75], v[74:75], v[76:77], v[74:75]
	v_fma_f64 v[76:77], -v[60:61], v[74:75], 1.0
	v_fma_f64 v[74:75], v[74:75], v[76:77], v[74:75]
	v_mul_f64 v[76:77], v[78:79], v[74:75]
	v_fma_f64 v[60:61], -v[60:61], v[76:77], v[78:79]
	v_div_fmas_f64 v[60:61], v[60:61], v[74:75], v[76:77]
	v_div_fixup_f64 v[58:59], v[60:61], v[58:59], 1.0
	v_mul_f64 v[60:61], v[72:73], -v[58:59]
.LBB26_198:
	s_or_b64 exec, exec, s[2:3]
.LBB26_199:
	s_or_b64 exec, exec, s[0:1]
	v_cmp_ne_u32_e32 vcc, v68, v66
	s_and_saveexec_b64 s[0:1], vcc
	s_xor_b64 s[0:1], exec, s[0:1]
	s_cbranch_execz .LBB26_205
; %bb.200:
	v_cmp_eq_u32_e32 vcc, 9, v68
	s_and_saveexec_b64 s[2:3], vcc
	s_cbranch_execz .LBB26_204
; %bb.201:
	v_cmp_ne_u32_e32 vcc, 9, v66
	s_xor_b64 s[4:5], s[18:19], -1
	s_and_b64 s[24:25], s[4:5], vcc
	s_and_saveexec_b64 s[4:5], s[24:25]
	s_cbranch_execz .LBB26_203
; %bb.202:
	v_ashrrev_i32_e32 v67, 31, v66
	v_lshlrev_b64 v[67:68], 2, v[66:67]
	v_add_co_u32_e32 v67, vcc, v64, v67
	v_addc_co_u32_e32 v68, vcc, v65, v68, vcc
	global_load_dword v0, v[67:68], off
	global_load_dword v72, v[64:65], off offset:36
	s_waitcnt vmcnt(1)
	global_store_dword v[64:65], v0, off offset:36
	s_waitcnt vmcnt(1)
	global_store_dword v[67:68], v72, off
.LBB26_203:
	s_or_b64 exec, exec, s[4:5]
	v_mov_b32_e32 v68, v66
	v_mov_b32_e32 v0, v66
.LBB26_204:
	s_or_b64 exec, exec, s[2:3]
.LBB26_205:
	s_andn2_saveexec_b64 s[0:1], s[0:1]
	s_cbranch_execz .LBB26_207
; %bb.206:
	v_mov_b32_e32 v68, 9
	ds_write2_b64 v1, v[10:11], v[12:13] offset0:20 offset1:21
	ds_write2_b64 v1, v[6:7], v[8:9] offset0:22 offset1:23
	ds_write2_b64 v1, v[2:3], v[4:5] offset0:24 offset1:25
	ds_write2_b64 v1, v[54:55], v[56:57] offset0:26 offset1:27
.LBB26_207:
	s_or_b64 exec, exec, s[0:1]
	v_cmp_lt_i32_e32 vcc, 9, v68
	s_waitcnt vmcnt(0) lgkmcnt(0)
	s_barrier
	s_and_saveexec_b64 s[0:1], vcc
	s_cbranch_execz .LBB26_209
; %bb.208:
	v_mul_f64 v[66:67], v[58:59], v[16:17]
	v_mul_f64 v[16:17], v[60:61], v[16:17]
	ds_read2_b64 v[72:75], v1 offset0:20 offset1:21
	ds_read2_b64 v[76:79], v1 offset0:22 offset1:23
	;; [unrolled: 1-line block ×4, first 2 shown]
	v_fma_f64 v[60:61], v[60:61], v[14:15], v[66:67]
	v_fma_f64 v[14:15], v[58:59], v[14:15], -v[16:17]
	s_waitcnt lgkmcnt(3)
	v_mul_f64 v[16:17], v[74:75], v[60:61]
	v_mul_f64 v[58:59], v[72:73], v[60:61]
	s_waitcnt lgkmcnt(2)
	v_mul_f64 v[66:67], v[78:79], v[60:61]
	v_mul_f64 v[88:89], v[76:77], v[60:61]
	;; [unrolled: 3-line block ×4, first 2 shown]
	v_fma_f64 v[16:17], v[72:73], v[14:15], -v[16:17]
	v_fma_f64 v[58:59], v[74:75], v[14:15], v[58:59]
	v_fma_f64 v[66:67], v[76:77], v[14:15], -v[66:67]
	v_fma_f64 v[72:73], v[78:79], v[14:15], v[88:89]
	;; [unrolled: 2-line block ×4, first 2 shown]
	v_add_f64 v[10:11], v[10:11], -v[16:17]
	v_add_f64 v[12:13], v[12:13], -v[58:59]
	;; [unrolled: 1-line block ×8, first 2 shown]
	v_mov_b32_e32 v16, v60
	v_mov_b32_e32 v17, v61
.LBB26_209:
	s_or_b64 exec, exec, s[0:1]
	v_lshl_add_u32 v58, v68, 4, v1
	s_barrier
	ds_write2_b64 v58, v[10:11], v[12:13] offset1:1
	s_waitcnt lgkmcnt(0)
	s_barrier
	ds_read2_b64 v[58:61], v1 offset0:20 offset1:21
	s_cmp_lt_i32 s22, 12
	v_mov_b32_e32 v66, 10
	s_cbranch_scc1 .LBB26_212
; %bb.210:
	v_add_u32_e32 v67, 0xb0, v1
	s_mov_b32 s2, 11
	v_mov_b32_e32 v66, 10
.LBB26_211:                             ; =>This Inner Loop Header: Depth=1
	s_waitcnt lgkmcnt(0)
	v_cmp_gt_f64_e32 vcc, 0, v[60:61]
	v_cmp_gt_f64_e64 s[0:1], 0, v[58:59]
	ds_read2_b64 v[72:75], v67 offset1:1
	v_xor_b32_e32 v77, 0x80000000, v59
	v_xor_b32_e32 v79, 0x80000000, v61
	v_mov_b32_e32 v76, v58
	v_mov_b32_e32 v78, v60
	s_waitcnt lgkmcnt(0)
	v_xor_b32_e32 v81, 0x80000000, v75
	v_cndmask_b32_e32 v79, v61, v79, vcc
	v_cndmask_b32_e64 v77, v59, v77, s[0:1]
	v_cmp_gt_f64_e32 vcc, 0, v[74:75]
	v_cmp_gt_f64_e64 s[0:1], 0, v[72:73]
	v_add_f64 v[76:77], v[76:77], v[78:79]
	v_xor_b32_e32 v79, 0x80000000, v73
	v_mov_b32_e32 v78, v72
	v_mov_b32_e32 v80, v74
	v_add_u32_e32 v67, 16, v67
	v_cndmask_b32_e32 v81, v75, v81, vcc
	v_cndmask_b32_e64 v79, v73, v79, s[0:1]
	v_add_f64 v[78:79], v[78:79], v[80:81]
	v_mov_b32_e32 v80, s2
	s_add_i32 s2, s2, 1
	s_cmp_lg_u32 s22, s2
	v_cmp_lt_f64_e32 vcc, v[76:77], v[78:79]
	v_cndmask_b32_e32 v59, v59, v73, vcc
	v_cndmask_b32_e32 v58, v58, v72, vcc
	;; [unrolled: 1-line block ×5, first 2 shown]
	s_cbranch_scc1 .LBB26_211
.LBB26_212:
	s_waitcnt lgkmcnt(0)
	v_cmp_eq_f64_e32 vcc, 0, v[58:59]
	v_cmp_eq_f64_e64 s[0:1], 0, v[60:61]
	s_and_b64 s[0:1], vcc, s[0:1]
	s_and_saveexec_b64 s[2:3], s[0:1]
	s_xor_b64 s[0:1], exec, s[2:3]
; %bb.213:
	v_cmp_ne_u32_e32 vcc, 0, v71
	v_cndmask_b32_e32 v71, 11, v71, vcc
; %bb.214:
	s_andn2_saveexec_b64 s[0:1], s[0:1]
	s_cbranch_execz .LBB26_220
; %bb.215:
	v_cmp_ngt_f64_e64 s[2:3], |v[58:59]|, |v[60:61]|
	s_and_saveexec_b64 s[4:5], s[2:3]
	s_xor_b64 s[2:3], exec, s[4:5]
	s_cbranch_execz .LBB26_217
; %bb.216:
	v_div_scale_f64 v[72:73], s[4:5], v[60:61], v[60:61], v[58:59]
	v_rcp_f64_e32 v[74:75], v[72:73]
	v_fma_f64 v[76:77], -v[72:73], v[74:75], 1.0
	v_fma_f64 v[74:75], v[74:75], v[76:77], v[74:75]
	v_div_scale_f64 v[76:77], vcc, v[58:59], v[60:61], v[58:59]
	v_fma_f64 v[78:79], -v[72:73], v[74:75], 1.0
	v_fma_f64 v[74:75], v[74:75], v[78:79], v[74:75]
	v_mul_f64 v[78:79], v[76:77], v[74:75]
	v_fma_f64 v[72:73], -v[72:73], v[78:79], v[76:77]
	v_div_fmas_f64 v[72:73], v[72:73], v[74:75], v[78:79]
	v_div_fixup_f64 v[72:73], v[72:73], v[60:61], v[58:59]
	v_fma_f64 v[58:59], v[58:59], v[72:73], v[60:61]
	v_div_scale_f64 v[60:61], s[4:5], v[58:59], v[58:59], 1.0
	v_div_scale_f64 v[78:79], vcc, 1.0, v[58:59], 1.0
	v_rcp_f64_e32 v[74:75], v[60:61]
	v_fma_f64 v[76:77], -v[60:61], v[74:75], 1.0
	v_fma_f64 v[74:75], v[74:75], v[76:77], v[74:75]
	v_fma_f64 v[76:77], -v[60:61], v[74:75], 1.0
	v_fma_f64 v[74:75], v[74:75], v[76:77], v[74:75]
	v_mul_f64 v[76:77], v[78:79], v[74:75]
	v_fma_f64 v[60:61], -v[60:61], v[76:77], v[78:79]
	v_div_fmas_f64 v[60:61], v[60:61], v[74:75], v[76:77]
	v_div_fixup_f64 v[60:61], v[60:61], v[58:59], 1.0
	v_mul_f64 v[58:59], v[72:73], v[60:61]
	v_xor_b32_e32 v61, 0x80000000, v61
.LBB26_217:
	s_andn2_saveexec_b64 s[2:3], s[2:3]
	s_cbranch_execz .LBB26_219
; %bb.218:
	v_div_scale_f64 v[72:73], s[4:5], v[58:59], v[58:59], v[60:61]
	v_rcp_f64_e32 v[74:75], v[72:73]
	v_fma_f64 v[76:77], -v[72:73], v[74:75], 1.0
	v_fma_f64 v[74:75], v[74:75], v[76:77], v[74:75]
	v_div_scale_f64 v[76:77], vcc, v[60:61], v[58:59], v[60:61]
	v_fma_f64 v[78:79], -v[72:73], v[74:75], 1.0
	v_fma_f64 v[74:75], v[74:75], v[78:79], v[74:75]
	v_mul_f64 v[78:79], v[76:77], v[74:75]
	v_fma_f64 v[72:73], -v[72:73], v[78:79], v[76:77]
	v_div_fmas_f64 v[72:73], v[72:73], v[74:75], v[78:79]
	v_div_fixup_f64 v[72:73], v[72:73], v[58:59], v[60:61]
	v_fma_f64 v[58:59], v[60:61], v[72:73], v[58:59]
	v_div_scale_f64 v[60:61], s[4:5], v[58:59], v[58:59], 1.0
	v_div_scale_f64 v[78:79], vcc, 1.0, v[58:59], 1.0
	v_rcp_f64_e32 v[74:75], v[60:61]
	v_fma_f64 v[76:77], -v[60:61], v[74:75], 1.0
	v_fma_f64 v[74:75], v[74:75], v[76:77], v[74:75]
	v_fma_f64 v[76:77], -v[60:61], v[74:75], 1.0
	v_fma_f64 v[74:75], v[74:75], v[76:77], v[74:75]
	v_mul_f64 v[76:77], v[78:79], v[74:75]
	v_fma_f64 v[60:61], -v[60:61], v[76:77], v[78:79]
	v_div_fmas_f64 v[60:61], v[60:61], v[74:75], v[76:77]
	v_div_fixup_f64 v[58:59], v[60:61], v[58:59], 1.0
	v_mul_f64 v[60:61], v[72:73], -v[58:59]
.LBB26_219:
	s_or_b64 exec, exec, s[2:3]
.LBB26_220:
	s_or_b64 exec, exec, s[0:1]
	v_cmp_ne_u32_e32 vcc, v68, v66
	s_and_saveexec_b64 s[0:1], vcc
	s_xor_b64 s[0:1], exec, s[0:1]
	s_cbranch_execz .LBB26_226
; %bb.221:
	v_cmp_eq_u32_e32 vcc, 10, v68
	s_and_saveexec_b64 s[2:3], vcc
	s_cbranch_execz .LBB26_225
; %bb.222:
	v_cmp_ne_u32_e32 vcc, 10, v66
	s_xor_b64 s[4:5], s[18:19], -1
	s_and_b64 s[24:25], s[4:5], vcc
	s_and_saveexec_b64 s[4:5], s[24:25]
	s_cbranch_execz .LBB26_224
; %bb.223:
	v_ashrrev_i32_e32 v67, 31, v66
	v_lshlrev_b64 v[67:68], 2, v[66:67]
	v_add_co_u32_e32 v67, vcc, v64, v67
	v_addc_co_u32_e32 v68, vcc, v65, v68, vcc
	global_load_dword v0, v[67:68], off
	global_load_dword v72, v[64:65], off offset:40
	s_waitcnt vmcnt(1)
	global_store_dword v[64:65], v0, off offset:40
	s_waitcnt vmcnt(1)
	global_store_dword v[67:68], v72, off
.LBB26_224:
	s_or_b64 exec, exec, s[4:5]
	v_mov_b32_e32 v68, v66
	v_mov_b32_e32 v0, v66
.LBB26_225:
	s_or_b64 exec, exec, s[2:3]
.LBB26_226:
	s_andn2_saveexec_b64 s[0:1], s[0:1]
	s_cbranch_execz .LBB26_228
; %bb.227:
	v_mov_b32_e32 v68, 10
	ds_write2_b64 v1, v[6:7], v[8:9] offset0:22 offset1:23
	ds_write2_b64 v1, v[2:3], v[4:5] offset0:24 offset1:25
	;; [unrolled: 1-line block ×3, first 2 shown]
.LBB26_228:
	s_or_b64 exec, exec, s[0:1]
	v_cmp_lt_i32_e32 vcc, 10, v68
	s_waitcnt vmcnt(0) lgkmcnt(0)
	s_barrier
	s_and_saveexec_b64 s[0:1], vcc
	s_cbranch_execz .LBB26_230
; %bb.229:
	v_mul_f64 v[66:67], v[58:59], v[12:13]
	v_mul_f64 v[12:13], v[60:61], v[12:13]
	ds_read2_b64 v[72:75], v1 offset0:22 offset1:23
	ds_read2_b64 v[76:79], v1 offset0:24 offset1:25
	;; [unrolled: 1-line block ×3, first 2 shown]
	v_fma_f64 v[60:61], v[60:61], v[10:11], v[66:67]
	v_fma_f64 v[10:11], v[58:59], v[10:11], -v[12:13]
	s_waitcnt lgkmcnt(2)
	v_mul_f64 v[12:13], v[74:75], v[60:61]
	v_mul_f64 v[58:59], v[72:73], v[60:61]
	s_waitcnt lgkmcnt(1)
	v_mul_f64 v[66:67], v[78:79], v[60:61]
	v_mul_f64 v[84:85], v[76:77], v[60:61]
	;; [unrolled: 3-line block ×3, first 2 shown]
	v_fma_f64 v[12:13], v[72:73], v[10:11], -v[12:13]
	v_fma_f64 v[58:59], v[74:75], v[10:11], v[58:59]
	v_fma_f64 v[66:67], v[76:77], v[10:11], -v[66:67]
	v_fma_f64 v[72:73], v[78:79], v[10:11], v[84:85]
	v_fma_f64 v[74:75], v[80:81], v[10:11], -v[86:87]
	v_fma_f64 v[76:77], v[82:83], v[10:11], v[88:89]
	v_add_f64 v[6:7], v[6:7], -v[12:13]
	v_add_f64 v[8:9], v[8:9], -v[58:59]
	;; [unrolled: 1-line block ×6, first 2 shown]
	v_mov_b32_e32 v12, v60
	v_mov_b32_e32 v13, v61
.LBB26_230:
	s_or_b64 exec, exec, s[0:1]
	v_lshl_add_u32 v58, v68, 4, v1
	s_barrier
	ds_write2_b64 v58, v[6:7], v[8:9] offset1:1
	s_waitcnt lgkmcnt(0)
	s_barrier
	ds_read2_b64 v[58:61], v1 offset0:22 offset1:23
	s_cmp_lt_i32 s22, 13
	v_mov_b32_e32 v66, 11
	s_cbranch_scc1 .LBB26_233
; %bb.231:
	v_add_u32_e32 v67, 0xc0, v1
	s_mov_b32 s2, 12
	v_mov_b32_e32 v66, 11
.LBB26_232:                             ; =>This Inner Loop Header: Depth=1
	s_waitcnt lgkmcnt(0)
	v_cmp_gt_f64_e32 vcc, 0, v[60:61]
	v_cmp_gt_f64_e64 s[0:1], 0, v[58:59]
	ds_read2_b64 v[72:75], v67 offset1:1
	v_xor_b32_e32 v77, 0x80000000, v59
	v_xor_b32_e32 v79, 0x80000000, v61
	v_mov_b32_e32 v76, v58
	v_mov_b32_e32 v78, v60
	s_waitcnt lgkmcnt(0)
	v_xor_b32_e32 v81, 0x80000000, v75
	v_cndmask_b32_e32 v79, v61, v79, vcc
	v_cndmask_b32_e64 v77, v59, v77, s[0:1]
	v_cmp_gt_f64_e32 vcc, 0, v[74:75]
	v_cmp_gt_f64_e64 s[0:1], 0, v[72:73]
	v_add_f64 v[76:77], v[76:77], v[78:79]
	v_xor_b32_e32 v79, 0x80000000, v73
	v_mov_b32_e32 v78, v72
	v_mov_b32_e32 v80, v74
	v_add_u32_e32 v67, 16, v67
	v_cndmask_b32_e32 v81, v75, v81, vcc
	v_cndmask_b32_e64 v79, v73, v79, s[0:1]
	v_add_f64 v[78:79], v[78:79], v[80:81]
	v_mov_b32_e32 v80, s2
	s_add_i32 s2, s2, 1
	s_cmp_lg_u32 s22, s2
	v_cmp_lt_f64_e32 vcc, v[76:77], v[78:79]
	v_cndmask_b32_e32 v59, v59, v73, vcc
	v_cndmask_b32_e32 v58, v58, v72, vcc
	;; [unrolled: 1-line block ×5, first 2 shown]
	s_cbranch_scc1 .LBB26_232
.LBB26_233:
	s_waitcnt lgkmcnt(0)
	v_cmp_eq_f64_e32 vcc, 0, v[58:59]
	v_cmp_eq_f64_e64 s[0:1], 0, v[60:61]
	s_and_b64 s[0:1], vcc, s[0:1]
	s_and_saveexec_b64 s[2:3], s[0:1]
	s_xor_b64 s[0:1], exec, s[2:3]
; %bb.234:
	v_cmp_ne_u32_e32 vcc, 0, v71
	v_cndmask_b32_e32 v71, 12, v71, vcc
; %bb.235:
	s_andn2_saveexec_b64 s[0:1], s[0:1]
	s_cbranch_execz .LBB26_241
; %bb.236:
	v_cmp_ngt_f64_e64 s[2:3], |v[58:59]|, |v[60:61]|
	s_and_saveexec_b64 s[4:5], s[2:3]
	s_xor_b64 s[2:3], exec, s[4:5]
	s_cbranch_execz .LBB26_238
; %bb.237:
	v_div_scale_f64 v[72:73], s[4:5], v[60:61], v[60:61], v[58:59]
	v_rcp_f64_e32 v[74:75], v[72:73]
	v_fma_f64 v[76:77], -v[72:73], v[74:75], 1.0
	v_fma_f64 v[74:75], v[74:75], v[76:77], v[74:75]
	v_div_scale_f64 v[76:77], vcc, v[58:59], v[60:61], v[58:59]
	v_fma_f64 v[78:79], -v[72:73], v[74:75], 1.0
	v_fma_f64 v[74:75], v[74:75], v[78:79], v[74:75]
	v_mul_f64 v[78:79], v[76:77], v[74:75]
	v_fma_f64 v[72:73], -v[72:73], v[78:79], v[76:77]
	v_div_fmas_f64 v[72:73], v[72:73], v[74:75], v[78:79]
	v_div_fixup_f64 v[72:73], v[72:73], v[60:61], v[58:59]
	v_fma_f64 v[58:59], v[58:59], v[72:73], v[60:61]
	v_div_scale_f64 v[60:61], s[4:5], v[58:59], v[58:59], 1.0
	v_div_scale_f64 v[78:79], vcc, 1.0, v[58:59], 1.0
	v_rcp_f64_e32 v[74:75], v[60:61]
	v_fma_f64 v[76:77], -v[60:61], v[74:75], 1.0
	v_fma_f64 v[74:75], v[74:75], v[76:77], v[74:75]
	v_fma_f64 v[76:77], -v[60:61], v[74:75], 1.0
	v_fma_f64 v[74:75], v[74:75], v[76:77], v[74:75]
	v_mul_f64 v[76:77], v[78:79], v[74:75]
	v_fma_f64 v[60:61], -v[60:61], v[76:77], v[78:79]
	v_div_fmas_f64 v[60:61], v[60:61], v[74:75], v[76:77]
	v_div_fixup_f64 v[60:61], v[60:61], v[58:59], 1.0
	v_mul_f64 v[58:59], v[72:73], v[60:61]
	v_xor_b32_e32 v61, 0x80000000, v61
.LBB26_238:
	s_andn2_saveexec_b64 s[2:3], s[2:3]
	s_cbranch_execz .LBB26_240
; %bb.239:
	v_div_scale_f64 v[72:73], s[4:5], v[58:59], v[58:59], v[60:61]
	v_rcp_f64_e32 v[74:75], v[72:73]
	v_fma_f64 v[76:77], -v[72:73], v[74:75], 1.0
	v_fma_f64 v[74:75], v[74:75], v[76:77], v[74:75]
	v_div_scale_f64 v[76:77], vcc, v[60:61], v[58:59], v[60:61]
	v_fma_f64 v[78:79], -v[72:73], v[74:75], 1.0
	v_fma_f64 v[74:75], v[74:75], v[78:79], v[74:75]
	v_mul_f64 v[78:79], v[76:77], v[74:75]
	v_fma_f64 v[72:73], -v[72:73], v[78:79], v[76:77]
	v_div_fmas_f64 v[72:73], v[72:73], v[74:75], v[78:79]
	v_div_fixup_f64 v[72:73], v[72:73], v[58:59], v[60:61]
	v_fma_f64 v[58:59], v[60:61], v[72:73], v[58:59]
	v_div_scale_f64 v[60:61], s[4:5], v[58:59], v[58:59], 1.0
	v_div_scale_f64 v[78:79], vcc, 1.0, v[58:59], 1.0
	v_rcp_f64_e32 v[74:75], v[60:61]
	v_fma_f64 v[76:77], -v[60:61], v[74:75], 1.0
	v_fma_f64 v[74:75], v[74:75], v[76:77], v[74:75]
	v_fma_f64 v[76:77], -v[60:61], v[74:75], 1.0
	v_fma_f64 v[74:75], v[74:75], v[76:77], v[74:75]
	v_mul_f64 v[76:77], v[78:79], v[74:75]
	v_fma_f64 v[60:61], -v[60:61], v[76:77], v[78:79]
	v_div_fmas_f64 v[60:61], v[60:61], v[74:75], v[76:77]
	v_div_fixup_f64 v[58:59], v[60:61], v[58:59], 1.0
	v_mul_f64 v[60:61], v[72:73], -v[58:59]
.LBB26_240:
	s_or_b64 exec, exec, s[2:3]
.LBB26_241:
	s_or_b64 exec, exec, s[0:1]
	v_cmp_ne_u32_e32 vcc, v68, v66
	s_and_saveexec_b64 s[0:1], vcc
	s_xor_b64 s[0:1], exec, s[0:1]
	s_cbranch_execz .LBB26_247
; %bb.242:
	v_cmp_eq_u32_e32 vcc, 11, v68
	s_and_saveexec_b64 s[2:3], vcc
	s_cbranch_execz .LBB26_246
; %bb.243:
	v_cmp_ne_u32_e32 vcc, 11, v66
	s_xor_b64 s[4:5], s[18:19], -1
	s_and_b64 s[24:25], s[4:5], vcc
	s_and_saveexec_b64 s[4:5], s[24:25]
	s_cbranch_execz .LBB26_245
; %bb.244:
	v_ashrrev_i32_e32 v67, 31, v66
	v_lshlrev_b64 v[67:68], 2, v[66:67]
	v_add_co_u32_e32 v67, vcc, v64, v67
	v_addc_co_u32_e32 v68, vcc, v65, v68, vcc
	global_load_dword v0, v[67:68], off
	global_load_dword v72, v[64:65], off offset:44
	s_waitcnt vmcnt(1)
	global_store_dword v[64:65], v0, off offset:44
	s_waitcnt vmcnt(1)
	global_store_dword v[67:68], v72, off
.LBB26_245:
	s_or_b64 exec, exec, s[4:5]
	v_mov_b32_e32 v68, v66
	v_mov_b32_e32 v0, v66
.LBB26_246:
	s_or_b64 exec, exec, s[2:3]
.LBB26_247:
	s_andn2_saveexec_b64 s[0:1], s[0:1]
	s_cbranch_execz .LBB26_249
; %bb.248:
	v_mov_b32_e32 v68, 11
	ds_write2_b64 v1, v[2:3], v[4:5] offset0:24 offset1:25
	ds_write2_b64 v1, v[54:55], v[56:57] offset0:26 offset1:27
.LBB26_249:
	s_or_b64 exec, exec, s[0:1]
	v_cmp_lt_i32_e32 vcc, 11, v68
	s_waitcnt vmcnt(0) lgkmcnt(0)
	s_barrier
	s_and_saveexec_b64 s[0:1], vcc
	s_cbranch_execz .LBB26_251
; %bb.250:
	v_mul_f64 v[66:67], v[58:59], v[8:9]
	v_mul_f64 v[8:9], v[60:61], v[8:9]
	ds_read2_b64 v[72:75], v1 offset0:24 offset1:25
	ds_read2_b64 v[76:79], v1 offset0:26 offset1:27
	v_fma_f64 v[60:61], v[60:61], v[6:7], v[66:67]
	v_fma_f64 v[6:7], v[58:59], v[6:7], -v[8:9]
	s_waitcnt lgkmcnt(1)
	v_mul_f64 v[8:9], v[74:75], v[60:61]
	v_mul_f64 v[58:59], v[72:73], v[60:61]
	s_waitcnt lgkmcnt(0)
	v_mul_f64 v[66:67], v[78:79], v[60:61]
	v_mul_f64 v[80:81], v[76:77], v[60:61]
	v_fma_f64 v[8:9], v[72:73], v[6:7], -v[8:9]
	v_fma_f64 v[58:59], v[74:75], v[6:7], v[58:59]
	v_fma_f64 v[66:67], v[76:77], v[6:7], -v[66:67]
	v_fma_f64 v[72:73], v[78:79], v[6:7], v[80:81]
	v_add_f64 v[2:3], v[2:3], -v[8:9]
	v_add_f64 v[4:5], v[4:5], -v[58:59]
	;; [unrolled: 1-line block ×4, first 2 shown]
	v_mov_b32_e32 v8, v60
	v_mov_b32_e32 v9, v61
.LBB26_251:
	s_or_b64 exec, exec, s[0:1]
	v_lshl_add_u32 v58, v68, 4, v1
	s_barrier
	ds_write2_b64 v58, v[2:3], v[4:5] offset1:1
	s_waitcnt lgkmcnt(0)
	s_barrier
	ds_read2_b64 v[58:61], v1 offset0:24 offset1:25
	s_cmp_lt_i32 s22, 14
	v_mov_b32_e32 v66, 12
	s_cbranch_scc1 .LBB26_254
; %bb.252:
	v_add_u32_e32 v67, 0xd0, v1
	s_mov_b32 s2, 13
	v_mov_b32_e32 v66, 12
.LBB26_253:                             ; =>This Inner Loop Header: Depth=1
	s_waitcnt lgkmcnt(0)
	v_cmp_gt_f64_e32 vcc, 0, v[60:61]
	v_cmp_gt_f64_e64 s[0:1], 0, v[58:59]
	ds_read2_b64 v[72:75], v67 offset1:1
	v_xor_b32_e32 v77, 0x80000000, v59
	v_xor_b32_e32 v79, 0x80000000, v61
	v_mov_b32_e32 v76, v58
	v_mov_b32_e32 v78, v60
	s_waitcnt lgkmcnt(0)
	v_xor_b32_e32 v81, 0x80000000, v75
	v_cndmask_b32_e32 v79, v61, v79, vcc
	v_cndmask_b32_e64 v77, v59, v77, s[0:1]
	v_cmp_gt_f64_e32 vcc, 0, v[74:75]
	v_cmp_gt_f64_e64 s[0:1], 0, v[72:73]
	v_add_f64 v[76:77], v[76:77], v[78:79]
	v_xor_b32_e32 v79, 0x80000000, v73
	v_mov_b32_e32 v78, v72
	v_mov_b32_e32 v80, v74
	v_add_u32_e32 v67, 16, v67
	v_cndmask_b32_e32 v81, v75, v81, vcc
	v_cndmask_b32_e64 v79, v73, v79, s[0:1]
	v_add_f64 v[78:79], v[78:79], v[80:81]
	v_mov_b32_e32 v80, s2
	s_add_i32 s2, s2, 1
	s_cmp_lg_u32 s22, s2
	v_cmp_lt_f64_e32 vcc, v[76:77], v[78:79]
	v_cndmask_b32_e32 v59, v59, v73, vcc
	v_cndmask_b32_e32 v58, v58, v72, vcc
	;; [unrolled: 1-line block ×5, first 2 shown]
	s_cbranch_scc1 .LBB26_253
.LBB26_254:
	s_waitcnt lgkmcnt(0)
	v_cmp_eq_f64_e32 vcc, 0, v[58:59]
	v_cmp_eq_f64_e64 s[0:1], 0, v[60:61]
	s_and_b64 s[0:1], vcc, s[0:1]
	s_and_saveexec_b64 s[2:3], s[0:1]
	s_xor_b64 s[0:1], exec, s[2:3]
; %bb.255:
	v_cmp_ne_u32_e32 vcc, 0, v71
	v_cndmask_b32_e32 v71, 13, v71, vcc
; %bb.256:
	s_andn2_saveexec_b64 s[0:1], s[0:1]
	s_cbranch_execz .LBB26_262
; %bb.257:
	v_cmp_ngt_f64_e64 s[2:3], |v[58:59]|, |v[60:61]|
	s_and_saveexec_b64 s[4:5], s[2:3]
	s_xor_b64 s[2:3], exec, s[4:5]
	s_cbranch_execz .LBB26_259
; %bb.258:
	v_div_scale_f64 v[72:73], s[4:5], v[60:61], v[60:61], v[58:59]
	v_rcp_f64_e32 v[74:75], v[72:73]
	v_fma_f64 v[76:77], -v[72:73], v[74:75], 1.0
	v_fma_f64 v[74:75], v[74:75], v[76:77], v[74:75]
	v_div_scale_f64 v[76:77], vcc, v[58:59], v[60:61], v[58:59]
	v_fma_f64 v[78:79], -v[72:73], v[74:75], 1.0
	v_fma_f64 v[74:75], v[74:75], v[78:79], v[74:75]
	v_mul_f64 v[78:79], v[76:77], v[74:75]
	v_fma_f64 v[72:73], -v[72:73], v[78:79], v[76:77]
	v_div_fmas_f64 v[72:73], v[72:73], v[74:75], v[78:79]
	v_div_fixup_f64 v[72:73], v[72:73], v[60:61], v[58:59]
	v_fma_f64 v[58:59], v[58:59], v[72:73], v[60:61]
	v_div_scale_f64 v[60:61], s[4:5], v[58:59], v[58:59], 1.0
	v_div_scale_f64 v[78:79], vcc, 1.0, v[58:59], 1.0
	v_rcp_f64_e32 v[74:75], v[60:61]
	v_fma_f64 v[76:77], -v[60:61], v[74:75], 1.0
	v_fma_f64 v[74:75], v[74:75], v[76:77], v[74:75]
	v_fma_f64 v[76:77], -v[60:61], v[74:75], 1.0
	v_fma_f64 v[74:75], v[74:75], v[76:77], v[74:75]
	v_mul_f64 v[76:77], v[78:79], v[74:75]
	v_fma_f64 v[60:61], -v[60:61], v[76:77], v[78:79]
	v_div_fmas_f64 v[60:61], v[60:61], v[74:75], v[76:77]
	v_div_fixup_f64 v[60:61], v[60:61], v[58:59], 1.0
	v_mul_f64 v[58:59], v[72:73], v[60:61]
	v_xor_b32_e32 v61, 0x80000000, v61
.LBB26_259:
	s_andn2_saveexec_b64 s[2:3], s[2:3]
	s_cbranch_execz .LBB26_261
; %bb.260:
	v_div_scale_f64 v[72:73], s[4:5], v[58:59], v[58:59], v[60:61]
	v_rcp_f64_e32 v[74:75], v[72:73]
	v_fma_f64 v[76:77], -v[72:73], v[74:75], 1.0
	v_fma_f64 v[74:75], v[74:75], v[76:77], v[74:75]
	v_div_scale_f64 v[76:77], vcc, v[60:61], v[58:59], v[60:61]
	v_fma_f64 v[78:79], -v[72:73], v[74:75], 1.0
	v_fma_f64 v[74:75], v[74:75], v[78:79], v[74:75]
	v_mul_f64 v[78:79], v[76:77], v[74:75]
	v_fma_f64 v[72:73], -v[72:73], v[78:79], v[76:77]
	v_div_fmas_f64 v[72:73], v[72:73], v[74:75], v[78:79]
	v_div_fixup_f64 v[72:73], v[72:73], v[58:59], v[60:61]
	v_fma_f64 v[58:59], v[60:61], v[72:73], v[58:59]
	v_div_scale_f64 v[60:61], s[4:5], v[58:59], v[58:59], 1.0
	v_div_scale_f64 v[78:79], vcc, 1.0, v[58:59], 1.0
	v_rcp_f64_e32 v[74:75], v[60:61]
	v_fma_f64 v[76:77], -v[60:61], v[74:75], 1.0
	v_fma_f64 v[74:75], v[74:75], v[76:77], v[74:75]
	v_fma_f64 v[76:77], -v[60:61], v[74:75], 1.0
	v_fma_f64 v[74:75], v[74:75], v[76:77], v[74:75]
	v_mul_f64 v[76:77], v[78:79], v[74:75]
	v_fma_f64 v[60:61], -v[60:61], v[76:77], v[78:79]
	v_div_fmas_f64 v[60:61], v[60:61], v[74:75], v[76:77]
	v_div_fixup_f64 v[58:59], v[60:61], v[58:59], 1.0
	v_mul_f64 v[60:61], v[72:73], -v[58:59]
.LBB26_261:
	s_or_b64 exec, exec, s[2:3]
.LBB26_262:
	s_or_b64 exec, exec, s[0:1]
	v_cmp_ne_u32_e32 vcc, v68, v66
	s_and_saveexec_b64 s[0:1], vcc
	s_xor_b64 s[0:1], exec, s[0:1]
	s_cbranch_execz .LBB26_268
; %bb.263:
	v_cmp_eq_u32_e32 vcc, 12, v68
	s_and_saveexec_b64 s[2:3], vcc
	s_cbranch_execz .LBB26_267
; %bb.264:
	v_cmp_ne_u32_e32 vcc, 12, v66
	s_xor_b64 s[4:5], s[18:19], -1
	s_and_b64 s[24:25], s[4:5], vcc
	s_and_saveexec_b64 s[4:5], s[24:25]
	s_cbranch_execz .LBB26_266
; %bb.265:
	v_ashrrev_i32_e32 v67, 31, v66
	v_lshlrev_b64 v[67:68], 2, v[66:67]
	v_add_co_u32_e32 v67, vcc, v64, v67
	v_addc_co_u32_e32 v68, vcc, v65, v68, vcc
	global_load_dword v0, v[67:68], off
	global_load_dword v72, v[64:65], off offset:48
	s_waitcnt vmcnt(1)
	global_store_dword v[64:65], v0, off offset:48
	s_waitcnt vmcnt(1)
	global_store_dword v[67:68], v72, off
.LBB26_266:
	s_or_b64 exec, exec, s[4:5]
	v_mov_b32_e32 v68, v66
	v_mov_b32_e32 v0, v66
.LBB26_267:
	s_or_b64 exec, exec, s[2:3]
.LBB26_268:
	s_andn2_saveexec_b64 s[0:1], s[0:1]
; %bb.269:
	v_mov_b32_e32 v68, 12
	ds_write2_b64 v1, v[54:55], v[56:57] offset0:26 offset1:27
; %bb.270:
	s_or_b64 exec, exec, s[0:1]
	v_cmp_lt_i32_e32 vcc, 12, v68
	s_waitcnt vmcnt(0) lgkmcnt(0)
	s_barrier
	s_and_saveexec_b64 s[0:1], vcc
	s_cbranch_execz .LBB26_272
; %bb.271:
	v_mul_f64 v[66:67], v[58:59], v[4:5]
	v_mul_f64 v[4:5], v[60:61], v[4:5]
	ds_read2_b64 v[72:75], v1 offset0:26 offset1:27
	v_fma_f64 v[60:61], v[60:61], v[2:3], v[66:67]
	v_fma_f64 v[2:3], v[58:59], v[2:3], -v[4:5]
	s_waitcnt lgkmcnt(0)
	v_mul_f64 v[4:5], v[74:75], v[60:61]
	v_mul_f64 v[58:59], v[72:73], v[60:61]
	v_fma_f64 v[4:5], v[72:73], v[2:3], -v[4:5]
	v_fma_f64 v[58:59], v[74:75], v[2:3], v[58:59]
	v_add_f64 v[54:55], v[54:55], -v[4:5]
	v_add_f64 v[56:57], v[56:57], -v[58:59]
	v_mov_b32_e32 v4, v60
	v_mov_b32_e32 v5, v61
.LBB26_272:
	s_or_b64 exec, exec, s[0:1]
	v_lshl_add_u32 v58, v68, 4, v1
	s_barrier
	ds_write2_b64 v58, v[54:55], v[56:57] offset1:1
	s_waitcnt lgkmcnt(0)
	s_barrier
	ds_read2_b64 v[58:61], v1 offset0:26 offset1:27
	s_cmp_lt_i32 s22, 15
	v_mov_b32_e32 v66, 13
	s_cbranch_scc1 .LBB26_275
; %bb.273:
	v_add_u32_e32 v1, 0xe0, v1
	s_mov_b32 s2, 14
	v_mov_b32_e32 v66, 13
.LBB26_274:                             ; =>This Inner Loop Header: Depth=1
	s_waitcnt lgkmcnt(0)
	v_cmp_gt_f64_e32 vcc, 0, v[60:61]
	v_cmp_gt_f64_e64 s[0:1], 0, v[58:59]
	ds_read2_b64 v[72:75], v1 offset1:1
	v_xor_b32_e32 v67, 0x80000000, v59
	v_xor_b32_e32 v79, 0x80000000, v61
	v_mov_b32_e32 v76, v58
	v_mov_b32_e32 v78, v60
	s_waitcnt lgkmcnt(0)
	v_xor_b32_e32 v81, 0x80000000, v75
	v_cndmask_b32_e32 v79, v61, v79, vcc
	v_cndmask_b32_e64 v77, v59, v67, s[0:1]
	v_cmp_gt_f64_e32 vcc, 0, v[74:75]
	v_cmp_gt_f64_e64 s[0:1], 0, v[72:73]
	v_xor_b32_e32 v67, 0x80000000, v73
	v_add_f64 v[76:77], v[76:77], v[78:79]
	v_mov_b32_e32 v78, v72
	v_mov_b32_e32 v80, v74
	v_add_u32_e32 v1, 16, v1
	v_cndmask_b32_e32 v81, v75, v81, vcc
	v_cndmask_b32_e64 v79, v73, v67, s[0:1]
	v_add_f64 v[78:79], v[78:79], v[80:81]
	v_mov_b32_e32 v67, s2
	s_add_i32 s2, s2, 1
	s_cmp_lg_u32 s22, s2
	v_cmp_lt_f64_e32 vcc, v[76:77], v[78:79]
	v_cndmask_b32_e32 v59, v59, v73, vcc
	v_cndmask_b32_e32 v58, v58, v72, vcc
	v_cndmask_b32_e32 v61, v61, v75, vcc
	v_cndmask_b32_e32 v60, v60, v74, vcc
	v_cndmask_b32_e32 v66, v66, v67, vcc
	s_cbranch_scc1 .LBB26_274
.LBB26_275:
	s_waitcnt lgkmcnt(0)
	v_cmp_eq_f64_e32 vcc, 0, v[58:59]
	v_cmp_eq_f64_e64 s[0:1], 0, v[60:61]
	s_and_b64 s[0:1], vcc, s[0:1]
	s_and_saveexec_b64 s[2:3], s[0:1]
	s_xor_b64 s[0:1], exec, s[2:3]
; %bb.276:
	v_cmp_ne_u32_e32 vcc, 0, v71
	v_cndmask_b32_e32 v71, 14, v71, vcc
; %bb.277:
	s_andn2_saveexec_b64 s[0:1], s[0:1]
	s_cbranch_execz .LBB26_283
; %bb.278:
	v_cmp_ngt_f64_e64 s[2:3], |v[58:59]|, |v[60:61]|
	s_and_saveexec_b64 s[4:5], s[2:3]
	s_xor_b64 s[2:3], exec, s[4:5]
	s_cbranch_execz .LBB26_280
; %bb.279:
	v_div_scale_f64 v[72:73], s[4:5], v[60:61], v[60:61], v[58:59]
	v_rcp_f64_e32 v[74:75], v[72:73]
	v_fma_f64 v[76:77], -v[72:73], v[74:75], 1.0
	v_fma_f64 v[74:75], v[74:75], v[76:77], v[74:75]
	v_div_scale_f64 v[76:77], vcc, v[58:59], v[60:61], v[58:59]
	v_fma_f64 v[78:79], -v[72:73], v[74:75], 1.0
	v_fma_f64 v[74:75], v[74:75], v[78:79], v[74:75]
	v_mul_f64 v[78:79], v[76:77], v[74:75]
	v_fma_f64 v[72:73], -v[72:73], v[78:79], v[76:77]
	v_div_fmas_f64 v[72:73], v[72:73], v[74:75], v[78:79]
	v_div_fixup_f64 v[72:73], v[72:73], v[60:61], v[58:59]
	v_fma_f64 v[58:59], v[58:59], v[72:73], v[60:61]
	v_div_scale_f64 v[60:61], s[4:5], v[58:59], v[58:59], 1.0
	v_div_scale_f64 v[78:79], vcc, 1.0, v[58:59], 1.0
	v_rcp_f64_e32 v[74:75], v[60:61]
	v_fma_f64 v[76:77], -v[60:61], v[74:75], 1.0
	v_fma_f64 v[74:75], v[74:75], v[76:77], v[74:75]
	v_fma_f64 v[76:77], -v[60:61], v[74:75], 1.0
	v_fma_f64 v[74:75], v[74:75], v[76:77], v[74:75]
	v_mul_f64 v[76:77], v[78:79], v[74:75]
	v_fma_f64 v[60:61], -v[60:61], v[76:77], v[78:79]
	v_div_fmas_f64 v[60:61], v[60:61], v[74:75], v[76:77]
	v_div_fixup_f64 v[60:61], v[60:61], v[58:59], 1.0
	v_mul_f64 v[58:59], v[72:73], v[60:61]
	v_xor_b32_e32 v61, 0x80000000, v61
.LBB26_280:
	s_andn2_saveexec_b64 s[2:3], s[2:3]
	s_cbranch_execz .LBB26_282
; %bb.281:
	v_div_scale_f64 v[72:73], s[4:5], v[58:59], v[58:59], v[60:61]
	v_rcp_f64_e32 v[74:75], v[72:73]
	v_fma_f64 v[76:77], -v[72:73], v[74:75], 1.0
	v_fma_f64 v[74:75], v[74:75], v[76:77], v[74:75]
	v_div_scale_f64 v[76:77], vcc, v[60:61], v[58:59], v[60:61]
	v_fma_f64 v[78:79], -v[72:73], v[74:75], 1.0
	v_fma_f64 v[74:75], v[74:75], v[78:79], v[74:75]
	v_mul_f64 v[78:79], v[76:77], v[74:75]
	v_fma_f64 v[72:73], -v[72:73], v[78:79], v[76:77]
	v_div_fmas_f64 v[72:73], v[72:73], v[74:75], v[78:79]
	v_div_fixup_f64 v[72:73], v[72:73], v[58:59], v[60:61]
	v_fma_f64 v[58:59], v[60:61], v[72:73], v[58:59]
	v_div_scale_f64 v[60:61], s[4:5], v[58:59], v[58:59], 1.0
	v_div_scale_f64 v[78:79], vcc, 1.0, v[58:59], 1.0
	v_rcp_f64_e32 v[74:75], v[60:61]
	v_fma_f64 v[76:77], -v[60:61], v[74:75], 1.0
	v_fma_f64 v[74:75], v[74:75], v[76:77], v[74:75]
	v_fma_f64 v[76:77], -v[60:61], v[74:75], 1.0
	v_fma_f64 v[74:75], v[74:75], v[76:77], v[74:75]
	v_mul_f64 v[76:77], v[78:79], v[74:75]
	v_fma_f64 v[60:61], -v[60:61], v[76:77], v[78:79]
	v_div_fmas_f64 v[60:61], v[60:61], v[74:75], v[76:77]
	v_div_fixup_f64 v[58:59], v[60:61], v[58:59], 1.0
	v_mul_f64 v[60:61], v[72:73], -v[58:59]
.LBB26_282:
	s_or_b64 exec, exec, s[2:3]
.LBB26_283:
	s_or_b64 exec, exec, s[0:1]
	v_cmp_ne_u32_e32 vcc, v68, v66
	v_mov_b32_e32 v67, 13
	s_and_saveexec_b64 s[0:1], vcc
	s_cbranch_execz .LBB26_289
; %bb.284:
	v_cmp_eq_u32_e32 vcc, 13, v68
	s_and_saveexec_b64 s[2:3], vcc
	s_cbranch_execz .LBB26_288
; %bb.285:
	v_cmp_ne_u32_e32 vcc, 13, v66
	s_xor_b64 s[4:5], s[18:19], -1
	s_and_b64 s[18:19], s[4:5], vcc
	s_and_saveexec_b64 s[4:5], s[18:19]
	s_cbranch_execz .LBB26_287
; %bb.286:
	v_ashrrev_i32_e32 v67, 31, v66
	v_lshlrev_b64 v[0:1], 2, v[66:67]
	v_add_co_u32_e32 v0, vcc, v64, v0
	v_addc_co_u32_e32 v1, vcc, v65, v1, vcc
	global_load_dword v67, v[0:1], off
	global_load_dword v68, v[64:65], off offset:52
	s_waitcnt vmcnt(1)
	global_store_dword v[64:65], v67, off offset:52
	s_waitcnt vmcnt(1)
	global_store_dword v[0:1], v68, off
.LBB26_287:
	s_or_b64 exec, exec, s[4:5]
	v_mov_b32_e32 v68, v66
	v_mov_b32_e32 v0, v66
.LBB26_288:
	s_or_b64 exec, exec, s[2:3]
	v_mov_b32_e32 v67, v68
.LBB26_289:
	s_or_b64 exec, exec, s[0:1]
	v_cmp_gt_i32_e32 vcc, 14, v67
	v_ashrrev_i32_e32 v68, 31, v67
	s_waitcnt vmcnt(0)
	s_barrier
	s_barrier
	s_and_saveexec_b64 s[0:1], vcc
	s_cbranch_execz .LBB26_291
; %bb.290:
	v_mul_lo_u32 v1, s15, v62
	v_mul_lo_u32 v66, s14, v63
	v_mad_u64_u32 v[64:65], s[2:3], s14, v62, 0
	s_lshl_b64 s[2:3], s[12:13], 2
	v_add3_u32 v0, v0, s17, 1
	v_add3_u32 v65, v65, v66, v1
	v_lshlrev_b64 v[64:65], 2, v[64:65]
	v_mov_b32_e32 v1, s11
	v_add_co_u32_e32 v64, vcc, s10, v64
	v_addc_co_u32_e32 v1, vcc, v1, v65, vcc
	v_mov_b32_e32 v65, s3
	v_add_co_u32_e32 v66, vcc, s2, v64
	v_addc_co_u32_e32 v1, vcc, v1, v65, vcc
	v_lshlrev_b64 v[64:65], 2, v[67:68]
	v_add_co_u32_e32 v64, vcc, v66, v64
	v_addc_co_u32_e32 v65, vcc, v1, v65, vcc
	global_store_dword v[64:65], v0, off
.LBB26_291:
	s_or_b64 exec, exec, s[0:1]
	v_cmp_eq_u32_e32 vcc, 0, v67
	s_and_saveexec_b64 s[2:3], vcc
	s_cbranch_execz .LBB26_294
; %bb.292:
	v_lshlrev_b64 v[0:1], 2, v[62:63]
	v_mov_b32_e32 v62, s21
	v_add_co_u32_e32 v0, vcc, s20, v0
	v_addc_co_u32_e32 v1, vcc, v62, v1, vcc
	global_load_dword v62, v[0:1], off
	v_cmp_ne_u32_e64 s[0:1], 0, v71
	s_waitcnt vmcnt(0)
	v_cmp_eq_u32_e32 vcc, 0, v62
	s_and_b64 s[0:1], vcc, s[0:1]
	s_and_b64 exec, exec, s[0:1]
	s_cbranch_execz .LBB26_294
; %bb.293:
	v_add_u32_e32 v62, s17, v71
	global_store_dword v[0:1], v62, off
.LBB26_294:
	s_or_b64 exec, exec, s[2:3]
	v_mul_f64 v[0:1], v[58:59], v[56:57]
	v_mul_f64 v[62:63], v[60:61], v[56:57]
	v_lshlrev_b64 v[64:65], 4, v[67:68]
	v_mov_b32_e32 v66, s9
	v_fma_f64 v[0:1], v[60:61], v[54:55], v[0:1]
	v_fma_f64 v[58:59], v[58:59], v[54:55], -v[62:63]
	v_add_co_u32_e32 v60, vcc, v69, v64
	v_addc_co_u32_e32 v61, vcc, v70, v65, vcc
	v_cmp_lt_i32_e32 vcc, 13, v67
	global_store_dwordx4 v[60:61], v[50:53], off
	s_nop 0
	v_cndmask_b32_e32 v53, v57, v1, vcc
	v_cndmask_b32_e32 v52, v56, v0, vcc
	v_cndmask_b32_e32 v51, v55, v59, vcc
	v_cndmask_b32_e32 v50, v54, v58, vcc
	v_add_co_u32_e32 v0, vcc, s8, v60
	v_addc_co_u32_e32 v1, vcc, v61, v66, vcc
	global_store_dwordx4 v[0:1], v[46:49], off
	v_add_u32_e32 v0, s16, v67
	v_ashrrev_i32_e32 v1, 31, v0
	v_lshlrev_b64 v[46:47], 4, v[0:1]
	v_add_u32_e32 v0, s6, v0
	v_add_co_u32_e32 v46, vcc, v69, v46
	v_addc_co_u32_e32 v47, vcc, v70, v47, vcc
	v_ashrrev_i32_e32 v1, 31, v0
	global_store_dwordx4 v[46:47], v[42:45], off
	s_nop 0
	v_lshlrev_b64 v[42:43], 4, v[0:1]
	v_add_u32_e32 v0, s6, v0
	v_add_co_u32_e32 v42, vcc, v69, v42
	v_addc_co_u32_e32 v43, vcc, v70, v43, vcc
	v_ashrrev_i32_e32 v1, 31, v0
	global_store_dwordx4 v[42:43], v[38:41], off
	s_nop 0
	;; [unrolled: 7-line block ×10, first 2 shown]
	v_lshlrev_b64 v[6:7], 4, v[0:1]
	v_add_u32_e32 v0, s6, v0
	v_ashrrev_i32_e32 v1, 31, v0
	v_add_co_u32_e32 v6, vcc, v69, v6
	v_lshlrev_b64 v[0:1], 4, v[0:1]
	v_addc_co_u32_e32 v7, vcc, v70, v7, vcc
	v_add_co_u32_e32 v0, vcc, v69, v0
	v_addc_co_u32_e32 v1, vcc, v70, v1, vcc
	global_store_dwordx4 v[6:7], v[2:5], off
	global_store_dwordx4 v[0:1], v[50:53], off
.LBB26_295:
	s_endpgm
	.section	.rodata,"a",@progbits
	.p2align	6, 0x0
	.amdhsa_kernel _ZN9rocsolver6v33100L18getf2_small_kernelILi14E19rocblas_complex_numIdEiiPS3_EEvT1_T3_lS5_lPS5_llPT2_S5_S5_S7_l
		.amdhsa_group_segment_fixed_size 0
		.amdhsa_private_segment_fixed_size 0
		.amdhsa_kernarg_size 352
		.amdhsa_user_sgpr_count 6
		.amdhsa_user_sgpr_private_segment_buffer 1
		.amdhsa_user_sgpr_dispatch_ptr 0
		.amdhsa_user_sgpr_queue_ptr 0
		.amdhsa_user_sgpr_kernarg_segment_ptr 1
		.amdhsa_user_sgpr_dispatch_id 0
		.amdhsa_user_sgpr_flat_scratch_init 0
		.amdhsa_user_sgpr_private_segment_size 0
		.amdhsa_uses_dynamic_stack 0
		.amdhsa_system_sgpr_private_segment_wavefront_offset 0
		.amdhsa_system_sgpr_workgroup_id_x 1
		.amdhsa_system_sgpr_workgroup_id_y 1
		.amdhsa_system_sgpr_workgroup_id_z 0
		.amdhsa_system_sgpr_workgroup_info 0
		.amdhsa_system_vgpr_workitem_id 1
		.amdhsa_next_free_vgpr 112
		.amdhsa_next_free_sgpr 26
		.amdhsa_reserve_vcc 1
		.amdhsa_reserve_flat_scratch 0
		.amdhsa_float_round_mode_32 0
		.amdhsa_float_round_mode_16_64 0
		.amdhsa_float_denorm_mode_32 3
		.amdhsa_float_denorm_mode_16_64 3
		.amdhsa_dx10_clamp 1
		.amdhsa_ieee_mode 1
		.amdhsa_fp16_overflow 0
		.amdhsa_exception_fp_ieee_invalid_op 0
		.amdhsa_exception_fp_denorm_src 0
		.amdhsa_exception_fp_ieee_div_zero 0
		.amdhsa_exception_fp_ieee_overflow 0
		.amdhsa_exception_fp_ieee_underflow 0
		.amdhsa_exception_fp_ieee_inexact 0
		.amdhsa_exception_int_div_zero 0
	.end_amdhsa_kernel
	.section	.text._ZN9rocsolver6v33100L18getf2_small_kernelILi14E19rocblas_complex_numIdEiiPS3_EEvT1_T3_lS5_lPS5_llPT2_S5_S5_S7_l,"axG",@progbits,_ZN9rocsolver6v33100L18getf2_small_kernelILi14E19rocblas_complex_numIdEiiPS3_EEvT1_T3_lS5_lPS5_llPT2_S5_S5_S7_l,comdat
.Lfunc_end26:
	.size	_ZN9rocsolver6v33100L18getf2_small_kernelILi14E19rocblas_complex_numIdEiiPS3_EEvT1_T3_lS5_lPS5_llPT2_S5_S5_S7_l, .Lfunc_end26-_ZN9rocsolver6v33100L18getf2_small_kernelILi14E19rocblas_complex_numIdEiiPS3_EEvT1_T3_lS5_lPS5_llPT2_S5_S5_S7_l
                                        ; -- End function
	.set _ZN9rocsolver6v33100L18getf2_small_kernelILi14E19rocblas_complex_numIdEiiPS3_EEvT1_T3_lS5_lPS5_llPT2_S5_S5_S7_l.num_vgpr, 112
	.set _ZN9rocsolver6v33100L18getf2_small_kernelILi14E19rocblas_complex_numIdEiiPS3_EEvT1_T3_lS5_lPS5_llPT2_S5_S5_S7_l.num_agpr, 0
	.set _ZN9rocsolver6v33100L18getf2_small_kernelILi14E19rocblas_complex_numIdEiiPS3_EEvT1_T3_lS5_lPS5_llPT2_S5_S5_S7_l.numbered_sgpr, 26
	.set _ZN9rocsolver6v33100L18getf2_small_kernelILi14E19rocblas_complex_numIdEiiPS3_EEvT1_T3_lS5_lPS5_llPT2_S5_S5_S7_l.num_named_barrier, 0
	.set _ZN9rocsolver6v33100L18getf2_small_kernelILi14E19rocblas_complex_numIdEiiPS3_EEvT1_T3_lS5_lPS5_llPT2_S5_S5_S7_l.private_seg_size, 0
	.set _ZN9rocsolver6v33100L18getf2_small_kernelILi14E19rocblas_complex_numIdEiiPS3_EEvT1_T3_lS5_lPS5_llPT2_S5_S5_S7_l.uses_vcc, 1
	.set _ZN9rocsolver6v33100L18getf2_small_kernelILi14E19rocblas_complex_numIdEiiPS3_EEvT1_T3_lS5_lPS5_llPT2_S5_S5_S7_l.uses_flat_scratch, 0
	.set _ZN9rocsolver6v33100L18getf2_small_kernelILi14E19rocblas_complex_numIdEiiPS3_EEvT1_T3_lS5_lPS5_llPT2_S5_S5_S7_l.has_dyn_sized_stack, 0
	.set _ZN9rocsolver6v33100L18getf2_small_kernelILi14E19rocblas_complex_numIdEiiPS3_EEvT1_T3_lS5_lPS5_llPT2_S5_S5_S7_l.has_recursion, 0
	.set _ZN9rocsolver6v33100L18getf2_small_kernelILi14E19rocblas_complex_numIdEiiPS3_EEvT1_T3_lS5_lPS5_llPT2_S5_S5_S7_l.has_indirect_call, 0
	.section	.AMDGPU.csdata,"",@progbits
; Kernel info:
; codeLenInByte = 20100
; TotalNumSgprs: 30
; NumVgprs: 112
; ScratchSize: 0
; MemoryBound: 0
; FloatMode: 240
; IeeeMode: 1
; LDSByteSize: 0 bytes/workgroup (compile time only)
; SGPRBlocks: 3
; VGPRBlocks: 27
; NumSGPRsForWavesPerEU: 30
; NumVGPRsForWavesPerEU: 112
; Occupancy: 2
; WaveLimiterHint : 0
; COMPUTE_PGM_RSRC2:SCRATCH_EN: 0
; COMPUTE_PGM_RSRC2:USER_SGPR: 6
; COMPUTE_PGM_RSRC2:TRAP_HANDLER: 0
; COMPUTE_PGM_RSRC2:TGID_X_EN: 1
; COMPUTE_PGM_RSRC2:TGID_Y_EN: 1
; COMPUTE_PGM_RSRC2:TGID_Z_EN: 0
; COMPUTE_PGM_RSRC2:TIDIG_COMP_CNT: 1
	.section	.text._ZN9rocsolver6v33100L23getf2_npvt_small_kernelILi14E19rocblas_complex_numIdEiiPS3_EEvT1_T3_lS5_lPT2_S5_S5_,"axG",@progbits,_ZN9rocsolver6v33100L23getf2_npvt_small_kernelILi14E19rocblas_complex_numIdEiiPS3_EEvT1_T3_lS5_lPT2_S5_S5_,comdat
	.globl	_ZN9rocsolver6v33100L23getf2_npvt_small_kernelILi14E19rocblas_complex_numIdEiiPS3_EEvT1_T3_lS5_lPT2_S5_S5_ ; -- Begin function _ZN9rocsolver6v33100L23getf2_npvt_small_kernelILi14E19rocblas_complex_numIdEiiPS3_EEvT1_T3_lS5_lPT2_S5_S5_
	.p2align	8
	.type	_ZN9rocsolver6v33100L23getf2_npvt_small_kernelILi14E19rocblas_complex_numIdEiiPS3_EEvT1_T3_lS5_lPT2_S5_S5_,@function
_ZN9rocsolver6v33100L23getf2_npvt_small_kernelILi14E19rocblas_complex_numIdEiiPS3_EEvT1_T3_lS5_lPT2_S5_S5_: ; @_ZN9rocsolver6v33100L23getf2_npvt_small_kernelILi14E19rocblas_complex_numIdEiiPS3_EEvT1_T3_lS5_lPT2_S5_S5_
; %bb.0:
	s_mov_b64 s[22:23], s[2:3]
	s_mov_b64 s[20:21], s[0:1]
	s_load_dword s0, s[4:5], 0x44
	s_load_dwordx2 s[12:13], s[4:5], 0x30
	s_add_u32 s20, s20, s8
	s_addc_u32 s21, s21, 0
	s_waitcnt lgkmcnt(0)
	s_lshr_b32 s2, s0, 16
	s_mul_i32 s7, s7, s2
	v_add_u32_e32 v114, s7, v1
	v_cmp_gt_i32_e32 vcc, s12, v114
	s_and_saveexec_b64 s[0:1], vcc
	s_cbranch_execz .LBB27_129
; %bb.1:
	s_load_dwordx4 s[8:11], s[4:5], 0x20
	s_load_dwordx4 s[16:19], s[4:5], 0x8
	v_ashrrev_i32_e32 v115, 31, v114
	s_mulk_i32 s2, 0xe0
	s_waitcnt lgkmcnt(0)
	v_mul_lo_u32 v4, s9, v114
	v_mul_lo_u32 v5, s8, v115
	v_mad_u64_u32 v[2:3], s[0:1], s8, v114, 0
	s_load_dword s0, s[4:5], 0x18
	v_mov_b32_e32 v6, s17
	v_add3_u32 v3, v3, v5, v4
	v_lshlrev_b64 v[2:3], 4, v[2:3]
	s_lshl_b64 s[4:5], s[18:19], 4
	v_add_co_u32_e32 v2, vcc, s16, v2
	v_addc_co_u32_e32 v3, vcc, v6, v3, vcc
	s_waitcnt lgkmcnt(0)
	s_add_i32 s1, s0, s0
	v_mov_b32_e32 v4, s5
	v_add_co_u32_e32 v5, vcc, s4, v2
	v_add_u32_e32 v2, s1, v0
	v_addc_co_u32_e32 v6, vcc, v3, v4, vcc
	v_ashrrev_i32_e32 v3, 31, v2
	v_lshlrev_b64 v[3:4], 4, v[2:3]
	v_add_u32_e32 v2, s0, v2
	v_add_co_u32_e32 v15, vcc, v5, v3
	v_ashrrev_i32_e32 v3, 31, v2
	v_addc_co_u32_e32 v16, vcc, v6, v4, vcc
	v_lshlrev_b64 v[3:4], 4, v[2:3]
	v_add_u32_e32 v2, s0, v2
	v_add_co_u32_e32 v17, vcc, v5, v3
	v_ashrrev_i32_e32 v3, 31, v2
	v_addc_co_u32_e32 v18, vcc, v6, v4, vcc
	;; [unrolled: 5-line block ×10, first 2 shown]
	v_lshlrev_b64 v[3:4], 4, v[2:3]
	v_add_u32_e32 v2, s0, v2
	v_add_co_u32_e32 v58, vcc, v5, v3
	v_ashrrev_i32_e32 v3, 31, v2
	v_lshlrev_b64 v[2:3], 4, v[2:3]
	v_addc_co_u32_e32 v59, vcc, v6, v4, vcc
	v_add_co_u32_e32 v60, vcc, v5, v2
	v_addc_co_u32_e32 v61, vcc, v6, v3, vcc
	v_lshlrev_b32_e32 v2, 4, v0
	v_add_co_u32_e32 v124, vcc, v5, v2
	v_addc_co_u32_e32 v125, vcc, 0, v6, vcc
	global_load_dwordx4 v[19:22], v[124:125], off
	s_ashr_i32 s1, s0, 31
	s_lshl_b64 s[0:1], s[0:1], 4
	v_mov_b32_e32 v2, s1
	v_add_co_u32_e32 v3, vcc, s0, v124
	v_addc_co_u32_e32 v4, vcc, v125, v2, vcc
	s_movk_i32 s0, 0xe0
	s_add_i32 s1, s2, 0
	v_mad_u32_u24 v116, v1, s0, 0
	v_lshl_add_u32 v1, v1, 4, s1
	v_cmp_ne_u32_e64 s[2:3], 0, v0
	v_cmp_eq_u32_e64 s[0:1], 0, v0
	s_waitcnt vmcnt(0)
	buffer_store_dword v19, off, s[20:23], 0 ; 4-byte Folded Spill
	s_nop 0
	buffer_store_dword v20, off, s[20:23], 0 offset:4 ; 4-byte Folded Spill
	buffer_store_dword v21, off, s[20:23], 0 offset:8 ; 4-byte Folded Spill
	;; [unrolled: 1-line block ×4, first 2 shown]
	s_nop 0
	buffer_store_dword v4, off, s[20:23], 0 offset:84 ; 4-byte Folded Spill
	global_load_dwordx4 v[50:53], v[3:4], off
	s_nop 0
	buffer_store_dword v15, off, s[20:23], 0 offset:112 ; 4-byte Folded Spill
	s_nop 0
	buffer_store_dword v16, off, s[20:23], 0 offset:116 ; 4-byte Folded Spill
	global_load_dwordx4 v[46:49], v[15:16], off
	s_nop 0
	buffer_store_dword v17, off, s[20:23], 0 offset:104 ; 4-byte Folded Spill
	s_nop 0
	buffer_store_dword v18, off, s[20:23], 0 offset:108 ; 4-byte Folded Spill
	global_load_dwordx4 v[42:45], v[17:18], off
	global_load_dwordx4 v[38:41], v[117:118], off
	;; [unrolled: 1-line block ×3, first 2 shown]
	s_nop 0
	buffer_store_dword v7, off, s[20:23], 0 offset:16 ; 4-byte Folded Spill
	s_nop 0
	buffer_store_dword v8, off, s[20:23], 0 offset:20 ; 4-byte Folded Spill
	global_load_dwordx4 v[30:33], v[7:8], off
	s_nop 0
	buffer_store_dword v9, off, s[20:23], 0 offset:24 ; 4-byte Folded Spill
	s_nop 0
	buffer_store_dword v10, off, s[20:23], 0 offset:28 ; 4-byte Folded Spill
	global_load_dwordx4 v[22:25], v[9:10], off
	;; [unrolled: 5-line block ×8, first 2 shown]
	s_and_saveexec_b64 s[6:7], s[0:1]
	s_cbranch_execz .LBB27_8
; %bb.2:
	buffer_load_dword v54, off, s[20:23], 0 ; 4-byte Folded Reload
	buffer_load_dword v55, off, s[20:23], 0 offset:4 ; 4-byte Folded Reload
	buffer_load_dword v56, off, s[20:23], 0 offset:8 ; 4-byte Folded Reload
	;; [unrolled: 1-line block ×3, first 2 shown]
	s_waitcnt vmcnt(0)
	ds_write2_b64 v1, v[54:55], v[56:57] offset1:1
	ds_write2_b64 v116, v[50:51], v[52:53] offset0:2 offset1:3
	ds_write2_b64 v116, v[46:47], v[48:49] offset0:4 offset1:5
	;; [unrolled: 1-line block ×13, first 2 shown]
	ds_read2_b64 v[58:61], v1 offset1:1
	s_waitcnt lgkmcnt(0)
	v_cmp_neq_f64_e32 vcc, 0, v[58:59]
	v_cmp_neq_f64_e64 s[4:5], 0, v[60:61]
	s_or_b64 s[4:5], vcc, s[4:5]
	s_and_b64 exec, exec, s[4:5]
	s_cbranch_execz .LBB27_8
; %bb.3:
	v_cmp_ngt_f64_e64 s[4:5], |v[58:59]|, |v[60:61]|
                                        ; implicit-def: $vgpr62_vgpr63
	s_and_saveexec_b64 s[8:9], s[4:5]
	s_xor_b64 s[4:5], exec, s[8:9]
                                        ; implicit-def: $vgpr64_vgpr65
	s_cbranch_execz .LBB27_5
; %bb.4:
	v_div_scale_f64 v[62:63], s[8:9], v[60:61], v[60:61], v[58:59]
	v_rcp_f64_e32 v[64:65], v[62:63]
	v_fma_f64 v[66:67], -v[62:63], v[64:65], 1.0
	v_fma_f64 v[64:65], v[64:65], v[66:67], v[64:65]
	v_div_scale_f64 v[66:67], vcc, v[58:59], v[60:61], v[58:59]
	v_fma_f64 v[68:69], -v[62:63], v[64:65], 1.0
	v_fma_f64 v[64:65], v[64:65], v[68:69], v[64:65]
	v_mul_f64 v[68:69], v[66:67], v[64:65]
	v_fma_f64 v[62:63], -v[62:63], v[68:69], v[66:67]
	v_div_fmas_f64 v[62:63], v[62:63], v[64:65], v[68:69]
	v_div_fixup_f64 v[62:63], v[62:63], v[60:61], v[58:59]
	v_fma_f64 v[58:59], v[58:59], v[62:63], v[60:61]
	v_div_scale_f64 v[60:61], s[8:9], v[58:59], v[58:59], 1.0
	v_div_scale_f64 v[68:69], vcc, 1.0, v[58:59], 1.0
	v_rcp_f64_e32 v[64:65], v[60:61]
	v_fma_f64 v[66:67], -v[60:61], v[64:65], 1.0
	v_fma_f64 v[64:65], v[64:65], v[66:67], v[64:65]
	v_fma_f64 v[66:67], -v[60:61], v[64:65], 1.0
	v_fma_f64 v[64:65], v[64:65], v[66:67], v[64:65]
	v_mul_f64 v[66:67], v[68:69], v[64:65]
	v_fma_f64 v[60:61], -v[60:61], v[66:67], v[68:69]
	v_div_fmas_f64 v[60:61], v[60:61], v[64:65], v[66:67]
	v_div_fixup_f64 v[64:65], v[60:61], v[58:59], 1.0
                                        ; implicit-def: $vgpr58_vgpr59
	v_mul_f64 v[62:63], v[62:63], v[64:65]
	v_xor_b32_e32 v65, 0x80000000, v65
.LBB27_5:
	s_andn2_saveexec_b64 s[4:5], s[4:5]
	s_cbranch_execz .LBB27_7
; %bb.6:
	v_div_scale_f64 v[62:63], s[8:9], v[58:59], v[58:59], v[60:61]
	v_rcp_f64_e32 v[64:65], v[62:63]
	v_fma_f64 v[66:67], -v[62:63], v[64:65], 1.0
	v_fma_f64 v[64:65], v[64:65], v[66:67], v[64:65]
	v_div_scale_f64 v[66:67], vcc, v[60:61], v[58:59], v[60:61]
	v_fma_f64 v[68:69], -v[62:63], v[64:65], 1.0
	v_fma_f64 v[64:65], v[64:65], v[68:69], v[64:65]
	v_mul_f64 v[68:69], v[66:67], v[64:65]
	v_fma_f64 v[62:63], -v[62:63], v[68:69], v[66:67]
	v_div_fmas_f64 v[62:63], v[62:63], v[64:65], v[68:69]
	v_div_fixup_f64 v[64:65], v[62:63], v[58:59], v[60:61]
	v_fma_f64 v[58:59], v[60:61], v[64:65], v[58:59]
	v_div_scale_f64 v[60:61], s[8:9], v[58:59], v[58:59], 1.0
	v_div_scale_f64 v[68:69], vcc, 1.0, v[58:59], 1.0
	v_rcp_f64_e32 v[62:63], v[60:61]
	v_fma_f64 v[66:67], -v[60:61], v[62:63], 1.0
	v_fma_f64 v[62:63], v[62:63], v[66:67], v[62:63]
	v_fma_f64 v[66:67], -v[60:61], v[62:63], 1.0
	v_fma_f64 v[62:63], v[62:63], v[66:67], v[62:63]
	v_mul_f64 v[66:67], v[68:69], v[62:63]
	v_fma_f64 v[60:61], -v[60:61], v[66:67], v[68:69]
	v_div_fmas_f64 v[60:61], v[60:61], v[62:63], v[66:67]
	v_div_fixup_f64 v[62:63], v[60:61], v[58:59], 1.0
	v_mul_f64 v[64:65], v[64:65], -v[62:63]
.LBB27_7:
	s_or_b64 exec, exec, s[4:5]
	ds_write2_b64 v1, v[62:63], v[64:65] offset1:1
.LBB27_8:
	s_or_b64 exec, exec, s[6:7]
	s_waitcnt vmcnt(0) lgkmcnt(0)
	s_barrier
	ds_read2_b64 v[58:61], v1 offset1:1
	s_waitcnt lgkmcnt(0)
	buffer_store_dword v58, off, s[20:23], 0 offset:88 ; 4-byte Folded Spill
	s_nop 0
	buffer_store_dword v59, off, s[20:23], 0 offset:92 ; 4-byte Folded Spill
	buffer_store_dword v60, off, s[20:23], 0 offset:96 ; 4-byte Folded Spill
	;; [unrolled: 1-line block ×3, first 2 shown]
	s_and_saveexec_b64 s[4:5], s[2:3]
	s_cbranch_execz .LBB27_10
; %bb.9:
	buffer_load_dword v58, off, s[20:23], 0 offset:88 ; 4-byte Folded Reload
	buffer_load_dword v59, off, s[20:23], 0 offset:92 ; 4-byte Folded Reload
	buffer_load_dword v60, off, s[20:23], 0 offset:96 ; 4-byte Folded Reload
	buffer_load_dword v61, off, s[20:23], 0 offset:100 ; 4-byte Folded Reload
	buffer_load_dword v54, off, s[20:23], 0 ; 4-byte Folded Reload
	buffer_load_dword v55, off, s[20:23], 0 offset:4 ; 4-byte Folded Reload
	buffer_load_dword v56, off, s[20:23], 0 offset:8 ; 4-byte Folded Reload
	;; [unrolled: 1-line block ×3, first 2 shown]
	ds_read2_b64 v[64:67], v116 offset0:2 offset1:3
	s_waitcnt vmcnt(0)
	v_mul_f64 v[62:63], v[58:59], v[56:57]
	v_mul_f64 v[56:57], v[60:61], v[56:57]
	v_fma_f64 v[62:63], v[60:61], v[54:55], v[62:63]
	v_fma_f64 v[54:55], v[58:59], v[54:55], -v[56:57]
	s_waitcnt lgkmcnt(0)
	v_mul_f64 v[56:57], v[66:67], v[62:63]
	v_fma_f64 v[56:57], v[64:65], v[54:55], -v[56:57]
	v_mul_f64 v[64:65], v[64:65], v[62:63]
	v_add_f64 v[50:51], v[50:51], -v[56:57]
	v_fma_f64 v[64:65], v[66:67], v[54:55], v[64:65]
	v_add_f64 v[52:53], v[52:53], -v[64:65]
	ds_read2_b64 v[64:67], v116 offset0:4 offset1:5
	s_waitcnt lgkmcnt(0)
	v_mul_f64 v[56:57], v[66:67], v[62:63]
	v_fma_f64 v[56:57], v[64:65], v[54:55], -v[56:57]
	v_mul_f64 v[64:65], v[64:65], v[62:63]
	v_add_f64 v[46:47], v[46:47], -v[56:57]
	v_fma_f64 v[64:65], v[66:67], v[54:55], v[64:65]
	v_add_f64 v[48:49], v[48:49], -v[64:65]
	ds_read2_b64 v[64:67], v116 offset0:6 offset1:7
	;; [unrolled: 8-line block ×12, first 2 shown]
	s_waitcnt lgkmcnt(0)
	v_mul_f64 v[56:57], v[66:67], v[62:63]
	v_fma_f64 v[56:57], v[64:65], v[54:55], -v[56:57]
	v_mul_f64 v[64:65], v[64:65], v[62:63]
	v_add_f64 v[26:27], v[26:27], -v[56:57]
	v_fma_f64 v[64:65], v[66:67], v[54:55], v[64:65]
	v_mov_b32_e32 v56, v62
	v_mov_b32_e32 v57, v63
	buffer_store_dword v54, off, s[20:23], 0 ; 4-byte Folded Spill
	s_nop 0
	buffer_store_dword v55, off, s[20:23], 0 offset:4 ; 4-byte Folded Spill
	buffer_store_dword v56, off, s[20:23], 0 offset:8 ; 4-byte Folded Spill
	;; [unrolled: 1-line block ×3, first 2 shown]
	v_add_f64 v[28:29], v[28:29], -v[64:65]
.LBB27_10:
	s_or_b64 exec, exec, s[4:5]
	v_cmp_eq_u32_e32 vcc, 1, v0
	s_waitcnt vmcnt(0)
	s_barrier
	s_and_saveexec_b64 s[4:5], vcc
	s_cbranch_execz .LBB27_17
; %bb.11:
	ds_write2_b64 v1, v[50:51], v[52:53] offset1:1
	ds_write2_b64 v116, v[46:47], v[48:49] offset0:4 offset1:5
	ds_write2_b64 v116, v[42:43], v[44:45] offset0:6 offset1:7
	;; [unrolled: 1-line block ×12, first 2 shown]
	ds_read2_b64 v[62:65], v1 offset1:1
	s_waitcnt lgkmcnt(0)
	v_cmp_neq_f64_e32 vcc, 0, v[62:63]
	v_cmp_neq_f64_e64 s[2:3], 0, v[64:65]
	s_or_b64 s[2:3], vcc, s[2:3]
	s_and_b64 exec, exec, s[2:3]
	s_cbranch_execz .LBB27_17
; %bb.12:
	v_cmp_ngt_f64_e64 s[2:3], |v[62:63]|, |v[64:65]|
                                        ; implicit-def: $vgpr66_vgpr67
	s_and_saveexec_b64 s[6:7], s[2:3]
	s_xor_b64 s[2:3], exec, s[6:7]
                                        ; implicit-def: $vgpr68_vgpr69
	s_cbranch_execz .LBB27_14
; %bb.13:
	v_div_scale_f64 v[66:67], s[6:7], v[64:65], v[64:65], v[62:63]
	v_rcp_f64_e32 v[68:69], v[66:67]
	v_fma_f64 v[70:71], -v[66:67], v[68:69], 1.0
	v_fma_f64 v[68:69], v[68:69], v[70:71], v[68:69]
	v_div_scale_f64 v[70:71], vcc, v[62:63], v[64:65], v[62:63]
	v_fma_f64 v[72:73], -v[66:67], v[68:69], 1.0
	v_fma_f64 v[68:69], v[68:69], v[72:73], v[68:69]
	v_mul_f64 v[72:73], v[70:71], v[68:69]
	v_fma_f64 v[66:67], -v[66:67], v[72:73], v[70:71]
	v_div_fmas_f64 v[66:67], v[66:67], v[68:69], v[72:73]
	v_div_fixup_f64 v[66:67], v[66:67], v[64:65], v[62:63]
	v_fma_f64 v[62:63], v[62:63], v[66:67], v[64:65]
	v_div_scale_f64 v[64:65], s[6:7], v[62:63], v[62:63], 1.0
	v_div_scale_f64 v[72:73], vcc, 1.0, v[62:63], 1.0
	v_rcp_f64_e32 v[68:69], v[64:65]
	v_fma_f64 v[70:71], -v[64:65], v[68:69], 1.0
	v_fma_f64 v[68:69], v[68:69], v[70:71], v[68:69]
	v_fma_f64 v[70:71], -v[64:65], v[68:69], 1.0
	v_fma_f64 v[68:69], v[68:69], v[70:71], v[68:69]
	v_mul_f64 v[70:71], v[72:73], v[68:69]
	v_fma_f64 v[64:65], -v[64:65], v[70:71], v[72:73]
	v_div_fmas_f64 v[64:65], v[64:65], v[68:69], v[70:71]
	v_div_fixup_f64 v[68:69], v[64:65], v[62:63], 1.0
                                        ; implicit-def: $vgpr62_vgpr63
	v_mul_f64 v[66:67], v[66:67], v[68:69]
	v_xor_b32_e32 v69, 0x80000000, v69
.LBB27_14:
	s_andn2_saveexec_b64 s[2:3], s[2:3]
	s_cbranch_execz .LBB27_16
; %bb.15:
	v_div_scale_f64 v[66:67], s[6:7], v[62:63], v[62:63], v[64:65]
	v_rcp_f64_e32 v[68:69], v[66:67]
	v_fma_f64 v[70:71], -v[66:67], v[68:69], 1.0
	v_fma_f64 v[68:69], v[68:69], v[70:71], v[68:69]
	v_div_scale_f64 v[70:71], vcc, v[64:65], v[62:63], v[64:65]
	v_fma_f64 v[72:73], -v[66:67], v[68:69], 1.0
	v_fma_f64 v[68:69], v[68:69], v[72:73], v[68:69]
	v_mul_f64 v[72:73], v[70:71], v[68:69]
	v_fma_f64 v[66:67], -v[66:67], v[72:73], v[70:71]
	v_div_fmas_f64 v[66:67], v[66:67], v[68:69], v[72:73]
	v_div_fixup_f64 v[68:69], v[66:67], v[62:63], v[64:65]
	v_fma_f64 v[62:63], v[64:65], v[68:69], v[62:63]
	v_div_scale_f64 v[64:65], s[6:7], v[62:63], v[62:63], 1.0
	v_div_scale_f64 v[72:73], vcc, 1.0, v[62:63], 1.0
	v_rcp_f64_e32 v[66:67], v[64:65]
	v_fma_f64 v[70:71], -v[64:65], v[66:67], 1.0
	v_fma_f64 v[66:67], v[66:67], v[70:71], v[66:67]
	v_fma_f64 v[70:71], -v[64:65], v[66:67], 1.0
	v_fma_f64 v[66:67], v[66:67], v[70:71], v[66:67]
	v_mul_f64 v[70:71], v[72:73], v[66:67]
	v_fma_f64 v[64:65], -v[64:65], v[70:71], v[72:73]
	v_div_fmas_f64 v[64:65], v[64:65], v[66:67], v[70:71]
	v_div_fixup_f64 v[66:67], v[64:65], v[62:63], 1.0
	v_mul_f64 v[68:69], v[68:69], -v[66:67]
.LBB27_16:
	s_or_b64 exec, exec, s[2:3]
	ds_write2_b64 v1, v[66:67], v[68:69] offset1:1
.LBB27_17:
	s_or_b64 exec, exec, s[4:5]
	s_waitcnt lgkmcnt(0)
	s_barrier
	ds_read2_b64 v[62:65], v1 offset1:1
	v_cmp_lt_u32_e32 vcc, 1, v0
	s_and_saveexec_b64 s[2:3], vcc
	s_cbranch_execz .LBB27_19
; %bb.18:
	s_waitcnt lgkmcnt(0)
	v_mul_f64 v[66:67], v[62:63], v[52:53]
	v_mul_f64 v[52:53], v[64:65], v[52:53]
	ds_read2_b64 v[68:71], v116 offset0:4 offset1:5
	v_fma_f64 v[66:67], v[64:65], v[50:51], v[66:67]
	v_fma_f64 v[50:51], v[62:63], v[50:51], -v[52:53]
	s_waitcnt lgkmcnt(0)
	v_mul_f64 v[52:53], v[70:71], v[66:67]
	v_fma_f64 v[52:53], v[68:69], v[50:51], -v[52:53]
	v_mul_f64 v[68:69], v[68:69], v[66:67]
	v_add_f64 v[46:47], v[46:47], -v[52:53]
	v_fma_f64 v[68:69], v[70:71], v[50:51], v[68:69]
	v_add_f64 v[48:49], v[48:49], -v[68:69]
	ds_read2_b64 v[68:71], v116 offset0:6 offset1:7
	s_waitcnt lgkmcnt(0)
	v_mul_f64 v[52:53], v[70:71], v[66:67]
	v_fma_f64 v[52:53], v[68:69], v[50:51], -v[52:53]
	v_mul_f64 v[68:69], v[68:69], v[66:67]
	v_add_f64 v[42:43], v[42:43], -v[52:53]
	v_fma_f64 v[68:69], v[70:71], v[50:51], v[68:69]
	v_add_f64 v[44:45], v[44:45], -v[68:69]
	ds_read2_b64 v[68:71], v116 offset0:8 offset1:9
	s_waitcnt lgkmcnt(0)
	v_mul_f64 v[52:53], v[70:71], v[66:67]
	v_fma_f64 v[52:53], v[68:69], v[50:51], -v[52:53]
	v_mul_f64 v[68:69], v[68:69], v[66:67]
	v_add_f64 v[38:39], v[38:39], -v[52:53]
	v_fma_f64 v[68:69], v[70:71], v[50:51], v[68:69]
	v_add_f64 v[40:41], v[40:41], -v[68:69]
	ds_read2_b64 v[68:71], v116 offset0:10 offset1:11
	s_waitcnt lgkmcnt(0)
	v_mul_f64 v[52:53], v[70:71], v[66:67]
	v_fma_f64 v[52:53], v[68:69], v[50:51], -v[52:53]
	v_mul_f64 v[68:69], v[68:69], v[66:67]
	v_add_f64 v[34:35], v[34:35], -v[52:53]
	v_fma_f64 v[68:69], v[70:71], v[50:51], v[68:69]
	v_add_f64 v[36:37], v[36:37], -v[68:69]
	ds_read2_b64 v[68:71], v116 offset0:12 offset1:13
	s_waitcnt lgkmcnt(0)
	v_mul_f64 v[52:53], v[70:71], v[66:67]
	v_fma_f64 v[52:53], v[68:69], v[50:51], -v[52:53]
	v_mul_f64 v[68:69], v[68:69], v[66:67]
	v_add_f64 v[30:31], v[30:31], -v[52:53]
	v_fma_f64 v[68:69], v[70:71], v[50:51], v[68:69]
	v_add_f64 v[32:33], v[32:33], -v[68:69]
	ds_read2_b64 v[68:71], v116 offset0:14 offset1:15
	s_waitcnt lgkmcnt(0)
	v_mul_f64 v[52:53], v[70:71], v[66:67]
	v_fma_f64 v[52:53], v[68:69], v[50:51], -v[52:53]
	v_mul_f64 v[68:69], v[68:69], v[66:67]
	v_add_f64 v[22:23], v[22:23], -v[52:53]
	v_fma_f64 v[68:69], v[70:71], v[50:51], v[68:69]
	v_add_f64 v[24:25], v[24:25], -v[68:69]
	ds_read2_b64 v[68:71], v116 offset0:16 offset1:17
	s_waitcnt lgkmcnt(0)
	v_mul_f64 v[52:53], v[70:71], v[66:67]
	v_fma_f64 v[52:53], v[68:69], v[50:51], -v[52:53]
	v_mul_f64 v[68:69], v[68:69], v[66:67]
	v_add_f64 v[18:19], v[18:19], -v[52:53]
	v_fma_f64 v[68:69], v[70:71], v[50:51], v[68:69]
	v_add_f64 v[20:21], v[20:21], -v[68:69]
	ds_read2_b64 v[68:71], v116 offset0:18 offset1:19
	s_waitcnt lgkmcnt(0)
	v_mul_f64 v[52:53], v[70:71], v[66:67]
	v_fma_f64 v[52:53], v[68:69], v[50:51], -v[52:53]
	v_mul_f64 v[68:69], v[68:69], v[66:67]
	v_add_f64 v[14:15], v[14:15], -v[52:53]
	v_fma_f64 v[68:69], v[70:71], v[50:51], v[68:69]
	v_add_f64 v[16:17], v[16:17], -v[68:69]
	ds_read2_b64 v[68:71], v116 offset0:20 offset1:21
	s_waitcnt lgkmcnt(0)
	v_mul_f64 v[52:53], v[70:71], v[66:67]
	v_fma_f64 v[52:53], v[68:69], v[50:51], -v[52:53]
	v_mul_f64 v[68:69], v[68:69], v[66:67]
	v_add_f64 v[10:11], v[10:11], -v[52:53]
	v_fma_f64 v[68:69], v[70:71], v[50:51], v[68:69]
	v_add_f64 v[12:13], v[12:13], -v[68:69]
	ds_read2_b64 v[68:71], v116 offset0:22 offset1:23
	s_waitcnt lgkmcnt(0)
	v_mul_f64 v[52:53], v[70:71], v[66:67]
	v_fma_f64 v[52:53], v[68:69], v[50:51], -v[52:53]
	v_mul_f64 v[68:69], v[68:69], v[66:67]
	v_add_f64 v[6:7], v[6:7], -v[52:53]
	v_fma_f64 v[68:69], v[70:71], v[50:51], v[68:69]
	v_add_f64 v[8:9], v[8:9], -v[68:69]
	ds_read2_b64 v[68:71], v116 offset0:24 offset1:25
	s_waitcnt lgkmcnt(0)
	v_mul_f64 v[52:53], v[70:71], v[66:67]
	v_fma_f64 v[52:53], v[68:69], v[50:51], -v[52:53]
	v_mul_f64 v[68:69], v[68:69], v[66:67]
	v_add_f64 v[2:3], v[2:3], -v[52:53]
	v_fma_f64 v[68:69], v[70:71], v[50:51], v[68:69]
	v_add_f64 v[4:5], v[4:5], -v[68:69]
	ds_read2_b64 v[68:71], v116 offset0:26 offset1:27
	s_waitcnt lgkmcnt(0)
	v_mul_f64 v[52:53], v[70:71], v[66:67]
	v_fma_f64 v[52:53], v[68:69], v[50:51], -v[52:53]
	v_mul_f64 v[68:69], v[68:69], v[66:67]
	v_add_f64 v[26:27], v[26:27], -v[52:53]
	v_fma_f64 v[68:69], v[70:71], v[50:51], v[68:69]
	v_mov_b32_e32 v52, v66
	v_mov_b32_e32 v53, v67
	v_add_f64 v[28:29], v[28:29], -v[68:69]
.LBB27_19:
	s_or_b64 exec, exec, s[2:3]
	v_cmp_eq_u32_e32 vcc, 2, v0
	s_waitcnt lgkmcnt(0)
	s_barrier
	s_and_saveexec_b64 s[4:5], vcc
	s_cbranch_execz .LBB27_26
; %bb.20:
	ds_write2_b64 v1, v[46:47], v[48:49] offset1:1
	ds_write2_b64 v116, v[42:43], v[44:45] offset0:6 offset1:7
	ds_write2_b64 v116, v[38:39], v[40:41] offset0:8 offset1:9
	;; [unrolled: 1-line block ×11, first 2 shown]
	ds_read2_b64 v[66:69], v1 offset1:1
	s_waitcnt lgkmcnt(0)
	v_cmp_neq_f64_e32 vcc, 0, v[66:67]
	v_cmp_neq_f64_e64 s[2:3], 0, v[68:69]
	s_or_b64 s[2:3], vcc, s[2:3]
	s_and_b64 exec, exec, s[2:3]
	s_cbranch_execz .LBB27_26
; %bb.21:
	v_cmp_ngt_f64_e64 s[2:3], |v[66:67]|, |v[68:69]|
                                        ; implicit-def: $vgpr70_vgpr71
	s_and_saveexec_b64 s[6:7], s[2:3]
	s_xor_b64 s[2:3], exec, s[6:7]
                                        ; implicit-def: $vgpr72_vgpr73
	s_cbranch_execz .LBB27_23
; %bb.22:
	v_div_scale_f64 v[70:71], s[6:7], v[68:69], v[68:69], v[66:67]
	v_rcp_f64_e32 v[72:73], v[70:71]
	v_fma_f64 v[74:75], -v[70:71], v[72:73], 1.0
	v_fma_f64 v[72:73], v[72:73], v[74:75], v[72:73]
	v_div_scale_f64 v[74:75], vcc, v[66:67], v[68:69], v[66:67]
	v_fma_f64 v[76:77], -v[70:71], v[72:73], 1.0
	v_fma_f64 v[72:73], v[72:73], v[76:77], v[72:73]
	v_mul_f64 v[76:77], v[74:75], v[72:73]
	v_fma_f64 v[70:71], -v[70:71], v[76:77], v[74:75]
	v_div_fmas_f64 v[70:71], v[70:71], v[72:73], v[76:77]
	v_div_fixup_f64 v[70:71], v[70:71], v[68:69], v[66:67]
	v_fma_f64 v[66:67], v[66:67], v[70:71], v[68:69]
	v_div_scale_f64 v[68:69], s[6:7], v[66:67], v[66:67], 1.0
	v_div_scale_f64 v[76:77], vcc, 1.0, v[66:67], 1.0
	v_rcp_f64_e32 v[72:73], v[68:69]
	v_fma_f64 v[74:75], -v[68:69], v[72:73], 1.0
	v_fma_f64 v[72:73], v[72:73], v[74:75], v[72:73]
	v_fma_f64 v[74:75], -v[68:69], v[72:73], 1.0
	v_fma_f64 v[72:73], v[72:73], v[74:75], v[72:73]
	v_mul_f64 v[74:75], v[76:77], v[72:73]
	v_fma_f64 v[68:69], -v[68:69], v[74:75], v[76:77]
	v_div_fmas_f64 v[68:69], v[68:69], v[72:73], v[74:75]
	v_div_fixup_f64 v[72:73], v[68:69], v[66:67], 1.0
                                        ; implicit-def: $vgpr66_vgpr67
	v_mul_f64 v[70:71], v[70:71], v[72:73]
	v_xor_b32_e32 v73, 0x80000000, v73
.LBB27_23:
	s_andn2_saveexec_b64 s[2:3], s[2:3]
	s_cbranch_execz .LBB27_25
; %bb.24:
	v_div_scale_f64 v[70:71], s[6:7], v[66:67], v[66:67], v[68:69]
	v_rcp_f64_e32 v[72:73], v[70:71]
	v_fma_f64 v[74:75], -v[70:71], v[72:73], 1.0
	v_fma_f64 v[72:73], v[72:73], v[74:75], v[72:73]
	v_div_scale_f64 v[74:75], vcc, v[68:69], v[66:67], v[68:69]
	v_fma_f64 v[76:77], -v[70:71], v[72:73], 1.0
	v_fma_f64 v[72:73], v[72:73], v[76:77], v[72:73]
	v_mul_f64 v[76:77], v[74:75], v[72:73]
	v_fma_f64 v[70:71], -v[70:71], v[76:77], v[74:75]
	v_div_fmas_f64 v[70:71], v[70:71], v[72:73], v[76:77]
	v_div_fixup_f64 v[72:73], v[70:71], v[66:67], v[68:69]
	v_fma_f64 v[66:67], v[68:69], v[72:73], v[66:67]
	v_div_scale_f64 v[68:69], s[6:7], v[66:67], v[66:67], 1.0
	v_div_scale_f64 v[76:77], vcc, 1.0, v[66:67], 1.0
	v_rcp_f64_e32 v[70:71], v[68:69]
	v_fma_f64 v[74:75], -v[68:69], v[70:71], 1.0
	v_fma_f64 v[70:71], v[70:71], v[74:75], v[70:71]
	v_fma_f64 v[74:75], -v[68:69], v[70:71], 1.0
	v_fma_f64 v[70:71], v[70:71], v[74:75], v[70:71]
	v_mul_f64 v[74:75], v[76:77], v[70:71]
	v_fma_f64 v[68:69], -v[68:69], v[74:75], v[76:77]
	v_div_fmas_f64 v[68:69], v[68:69], v[70:71], v[74:75]
	v_div_fixup_f64 v[70:71], v[68:69], v[66:67], 1.0
	v_mul_f64 v[72:73], v[72:73], -v[70:71]
.LBB27_25:
	s_or_b64 exec, exec, s[2:3]
	ds_write2_b64 v1, v[70:71], v[72:73] offset1:1
.LBB27_26:
	s_or_b64 exec, exec, s[4:5]
	s_waitcnt lgkmcnt(0)
	s_barrier
	ds_read2_b64 v[66:69], v1 offset1:1
	v_cmp_lt_u32_e32 vcc, 2, v0
	s_and_saveexec_b64 s[2:3], vcc
	s_cbranch_execz .LBB27_28
; %bb.27:
	s_waitcnt lgkmcnt(0)
	v_mul_f64 v[70:71], v[66:67], v[48:49]
	v_mul_f64 v[48:49], v[68:69], v[48:49]
	ds_read2_b64 v[72:75], v116 offset0:6 offset1:7
	v_fma_f64 v[70:71], v[68:69], v[46:47], v[70:71]
	v_fma_f64 v[46:47], v[66:67], v[46:47], -v[48:49]
	s_waitcnt lgkmcnt(0)
	v_mul_f64 v[48:49], v[74:75], v[70:71]
	v_fma_f64 v[48:49], v[72:73], v[46:47], -v[48:49]
	v_mul_f64 v[72:73], v[72:73], v[70:71]
	v_add_f64 v[42:43], v[42:43], -v[48:49]
	v_fma_f64 v[72:73], v[74:75], v[46:47], v[72:73]
	v_add_f64 v[44:45], v[44:45], -v[72:73]
	ds_read2_b64 v[72:75], v116 offset0:8 offset1:9
	s_waitcnt lgkmcnt(0)
	v_mul_f64 v[48:49], v[74:75], v[70:71]
	v_fma_f64 v[48:49], v[72:73], v[46:47], -v[48:49]
	v_mul_f64 v[72:73], v[72:73], v[70:71]
	v_add_f64 v[38:39], v[38:39], -v[48:49]
	v_fma_f64 v[72:73], v[74:75], v[46:47], v[72:73]
	v_add_f64 v[40:41], v[40:41], -v[72:73]
	ds_read2_b64 v[72:75], v116 offset0:10 offset1:11
	s_waitcnt lgkmcnt(0)
	v_mul_f64 v[48:49], v[74:75], v[70:71]
	v_fma_f64 v[48:49], v[72:73], v[46:47], -v[48:49]
	v_mul_f64 v[72:73], v[72:73], v[70:71]
	v_add_f64 v[34:35], v[34:35], -v[48:49]
	v_fma_f64 v[72:73], v[74:75], v[46:47], v[72:73]
	v_add_f64 v[36:37], v[36:37], -v[72:73]
	ds_read2_b64 v[72:75], v116 offset0:12 offset1:13
	s_waitcnt lgkmcnt(0)
	v_mul_f64 v[48:49], v[74:75], v[70:71]
	v_fma_f64 v[48:49], v[72:73], v[46:47], -v[48:49]
	v_mul_f64 v[72:73], v[72:73], v[70:71]
	v_add_f64 v[30:31], v[30:31], -v[48:49]
	v_fma_f64 v[72:73], v[74:75], v[46:47], v[72:73]
	v_add_f64 v[32:33], v[32:33], -v[72:73]
	ds_read2_b64 v[72:75], v116 offset0:14 offset1:15
	s_waitcnt lgkmcnt(0)
	v_mul_f64 v[48:49], v[74:75], v[70:71]
	v_fma_f64 v[48:49], v[72:73], v[46:47], -v[48:49]
	v_mul_f64 v[72:73], v[72:73], v[70:71]
	v_add_f64 v[22:23], v[22:23], -v[48:49]
	v_fma_f64 v[72:73], v[74:75], v[46:47], v[72:73]
	v_add_f64 v[24:25], v[24:25], -v[72:73]
	ds_read2_b64 v[72:75], v116 offset0:16 offset1:17
	s_waitcnt lgkmcnt(0)
	v_mul_f64 v[48:49], v[74:75], v[70:71]
	v_fma_f64 v[48:49], v[72:73], v[46:47], -v[48:49]
	v_mul_f64 v[72:73], v[72:73], v[70:71]
	v_add_f64 v[18:19], v[18:19], -v[48:49]
	v_fma_f64 v[72:73], v[74:75], v[46:47], v[72:73]
	v_add_f64 v[20:21], v[20:21], -v[72:73]
	ds_read2_b64 v[72:75], v116 offset0:18 offset1:19
	s_waitcnt lgkmcnt(0)
	v_mul_f64 v[48:49], v[74:75], v[70:71]
	v_fma_f64 v[48:49], v[72:73], v[46:47], -v[48:49]
	v_mul_f64 v[72:73], v[72:73], v[70:71]
	v_add_f64 v[14:15], v[14:15], -v[48:49]
	v_fma_f64 v[72:73], v[74:75], v[46:47], v[72:73]
	v_add_f64 v[16:17], v[16:17], -v[72:73]
	ds_read2_b64 v[72:75], v116 offset0:20 offset1:21
	s_waitcnt lgkmcnt(0)
	v_mul_f64 v[48:49], v[74:75], v[70:71]
	v_fma_f64 v[48:49], v[72:73], v[46:47], -v[48:49]
	v_mul_f64 v[72:73], v[72:73], v[70:71]
	v_add_f64 v[10:11], v[10:11], -v[48:49]
	v_fma_f64 v[72:73], v[74:75], v[46:47], v[72:73]
	v_add_f64 v[12:13], v[12:13], -v[72:73]
	ds_read2_b64 v[72:75], v116 offset0:22 offset1:23
	s_waitcnt lgkmcnt(0)
	v_mul_f64 v[48:49], v[74:75], v[70:71]
	v_fma_f64 v[48:49], v[72:73], v[46:47], -v[48:49]
	v_mul_f64 v[72:73], v[72:73], v[70:71]
	v_add_f64 v[6:7], v[6:7], -v[48:49]
	v_fma_f64 v[72:73], v[74:75], v[46:47], v[72:73]
	v_add_f64 v[8:9], v[8:9], -v[72:73]
	ds_read2_b64 v[72:75], v116 offset0:24 offset1:25
	s_waitcnt lgkmcnt(0)
	v_mul_f64 v[48:49], v[74:75], v[70:71]
	v_fma_f64 v[48:49], v[72:73], v[46:47], -v[48:49]
	v_mul_f64 v[72:73], v[72:73], v[70:71]
	v_add_f64 v[2:3], v[2:3], -v[48:49]
	v_fma_f64 v[72:73], v[74:75], v[46:47], v[72:73]
	v_add_f64 v[4:5], v[4:5], -v[72:73]
	ds_read2_b64 v[72:75], v116 offset0:26 offset1:27
	s_waitcnt lgkmcnt(0)
	v_mul_f64 v[48:49], v[74:75], v[70:71]
	v_fma_f64 v[48:49], v[72:73], v[46:47], -v[48:49]
	v_mul_f64 v[72:73], v[72:73], v[70:71]
	v_add_f64 v[26:27], v[26:27], -v[48:49]
	v_fma_f64 v[72:73], v[74:75], v[46:47], v[72:73]
	v_mov_b32_e32 v48, v70
	v_mov_b32_e32 v49, v71
	v_add_f64 v[28:29], v[28:29], -v[72:73]
.LBB27_28:
	s_or_b64 exec, exec, s[2:3]
	v_cmp_eq_u32_e32 vcc, 3, v0
	s_waitcnt lgkmcnt(0)
	s_barrier
	s_and_saveexec_b64 s[4:5], vcc
	s_cbranch_execz .LBB27_35
; %bb.29:
	ds_write2_b64 v1, v[42:43], v[44:45] offset1:1
	ds_write2_b64 v116, v[38:39], v[40:41] offset0:8 offset1:9
	ds_write2_b64 v116, v[34:35], v[36:37] offset0:10 offset1:11
	;; [unrolled: 1-line block ×10, first 2 shown]
	ds_read2_b64 v[70:73], v1 offset1:1
	s_waitcnt lgkmcnt(0)
	v_cmp_neq_f64_e32 vcc, 0, v[70:71]
	v_cmp_neq_f64_e64 s[2:3], 0, v[72:73]
	s_or_b64 s[2:3], vcc, s[2:3]
	s_and_b64 exec, exec, s[2:3]
	s_cbranch_execz .LBB27_35
; %bb.30:
	v_cmp_ngt_f64_e64 s[2:3], |v[70:71]|, |v[72:73]|
                                        ; implicit-def: $vgpr74_vgpr75
	s_and_saveexec_b64 s[6:7], s[2:3]
	s_xor_b64 s[2:3], exec, s[6:7]
                                        ; implicit-def: $vgpr76_vgpr77
	s_cbranch_execz .LBB27_32
; %bb.31:
	v_div_scale_f64 v[74:75], s[6:7], v[72:73], v[72:73], v[70:71]
	v_rcp_f64_e32 v[76:77], v[74:75]
	v_fma_f64 v[78:79], -v[74:75], v[76:77], 1.0
	v_fma_f64 v[76:77], v[76:77], v[78:79], v[76:77]
	v_div_scale_f64 v[78:79], vcc, v[70:71], v[72:73], v[70:71]
	v_fma_f64 v[80:81], -v[74:75], v[76:77], 1.0
	v_fma_f64 v[76:77], v[76:77], v[80:81], v[76:77]
	v_mul_f64 v[80:81], v[78:79], v[76:77]
	v_fma_f64 v[74:75], -v[74:75], v[80:81], v[78:79]
	v_div_fmas_f64 v[74:75], v[74:75], v[76:77], v[80:81]
	v_div_fixup_f64 v[74:75], v[74:75], v[72:73], v[70:71]
	v_fma_f64 v[70:71], v[70:71], v[74:75], v[72:73]
	v_div_scale_f64 v[72:73], s[6:7], v[70:71], v[70:71], 1.0
	v_div_scale_f64 v[80:81], vcc, 1.0, v[70:71], 1.0
	v_rcp_f64_e32 v[76:77], v[72:73]
	v_fma_f64 v[78:79], -v[72:73], v[76:77], 1.0
	v_fma_f64 v[76:77], v[76:77], v[78:79], v[76:77]
	v_fma_f64 v[78:79], -v[72:73], v[76:77], 1.0
	v_fma_f64 v[76:77], v[76:77], v[78:79], v[76:77]
	v_mul_f64 v[78:79], v[80:81], v[76:77]
	v_fma_f64 v[72:73], -v[72:73], v[78:79], v[80:81]
	v_div_fmas_f64 v[72:73], v[72:73], v[76:77], v[78:79]
	v_div_fixup_f64 v[76:77], v[72:73], v[70:71], 1.0
                                        ; implicit-def: $vgpr70_vgpr71
	v_mul_f64 v[74:75], v[74:75], v[76:77]
	v_xor_b32_e32 v77, 0x80000000, v77
.LBB27_32:
	s_andn2_saveexec_b64 s[2:3], s[2:3]
	s_cbranch_execz .LBB27_34
; %bb.33:
	v_div_scale_f64 v[74:75], s[6:7], v[70:71], v[70:71], v[72:73]
	v_rcp_f64_e32 v[76:77], v[74:75]
	v_fma_f64 v[78:79], -v[74:75], v[76:77], 1.0
	v_fma_f64 v[76:77], v[76:77], v[78:79], v[76:77]
	v_div_scale_f64 v[78:79], vcc, v[72:73], v[70:71], v[72:73]
	v_fma_f64 v[80:81], -v[74:75], v[76:77], 1.0
	v_fma_f64 v[76:77], v[76:77], v[80:81], v[76:77]
	v_mul_f64 v[80:81], v[78:79], v[76:77]
	v_fma_f64 v[74:75], -v[74:75], v[80:81], v[78:79]
	v_div_fmas_f64 v[74:75], v[74:75], v[76:77], v[80:81]
	v_div_fixup_f64 v[76:77], v[74:75], v[70:71], v[72:73]
	v_fma_f64 v[70:71], v[72:73], v[76:77], v[70:71]
	v_div_scale_f64 v[72:73], s[6:7], v[70:71], v[70:71], 1.0
	v_div_scale_f64 v[80:81], vcc, 1.0, v[70:71], 1.0
	v_rcp_f64_e32 v[74:75], v[72:73]
	v_fma_f64 v[78:79], -v[72:73], v[74:75], 1.0
	v_fma_f64 v[74:75], v[74:75], v[78:79], v[74:75]
	v_fma_f64 v[78:79], -v[72:73], v[74:75], 1.0
	v_fma_f64 v[74:75], v[74:75], v[78:79], v[74:75]
	v_mul_f64 v[78:79], v[80:81], v[74:75]
	v_fma_f64 v[72:73], -v[72:73], v[78:79], v[80:81]
	v_div_fmas_f64 v[72:73], v[72:73], v[74:75], v[78:79]
	v_div_fixup_f64 v[74:75], v[72:73], v[70:71], 1.0
	v_mul_f64 v[76:77], v[76:77], -v[74:75]
.LBB27_34:
	s_or_b64 exec, exec, s[2:3]
	ds_write2_b64 v1, v[74:75], v[76:77] offset1:1
.LBB27_35:
	s_or_b64 exec, exec, s[4:5]
	s_waitcnt lgkmcnt(0)
	s_barrier
	ds_read2_b64 v[70:73], v1 offset1:1
	v_cmp_lt_u32_e32 vcc, 3, v0
	s_and_saveexec_b64 s[2:3], vcc
	s_cbranch_execz .LBB27_37
; %bb.36:
	s_waitcnt lgkmcnt(0)
	v_mul_f64 v[74:75], v[70:71], v[44:45]
	v_mul_f64 v[44:45], v[72:73], v[44:45]
	ds_read2_b64 v[76:79], v116 offset0:8 offset1:9
	v_fma_f64 v[74:75], v[72:73], v[42:43], v[74:75]
	v_fma_f64 v[42:43], v[70:71], v[42:43], -v[44:45]
	s_waitcnt lgkmcnt(0)
	v_mul_f64 v[44:45], v[78:79], v[74:75]
	v_fma_f64 v[44:45], v[76:77], v[42:43], -v[44:45]
	v_mul_f64 v[76:77], v[76:77], v[74:75]
	v_add_f64 v[38:39], v[38:39], -v[44:45]
	v_fma_f64 v[76:77], v[78:79], v[42:43], v[76:77]
	v_add_f64 v[40:41], v[40:41], -v[76:77]
	ds_read2_b64 v[76:79], v116 offset0:10 offset1:11
	s_waitcnt lgkmcnt(0)
	v_mul_f64 v[44:45], v[78:79], v[74:75]
	v_fma_f64 v[44:45], v[76:77], v[42:43], -v[44:45]
	v_mul_f64 v[76:77], v[76:77], v[74:75]
	v_add_f64 v[34:35], v[34:35], -v[44:45]
	v_fma_f64 v[76:77], v[78:79], v[42:43], v[76:77]
	v_add_f64 v[36:37], v[36:37], -v[76:77]
	ds_read2_b64 v[76:79], v116 offset0:12 offset1:13
	;; [unrolled: 8-line block ×9, first 2 shown]
	s_waitcnt lgkmcnt(0)
	v_mul_f64 v[44:45], v[78:79], v[74:75]
	v_fma_f64 v[44:45], v[76:77], v[42:43], -v[44:45]
	v_mul_f64 v[76:77], v[76:77], v[74:75]
	v_add_f64 v[26:27], v[26:27], -v[44:45]
	v_fma_f64 v[76:77], v[78:79], v[42:43], v[76:77]
	v_mov_b32_e32 v44, v74
	v_mov_b32_e32 v45, v75
	v_add_f64 v[28:29], v[28:29], -v[76:77]
.LBB27_37:
	s_or_b64 exec, exec, s[2:3]
	v_cmp_eq_u32_e32 vcc, 4, v0
	s_waitcnt lgkmcnt(0)
	s_barrier
	s_and_saveexec_b64 s[4:5], vcc
	s_cbranch_execz .LBB27_44
; %bb.38:
	ds_write2_b64 v1, v[38:39], v[40:41] offset1:1
	ds_write2_b64 v116, v[34:35], v[36:37] offset0:10 offset1:11
	ds_write2_b64 v116, v[30:31], v[32:33] offset0:12 offset1:13
	;; [unrolled: 1-line block ×9, first 2 shown]
	ds_read2_b64 v[74:77], v1 offset1:1
	s_waitcnt lgkmcnt(0)
	v_cmp_neq_f64_e32 vcc, 0, v[74:75]
	v_cmp_neq_f64_e64 s[2:3], 0, v[76:77]
	s_or_b64 s[2:3], vcc, s[2:3]
	s_and_b64 exec, exec, s[2:3]
	s_cbranch_execz .LBB27_44
; %bb.39:
	v_cmp_ngt_f64_e64 s[2:3], |v[74:75]|, |v[76:77]|
                                        ; implicit-def: $vgpr78_vgpr79
	s_and_saveexec_b64 s[6:7], s[2:3]
	s_xor_b64 s[2:3], exec, s[6:7]
                                        ; implicit-def: $vgpr80_vgpr81
	s_cbranch_execz .LBB27_41
; %bb.40:
	v_div_scale_f64 v[78:79], s[6:7], v[76:77], v[76:77], v[74:75]
	v_rcp_f64_e32 v[80:81], v[78:79]
	v_fma_f64 v[82:83], -v[78:79], v[80:81], 1.0
	v_fma_f64 v[80:81], v[80:81], v[82:83], v[80:81]
	v_div_scale_f64 v[82:83], vcc, v[74:75], v[76:77], v[74:75]
	v_fma_f64 v[84:85], -v[78:79], v[80:81], 1.0
	v_fma_f64 v[80:81], v[80:81], v[84:85], v[80:81]
	v_mul_f64 v[84:85], v[82:83], v[80:81]
	v_fma_f64 v[78:79], -v[78:79], v[84:85], v[82:83]
	v_div_fmas_f64 v[78:79], v[78:79], v[80:81], v[84:85]
	v_div_fixup_f64 v[78:79], v[78:79], v[76:77], v[74:75]
	v_fma_f64 v[74:75], v[74:75], v[78:79], v[76:77]
	v_div_scale_f64 v[76:77], s[6:7], v[74:75], v[74:75], 1.0
	v_div_scale_f64 v[84:85], vcc, 1.0, v[74:75], 1.0
	v_rcp_f64_e32 v[80:81], v[76:77]
	v_fma_f64 v[82:83], -v[76:77], v[80:81], 1.0
	v_fma_f64 v[80:81], v[80:81], v[82:83], v[80:81]
	v_fma_f64 v[82:83], -v[76:77], v[80:81], 1.0
	v_fma_f64 v[80:81], v[80:81], v[82:83], v[80:81]
	v_mul_f64 v[82:83], v[84:85], v[80:81]
	v_fma_f64 v[76:77], -v[76:77], v[82:83], v[84:85]
	v_div_fmas_f64 v[76:77], v[76:77], v[80:81], v[82:83]
	v_div_fixup_f64 v[80:81], v[76:77], v[74:75], 1.0
                                        ; implicit-def: $vgpr74_vgpr75
	v_mul_f64 v[78:79], v[78:79], v[80:81]
	v_xor_b32_e32 v81, 0x80000000, v81
.LBB27_41:
	s_andn2_saveexec_b64 s[2:3], s[2:3]
	s_cbranch_execz .LBB27_43
; %bb.42:
	v_div_scale_f64 v[78:79], s[6:7], v[74:75], v[74:75], v[76:77]
	v_rcp_f64_e32 v[80:81], v[78:79]
	v_fma_f64 v[82:83], -v[78:79], v[80:81], 1.0
	v_fma_f64 v[80:81], v[80:81], v[82:83], v[80:81]
	v_div_scale_f64 v[82:83], vcc, v[76:77], v[74:75], v[76:77]
	v_fma_f64 v[84:85], -v[78:79], v[80:81], 1.0
	v_fma_f64 v[80:81], v[80:81], v[84:85], v[80:81]
	v_mul_f64 v[84:85], v[82:83], v[80:81]
	v_fma_f64 v[78:79], -v[78:79], v[84:85], v[82:83]
	v_div_fmas_f64 v[78:79], v[78:79], v[80:81], v[84:85]
	v_div_fixup_f64 v[80:81], v[78:79], v[74:75], v[76:77]
	v_fma_f64 v[74:75], v[76:77], v[80:81], v[74:75]
	v_div_scale_f64 v[76:77], s[6:7], v[74:75], v[74:75], 1.0
	v_div_scale_f64 v[84:85], vcc, 1.0, v[74:75], 1.0
	v_rcp_f64_e32 v[78:79], v[76:77]
	v_fma_f64 v[82:83], -v[76:77], v[78:79], 1.0
	v_fma_f64 v[78:79], v[78:79], v[82:83], v[78:79]
	v_fma_f64 v[82:83], -v[76:77], v[78:79], 1.0
	v_fma_f64 v[78:79], v[78:79], v[82:83], v[78:79]
	v_mul_f64 v[82:83], v[84:85], v[78:79]
	v_fma_f64 v[76:77], -v[76:77], v[82:83], v[84:85]
	v_div_fmas_f64 v[76:77], v[76:77], v[78:79], v[82:83]
	v_div_fixup_f64 v[78:79], v[76:77], v[74:75], 1.0
	v_mul_f64 v[80:81], v[80:81], -v[78:79]
.LBB27_43:
	s_or_b64 exec, exec, s[2:3]
	ds_write2_b64 v1, v[78:79], v[80:81] offset1:1
.LBB27_44:
	s_or_b64 exec, exec, s[4:5]
	s_waitcnt lgkmcnt(0)
	s_barrier
	ds_read2_b64 v[74:77], v1 offset1:1
	v_cmp_lt_u32_e32 vcc, 4, v0
	s_and_saveexec_b64 s[2:3], vcc
	s_cbranch_execz .LBB27_46
; %bb.45:
	s_waitcnt lgkmcnt(0)
	v_mul_f64 v[78:79], v[74:75], v[40:41]
	v_mul_f64 v[40:41], v[76:77], v[40:41]
	ds_read2_b64 v[80:83], v116 offset0:10 offset1:11
	v_fma_f64 v[78:79], v[76:77], v[38:39], v[78:79]
	v_fma_f64 v[38:39], v[74:75], v[38:39], -v[40:41]
	s_waitcnt lgkmcnt(0)
	v_mul_f64 v[40:41], v[82:83], v[78:79]
	v_fma_f64 v[40:41], v[80:81], v[38:39], -v[40:41]
	v_mul_f64 v[80:81], v[80:81], v[78:79]
	v_add_f64 v[34:35], v[34:35], -v[40:41]
	v_fma_f64 v[80:81], v[82:83], v[38:39], v[80:81]
	v_add_f64 v[36:37], v[36:37], -v[80:81]
	ds_read2_b64 v[80:83], v116 offset0:12 offset1:13
	s_waitcnt lgkmcnt(0)
	v_mul_f64 v[40:41], v[82:83], v[78:79]
	v_fma_f64 v[40:41], v[80:81], v[38:39], -v[40:41]
	v_mul_f64 v[80:81], v[80:81], v[78:79]
	v_add_f64 v[30:31], v[30:31], -v[40:41]
	v_fma_f64 v[80:81], v[82:83], v[38:39], v[80:81]
	v_add_f64 v[32:33], v[32:33], -v[80:81]
	ds_read2_b64 v[80:83], v116 offset0:14 offset1:15
	;; [unrolled: 8-line block ×8, first 2 shown]
	s_waitcnt lgkmcnt(0)
	v_mul_f64 v[40:41], v[82:83], v[78:79]
	v_fma_f64 v[40:41], v[80:81], v[38:39], -v[40:41]
	v_mul_f64 v[80:81], v[80:81], v[78:79]
	v_add_f64 v[26:27], v[26:27], -v[40:41]
	v_fma_f64 v[80:81], v[82:83], v[38:39], v[80:81]
	v_mov_b32_e32 v40, v78
	v_mov_b32_e32 v41, v79
	v_add_f64 v[28:29], v[28:29], -v[80:81]
.LBB27_46:
	s_or_b64 exec, exec, s[2:3]
	v_cmp_eq_u32_e32 vcc, 5, v0
	s_waitcnt lgkmcnt(0)
	s_barrier
	s_and_saveexec_b64 s[4:5], vcc
	s_cbranch_execz .LBB27_53
; %bb.47:
	ds_write2_b64 v1, v[34:35], v[36:37] offset1:1
	ds_write2_b64 v116, v[30:31], v[32:33] offset0:12 offset1:13
	ds_write2_b64 v116, v[22:23], v[24:25] offset0:14 offset1:15
	;; [unrolled: 1-line block ×8, first 2 shown]
	ds_read2_b64 v[78:81], v1 offset1:1
	s_waitcnt lgkmcnt(0)
	v_cmp_neq_f64_e32 vcc, 0, v[78:79]
	v_cmp_neq_f64_e64 s[2:3], 0, v[80:81]
	s_or_b64 s[2:3], vcc, s[2:3]
	s_and_b64 exec, exec, s[2:3]
	s_cbranch_execz .LBB27_53
; %bb.48:
	v_cmp_ngt_f64_e64 s[2:3], |v[78:79]|, |v[80:81]|
                                        ; implicit-def: $vgpr82_vgpr83
	s_and_saveexec_b64 s[6:7], s[2:3]
	s_xor_b64 s[2:3], exec, s[6:7]
                                        ; implicit-def: $vgpr84_vgpr85
	s_cbranch_execz .LBB27_50
; %bb.49:
	v_div_scale_f64 v[82:83], s[6:7], v[80:81], v[80:81], v[78:79]
	v_rcp_f64_e32 v[84:85], v[82:83]
	v_fma_f64 v[86:87], -v[82:83], v[84:85], 1.0
	v_fma_f64 v[84:85], v[84:85], v[86:87], v[84:85]
	v_div_scale_f64 v[86:87], vcc, v[78:79], v[80:81], v[78:79]
	v_fma_f64 v[88:89], -v[82:83], v[84:85], 1.0
	v_fma_f64 v[84:85], v[84:85], v[88:89], v[84:85]
	v_mul_f64 v[88:89], v[86:87], v[84:85]
	v_fma_f64 v[82:83], -v[82:83], v[88:89], v[86:87]
	v_div_fmas_f64 v[82:83], v[82:83], v[84:85], v[88:89]
	v_div_fixup_f64 v[82:83], v[82:83], v[80:81], v[78:79]
	v_fma_f64 v[78:79], v[78:79], v[82:83], v[80:81]
	v_div_scale_f64 v[80:81], s[6:7], v[78:79], v[78:79], 1.0
	v_div_scale_f64 v[88:89], vcc, 1.0, v[78:79], 1.0
	v_rcp_f64_e32 v[84:85], v[80:81]
	v_fma_f64 v[86:87], -v[80:81], v[84:85], 1.0
	v_fma_f64 v[84:85], v[84:85], v[86:87], v[84:85]
	v_fma_f64 v[86:87], -v[80:81], v[84:85], 1.0
	v_fma_f64 v[84:85], v[84:85], v[86:87], v[84:85]
	v_mul_f64 v[86:87], v[88:89], v[84:85]
	v_fma_f64 v[80:81], -v[80:81], v[86:87], v[88:89]
	v_div_fmas_f64 v[80:81], v[80:81], v[84:85], v[86:87]
	v_div_fixup_f64 v[84:85], v[80:81], v[78:79], 1.0
                                        ; implicit-def: $vgpr78_vgpr79
	v_mul_f64 v[82:83], v[82:83], v[84:85]
	v_xor_b32_e32 v85, 0x80000000, v85
.LBB27_50:
	s_andn2_saveexec_b64 s[2:3], s[2:3]
	s_cbranch_execz .LBB27_52
; %bb.51:
	v_div_scale_f64 v[82:83], s[6:7], v[78:79], v[78:79], v[80:81]
	v_rcp_f64_e32 v[84:85], v[82:83]
	v_fma_f64 v[86:87], -v[82:83], v[84:85], 1.0
	v_fma_f64 v[84:85], v[84:85], v[86:87], v[84:85]
	v_div_scale_f64 v[86:87], vcc, v[80:81], v[78:79], v[80:81]
	v_fma_f64 v[88:89], -v[82:83], v[84:85], 1.0
	v_fma_f64 v[84:85], v[84:85], v[88:89], v[84:85]
	v_mul_f64 v[88:89], v[86:87], v[84:85]
	v_fma_f64 v[82:83], -v[82:83], v[88:89], v[86:87]
	v_div_fmas_f64 v[82:83], v[82:83], v[84:85], v[88:89]
	v_div_fixup_f64 v[84:85], v[82:83], v[78:79], v[80:81]
	v_fma_f64 v[78:79], v[80:81], v[84:85], v[78:79]
	v_div_scale_f64 v[80:81], s[6:7], v[78:79], v[78:79], 1.0
	v_div_scale_f64 v[88:89], vcc, 1.0, v[78:79], 1.0
	v_rcp_f64_e32 v[82:83], v[80:81]
	v_fma_f64 v[86:87], -v[80:81], v[82:83], 1.0
	v_fma_f64 v[82:83], v[82:83], v[86:87], v[82:83]
	v_fma_f64 v[86:87], -v[80:81], v[82:83], 1.0
	v_fma_f64 v[82:83], v[82:83], v[86:87], v[82:83]
	v_mul_f64 v[86:87], v[88:89], v[82:83]
	v_fma_f64 v[80:81], -v[80:81], v[86:87], v[88:89]
	v_div_fmas_f64 v[80:81], v[80:81], v[82:83], v[86:87]
	v_div_fixup_f64 v[82:83], v[80:81], v[78:79], 1.0
	v_mul_f64 v[84:85], v[84:85], -v[82:83]
.LBB27_52:
	s_or_b64 exec, exec, s[2:3]
	ds_write2_b64 v1, v[82:83], v[84:85] offset1:1
.LBB27_53:
	s_or_b64 exec, exec, s[4:5]
	s_waitcnt lgkmcnt(0)
	s_barrier
	ds_read2_b64 v[78:81], v1 offset1:1
	v_cmp_lt_u32_e32 vcc, 5, v0
	s_and_saveexec_b64 s[2:3], vcc
	s_cbranch_execz .LBB27_55
; %bb.54:
	s_waitcnt lgkmcnt(0)
	v_mul_f64 v[82:83], v[78:79], v[36:37]
	v_mul_f64 v[36:37], v[80:81], v[36:37]
	ds_read2_b64 v[84:87], v116 offset0:12 offset1:13
	v_fma_f64 v[82:83], v[80:81], v[34:35], v[82:83]
	v_fma_f64 v[34:35], v[78:79], v[34:35], -v[36:37]
	s_waitcnt lgkmcnt(0)
	v_mul_f64 v[36:37], v[86:87], v[82:83]
	v_fma_f64 v[36:37], v[84:85], v[34:35], -v[36:37]
	v_mul_f64 v[84:85], v[84:85], v[82:83]
	v_add_f64 v[30:31], v[30:31], -v[36:37]
	v_fma_f64 v[84:85], v[86:87], v[34:35], v[84:85]
	v_add_f64 v[32:33], v[32:33], -v[84:85]
	ds_read2_b64 v[84:87], v116 offset0:14 offset1:15
	s_waitcnt lgkmcnt(0)
	v_mul_f64 v[36:37], v[86:87], v[82:83]
	v_fma_f64 v[36:37], v[84:85], v[34:35], -v[36:37]
	v_mul_f64 v[84:85], v[84:85], v[82:83]
	v_add_f64 v[22:23], v[22:23], -v[36:37]
	v_fma_f64 v[84:85], v[86:87], v[34:35], v[84:85]
	v_add_f64 v[24:25], v[24:25], -v[84:85]
	ds_read2_b64 v[84:87], v116 offset0:16 offset1:17
	s_waitcnt lgkmcnt(0)
	v_mul_f64 v[36:37], v[86:87], v[82:83]
	v_fma_f64 v[36:37], v[84:85], v[34:35], -v[36:37]
	v_mul_f64 v[84:85], v[84:85], v[82:83]
	v_add_f64 v[18:19], v[18:19], -v[36:37]
	v_fma_f64 v[84:85], v[86:87], v[34:35], v[84:85]
	v_add_f64 v[20:21], v[20:21], -v[84:85]
	ds_read2_b64 v[84:87], v116 offset0:18 offset1:19
	s_waitcnt lgkmcnt(0)
	v_mul_f64 v[36:37], v[86:87], v[82:83]
	v_fma_f64 v[36:37], v[84:85], v[34:35], -v[36:37]
	v_mul_f64 v[84:85], v[84:85], v[82:83]
	v_add_f64 v[14:15], v[14:15], -v[36:37]
	v_fma_f64 v[84:85], v[86:87], v[34:35], v[84:85]
	v_add_f64 v[16:17], v[16:17], -v[84:85]
	ds_read2_b64 v[84:87], v116 offset0:20 offset1:21
	s_waitcnt lgkmcnt(0)
	v_mul_f64 v[36:37], v[86:87], v[82:83]
	v_fma_f64 v[36:37], v[84:85], v[34:35], -v[36:37]
	v_mul_f64 v[84:85], v[84:85], v[82:83]
	v_add_f64 v[10:11], v[10:11], -v[36:37]
	v_fma_f64 v[84:85], v[86:87], v[34:35], v[84:85]
	v_add_f64 v[12:13], v[12:13], -v[84:85]
	ds_read2_b64 v[84:87], v116 offset0:22 offset1:23
	s_waitcnt lgkmcnt(0)
	v_mul_f64 v[36:37], v[86:87], v[82:83]
	v_fma_f64 v[36:37], v[84:85], v[34:35], -v[36:37]
	v_mul_f64 v[84:85], v[84:85], v[82:83]
	v_add_f64 v[6:7], v[6:7], -v[36:37]
	v_fma_f64 v[84:85], v[86:87], v[34:35], v[84:85]
	v_add_f64 v[8:9], v[8:9], -v[84:85]
	ds_read2_b64 v[84:87], v116 offset0:24 offset1:25
	s_waitcnt lgkmcnt(0)
	v_mul_f64 v[36:37], v[86:87], v[82:83]
	v_fma_f64 v[36:37], v[84:85], v[34:35], -v[36:37]
	v_mul_f64 v[84:85], v[84:85], v[82:83]
	v_add_f64 v[2:3], v[2:3], -v[36:37]
	v_fma_f64 v[84:85], v[86:87], v[34:35], v[84:85]
	v_add_f64 v[4:5], v[4:5], -v[84:85]
	ds_read2_b64 v[84:87], v116 offset0:26 offset1:27
	s_waitcnt lgkmcnt(0)
	v_mul_f64 v[36:37], v[86:87], v[82:83]
	v_fma_f64 v[36:37], v[84:85], v[34:35], -v[36:37]
	v_mul_f64 v[84:85], v[84:85], v[82:83]
	v_add_f64 v[26:27], v[26:27], -v[36:37]
	v_fma_f64 v[84:85], v[86:87], v[34:35], v[84:85]
	v_mov_b32_e32 v36, v82
	v_mov_b32_e32 v37, v83
	v_add_f64 v[28:29], v[28:29], -v[84:85]
.LBB27_55:
	s_or_b64 exec, exec, s[2:3]
	v_cmp_eq_u32_e32 vcc, 6, v0
	s_waitcnt lgkmcnt(0)
	s_barrier
	s_and_saveexec_b64 s[4:5], vcc
	s_cbranch_execz .LBB27_62
; %bb.56:
	ds_write2_b64 v1, v[30:31], v[32:33] offset1:1
	ds_write2_b64 v116, v[22:23], v[24:25] offset0:14 offset1:15
	ds_write2_b64 v116, v[18:19], v[20:21] offset0:16 offset1:17
	;; [unrolled: 1-line block ×7, first 2 shown]
	ds_read2_b64 v[82:85], v1 offset1:1
	s_waitcnt lgkmcnt(0)
	v_cmp_neq_f64_e32 vcc, 0, v[82:83]
	v_cmp_neq_f64_e64 s[2:3], 0, v[84:85]
	s_or_b64 s[2:3], vcc, s[2:3]
	s_and_b64 exec, exec, s[2:3]
	s_cbranch_execz .LBB27_62
; %bb.57:
	v_cmp_ngt_f64_e64 s[2:3], |v[82:83]|, |v[84:85]|
                                        ; implicit-def: $vgpr86_vgpr87
	s_and_saveexec_b64 s[6:7], s[2:3]
	s_xor_b64 s[2:3], exec, s[6:7]
                                        ; implicit-def: $vgpr88_vgpr89
	s_cbranch_execz .LBB27_59
; %bb.58:
	v_div_scale_f64 v[86:87], s[6:7], v[84:85], v[84:85], v[82:83]
	v_rcp_f64_e32 v[88:89], v[86:87]
	v_fma_f64 v[90:91], -v[86:87], v[88:89], 1.0
	v_fma_f64 v[88:89], v[88:89], v[90:91], v[88:89]
	v_div_scale_f64 v[90:91], vcc, v[82:83], v[84:85], v[82:83]
	v_fma_f64 v[92:93], -v[86:87], v[88:89], 1.0
	v_fma_f64 v[88:89], v[88:89], v[92:93], v[88:89]
	v_mul_f64 v[92:93], v[90:91], v[88:89]
	v_fma_f64 v[86:87], -v[86:87], v[92:93], v[90:91]
	v_div_fmas_f64 v[86:87], v[86:87], v[88:89], v[92:93]
	v_div_fixup_f64 v[86:87], v[86:87], v[84:85], v[82:83]
	v_fma_f64 v[82:83], v[82:83], v[86:87], v[84:85]
	v_div_scale_f64 v[84:85], s[6:7], v[82:83], v[82:83], 1.0
	v_div_scale_f64 v[92:93], vcc, 1.0, v[82:83], 1.0
	v_rcp_f64_e32 v[88:89], v[84:85]
	v_fma_f64 v[90:91], -v[84:85], v[88:89], 1.0
	v_fma_f64 v[88:89], v[88:89], v[90:91], v[88:89]
	v_fma_f64 v[90:91], -v[84:85], v[88:89], 1.0
	v_fma_f64 v[88:89], v[88:89], v[90:91], v[88:89]
	v_mul_f64 v[90:91], v[92:93], v[88:89]
	v_fma_f64 v[84:85], -v[84:85], v[90:91], v[92:93]
	v_div_fmas_f64 v[84:85], v[84:85], v[88:89], v[90:91]
	v_div_fixup_f64 v[88:89], v[84:85], v[82:83], 1.0
                                        ; implicit-def: $vgpr82_vgpr83
	v_mul_f64 v[86:87], v[86:87], v[88:89]
	v_xor_b32_e32 v89, 0x80000000, v89
.LBB27_59:
	s_andn2_saveexec_b64 s[2:3], s[2:3]
	s_cbranch_execz .LBB27_61
; %bb.60:
	v_div_scale_f64 v[86:87], s[6:7], v[82:83], v[82:83], v[84:85]
	v_rcp_f64_e32 v[88:89], v[86:87]
	v_fma_f64 v[90:91], -v[86:87], v[88:89], 1.0
	v_fma_f64 v[88:89], v[88:89], v[90:91], v[88:89]
	v_div_scale_f64 v[90:91], vcc, v[84:85], v[82:83], v[84:85]
	v_fma_f64 v[92:93], -v[86:87], v[88:89], 1.0
	v_fma_f64 v[88:89], v[88:89], v[92:93], v[88:89]
	v_mul_f64 v[92:93], v[90:91], v[88:89]
	v_fma_f64 v[86:87], -v[86:87], v[92:93], v[90:91]
	v_div_fmas_f64 v[86:87], v[86:87], v[88:89], v[92:93]
	v_div_fixup_f64 v[88:89], v[86:87], v[82:83], v[84:85]
	v_fma_f64 v[82:83], v[84:85], v[88:89], v[82:83]
	v_div_scale_f64 v[84:85], s[6:7], v[82:83], v[82:83], 1.0
	v_div_scale_f64 v[92:93], vcc, 1.0, v[82:83], 1.0
	v_rcp_f64_e32 v[86:87], v[84:85]
	v_fma_f64 v[90:91], -v[84:85], v[86:87], 1.0
	v_fma_f64 v[86:87], v[86:87], v[90:91], v[86:87]
	v_fma_f64 v[90:91], -v[84:85], v[86:87], 1.0
	v_fma_f64 v[86:87], v[86:87], v[90:91], v[86:87]
	v_mul_f64 v[90:91], v[92:93], v[86:87]
	v_fma_f64 v[84:85], -v[84:85], v[90:91], v[92:93]
	v_div_fmas_f64 v[84:85], v[84:85], v[86:87], v[90:91]
	v_div_fixup_f64 v[86:87], v[84:85], v[82:83], 1.0
	v_mul_f64 v[88:89], v[88:89], -v[86:87]
.LBB27_61:
	s_or_b64 exec, exec, s[2:3]
	ds_write2_b64 v1, v[86:87], v[88:89] offset1:1
.LBB27_62:
	s_or_b64 exec, exec, s[4:5]
	s_waitcnt lgkmcnt(0)
	s_barrier
	ds_read2_b64 v[82:85], v1 offset1:1
	v_cmp_lt_u32_e32 vcc, 6, v0
	s_and_saveexec_b64 s[2:3], vcc
	s_cbranch_execz .LBB27_64
; %bb.63:
	s_waitcnt lgkmcnt(0)
	v_mul_f64 v[86:87], v[82:83], v[32:33]
	v_mul_f64 v[32:33], v[84:85], v[32:33]
	ds_read2_b64 v[88:91], v116 offset0:14 offset1:15
	v_fma_f64 v[86:87], v[84:85], v[30:31], v[86:87]
	v_fma_f64 v[30:31], v[82:83], v[30:31], -v[32:33]
	s_waitcnt lgkmcnt(0)
	v_mul_f64 v[32:33], v[90:91], v[86:87]
	v_fma_f64 v[32:33], v[88:89], v[30:31], -v[32:33]
	v_mul_f64 v[88:89], v[88:89], v[86:87]
	v_add_f64 v[22:23], v[22:23], -v[32:33]
	v_fma_f64 v[88:89], v[90:91], v[30:31], v[88:89]
	v_add_f64 v[24:25], v[24:25], -v[88:89]
	ds_read2_b64 v[88:91], v116 offset0:16 offset1:17
	s_waitcnt lgkmcnt(0)
	v_mul_f64 v[32:33], v[90:91], v[86:87]
	v_fma_f64 v[32:33], v[88:89], v[30:31], -v[32:33]
	v_mul_f64 v[88:89], v[88:89], v[86:87]
	v_add_f64 v[18:19], v[18:19], -v[32:33]
	v_fma_f64 v[88:89], v[90:91], v[30:31], v[88:89]
	v_add_f64 v[20:21], v[20:21], -v[88:89]
	ds_read2_b64 v[88:91], v116 offset0:18 offset1:19
	;; [unrolled: 8-line block ×6, first 2 shown]
	s_waitcnt lgkmcnt(0)
	v_mul_f64 v[32:33], v[90:91], v[86:87]
	v_fma_f64 v[32:33], v[88:89], v[30:31], -v[32:33]
	v_mul_f64 v[88:89], v[88:89], v[86:87]
	v_add_f64 v[26:27], v[26:27], -v[32:33]
	v_fma_f64 v[88:89], v[90:91], v[30:31], v[88:89]
	v_mov_b32_e32 v32, v86
	v_mov_b32_e32 v33, v87
	v_add_f64 v[28:29], v[28:29], -v[88:89]
.LBB27_64:
	s_or_b64 exec, exec, s[2:3]
	v_cmp_eq_u32_e32 vcc, 7, v0
	s_waitcnt lgkmcnt(0)
	s_barrier
	s_and_saveexec_b64 s[4:5], vcc
	s_cbranch_execz .LBB27_71
; %bb.65:
	ds_write2_b64 v1, v[22:23], v[24:25] offset1:1
	ds_write2_b64 v116, v[18:19], v[20:21] offset0:16 offset1:17
	ds_write2_b64 v116, v[14:15], v[16:17] offset0:18 offset1:19
	;; [unrolled: 1-line block ×6, first 2 shown]
	ds_read2_b64 v[86:89], v1 offset1:1
	s_waitcnt lgkmcnt(0)
	v_cmp_neq_f64_e32 vcc, 0, v[86:87]
	v_cmp_neq_f64_e64 s[2:3], 0, v[88:89]
	s_or_b64 s[2:3], vcc, s[2:3]
	s_and_b64 exec, exec, s[2:3]
	s_cbranch_execz .LBB27_71
; %bb.66:
	v_cmp_ngt_f64_e64 s[2:3], |v[86:87]|, |v[88:89]|
                                        ; implicit-def: $vgpr90_vgpr91
	s_and_saveexec_b64 s[6:7], s[2:3]
	s_xor_b64 s[2:3], exec, s[6:7]
                                        ; implicit-def: $vgpr92_vgpr93
	s_cbranch_execz .LBB27_68
; %bb.67:
	v_div_scale_f64 v[90:91], s[6:7], v[88:89], v[88:89], v[86:87]
	v_rcp_f64_e32 v[92:93], v[90:91]
	v_fma_f64 v[94:95], -v[90:91], v[92:93], 1.0
	v_fma_f64 v[92:93], v[92:93], v[94:95], v[92:93]
	v_div_scale_f64 v[94:95], vcc, v[86:87], v[88:89], v[86:87]
	v_fma_f64 v[96:97], -v[90:91], v[92:93], 1.0
	v_fma_f64 v[92:93], v[92:93], v[96:97], v[92:93]
	v_mul_f64 v[96:97], v[94:95], v[92:93]
	v_fma_f64 v[90:91], -v[90:91], v[96:97], v[94:95]
	v_div_fmas_f64 v[90:91], v[90:91], v[92:93], v[96:97]
	v_div_fixup_f64 v[90:91], v[90:91], v[88:89], v[86:87]
	v_fma_f64 v[86:87], v[86:87], v[90:91], v[88:89]
	v_div_scale_f64 v[88:89], s[6:7], v[86:87], v[86:87], 1.0
	v_div_scale_f64 v[96:97], vcc, 1.0, v[86:87], 1.0
	v_rcp_f64_e32 v[92:93], v[88:89]
	v_fma_f64 v[94:95], -v[88:89], v[92:93], 1.0
	v_fma_f64 v[92:93], v[92:93], v[94:95], v[92:93]
	v_fma_f64 v[94:95], -v[88:89], v[92:93], 1.0
	v_fma_f64 v[92:93], v[92:93], v[94:95], v[92:93]
	v_mul_f64 v[94:95], v[96:97], v[92:93]
	v_fma_f64 v[88:89], -v[88:89], v[94:95], v[96:97]
	v_div_fmas_f64 v[88:89], v[88:89], v[92:93], v[94:95]
	v_div_fixup_f64 v[92:93], v[88:89], v[86:87], 1.0
                                        ; implicit-def: $vgpr86_vgpr87
	v_mul_f64 v[90:91], v[90:91], v[92:93]
	v_xor_b32_e32 v93, 0x80000000, v93
.LBB27_68:
	s_andn2_saveexec_b64 s[2:3], s[2:3]
	s_cbranch_execz .LBB27_70
; %bb.69:
	v_div_scale_f64 v[90:91], s[6:7], v[86:87], v[86:87], v[88:89]
	v_rcp_f64_e32 v[92:93], v[90:91]
	v_fma_f64 v[94:95], -v[90:91], v[92:93], 1.0
	v_fma_f64 v[92:93], v[92:93], v[94:95], v[92:93]
	v_div_scale_f64 v[94:95], vcc, v[88:89], v[86:87], v[88:89]
	v_fma_f64 v[96:97], -v[90:91], v[92:93], 1.0
	v_fma_f64 v[92:93], v[92:93], v[96:97], v[92:93]
	v_mul_f64 v[96:97], v[94:95], v[92:93]
	v_fma_f64 v[90:91], -v[90:91], v[96:97], v[94:95]
	v_div_fmas_f64 v[90:91], v[90:91], v[92:93], v[96:97]
	v_div_fixup_f64 v[92:93], v[90:91], v[86:87], v[88:89]
	v_fma_f64 v[86:87], v[88:89], v[92:93], v[86:87]
	v_div_scale_f64 v[88:89], s[6:7], v[86:87], v[86:87], 1.0
	v_div_scale_f64 v[96:97], vcc, 1.0, v[86:87], 1.0
	v_rcp_f64_e32 v[90:91], v[88:89]
	v_fma_f64 v[94:95], -v[88:89], v[90:91], 1.0
	v_fma_f64 v[90:91], v[90:91], v[94:95], v[90:91]
	v_fma_f64 v[94:95], -v[88:89], v[90:91], 1.0
	v_fma_f64 v[90:91], v[90:91], v[94:95], v[90:91]
	v_mul_f64 v[94:95], v[96:97], v[90:91]
	v_fma_f64 v[88:89], -v[88:89], v[94:95], v[96:97]
	v_div_fmas_f64 v[88:89], v[88:89], v[90:91], v[94:95]
	v_div_fixup_f64 v[90:91], v[88:89], v[86:87], 1.0
	v_mul_f64 v[92:93], v[92:93], -v[90:91]
.LBB27_70:
	s_or_b64 exec, exec, s[2:3]
	ds_write2_b64 v1, v[90:91], v[92:93] offset1:1
.LBB27_71:
	s_or_b64 exec, exec, s[4:5]
	s_waitcnt lgkmcnt(0)
	s_barrier
	ds_read2_b64 v[54:57], v1 offset1:1
	v_cmp_lt_u32_e32 vcc, 7, v0
	s_and_saveexec_b64 s[2:3], vcc
	s_cbranch_execz .LBB27_73
; %bb.72:
	s_waitcnt lgkmcnt(0)
	v_mul_f64 v[90:91], v[54:55], v[24:25]
	v_mul_f64 v[24:25], v[56:57], v[24:25]
	ds_read2_b64 v[92:95], v116 offset0:16 offset1:17
	v_fma_f64 v[90:91], v[56:57], v[22:23], v[90:91]
	v_fma_f64 v[22:23], v[54:55], v[22:23], -v[24:25]
	s_waitcnt lgkmcnt(0)
	v_mul_f64 v[24:25], v[94:95], v[90:91]
	v_fma_f64 v[24:25], v[92:93], v[22:23], -v[24:25]
	v_mul_f64 v[92:93], v[92:93], v[90:91]
	v_add_f64 v[18:19], v[18:19], -v[24:25]
	v_fma_f64 v[92:93], v[94:95], v[22:23], v[92:93]
	v_add_f64 v[20:21], v[20:21], -v[92:93]
	ds_read2_b64 v[92:95], v116 offset0:18 offset1:19
	s_waitcnt lgkmcnt(0)
	v_mul_f64 v[24:25], v[94:95], v[90:91]
	v_fma_f64 v[24:25], v[92:93], v[22:23], -v[24:25]
	v_mul_f64 v[92:93], v[92:93], v[90:91]
	v_add_f64 v[14:15], v[14:15], -v[24:25]
	v_fma_f64 v[92:93], v[94:95], v[22:23], v[92:93]
	v_add_f64 v[16:17], v[16:17], -v[92:93]
	ds_read2_b64 v[92:95], v116 offset0:20 offset1:21
	;; [unrolled: 8-line block ×5, first 2 shown]
	s_waitcnt lgkmcnt(0)
	v_mul_f64 v[24:25], v[94:95], v[90:91]
	v_fma_f64 v[24:25], v[92:93], v[22:23], -v[24:25]
	v_mul_f64 v[92:93], v[92:93], v[90:91]
	v_add_f64 v[26:27], v[26:27], -v[24:25]
	v_fma_f64 v[92:93], v[94:95], v[22:23], v[92:93]
	v_mov_b32_e32 v24, v90
	v_mov_b32_e32 v25, v91
	v_add_f64 v[28:29], v[28:29], -v[92:93]
.LBB27_73:
	s_or_b64 exec, exec, s[2:3]
	v_cmp_eq_u32_e32 vcc, 8, v0
	s_waitcnt lgkmcnt(0)
	s_barrier
	s_and_saveexec_b64 s[4:5], vcc
	s_cbranch_execz .LBB27_80
; %bb.74:
	ds_write2_b64 v1, v[18:19], v[20:21] offset1:1
	ds_write2_b64 v116, v[14:15], v[16:17] offset0:18 offset1:19
	ds_write2_b64 v116, v[10:11], v[12:13] offset0:20 offset1:21
	ds_write2_b64 v116, v[6:7], v[8:9] offset0:22 offset1:23
	ds_write2_b64 v116, v[2:3], v[4:5] offset0:24 offset1:25
	ds_write2_b64 v116, v[26:27], v[28:29] offset0:26 offset1:27
	ds_read2_b64 v[90:93], v1 offset1:1
	s_waitcnt lgkmcnt(0)
	v_cmp_neq_f64_e32 vcc, 0, v[90:91]
	v_cmp_neq_f64_e64 s[2:3], 0, v[92:93]
	s_or_b64 s[2:3], vcc, s[2:3]
	s_and_b64 exec, exec, s[2:3]
	s_cbranch_execz .LBB27_80
; %bb.75:
	v_cmp_ngt_f64_e64 s[2:3], |v[90:91]|, |v[92:93]|
                                        ; implicit-def: $vgpr94_vgpr95
	s_and_saveexec_b64 s[6:7], s[2:3]
	s_xor_b64 s[2:3], exec, s[6:7]
                                        ; implicit-def: $vgpr96_vgpr97
	s_cbranch_execz .LBB27_77
; %bb.76:
	v_div_scale_f64 v[94:95], s[6:7], v[92:93], v[92:93], v[90:91]
	v_rcp_f64_e32 v[96:97], v[94:95]
	v_fma_f64 v[98:99], -v[94:95], v[96:97], 1.0
	v_fma_f64 v[96:97], v[96:97], v[98:99], v[96:97]
	v_div_scale_f64 v[98:99], vcc, v[90:91], v[92:93], v[90:91]
	v_fma_f64 v[100:101], -v[94:95], v[96:97], 1.0
	v_fma_f64 v[96:97], v[96:97], v[100:101], v[96:97]
	v_mul_f64 v[100:101], v[98:99], v[96:97]
	v_fma_f64 v[94:95], -v[94:95], v[100:101], v[98:99]
	v_div_fmas_f64 v[94:95], v[94:95], v[96:97], v[100:101]
	v_div_fixup_f64 v[94:95], v[94:95], v[92:93], v[90:91]
	v_fma_f64 v[90:91], v[90:91], v[94:95], v[92:93]
	v_div_scale_f64 v[92:93], s[6:7], v[90:91], v[90:91], 1.0
	v_div_scale_f64 v[100:101], vcc, 1.0, v[90:91], 1.0
	v_rcp_f64_e32 v[96:97], v[92:93]
	v_fma_f64 v[98:99], -v[92:93], v[96:97], 1.0
	v_fma_f64 v[96:97], v[96:97], v[98:99], v[96:97]
	v_fma_f64 v[98:99], -v[92:93], v[96:97], 1.0
	v_fma_f64 v[96:97], v[96:97], v[98:99], v[96:97]
	v_mul_f64 v[98:99], v[100:101], v[96:97]
	v_fma_f64 v[92:93], -v[92:93], v[98:99], v[100:101]
	v_div_fmas_f64 v[92:93], v[92:93], v[96:97], v[98:99]
	v_div_fixup_f64 v[96:97], v[92:93], v[90:91], 1.0
                                        ; implicit-def: $vgpr90_vgpr91
	v_mul_f64 v[94:95], v[94:95], v[96:97]
	v_xor_b32_e32 v97, 0x80000000, v97
.LBB27_77:
	s_andn2_saveexec_b64 s[2:3], s[2:3]
	s_cbranch_execz .LBB27_79
; %bb.78:
	v_div_scale_f64 v[94:95], s[6:7], v[90:91], v[90:91], v[92:93]
	v_rcp_f64_e32 v[96:97], v[94:95]
	v_fma_f64 v[98:99], -v[94:95], v[96:97], 1.0
	v_fma_f64 v[96:97], v[96:97], v[98:99], v[96:97]
	v_div_scale_f64 v[98:99], vcc, v[92:93], v[90:91], v[92:93]
	v_fma_f64 v[100:101], -v[94:95], v[96:97], 1.0
	v_fma_f64 v[96:97], v[96:97], v[100:101], v[96:97]
	v_mul_f64 v[100:101], v[98:99], v[96:97]
	v_fma_f64 v[94:95], -v[94:95], v[100:101], v[98:99]
	v_div_fmas_f64 v[94:95], v[94:95], v[96:97], v[100:101]
	v_div_fixup_f64 v[96:97], v[94:95], v[90:91], v[92:93]
	v_fma_f64 v[90:91], v[92:93], v[96:97], v[90:91]
	v_div_scale_f64 v[92:93], s[6:7], v[90:91], v[90:91], 1.0
	v_div_scale_f64 v[100:101], vcc, 1.0, v[90:91], 1.0
	v_rcp_f64_e32 v[94:95], v[92:93]
	v_fma_f64 v[98:99], -v[92:93], v[94:95], 1.0
	v_fma_f64 v[94:95], v[94:95], v[98:99], v[94:95]
	v_fma_f64 v[98:99], -v[92:93], v[94:95], 1.0
	v_fma_f64 v[94:95], v[94:95], v[98:99], v[94:95]
	v_mul_f64 v[98:99], v[100:101], v[94:95]
	v_fma_f64 v[92:93], -v[92:93], v[98:99], v[100:101]
	v_div_fmas_f64 v[92:93], v[92:93], v[94:95], v[98:99]
	v_div_fixup_f64 v[94:95], v[92:93], v[90:91], 1.0
	v_mul_f64 v[96:97], v[96:97], -v[94:95]
.LBB27_79:
	s_or_b64 exec, exec, s[2:3]
	ds_write2_b64 v1, v[94:95], v[96:97] offset1:1
.LBB27_80:
	s_or_b64 exec, exec, s[4:5]
	s_waitcnt lgkmcnt(0)
	s_barrier
	ds_read2_b64 v[120:123], v1 offset1:1
	v_cmp_lt_u32_e32 vcc, 8, v0
	s_and_saveexec_b64 s[2:3], vcc
	s_cbranch_execz .LBB27_82
; %bb.81:
	s_waitcnt lgkmcnt(0)
	v_mul_f64 v[94:95], v[120:121], v[20:21]
	v_mul_f64 v[20:21], v[122:123], v[20:21]
	v_fma_f64 v[98:99], v[122:123], v[18:19], v[94:95]
	ds_read2_b64 v[94:97], v116 offset0:18 offset1:19
	v_fma_f64 v[18:19], v[120:121], v[18:19], -v[20:21]
	s_waitcnt lgkmcnt(0)
	v_mul_f64 v[20:21], v[96:97], v[98:99]
	v_fma_f64 v[20:21], v[94:95], v[18:19], -v[20:21]
	v_mul_f64 v[94:95], v[94:95], v[98:99]
	v_add_f64 v[14:15], v[14:15], -v[20:21]
	v_fma_f64 v[94:95], v[96:97], v[18:19], v[94:95]
	v_add_f64 v[16:17], v[16:17], -v[94:95]
	ds_read2_b64 v[94:97], v116 offset0:20 offset1:21
	s_waitcnt lgkmcnt(0)
	v_mul_f64 v[20:21], v[96:97], v[98:99]
	v_fma_f64 v[20:21], v[94:95], v[18:19], -v[20:21]
	v_mul_f64 v[94:95], v[94:95], v[98:99]
	v_add_f64 v[10:11], v[10:11], -v[20:21]
	v_fma_f64 v[94:95], v[96:97], v[18:19], v[94:95]
	v_add_f64 v[12:13], v[12:13], -v[94:95]
	ds_read2_b64 v[94:97], v116 offset0:22 offset1:23
	s_waitcnt lgkmcnt(0)
	v_mul_f64 v[20:21], v[96:97], v[98:99]
	v_fma_f64 v[20:21], v[94:95], v[18:19], -v[20:21]
	v_mul_f64 v[94:95], v[94:95], v[98:99]
	v_add_f64 v[6:7], v[6:7], -v[20:21]
	v_fma_f64 v[94:95], v[96:97], v[18:19], v[94:95]
	v_add_f64 v[8:9], v[8:9], -v[94:95]
	ds_read2_b64 v[94:97], v116 offset0:24 offset1:25
	s_waitcnt lgkmcnt(0)
	v_mul_f64 v[20:21], v[96:97], v[98:99]
	v_fma_f64 v[20:21], v[94:95], v[18:19], -v[20:21]
	v_mul_f64 v[94:95], v[94:95], v[98:99]
	v_add_f64 v[2:3], v[2:3], -v[20:21]
	v_fma_f64 v[94:95], v[96:97], v[18:19], v[94:95]
	v_add_f64 v[4:5], v[4:5], -v[94:95]
	ds_read2_b64 v[94:97], v116 offset0:26 offset1:27
	s_waitcnt lgkmcnt(0)
	v_mul_f64 v[20:21], v[96:97], v[98:99]
	v_fma_f64 v[20:21], v[94:95], v[18:19], -v[20:21]
	v_mul_f64 v[94:95], v[94:95], v[98:99]
	v_add_f64 v[26:27], v[26:27], -v[20:21]
	v_fma_f64 v[94:95], v[96:97], v[18:19], v[94:95]
	v_mov_b32_e32 v20, v98
	v_mov_b32_e32 v21, v99
	v_add_f64 v[28:29], v[28:29], -v[94:95]
.LBB27_82:
	s_or_b64 exec, exec, s[2:3]
	v_cmp_eq_u32_e32 vcc, 9, v0
	s_waitcnt lgkmcnt(0)
	s_barrier
	s_and_saveexec_b64 s[4:5], vcc
	s_cbranch_execz .LBB27_89
; %bb.83:
	ds_write2_b64 v1, v[14:15], v[16:17] offset1:1
	ds_write2_b64 v116, v[10:11], v[12:13] offset0:20 offset1:21
	ds_write2_b64 v116, v[6:7], v[8:9] offset0:22 offset1:23
	;; [unrolled: 1-line block ×4, first 2 shown]
	ds_read2_b64 v[94:97], v1 offset1:1
	s_waitcnt lgkmcnt(0)
	v_cmp_neq_f64_e32 vcc, 0, v[94:95]
	v_cmp_neq_f64_e64 s[2:3], 0, v[96:97]
	s_or_b64 s[2:3], vcc, s[2:3]
	s_and_b64 exec, exec, s[2:3]
	s_cbranch_execz .LBB27_89
; %bb.84:
	v_cmp_ngt_f64_e64 s[2:3], |v[94:95]|, |v[96:97]|
                                        ; implicit-def: $vgpr98_vgpr99
	s_and_saveexec_b64 s[6:7], s[2:3]
	s_xor_b64 s[2:3], exec, s[6:7]
                                        ; implicit-def: $vgpr100_vgpr101
	s_cbranch_execz .LBB27_86
; %bb.85:
	v_div_scale_f64 v[98:99], s[6:7], v[96:97], v[96:97], v[94:95]
	v_rcp_f64_e32 v[100:101], v[98:99]
	v_fma_f64 v[102:103], -v[98:99], v[100:101], 1.0
	v_fma_f64 v[100:101], v[100:101], v[102:103], v[100:101]
	v_div_scale_f64 v[102:103], vcc, v[94:95], v[96:97], v[94:95]
	v_fma_f64 v[104:105], -v[98:99], v[100:101], 1.0
	v_fma_f64 v[100:101], v[100:101], v[104:105], v[100:101]
	v_mul_f64 v[104:105], v[102:103], v[100:101]
	v_fma_f64 v[98:99], -v[98:99], v[104:105], v[102:103]
	v_div_fmas_f64 v[98:99], v[98:99], v[100:101], v[104:105]
	v_div_fixup_f64 v[98:99], v[98:99], v[96:97], v[94:95]
	v_fma_f64 v[94:95], v[94:95], v[98:99], v[96:97]
	v_div_scale_f64 v[96:97], s[6:7], v[94:95], v[94:95], 1.0
	v_div_scale_f64 v[104:105], vcc, 1.0, v[94:95], 1.0
	v_rcp_f64_e32 v[100:101], v[96:97]
	v_fma_f64 v[102:103], -v[96:97], v[100:101], 1.0
	v_fma_f64 v[100:101], v[100:101], v[102:103], v[100:101]
	v_fma_f64 v[102:103], -v[96:97], v[100:101], 1.0
	v_fma_f64 v[100:101], v[100:101], v[102:103], v[100:101]
	v_mul_f64 v[102:103], v[104:105], v[100:101]
	v_fma_f64 v[96:97], -v[96:97], v[102:103], v[104:105]
	v_div_fmas_f64 v[96:97], v[96:97], v[100:101], v[102:103]
	v_div_fixup_f64 v[100:101], v[96:97], v[94:95], 1.0
                                        ; implicit-def: $vgpr94_vgpr95
	v_mul_f64 v[98:99], v[98:99], v[100:101]
	v_xor_b32_e32 v101, 0x80000000, v101
.LBB27_86:
	s_andn2_saveexec_b64 s[2:3], s[2:3]
	s_cbranch_execz .LBB27_88
; %bb.87:
	v_div_scale_f64 v[98:99], s[6:7], v[94:95], v[94:95], v[96:97]
	v_rcp_f64_e32 v[100:101], v[98:99]
	v_fma_f64 v[102:103], -v[98:99], v[100:101], 1.0
	v_fma_f64 v[100:101], v[100:101], v[102:103], v[100:101]
	v_div_scale_f64 v[102:103], vcc, v[96:97], v[94:95], v[96:97]
	v_fma_f64 v[104:105], -v[98:99], v[100:101], 1.0
	v_fma_f64 v[100:101], v[100:101], v[104:105], v[100:101]
	v_mul_f64 v[104:105], v[102:103], v[100:101]
	v_fma_f64 v[98:99], -v[98:99], v[104:105], v[102:103]
	v_div_fmas_f64 v[98:99], v[98:99], v[100:101], v[104:105]
	v_div_fixup_f64 v[100:101], v[98:99], v[94:95], v[96:97]
	v_fma_f64 v[94:95], v[96:97], v[100:101], v[94:95]
	v_div_scale_f64 v[96:97], s[6:7], v[94:95], v[94:95], 1.0
	v_div_scale_f64 v[104:105], vcc, 1.0, v[94:95], 1.0
	v_rcp_f64_e32 v[98:99], v[96:97]
	v_fma_f64 v[102:103], -v[96:97], v[98:99], 1.0
	v_fma_f64 v[98:99], v[98:99], v[102:103], v[98:99]
	v_fma_f64 v[102:103], -v[96:97], v[98:99], 1.0
	v_fma_f64 v[98:99], v[98:99], v[102:103], v[98:99]
	v_mul_f64 v[102:103], v[104:105], v[98:99]
	v_fma_f64 v[96:97], -v[96:97], v[102:103], v[104:105]
	v_div_fmas_f64 v[96:97], v[96:97], v[98:99], v[102:103]
	v_div_fixup_f64 v[98:99], v[96:97], v[94:95], 1.0
	v_mul_f64 v[100:101], v[100:101], -v[98:99]
.LBB27_88:
	s_or_b64 exec, exec, s[2:3]
	ds_write2_b64 v1, v[98:99], v[100:101] offset1:1
.LBB27_89:
	s_or_b64 exec, exec, s[4:5]
	s_waitcnt lgkmcnt(0)
	s_barrier
	ds_read2_b64 v[94:97], v1 offset1:1
	v_cmp_lt_u32_e32 vcc, 9, v0
	s_and_saveexec_b64 s[2:3], vcc
	s_cbranch_execz .LBB27_91
; %bb.90:
	s_waitcnt lgkmcnt(0)
	v_mul_f64 v[98:99], v[94:95], v[16:17]
	v_mul_f64 v[16:17], v[96:97], v[16:17]
	v_fma_f64 v[102:103], v[96:97], v[14:15], v[98:99]
	ds_read2_b64 v[98:101], v116 offset0:20 offset1:21
	v_fma_f64 v[14:15], v[94:95], v[14:15], -v[16:17]
	s_waitcnt lgkmcnt(0)
	v_mul_f64 v[16:17], v[100:101], v[102:103]
	v_fma_f64 v[16:17], v[98:99], v[14:15], -v[16:17]
	v_mul_f64 v[98:99], v[98:99], v[102:103]
	v_add_f64 v[10:11], v[10:11], -v[16:17]
	v_fma_f64 v[98:99], v[100:101], v[14:15], v[98:99]
	v_add_f64 v[12:13], v[12:13], -v[98:99]
	ds_read2_b64 v[98:101], v116 offset0:22 offset1:23
	s_waitcnt lgkmcnt(0)
	v_mul_f64 v[16:17], v[100:101], v[102:103]
	v_fma_f64 v[16:17], v[98:99], v[14:15], -v[16:17]
	v_mul_f64 v[98:99], v[98:99], v[102:103]
	v_add_f64 v[6:7], v[6:7], -v[16:17]
	v_fma_f64 v[98:99], v[100:101], v[14:15], v[98:99]
	v_add_f64 v[8:9], v[8:9], -v[98:99]
	ds_read2_b64 v[98:101], v116 offset0:24 offset1:25
	;; [unrolled: 8-line block ×3, first 2 shown]
	s_waitcnt lgkmcnt(0)
	v_mul_f64 v[16:17], v[100:101], v[102:103]
	v_fma_f64 v[16:17], v[98:99], v[14:15], -v[16:17]
	v_mul_f64 v[98:99], v[98:99], v[102:103]
	v_add_f64 v[26:27], v[26:27], -v[16:17]
	v_fma_f64 v[98:99], v[100:101], v[14:15], v[98:99]
	v_mov_b32_e32 v16, v102
	v_mov_b32_e32 v17, v103
	v_add_f64 v[28:29], v[28:29], -v[98:99]
.LBB27_91:
	s_or_b64 exec, exec, s[2:3]
	v_cmp_eq_u32_e32 vcc, 10, v0
	s_waitcnt lgkmcnt(0)
	s_barrier
	s_and_saveexec_b64 s[4:5], vcc
	s_cbranch_execz .LBB27_98
; %bb.92:
	ds_write2_b64 v1, v[10:11], v[12:13] offset1:1
	ds_write2_b64 v116, v[6:7], v[8:9] offset0:22 offset1:23
	ds_write2_b64 v116, v[2:3], v[4:5] offset0:24 offset1:25
	;; [unrolled: 1-line block ×3, first 2 shown]
	ds_read2_b64 v[98:101], v1 offset1:1
	s_waitcnt lgkmcnt(0)
	v_cmp_neq_f64_e32 vcc, 0, v[98:99]
	v_cmp_neq_f64_e64 s[2:3], 0, v[100:101]
	s_or_b64 s[2:3], vcc, s[2:3]
	s_and_b64 exec, exec, s[2:3]
	s_cbranch_execz .LBB27_98
; %bb.93:
	v_cmp_ngt_f64_e64 s[2:3], |v[98:99]|, |v[100:101]|
                                        ; implicit-def: $vgpr102_vgpr103
	s_and_saveexec_b64 s[6:7], s[2:3]
	s_xor_b64 s[2:3], exec, s[6:7]
                                        ; implicit-def: $vgpr104_vgpr105
	s_cbranch_execz .LBB27_95
; %bb.94:
	v_div_scale_f64 v[102:103], s[6:7], v[100:101], v[100:101], v[98:99]
	v_rcp_f64_e32 v[104:105], v[102:103]
	v_fma_f64 v[106:107], -v[102:103], v[104:105], 1.0
	v_fma_f64 v[104:105], v[104:105], v[106:107], v[104:105]
	v_div_scale_f64 v[106:107], vcc, v[98:99], v[100:101], v[98:99]
	v_fma_f64 v[108:109], -v[102:103], v[104:105], 1.0
	v_fma_f64 v[104:105], v[104:105], v[108:109], v[104:105]
	v_mul_f64 v[108:109], v[106:107], v[104:105]
	v_fma_f64 v[102:103], -v[102:103], v[108:109], v[106:107]
	v_div_fmas_f64 v[102:103], v[102:103], v[104:105], v[108:109]
	v_div_fixup_f64 v[102:103], v[102:103], v[100:101], v[98:99]
	v_fma_f64 v[98:99], v[98:99], v[102:103], v[100:101]
	v_div_scale_f64 v[100:101], s[6:7], v[98:99], v[98:99], 1.0
	v_div_scale_f64 v[108:109], vcc, 1.0, v[98:99], 1.0
	v_rcp_f64_e32 v[104:105], v[100:101]
	v_fma_f64 v[106:107], -v[100:101], v[104:105], 1.0
	v_fma_f64 v[104:105], v[104:105], v[106:107], v[104:105]
	v_fma_f64 v[106:107], -v[100:101], v[104:105], 1.0
	v_fma_f64 v[104:105], v[104:105], v[106:107], v[104:105]
	v_mul_f64 v[106:107], v[108:109], v[104:105]
	v_fma_f64 v[100:101], -v[100:101], v[106:107], v[108:109]
	v_div_fmas_f64 v[100:101], v[100:101], v[104:105], v[106:107]
	v_div_fixup_f64 v[104:105], v[100:101], v[98:99], 1.0
                                        ; implicit-def: $vgpr98_vgpr99
	v_mul_f64 v[102:103], v[102:103], v[104:105]
	v_xor_b32_e32 v105, 0x80000000, v105
.LBB27_95:
	s_andn2_saveexec_b64 s[2:3], s[2:3]
	s_cbranch_execz .LBB27_97
; %bb.96:
	v_div_scale_f64 v[102:103], s[6:7], v[98:99], v[98:99], v[100:101]
	v_rcp_f64_e32 v[104:105], v[102:103]
	v_fma_f64 v[106:107], -v[102:103], v[104:105], 1.0
	v_fma_f64 v[104:105], v[104:105], v[106:107], v[104:105]
	v_div_scale_f64 v[106:107], vcc, v[100:101], v[98:99], v[100:101]
	v_fma_f64 v[108:109], -v[102:103], v[104:105], 1.0
	v_fma_f64 v[104:105], v[104:105], v[108:109], v[104:105]
	v_mul_f64 v[108:109], v[106:107], v[104:105]
	v_fma_f64 v[102:103], -v[102:103], v[108:109], v[106:107]
	v_div_fmas_f64 v[102:103], v[102:103], v[104:105], v[108:109]
	v_div_fixup_f64 v[104:105], v[102:103], v[98:99], v[100:101]
	v_fma_f64 v[98:99], v[100:101], v[104:105], v[98:99]
	v_div_scale_f64 v[100:101], s[6:7], v[98:99], v[98:99], 1.0
	v_div_scale_f64 v[108:109], vcc, 1.0, v[98:99], 1.0
	v_rcp_f64_e32 v[102:103], v[100:101]
	v_fma_f64 v[106:107], -v[100:101], v[102:103], 1.0
	v_fma_f64 v[102:103], v[102:103], v[106:107], v[102:103]
	v_fma_f64 v[106:107], -v[100:101], v[102:103], 1.0
	v_fma_f64 v[102:103], v[102:103], v[106:107], v[102:103]
	v_mul_f64 v[106:107], v[108:109], v[102:103]
	v_fma_f64 v[100:101], -v[100:101], v[106:107], v[108:109]
	v_div_fmas_f64 v[100:101], v[100:101], v[102:103], v[106:107]
	v_div_fixup_f64 v[102:103], v[100:101], v[98:99], 1.0
	v_mul_f64 v[104:105], v[104:105], -v[102:103]
.LBB27_97:
	s_or_b64 exec, exec, s[2:3]
	ds_write2_b64 v1, v[102:103], v[104:105] offset1:1
.LBB27_98:
	s_or_b64 exec, exec, s[4:5]
	s_waitcnt lgkmcnt(0)
	s_barrier
	ds_read2_b64 v[98:101], v1 offset1:1
	v_cmp_lt_u32_e32 vcc, 10, v0
	s_and_saveexec_b64 s[2:3], vcc
	s_cbranch_execz .LBB27_100
; %bb.99:
	s_waitcnt lgkmcnt(0)
	v_mul_f64 v[102:103], v[98:99], v[12:13]
	v_mul_f64 v[12:13], v[100:101], v[12:13]
	v_fma_f64 v[106:107], v[100:101], v[10:11], v[102:103]
	ds_read2_b64 v[102:105], v116 offset0:22 offset1:23
	v_fma_f64 v[10:11], v[98:99], v[10:11], -v[12:13]
	s_waitcnt lgkmcnt(0)
	v_mul_f64 v[12:13], v[104:105], v[106:107]
	v_fma_f64 v[12:13], v[102:103], v[10:11], -v[12:13]
	v_mul_f64 v[102:103], v[102:103], v[106:107]
	v_add_f64 v[6:7], v[6:7], -v[12:13]
	v_fma_f64 v[102:103], v[104:105], v[10:11], v[102:103]
	v_add_f64 v[8:9], v[8:9], -v[102:103]
	ds_read2_b64 v[102:105], v116 offset0:24 offset1:25
	s_waitcnt lgkmcnt(0)
	v_mul_f64 v[12:13], v[104:105], v[106:107]
	v_fma_f64 v[12:13], v[102:103], v[10:11], -v[12:13]
	v_mul_f64 v[102:103], v[102:103], v[106:107]
	v_add_f64 v[2:3], v[2:3], -v[12:13]
	v_fma_f64 v[102:103], v[104:105], v[10:11], v[102:103]
	v_add_f64 v[4:5], v[4:5], -v[102:103]
	ds_read2_b64 v[102:105], v116 offset0:26 offset1:27
	s_waitcnt lgkmcnt(0)
	v_mul_f64 v[12:13], v[104:105], v[106:107]
	v_fma_f64 v[12:13], v[102:103], v[10:11], -v[12:13]
	v_mul_f64 v[102:103], v[102:103], v[106:107]
	v_add_f64 v[26:27], v[26:27], -v[12:13]
	v_fma_f64 v[102:103], v[104:105], v[10:11], v[102:103]
	v_mov_b32_e32 v12, v106
	v_mov_b32_e32 v13, v107
	v_add_f64 v[28:29], v[28:29], -v[102:103]
.LBB27_100:
	s_or_b64 exec, exec, s[2:3]
	v_cmp_eq_u32_e32 vcc, 11, v0
	s_waitcnt lgkmcnt(0)
	s_barrier
	s_and_saveexec_b64 s[4:5], vcc
	s_cbranch_execz .LBB27_107
; %bb.101:
	ds_write2_b64 v1, v[6:7], v[8:9] offset1:1
	ds_write2_b64 v116, v[2:3], v[4:5] offset0:24 offset1:25
	ds_write2_b64 v116, v[26:27], v[28:29] offset0:26 offset1:27
	ds_read2_b64 v[102:105], v1 offset1:1
	s_waitcnt lgkmcnt(0)
	v_cmp_neq_f64_e32 vcc, 0, v[102:103]
	v_cmp_neq_f64_e64 s[2:3], 0, v[104:105]
	s_or_b64 s[2:3], vcc, s[2:3]
	s_and_b64 exec, exec, s[2:3]
	s_cbranch_execz .LBB27_107
; %bb.102:
	v_cmp_ngt_f64_e64 s[2:3], |v[102:103]|, |v[104:105]|
                                        ; implicit-def: $vgpr106_vgpr107
	s_and_saveexec_b64 s[6:7], s[2:3]
	s_xor_b64 s[2:3], exec, s[6:7]
                                        ; implicit-def: $vgpr108_vgpr109
	s_cbranch_execz .LBB27_104
; %bb.103:
	v_div_scale_f64 v[106:107], s[6:7], v[104:105], v[104:105], v[102:103]
	v_rcp_f64_e32 v[108:109], v[106:107]
	v_fma_f64 v[110:111], -v[106:107], v[108:109], 1.0
	v_fma_f64 v[108:109], v[108:109], v[110:111], v[108:109]
	v_div_scale_f64 v[110:111], vcc, v[102:103], v[104:105], v[102:103]
	v_fma_f64 v[112:113], -v[106:107], v[108:109], 1.0
	v_fma_f64 v[108:109], v[108:109], v[112:113], v[108:109]
	v_mul_f64 v[112:113], v[110:111], v[108:109]
	v_fma_f64 v[106:107], -v[106:107], v[112:113], v[110:111]
	v_div_fmas_f64 v[106:107], v[106:107], v[108:109], v[112:113]
	v_div_fixup_f64 v[106:107], v[106:107], v[104:105], v[102:103]
	v_fma_f64 v[102:103], v[102:103], v[106:107], v[104:105]
	v_div_scale_f64 v[104:105], s[6:7], v[102:103], v[102:103], 1.0
	v_div_scale_f64 v[112:113], vcc, 1.0, v[102:103], 1.0
	v_rcp_f64_e32 v[108:109], v[104:105]
	v_fma_f64 v[110:111], -v[104:105], v[108:109], 1.0
	v_fma_f64 v[108:109], v[108:109], v[110:111], v[108:109]
	v_fma_f64 v[110:111], -v[104:105], v[108:109], 1.0
	v_fma_f64 v[108:109], v[108:109], v[110:111], v[108:109]
	v_mul_f64 v[110:111], v[112:113], v[108:109]
	v_fma_f64 v[104:105], -v[104:105], v[110:111], v[112:113]
	v_div_fmas_f64 v[104:105], v[104:105], v[108:109], v[110:111]
	v_div_fixup_f64 v[108:109], v[104:105], v[102:103], 1.0
                                        ; implicit-def: $vgpr102_vgpr103
	v_mul_f64 v[106:107], v[106:107], v[108:109]
	v_xor_b32_e32 v109, 0x80000000, v109
.LBB27_104:
	s_andn2_saveexec_b64 s[2:3], s[2:3]
	s_cbranch_execz .LBB27_106
; %bb.105:
	v_div_scale_f64 v[106:107], s[6:7], v[102:103], v[102:103], v[104:105]
	v_rcp_f64_e32 v[108:109], v[106:107]
	v_fma_f64 v[110:111], -v[106:107], v[108:109], 1.0
	v_fma_f64 v[108:109], v[108:109], v[110:111], v[108:109]
	v_div_scale_f64 v[110:111], vcc, v[104:105], v[102:103], v[104:105]
	v_fma_f64 v[112:113], -v[106:107], v[108:109], 1.0
	v_fma_f64 v[108:109], v[108:109], v[112:113], v[108:109]
	v_mul_f64 v[112:113], v[110:111], v[108:109]
	v_fma_f64 v[106:107], -v[106:107], v[112:113], v[110:111]
	v_div_fmas_f64 v[106:107], v[106:107], v[108:109], v[112:113]
	v_div_fixup_f64 v[108:109], v[106:107], v[102:103], v[104:105]
	v_fma_f64 v[102:103], v[104:105], v[108:109], v[102:103]
	v_div_scale_f64 v[104:105], s[6:7], v[102:103], v[102:103], 1.0
	v_div_scale_f64 v[112:113], vcc, 1.0, v[102:103], 1.0
	v_rcp_f64_e32 v[106:107], v[104:105]
	v_fma_f64 v[110:111], -v[104:105], v[106:107], 1.0
	v_fma_f64 v[106:107], v[106:107], v[110:111], v[106:107]
	v_fma_f64 v[110:111], -v[104:105], v[106:107], 1.0
	v_fma_f64 v[106:107], v[106:107], v[110:111], v[106:107]
	v_mul_f64 v[110:111], v[112:113], v[106:107]
	v_fma_f64 v[104:105], -v[104:105], v[110:111], v[112:113]
	v_div_fmas_f64 v[104:105], v[104:105], v[106:107], v[110:111]
	v_div_fixup_f64 v[106:107], v[104:105], v[102:103], 1.0
	v_mul_f64 v[108:109], v[108:109], -v[106:107]
.LBB27_106:
	s_or_b64 exec, exec, s[2:3]
	ds_write2_b64 v1, v[106:107], v[108:109] offset1:1
.LBB27_107:
	s_or_b64 exec, exec, s[4:5]
	s_waitcnt lgkmcnt(0)
	s_barrier
	ds_read2_b64 v[106:109], v1 offset1:1
	v_cmp_lt_u32_e32 vcc, 11, v0
	s_and_saveexec_b64 s[2:3], vcc
	s_cbranch_execz .LBB27_109
; %bb.108:
	s_waitcnt lgkmcnt(0)
	v_mul_f64 v[102:103], v[106:107], v[8:9]
	v_mul_f64 v[8:9], v[108:109], v[8:9]
	v_fma_f64 v[110:111], v[108:109], v[6:7], v[102:103]
	ds_read2_b64 v[102:105], v116 offset0:24 offset1:25
	v_fma_f64 v[6:7], v[106:107], v[6:7], -v[8:9]
	s_waitcnt lgkmcnt(0)
	v_mul_f64 v[8:9], v[104:105], v[110:111]
	v_fma_f64 v[8:9], v[102:103], v[6:7], -v[8:9]
	v_mul_f64 v[102:103], v[102:103], v[110:111]
	v_add_f64 v[2:3], v[2:3], -v[8:9]
	v_fma_f64 v[102:103], v[104:105], v[6:7], v[102:103]
	v_add_f64 v[4:5], v[4:5], -v[102:103]
	ds_read2_b64 v[102:105], v116 offset0:26 offset1:27
	s_waitcnt lgkmcnt(0)
	v_mul_f64 v[8:9], v[104:105], v[110:111]
	v_fma_f64 v[8:9], v[102:103], v[6:7], -v[8:9]
	v_mul_f64 v[102:103], v[102:103], v[110:111]
	v_add_f64 v[26:27], v[26:27], -v[8:9]
	v_fma_f64 v[102:103], v[104:105], v[6:7], v[102:103]
	v_mov_b32_e32 v8, v110
	v_mov_b32_e32 v9, v111
	v_add_f64 v[28:29], v[28:29], -v[102:103]
.LBB27_109:
	s_or_b64 exec, exec, s[2:3]
	v_cmp_eq_u32_e32 vcc, 12, v0
	s_waitcnt lgkmcnt(0)
	s_barrier
	s_and_saveexec_b64 s[4:5], vcc
	s_cbranch_execz .LBB27_116
; %bb.110:
	ds_write2_b64 v1, v[2:3], v[4:5] offset1:1
	ds_write2_b64 v116, v[26:27], v[28:29] offset0:26 offset1:27
	ds_read2_b64 v[102:105], v1 offset1:1
	s_waitcnt lgkmcnt(0)
	v_cmp_neq_f64_e32 vcc, 0, v[102:103]
	v_cmp_neq_f64_e64 s[2:3], 0, v[104:105]
	s_or_b64 s[2:3], vcc, s[2:3]
	s_and_b64 exec, exec, s[2:3]
	s_cbranch_execz .LBB27_116
; %bb.111:
	v_cmp_ngt_f64_e64 s[2:3], |v[102:103]|, |v[104:105]|
                                        ; implicit-def: $vgpr110_vgpr111
	s_and_saveexec_b64 s[6:7], s[2:3]
	s_xor_b64 s[2:3], exec, s[6:7]
                                        ; implicit-def: $vgpr112_vgpr113
	s_cbranch_execz .LBB27_113
; %bb.112:
	v_div_scale_f64 v[110:111], s[6:7], v[104:105], v[104:105], v[102:103]
	v_div_scale_f64 v[60:61], vcc, v[102:103], v[104:105], v[102:103]
	v_rcp_f64_e32 v[112:113], v[110:111]
	v_fma_f64 v[58:59], -v[110:111], v[112:113], 1.0
	v_fma_f64 v[58:59], v[112:113], v[58:59], v[112:113]
	v_fma_f64 v[112:113], -v[110:111], v[58:59], 1.0
	v_fma_f64 v[58:59], v[58:59], v[112:113], v[58:59]
	v_mul_f64 v[112:113], v[60:61], v[58:59]
	v_fma_f64 v[60:61], -v[110:111], v[112:113], v[60:61]
	v_div_fmas_f64 v[58:59], v[60:61], v[58:59], v[112:113]
	v_div_fixup_f64 v[58:59], v[58:59], v[104:105], v[102:103]
	v_fma_f64 v[60:61], v[102:103], v[58:59], v[104:105]
	v_div_scale_f64 v[102:103], s[6:7], v[60:61], v[60:61], 1.0
	v_div_scale_f64 v[112:113], vcc, 1.0, v[60:61], 1.0
	v_rcp_f64_e32 v[104:105], v[102:103]
	v_fma_f64 v[110:111], -v[102:103], v[104:105], 1.0
	v_fma_f64 v[104:105], v[104:105], v[110:111], v[104:105]
	v_fma_f64 v[110:111], -v[102:103], v[104:105], 1.0
	v_fma_f64 v[104:105], v[104:105], v[110:111], v[104:105]
	v_mul_f64 v[110:111], v[112:113], v[104:105]
	v_fma_f64 v[102:103], -v[102:103], v[110:111], v[112:113]
	v_div_fmas_f64 v[102:103], v[102:103], v[104:105], v[110:111]
	v_div_fixup_f64 v[112:113], v[102:103], v[60:61], 1.0
                                        ; implicit-def: $vgpr102_vgpr103
	v_mul_f64 v[110:111], v[58:59], v[112:113]
	v_xor_b32_e32 v113, 0x80000000, v113
.LBB27_113:
	s_andn2_saveexec_b64 s[2:3], s[2:3]
	s_cbranch_execz .LBB27_115
; %bb.114:
	v_div_scale_f64 v[58:59], s[6:7], v[102:103], v[102:103], v[104:105]
	v_rcp_f64_e32 v[60:61], v[58:59]
	v_fma_f64 v[110:111], -v[58:59], v[60:61], 1.0
	v_fma_f64 v[60:61], v[60:61], v[110:111], v[60:61]
	v_div_scale_f64 v[110:111], vcc, v[104:105], v[102:103], v[104:105]
	v_fma_f64 v[112:113], -v[58:59], v[60:61], 1.0
	v_fma_f64 v[60:61], v[60:61], v[112:113], v[60:61]
	v_mul_f64 v[112:113], v[110:111], v[60:61]
	v_fma_f64 v[58:59], -v[58:59], v[112:113], v[110:111]
	v_div_fmas_f64 v[58:59], v[58:59], v[60:61], v[112:113]
	v_div_fixup_f64 v[58:59], v[58:59], v[102:103], v[104:105]
	v_fma_f64 v[60:61], v[104:105], v[58:59], v[102:103]
	v_div_scale_f64 v[102:103], s[6:7], v[60:61], v[60:61], 1.0
	v_div_scale_f64 v[112:113], vcc, 1.0, v[60:61], 1.0
	v_rcp_f64_e32 v[104:105], v[102:103]
	v_fma_f64 v[110:111], -v[102:103], v[104:105], 1.0
	v_fma_f64 v[104:105], v[104:105], v[110:111], v[104:105]
	v_fma_f64 v[110:111], -v[102:103], v[104:105], 1.0
	v_fma_f64 v[104:105], v[104:105], v[110:111], v[104:105]
	v_mul_f64 v[110:111], v[112:113], v[104:105]
	v_fma_f64 v[102:103], -v[102:103], v[110:111], v[112:113]
	v_div_fmas_f64 v[102:103], v[102:103], v[104:105], v[110:111]
	v_div_fixup_f64 v[110:111], v[102:103], v[60:61], 1.0
	v_mul_f64 v[112:113], v[58:59], -v[110:111]
.LBB27_115:
	s_or_b64 exec, exec, s[2:3]
	ds_write2_b64 v1, v[110:111], v[112:113] offset1:1
.LBB27_116:
	s_or_b64 exec, exec, s[4:5]
	s_waitcnt lgkmcnt(0)
	s_barrier
	ds_read2_b64 v[110:113], v1 offset1:1
	v_cmp_lt_u32_e32 vcc, 12, v0
	s_and_saveexec_b64 s[2:3], vcc
	s_cbranch_execz .LBB27_118
; %bb.117:
	s_waitcnt lgkmcnt(0)
	v_mul_f64 v[58:59], v[110:111], v[4:5]
	v_mul_f64 v[4:5], v[112:113], v[4:5]
	ds_read2_b64 v[102:105], v116 offset0:26 offset1:27
	v_fma_f64 v[58:59], v[112:113], v[2:3], v[58:59]
	v_fma_f64 v[2:3], v[110:111], v[2:3], -v[4:5]
	s_waitcnt lgkmcnt(0)
	v_mul_f64 v[4:5], v[104:105], v[58:59]
	v_mul_f64 v[60:61], v[102:103], v[58:59]
	v_fma_f64 v[4:5], v[102:103], v[2:3], -v[4:5]
	v_fma_f64 v[60:61], v[104:105], v[2:3], v[60:61]
	v_add_f64 v[26:27], v[26:27], -v[4:5]
	v_add_f64 v[28:29], v[28:29], -v[60:61]
	v_mov_b32_e32 v4, v58
	v_mov_b32_e32 v5, v59
.LBB27_118:
	s_or_b64 exec, exec, s[2:3]
	v_cmp_eq_u32_e32 vcc, 13, v0
	s_waitcnt lgkmcnt(0)
	s_barrier
	s_and_saveexec_b64 s[4:5], vcc
	s_cbranch_execz .LBB27_125
; %bb.119:
	v_cmp_neq_f64_e32 vcc, 0, v[26:27]
	v_cmp_neq_f64_e64 s[2:3], 0, v[28:29]
	ds_write2_b64 v1, v[26:27], v[28:29] offset1:1
	s_or_b64 s[2:3], vcc, s[2:3]
	s_and_b64 exec, exec, s[2:3]
	s_cbranch_execz .LBB27_125
; %bb.120:
	v_cmp_ngt_f64_e64 s[2:3], |v[26:27]|, |v[28:29]|
                                        ; implicit-def: $vgpr102_vgpr103
	s_and_saveexec_b64 s[6:7], s[2:3]
	s_xor_b64 s[2:3], exec, s[6:7]
                                        ; implicit-def: $vgpr104_vgpr105
	s_cbranch_execz .LBB27_122
; %bb.121:
	v_div_scale_f64 v[58:59], s[6:7], v[28:29], v[28:29], v[26:27]
	v_mov_b32_e32 v87, v85
	v_mov_b32_e32 v86, v84
	;; [unrolled: 1-line block ×14, first 2 shown]
	v_rcp_f64_e32 v[60:61], v[58:59]
	v_mov_b32_e32 v73, v71
	v_mov_b32_e32 v72, v70
	;; [unrolled: 1-line block ×14, first 2 shown]
	v_fma_f64 v[102:103], -v[58:59], v[60:61], 1.0
	v_fma_f64 v[60:61], v[60:61], v[102:103], v[60:61]
	v_div_scale_f64 v[102:103], vcc, v[26:27], v[28:29], v[26:27]
	v_fma_f64 v[104:105], -v[58:59], v[60:61], 1.0
	v_fma_f64 v[60:61], v[60:61], v[104:105], v[60:61]
	v_mul_f64 v[104:105], v[102:103], v[60:61]
	v_fma_f64 v[58:59], -v[58:59], v[104:105], v[102:103]
	v_div_fmas_f64 v[58:59], v[58:59], v[60:61], v[104:105]
	v_div_fixup_f64 v[58:59], v[58:59], v[28:29], v[26:27]
	v_fma_f64 v[60:61], v[26:27], v[58:59], v[28:29]
	v_div_scale_f64 v[102:103], s[6:7], v[60:61], v[60:61], 1.0
	v_div_scale_f64 v[118:119], vcc, 1.0, v[60:61], 1.0
	v_rcp_f64_e32 v[104:105], v[102:103]
	v_fma_f64 v[116:117], -v[102:103], v[104:105], 1.0
	v_fma_f64 v[104:105], v[104:105], v[116:117], v[104:105]
	v_fma_f64 v[116:117], -v[102:103], v[104:105], 1.0
	v_fma_f64 v[104:105], v[104:105], v[116:117], v[104:105]
	v_mul_f64 v[116:117], v[118:119], v[104:105]
	v_fma_f64 v[102:103], -v[102:103], v[116:117], v[118:119]
	v_div_fmas_f64 v[102:103], v[102:103], v[104:105], v[116:117]
	v_mov_b32_e32 v117, v126
	v_mov_b32_e32 v118, v127
	;; [unrolled: 1-line block ×15, first 2 shown]
	v_div_fixup_f64 v[104:105], v[102:103], v[60:61], 1.0
	v_mov_b32_e32 v73, v75
	v_mov_b32_e32 v74, v76
	;; [unrolled: 1-line block ×7, first 2 shown]
	v_mul_f64 v[102:103], v[58:59], v[104:105]
	v_mov_b32_e32 v80, v82
	v_mov_b32_e32 v81, v83
	;; [unrolled: 1-line block ×6, first 2 shown]
	v_xor_b32_e32 v105, 0x80000000, v105
.LBB27_122:
	s_andn2_saveexec_b64 s[2:3], s[2:3]
	s_cbranch_execz .LBB27_124
; %bb.123:
	v_div_scale_f64 v[58:59], s[6:7], v[26:27], v[26:27], v[28:29]
	v_mov_b32_e32 v87, v85
	v_mov_b32_e32 v86, v84
	;; [unrolled: 1-line block ×14, first 2 shown]
	v_rcp_f64_e32 v[60:61], v[58:59]
	v_mov_b32_e32 v73, v71
	v_mov_b32_e32 v72, v70
	;; [unrolled: 1-line block ×14, first 2 shown]
	v_fma_f64 v[102:103], -v[58:59], v[60:61], 1.0
	v_fma_f64 v[60:61], v[60:61], v[102:103], v[60:61]
	v_div_scale_f64 v[102:103], vcc, v[28:29], v[26:27], v[28:29]
	v_fma_f64 v[104:105], -v[58:59], v[60:61], 1.0
	v_fma_f64 v[60:61], v[60:61], v[104:105], v[60:61]
	v_mul_f64 v[104:105], v[102:103], v[60:61]
	v_fma_f64 v[58:59], -v[58:59], v[104:105], v[102:103]
	v_div_fmas_f64 v[58:59], v[58:59], v[60:61], v[104:105]
	v_div_fixup_f64 v[58:59], v[58:59], v[26:27], v[28:29]
	v_fma_f64 v[60:61], v[28:29], v[58:59], v[26:27]
	v_div_scale_f64 v[102:103], s[6:7], v[60:61], v[60:61], 1.0
	v_div_scale_f64 v[118:119], vcc, 1.0, v[60:61], 1.0
	v_rcp_f64_e32 v[104:105], v[102:103]
	v_fma_f64 v[116:117], -v[102:103], v[104:105], 1.0
	v_fma_f64 v[104:105], v[104:105], v[116:117], v[104:105]
	v_fma_f64 v[116:117], -v[102:103], v[104:105], 1.0
	v_fma_f64 v[104:105], v[104:105], v[116:117], v[104:105]
	v_mul_f64 v[116:117], v[118:119], v[104:105]
	v_fma_f64 v[102:103], -v[102:103], v[116:117], v[118:119]
	v_div_fmas_f64 v[102:103], v[102:103], v[104:105], v[116:117]
	v_mov_b32_e32 v117, v126
	v_mov_b32_e32 v118, v127
	v_mov_b32_e32 v127, v63
	v_mov_b32_e32 v126, v62
	v_mov_b32_e32 v62, v64
	v_mov_b32_e32 v63, v65
	v_mov_b32_e32 v64, v66
	v_mov_b32_e32 v65, v67
	v_mov_b32_e32 v66, v68
	v_mov_b32_e32 v67, v69
	v_mov_b32_e32 v68, v70
	v_mov_b32_e32 v69, v71
	v_mov_b32_e32 v70, v72
	v_mov_b32_e32 v71, v73
	v_mov_b32_e32 v72, v74
	v_div_fixup_f64 v[102:103], v[102:103], v[60:61], 1.0
	v_mov_b32_e32 v73, v75
	v_mov_b32_e32 v74, v76
	;; [unrolled: 1-line block ×7, first 2 shown]
	v_mul_f64 v[104:105], v[58:59], -v[102:103]
	v_mov_b32_e32 v80, v82
	v_mov_b32_e32 v81, v83
	;; [unrolled: 1-line block ×6, first 2 shown]
.LBB27_124:
	s_or_b64 exec, exec, s[2:3]
	ds_write2_b64 v1, v[102:103], v[104:105] offset1:1
.LBB27_125:
	s_or_b64 exec, exec, s[4:5]
	s_waitcnt lgkmcnt(0)
	s_barrier
	ds_read2_b64 v[102:105], v1 offset1:1
	s_waitcnt lgkmcnt(0)
	s_barrier
	s_and_saveexec_b64 s[2:3], s[0:1]
	s_cbranch_execz .LBB27_128
; %bb.126:
	buffer_load_dword v58, off, s[20:23], 0 offset:88 ; 4-byte Folded Reload
	buffer_load_dword v59, off, s[20:23], 0 offset:92 ; 4-byte Folded Reload
	;; [unrolled: 1-line block ×4, first 2 shown]
	s_waitcnt vmcnt(2)
	v_cmp_eq_f64_e32 vcc, 0, v[58:59]
	v_lshlrev_b64 v[58:59], 2, v[114:115]
	s_waitcnt vmcnt(0)
	v_cmp_eq_f64_e64 s[0:1], 0, v[60:61]
	v_mov_b32_e32 v60, s11
	s_and_b64 s[4:5], vcc, s[0:1]
	v_cmp_neq_f64_e32 vcc, 0, v[62:63]
	v_cmp_neq_f64_e64 s[0:1], 0, v[64:65]
	v_cndmask_b32_e64 v1, 0, 1, s[4:5]
	s_or_b64 s[0:1], vcc, s[0:1]
	s_or_b64 vcc, s[0:1], s[4:5]
	v_cndmask_b32_e32 v1, 2, v1, vcc
	v_cmp_eq_f64_e32 vcc, 0, v[66:67]
	v_cmp_eq_f64_e64 s[0:1], 0, v[68:69]
	s_and_b64 s[0:1], vcc, s[0:1]
	v_cmp_eq_u32_e32 vcc, 0, v1
	s_and_b64 s[0:1], s[0:1], vcc
	v_cndmask_b32_e64 v1, v1, 3, s[0:1]
	v_cmp_eq_f64_e32 vcc, 0, v[70:71]
	v_cmp_eq_f64_e64 s[0:1], 0, v[72:73]
	s_and_b64 s[0:1], vcc, s[0:1]
	v_cmp_eq_u32_e32 vcc, 0, v1
	s_and_b64 s[0:1], s[0:1], vcc
	v_cndmask_b32_e64 v1, v1, 4, s[0:1]
	;; [unrolled: 6-line block ×11, first 2 shown]
	v_cmp_eq_f64_e32 vcc, 0, v[102:103]
	v_cmp_eq_f64_e64 s[0:1], 0, v[104:105]
	s_and_b64 s[0:1], vcc, s[0:1]
	v_cmp_eq_u32_e32 vcc, 0, v1
	s_and_b64 s[0:1], s[0:1], vcc
	v_add_co_u32_e32 v58, vcc, s10, v58
	v_addc_co_u32_e32 v59, vcc, v60, v59, vcc
	global_load_dword v60, v[58:59], off
	v_cndmask_b32_e64 v1, v1, 14, s[0:1]
	v_cmp_ne_u32_e64 s[0:1], 0, v1
	s_waitcnt vmcnt(0)
	v_cmp_eq_u32_e32 vcc, 0, v60
	s_and_b64 s[0:1], vcc, s[0:1]
	s_and_b64 exec, exec, s[0:1]
	s_cbranch_execz .LBB27_128
; %bb.127:
	v_add_u32_e32 v1, s13, v1
	global_store_dword v[58:59], v1, off
.LBB27_128:
	s_or_b64 exec, exec, s[2:3]
	buffer_load_dword v54, off, s[20:23], 0 ; 4-byte Folded Reload
	buffer_load_dword v55, off, s[20:23], 0 offset:4 ; 4-byte Folded Reload
	buffer_load_dword v56, off, s[20:23], 0 offset:8 ; 4-byte Folded Reload
	;; [unrolled: 1-line block ×3, first 2 shown]
	v_cmp_lt_u32_e32 vcc, 13, v0
	v_mul_f64 v[58:59], v[102:103], v[28:29]
	v_mul_f64 v[60:61], v[104:105], v[28:29]
	s_waitcnt vmcnt(0)
	global_store_dwordx4 v[124:125], v[54:57], off
	buffer_load_dword v54, off, s[20:23], 0 offset:80 ; 4-byte Folded Reload
	s_nop 0
	buffer_load_dword v55, off, s[20:23], 0 offset:84 ; 4-byte Folded Reload
	s_waitcnt vmcnt(0)
	global_store_dwordx4 v[54:55], v[50:53], off
	buffer_load_dword v50, off, s[20:23], 0 offset:112 ; 4-byte Folded Reload
	s_nop 0
	buffer_load_dword v51, off, s[20:23], 0 offset:116 ; 4-byte Folded Reload
	;; [unrolled: 5-line block ×3, first 2 shown]
	v_fma_f64 v[46:47], v[104:105], v[26:27], v[58:59]
	s_waitcnt vmcnt(0)
	global_store_dwordx4 v[48:49], v[42:45], off
	global_store_dwordx4 v[117:118], v[38:41], off
	;; [unrolled: 1-line block ×3, first 2 shown]
	buffer_load_dword v34, off, s[20:23], 0 offset:16 ; 4-byte Folded Reload
	s_nop 0
	buffer_load_dword v35, off, s[20:23], 0 offset:20 ; 4-byte Folded Reload
	v_fma_f64 v[42:43], v[102:103], v[26:27], -v[60:61]
	s_waitcnt vmcnt(0)
	global_store_dwordx4 v[34:35], v[30:33], off
	buffer_load_dword v30, off, s[20:23], 0 offset:24 ; 4-byte Folded Reload
	s_nop 0
	buffer_load_dword v31, off, s[20:23], 0 offset:28 ; 4-byte Folded Reload
	s_waitcnt vmcnt(0)
	global_store_dwordx4 v[30:31], v[22:25], off
	buffer_load_dword v0, off, s[20:23], 0 offset:32 ; 4-byte Folded Reload
	buffer_load_dword v1, off, s[20:23], 0 offset:36 ; 4-byte Folded Reload
	v_cndmask_b32_e32 v25, v29, v47, vcc
	v_cndmask_b32_e32 v24, v28, v46, vcc
	;; [unrolled: 1-line block ×4, first 2 shown]
	s_waitcnt vmcnt(0)
	global_store_dwordx4 v[0:1], v[18:21], off
	buffer_load_dword v0, off, s[20:23], 0 offset:40 ; 4-byte Folded Reload
	s_nop 0
	buffer_load_dword v1, off, s[20:23], 0 offset:44 ; 4-byte Folded Reload
	s_waitcnt vmcnt(0)
	global_store_dwordx4 v[0:1], v[14:17], off
	buffer_load_dword v0, off, s[20:23], 0 offset:48 ; 4-byte Folded Reload
	s_nop 0
	buffer_load_dword v1, off, s[20:23], 0 offset:52 ; 4-byte Folded Reload
	;; [unrolled: 5-line block ×5, first 2 shown]
	s_waitcnt vmcnt(0)
	global_store_dwordx4 v[0:1], v[22:25], off
.LBB27_129:
	s_endpgm
	.section	.rodata,"a",@progbits
	.p2align	6, 0x0
	.amdhsa_kernel _ZN9rocsolver6v33100L23getf2_npvt_small_kernelILi14E19rocblas_complex_numIdEiiPS3_EEvT1_T3_lS5_lPT2_S5_S5_
		.amdhsa_group_segment_fixed_size 0
		.amdhsa_private_segment_fixed_size 124
		.amdhsa_kernarg_size 312
		.amdhsa_user_sgpr_count 6
		.amdhsa_user_sgpr_private_segment_buffer 1
		.amdhsa_user_sgpr_dispatch_ptr 0
		.amdhsa_user_sgpr_queue_ptr 0
		.amdhsa_user_sgpr_kernarg_segment_ptr 1
		.amdhsa_user_sgpr_dispatch_id 0
		.amdhsa_user_sgpr_flat_scratch_init 0
		.amdhsa_user_sgpr_private_segment_size 0
		.amdhsa_uses_dynamic_stack 0
		.amdhsa_system_sgpr_private_segment_wavefront_offset 1
		.amdhsa_system_sgpr_workgroup_id_x 1
		.amdhsa_system_sgpr_workgroup_id_y 1
		.amdhsa_system_sgpr_workgroup_id_z 0
		.amdhsa_system_sgpr_workgroup_info 0
		.amdhsa_system_vgpr_workitem_id 1
		.amdhsa_next_free_vgpr 128
		.amdhsa_next_free_sgpr 24
		.amdhsa_reserve_vcc 1
		.amdhsa_reserve_flat_scratch 0
		.amdhsa_float_round_mode_32 0
		.amdhsa_float_round_mode_16_64 0
		.amdhsa_float_denorm_mode_32 3
		.amdhsa_float_denorm_mode_16_64 3
		.amdhsa_dx10_clamp 1
		.amdhsa_ieee_mode 1
		.amdhsa_fp16_overflow 0
		.amdhsa_exception_fp_ieee_invalid_op 0
		.amdhsa_exception_fp_denorm_src 0
		.amdhsa_exception_fp_ieee_div_zero 0
		.amdhsa_exception_fp_ieee_overflow 0
		.amdhsa_exception_fp_ieee_underflow 0
		.amdhsa_exception_fp_ieee_inexact 0
		.amdhsa_exception_int_div_zero 0
	.end_amdhsa_kernel
	.section	.text._ZN9rocsolver6v33100L23getf2_npvt_small_kernelILi14E19rocblas_complex_numIdEiiPS3_EEvT1_T3_lS5_lPT2_S5_S5_,"axG",@progbits,_ZN9rocsolver6v33100L23getf2_npvt_small_kernelILi14E19rocblas_complex_numIdEiiPS3_EEvT1_T3_lS5_lPT2_S5_S5_,comdat
.Lfunc_end27:
	.size	_ZN9rocsolver6v33100L23getf2_npvt_small_kernelILi14E19rocblas_complex_numIdEiiPS3_EEvT1_T3_lS5_lPT2_S5_S5_, .Lfunc_end27-_ZN9rocsolver6v33100L23getf2_npvt_small_kernelILi14E19rocblas_complex_numIdEiiPS3_EEvT1_T3_lS5_lPT2_S5_S5_
                                        ; -- End function
	.set _ZN9rocsolver6v33100L23getf2_npvt_small_kernelILi14E19rocblas_complex_numIdEiiPS3_EEvT1_T3_lS5_lPT2_S5_S5_.num_vgpr, 128
	.set _ZN9rocsolver6v33100L23getf2_npvt_small_kernelILi14E19rocblas_complex_numIdEiiPS3_EEvT1_T3_lS5_lPT2_S5_S5_.num_agpr, 0
	.set _ZN9rocsolver6v33100L23getf2_npvt_small_kernelILi14E19rocblas_complex_numIdEiiPS3_EEvT1_T3_lS5_lPT2_S5_S5_.numbered_sgpr, 24
	.set _ZN9rocsolver6v33100L23getf2_npvt_small_kernelILi14E19rocblas_complex_numIdEiiPS3_EEvT1_T3_lS5_lPT2_S5_S5_.num_named_barrier, 0
	.set _ZN9rocsolver6v33100L23getf2_npvt_small_kernelILi14E19rocblas_complex_numIdEiiPS3_EEvT1_T3_lS5_lPT2_S5_S5_.private_seg_size, 124
	.set _ZN9rocsolver6v33100L23getf2_npvt_small_kernelILi14E19rocblas_complex_numIdEiiPS3_EEvT1_T3_lS5_lPT2_S5_S5_.uses_vcc, 1
	.set _ZN9rocsolver6v33100L23getf2_npvt_small_kernelILi14E19rocblas_complex_numIdEiiPS3_EEvT1_T3_lS5_lPT2_S5_S5_.uses_flat_scratch, 0
	.set _ZN9rocsolver6v33100L23getf2_npvt_small_kernelILi14E19rocblas_complex_numIdEiiPS3_EEvT1_T3_lS5_lPT2_S5_S5_.has_dyn_sized_stack, 0
	.set _ZN9rocsolver6v33100L23getf2_npvt_small_kernelILi14E19rocblas_complex_numIdEiiPS3_EEvT1_T3_lS5_lPT2_S5_S5_.has_recursion, 0
	.set _ZN9rocsolver6v33100L23getf2_npvt_small_kernelILi14E19rocblas_complex_numIdEiiPS3_EEvT1_T3_lS5_lPT2_S5_S5_.has_indirect_call, 0
	.section	.AMDGPU.csdata,"",@progbits
; Kernel info:
; codeLenInByte = 16532
; TotalNumSgprs: 28
; NumVgprs: 128
; ScratchSize: 124
; MemoryBound: 1
; FloatMode: 240
; IeeeMode: 1
; LDSByteSize: 0 bytes/workgroup (compile time only)
; SGPRBlocks: 3
; VGPRBlocks: 31
; NumSGPRsForWavesPerEU: 28
; NumVGPRsForWavesPerEU: 128
; Occupancy: 2
; WaveLimiterHint : 0
; COMPUTE_PGM_RSRC2:SCRATCH_EN: 1
; COMPUTE_PGM_RSRC2:USER_SGPR: 6
; COMPUTE_PGM_RSRC2:TRAP_HANDLER: 0
; COMPUTE_PGM_RSRC2:TGID_X_EN: 1
; COMPUTE_PGM_RSRC2:TGID_Y_EN: 1
; COMPUTE_PGM_RSRC2:TGID_Z_EN: 0
; COMPUTE_PGM_RSRC2:TIDIG_COMP_CNT: 1
	.section	.text._ZN9rocsolver6v33100L18getf2_small_kernelILi15E19rocblas_complex_numIdEiiPS3_EEvT1_T3_lS5_lPS5_llPT2_S5_S5_S7_l,"axG",@progbits,_ZN9rocsolver6v33100L18getf2_small_kernelILi15E19rocblas_complex_numIdEiiPS3_EEvT1_T3_lS5_lPS5_llPT2_S5_S5_S7_l,comdat
	.globl	_ZN9rocsolver6v33100L18getf2_small_kernelILi15E19rocblas_complex_numIdEiiPS3_EEvT1_T3_lS5_lPS5_llPT2_S5_S5_S7_l ; -- Begin function _ZN9rocsolver6v33100L18getf2_small_kernelILi15E19rocblas_complex_numIdEiiPS3_EEvT1_T3_lS5_lPS5_llPT2_S5_S5_S7_l
	.p2align	8
	.type	_ZN9rocsolver6v33100L18getf2_small_kernelILi15E19rocblas_complex_numIdEiiPS3_EEvT1_T3_lS5_lPS5_llPT2_S5_S5_S7_l,@function
_ZN9rocsolver6v33100L18getf2_small_kernelILi15E19rocblas_complex_numIdEiiPS3_EEvT1_T3_lS5_lPS5_llPT2_S5_S5_S7_l: ; @_ZN9rocsolver6v33100L18getf2_small_kernelILi15E19rocblas_complex_numIdEiiPS3_EEvT1_T3_lS5_lPS5_llPT2_S5_S5_S7_l
; %bb.0:
	s_load_dword s0, s[4:5], 0x6c
	s_load_dwordx2 s[16:17], s[4:5], 0x48
	s_waitcnt lgkmcnt(0)
	s_lshr_b32 s0, s0, 16
	s_mul_i32 s7, s7, s0
	v_add_u32_e32 v66, s7, v1
	v_cmp_gt_i32_e32 vcc, s16, v66
	s_and_saveexec_b64 s[0:1], vcc
	s_cbranch_execz .LBB28_316
; %bb.1:
	s_load_dwordx4 s[0:3], s[4:5], 0x50
	v_mov_b32_e32 v68, 0
	v_ashrrev_i32_e32 v67, 31, v66
	v_mov_b32_e32 v69, 0
	s_waitcnt lgkmcnt(0)
	s_cmp_eq_u64 s[0:1], 0
	s_cselect_b64 s[18:19], -1, 0
	s_and_b64 vcc, exec, s[18:19]
	s_cbranch_vccnz .LBB28_3
; %bb.2:
	v_mul_lo_u32 v4, s3, v66
	v_mul_lo_u32 v5, s2, v67
	v_mad_u64_u32 v[2:3], s[2:3], s2, v66, 0
	v_add3_u32 v3, v3, v5, v4
	v_lshlrev_b64 v[2:3], 2, v[2:3]
	v_mov_b32_e32 v4, s1
	v_add_co_u32_e32 v68, vcc, s0, v2
	v_addc_co_u32_e32 v69, vcc, v4, v3, vcc
.LBB28_3:
	s_load_dwordx8 s[8:15], s[4:5], 0x20
	s_load_dwordx4 s[0:3], s[4:5], 0x8
	v_lshlrev_b32_e32 v72, 4, v0
	s_load_dwordx2 s[20:21], s[4:5], 0x40
	s_waitcnt lgkmcnt(0)
	v_mul_lo_u32 v4, s9, v66
	v_mul_lo_u32 v5, s8, v67
	v_mad_u64_u32 v[2:3], s[6:7], s8, v66, 0
	s_load_dword s6, s[4:5], 0x18
	s_load_dword s22, s[4:5], 0x0
	v_mov_b32_e32 v6, s1
	v_add3_u32 v3, v3, v5, v4
	v_lshlrev_b64 v[2:3], 4, v[2:3]
	s_waitcnt lgkmcnt(0)
	s_add_i32 s16, s6, s6
	v_add_co_u32_e32 v2, vcc, s0, v2
	v_addc_co_u32_e32 v3, vcc, v6, v3, vcc
	s_lshl_b64 s[0:1], s[2:3], 4
	v_mov_b32_e32 v4, s1
	v_add_co_u32_e32 v73, vcc, s0, v2
	v_add_u32_e32 v2, s16, v0
	v_addc_co_u32_e32 v74, vcc, v3, v4, vcc
	v_ashrrev_i32_e32 v3, 31, v2
	v_lshlrev_b64 v[3:4], 4, v[2:3]
	v_add_u32_e32 v5, s6, v2
	v_ashrrev_i32_e32 v6, 31, v5
	v_add_co_u32_e32 v3, vcc, v73, v3
	v_lshlrev_b64 v[6:7], 4, v[5:6]
	v_add_u32_e32 v8, s6, v5
	v_addc_co_u32_e32 v4, vcc, v74, v4, vcc
	v_ashrrev_i32_e32 v9, 31, v8
	v_add_co_u32_e32 v6, vcc, v73, v6
	v_lshlrev_b64 v[9:10], 4, v[8:9]
	v_add_u32_e32 v11, s6, v8
	v_addc_co_u32_e32 v7, vcc, v74, v7, vcc
	;; [unrolled: 5-line block ×5, first 2 shown]
	v_ashrrev_i32_e32 v21, 31, v20
	v_add_co_u32_e32 v18, vcc, v73, v18
	v_lshlrev_b64 v[21:22], 4, v[20:21]
	v_addc_co_u32_e32 v19, vcc, v74, v19, vcc
	v_add_u32_e32 v20, s6, v20
	v_add_co_u32_e32 v58, vcc, v73, v21
	v_ashrrev_i32_e32 v21, 31, v20
	v_addc_co_u32_e32 v59, vcc, v74, v22, vcc
	v_lshlrev_b64 v[21:22], 4, v[20:21]
	v_add_u32_e32 v20, s6, v20
	v_add_co_u32_e32 v60, vcc, v73, v21
	v_ashrrev_i32_e32 v21, 31, v20
	v_addc_co_u32_e32 v61, vcc, v74, v22, vcc
	v_lshlrev_b64 v[21:22], 4, v[20:21]
	;; [unrolled: 5-line block ×5, first 2 shown]
	v_add_u32_e32 v20, s6, v20
	v_add_co_u32_e32 v75, vcc, v73, v21
	v_ashrrev_i32_e32 v21, 31, v20
	v_lshlrev_b64 v[20:21], 4, v[20:21]
	v_addc_co_u32_e32 v76, vcc, v74, v22, vcc
	v_add_co_u32_e32 v77, vcc, v73, v20
	v_addc_co_u32_e32 v78, vcc, v74, v21, vcc
	v_add_co_u32_e32 v20, vcc, v73, v72
	s_ashr_i32 s7, s6, 31
	v_addc_co_u32_e32 v21, vcc, 0, v74, vcc
	s_lshl_b64 s[8:9], s[6:7], 4
	v_mov_b32_e32 v2, s9
	v_add_co_u32_e32 v22, vcc, s8, v20
	v_addc_co_u32_e32 v23, vcc, v21, v2, vcc
	global_load_dwordx4 v[54:57], v[20:21], off
	global_load_dwordx4 v[50:53], v[22:23], off
	;; [unrolled: 1-line block ×6, first 2 shown]
                                        ; kill: killed $vgpr6 killed $vgpr7
                                        ; kill: killed $vgpr12 killed $vgpr13
                                        ; kill: killed $vgpr20 killed $vgpr21
                                        ; kill: killed $vgpr3 killed $vgpr4
                                        ; kill: killed $vgpr22 killed $vgpr23
                                        ; kill: killed $vgpr9 killed $vgpr10
	global_load_dwordx4 v[30:33], v[15:16], off
	global_load_dwordx4 v[26:29], v[18:19], off
	;; [unrolled: 1-line block ×3, first 2 shown]
                                        ; kill: killed $vgpr18 killed $vgpr19
                                        ; kill: killed $vgpr15 killed $vgpr16
                                        ; kill: killed $vgpr58 killed $vgpr59
	s_nop 0
	global_load_dwordx4 v[18:21], v[60:61], off
	global_load_dwordx4 v[14:17], v[62:63], off
	;; [unrolled: 1-line block ×5, first 2 shown]
	s_nop 0
	global_load_dwordx4 v[58:61], v[77:78], off
	s_max_i32 s0, s22, 15
	v_mul_lo_u32 v70, s0, v1
	s_cmp_lt_i32 s22, 2
	v_lshl_add_u32 v1, v70, 4, 0
	v_add_u32_e32 v62, v1, v72
	v_lshlrev_b32_e32 v76, 4, v70
	v_mov_b32_e32 v70, 0
	s_waitcnt vmcnt(14)
	ds_write2_b64 v62, v[54:55], v[56:57] offset1:1
	s_waitcnt vmcnt(0) lgkmcnt(0)
	s_barrier
	ds_read2_b64 v[62:65], v1 offset1:1
	s_cbranch_scc1 .LBB28_6
; %bb.4:
	v_add3_u32 v71, v76, 0, 16
	s_mov_b32 s7, 1
	v_mov_b32_e32 v70, 0
.LBB28_5:                               ; =>This Inner Loop Header: Depth=1
	ds_read2_b64 v[77:80], v71 offset1:1
	s_waitcnt lgkmcnt(1)
	v_cmp_gt_f64_e32 vcc, 0, v[64:65]
	v_cmp_gt_f64_e64 s[0:1], 0, v[62:63]
	v_xor_b32_e32 v72, 0x80000000, v63
	v_xor_b32_e32 v75, 0x80000000, v65
	s_waitcnt lgkmcnt(0)
	v_cmp_gt_f64_e64 s[2:3], 0, v[77:78]
	v_cmp_gt_f64_e64 s[4:5], 0, v[79:80]
	v_xor_b32_e32 v86, 0x80000000, v78
	v_xor_b32_e32 v88, 0x80000000, v80
	v_mov_b32_e32 v81, v62
	v_mov_b32_e32 v83, v64
	;; [unrolled: 1-line block ×4, first 2 shown]
	v_cndmask_b32_e64 v82, v63, v72, s[0:1]
	v_cndmask_b32_e32 v84, v65, v75, vcc
	v_cndmask_b32_e64 v86, v78, v86, s[2:3]
	v_cndmask_b32_e64 v88, v80, v88, s[4:5]
	v_add_f64 v[81:82], v[81:82], v[83:84]
	v_add_f64 v[83:84], v[85:86], v[87:88]
	v_mov_b32_e32 v72, s7
	s_add_i32 s7, s7, 1
	v_add_u32_e32 v71, 16, v71
	s_cmp_eq_u32 s22, s7
	v_cmp_lt_f64_e32 vcc, v[81:82], v[83:84]
	v_cndmask_b32_e32 v63, v63, v78, vcc
	v_cndmask_b32_e32 v62, v62, v77, vcc
	;; [unrolled: 1-line block ×5, first 2 shown]
	s_cbranch_scc0 .LBB28_5
.LBB28_6:
	s_waitcnt lgkmcnt(0)
	v_cmp_neq_f64_e32 vcc, 0, v[62:63]
	v_cmp_neq_f64_e64 s[0:1], 0, v[64:65]
	v_mov_b32_e32 v75, 1
	v_mov_b32_e32 v77, 1
	s_or_b64 s[2:3], vcc, s[0:1]
	s_and_saveexec_b64 s[0:1], s[2:3]
	s_cbranch_execz .LBB28_12
; %bb.7:
	v_cmp_ngt_f64_e64 s[2:3], |v[62:63]|, |v[64:65]|
	s_and_saveexec_b64 s[4:5], s[2:3]
	s_xor_b64 s[2:3], exec, s[4:5]
	s_cbranch_execz .LBB28_9
; %bb.8:
	v_div_scale_f64 v[71:72], s[4:5], v[64:65], v[64:65], v[62:63]
	v_rcp_f64_e32 v[77:78], v[71:72]
	v_fma_f64 v[79:80], -v[71:72], v[77:78], 1.0
	v_fma_f64 v[77:78], v[77:78], v[79:80], v[77:78]
	v_div_scale_f64 v[79:80], vcc, v[62:63], v[64:65], v[62:63]
	v_fma_f64 v[81:82], -v[71:72], v[77:78], 1.0
	v_fma_f64 v[77:78], v[77:78], v[81:82], v[77:78]
	v_mul_f64 v[81:82], v[79:80], v[77:78]
	v_fma_f64 v[71:72], -v[71:72], v[81:82], v[79:80]
	v_div_fmas_f64 v[71:72], v[71:72], v[77:78], v[81:82]
	v_div_fixup_f64 v[71:72], v[71:72], v[64:65], v[62:63]
	v_fma_f64 v[62:63], v[62:63], v[71:72], v[64:65]
	v_div_scale_f64 v[64:65], s[4:5], v[62:63], v[62:63], 1.0
	v_div_scale_f64 v[81:82], vcc, 1.0, v[62:63], 1.0
	v_rcp_f64_e32 v[77:78], v[64:65]
	v_fma_f64 v[79:80], -v[64:65], v[77:78], 1.0
	v_fma_f64 v[77:78], v[77:78], v[79:80], v[77:78]
	v_fma_f64 v[79:80], -v[64:65], v[77:78], 1.0
	v_fma_f64 v[77:78], v[77:78], v[79:80], v[77:78]
	v_mul_f64 v[79:80], v[81:82], v[77:78]
	v_fma_f64 v[64:65], -v[64:65], v[79:80], v[81:82]
	v_div_fmas_f64 v[64:65], v[64:65], v[77:78], v[79:80]
	v_div_fixup_f64 v[64:65], v[64:65], v[62:63], 1.0
	v_mul_f64 v[62:63], v[71:72], v[64:65]
	v_xor_b32_e32 v65, 0x80000000, v65
.LBB28_9:
	s_andn2_saveexec_b64 s[2:3], s[2:3]
	s_cbranch_execz .LBB28_11
; %bb.10:
	v_div_scale_f64 v[71:72], s[4:5], v[62:63], v[62:63], v[64:65]
	v_rcp_f64_e32 v[77:78], v[71:72]
	v_fma_f64 v[79:80], -v[71:72], v[77:78], 1.0
	v_fma_f64 v[77:78], v[77:78], v[79:80], v[77:78]
	v_div_scale_f64 v[79:80], vcc, v[64:65], v[62:63], v[64:65]
	v_fma_f64 v[81:82], -v[71:72], v[77:78], 1.0
	v_fma_f64 v[77:78], v[77:78], v[81:82], v[77:78]
	v_mul_f64 v[81:82], v[79:80], v[77:78]
	v_fma_f64 v[71:72], -v[71:72], v[81:82], v[79:80]
	v_div_fmas_f64 v[71:72], v[71:72], v[77:78], v[81:82]
	v_div_fixup_f64 v[71:72], v[71:72], v[62:63], v[64:65]
	v_fma_f64 v[62:63], v[64:65], v[71:72], v[62:63]
	v_div_scale_f64 v[64:65], s[4:5], v[62:63], v[62:63], 1.0
	v_div_scale_f64 v[81:82], vcc, 1.0, v[62:63], 1.0
	v_rcp_f64_e32 v[77:78], v[64:65]
	v_fma_f64 v[79:80], -v[64:65], v[77:78], 1.0
	v_fma_f64 v[77:78], v[77:78], v[79:80], v[77:78]
	v_fma_f64 v[79:80], -v[64:65], v[77:78], 1.0
	v_fma_f64 v[77:78], v[77:78], v[79:80], v[77:78]
	v_mul_f64 v[79:80], v[81:82], v[77:78]
	v_fma_f64 v[64:65], -v[64:65], v[79:80], v[81:82]
	v_div_fmas_f64 v[64:65], v[64:65], v[77:78], v[79:80]
	v_div_fixup_f64 v[62:63], v[64:65], v[62:63], 1.0
	v_mul_f64 v[64:65], v[71:72], -v[62:63]
.LBB28_11:
	s_or_b64 exec, exec, s[2:3]
	v_mov_b32_e32 v77, 0
	v_mov_b32_e32 v75, 2
.LBB28_12:
	s_or_b64 exec, exec, s[0:1]
	v_cmp_ne_u32_e32 vcc, v0, v70
	s_and_saveexec_b64 s[0:1], vcc
	s_xor_b64 s[0:1], exec, s[0:1]
	s_cbranch_execz .LBB28_18
; %bb.13:
	v_cmp_eq_u32_e32 vcc, 0, v0
	s_and_saveexec_b64 s[2:3], vcc
	s_cbranch_execz .LBB28_17
; %bb.14:
	v_cmp_ne_u32_e32 vcc, 0, v70
	s_xor_b64 s[4:5], s[18:19], -1
	s_and_b64 s[24:25], s[4:5], vcc
	s_and_saveexec_b64 s[4:5], s[24:25]
	s_cbranch_execz .LBB28_16
; %bb.15:
	v_ashrrev_i32_e32 v71, 31, v70
	v_lshlrev_b64 v[71:72], 2, v[70:71]
	v_add_co_u32_e32 v71, vcc, v68, v71
	v_addc_co_u32_e32 v72, vcc, v69, v72, vcc
	global_load_dword v0, v[71:72], off
	global_load_dword v78, v[68:69], off
	s_waitcnt vmcnt(1)
	global_store_dword v[68:69], v0, off
	s_waitcnt vmcnt(1)
	global_store_dword v[71:72], v78, off
.LBB28_16:
	s_or_b64 exec, exec, s[4:5]
	v_mov_b32_e32 v0, v70
.LBB28_17:
	s_or_b64 exec, exec, s[2:3]
.LBB28_18:
	s_or_saveexec_b64 s[0:1], s[0:1]
	v_mov_b32_e32 v72, v0
	s_xor_b64 exec, exec, s[0:1]
	s_cbranch_execz .LBB28_20
; %bb.19:
	v_mov_b32_e32 v72, 0
	ds_write2_b64 v1, v[50:51], v[52:53] offset0:2 offset1:3
	ds_write2_b64 v1, v[46:47], v[48:49] offset0:4 offset1:5
	;; [unrolled: 1-line block ×14, first 2 shown]
.LBB28_20:
	s_or_b64 exec, exec, s[0:1]
	v_cmp_lt_i32_e32 vcc, 0, v72
	s_waitcnt vmcnt(0) lgkmcnt(0)
	s_barrier
	s_and_saveexec_b64 s[0:1], vcc
	s_cbranch_execz .LBB28_22
; %bb.21:
	v_mul_f64 v[70:71], v[62:63], v[56:57]
	v_mul_f64 v[102:103], v[64:65], v[56:57]
	ds_read2_b64 v[78:81], v1 offset0:2 offset1:3
	ds_read2_b64 v[82:85], v1 offset0:4 offset1:5
	;; [unrolled: 1-line block ×6, first 2 shown]
	v_fma_f64 v[56:57], v[64:65], v[54:55], v[70:71]
	v_fma_f64 v[54:55], v[62:63], v[54:55], -v[102:103]
	s_waitcnt lgkmcnt(5)
	v_mul_f64 v[62:63], v[80:81], v[56:57]
	s_waitcnt lgkmcnt(4)
	v_mul_f64 v[70:71], v[84:85], v[56:57]
	v_mul_f64 v[102:103], v[82:83], v[56:57]
	v_mul_f64 v[64:65], v[78:79], v[56:57]
	s_waitcnt lgkmcnt(3)
	v_mul_f64 v[104:105], v[88:89], v[56:57]
	v_mul_f64 v[106:107], v[86:87], v[56:57]
	s_waitcnt lgkmcnt(2)
	v_mul_f64 v[110:111], v[90:91], v[56:57]
	s_waitcnt lgkmcnt(1)
	v_mul_f64 v[112:113], v[96:97], v[56:57]
	v_fma_f64 v[62:63], v[78:79], v[54:55], -v[62:63]
	v_mul_f64 v[114:115], v[94:95], v[56:57]
	v_fma_f64 v[70:71], v[82:83], v[54:55], -v[70:71]
	v_fma_f64 v[78:79], v[84:85], v[54:55], v[102:103]
	v_mul_f64 v[108:109], v[92:93], v[56:57]
	s_waitcnt lgkmcnt(0)
	v_mul_f64 v[116:117], v[100:101], v[56:57]
	v_fma_f64 v[64:65], v[80:81], v[54:55], v[64:65]
	v_mul_f64 v[80:81], v[98:99], v[56:57]
	v_fma_f64 v[82:83], v[86:87], v[54:55], -v[104:105]
	v_fma_f64 v[84:85], v[88:89], v[54:55], v[106:107]
	v_add_f64 v[50:51], v[50:51], -v[62:63]
	v_fma_f64 v[62:63], v[92:93], v[54:55], v[110:111]
	v_add_f64 v[46:47], v[46:47], -v[70:71]
	v_add_f64 v[48:49], v[48:49], -v[78:79]
	v_fma_f64 v[70:71], v[94:95], v[54:55], -v[112:113]
	v_fma_f64 v[78:79], v[96:97], v[54:55], v[114:115]
	v_fma_f64 v[86:87], v[90:91], v[54:55], -v[108:109]
	v_add_f64 v[52:53], v[52:53], -v[64:65]
	v_add_f64 v[42:43], v[42:43], -v[82:83]
	v_fma_f64 v[82:83], v[98:99], v[54:55], -v[116:117]
	v_add_f64 v[44:45], v[44:45], -v[84:85]
	v_fma_f64 v[84:85], v[100:101], v[54:55], v[80:81]
	v_add_f64 v[40:41], v[40:41], -v[62:63]
	ds_read2_b64 v[62:65], v1 offset0:14 offset1:15
	v_add_f64 v[34:35], v[34:35], -v[70:71]
	v_add_f64 v[36:37], v[36:37], -v[78:79]
	ds_read2_b64 v[78:81], v1 offset0:16 offset1:17
	v_add_f64 v[38:39], v[38:39], -v[86:87]
	s_waitcnt lgkmcnt(1)
	v_mul_f64 v[70:71], v[64:65], v[56:57]
	v_add_f64 v[30:31], v[30:31], -v[82:83]
	v_add_f64 v[32:33], v[32:33], -v[84:85]
	ds_read2_b64 v[82:85], v1 offset0:18 offset1:19
	ds_read2_b64 v[86:89], v1 offset0:20 offset1:21
	v_mul_f64 v[90:91], v[62:63], v[56:57]
	s_waitcnt lgkmcnt(2)
	v_mul_f64 v[92:93], v[80:81], v[56:57]
	v_mul_f64 v[94:95], v[78:79], v[56:57]
	s_waitcnt lgkmcnt(1)
	v_mul_f64 v[96:97], v[84:85], v[56:57]
	v_fma_f64 v[62:63], v[62:63], v[54:55], -v[70:71]
	v_mul_f64 v[70:71], v[82:83], v[56:57]
	s_waitcnt lgkmcnt(0)
	v_mul_f64 v[98:99], v[88:89], v[56:57]
	v_mul_f64 v[100:101], v[86:87], v[56:57]
	v_fma_f64 v[64:65], v[64:65], v[54:55], v[90:91]
	v_fma_f64 v[78:79], v[78:79], v[54:55], -v[92:93]
	v_fma_f64 v[80:81], v[80:81], v[54:55], v[94:95]
	v_fma_f64 v[82:83], v[82:83], v[54:55], -v[96:97]
	v_add_f64 v[26:27], v[26:27], -v[62:63]
	v_fma_f64 v[70:71], v[84:85], v[54:55], v[70:71]
	v_fma_f64 v[84:85], v[86:87], v[54:55], -v[98:99]
	v_fma_f64 v[86:87], v[88:89], v[54:55], v[100:101]
	v_add_f64 v[28:29], v[28:29], -v[64:65]
	v_add_f64 v[22:23], v[22:23], -v[78:79]
	;; [unrolled: 1-line block ×4, first 2 shown]
	ds_read2_b64 v[62:65], v1 offset0:22 offset1:23
	ds_read2_b64 v[78:81], v1 offset0:24 offset1:25
	v_add_f64 v[14:15], v[14:15], -v[84:85]
	v_add_f64 v[16:17], v[16:17], -v[86:87]
	ds_read2_b64 v[82:85], v1 offset0:26 offset1:27
	ds_read2_b64 v[86:89], v1 offset0:28 offset1:29
	v_add_f64 v[20:21], v[20:21], -v[70:71]
	s_waitcnt lgkmcnt(3)
	v_mul_f64 v[70:71], v[64:65], v[56:57]
	v_mul_f64 v[90:91], v[62:63], v[56:57]
	s_waitcnt lgkmcnt(2)
	v_mul_f64 v[92:93], v[80:81], v[56:57]
	v_mul_f64 v[94:95], v[78:79], v[56:57]
	;; [unrolled: 3-line block ×4, first 2 shown]
	v_fma_f64 v[62:63], v[62:63], v[54:55], -v[70:71]
	v_fma_f64 v[64:65], v[64:65], v[54:55], v[90:91]
	v_fma_f64 v[70:71], v[78:79], v[54:55], -v[92:93]
	v_fma_f64 v[78:79], v[80:81], v[54:55], v[94:95]
	;; [unrolled: 2-line block ×4, first 2 shown]
	v_add_f64 v[10:11], v[10:11], -v[62:63]
	v_add_f64 v[12:13], v[12:13], -v[64:65]
	;; [unrolled: 1-line block ×8, first 2 shown]
.LBB28_22:
	s_or_b64 exec, exec, s[0:1]
	v_lshl_add_u32 v62, v72, 4, v1
	s_barrier
	ds_write2_b64 v62, v[50:51], v[52:53] offset1:1
	s_waitcnt lgkmcnt(0)
	s_barrier
	ds_read2_b64 v[62:65], v1 offset0:2 offset1:3
	s_cmp_lt_i32 s22, 3
	v_mov_b32_e32 v70, 1
	s_cbranch_scc1 .LBB28_25
; %bb.23:
	v_add3_u32 v71, v76, 0, 32
	s_mov_b32 s2, 2
	v_mov_b32_e32 v70, 1
.LBB28_24:                              ; =>This Inner Loop Header: Depth=1
	s_waitcnt lgkmcnt(0)
	v_cmp_gt_f64_e32 vcc, 0, v[64:65]
	v_cmp_gt_f64_e64 s[0:1], 0, v[62:63]
	ds_read2_b64 v[78:81], v71 offset1:1
	v_xor_b32_e32 v83, 0x80000000, v63
	v_xor_b32_e32 v85, 0x80000000, v65
	v_mov_b32_e32 v82, v62
	v_mov_b32_e32 v84, v64
	s_waitcnt lgkmcnt(0)
	v_xor_b32_e32 v87, 0x80000000, v81
	v_cndmask_b32_e32 v85, v65, v85, vcc
	v_cndmask_b32_e64 v83, v63, v83, s[0:1]
	v_cmp_gt_f64_e32 vcc, 0, v[80:81]
	v_cmp_gt_f64_e64 s[0:1], 0, v[78:79]
	v_add_f64 v[82:83], v[82:83], v[84:85]
	v_xor_b32_e32 v85, 0x80000000, v79
	v_mov_b32_e32 v84, v78
	v_mov_b32_e32 v86, v80
	v_add_u32_e32 v71, 16, v71
	v_cndmask_b32_e32 v87, v81, v87, vcc
	v_cndmask_b32_e64 v85, v79, v85, s[0:1]
	v_add_f64 v[84:85], v[84:85], v[86:87]
	v_mov_b32_e32 v86, s2
	s_add_i32 s2, s2, 1
	s_cmp_lg_u32 s22, s2
	v_cmp_lt_f64_e32 vcc, v[82:83], v[84:85]
	v_cndmask_b32_e32 v63, v63, v79, vcc
	v_cndmask_b32_e32 v62, v62, v78, vcc
	;; [unrolled: 1-line block ×5, first 2 shown]
	s_cbranch_scc1 .LBB28_24
.LBB28_25:
	s_waitcnt lgkmcnt(0)
	v_cmp_neq_f64_e32 vcc, 0, v[62:63]
	v_cmp_neq_f64_e64 s[0:1], 0, v[64:65]
	s_or_b64 s[2:3], vcc, s[0:1]
	s_and_saveexec_b64 s[0:1], s[2:3]
	s_cbranch_execz .LBB28_31
; %bb.26:
	v_cmp_ngt_f64_e64 s[2:3], |v[62:63]|, |v[64:65]|
	s_and_saveexec_b64 s[4:5], s[2:3]
	s_xor_b64 s[2:3], exec, s[4:5]
	s_cbranch_execz .LBB28_28
; %bb.27:
	v_div_scale_f64 v[78:79], s[4:5], v[64:65], v[64:65], v[62:63]
	v_rcp_f64_e32 v[80:81], v[78:79]
	v_fma_f64 v[82:83], -v[78:79], v[80:81], 1.0
	v_fma_f64 v[80:81], v[80:81], v[82:83], v[80:81]
	v_div_scale_f64 v[82:83], vcc, v[62:63], v[64:65], v[62:63]
	v_fma_f64 v[84:85], -v[78:79], v[80:81], 1.0
	v_fma_f64 v[80:81], v[80:81], v[84:85], v[80:81]
	v_mul_f64 v[84:85], v[82:83], v[80:81]
	v_fma_f64 v[78:79], -v[78:79], v[84:85], v[82:83]
	v_div_fmas_f64 v[78:79], v[78:79], v[80:81], v[84:85]
	v_div_fixup_f64 v[78:79], v[78:79], v[64:65], v[62:63]
	v_fma_f64 v[62:63], v[62:63], v[78:79], v[64:65]
	v_div_scale_f64 v[64:65], s[4:5], v[62:63], v[62:63], 1.0
	v_div_scale_f64 v[84:85], vcc, 1.0, v[62:63], 1.0
	v_rcp_f64_e32 v[80:81], v[64:65]
	v_fma_f64 v[82:83], -v[64:65], v[80:81], 1.0
	v_fma_f64 v[80:81], v[80:81], v[82:83], v[80:81]
	v_fma_f64 v[82:83], -v[64:65], v[80:81], 1.0
	v_fma_f64 v[80:81], v[80:81], v[82:83], v[80:81]
	v_mul_f64 v[82:83], v[84:85], v[80:81]
	v_fma_f64 v[64:65], -v[64:65], v[82:83], v[84:85]
	v_div_fmas_f64 v[64:65], v[64:65], v[80:81], v[82:83]
	v_div_fixup_f64 v[64:65], v[64:65], v[62:63], 1.0
	v_mul_f64 v[62:63], v[78:79], v[64:65]
	v_xor_b32_e32 v65, 0x80000000, v65
.LBB28_28:
	s_andn2_saveexec_b64 s[2:3], s[2:3]
	s_cbranch_execz .LBB28_30
; %bb.29:
	v_div_scale_f64 v[78:79], s[4:5], v[62:63], v[62:63], v[64:65]
	v_rcp_f64_e32 v[80:81], v[78:79]
	v_fma_f64 v[82:83], -v[78:79], v[80:81], 1.0
	v_fma_f64 v[80:81], v[80:81], v[82:83], v[80:81]
	v_div_scale_f64 v[82:83], vcc, v[64:65], v[62:63], v[64:65]
	v_fma_f64 v[84:85], -v[78:79], v[80:81], 1.0
	v_fma_f64 v[80:81], v[80:81], v[84:85], v[80:81]
	v_mul_f64 v[84:85], v[82:83], v[80:81]
	v_fma_f64 v[78:79], -v[78:79], v[84:85], v[82:83]
	v_div_fmas_f64 v[78:79], v[78:79], v[80:81], v[84:85]
	v_div_fixup_f64 v[78:79], v[78:79], v[62:63], v[64:65]
	v_fma_f64 v[62:63], v[64:65], v[78:79], v[62:63]
	v_div_scale_f64 v[64:65], s[4:5], v[62:63], v[62:63], 1.0
	v_div_scale_f64 v[84:85], vcc, 1.0, v[62:63], 1.0
	v_rcp_f64_e32 v[80:81], v[64:65]
	v_fma_f64 v[82:83], -v[64:65], v[80:81], 1.0
	v_fma_f64 v[80:81], v[80:81], v[82:83], v[80:81]
	v_fma_f64 v[82:83], -v[64:65], v[80:81], 1.0
	v_fma_f64 v[80:81], v[80:81], v[82:83], v[80:81]
	v_mul_f64 v[82:83], v[84:85], v[80:81]
	v_fma_f64 v[64:65], -v[64:65], v[82:83], v[84:85]
	v_div_fmas_f64 v[64:65], v[64:65], v[80:81], v[82:83]
	v_div_fixup_f64 v[62:63], v[64:65], v[62:63], 1.0
	v_mul_f64 v[64:65], v[78:79], -v[62:63]
.LBB28_30:
	s_or_b64 exec, exec, s[2:3]
	v_mov_b32_e32 v75, v77
.LBB28_31:
	s_or_b64 exec, exec, s[0:1]
	v_cmp_ne_u32_e32 vcc, v72, v70
	s_and_saveexec_b64 s[0:1], vcc
	s_xor_b64 s[0:1], exec, s[0:1]
	s_cbranch_execz .LBB28_37
; %bb.32:
	v_cmp_eq_u32_e32 vcc, 1, v72
	s_and_saveexec_b64 s[2:3], vcc
	s_cbranch_execz .LBB28_36
; %bb.33:
	v_cmp_ne_u32_e32 vcc, 1, v70
	s_xor_b64 s[4:5], s[18:19], -1
	s_and_b64 s[24:25], s[4:5], vcc
	s_and_saveexec_b64 s[4:5], s[24:25]
	s_cbranch_execz .LBB28_35
; %bb.34:
	v_ashrrev_i32_e32 v71, 31, v70
	v_lshlrev_b64 v[71:72], 2, v[70:71]
	v_add_co_u32_e32 v71, vcc, v68, v71
	v_addc_co_u32_e32 v72, vcc, v69, v72, vcc
	global_load_dword v0, v[71:72], off
	global_load_dword v77, v[68:69], off offset:4
	s_waitcnt vmcnt(1)
	global_store_dword v[68:69], v0, off offset:4
	s_waitcnt vmcnt(1)
	global_store_dword v[71:72], v77, off
.LBB28_35:
	s_or_b64 exec, exec, s[4:5]
	v_mov_b32_e32 v72, v70
	v_mov_b32_e32 v0, v70
.LBB28_36:
	s_or_b64 exec, exec, s[2:3]
.LBB28_37:
	s_andn2_saveexec_b64 s[0:1], s[0:1]
	s_cbranch_execz .LBB28_39
; %bb.38:
	v_mov_b32_e32 v72, 1
	ds_write2_b64 v1, v[46:47], v[48:49] offset0:4 offset1:5
	ds_write2_b64 v1, v[42:43], v[44:45] offset0:6 offset1:7
	;; [unrolled: 1-line block ×13, first 2 shown]
.LBB28_39:
	s_or_b64 exec, exec, s[0:1]
	v_cmp_lt_i32_e32 vcc, 1, v72
	s_waitcnt vmcnt(0) lgkmcnt(0)
	s_barrier
	s_and_saveexec_b64 s[0:1], vcc
	s_cbranch_execz .LBB28_41
; %bb.40:
	v_mul_f64 v[70:71], v[62:63], v[52:53]
	v_mul_f64 v[52:53], v[64:65], v[52:53]
	ds_read2_b64 v[77:80], v1 offset0:4 offset1:5
	ds_read2_b64 v[81:84], v1 offset0:6 offset1:7
	;; [unrolled: 1-line block ×6, first 2 shown]
	v_fma_f64 v[70:71], v[64:65], v[50:51], v[70:71]
	v_fma_f64 v[50:51], v[62:63], v[50:51], -v[52:53]
	s_waitcnt lgkmcnt(5)
	v_mul_f64 v[52:53], v[79:80], v[70:71]
	v_mul_f64 v[62:63], v[77:78], v[70:71]
	s_waitcnt lgkmcnt(4)
	v_mul_f64 v[64:65], v[83:84], v[70:71]
	v_mul_f64 v[101:102], v[81:82], v[70:71]
	;; [unrolled: 3-line block ×4, first 2 shown]
	s_waitcnt lgkmcnt(1)
	v_mul_f64 v[111:112], v[95:96], v[70:71]
	v_fma_f64 v[52:53], v[77:78], v[50:51], -v[52:53]
	v_fma_f64 v[62:63], v[79:80], v[50:51], v[62:63]
	v_fma_f64 v[64:65], v[81:82], v[50:51], -v[64:65]
	v_fma_f64 v[77:78], v[83:84], v[50:51], v[101:102]
	;; [unrolled: 2-line block ×3, first 2 shown]
	v_fma_f64 v[83:84], v[89:90], v[50:51], -v[107:108]
	v_mul_f64 v[113:114], v[93:94], v[70:71]
	v_fma_f64 v[85:86], v[91:92], v[50:51], v[109:110]
	v_fma_f64 v[87:88], v[93:94], v[50:51], -v[111:112]
	v_add_f64 v[48:49], v[48:49], -v[62:63]
	v_add_f64 v[42:43], v[42:43], -v[64:65]
	;; [unrolled: 1-line block ×6, first 2 shown]
	ds_read2_b64 v[62:65], v1 offset0:16 offset1:17
	ds_read2_b64 v[77:80], v1 offset0:18 offset1:19
	;; [unrolled: 1-line block ×3, first 2 shown]
	v_fma_f64 v[89:90], v[95:96], v[50:51], v[113:114]
	v_add_f64 v[36:37], v[36:37], -v[85:86]
	v_add_f64 v[30:31], v[30:31], -v[87:88]
	s_waitcnt lgkmcnt(2)
	v_mul_f64 v[91:92], v[64:65], v[70:71]
	v_mul_f64 v[93:94], v[62:63], v[70:71]
	s_waitcnt lgkmcnt(1)
	v_mul_f64 v[95:96], v[79:80], v[70:71]
	v_mul_f64 v[101:102], v[77:78], v[70:71]
	ds_read2_b64 v[85:88], v1 offset0:22 offset1:23
	s_waitcnt lgkmcnt(1)
	v_mul_f64 v[103:104], v[83:84], v[70:71]
	v_mul_f64 v[105:106], v[81:82], v[70:71]
	v_add_f64 v[46:47], v[46:47], -v[52:53]
	v_add_f64 v[32:33], v[32:33], -v[89:90]
	v_mul_f64 v[52:53], v[99:100], v[70:71]
	v_mul_f64 v[89:90], v[97:98], v[70:71]
	v_fma_f64 v[62:63], v[62:63], v[50:51], -v[91:92]
	v_fma_f64 v[64:65], v[64:65], v[50:51], v[93:94]
	v_fma_f64 v[77:78], v[77:78], v[50:51], -v[95:96]
	v_fma_f64 v[79:80], v[79:80], v[50:51], v[101:102]
	;; [unrolled: 2-line block ×4, first 2 shown]
	v_add_f64 v[22:23], v[22:23], -v[62:63]
	v_add_f64 v[24:25], v[24:25], -v[64:65]
	;; [unrolled: 1-line block ×6, first 2 shown]
	ds_read2_b64 v[62:65], v1 offset0:24 offset1:25
	ds_read2_b64 v[77:80], v1 offset0:26 offset1:27
	;; [unrolled: 1-line block ×3, first 2 shown]
	v_add_f64 v[26:27], v[26:27], -v[52:53]
	v_add_f64 v[28:29], v[28:29], -v[89:90]
	s_waitcnt lgkmcnt(3)
	v_mul_f64 v[52:53], v[87:88], v[70:71]
	v_mul_f64 v[89:90], v[85:86], v[70:71]
	s_waitcnt lgkmcnt(2)
	v_mul_f64 v[91:92], v[64:65], v[70:71]
	v_mul_f64 v[93:94], v[62:63], v[70:71]
	s_waitcnt lgkmcnt(1)
	v_mul_f64 v[95:96], v[79:80], v[70:71]
	v_mul_f64 v[97:98], v[77:78], v[70:71]
	s_waitcnt lgkmcnt(0)
	v_mul_f64 v[99:100], v[83:84], v[70:71]
	v_mul_f64 v[101:102], v[81:82], v[70:71]
	v_fma_f64 v[52:53], v[85:86], v[50:51], -v[52:53]
	v_fma_f64 v[85:86], v[87:88], v[50:51], v[89:90]
	v_fma_f64 v[62:63], v[62:63], v[50:51], -v[91:92]
	v_fma_f64 v[64:65], v[64:65], v[50:51], v[93:94]
	;; [unrolled: 2-line block ×4, first 2 shown]
	v_add_f64 v[10:11], v[10:11], -v[52:53]
	v_add_f64 v[12:13], v[12:13], -v[85:86]
	;; [unrolled: 1-line block ×8, first 2 shown]
	v_mov_b32_e32 v52, v70
	v_mov_b32_e32 v53, v71
.LBB28_41:
	s_or_b64 exec, exec, s[0:1]
	v_lshl_add_u32 v62, v72, 4, v1
	s_barrier
	ds_write2_b64 v62, v[46:47], v[48:49] offset1:1
	s_waitcnt lgkmcnt(0)
	s_barrier
	ds_read2_b64 v[62:65], v1 offset0:4 offset1:5
	s_cmp_lt_i32 s22, 4
	v_mov_b32_e32 v70, 2
	s_cbranch_scc1 .LBB28_44
; %bb.42:
	v_add3_u32 v71, v76, 0, 48
	s_mov_b32 s2, 3
	v_mov_b32_e32 v70, 2
.LBB28_43:                              ; =>This Inner Loop Header: Depth=1
	s_waitcnt lgkmcnt(0)
	v_cmp_gt_f64_e32 vcc, 0, v[64:65]
	v_cmp_gt_f64_e64 s[0:1], 0, v[62:63]
	ds_read2_b64 v[77:80], v71 offset1:1
	v_xor_b32_e32 v82, 0x80000000, v63
	v_xor_b32_e32 v84, 0x80000000, v65
	v_mov_b32_e32 v81, v62
	v_mov_b32_e32 v83, v64
	s_waitcnt lgkmcnt(0)
	v_xor_b32_e32 v86, 0x80000000, v80
	v_cndmask_b32_e32 v84, v65, v84, vcc
	v_cndmask_b32_e64 v82, v63, v82, s[0:1]
	v_cmp_gt_f64_e32 vcc, 0, v[79:80]
	v_cmp_gt_f64_e64 s[0:1], 0, v[77:78]
	v_add_f64 v[81:82], v[81:82], v[83:84]
	v_xor_b32_e32 v84, 0x80000000, v78
	v_mov_b32_e32 v83, v77
	v_mov_b32_e32 v85, v79
	v_add_u32_e32 v71, 16, v71
	v_cndmask_b32_e32 v86, v80, v86, vcc
	v_cndmask_b32_e64 v84, v78, v84, s[0:1]
	v_add_f64 v[83:84], v[83:84], v[85:86]
	v_mov_b32_e32 v85, s2
	s_add_i32 s2, s2, 1
	s_cmp_lg_u32 s22, s2
	v_cmp_lt_f64_e32 vcc, v[81:82], v[83:84]
	v_cndmask_b32_e32 v63, v63, v78, vcc
	v_cndmask_b32_e32 v62, v62, v77, vcc
	;; [unrolled: 1-line block ×5, first 2 shown]
	s_cbranch_scc1 .LBB28_43
.LBB28_44:
	s_waitcnt lgkmcnt(0)
	v_cmp_eq_f64_e32 vcc, 0, v[62:63]
	v_cmp_eq_f64_e64 s[0:1], 0, v[64:65]
	s_and_b64 s[0:1], vcc, s[0:1]
	s_and_saveexec_b64 s[2:3], s[0:1]
	s_xor_b64 s[0:1], exec, s[2:3]
; %bb.45:
	v_cmp_ne_u32_e32 vcc, 0, v75
	v_cndmask_b32_e32 v75, 3, v75, vcc
; %bb.46:
	s_andn2_saveexec_b64 s[0:1], s[0:1]
	s_cbranch_execz .LBB28_52
; %bb.47:
	v_cmp_ngt_f64_e64 s[2:3], |v[62:63]|, |v[64:65]|
	s_and_saveexec_b64 s[4:5], s[2:3]
	s_xor_b64 s[2:3], exec, s[4:5]
	s_cbranch_execz .LBB28_49
; %bb.48:
	v_div_scale_f64 v[77:78], s[4:5], v[64:65], v[64:65], v[62:63]
	v_rcp_f64_e32 v[79:80], v[77:78]
	v_fma_f64 v[81:82], -v[77:78], v[79:80], 1.0
	v_fma_f64 v[79:80], v[79:80], v[81:82], v[79:80]
	v_div_scale_f64 v[81:82], vcc, v[62:63], v[64:65], v[62:63]
	v_fma_f64 v[83:84], -v[77:78], v[79:80], 1.0
	v_fma_f64 v[79:80], v[79:80], v[83:84], v[79:80]
	v_mul_f64 v[83:84], v[81:82], v[79:80]
	v_fma_f64 v[77:78], -v[77:78], v[83:84], v[81:82]
	v_div_fmas_f64 v[77:78], v[77:78], v[79:80], v[83:84]
	v_div_fixup_f64 v[77:78], v[77:78], v[64:65], v[62:63]
	v_fma_f64 v[62:63], v[62:63], v[77:78], v[64:65]
	v_div_scale_f64 v[64:65], s[4:5], v[62:63], v[62:63], 1.0
	v_div_scale_f64 v[83:84], vcc, 1.0, v[62:63], 1.0
	v_rcp_f64_e32 v[79:80], v[64:65]
	v_fma_f64 v[81:82], -v[64:65], v[79:80], 1.0
	v_fma_f64 v[79:80], v[79:80], v[81:82], v[79:80]
	v_fma_f64 v[81:82], -v[64:65], v[79:80], 1.0
	v_fma_f64 v[79:80], v[79:80], v[81:82], v[79:80]
	v_mul_f64 v[81:82], v[83:84], v[79:80]
	v_fma_f64 v[64:65], -v[64:65], v[81:82], v[83:84]
	v_div_fmas_f64 v[64:65], v[64:65], v[79:80], v[81:82]
	v_div_fixup_f64 v[64:65], v[64:65], v[62:63], 1.0
	v_mul_f64 v[62:63], v[77:78], v[64:65]
	v_xor_b32_e32 v65, 0x80000000, v65
.LBB28_49:
	s_andn2_saveexec_b64 s[2:3], s[2:3]
	s_cbranch_execz .LBB28_51
; %bb.50:
	v_div_scale_f64 v[77:78], s[4:5], v[62:63], v[62:63], v[64:65]
	v_rcp_f64_e32 v[79:80], v[77:78]
	v_fma_f64 v[81:82], -v[77:78], v[79:80], 1.0
	v_fma_f64 v[79:80], v[79:80], v[81:82], v[79:80]
	v_div_scale_f64 v[81:82], vcc, v[64:65], v[62:63], v[64:65]
	v_fma_f64 v[83:84], -v[77:78], v[79:80], 1.0
	v_fma_f64 v[79:80], v[79:80], v[83:84], v[79:80]
	v_mul_f64 v[83:84], v[81:82], v[79:80]
	v_fma_f64 v[77:78], -v[77:78], v[83:84], v[81:82]
	v_div_fmas_f64 v[77:78], v[77:78], v[79:80], v[83:84]
	v_div_fixup_f64 v[77:78], v[77:78], v[62:63], v[64:65]
	v_fma_f64 v[62:63], v[64:65], v[77:78], v[62:63]
	v_div_scale_f64 v[64:65], s[4:5], v[62:63], v[62:63], 1.0
	v_div_scale_f64 v[83:84], vcc, 1.0, v[62:63], 1.0
	v_rcp_f64_e32 v[79:80], v[64:65]
	v_fma_f64 v[81:82], -v[64:65], v[79:80], 1.0
	v_fma_f64 v[79:80], v[79:80], v[81:82], v[79:80]
	v_fma_f64 v[81:82], -v[64:65], v[79:80], 1.0
	v_fma_f64 v[79:80], v[79:80], v[81:82], v[79:80]
	v_mul_f64 v[81:82], v[83:84], v[79:80]
	v_fma_f64 v[64:65], -v[64:65], v[81:82], v[83:84]
	v_div_fmas_f64 v[64:65], v[64:65], v[79:80], v[81:82]
	v_div_fixup_f64 v[62:63], v[64:65], v[62:63], 1.0
	v_mul_f64 v[64:65], v[77:78], -v[62:63]
.LBB28_51:
	s_or_b64 exec, exec, s[2:3]
.LBB28_52:
	s_or_b64 exec, exec, s[0:1]
	v_cmp_ne_u32_e32 vcc, v72, v70
	s_and_saveexec_b64 s[0:1], vcc
	s_xor_b64 s[0:1], exec, s[0:1]
	s_cbranch_execz .LBB28_58
; %bb.53:
	v_cmp_eq_u32_e32 vcc, 2, v72
	s_and_saveexec_b64 s[2:3], vcc
	s_cbranch_execz .LBB28_57
; %bb.54:
	v_cmp_ne_u32_e32 vcc, 2, v70
	s_xor_b64 s[4:5], s[18:19], -1
	s_and_b64 s[24:25], s[4:5], vcc
	s_and_saveexec_b64 s[4:5], s[24:25]
	s_cbranch_execz .LBB28_56
; %bb.55:
	v_ashrrev_i32_e32 v71, 31, v70
	v_lshlrev_b64 v[71:72], 2, v[70:71]
	v_add_co_u32_e32 v71, vcc, v68, v71
	v_addc_co_u32_e32 v72, vcc, v69, v72, vcc
	global_load_dword v0, v[71:72], off
	global_load_dword v77, v[68:69], off offset:8
	s_waitcnt vmcnt(1)
	global_store_dword v[68:69], v0, off offset:8
	s_waitcnt vmcnt(1)
	global_store_dword v[71:72], v77, off
.LBB28_56:
	s_or_b64 exec, exec, s[4:5]
	v_mov_b32_e32 v72, v70
	v_mov_b32_e32 v0, v70
.LBB28_57:
	s_or_b64 exec, exec, s[2:3]
.LBB28_58:
	s_andn2_saveexec_b64 s[0:1], s[0:1]
	s_cbranch_execz .LBB28_60
; %bb.59:
	v_mov_b32_e32 v72, 2
	ds_write2_b64 v1, v[42:43], v[44:45] offset0:6 offset1:7
	ds_write2_b64 v1, v[38:39], v[40:41] offset0:8 offset1:9
	;; [unrolled: 1-line block ×12, first 2 shown]
.LBB28_60:
	s_or_b64 exec, exec, s[0:1]
	v_cmp_lt_i32_e32 vcc, 2, v72
	s_waitcnt vmcnt(0) lgkmcnt(0)
	s_barrier
	s_and_saveexec_b64 s[0:1], vcc
	s_cbranch_execz .LBB28_62
; %bb.61:
	v_mul_f64 v[70:71], v[62:63], v[48:49]
	v_mul_f64 v[48:49], v[64:65], v[48:49]
	ds_read2_b64 v[77:80], v1 offset0:6 offset1:7
	ds_read2_b64 v[81:84], v1 offset0:8 offset1:9
	;; [unrolled: 1-line block ×6, first 2 shown]
	v_fma_f64 v[70:71], v[64:65], v[46:47], v[70:71]
	v_fma_f64 v[46:47], v[62:63], v[46:47], -v[48:49]
	s_waitcnt lgkmcnt(5)
	v_mul_f64 v[48:49], v[79:80], v[70:71]
	v_mul_f64 v[62:63], v[77:78], v[70:71]
	s_waitcnt lgkmcnt(4)
	v_mul_f64 v[64:65], v[83:84], v[70:71]
	v_mul_f64 v[101:102], v[81:82], v[70:71]
	;; [unrolled: 3-line block ×4, first 2 shown]
	v_fma_f64 v[48:49], v[77:78], v[46:47], -v[48:49]
	v_fma_f64 v[62:63], v[79:80], v[46:47], v[62:63]
	v_fma_f64 v[64:65], v[81:82], v[46:47], -v[64:65]
	v_fma_f64 v[77:78], v[83:84], v[46:47], v[101:102]
	;; [unrolled: 2-line block ×4, first 2 shown]
	v_add_f64 v[42:43], v[42:43], -v[48:49]
	s_waitcnt lgkmcnt(1)
	v_mul_f64 v[48:49], v[95:96], v[70:71]
	v_add_f64 v[44:45], v[44:45], -v[62:63]
	v_add_f64 v[38:39], v[38:39], -v[64:65]
	;; [unrolled: 1-line block ×4, first 2 shown]
	ds_read2_b64 v[62:65], v1 offset0:18 offset1:19
	ds_read2_b64 v[77:80], v1 offset0:20 offset1:21
	v_add_f64 v[36:37], v[36:37], -v[81:82]
	v_add_f64 v[30:31], v[30:31], -v[83:84]
	;; [unrolled: 1-line block ×3, first 2 shown]
	v_mul_f64 v[81:82], v[93:94], v[70:71]
	s_waitcnt lgkmcnt(2)
	v_mul_f64 v[83:84], v[99:100], v[70:71]
	v_mul_f64 v[85:86], v[97:98], v[70:71]
	s_waitcnt lgkmcnt(1)
	v_mul_f64 v[87:88], v[64:65], v[70:71]
	v_fma_f64 v[48:49], v[93:94], v[46:47], -v[48:49]
	s_waitcnt lgkmcnt(0)
	v_mul_f64 v[91:92], v[79:80], v[70:71]
	v_mul_f64 v[93:94], v[77:78], v[70:71]
	;; [unrolled: 1-line block ×3, first 2 shown]
	v_fma_f64 v[81:82], v[95:96], v[46:47], v[81:82]
	v_fma_f64 v[83:84], v[97:98], v[46:47], -v[83:84]
	v_fma_f64 v[85:86], v[99:100], v[46:47], v[85:86]
	v_fma_f64 v[62:63], v[62:63], v[46:47], -v[87:88]
	v_add_f64 v[26:27], v[26:27], -v[48:49]
	v_fma_f64 v[77:78], v[77:78], v[46:47], -v[91:92]
	v_fma_f64 v[79:80], v[79:80], v[46:47], v[93:94]
	v_fma_f64 v[48:49], v[64:65], v[46:47], v[89:90]
	v_add_f64 v[28:29], v[28:29], -v[81:82]
	v_add_f64 v[22:23], v[22:23], -v[83:84]
	;; [unrolled: 1-line block ×4, first 2 shown]
	ds_read2_b64 v[62:65], v1 offset0:22 offset1:23
	v_add_f64 v[14:15], v[14:15], -v[77:78]
	v_add_f64 v[16:17], v[16:17], -v[79:80]
	ds_read2_b64 v[77:80], v1 offset0:24 offset1:25
	ds_read2_b64 v[81:84], v1 offset0:26 offset1:27
	;; [unrolled: 1-line block ×3, first 2 shown]
	v_add_f64 v[20:21], v[20:21], -v[48:49]
	s_waitcnt lgkmcnt(3)
	v_mul_f64 v[48:49], v[64:65], v[70:71]
	v_mul_f64 v[89:90], v[62:63], v[70:71]
	s_waitcnt lgkmcnt(2)
	v_mul_f64 v[91:92], v[79:80], v[70:71]
	v_mul_f64 v[93:94], v[77:78], v[70:71]
	;; [unrolled: 3-line block ×4, first 2 shown]
	v_fma_f64 v[48:49], v[62:63], v[46:47], -v[48:49]
	v_fma_f64 v[62:63], v[64:65], v[46:47], v[89:90]
	v_fma_f64 v[64:65], v[77:78], v[46:47], -v[91:92]
	v_fma_f64 v[77:78], v[79:80], v[46:47], v[93:94]
	;; [unrolled: 2-line block ×4, first 2 shown]
	v_add_f64 v[10:11], v[10:11], -v[48:49]
	v_add_f64 v[12:13], v[12:13], -v[62:63]
	;; [unrolled: 1-line block ×8, first 2 shown]
	v_mov_b32_e32 v48, v70
	v_mov_b32_e32 v49, v71
.LBB28_62:
	s_or_b64 exec, exec, s[0:1]
	v_lshl_add_u32 v62, v72, 4, v1
	s_barrier
	ds_write2_b64 v62, v[42:43], v[44:45] offset1:1
	s_waitcnt lgkmcnt(0)
	s_barrier
	ds_read2_b64 v[62:65], v1 offset0:6 offset1:7
	s_mov_b32 s2, 4
	s_cmp_lt_i32 s22, 5
	v_mov_b32_e32 v70, 3
	s_cbranch_scc1 .LBB28_65
; %bb.63:
	v_add3_u32 v71, v76, 0, 64
	v_mov_b32_e32 v70, 3
.LBB28_64:                              ; =>This Inner Loop Header: Depth=1
	s_waitcnt lgkmcnt(0)
	v_cmp_gt_f64_e32 vcc, 0, v[64:65]
	v_cmp_gt_f64_e64 s[0:1], 0, v[62:63]
	ds_read2_b64 v[76:79], v71 offset1:1
	v_xor_b32_e32 v81, 0x80000000, v63
	v_xor_b32_e32 v83, 0x80000000, v65
	v_mov_b32_e32 v80, v62
	v_mov_b32_e32 v82, v64
	s_waitcnt lgkmcnt(0)
	v_xor_b32_e32 v85, 0x80000000, v79
	v_cndmask_b32_e32 v83, v65, v83, vcc
	v_cndmask_b32_e64 v81, v63, v81, s[0:1]
	v_cmp_gt_f64_e32 vcc, 0, v[78:79]
	v_cmp_gt_f64_e64 s[0:1], 0, v[76:77]
	v_add_f64 v[80:81], v[80:81], v[82:83]
	v_xor_b32_e32 v83, 0x80000000, v77
	v_mov_b32_e32 v82, v76
	v_mov_b32_e32 v84, v78
	v_add_u32_e32 v71, 16, v71
	v_cndmask_b32_e32 v85, v79, v85, vcc
	v_cndmask_b32_e64 v83, v77, v83, s[0:1]
	v_add_f64 v[82:83], v[82:83], v[84:85]
	v_mov_b32_e32 v84, s2
	s_add_i32 s2, s2, 1
	s_cmp_lg_u32 s22, s2
	v_cmp_lt_f64_e32 vcc, v[80:81], v[82:83]
	v_cndmask_b32_e32 v63, v63, v77, vcc
	v_cndmask_b32_e32 v62, v62, v76, vcc
	v_cndmask_b32_e32 v65, v65, v79, vcc
	v_cndmask_b32_e32 v64, v64, v78, vcc
	v_cndmask_b32_e32 v70, v70, v84, vcc
	s_cbranch_scc1 .LBB28_64
.LBB28_65:
	s_waitcnt lgkmcnt(0)
	v_cmp_eq_f64_e32 vcc, 0, v[62:63]
	v_cmp_eq_f64_e64 s[0:1], 0, v[64:65]
	s_and_b64 s[0:1], vcc, s[0:1]
	s_and_saveexec_b64 s[2:3], s[0:1]
	s_xor_b64 s[0:1], exec, s[2:3]
; %bb.66:
	v_cmp_ne_u32_e32 vcc, 0, v75
	v_cndmask_b32_e32 v75, 4, v75, vcc
; %bb.67:
	s_andn2_saveexec_b64 s[0:1], s[0:1]
	s_cbranch_execz .LBB28_73
; %bb.68:
	v_cmp_ngt_f64_e64 s[2:3], |v[62:63]|, |v[64:65]|
	s_and_saveexec_b64 s[4:5], s[2:3]
	s_xor_b64 s[2:3], exec, s[4:5]
	s_cbranch_execz .LBB28_70
; %bb.69:
	v_div_scale_f64 v[76:77], s[4:5], v[64:65], v[64:65], v[62:63]
	v_rcp_f64_e32 v[78:79], v[76:77]
	v_fma_f64 v[80:81], -v[76:77], v[78:79], 1.0
	v_fma_f64 v[78:79], v[78:79], v[80:81], v[78:79]
	v_div_scale_f64 v[80:81], vcc, v[62:63], v[64:65], v[62:63]
	v_fma_f64 v[82:83], -v[76:77], v[78:79], 1.0
	v_fma_f64 v[78:79], v[78:79], v[82:83], v[78:79]
	v_mul_f64 v[82:83], v[80:81], v[78:79]
	v_fma_f64 v[76:77], -v[76:77], v[82:83], v[80:81]
	v_div_fmas_f64 v[76:77], v[76:77], v[78:79], v[82:83]
	v_div_fixup_f64 v[76:77], v[76:77], v[64:65], v[62:63]
	v_fma_f64 v[62:63], v[62:63], v[76:77], v[64:65]
	v_div_scale_f64 v[64:65], s[4:5], v[62:63], v[62:63], 1.0
	v_div_scale_f64 v[82:83], vcc, 1.0, v[62:63], 1.0
	v_rcp_f64_e32 v[78:79], v[64:65]
	v_fma_f64 v[80:81], -v[64:65], v[78:79], 1.0
	v_fma_f64 v[78:79], v[78:79], v[80:81], v[78:79]
	v_fma_f64 v[80:81], -v[64:65], v[78:79], 1.0
	v_fma_f64 v[78:79], v[78:79], v[80:81], v[78:79]
	v_mul_f64 v[80:81], v[82:83], v[78:79]
	v_fma_f64 v[64:65], -v[64:65], v[80:81], v[82:83]
	v_div_fmas_f64 v[64:65], v[64:65], v[78:79], v[80:81]
	v_div_fixup_f64 v[64:65], v[64:65], v[62:63], 1.0
	v_mul_f64 v[62:63], v[76:77], v[64:65]
	v_xor_b32_e32 v65, 0x80000000, v65
.LBB28_70:
	s_andn2_saveexec_b64 s[2:3], s[2:3]
	s_cbranch_execz .LBB28_72
; %bb.71:
	v_div_scale_f64 v[76:77], s[4:5], v[62:63], v[62:63], v[64:65]
	v_rcp_f64_e32 v[78:79], v[76:77]
	v_fma_f64 v[80:81], -v[76:77], v[78:79], 1.0
	v_fma_f64 v[78:79], v[78:79], v[80:81], v[78:79]
	v_div_scale_f64 v[80:81], vcc, v[64:65], v[62:63], v[64:65]
	v_fma_f64 v[82:83], -v[76:77], v[78:79], 1.0
	v_fma_f64 v[78:79], v[78:79], v[82:83], v[78:79]
	v_mul_f64 v[82:83], v[80:81], v[78:79]
	v_fma_f64 v[76:77], -v[76:77], v[82:83], v[80:81]
	v_div_fmas_f64 v[76:77], v[76:77], v[78:79], v[82:83]
	v_div_fixup_f64 v[76:77], v[76:77], v[62:63], v[64:65]
	v_fma_f64 v[62:63], v[64:65], v[76:77], v[62:63]
	v_div_scale_f64 v[64:65], s[4:5], v[62:63], v[62:63], 1.0
	v_div_scale_f64 v[82:83], vcc, 1.0, v[62:63], 1.0
	v_rcp_f64_e32 v[78:79], v[64:65]
	v_fma_f64 v[80:81], -v[64:65], v[78:79], 1.0
	v_fma_f64 v[78:79], v[78:79], v[80:81], v[78:79]
	v_fma_f64 v[80:81], -v[64:65], v[78:79], 1.0
	v_fma_f64 v[78:79], v[78:79], v[80:81], v[78:79]
	v_mul_f64 v[80:81], v[82:83], v[78:79]
	v_fma_f64 v[64:65], -v[64:65], v[80:81], v[82:83]
	v_div_fmas_f64 v[64:65], v[64:65], v[78:79], v[80:81]
	v_div_fixup_f64 v[62:63], v[64:65], v[62:63], 1.0
	v_mul_f64 v[64:65], v[76:77], -v[62:63]
.LBB28_72:
	s_or_b64 exec, exec, s[2:3]
.LBB28_73:
	s_or_b64 exec, exec, s[0:1]
	v_cmp_ne_u32_e32 vcc, v72, v70
	s_and_saveexec_b64 s[0:1], vcc
	s_xor_b64 s[0:1], exec, s[0:1]
	s_cbranch_execz .LBB28_79
; %bb.74:
	v_cmp_eq_u32_e32 vcc, 3, v72
	s_and_saveexec_b64 s[2:3], vcc
	s_cbranch_execz .LBB28_78
; %bb.75:
	v_cmp_ne_u32_e32 vcc, 3, v70
	s_xor_b64 s[4:5], s[18:19], -1
	s_and_b64 s[24:25], s[4:5], vcc
	s_and_saveexec_b64 s[4:5], s[24:25]
	s_cbranch_execz .LBB28_77
; %bb.76:
	v_ashrrev_i32_e32 v71, 31, v70
	v_lshlrev_b64 v[71:72], 2, v[70:71]
	v_add_co_u32_e32 v71, vcc, v68, v71
	v_addc_co_u32_e32 v72, vcc, v69, v72, vcc
	global_load_dword v0, v[71:72], off
	global_load_dword v76, v[68:69], off offset:12
	s_waitcnt vmcnt(1)
	global_store_dword v[68:69], v0, off offset:12
	s_waitcnt vmcnt(1)
	global_store_dword v[71:72], v76, off
.LBB28_77:
	s_or_b64 exec, exec, s[4:5]
	v_mov_b32_e32 v72, v70
	v_mov_b32_e32 v0, v70
.LBB28_78:
	s_or_b64 exec, exec, s[2:3]
.LBB28_79:
	s_andn2_saveexec_b64 s[0:1], s[0:1]
	s_cbranch_execz .LBB28_81
; %bb.80:
	v_mov_b32_e32 v72, 3
	ds_write2_b64 v1, v[38:39], v[40:41] offset0:8 offset1:9
	ds_write2_b64 v1, v[34:35], v[36:37] offset0:10 offset1:11
	;; [unrolled: 1-line block ×11, first 2 shown]
.LBB28_81:
	s_or_b64 exec, exec, s[0:1]
	v_cmp_lt_i32_e32 vcc, 3, v72
	s_waitcnt vmcnt(0) lgkmcnt(0)
	s_barrier
	s_and_saveexec_b64 s[0:1], vcc
	s_cbranch_execz .LBB28_83
; %bb.82:
	v_mul_f64 v[70:71], v[62:63], v[44:45]
	v_mul_f64 v[44:45], v[64:65], v[44:45]
	ds_read2_b64 v[76:79], v1 offset0:8 offset1:9
	ds_read2_b64 v[80:83], v1 offset0:10 offset1:11
	;; [unrolled: 1-line block ×7, first 2 shown]
	v_fma_f64 v[70:71], v[64:65], v[42:43], v[70:71]
	v_fma_f64 v[42:43], v[62:63], v[42:43], -v[44:45]
	s_waitcnt lgkmcnt(6)
	v_mul_f64 v[44:45], v[78:79], v[70:71]
	v_mul_f64 v[62:63], v[76:77], v[70:71]
	s_waitcnt lgkmcnt(5)
	v_mul_f64 v[64:65], v[82:83], v[70:71]
	v_mul_f64 v[104:105], v[80:81], v[70:71]
	;; [unrolled: 3-line block ×4, first 2 shown]
	v_fma_f64 v[44:45], v[76:77], v[42:43], -v[44:45]
	v_fma_f64 v[62:63], v[78:79], v[42:43], v[62:63]
	v_fma_f64 v[64:65], v[80:81], v[42:43], -v[64:65]
	v_fma_f64 v[76:77], v[82:83], v[42:43], v[104:105]
	;; [unrolled: 2-line block ×3, first 2 shown]
	s_waitcnt lgkmcnt(2)
	v_mul_f64 v[82:83], v[94:95], v[70:71]
	v_mul_f64 v[84:85], v[92:93], v[70:71]
	v_add_f64 v[38:39], v[38:39], -v[44:45]
	s_waitcnt lgkmcnt(1)
	v_mul_f64 v[44:45], v[98:99], v[70:71]
	v_fma_f64 v[86:87], v[88:89], v[42:43], -v[110:111]
	v_add_f64 v[36:37], v[36:37], -v[76:77]
	v_add_f64 v[30:31], v[30:31], -v[78:79]
	;; [unrolled: 1-line block ×3, first 2 shown]
	v_mul_f64 v[76:77], v[96:97], v[70:71]
	s_waitcnt lgkmcnt(0)
	v_mul_f64 v[78:79], v[102:103], v[70:71]
	v_mul_f64 v[80:81], v[100:101], v[70:71]
	v_fma_f64 v[82:83], v[92:93], v[42:43], -v[82:83]
	v_fma_f64 v[84:85], v[94:95], v[42:43], v[84:85]
	v_fma_f64 v[88:89], v[90:91], v[42:43], v[112:113]
	v_fma_f64 v[44:45], v[96:97], v[42:43], -v[44:45]
	v_add_f64 v[40:41], v[40:41], -v[62:63]
	v_fma_f64 v[76:77], v[98:99], v[42:43], v[76:77]
	v_fma_f64 v[78:79], v[100:101], v[42:43], -v[78:79]
	v_fma_f64 v[80:81], v[102:103], v[42:43], v[80:81]
	v_add_f64 v[34:35], v[34:35], -v[64:65]
	ds_read2_b64 v[62:65], v1 offset0:22 offset1:23
	v_add_f64 v[26:27], v[26:27], -v[86:87]
	v_add_f64 v[22:23], v[22:23], -v[82:83]
	;; [unrolled: 1-line block ×6, first 2 shown]
	ds_read2_b64 v[76:79], v1 offset0:24 offset1:25
	ds_read2_b64 v[80:83], v1 offset0:26 offset1:27
	;; [unrolled: 1-line block ×3, first 2 shown]
	v_add_f64 v[28:29], v[28:29], -v[88:89]
	v_add_f64 v[18:19], v[18:19], -v[44:45]
	s_waitcnt lgkmcnt(3)
	v_mul_f64 v[44:45], v[64:65], v[70:71]
	v_mul_f64 v[88:89], v[62:63], v[70:71]
	s_waitcnt lgkmcnt(2)
	v_mul_f64 v[90:91], v[78:79], v[70:71]
	v_mul_f64 v[92:93], v[76:77], v[70:71]
	;; [unrolled: 3-line block ×4, first 2 shown]
	v_fma_f64 v[44:45], v[62:63], v[42:43], -v[44:45]
	v_fma_f64 v[62:63], v[64:65], v[42:43], v[88:89]
	v_fma_f64 v[64:65], v[76:77], v[42:43], -v[90:91]
	v_fma_f64 v[76:77], v[78:79], v[42:43], v[92:93]
	;; [unrolled: 2-line block ×4, first 2 shown]
	v_add_f64 v[10:11], v[10:11], -v[44:45]
	v_add_f64 v[12:13], v[12:13], -v[62:63]
	;; [unrolled: 1-line block ×8, first 2 shown]
	v_mov_b32_e32 v44, v70
	v_mov_b32_e32 v45, v71
.LBB28_83:
	s_or_b64 exec, exec, s[0:1]
	v_lshl_add_u32 v62, v72, 4, v1
	s_barrier
	ds_write2_b64 v62, v[38:39], v[40:41] offset1:1
	s_waitcnt lgkmcnt(0)
	s_barrier
	ds_read2_b64 v[62:65], v1 offset0:8 offset1:9
	s_cmp_lt_i32 s22, 6
	v_mov_b32_e32 v70, 4
	s_cbranch_scc1 .LBB28_86
; %bb.84:
	v_mov_b32_e32 v70, 4
	v_add_u32_e32 v71, 0x50, v1
	s_mov_b32 s2, 5
.LBB28_85:                              ; =>This Inner Loop Header: Depth=1
	s_waitcnt lgkmcnt(0)
	v_cmp_gt_f64_e32 vcc, 0, v[64:65]
	v_cmp_gt_f64_e64 s[0:1], 0, v[62:63]
	ds_read2_b64 v[76:79], v71 offset1:1
	v_xor_b32_e32 v81, 0x80000000, v63
	v_xor_b32_e32 v83, 0x80000000, v65
	v_mov_b32_e32 v80, v62
	v_mov_b32_e32 v82, v64
	s_waitcnt lgkmcnt(0)
	v_xor_b32_e32 v85, 0x80000000, v79
	v_cndmask_b32_e32 v83, v65, v83, vcc
	v_cndmask_b32_e64 v81, v63, v81, s[0:1]
	v_cmp_gt_f64_e32 vcc, 0, v[78:79]
	v_cmp_gt_f64_e64 s[0:1], 0, v[76:77]
	v_add_f64 v[80:81], v[80:81], v[82:83]
	v_xor_b32_e32 v83, 0x80000000, v77
	v_mov_b32_e32 v82, v76
	v_mov_b32_e32 v84, v78
	v_add_u32_e32 v71, 16, v71
	v_cndmask_b32_e32 v85, v79, v85, vcc
	v_cndmask_b32_e64 v83, v77, v83, s[0:1]
	v_add_f64 v[82:83], v[82:83], v[84:85]
	v_mov_b32_e32 v84, s2
	s_add_i32 s2, s2, 1
	s_cmp_lg_u32 s22, s2
	v_cmp_lt_f64_e32 vcc, v[80:81], v[82:83]
	v_cndmask_b32_e32 v63, v63, v77, vcc
	v_cndmask_b32_e32 v62, v62, v76, vcc
	;; [unrolled: 1-line block ×5, first 2 shown]
	s_cbranch_scc1 .LBB28_85
.LBB28_86:
	s_waitcnt lgkmcnt(0)
	v_cmp_eq_f64_e32 vcc, 0, v[62:63]
	v_cmp_eq_f64_e64 s[0:1], 0, v[64:65]
	s_and_b64 s[0:1], vcc, s[0:1]
	s_and_saveexec_b64 s[2:3], s[0:1]
	s_xor_b64 s[0:1], exec, s[2:3]
; %bb.87:
	v_cmp_ne_u32_e32 vcc, 0, v75
	v_cndmask_b32_e32 v75, 5, v75, vcc
; %bb.88:
	s_andn2_saveexec_b64 s[0:1], s[0:1]
	s_cbranch_execz .LBB28_94
; %bb.89:
	v_cmp_ngt_f64_e64 s[2:3], |v[62:63]|, |v[64:65]|
	s_and_saveexec_b64 s[4:5], s[2:3]
	s_xor_b64 s[2:3], exec, s[4:5]
	s_cbranch_execz .LBB28_91
; %bb.90:
	v_div_scale_f64 v[76:77], s[4:5], v[64:65], v[64:65], v[62:63]
	v_rcp_f64_e32 v[78:79], v[76:77]
	v_fma_f64 v[80:81], -v[76:77], v[78:79], 1.0
	v_fma_f64 v[78:79], v[78:79], v[80:81], v[78:79]
	v_div_scale_f64 v[80:81], vcc, v[62:63], v[64:65], v[62:63]
	v_fma_f64 v[82:83], -v[76:77], v[78:79], 1.0
	v_fma_f64 v[78:79], v[78:79], v[82:83], v[78:79]
	v_mul_f64 v[82:83], v[80:81], v[78:79]
	v_fma_f64 v[76:77], -v[76:77], v[82:83], v[80:81]
	v_div_fmas_f64 v[76:77], v[76:77], v[78:79], v[82:83]
	v_div_fixup_f64 v[76:77], v[76:77], v[64:65], v[62:63]
	v_fma_f64 v[62:63], v[62:63], v[76:77], v[64:65]
	v_div_scale_f64 v[64:65], s[4:5], v[62:63], v[62:63], 1.0
	v_div_scale_f64 v[82:83], vcc, 1.0, v[62:63], 1.0
	v_rcp_f64_e32 v[78:79], v[64:65]
	v_fma_f64 v[80:81], -v[64:65], v[78:79], 1.0
	v_fma_f64 v[78:79], v[78:79], v[80:81], v[78:79]
	v_fma_f64 v[80:81], -v[64:65], v[78:79], 1.0
	v_fma_f64 v[78:79], v[78:79], v[80:81], v[78:79]
	v_mul_f64 v[80:81], v[82:83], v[78:79]
	v_fma_f64 v[64:65], -v[64:65], v[80:81], v[82:83]
	v_div_fmas_f64 v[64:65], v[64:65], v[78:79], v[80:81]
	v_div_fixup_f64 v[64:65], v[64:65], v[62:63], 1.0
	v_mul_f64 v[62:63], v[76:77], v[64:65]
	v_xor_b32_e32 v65, 0x80000000, v65
.LBB28_91:
	s_andn2_saveexec_b64 s[2:3], s[2:3]
	s_cbranch_execz .LBB28_93
; %bb.92:
	v_div_scale_f64 v[76:77], s[4:5], v[62:63], v[62:63], v[64:65]
	v_rcp_f64_e32 v[78:79], v[76:77]
	v_fma_f64 v[80:81], -v[76:77], v[78:79], 1.0
	v_fma_f64 v[78:79], v[78:79], v[80:81], v[78:79]
	v_div_scale_f64 v[80:81], vcc, v[64:65], v[62:63], v[64:65]
	v_fma_f64 v[82:83], -v[76:77], v[78:79], 1.0
	v_fma_f64 v[78:79], v[78:79], v[82:83], v[78:79]
	v_mul_f64 v[82:83], v[80:81], v[78:79]
	v_fma_f64 v[76:77], -v[76:77], v[82:83], v[80:81]
	v_div_fmas_f64 v[76:77], v[76:77], v[78:79], v[82:83]
	v_div_fixup_f64 v[76:77], v[76:77], v[62:63], v[64:65]
	v_fma_f64 v[62:63], v[64:65], v[76:77], v[62:63]
	v_div_scale_f64 v[64:65], s[4:5], v[62:63], v[62:63], 1.0
	v_div_scale_f64 v[82:83], vcc, 1.0, v[62:63], 1.0
	v_rcp_f64_e32 v[78:79], v[64:65]
	v_fma_f64 v[80:81], -v[64:65], v[78:79], 1.0
	v_fma_f64 v[78:79], v[78:79], v[80:81], v[78:79]
	v_fma_f64 v[80:81], -v[64:65], v[78:79], 1.0
	v_fma_f64 v[78:79], v[78:79], v[80:81], v[78:79]
	v_mul_f64 v[80:81], v[82:83], v[78:79]
	v_fma_f64 v[64:65], -v[64:65], v[80:81], v[82:83]
	v_div_fmas_f64 v[64:65], v[64:65], v[78:79], v[80:81]
	v_div_fixup_f64 v[62:63], v[64:65], v[62:63], 1.0
	v_mul_f64 v[64:65], v[76:77], -v[62:63]
.LBB28_93:
	s_or_b64 exec, exec, s[2:3]
.LBB28_94:
	s_or_b64 exec, exec, s[0:1]
	v_cmp_ne_u32_e32 vcc, v72, v70
	s_and_saveexec_b64 s[0:1], vcc
	s_xor_b64 s[0:1], exec, s[0:1]
	s_cbranch_execz .LBB28_100
; %bb.95:
	v_cmp_eq_u32_e32 vcc, 4, v72
	s_and_saveexec_b64 s[2:3], vcc
	s_cbranch_execz .LBB28_99
; %bb.96:
	v_cmp_ne_u32_e32 vcc, 4, v70
	s_xor_b64 s[4:5], s[18:19], -1
	s_and_b64 s[24:25], s[4:5], vcc
	s_and_saveexec_b64 s[4:5], s[24:25]
	s_cbranch_execz .LBB28_98
; %bb.97:
	v_ashrrev_i32_e32 v71, 31, v70
	v_lshlrev_b64 v[71:72], 2, v[70:71]
	v_add_co_u32_e32 v71, vcc, v68, v71
	v_addc_co_u32_e32 v72, vcc, v69, v72, vcc
	global_load_dword v0, v[71:72], off
	global_load_dword v76, v[68:69], off offset:16
	s_waitcnt vmcnt(1)
	global_store_dword v[68:69], v0, off offset:16
	s_waitcnt vmcnt(1)
	global_store_dword v[71:72], v76, off
.LBB28_98:
	s_or_b64 exec, exec, s[4:5]
	v_mov_b32_e32 v72, v70
	v_mov_b32_e32 v0, v70
.LBB28_99:
	s_or_b64 exec, exec, s[2:3]
.LBB28_100:
	s_andn2_saveexec_b64 s[0:1], s[0:1]
	s_cbranch_execz .LBB28_102
; %bb.101:
	v_mov_b32_e32 v72, 4
	ds_write2_b64 v1, v[34:35], v[36:37] offset0:10 offset1:11
	ds_write2_b64 v1, v[30:31], v[32:33] offset0:12 offset1:13
	;; [unrolled: 1-line block ×10, first 2 shown]
.LBB28_102:
	s_or_b64 exec, exec, s[0:1]
	v_cmp_lt_i32_e32 vcc, 4, v72
	s_waitcnt vmcnt(0) lgkmcnt(0)
	s_barrier
	s_and_saveexec_b64 s[0:1], vcc
	s_cbranch_execz .LBB28_104
; %bb.103:
	v_mul_f64 v[70:71], v[62:63], v[40:41]
	v_mul_f64 v[40:41], v[64:65], v[40:41]
	ds_read2_b64 v[76:79], v1 offset0:10 offset1:11
	ds_read2_b64 v[80:83], v1 offset0:12 offset1:13
	;; [unrolled: 1-line block ×6, first 2 shown]
	v_fma_f64 v[70:71], v[64:65], v[38:39], v[70:71]
	v_fma_f64 v[38:39], v[62:63], v[38:39], -v[40:41]
	s_waitcnt lgkmcnt(5)
	v_mul_f64 v[40:41], v[78:79], v[70:71]
	v_mul_f64 v[62:63], v[76:77], v[70:71]
	s_waitcnt lgkmcnt(4)
	v_mul_f64 v[64:65], v[82:83], v[70:71]
	v_mul_f64 v[100:101], v[80:81], v[70:71]
	;; [unrolled: 3-line block ×3, first 2 shown]
	s_waitcnt lgkmcnt(2)
	v_mul_f64 v[106:107], v[90:91], v[70:71]
	s_waitcnt lgkmcnt(1)
	v_mul_f64 v[110:111], v[94:95], v[70:71]
	v_mul_f64 v[112:113], v[92:93], v[70:71]
	s_waitcnt lgkmcnt(0)
	v_mul_f64 v[114:115], v[98:99], v[70:71]
	v_fma_f64 v[40:41], v[76:77], v[38:39], -v[40:41]
	v_fma_f64 v[62:63], v[78:79], v[38:39], v[62:63]
	v_fma_f64 v[64:65], v[80:81], v[38:39], -v[64:65]
	v_fma_f64 v[76:77], v[82:83], v[38:39], v[100:101]
	v_mul_f64 v[78:79], v[96:97], v[70:71]
	v_fma_f64 v[80:81], v[84:85], v[38:39], -v[102:103]
	v_mul_f64 v[108:109], v[88:89], v[70:71]
	v_fma_f64 v[82:83], v[86:87], v[38:39], v[104:105]
	v_fma_f64 v[84:85], v[88:89], v[38:39], -v[106:107]
	v_add_f64 v[36:37], v[36:37], -v[62:63]
	v_fma_f64 v[62:63], v[92:93], v[38:39], -v[110:111]
	v_add_f64 v[32:33], v[32:33], -v[76:77]
	v_fma_f64 v[76:77], v[94:95], v[38:39], v[112:113]
	v_add_f64 v[26:27], v[26:27], -v[80:81]
	v_fma_f64 v[80:81], v[96:97], v[38:39], -v[114:115]
	v_fma_f64 v[78:79], v[98:99], v[38:39], v[78:79]
	v_add_f64 v[34:35], v[34:35], -v[40:41]
	v_fma_f64 v[40:41], v[90:91], v[38:39], v[108:109]
	v_add_f64 v[30:31], v[30:31], -v[64:65]
	v_add_f64 v[28:29], v[28:29], -v[82:83]
	;; [unrolled: 1-line block ×4, first 2 shown]
	ds_read2_b64 v[62:65], v1 offset0:22 offset1:23
	v_add_f64 v[20:21], v[20:21], -v[76:77]
	v_add_f64 v[14:15], v[14:15], -v[80:81]
	;; [unrolled: 1-line block ×3, first 2 shown]
	ds_read2_b64 v[76:79], v1 offset0:24 offset1:25
	ds_read2_b64 v[80:83], v1 offset0:26 offset1:27
	;; [unrolled: 1-line block ×3, first 2 shown]
	v_add_f64 v[24:25], v[24:25], -v[40:41]
	s_waitcnt lgkmcnt(3)
	v_mul_f64 v[40:41], v[64:65], v[70:71]
	v_mul_f64 v[88:89], v[62:63], v[70:71]
	s_waitcnt lgkmcnt(2)
	v_mul_f64 v[90:91], v[78:79], v[70:71]
	v_mul_f64 v[92:93], v[76:77], v[70:71]
	;; [unrolled: 3-line block ×4, first 2 shown]
	v_fma_f64 v[40:41], v[62:63], v[38:39], -v[40:41]
	v_fma_f64 v[62:63], v[64:65], v[38:39], v[88:89]
	v_fma_f64 v[64:65], v[76:77], v[38:39], -v[90:91]
	v_fma_f64 v[76:77], v[78:79], v[38:39], v[92:93]
	;; [unrolled: 2-line block ×4, first 2 shown]
	v_add_f64 v[10:11], v[10:11], -v[40:41]
	v_add_f64 v[12:13], v[12:13], -v[62:63]
	;; [unrolled: 1-line block ×8, first 2 shown]
	v_mov_b32_e32 v40, v70
	v_mov_b32_e32 v41, v71
.LBB28_104:
	s_or_b64 exec, exec, s[0:1]
	v_lshl_add_u32 v62, v72, 4, v1
	s_barrier
	ds_write2_b64 v62, v[34:35], v[36:37] offset1:1
	s_waitcnt lgkmcnt(0)
	s_barrier
	ds_read2_b64 v[62:65], v1 offset0:10 offset1:11
	s_cmp_lt_i32 s22, 7
	v_mov_b32_e32 v70, 5
	s_cbranch_scc1 .LBB28_107
; %bb.105:
	v_add_u32_e32 v71, 0x60, v1
	s_mov_b32 s2, 6
	v_mov_b32_e32 v70, 5
.LBB28_106:                             ; =>This Inner Loop Header: Depth=1
	s_waitcnt lgkmcnt(0)
	v_cmp_gt_f64_e32 vcc, 0, v[64:65]
	v_cmp_gt_f64_e64 s[0:1], 0, v[62:63]
	ds_read2_b64 v[76:79], v71 offset1:1
	v_xor_b32_e32 v81, 0x80000000, v63
	v_xor_b32_e32 v83, 0x80000000, v65
	v_mov_b32_e32 v80, v62
	v_mov_b32_e32 v82, v64
	s_waitcnt lgkmcnt(0)
	v_xor_b32_e32 v85, 0x80000000, v79
	v_cndmask_b32_e32 v83, v65, v83, vcc
	v_cndmask_b32_e64 v81, v63, v81, s[0:1]
	v_cmp_gt_f64_e32 vcc, 0, v[78:79]
	v_cmp_gt_f64_e64 s[0:1], 0, v[76:77]
	v_add_f64 v[80:81], v[80:81], v[82:83]
	v_xor_b32_e32 v83, 0x80000000, v77
	v_mov_b32_e32 v82, v76
	v_mov_b32_e32 v84, v78
	v_add_u32_e32 v71, 16, v71
	v_cndmask_b32_e32 v85, v79, v85, vcc
	v_cndmask_b32_e64 v83, v77, v83, s[0:1]
	v_add_f64 v[82:83], v[82:83], v[84:85]
	v_mov_b32_e32 v84, s2
	s_add_i32 s2, s2, 1
	s_cmp_lg_u32 s22, s2
	v_cmp_lt_f64_e32 vcc, v[80:81], v[82:83]
	v_cndmask_b32_e32 v63, v63, v77, vcc
	v_cndmask_b32_e32 v62, v62, v76, vcc
	;; [unrolled: 1-line block ×5, first 2 shown]
	s_cbranch_scc1 .LBB28_106
.LBB28_107:
	s_waitcnt lgkmcnt(0)
	v_cmp_eq_f64_e32 vcc, 0, v[62:63]
	v_cmp_eq_f64_e64 s[0:1], 0, v[64:65]
	s_and_b64 s[0:1], vcc, s[0:1]
	s_and_saveexec_b64 s[2:3], s[0:1]
	s_xor_b64 s[0:1], exec, s[2:3]
; %bb.108:
	v_cmp_ne_u32_e32 vcc, 0, v75
	v_cndmask_b32_e32 v75, 6, v75, vcc
; %bb.109:
	s_andn2_saveexec_b64 s[0:1], s[0:1]
	s_cbranch_execz .LBB28_115
; %bb.110:
	v_cmp_ngt_f64_e64 s[2:3], |v[62:63]|, |v[64:65]|
	s_and_saveexec_b64 s[4:5], s[2:3]
	s_xor_b64 s[2:3], exec, s[4:5]
	s_cbranch_execz .LBB28_112
; %bb.111:
	v_div_scale_f64 v[76:77], s[4:5], v[64:65], v[64:65], v[62:63]
	v_rcp_f64_e32 v[78:79], v[76:77]
	v_fma_f64 v[80:81], -v[76:77], v[78:79], 1.0
	v_fma_f64 v[78:79], v[78:79], v[80:81], v[78:79]
	v_div_scale_f64 v[80:81], vcc, v[62:63], v[64:65], v[62:63]
	v_fma_f64 v[82:83], -v[76:77], v[78:79], 1.0
	v_fma_f64 v[78:79], v[78:79], v[82:83], v[78:79]
	v_mul_f64 v[82:83], v[80:81], v[78:79]
	v_fma_f64 v[76:77], -v[76:77], v[82:83], v[80:81]
	v_div_fmas_f64 v[76:77], v[76:77], v[78:79], v[82:83]
	v_div_fixup_f64 v[76:77], v[76:77], v[64:65], v[62:63]
	v_fma_f64 v[62:63], v[62:63], v[76:77], v[64:65]
	v_div_scale_f64 v[64:65], s[4:5], v[62:63], v[62:63], 1.0
	v_div_scale_f64 v[82:83], vcc, 1.0, v[62:63], 1.0
	v_rcp_f64_e32 v[78:79], v[64:65]
	v_fma_f64 v[80:81], -v[64:65], v[78:79], 1.0
	v_fma_f64 v[78:79], v[78:79], v[80:81], v[78:79]
	v_fma_f64 v[80:81], -v[64:65], v[78:79], 1.0
	v_fma_f64 v[78:79], v[78:79], v[80:81], v[78:79]
	v_mul_f64 v[80:81], v[82:83], v[78:79]
	v_fma_f64 v[64:65], -v[64:65], v[80:81], v[82:83]
	v_div_fmas_f64 v[64:65], v[64:65], v[78:79], v[80:81]
	v_div_fixup_f64 v[64:65], v[64:65], v[62:63], 1.0
	v_mul_f64 v[62:63], v[76:77], v[64:65]
	v_xor_b32_e32 v65, 0x80000000, v65
.LBB28_112:
	s_andn2_saveexec_b64 s[2:3], s[2:3]
	s_cbranch_execz .LBB28_114
; %bb.113:
	v_div_scale_f64 v[76:77], s[4:5], v[62:63], v[62:63], v[64:65]
	v_rcp_f64_e32 v[78:79], v[76:77]
	v_fma_f64 v[80:81], -v[76:77], v[78:79], 1.0
	v_fma_f64 v[78:79], v[78:79], v[80:81], v[78:79]
	v_div_scale_f64 v[80:81], vcc, v[64:65], v[62:63], v[64:65]
	v_fma_f64 v[82:83], -v[76:77], v[78:79], 1.0
	v_fma_f64 v[78:79], v[78:79], v[82:83], v[78:79]
	v_mul_f64 v[82:83], v[80:81], v[78:79]
	v_fma_f64 v[76:77], -v[76:77], v[82:83], v[80:81]
	v_div_fmas_f64 v[76:77], v[76:77], v[78:79], v[82:83]
	v_div_fixup_f64 v[76:77], v[76:77], v[62:63], v[64:65]
	v_fma_f64 v[62:63], v[64:65], v[76:77], v[62:63]
	v_div_scale_f64 v[64:65], s[4:5], v[62:63], v[62:63], 1.0
	v_div_scale_f64 v[82:83], vcc, 1.0, v[62:63], 1.0
	v_rcp_f64_e32 v[78:79], v[64:65]
	v_fma_f64 v[80:81], -v[64:65], v[78:79], 1.0
	v_fma_f64 v[78:79], v[78:79], v[80:81], v[78:79]
	v_fma_f64 v[80:81], -v[64:65], v[78:79], 1.0
	v_fma_f64 v[78:79], v[78:79], v[80:81], v[78:79]
	v_mul_f64 v[80:81], v[82:83], v[78:79]
	v_fma_f64 v[64:65], -v[64:65], v[80:81], v[82:83]
	v_div_fmas_f64 v[64:65], v[64:65], v[78:79], v[80:81]
	v_div_fixup_f64 v[62:63], v[64:65], v[62:63], 1.0
	v_mul_f64 v[64:65], v[76:77], -v[62:63]
.LBB28_114:
	s_or_b64 exec, exec, s[2:3]
.LBB28_115:
	s_or_b64 exec, exec, s[0:1]
	v_cmp_ne_u32_e32 vcc, v72, v70
	s_and_saveexec_b64 s[0:1], vcc
	s_xor_b64 s[0:1], exec, s[0:1]
	s_cbranch_execz .LBB28_121
; %bb.116:
	v_cmp_eq_u32_e32 vcc, 5, v72
	s_and_saveexec_b64 s[2:3], vcc
	s_cbranch_execz .LBB28_120
; %bb.117:
	v_cmp_ne_u32_e32 vcc, 5, v70
	s_xor_b64 s[4:5], s[18:19], -1
	s_and_b64 s[24:25], s[4:5], vcc
	s_and_saveexec_b64 s[4:5], s[24:25]
	s_cbranch_execz .LBB28_119
; %bb.118:
	v_ashrrev_i32_e32 v71, 31, v70
	v_lshlrev_b64 v[71:72], 2, v[70:71]
	v_add_co_u32_e32 v71, vcc, v68, v71
	v_addc_co_u32_e32 v72, vcc, v69, v72, vcc
	global_load_dword v0, v[71:72], off
	global_load_dword v76, v[68:69], off offset:20
	s_waitcnt vmcnt(1)
	global_store_dword v[68:69], v0, off offset:20
	s_waitcnt vmcnt(1)
	global_store_dword v[71:72], v76, off
.LBB28_119:
	s_or_b64 exec, exec, s[4:5]
	v_mov_b32_e32 v72, v70
	v_mov_b32_e32 v0, v70
.LBB28_120:
	s_or_b64 exec, exec, s[2:3]
.LBB28_121:
	s_andn2_saveexec_b64 s[0:1], s[0:1]
	s_cbranch_execz .LBB28_123
; %bb.122:
	v_mov_b32_e32 v72, 5
	ds_write2_b64 v1, v[30:31], v[32:33] offset0:12 offset1:13
	ds_write2_b64 v1, v[26:27], v[28:29] offset0:14 offset1:15
	;; [unrolled: 1-line block ×9, first 2 shown]
.LBB28_123:
	s_or_b64 exec, exec, s[0:1]
	v_cmp_lt_i32_e32 vcc, 5, v72
	s_waitcnt vmcnt(0) lgkmcnt(0)
	s_barrier
	s_and_saveexec_b64 s[0:1], vcc
	s_cbranch_execz .LBB28_125
; %bb.124:
	v_mul_f64 v[70:71], v[62:63], v[36:37]
	v_mul_f64 v[36:37], v[64:65], v[36:37]
	ds_read2_b64 v[76:79], v1 offset0:12 offset1:13
	ds_read2_b64 v[80:83], v1 offset0:14 offset1:15
	;; [unrolled: 1-line block ×6, first 2 shown]
	v_fma_f64 v[70:71], v[64:65], v[34:35], v[70:71]
	v_fma_f64 v[34:35], v[62:63], v[34:35], -v[36:37]
	s_waitcnt lgkmcnt(5)
	v_mul_f64 v[36:37], v[78:79], v[70:71]
	v_mul_f64 v[62:63], v[76:77], v[70:71]
	s_waitcnt lgkmcnt(4)
	v_mul_f64 v[64:65], v[82:83], v[70:71]
	v_mul_f64 v[100:101], v[80:81], v[70:71]
	;; [unrolled: 3-line block ×5, first 2 shown]
	v_fma_f64 v[36:37], v[76:77], v[34:35], -v[36:37]
	v_fma_f64 v[62:63], v[78:79], v[34:35], v[62:63]
	v_fma_f64 v[64:65], v[80:81], v[34:35], -v[64:65]
	v_fma_f64 v[76:77], v[82:83], v[34:35], v[100:101]
	;; [unrolled: 2-line block ×5, first 2 shown]
	v_add_f64 v[32:33], v[32:33], -v[62:63]
	v_add_f64 v[26:27], v[26:27], -v[64:65]
	;; [unrolled: 1-line block ×6, first 2 shown]
	ds_read2_b64 v[62:65], v1 offset0:24 offset1:25
	ds_read2_b64 v[76:79], v1 offset0:26 offset1:27
	;; [unrolled: 1-line block ×3, first 2 shown]
	v_add_f64 v[30:31], v[30:31], -v[36:37]
	v_add_f64 v[20:21], v[20:21], -v[84:85]
	;; [unrolled: 1-line block ×4, first 2 shown]
	s_waitcnt lgkmcnt(3)
	v_mul_f64 v[36:37], v[98:99], v[70:71]
	v_mul_f64 v[84:85], v[96:97], v[70:71]
	s_waitcnt lgkmcnt(2)
	v_mul_f64 v[86:87], v[64:65], v[70:71]
	v_mul_f64 v[88:89], v[62:63], v[70:71]
	;; [unrolled: 3-line block ×4, first 2 shown]
	v_fma_f64 v[36:37], v[96:97], v[34:35], -v[36:37]
	v_fma_f64 v[84:85], v[98:99], v[34:35], v[84:85]
	v_fma_f64 v[62:63], v[62:63], v[34:35], -v[86:87]
	v_fma_f64 v[64:65], v[64:65], v[34:35], v[88:89]
	;; [unrolled: 2-line block ×4, first 2 shown]
	v_add_f64 v[10:11], v[10:11], -v[36:37]
	v_add_f64 v[12:13], v[12:13], -v[84:85]
	v_add_f64 v[6:7], v[6:7], -v[62:63]
	v_add_f64 v[8:9], v[8:9], -v[64:65]
	v_add_f64 v[2:3], v[2:3], -v[76:77]
	v_add_f64 v[4:5], v[4:5], -v[78:79]
	v_add_f64 v[58:59], v[58:59], -v[80:81]
	v_add_f64 v[60:61], v[60:61], -v[82:83]
	v_mov_b32_e32 v36, v70
	v_mov_b32_e32 v37, v71
.LBB28_125:
	s_or_b64 exec, exec, s[0:1]
	v_lshl_add_u32 v62, v72, 4, v1
	s_barrier
	ds_write2_b64 v62, v[30:31], v[32:33] offset1:1
	s_waitcnt lgkmcnt(0)
	s_barrier
	ds_read2_b64 v[62:65], v1 offset0:12 offset1:13
	s_cmp_lt_i32 s22, 8
	v_mov_b32_e32 v70, 6
	s_cbranch_scc1 .LBB28_128
; %bb.126:
	v_add_u32_e32 v71, 0x70, v1
	s_mov_b32 s2, 7
	v_mov_b32_e32 v70, 6
.LBB28_127:                             ; =>This Inner Loop Header: Depth=1
	s_waitcnt lgkmcnt(0)
	v_cmp_gt_f64_e32 vcc, 0, v[64:65]
	v_cmp_gt_f64_e64 s[0:1], 0, v[62:63]
	ds_read2_b64 v[76:79], v71 offset1:1
	v_xor_b32_e32 v81, 0x80000000, v63
	v_xor_b32_e32 v83, 0x80000000, v65
	v_mov_b32_e32 v80, v62
	v_mov_b32_e32 v82, v64
	s_waitcnt lgkmcnt(0)
	v_xor_b32_e32 v85, 0x80000000, v79
	v_cndmask_b32_e32 v83, v65, v83, vcc
	v_cndmask_b32_e64 v81, v63, v81, s[0:1]
	v_cmp_gt_f64_e32 vcc, 0, v[78:79]
	v_cmp_gt_f64_e64 s[0:1], 0, v[76:77]
	v_add_f64 v[80:81], v[80:81], v[82:83]
	v_xor_b32_e32 v83, 0x80000000, v77
	v_mov_b32_e32 v82, v76
	v_mov_b32_e32 v84, v78
	v_add_u32_e32 v71, 16, v71
	v_cndmask_b32_e32 v85, v79, v85, vcc
	v_cndmask_b32_e64 v83, v77, v83, s[0:1]
	v_add_f64 v[82:83], v[82:83], v[84:85]
	v_mov_b32_e32 v84, s2
	s_add_i32 s2, s2, 1
	s_cmp_lg_u32 s22, s2
	v_cmp_lt_f64_e32 vcc, v[80:81], v[82:83]
	v_cndmask_b32_e32 v63, v63, v77, vcc
	v_cndmask_b32_e32 v62, v62, v76, vcc
	;; [unrolled: 1-line block ×5, first 2 shown]
	s_cbranch_scc1 .LBB28_127
.LBB28_128:
	s_waitcnt lgkmcnt(0)
	v_cmp_eq_f64_e32 vcc, 0, v[62:63]
	v_cmp_eq_f64_e64 s[0:1], 0, v[64:65]
	s_and_b64 s[0:1], vcc, s[0:1]
	s_and_saveexec_b64 s[2:3], s[0:1]
	s_xor_b64 s[0:1], exec, s[2:3]
; %bb.129:
	v_cmp_ne_u32_e32 vcc, 0, v75
	v_cndmask_b32_e32 v75, 7, v75, vcc
; %bb.130:
	s_andn2_saveexec_b64 s[0:1], s[0:1]
	s_cbranch_execz .LBB28_136
; %bb.131:
	v_cmp_ngt_f64_e64 s[2:3], |v[62:63]|, |v[64:65]|
	s_and_saveexec_b64 s[4:5], s[2:3]
	s_xor_b64 s[2:3], exec, s[4:5]
	s_cbranch_execz .LBB28_133
; %bb.132:
	v_div_scale_f64 v[76:77], s[4:5], v[64:65], v[64:65], v[62:63]
	v_rcp_f64_e32 v[78:79], v[76:77]
	v_fma_f64 v[80:81], -v[76:77], v[78:79], 1.0
	v_fma_f64 v[78:79], v[78:79], v[80:81], v[78:79]
	v_div_scale_f64 v[80:81], vcc, v[62:63], v[64:65], v[62:63]
	v_fma_f64 v[82:83], -v[76:77], v[78:79], 1.0
	v_fma_f64 v[78:79], v[78:79], v[82:83], v[78:79]
	v_mul_f64 v[82:83], v[80:81], v[78:79]
	v_fma_f64 v[76:77], -v[76:77], v[82:83], v[80:81]
	v_div_fmas_f64 v[76:77], v[76:77], v[78:79], v[82:83]
	v_div_fixup_f64 v[76:77], v[76:77], v[64:65], v[62:63]
	v_fma_f64 v[62:63], v[62:63], v[76:77], v[64:65]
	v_div_scale_f64 v[64:65], s[4:5], v[62:63], v[62:63], 1.0
	v_div_scale_f64 v[82:83], vcc, 1.0, v[62:63], 1.0
	v_rcp_f64_e32 v[78:79], v[64:65]
	v_fma_f64 v[80:81], -v[64:65], v[78:79], 1.0
	v_fma_f64 v[78:79], v[78:79], v[80:81], v[78:79]
	v_fma_f64 v[80:81], -v[64:65], v[78:79], 1.0
	v_fma_f64 v[78:79], v[78:79], v[80:81], v[78:79]
	v_mul_f64 v[80:81], v[82:83], v[78:79]
	v_fma_f64 v[64:65], -v[64:65], v[80:81], v[82:83]
	v_div_fmas_f64 v[64:65], v[64:65], v[78:79], v[80:81]
	v_div_fixup_f64 v[64:65], v[64:65], v[62:63], 1.0
	v_mul_f64 v[62:63], v[76:77], v[64:65]
	v_xor_b32_e32 v65, 0x80000000, v65
.LBB28_133:
	s_andn2_saveexec_b64 s[2:3], s[2:3]
	s_cbranch_execz .LBB28_135
; %bb.134:
	v_div_scale_f64 v[76:77], s[4:5], v[62:63], v[62:63], v[64:65]
	v_rcp_f64_e32 v[78:79], v[76:77]
	v_fma_f64 v[80:81], -v[76:77], v[78:79], 1.0
	v_fma_f64 v[78:79], v[78:79], v[80:81], v[78:79]
	v_div_scale_f64 v[80:81], vcc, v[64:65], v[62:63], v[64:65]
	v_fma_f64 v[82:83], -v[76:77], v[78:79], 1.0
	v_fma_f64 v[78:79], v[78:79], v[82:83], v[78:79]
	v_mul_f64 v[82:83], v[80:81], v[78:79]
	v_fma_f64 v[76:77], -v[76:77], v[82:83], v[80:81]
	v_div_fmas_f64 v[76:77], v[76:77], v[78:79], v[82:83]
	v_div_fixup_f64 v[76:77], v[76:77], v[62:63], v[64:65]
	v_fma_f64 v[62:63], v[64:65], v[76:77], v[62:63]
	v_div_scale_f64 v[64:65], s[4:5], v[62:63], v[62:63], 1.0
	v_div_scale_f64 v[82:83], vcc, 1.0, v[62:63], 1.0
	v_rcp_f64_e32 v[78:79], v[64:65]
	v_fma_f64 v[80:81], -v[64:65], v[78:79], 1.0
	v_fma_f64 v[78:79], v[78:79], v[80:81], v[78:79]
	v_fma_f64 v[80:81], -v[64:65], v[78:79], 1.0
	v_fma_f64 v[78:79], v[78:79], v[80:81], v[78:79]
	v_mul_f64 v[80:81], v[82:83], v[78:79]
	v_fma_f64 v[64:65], -v[64:65], v[80:81], v[82:83]
	v_div_fmas_f64 v[64:65], v[64:65], v[78:79], v[80:81]
	v_div_fixup_f64 v[62:63], v[64:65], v[62:63], 1.0
	v_mul_f64 v[64:65], v[76:77], -v[62:63]
.LBB28_135:
	s_or_b64 exec, exec, s[2:3]
.LBB28_136:
	s_or_b64 exec, exec, s[0:1]
	v_cmp_ne_u32_e32 vcc, v72, v70
	s_and_saveexec_b64 s[0:1], vcc
	s_xor_b64 s[0:1], exec, s[0:1]
	s_cbranch_execz .LBB28_142
; %bb.137:
	v_cmp_eq_u32_e32 vcc, 6, v72
	s_and_saveexec_b64 s[2:3], vcc
	s_cbranch_execz .LBB28_141
; %bb.138:
	v_cmp_ne_u32_e32 vcc, 6, v70
	s_xor_b64 s[4:5], s[18:19], -1
	s_and_b64 s[24:25], s[4:5], vcc
	s_and_saveexec_b64 s[4:5], s[24:25]
	s_cbranch_execz .LBB28_140
; %bb.139:
	v_ashrrev_i32_e32 v71, 31, v70
	v_lshlrev_b64 v[71:72], 2, v[70:71]
	v_add_co_u32_e32 v71, vcc, v68, v71
	v_addc_co_u32_e32 v72, vcc, v69, v72, vcc
	global_load_dword v0, v[71:72], off
	global_load_dword v76, v[68:69], off offset:24
	s_waitcnt vmcnt(1)
	global_store_dword v[68:69], v0, off offset:24
	s_waitcnt vmcnt(1)
	global_store_dword v[71:72], v76, off
.LBB28_140:
	s_or_b64 exec, exec, s[4:5]
	v_mov_b32_e32 v72, v70
	v_mov_b32_e32 v0, v70
.LBB28_141:
	s_or_b64 exec, exec, s[2:3]
.LBB28_142:
	s_andn2_saveexec_b64 s[0:1], s[0:1]
	s_cbranch_execz .LBB28_144
; %bb.143:
	v_mov_b32_e32 v72, 6
	ds_write2_b64 v1, v[26:27], v[28:29] offset0:14 offset1:15
	ds_write2_b64 v1, v[22:23], v[24:25] offset0:16 offset1:17
	;; [unrolled: 1-line block ×8, first 2 shown]
.LBB28_144:
	s_or_b64 exec, exec, s[0:1]
	v_cmp_lt_i32_e32 vcc, 6, v72
	s_waitcnt vmcnt(0) lgkmcnt(0)
	s_barrier
	s_and_saveexec_b64 s[0:1], vcc
	s_cbranch_execz .LBB28_146
; %bb.145:
	v_mul_f64 v[70:71], v[62:63], v[32:33]
	v_mul_f64 v[32:33], v[64:65], v[32:33]
	ds_read2_b64 v[76:79], v1 offset0:14 offset1:15
	ds_read2_b64 v[80:83], v1 offset0:16 offset1:17
	;; [unrolled: 1-line block ×5, first 2 shown]
	v_fma_f64 v[70:71], v[64:65], v[30:31], v[70:71]
	v_fma_f64 v[30:31], v[62:63], v[30:31], -v[32:33]
	s_waitcnt lgkmcnt(4)
	v_mul_f64 v[32:33], v[78:79], v[70:71]
	v_mul_f64 v[62:63], v[76:77], v[70:71]
	s_waitcnt lgkmcnt(3)
	v_mul_f64 v[64:65], v[82:83], v[70:71]
	v_mul_f64 v[96:97], v[80:81], v[70:71]
	s_waitcnt lgkmcnt(2)
	v_mul_f64 v[98:99], v[86:87], v[70:71]
	v_mul_f64 v[100:101], v[84:85], v[70:71]
	s_waitcnt lgkmcnt(1)
	v_mul_f64 v[102:103], v[90:91], v[70:71]
	v_mul_f64 v[104:105], v[88:89], v[70:71]
	v_fma_f64 v[32:33], v[76:77], v[30:31], -v[32:33]
	v_fma_f64 v[62:63], v[78:79], v[30:31], v[62:63]
	v_fma_f64 v[64:65], v[80:81], v[30:31], -v[64:65]
	v_fma_f64 v[76:77], v[82:83], v[30:31], v[96:97]
	;; [unrolled: 2-line block ×4, first 2 shown]
	v_add_f64 v[26:27], v[26:27], -v[32:33]
	v_add_f64 v[28:29], v[28:29], -v[62:63]
	v_add_f64 v[22:23], v[22:23], -v[64:65]
	v_add_f64 v[24:25], v[24:25], -v[76:77]
	v_add_f64 v[18:19], v[18:19], -v[78:79]
	v_add_f64 v[20:21], v[20:21], -v[80:81]
	v_add_f64 v[14:15], v[14:15], -v[82:83]
	ds_read2_b64 v[62:65], v1 offset0:24 offset1:25
	ds_read2_b64 v[76:79], v1 offset0:26 offset1:27
	;; [unrolled: 1-line block ×3, first 2 shown]
	v_add_f64 v[16:17], v[16:17], -v[84:85]
	s_waitcnt lgkmcnt(3)
	v_mul_f64 v[32:33], v[94:95], v[70:71]
	v_mul_f64 v[84:85], v[92:93], v[70:71]
	s_waitcnt lgkmcnt(2)
	v_mul_f64 v[86:87], v[64:65], v[70:71]
	v_mul_f64 v[88:89], v[62:63], v[70:71]
	;; [unrolled: 3-line block ×4, first 2 shown]
	v_fma_f64 v[32:33], v[92:93], v[30:31], -v[32:33]
	v_fma_f64 v[84:85], v[94:95], v[30:31], v[84:85]
	v_fma_f64 v[62:63], v[62:63], v[30:31], -v[86:87]
	v_fma_f64 v[64:65], v[64:65], v[30:31], v[88:89]
	;; [unrolled: 2-line block ×4, first 2 shown]
	v_add_f64 v[10:11], v[10:11], -v[32:33]
	v_add_f64 v[12:13], v[12:13], -v[84:85]
	;; [unrolled: 1-line block ×8, first 2 shown]
	v_mov_b32_e32 v32, v70
	v_mov_b32_e32 v33, v71
.LBB28_146:
	s_or_b64 exec, exec, s[0:1]
	v_lshl_add_u32 v62, v72, 4, v1
	s_barrier
	ds_write2_b64 v62, v[26:27], v[28:29] offset1:1
	s_waitcnt lgkmcnt(0)
	s_barrier
	ds_read2_b64 v[62:65], v1 offset0:14 offset1:15
	s_cmp_lt_i32 s22, 9
	v_mov_b32_e32 v70, 7
	s_cbranch_scc1 .LBB28_149
; %bb.147:
	v_add_u32_e32 v71, 0x80, v1
	s_mov_b32 s2, 8
	v_mov_b32_e32 v70, 7
.LBB28_148:                             ; =>This Inner Loop Header: Depth=1
	s_waitcnt lgkmcnt(0)
	v_cmp_gt_f64_e32 vcc, 0, v[64:65]
	v_cmp_gt_f64_e64 s[0:1], 0, v[62:63]
	ds_read2_b64 v[76:79], v71 offset1:1
	v_xor_b32_e32 v81, 0x80000000, v63
	v_xor_b32_e32 v83, 0x80000000, v65
	v_mov_b32_e32 v80, v62
	v_mov_b32_e32 v82, v64
	s_waitcnt lgkmcnt(0)
	v_xor_b32_e32 v85, 0x80000000, v79
	v_cndmask_b32_e32 v83, v65, v83, vcc
	v_cndmask_b32_e64 v81, v63, v81, s[0:1]
	v_cmp_gt_f64_e32 vcc, 0, v[78:79]
	v_cmp_gt_f64_e64 s[0:1], 0, v[76:77]
	v_add_f64 v[80:81], v[80:81], v[82:83]
	v_xor_b32_e32 v83, 0x80000000, v77
	v_mov_b32_e32 v82, v76
	v_mov_b32_e32 v84, v78
	v_add_u32_e32 v71, 16, v71
	v_cndmask_b32_e32 v85, v79, v85, vcc
	v_cndmask_b32_e64 v83, v77, v83, s[0:1]
	v_add_f64 v[82:83], v[82:83], v[84:85]
	v_mov_b32_e32 v84, s2
	s_add_i32 s2, s2, 1
	s_cmp_lg_u32 s22, s2
	v_cmp_lt_f64_e32 vcc, v[80:81], v[82:83]
	v_cndmask_b32_e32 v63, v63, v77, vcc
	v_cndmask_b32_e32 v62, v62, v76, vcc
	;; [unrolled: 1-line block ×5, first 2 shown]
	s_cbranch_scc1 .LBB28_148
.LBB28_149:
	s_waitcnt lgkmcnt(0)
	v_cmp_eq_f64_e32 vcc, 0, v[62:63]
	v_cmp_eq_f64_e64 s[0:1], 0, v[64:65]
	s_and_b64 s[0:1], vcc, s[0:1]
	s_and_saveexec_b64 s[2:3], s[0:1]
	s_xor_b64 s[0:1], exec, s[2:3]
; %bb.150:
	v_cmp_ne_u32_e32 vcc, 0, v75
	v_cndmask_b32_e32 v75, 8, v75, vcc
; %bb.151:
	s_andn2_saveexec_b64 s[0:1], s[0:1]
	s_cbranch_execz .LBB28_157
; %bb.152:
	v_cmp_ngt_f64_e64 s[2:3], |v[62:63]|, |v[64:65]|
	s_and_saveexec_b64 s[4:5], s[2:3]
	s_xor_b64 s[2:3], exec, s[4:5]
	s_cbranch_execz .LBB28_154
; %bb.153:
	v_div_scale_f64 v[76:77], s[4:5], v[64:65], v[64:65], v[62:63]
	v_rcp_f64_e32 v[78:79], v[76:77]
	v_fma_f64 v[80:81], -v[76:77], v[78:79], 1.0
	v_fma_f64 v[78:79], v[78:79], v[80:81], v[78:79]
	v_div_scale_f64 v[80:81], vcc, v[62:63], v[64:65], v[62:63]
	v_fma_f64 v[82:83], -v[76:77], v[78:79], 1.0
	v_fma_f64 v[78:79], v[78:79], v[82:83], v[78:79]
	v_mul_f64 v[82:83], v[80:81], v[78:79]
	v_fma_f64 v[76:77], -v[76:77], v[82:83], v[80:81]
	v_div_fmas_f64 v[76:77], v[76:77], v[78:79], v[82:83]
	v_div_fixup_f64 v[76:77], v[76:77], v[64:65], v[62:63]
	v_fma_f64 v[62:63], v[62:63], v[76:77], v[64:65]
	v_div_scale_f64 v[64:65], s[4:5], v[62:63], v[62:63], 1.0
	v_div_scale_f64 v[82:83], vcc, 1.0, v[62:63], 1.0
	v_rcp_f64_e32 v[78:79], v[64:65]
	v_fma_f64 v[80:81], -v[64:65], v[78:79], 1.0
	v_fma_f64 v[78:79], v[78:79], v[80:81], v[78:79]
	v_fma_f64 v[80:81], -v[64:65], v[78:79], 1.0
	v_fma_f64 v[78:79], v[78:79], v[80:81], v[78:79]
	v_mul_f64 v[80:81], v[82:83], v[78:79]
	v_fma_f64 v[64:65], -v[64:65], v[80:81], v[82:83]
	v_div_fmas_f64 v[64:65], v[64:65], v[78:79], v[80:81]
	v_div_fixup_f64 v[64:65], v[64:65], v[62:63], 1.0
	v_mul_f64 v[62:63], v[76:77], v[64:65]
	v_xor_b32_e32 v65, 0x80000000, v65
.LBB28_154:
	s_andn2_saveexec_b64 s[2:3], s[2:3]
	s_cbranch_execz .LBB28_156
; %bb.155:
	v_div_scale_f64 v[76:77], s[4:5], v[62:63], v[62:63], v[64:65]
	v_rcp_f64_e32 v[78:79], v[76:77]
	v_fma_f64 v[80:81], -v[76:77], v[78:79], 1.0
	v_fma_f64 v[78:79], v[78:79], v[80:81], v[78:79]
	v_div_scale_f64 v[80:81], vcc, v[64:65], v[62:63], v[64:65]
	v_fma_f64 v[82:83], -v[76:77], v[78:79], 1.0
	v_fma_f64 v[78:79], v[78:79], v[82:83], v[78:79]
	v_mul_f64 v[82:83], v[80:81], v[78:79]
	v_fma_f64 v[76:77], -v[76:77], v[82:83], v[80:81]
	v_div_fmas_f64 v[76:77], v[76:77], v[78:79], v[82:83]
	v_div_fixup_f64 v[76:77], v[76:77], v[62:63], v[64:65]
	v_fma_f64 v[62:63], v[64:65], v[76:77], v[62:63]
	v_div_scale_f64 v[64:65], s[4:5], v[62:63], v[62:63], 1.0
	v_div_scale_f64 v[82:83], vcc, 1.0, v[62:63], 1.0
	v_rcp_f64_e32 v[78:79], v[64:65]
	v_fma_f64 v[80:81], -v[64:65], v[78:79], 1.0
	v_fma_f64 v[78:79], v[78:79], v[80:81], v[78:79]
	v_fma_f64 v[80:81], -v[64:65], v[78:79], 1.0
	v_fma_f64 v[78:79], v[78:79], v[80:81], v[78:79]
	v_mul_f64 v[80:81], v[82:83], v[78:79]
	v_fma_f64 v[64:65], -v[64:65], v[80:81], v[82:83]
	v_div_fmas_f64 v[64:65], v[64:65], v[78:79], v[80:81]
	v_div_fixup_f64 v[62:63], v[64:65], v[62:63], 1.0
	v_mul_f64 v[64:65], v[76:77], -v[62:63]
.LBB28_156:
	s_or_b64 exec, exec, s[2:3]
.LBB28_157:
	s_or_b64 exec, exec, s[0:1]
	v_cmp_ne_u32_e32 vcc, v72, v70
	s_and_saveexec_b64 s[0:1], vcc
	s_xor_b64 s[0:1], exec, s[0:1]
	s_cbranch_execz .LBB28_163
; %bb.158:
	v_cmp_eq_u32_e32 vcc, 7, v72
	s_and_saveexec_b64 s[2:3], vcc
	s_cbranch_execz .LBB28_162
; %bb.159:
	v_cmp_ne_u32_e32 vcc, 7, v70
	s_xor_b64 s[4:5], s[18:19], -1
	s_and_b64 s[24:25], s[4:5], vcc
	s_and_saveexec_b64 s[4:5], s[24:25]
	s_cbranch_execz .LBB28_161
; %bb.160:
	v_ashrrev_i32_e32 v71, 31, v70
	v_lshlrev_b64 v[71:72], 2, v[70:71]
	v_add_co_u32_e32 v71, vcc, v68, v71
	v_addc_co_u32_e32 v72, vcc, v69, v72, vcc
	global_load_dword v0, v[71:72], off
	global_load_dword v76, v[68:69], off offset:28
	s_waitcnt vmcnt(1)
	global_store_dword v[68:69], v0, off offset:28
	s_waitcnt vmcnt(1)
	global_store_dword v[71:72], v76, off
.LBB28_161:
	s_or_b64 exec, exec, s[4:5]
	v_mov_b32_e32 v72, v70
	v_mov_b32_e32 v0, v70
.LBB28_162:
	s_or_b64 exec, exec, s[2:3]
.LBB28_163:
	s_andn2_saveexec_b64 s[0:1], s[0:1]
	s_cbranch_execz .LBB28_165
; %bb.164:
	v_mov_b32_e32 v72, 7
	ds_write2_b64 v1, v[22:23], v[24:25] offset0:16 offset1:17
	ds_write2_b64 v1, v[18:19], v[20:21] offset0:18 offset1:19
	;; [unrolled: 1-line block ×7, first 2 shown]
.LBB28_165:
	s_or_b64 exec, exec, s[0:1]
	v_cmp_lt_i32_e32 vcc, 7, v72
	s_waitcnt vmcnt(0) lgkmcnt(0)
	s_barrier
	s_and_saveexec_b64 s[0:1], vcc
	s_cbranch_execz .LBB28_167
; %bb.166:
	v_mul_f64 v[70:71], v[62:63], v[28:29]
	v_mul_f64 v[28:29], v[64:65], v[28:29]
	ds_read2_b64 v[76:79], v1 offset0:16 offset1:17
	ds_read2_b64 v[80:83], v1 offset0:18 offset1:19
	;; [unrolled: 1-line block ×7, first 2 shown]
	v_fma_f64 v[64:65], v[64:65], v[26:27], v[70:71]
	v_fma_f64 v[26:27], v[62:63], v[26:27], -v[28:29]
	s_waitcnt lgkmcnt(6)
	v_mul_f64 v[28:29], v[78:79], v[64:65]
	v_mul_f64 v[62:63], v[76:77], v[64:65]
	s_waitcnt lgkmcnt(5)
	v_mul_f64 v[70:71], v[82:83], v[64:65]
	v_mul_f64 v[104:105], v[80:81], v[64:65]
	;; [unrolled: 3-line block ×4, first 2 shown]
	v_fma_f64 v[28:29], v[76:77], v[26:27], -v[28:29]
	v_fma_f64 v[62:63], v[78:79], v[26:27], v[62:63]
	v_fma_f64 v[70:71], v[80:81], v[26:27], -v[70:71]
	v_fma_f64 v[76:77], v[82:83], v[26:27], v[104:105]
	;; [unrolled: 2-line block ×3, first 2 shown]
	s_waitcnt lgkmcnt(2)
	v_mul_f64 v[82:83], v[94:95], v[64:65]
	v_mul_f64 v[84:85], v[92:93], v[64:65]
	v_add_f64 v[22:23], v[22:23], -v[28:29]
	v_add_f64 v[24:25], v[24:25], -v[62:63]
	;; [unrolled: 1-line block ×4, first 2 shown]
	s_waitcnt lgkmcnt(1)
	v_mul_f64 v[28:29], v[98:99], v[64:65]
	v_mul_f64 v[62:63], v[96:97], v[64:65]
	s_waitcnt lgkmcnt(0)
	v_mul_f64 v[70:71], v[102:103], v[64:65]
	v_mul_f64 v[76:77], v[100:101], v[64:65]
	v_add_f64 v[14:15], v[14:15], -v[78:79]
	v_add_f64 v[16:17], v[16:17], -v[80:81]
	v_fma_f64 v[78:79], v[88:89], v[26:27], -v[110:111]
	v_fma_f64 v[80:81], v[90:91], v[26:27], v[112:113]
	v_fma_f64 v[82:83], v[92:93], v[26:27], -v[82:83]
	v_fma_f64 v[84:85], v[94:95], v[26:27], v[84:85]
	;; [unrolled: 2-line block ×4, first 2 shown]
	v_add_f64 v[10:11], v[10:11], -v[78:79]
	v_add_f64 v[12:13], v[12:13], -v[80:81]
	;; [unrolled: 1-line block ×8, first 2 shown]
	v_mov_b32_e32 v28, v64
	v_mov_b32_e32 v29, v65
.LBB28_167:
	s_or_b64 exec, exec, s[0:1]
	v_lshl_add_u32 v62, v72, 4, v1
	s_barrier
	ds_write2_b64 v62, v[22:23], v[24:25] offset1:1
	s_waitcnt lgkmcnt(0)
	s_barrier
	ds_read2_b64 v[62:65], v1 offset0:16 offset1:17
	s_cmp_lt_i32 s22, 10
	v_mov_b32_e32 v70, 8
	s_cbranch_scc1 .LBB28_170
; %bb.168:
	v_add_u32_e32 v71, 0x90, v1
	s_mov_b32 s2, 9
	v_mov_b32_e32 v70, 8
.LBB28_169:                             ; =>This Inner Loop Header: Depth=1
	s_waitcnt lgkmcnt(0)
	v_cmp_gt_f64_e32 vcc, 0, v[64:65]
	v_cmp_gt_f64_e64 s[0:1], 0, v[62:63]
	ds_read2_b64 v[76:79], v71 offset1:1
	v_xor_b32_e32 v81, 0x80000000, v63
	v_xor_b32_e32 v83, 0x80000000, v65
	v_mov_b32_e32 v80, v62
	v_mov_b32_e32 v82, v64
	s_waitcnt lgkmcnt(0)
	v_xor_b32_e32 v85, 0x80000000, v79
	v_cndmask_b32_e32 v83, v65, v83, vcc
	v_cndmask_b32_e64 v81, v63, v81, s[0:1]
	v_cmp_gt_f64_e32 vcc, 0, v[78:79]
	v_cmp_gt_f64_e64 s[0:1], 0, v[76:77]
	v_add_f64 v[80:81], v[80:81], v[82:83]
	v_xor_b32_e32 v83, 0x80000000, v77
	v_mov_b32_e32 v82, v76
	v_mov_b32_e32 v84, v78
	v_add_u32_e32 v71, 16, v71
	v_cndmask_b32_e32 v85, v79, v85, vcc
	v_cndmask_b32_e64 v83, v77, v83, s[0:1]
	v_add_f64 v[82:83], v[82:83], v[84:85]
	v_mov_b32_e32 v84, s2
	s_add_i32 s2, s2, 1
	s_cmp_lg_u32 s22, s2
	v_cmp_lt_f64_e32 vcc, v[80:81], v[82:83]
	v_cndmask_b32_e32 v63, v63, v77, vcc
	v_cndmask_b32_e32 v62, v62, v76, vcc
	;; [unrolled: 1-line block ×5, first 2 shown]
	s_cbranch_scc1 .LBB28_169
.LBB28_170:
	s_waitcnt lgkmcnt(0)
	v_cmp_eq_f64_e32 vcc, 0, v[62:63]
	v_cmp_eq_f64_e64 s[0:1], 0, v[64:65]
	s_and_b64 s[0:1], vcc, s[0:1]
	s_and_saveexec_b64 s[2:3], s[0:1]
	s_xor_b64 s[0:1], exec, s[2:3]
; %bb.171:
	v_cmp_ne_u32_e32 vcc, 0, v75
	v_cndmask_b32_e32 v75, 9, v75, vcc
; %bb.172:
	s_andn2_saveexec_b64 s[0:1], s[0:1]
	s_cbranch_execz .LBB28_178
; %bb.173:
	v_cmp_ngt_f64_e64 s[2:3], |v[62:63]|, |v[64:65]|
	s_and_saveexec_b64 s[4:5], s[2:3]
	s_xor_b64 s[2:3], exec, s[4:5]
	s_cbranch_execz .LBB28_175
; %bb.174:
	v_div_scale_f64 v[76:77], s[4:5], v[64:65], v[64:65], v[62:63]
	v_rcp_f64_e32 v[78:79], v[76:77]
	v_fma_f64 v[80:81], -v[76:77], v[78:79], 1.0
	v_fma_f64 v[78:79], v[78:79], v[80:81], v[78:79]
	v_div_scale_f64 v[80:81], vcc, v[62:63], v[64:65], v[62:63]
	v_fma_f64 v[82:83], -v[76:77], v[78:79], 1.0
	v_fma_f64 v[78:79], v[78:79], v[82:83], v[78:79]
	v_mul_f64 v[82:83], v[80:81], v[78:79]
	v_fma_f64 v[76:77], -v[76:77], v[82:83], v[80:81]
	v_div_fmas_f64 v[76:77], v[76:77], v[78:79], v[82:83]
	v_div_fixup_f64 v[76:77], v[76:77], v[64:65], v[62:63]
	v_fma_f64 v[62:63], v[62:63], v[76:77], v[64:65]
	v_div_scale_f64 v[64:65], s[4:5], v[62:63], v[62:63], 1.0
	v_div_scale_f64 v[82:83], vcc, 1.0, v[62:63], 1.0
	v_rcp_f64_e32 v[78:79], v[64:65]
	v_fma_f64 v[80:81], -v[64:65], v[78:79], 1.0
	v_fma_f64 v[78:79], v[78:79], v[80:81], v[78:79]
	v_fma_f64 v[80:81], -v[64:65], v[78:79], 1.0
	v_fma_f64 v[78:79], v[78:79], v[80:81], v[78:79]
	v_mul_f64 v[80:81], v[82:83], v[78:79]
	v_fma_f64 v[64:65], -v[64:65], v[80:81], v[82:83]
	v_div_fmas_f64 v[64:65], v[64:65], v[78:79], v[80:81]
	v_div_fixup_f64 v[64:65], v[64:65], v[62:63], 1.0
	v_mul_f64 v[62:63], v[76:77], v[64:65]
	v_xor_b32_e32 v65, 0x80000000, v65
.LBB28_175:
	s_andn2_saveexec_b64 s[2:3], s[2:3]
	s_cbranch_execz .LBB28_177
; %bb.176:
	v_div_scale_f64 v[76:77], s[4:5], v[62:63], v[62:63], v[64:65]
	v_rcp_f64_e32 v[78:79], v[76:77]
	v_fma_f64 v[80:81], -v[76:77], v[78:79], 1.0
	v_fma_f64 v[78:79], v[78:79], v[80:81], v[78:79]
	v_div_scale_f64 v[80:81], vcc, v[64:65], v[62:63], v[64:65]
	v_fma_f64 v[82:83], -v[76:77], v[78:79], 1.0
	v_fma_f64 v[78:79], v[78:79], v[82:83], v[78:79]
	v_mul_f64 v[82:83], v[80:81], v[78:79]
	v_fma_f64 v[76:77], -v[76:77], v[82:83], v[80:81]
	v_div_fmas_f64 v[76:77], v[76:77], v[78:79], v[82:83]
	v_div_fixup_f64 v[76:77], v[76:77], v[62:63], v[64:65]
	v_fma_f64 v[62:63], v[64:65], v[76:77], v[62:63]
	v_div_scale_f64 v[64:65], s[4:5], v[62:63], v[62:63], 1.0
	v_div_scale_f64 v[82:83], vcc, 1.0, v[62:63], 1.0
	v_rcp_f64_e32 v[78:79], v[64:65]
	v_fma_f64 v[80:81], -v[64:65], v[78:79], 1.0
	v_fma_f64 v[78:79], v[78:79], v[80:81], v[78:79]
	v_fma_f64 v[80:81], -v[64:65], v[78:79], 1.0
	v_fma_f64 v[78:79], v[78:79], v[80:81], v[78:79]
	v_mul_f64 v[80:81], v[82:83], v[78:79]
	v_fma_f64 v[64:65], -v[64:65], v[80:81], v[82:83]
	v_div_fmas_f64 v[64:65], v[64:65], v[78:79], v[80:81]
	v_div_fixup_f64 v[62:63], v[64:65], v[62:63], 1.0
	v_mul_f64 v[64:65], v[76:77], -v[62:63]
.LBB28_177:
	s_or_b64 exec, exec, s[2:3]
.LBB28_178:
	s_or_b64 exec, exec, s[0:1]
	v_cmp_ne_u32_e32 vcc, v72, v70
	s_and_saveexec_b64 s[0:1], vcc
	s_xor_b64 s[0:1], exec, s[0:1]
	s_cbranch_execz .LBB28_184
; %bb.179:
	v_cmp_eq_u32_e32 vcc, 8, v72
	s_and_saveexec_b64 s[2:3], vcc
	s_cbranch_execz .LBB28_183
; %bb.180:
	v_cmp_ne_u32_e32 vcc, 8, v70
	s_xor_b64 s[4:5], s[18:19], -1
	s_and_b64 s[24:25], s[4:5], vcc
	s_and_saveexec_b64 s[4:5], s[24:25]
	s_cbranch_execz .LBB28_182
; %bb.181:
	v_ashrrev_i32_e32 v71, 31, v70
	v_lshlrev_b64 v[71:72], 2, v[70:71]
	v_add_co_u32_e32 v71, vcc, v68, v71
	v_addc_co_u32_e32 v72, vcc, v69, v72, vcc
	global_load_dword v0, v[71:72], off
	global_load_dword v76, v[68:69], off offset:32
	s_waitcnt vmcnt(1)
	global_store_dword v[68:69], v0, off offset:32
	s_waitcnt vmcnt(1)
	global_store_dword v[71:72], v76, off
.LBB28_182:
	s_or_b64 exec, exec, s[4:5]
	v_mov_b32_e32 v72, v70
	v_mov_b32_e32 v0, v70
.LBB28_183:
	s_or_b64 exec, exec, s[2:3]
.LBB28_184:
	s_andn2_saveexec_b64 s[0:1], s[0:1]
	s_cbranch_execz .LBB28_186
; %bb.185:
	v_mov_b32_e32 v72, 8
	ds_write2_b64 v1, v[18:19], v[20:21] offset0:18 offset1:19
	ds_write2_b64 v1, v[14:15], v[16:17] offset0:20 offset1:21
	ds_write2_b64 v1, v[10:11], v[12:13] offset0:22 offset1:23
	ds_write2_b64 v1, v[6:7], v[8:9] offset0:24 offset1:25
	ds_write2_b64 v1, v[2:3], v[4:5] offset0:26 offset1:27
	ds_write2_b64 v1, v[58:59], v[60:61] offset0:28 offset1:29
.LBB28_186:
	s_or_b64 exec, exec, s[0:1]
	v_cmp_lt_i32_e32 vcc, 8, v72
	s_waitcnt vmcnt(0) lgkmcnt(0)
	s_barrier
	s_and_saveexec_b64 s[0:1], vcc
	s_cbranch_execz .LBB28_188
; %bb.187:
	v_mul_f64 v[70:71], v[62:63], v[24:25]
	v_mul_f64 v[24:25], v[64:65], v[24:25]
	ds_read2_b64 v[76:79], v1 offset0:18 offset1:19
	ds_read2_b64 v[80:83], v1 offset0:20 offset1:21
	ds_read2_b64 v[84:87], v1 offset0:22 offset1:23
	ds_read2_b64 v[88:91], v1 offset0:24 offset1:25
	ds_read2_b64 v[92:95], v1 offset0:26 offset1:27
	ds_read2_b64 v[96:99], v1 offset0:28 offset1:29
	v_fma_f64 v[64:65], v[64:65], v[22:23], v[70:71]
	v_fma_f64 v[22:23], v[62:63], v[22:23], -v[24:25]
	s_waitcnt lgkmcnt(5)
	v_mul_f64 v[24:25], v[78:79], v[64:65]
	v_mul_f64 v[62:63], v[76:77], v[64:65]
	s_waitcnt lgkmcnt(4)
	v_mul_f64 v[70:71], v[82:83], v[64:65]
	v_mul_f64 v[100:101], v[80:81], v[64:65]
	;; [unrolled: 3-line block ×5, first 2 shown]
	s_waitcnt lgkmcnt(0)
	v_mul_f64 v[114:115], v[98:99], v[64:65]
	v_fma_f64 v[24:25], v[76:77], v[22:23], -v[24:25]
	v_fma_f64 v[62:63], v[78:79], v[22:23], v[62:63]
	v_fma_f64 v[70:71], v[80:81], v[22:23], -v[70:71]
	v_fma_f64 v[76:77], v[82:83], v[22:23], v[100:101]
	v_mul_f64 v[78:79], v[96:97], v[64:65]
	v_fma_f64 v[80:81], v[84:85], v[22:23], -v[102:103]
	v_fma_f64 v[82:83], v[86:87], v[22:23], v[104:105]
	v_fma_f64 v[84:85], v[88:89], v[22:23], -v[106:107]
	v_add_f64 v[18:19], v[18:19], -v[24:25]
	v_add_f64 v[20:21], v[20:21], -v[62:63]
	v_add_f64 v[14:15], v[14:15], -v[70:71]
	v_add_f64 v[16:17], v[16:17], -v[76:77]
	v_fma_f64 v[24:25], v[90:91], v[22:23], v[108:109]
	v_fma_f64 v[62:63], v[92:93], v[22:23], -v[110:111]
	v_fma_f64 v[70:71], v[94:95], v[22:23], v[112:113]
	v_fma_f64 v[76:77], v[96:97], v[22:23], -v[114:115]
	v_fma_f64 v[78:79], v[98:99], v[22:23], v[78:79]
	v_add_f64 v[10:11], v[10:11], -v[80:81]
	v_add_f64 v[12:13], v[12:13], -v[82:83]
	;; [unrolled: 1-line block ×8, first 2 shown]
	v_mov_b32_e32 v24, v64
	v_mov_b32_e32 v25, v65
.LBB28_188:
	s_or_b64 exec, exec, s[0:1]
	v_lshl_add_u32 v62, v72, 4, v1
	s_barrier
	ds_write2_b64 v62, v[18:19], v[20:21] offset1:1
	s_waitcnt lgkmcnt(0)
	s_barrier
	ds_read2_b64 v[62:65], v1 offset0:18 offset1:19
	s_cmp_lt_i32 s22, 11
	v_mov_b32_e32 v70, 9
	s_cbranch_scc1 .LBB28_191
; %bb.189:
	v_add_u32_e32 v71, 0xa0, v1
	s_mov_b32 s2, 10
	v_mov_b32_e32 v70, 9
.LBB28_190:                             ; =>This Inner Loop Header: Depth=1
	s_waitcnt lgkmcnt(0)
	v_cmp_gt_f64_e32 vcc, 0, v[64:65]
	v_cmp_gt_f64_e64 s[0:1], 0, v[62:63]
	ds_read2_b64 v[76:79], v71 offset1:1
	v_xor_b32_e32 v81, 0x80000000, v63
	v_xor_b32_e32 v83, 0x80000000, v65
	v_mov_b32_e32 v80, v62
	v_mov_b32_e32 v82, v64
	s_waitcnt lgkmcnt(0)
	v_xor_b32_e32 v85, 0x80000000, v79
	v_cndmask_b32_e32 v83, v65, v83, vcc
	v_cndmask_b32_e64 v81, v63, v81, s[0:1]
	v_cmp_gt_f64_e32 vcc, 0, v[78:79]
	v_cmp_gt_f64_e64 s[0:1], 0, v[76:77]
	v_add_f64 v[80:81], v[80:81], v[82:83]
	v_xor_b32_e32 v83, 0x80000000, v77
	v_mov_b32_e32 v82, v76
	v_mov_b32_e32 v84, v78
	v_add_u32_e32 v71, 16, v71
	v_cndmask_b32_e32 v85, v79, v85, vcc
	v_cndmask_b32_e64 v83, v77, v83, s[0:1]
	v_add_f64 v[82:83], v[82:83], v[84:85]
	v_mov_b32_e32 v84, s2
	s_add_i32 s2, s2, 1
	s_cmp_lg_u32 s22, s2
	v_cmp_lt_f64_e32 vcc, v[80:81], v[82:83]
	v_cndmask_b32_e32 v63, v63, v77, vcc
	v_cndmask_b32_e32 v62, v62, v76, vcc
	;; [unrolled: 1-line block ×5, first 2 shown]
	s_cbranch_scc1 .LBB28_190
.LBB28_191:
	s_waitcnt lgkmcnt(0)
	v_cmp_eq_f64_e32 vcc, 0, v[62:63]
	v_cmp_eq_f64_e64 s[0:1], 0, v[64:65]
	s_and_b64 s[0:1], vcc, s[0:1]
	s_and_saveexec_b64 s[2:3], s[0:1]
	s_xor_b64 s[0:1], exec, s[2:3]
; %bb.192:
	v_cmp_ne_u32_e32 vcc, 0, v75
	v_cndmask_b32_e32 v75, 10, v75, vcc
; %bb.193:
	s_andn2_saveexec_b64 s[0:1], s[0:1]
	s_cbranch_execz .LBB28_199
; %bb.194:
	v_cmp_ngt_f64_e64 s[2:3], |v[62:63]|, |v[64:65]|
	s_and_saveexec_b64 s[4:5], s[2:3]
	s_xor_b64 s[2:3], exec, s[4:5]
	s_cbranch_execz .LBB28_196
; %bb.195:
	v_div_scale_f64 v[76:77], s[4:5], v[64:65], v[64:65], v[62:63]
	v_rcp_f64_e32 v[78:79], v[76:77]
	v_fma_f64 v[80:81], -v[76:77], v[78:79], 1.0
	v_fma_f64 v[78:79], v[78:79], v[80:81], v[78:79]
	v_div_scale_f64 v[80:81], vcc, v[62:63], v[64:65], v[62:63]
	v_fma_f64 v[82:83], -v[76:77], v[78:79], 1.0
	v_fma_f64 v[78:79], v[78:79], v[82:83], v[78:79]
	v_mul_f64 v[82:83], v[80:81], v[78:79]
	v_fma_f64 v[76:77], -v[76:77], v[82:83], v[80:81]
	v_div_fmas_f64 v[76:77], v[76:77], v[78:79], v[82:83]
	v_div_fixup_f64 v[76:77], v[76:77], v[64:65], v[62:63]
	v_fma_f64 v[62:63], v[62:63], v[76:77], v[64:65]
	v_div_scale_f64 v[64:65], s[4:5], v[62:63], v[62:63], 1.0
	v_div_scale_f64 v[82:83], vcc, 1.0, v[62:63], 1.0
	v_rcp_f64_e32 v[78:79], v[64:65]
	v_fma_f64 v[80:81], -v[64:65], v[78:79], 1.0
	v_fma_f64 v[78:79], v[78:79], v[80:81], v[78:79]
	v_fma_f64 v[80:81], -v[64:65], v[78:79], 1.0
	v_fma_f64 v[78:79], v[78:79], v[80:81], v[78:79]
	v_mul_f64 v[80:81], v[82:83], v[78:79]
	v_fma_f64 v[64:65], -v[64:65], v[80:81], v[82:83]
	v_div_fmas_f64 v[64:65], v[64:65], v[78:79], v[80:81]
	v_div_fixup_f64 v[64:65], v[64:65], v[62:63], 1.0
	v_mul_f64 v[62:63], v[76:77], v[64:65]
	v_xor_b32_e32 v65, 0x80000000, v65
.LBB28_196:
	s_andn2_saveexec_b64 s[2:3], s[2:3]
	s_cbranch_execz .LBB28_198
; %bb.197:
	v_div_scale_f64 v[76:77], s[4:5], v[62:63], v[62:63], v[64:65]
	v_rcp_f64_e32 v[78:79], v[76:77]
	v_fma_f64 v[80:81], -v[76:77], v[78:79], 1.0
	v_fma_f64 v[78:79], v[78:79], v[80:81], v[78:79]
	v_div_scale_f64 v[80:81], vcc, v[64:65], v[62:63], v[64:65]
	v_fma_f64 v[82:83], -v[76:77], v[78:79], 1.0
	v_fma_f64 v[78:79], v[78:79], v[82:83], v[78:79]
	v_mul_f64 v[82:83], v[80:81], v[78:79]
	v_fma_f64 v[76:77], -v[76:77], v[82:83], v[80:81]
	v_div_fmas_f64 v[76:77], v[76:77], v[78:79], v[82:83]
	v_div_fixup_f64 v[76:77], v[76:77], v[62:63], v[64:65]
	v_fma_f64 v[62:63], v[64:65], v[76:77], v[62:63]
	v_div_scale_f64 v[64:65], s[4:5], v[62:63], v[62:63], 1.0
	v_div_scale_f64 v[82:83], vcc, 1.0, v[62:63], 1.0
	v_rcp_f64_e32 v[78:79], v[64:65]
	v_fma_f64 v[80:81], -v[64:65], v[78:79], 1.0
	v_fma_f64 v[78:79], v[78:79], v[80:81], v[78:79]
	v_fma_f64 v[80:81], -v[64:65], v[78:79], 1.0
	v_fma_f64 v[78:79], v[78:79], v[80:81], v[78:79]
	v_mul_f64 v[80:81], v[82:83], v[78:79]
	v_fma_f64 v[64:65], -v[64:65], v[80:81], v[82:83]
	v_div_fmas_f64 v[64:65], v[64:65], v[78:79], v[80:81]
	v_div_fixup_f64 v[62:63], v[64:65], v[62:63], 1.0
	v_mul_f64 v[64:65], v[76:77], -v[62:63]
.LBB28_198:
	s_or_b64 exec, exec, s[2:3]
.LBB28_199:
	s_or_b64 exec, exec, s[0:1]
	v_cmp_ne_u32_e32 vcc, v72, v70
	s_and_saveexec_b64 s[0:1], vcc
	s_xor_b64 s[0:1], exec, s[0:1]
	s_cbranch_execz .LBB28_205
; %bb.200:
	v_cmp_eq_u32_e32 vcc, 9, v72
	s_and_saveexec_b64 s[2:3], vcc
	s_cbranch_execz .LBB28_204
; %bb.201:
	v_cmp_ne_u32_e32 vcc, 9, v70
	s_xor_b64 s[4:5], s[18:19], -1
	s_and_b64 s[24:25], s[4:5], vcc
	s_and_saveexec_b64 s[4:5], s[24:25]
	s_cbranch_execz .LBB28_203
; %bb.202:
	v_ashrrev_i32_e32 v71, 31, v70
	v_lshlrev_b64 v[71:72], 2, v[70:71]
	v_add_co_u32_e32 v71, vcc, v68, v71
	v_addc_co_u32_e32 v72, vcc, v69, v72, vcc
	global_load_dword v0, v[71:72], off
	global_load_dword v76, v[68:69], off offset:36
	s_waitcnt vmcnt(1)
	global_store_dword v[68:69], v0, off offset:36
	s_waitcnt vmcnt(1)
	global_store_dword v[71:72], v76, off
.LBB28_203:
	s_or_b64 exec, exec, s[4:5]
	v_mov_b32_e32 v72, v70
	v_mov_b32_e32 v0, v70
.LBB28_204:
	s_or_b64 exec, exec, s[2:3]
.LBB28_205:
	s_andn2_saveexec_b64 s[0:1], s[0:1]
	s_cbranch_execz .LBB28_207
; %bb.206:
	v_mov_b32_e32 v72, 9
	ds_write2_b64 v1, v[14:15], v[16:17] offset0:20 offset1:21
	ds_write2_b64 v1, v[10:11], v[12:13] offset0:22 offset1:23
	;; [unrolled: 1-line block ×5, first 2 shown]
.LBB28_207:
	s_or_b64 exec, exec, s[0:1]
	v_cmp_lt_i32_e32 vcc, 9, v72
	s_waitcnt vmcnt(0) lgkmcnt(0)
	s_barrier
	s_and_saveexec_b64 s[0:1], vcc
	s_cbranch_execz .LBB28_209
; %bb.208:
	v_mul_f64 v[70:71], v[62:63], v[20:21]
	v_mul_f64 v[20:21], v[64:65], v[20:21]
	ds_read2_b64 v[76:79], v1 offset0:20 offset1:21
	ds_read2_b64 v[80:83], v1 offset0:22 offset1:23
	;; [unrolled: 1-line block ×5, first 2 shown]
	v_fma_f64 v[64:65], v[64:65], v[18:19], v[70:71]
	v_fma_f64 v[18:19], v[62:63], v[18:19], -v[20:21]
	s_waitcnt lgkmcnt(4)
	v_mul_f64 v[20:21], v[78:79], v[64:65]
	v_mul_f64 v[62:63], v[76:77], v[64:65]
	s_waitcnt lgkmcnt(3)
	v_mul_f64 v[70:71], v[82:83], v[64:65]
	v_mul_f64 v[96:97], v[80:81], v[64:65]
	s_waitcnt lgkmcnt(2)
	v_mul_f64 v[98:99], v[86:87], v[64:65]
	v_mul_f64 v[100:101], v[84:85], v[64:65]
	s_waitcnt lgkmcnt(1)
	v_mul_f64 v[102:103], v[90:91], v[64:65]
	v_mul_f64 v[104:105], v[88:89], v[64:65]
	s_waitcnt lgkmcnt(0)
	v_mul_f64 v[106:107], v[94:95], v[64:65]
	v_mul_f64 v[108:109], v[92:93], v[64:65]
	v_fma_f64 v[20:21], v[76:77], v[18:19], -v[20:21]
	v_fma_f64 v[62:63], v[78:79], v[18:19], v[62:63]
	v_fma_f64 v[70:71], v[80:81], v[18:19], -v[70:71]
	v_fma_f64 v[76:77], v[82:83], v[18:19], v[96:97]
	;; [unrolled: 2-line block ×5, first 2 shown]
	v_add_f64 v[14:15], v[14:15], -v[20:21]
	v_add_f64 v[16:17], v[16:17], -v[62:63]
	;; [unrolled: 1-line block ×10, first 2 shown]
	v_mov_b32_e32 v20, v64
	v_mov_b32_e32 v21, v65
.LBB28_209:
	s_or_b64 exec, exec, s[0:1]
	v_lshl_add_u32 v62, v72, 4, v1
	s_barrier
	ds_write2_b64 v62, v[14:15], v[16:17] offset1:1
	s_waitcnt lgkmcnt(0)
	s_barrier
	ds_read2_b64 v[62:65], v1 offset0:20 offset1:21
	s_cmp_lt_i32 s22, 12
	v_mov_b32_e32 v70, 10
	s_cbranch_scc1 .LBB28_212
; %bb.210:
	v_add_u32_e32 v71, 0xb0, v1
	s_mov_b32 s2, 11
	v_mov_b32_e32 v70, 10
.LBB28_211:                             ; =>This Inner Loop Header: Depth=1
	s_waitcnt lgkmcnt(0)
	v_cmp_gt_f64_e32 vcc, 0, v[64:65]
	v_cmp_gt_f64_e64 s[0:1], 0, v[62:63]
	ds_read2_b64 v[76:79], v71 offset1:1
	v_xor_b32_e32 v81, 0x80000000, v63
	v_xor_b32_e32 v83, 0x80000000, v65
	v_mov_b32_e32 v80, v62
	v_mov_b32_e32 v82, v64
	s_waitcnt lgkmcnt(0)
	v_xor_b32_e32 v85, 0x80000000, v79
	v_cndmask_b32_e32 v83, v65, v83, vcc
	v_cndmask_b32_e64 v81, v63, v81, s[0:1]
	v_cmp_gt_f64_e32 vcc, 0, v[78:79]
	v_cmp_gt_f64_e64 s[0:1], 0, v[76:77]
	v_add_f64 v[80:81], v[80:81], v[82:83]
	v_xor_b32_e32 v83, 0x80000000, v77
	v_mov_b32_e32 v82, v76
	v_mov_b32_e32 v84, v78
	v_add_u32_e32 v71, 16, v71
	v_cndmask_b32_e32 v85, v79, v85, vcc
	v_cndmask_b32_e64 v83, v77, v83, s[0:1]
	v_add_f64 v[82:83], v[82:83], v[84:85]
	v_mov_b32_e32 v84, s2
	s_add_i32 s2, s2, 1
	s_cmp_lg_u32 s22, s2
	v_cmp_lt_f64_e32 vcc, v[80:81], v[82:83]
	v_cndmask_b32_e32 v63, v63, v77, vcc
	v_cndmask_b32_e32 v62, v62, v76, vcc
	;; [unrolled: 1-line block ×5, first 2 shown]
	s_cbranch_scc1 .LBB28_211
.LBB28_212:
	s_waitcnt lgkmcnt(0)
	v_cmp_eq_f64_e32 vcc, 0, v[62:63]
	v_cmp_eq_f64_e64 s[0:1], 0, v[64:65]
	s_and_b64 s[0:1], vcc, s[0:1]
	s_and_saveexec_b64 s[2:3], s[0:1]
	s_xor_b64 s[0:1], exec, s[2:3]
; %bb.213:
	v_cmp_ne_u32_e32 vcc, 0, v75
	v_cndmask_b32_e32 v75, 11, v75, vcc
; %bb.214:
	s_andn2_saveexec_b64 s[0:1], s[0:1]
	s_cbranch_execz .LBB28_220
; %bb.215:
	v_cmp_ngt_f64_e64 s[2:3], |v[62:63]|, |v[64:65]|
	s_and_saveexec_b64 s[4:5], s[2:3]
	s_xor_b64 s[2:3], exec, s[4:5]
	s_cbranch_execz .LBB28_217
; %bb.216:
	v_div_scale_f64 v[76:77], s[4:5], v[64:65], v[64:65], v[62:63]
	v_rcp_f64_e32 v[78:79], v[76:77]
	v_fma_f64 v[80:81], -v[76:77], v[78:79], 1.0
	v_fma_f64 v[78:79], v[78:79], v[80:81], v[78:79]
	v_div_scale_f64 v[80:81], vcc, v[62:63], v[64:65], v[62:63]
	v_fma_f64 v[82:83], -v[76:77], v[78:79], 1.0
	v_fma_f64 v[78:79], v[78:79], v[82:83], v[78:79]
	v_mul_f64 v[82:83], v[80:81], v[78:79]
	v_fma_f64 v[76:77], -v[76:77], v[82:83], v[80:81]
	v_div_fmas_f64 v[76:77], v[76:77], v[78:79], v[82:83]
	v_div_fixup_f64 v[76:77], v[76:77], v[64:65], v[62:63]
	v_fma_f64 v[62:63], v[62:63], v[76:77], v[64:65]
	v_div_scale_f64 v[64:65], s[4:5], v[62:63], v[62:63], 1.0
	v_div_scale_f64 v[82:83], vcc, 1.0, v[62:63], 1.0
	v_rcp_f64_e32 v[78:79], v[64:65]
	v_fma_f64 v[80:81], -v[64:65], v[78:79], 1.0
	v_fma_f64 v[78:79], v[78:79], v[80:81], v[78:79]
	v_fma_f64 v[80:81], -v[64:65], v[78:79], 1.0
	v_fma_f64 v[78:79], v[78:79], v[80:81], v[78:79]
	v_mul_f64 v[80:81], v[82:83], v[78:79]
	v_fma_f64 v[64:65], -v[64:65], v[80:81], v[82:83]
	v_div_fmas_f64 v[64:65], v[64:65], v[78:79], v[80:81]
	v_div_fixup_f64 v[64:65], v[64:65], v[62:63], 1.0
	v_mul_f64 v[62:63], v[76:77], v[64:65]
	v_xor_b32_e32 v65, 0x80000000, v65
.LBB28_217:
	s_andn2_saveexec_b64 s[2:3], s[2:3]
	s_cbranch_execz .LBB28_219
; %bb.218:
	v_div_scale_f64 v[76:77], s[4:5], v[62:63], v[62:63], v[64:65]
	v_rcp_f64_e32 v[78:79], v[76:77]
	v_fma_f64 v[80:81], -v[76:77], v[78:79], 1.0
	v_fma_f64 v[78:79], v[78:79], v[80:81], v[78:79]
	v_div_scale_f64 v[80:81], vcc, v[64:65], v[62:63], v[64:65]
	v_fma_f64 v[82:83], -v[76:77], v[78:79], 1.0
	v_fma_f64 v[78:79], v[78:79], v[82:83], v[78:79]
	v_mul_f64 v[82:83], v[80:81], v[78:79]
	v_fma_f64 v[76:77], -v[76:77], v[82:83], v[80:81]
	v_div_fmas_f64 v[76:77], v[76:77], v[78:79], v[82:83]
	v_div_fixup_f64 v[76:77], v[76:77], v[62:63], v[64:65]
	v_fma_f64 v[62:63], v[64:65], v[76:77], v[62:63]
	v_div_scale_f64 v[64:65], s[4:5], v[62:63], v[62:63], 1.0
	v_div_scale_f64 v[82:83], vcc, 1.0, v[62:63], 1.0
	v_rcp_f64_e32 v[78:79], v[64:65]
	v_fma_f64 v[80:81], -v[64:65], v[78:79], 1.0
	v_fma_f64 v[78:79], v[78:79], v[80:81], v[78:79]
	v_fma_f64 v[80:81], -v[64:65], v[78:79], 1.0
	v_fma_f64 v[78:79], v[78:79], v[80:81], v[78:79]
	v_mul_f64 v[80:81], v[82:83], v[78:79]
	v_fma_f64 v[64:65], -v[64:65], v[80:81], v[82:83]
	v_div_fmas_f64 v[64:65], v[64:65], v[78:79], v[80:81]
	v_div_fixup_f64 v[62:63], v[64:65], v[62:63], 1.0
	v_mul_f64 v[64:65], v[76:77], -v[62:63]
.LBB28_219:
	s_or_b64 exec, exec, s[2:3]
.LBB28_220:
	s_or_b64 exec, exec, s[0:1]
	v_cmp_ne_u32_e32 vcc, v72, v70
	s_and_saveexec_b64 s[0:1], vcc
	s_xor_b64 s[0:1], exec, s[0:1]
	s_cbranch_execz .LBB28_226
; %bb.221:
	v_cmp_eq_u32_e32 vcc, 10, v72
	s_and_saveexec_b64 s[2:3], vcc
	s_cbranch_execz .LBB28_225
; %bb.222:
	v_cmp_ne_u32_e32 vcc, 10, v70
	s_xor_b64 s[4:5], s[18:19], -1
	s_and_b64 s[24:25], s[4:5], vcc
	s_and_saveexec_b64 s[4:5], s[24:25]
	s_cbranch_execz .LBB28_224
; %bb.223:
	v_ashrrev_i32_e32 v71, 31, v70
	v_lshlrev_b64 v[71:72], 2, v[70:71]
	v_add_co_u32_e32 v71, vcc, v68, v71
	v_addc_co_u32_e32 v72, vcc, v69, v72, vcc
	global_load_dword v0, v[71:72], off
	global_load_dword v76, v[68:69], off offset:40
	s_waitcnt vmcnt(1)
	global_store_dword v[68:69], v0, off offset:40
	s_waitcnt vmcnt(1)
	global_store_dword v[71:72], v76, off
.LBB28_224:
	s_or_b64 exec, exec, s[4:5]
	v_mov_b32_e32 v72, v70
	v_mov_b32_e32 v0, v70
.LBB28_225:
	s_or_b64 exec, exec, s[2:3]
.LBB28_226:
	s_andn2_saveexec_b64 s[0:1], s[0:1]
	s_cbranch_execz .LBB28_228
; %bb.227:
	v_mov_b32_e32 v72, 10
	ds_write2_b64 v1, v[10:11], v[12:13] offset0:22 offset1:23
	ds_write2_b64 v1, v[6:7], v[8:9] offset0:24 offset1:25
	;; [unrolled: 1-line block ×4, first 2 shown]
.LBB28_228:
	s_or_b64 exec, exec, s[0:1]
	v_cmp_lt_i32_e32 vcc, 10, v72
	s_waitcnt vmcnt(0) lgkmcnt(0)
	s_barrier
	s_and_saveexec_b64 s[0:1], vcc
	s_cbranch_execz .LBB28_230
; %bb.229:
	v_mul_f64 v[70:71], v[62:63], v[16:17]
	v_mul_f64 v[16:17], v[64:65], v[16:17]
	ds_read2_b64 v[76:79], v1 offset0:22 offset1:23
	ds_read2_b64 v[80:83], v1 offset0:24 offset1:25
	ds_read2_b64 v[84:87], v1 offset0:26 offset1:27
	ds_read2_b64 v[88:91], v1 offset0:28 offset1:29
	v_fma_f64 v[64:65], v[64:65], v[14:15], v[70:71]
	v_fma_f64 v[14:15], v[62:63], v[14:15], -v[16:17]
	s_waitcnt lgkmcnt(3)
	v_mul_f64 v[16:17], v[78:79], v[64:65]
	v_mul_f64 v[62:63], v[76:77], v[64:65]
	s_waitcnt lgkmcnt(2)
	v_mul_f64 v[70:71], v[82:83], v[64:65]
	v_mul_f64 v[92:93], v[80:81], v[64:65]
	;; [unrolled: 3-line block ×4, first 2 shown]
	v_fma_f64 v[16:17], v[76:77], v[14:15], -v[16:17]
	v_fma_f64 v[62:63], v[78:79], v[14:15], v[62:63]
	v_fma_f64 v[70:71], v[80:81], v[14:15], -v[70:71]
	v_fma_f64 v[76:77], v[82:83], v[14:15], v[92:93]
	;; [unrolled: 2-line block ×4, first 2 shown]
	v_add_f64 v[10:11], v[10:11], -v[16:17]
	v_add_f64 v[12:13], v[12:13], -v[62:63]
	;; [unrolled: 1-line block ×8, first 2 shown]
	v_mov_b32_e32 v16, v64
	v_mov_b32_e32 v17, v65
.LBB28_230:
	s_or_b64 exec, exec, s[0:1]
	v_lshl_add_u32 v62, v72, 4, v1
	s_barrier
	ds_write2_b64 v62, v[10:11], v[12:13] offset1:1
	s_waitcnt lgkmcnt(0)
	s_barrier
	ds_read2_b64 v[62:65], v1 offset0:22 offset1:23
	s_cmp_lt_i32 s22, 13
	v_mov_b32_e32 v70, 11
	s_cbranch_scc1 .LBB28_233
; %bb.231:
	v_add_u32_e32 v71, 0xc0, v1
	s_mov_b32 s2, 12
	v_mov_b32_e32 v70, 11
.LBB28_232:                             ; =>This Inner Loop Header: Depth=1
	s_waitcnt lgkmcnt(0)
	v_cmp_gt_f64_e32 vcc, 0, v[64:65]
	v_cmp_gt_f64_e64 s[0:1], 0, v[62:63]
	ds_read2_b64 v[76:79], v71 offset1:1
	v_xor_b32_e32 v81, 0x80000000, v63
	v_xor_b32_e32 v83, 0x80000000, v65
	v_mov_b32_e32 v80, v62
	v_mov_b32_e32 v82, v64
	s_waitcnt lgkmcnt(0)
	v_xor_b32_e32 v85, 0x80000000, v79
	v_cndmask_b32_e32 v83, v65, v83, vcc
	v_cndmask_b32_e64 v81, v63, v81, s[0:1]
	v_cmp_gt_f64_e32 vcc, 0, v[78:79]
	v_cmp_gt_f64_e64 s[0:1], 0, v[76:77]
	v_add_f64 v[80:81], v[80:81], v[82:83]
	v_xor_b32_e32 v83, 0x80000000, v77
	v_mov_b32_e32 v82, v76
	v_mov_b32_e32 v84, v78
	v_add_u32_e32 v71, 16, v71
	v_cndmask_b32_e32 v85, v79, v85, vcc
	v_cndmask_b32_e64 v83, v77, v83, s[0:1]
	v_add_f64 v[82:83], v[82:83], v[84:85]
	v_mov_b32_e32 v84, s2
	s_add_i32 s2, s2, 1
	s_cmp_lg_u32 s22, s2
	v_cmp_lt_f64_e32 vcc, v[80:81], v[82:83]
	v_cndmask_b32_e32 v63, v63, v77, vcc
	v_cndmask_b32_e32 v62, v62, v76, vcc
	;; [unrolled: 1-line block ×5, first 2 shown]
	s_cbranch_scc1 .LBB28_232
.LBB28_233:
	s_waitcnt lgkmcnt(0)
	v_cmp_eq_f64_e32 vcc, 0, v[62:63]
	v_cmp_eq_f64_e64 s[0:1], 0, v[64:65]
	s_and_b64 s[0:1], vcc, s[0:1]
	s_and_saveexec_b64 s[2:3], s[0:1]
	s_xor_b64 s[0:1], exec, s[2:3]
; %bb.234:
	v_cmp_ne_u32_e32 vcc, 0, v75
	v_cndmask_b32_e32 v75, 12, v75, vcc
; %bb.235:
	s_andn2_saveexec_b64 s[0:1], s[0:1]
	s_cbranch_execz .LBB28_241
; %bb.236:
	v_cmp_ngt_f64_e64 s[2:3], |v[62:63]|, |v[64:65]|
	s_and_saveexec_b64 s[4:5], s[2:3]
	s_xor_b64 s[2:3], exec, s[4:5]
	s_cbranch_execz .LBB28_238
; %bb.237:
	v_div_scale_f64 v[76:77], s[4:5], v[64:65], v[64:65], v[62:63]
	v_rcp_f64_e32 v[78:79], v[76:77]
	v_fma_f64 v[80:81], -v[76:77], v[78:79], 1.0
	v_fma_f64 v[78:79], v[78:79], v[80:81], v[78:79]
	v_div_scale_f64 v[80:81], vcc, v[62:63], v[64:65], v[62:63]
	v_fma_f64 v[82:83], -v[76:77], v[78:79], 1.0
	v_fma_f64 v[78:79], v[78:79], v[82:83], v[78:79]
	v_mul_f64 v[82:83], v[80:81], v[78:79]
	v_fma_f64 v[76:77], -v[76:77], v[82:83], v[80:81]
	v_div_fmas_f64 v[76:77], v[76:77], v[78:79], v[82:83]
	v_div_fixup_f64 v[76:77], v[76:77], v[64:65], v[62:63]
	v_fma_f64 v[62:63], v[62:63], v[76:77], v[64:65]
	v_div_scale_f64 v[64:65], s[4:5], v[62:63], v[62:63], 1.0
	v_div_scale_f64 v[82:83], vcc, 1.0, v[62:63], 1.0
	v_rcp_f64_e32 v[78:79], v[64:65]
	v_fma_f64 v[80:81], -v[64:65], v[78:79], 1.0
	v_fma_f64 v[78:79], v[78:79], v[80:81], v[78:79]
	v_fma_f64 v[80:81], -v[64:65], v[78:79], 1.0
	v_fma_f64 v[78:79], v[78:79], v[80:81], v[78:79]
	v_mul_f64 v[80:81], v[82:83], v[78:79]
	v_fma_f64 v[64:65], -v[64:65], v[80:81], v[82:83]
	v_div_fmas_f64 v[64:65], v[64:65], v[78:79], v[80:81]
	v_div_fixup_f64 v[64:65], v[64:65], v[62:63], 1.0
	v_mul_f64 v[62:63], v[76:77], v[64:65]
	v_xor_b32_e32 v65, 0x80000000, v65
.LBB28_238:
	s_andn2_saveexec_b64 s[2:3], s[2:3]
	s_cbranch_execz .LBB28_240
; %bb.239:
	v_div_scale_f64 v[76:77], s[4:5], v[62:63], v[62:63], v[64:65]
	v_rcp_f64_e32 v[78:79], v[76:77]
	v_fma_f64 v[80:81], -v[76:77], v[78:79], 1.0
	v_fma_f64 v[78:79], v[78:79], v[80:81], v[78:79]
	v_div_scale_f64 v[80:81], vcc, v[64:65], v[62:63], v[64:65]
	v_fma_f64 v[82:83], -v[76:77], v[78:79], 1.0
	v_fma_f64 v[78:79], v[78:79], v[82:83], v[78:79]
	v_mul_f64 v[82:83], v[80:81], v[78:79]
	v_fma_f64 v[76:77], -v[76:77], v[82:83], v[80:81]
	v_div_fmas_f64 v[76:77], v[76:77], v[78:79], v[82:83]
	v_div_fixup_f64 v[76:77], v[76:77], v[62:63], v[64:65]
	v_fma_f64 v[62:63], v[64:65], v[76:77], v[62:63]
	v_div_scale_f64 v[64:65], s[4:5], v[62:63], v[62:63], 1.0
	v_div_scale_f64 v[82:83], vcc, 1.0, v[62:63], 1.0
	v_rcp_f64_e32 v[78:79], v[64:65]
	v_fma_f64 v[80:81], -v[64:65], v[78:79], 1.0
	v_fma_f64 v[78:79], v[78:79], v[80:81], v[78:79]
	v_fma_f64 v[80:81], -v[64:65], v[78:79], 1.0
	v_fma_f64 v[78:79], v[78:79], v[80:81], v[78:79]
	v_mul_f64 v[80:81], v[82:83], v[78:79]
	v_fma_f64 v[64:65], -v[64:65], v[80:81], v[82:83]
	v_div_fmas_f64 v[64:65], v[64:65], v[78:79], v[80:81]
	v_div_fixup_f64 v[62:63], v[64:65], v[62:63], 1.0
	v_mul_f64 v[64:65], v[76:77], -v[62:63]
.LBB28_240:
	s_or_b64 exec, exec, s[2:3]
.LBB28_241:
	s_or_b64 exec, exec, s[0:1]
	v_cmp_ne_u32_e32 vcc, v72, v70
	s_and_saveexec_b64 s[0:1], vcc
	s_xor_b64 s[0:1], exec, s[0:1]
	s_cbranch_execz .LBB28_247
; %bb.242:
	v_cmp_eq_u32_e32 vcc, 11, v72
	s_and_saveexec_b64 s[2:3], vcc
	s_cbranch_execz .LBB28_246
; %bb.243:
	v_cmp_ne_u32_e32 vcc, 11, v70
	s_xor_b64 s[4:5], s[18:19], -1
	s_and_b64 s[24:25], s[4:5], vcc
	s_and_saveexec_b64 s[4:5], s[24:25]
	s_cbranch_execz .LBB28_245
; %bb.244:
	v_ashrrev_i32_e32 v71, 31, v70
	v_lshlrev_b64 v[71:72], 2, v[70:71]
	v_add_co_u32_e32 v71, vcc, v68, v71
	v_addc_co_u32_e32 v72, vcc, v69, v72, vcc
	global_load_dword v0, v[71:72], off
	global_load_dword v76, v[68:69], off offset:44
	s_waitcnt vmcnt(1)
	global_store_dword v[68:69], v0, off offset:44
	s_waitcnt vmcnt(1)
	global_store_dword v[71:72], v76, off
.LBB28_245:
	s_or_b64 exec, exec, s[4:5]
	v_mov_b32_e32 v72, v70
	v_mov_b32_e32 v0, v70
.LBB28_246:
	s_or_b64 exec, exec, s[2:3]
.LBB28_247:
	s_andn2_saveexec_b64 s[0:1], s[0:1]
	s_cbranch_execz .LBB28_249
; %bb.248:
	v_mov_b32_e32 v72, 11
	ds_write2_b64 v1, v[6:7], v[8:9] offset0:24 offset1:25
	ds_write2_b64 v1, v[2:3], v[4:5] offset0:26 offset1:27
	;; [unrolled: 1-line block ×3, first 2 shown]
.LBB28_249:
	s_or_b64 exec, exec, s[0:1]
	v_cmp_lt_i32_e32 vcc, 11, v72
	s_waitcnt vmcnt(0) lgkmcnt(0)
	s_barrier
	s_and_saveexec_b64 s[0:1], vcc
	s_cbranch_execz .LBB28_251
; %bb.250:
	v_mul_f64 v[70:71], v[62:63], v[12:13]
	v_mul_f64 v[12:13], v[64:65], v[12:13]
	ds_read2_b64 v[76:79], v1 offset0:24 offset1:25
	ds_read2_b64 v[80:83], v1 offset0:26 offset1:27
	;; [unrolled: 1-line block ×3, first 2 shown]
	v_fma_f64 v[64:65], v[64:65], v[10:11], v[70:71]
	v_fma_f64 v[10:11], v[62:63], v[10:11], -v[12:13]
	s_waitcnt lgkmcnt(2)
	v_mul_f64 v[12:13], v[78:79], v[64:65]
	v_mul_f64 v[62:63], v[76:77], v[64:65]
	s_waitcnt lgkmcnt(1)
	v_mul_f64 v[70:71], v[82:83], v[64:65]
	v_mul_f64 v[88:89], v[80:81], v[64:65]
	;; [unrolled: 3-line block ×3, first 2 shown]
	v_fma_f64 v[12:13], v[76:77], v[10:11], -v[12:13]
	v_fma_f64 v[62:63], v[78:79], v[10:11], v[62:63]
	v_fma_f64 v[70:71], v[80:81], v[10:11], -v[70:71]
	v_fma_f64 v[76:77], v[82:83], v[10:11], v[88:89]
	v_fma_f64 v[78:79], v[84:85], v[10:11], -v[90:91]
	v_fma_f64 v[80:81], v[86:87], v[10:11], v[92:93]
	v_add_f64 v[6:7], v[6:7], -v[12:13]
	v_add_f64 v[8:9], v[8:9], -v[62:63]
	;; [unrolled: 1-line block ×6, first 2 shown]
	v_mov_b32_e32 v12, v64
	v_mov_b32_e32 v13, v65
.LBB28_251:
	s_or_b64 exec, exec, s[0:1]
	v_lshl_add_u32 v62, v72, 4, v1
	s_barrier
	ds_write2_b64 v62, v[6:7], v[8:9] offset1:1
	s_waitcnt lgkmcnt(0)
	s_barrier
	ds_read2_b64 v[62:65], v1 offset0:24 offset1:25
	s_cmp_lt_i32 s22, 14
	v_mov_b32_e32 v70, 12
	s_cbranch_scc1 .LBB28_254
; %bb.252:
	v_add_u32_e32 v71, 0xd0, v1
	s_mov_b32 s2, 13
	v_mov_b32_e32 v70, 12
.LBB28_253:                             ; =>This Inner Loop Header: Depth=1
	s_waitcnt lgkmcnt(0)
	v_cmp_gt_f64_e32 vcc, 0, v[64:65]
	v_cmp_gt_f64_e64 s[0:1], 0, v[62:63]
	ds_read2_b64 v[76:79], v71 offset1:1
	v_xor_b32_e32 v81, 0x80000000, v63
	v_xor_b32_e32 v83, 0x80000000, v65
	v_mov_b32_e32 v80, v62
	v_mov_b32_e32 v82, v64
	s_waitcnt lgkmcnt(0)
	v_xor_b32_e32 v85, 0x80000000, v79
	v_cndmask_b32_e32 v83, v65, v83, vcc
	v_cndmask_b32_e64 v81, v63, v81, s[0:1]
	v_cmp_gt_f64_e32 vcc, 0, v[78:79]
	v_cmp_gt_f64_e64 s[0:1], 0, v[76:77]
	v_add_f64 v[80:81], v[80:81], v[82:83]
	v_xor_b32_e32 v83, 0x80000000, v77
	v_mov_b32_e32 v82, v76
	v_mov_b32_e32 v84, v78
	v_add_u32_e32 v71, 16, v71
	v_cndmask_b32_e32 v85, v79, v85, vcc
	v_cndmask_b32_e64 v83, v77, v83, s[0:1]
	v_add_f64 v[82:83], v[82:83], v[84:85]
	v_mov_b32_e32 v84, s2
	s_add_i32 s2, s2, 1
	s_cmp_lg_u32 s22, s2
	v_cmp_lt_f64_e32 vcc, v[80:81], v[82:83]
	v_cndmask_b32_e32 v63, v63, v77, vcc
	v_cndmask_b32_e32 v62, v62, v76, vcc
	;; [unrolled: 1-line block ×5, first 2 shown]
	s_cbranch_scc1 .LBB28_253
.LBB28_254:
	s_waitcnt lgkmcnt(0)
	v_cmp_eq_f64_e32 vcc, 0, v[62:63]
	v_cmp_eq_f64_e64 s[0:1], 0, v[64:65]
	s_and_b64 s[0:1], vcc, s[0:1]
	s_and_saveexec_b64 s[2:3], s[0:1]
	s_xor_b64 s[0:1], exec, s[2:3]
; %bb.255:
	v_cmp_ne_u32_e32 vcc, 0, v75
	v_cndmask_b32_e32 v75, 13, v75, vcc
; %bb.256:
	s_andn2_saveexec_b64 s[0:1], s[0:1]
	s_cbranch_execz .LBB28_262
; %bb.257:
	v_cmp_ngt_f64_e64 s[2:3], |v[62:63]|, |v[64:65]|
	s_and_saveexec_b64 s[4:5], s[2:3]
	s_xor_b64 s[2:3], exec, s[4:5]
	s_cbranch_execz .LBB28_259
; %bb.258:
	v_div_scale_f64 v[76:77], s[4:5], v[64:65], v[64:65], v[62:63]
	v_rcp_f64_e32 v[78:79], v[76:77]
	v_fma_f64 v[80:81], -v[76:77], v[78:79], 1.0
	v_fma_f64 v[78:79], v[78:79], v[80:81], v[78:79]
	v_div_scale_f64 v[80:81], vcc, v[62:63], v[64:65], v[62:63]
	v_fma_f64 v[82:83], -v[76:77], v[78:79], 1.0
	v_fma_f64 v[78:79], v[78:79], v[82:83], v[78:79]
	v_mul_f64 v[82:83], v[80:81], v[78:79]
	v_fma_f64 v[76:77], -v[76:77], v[82:83], v[80:81]
	v_div_fmas_f64 v[76:77], v[76:77], v[78:79], v[82:83]
	v_div_fixup_f64 v[76:77], v[76:77], v[64:65], v[62:63]
	v_fma_f64 v[62:63], v[62:63], v[76:77], v[64:65]
	v_div_scale_f64 v[64:65], s[4:5], v[62:63], v[62:63], 1.0
	v_div_scale_f64 v[82:83], vcc, 1.0, v[62:63], 1.0
	v_rcp_f64_e32 v[78:79], v[64:65]
	v_fma_f64 v[80:81], -v[64:65], v[78:79], 1.0
	v_fma_f64 v[78:79], v[78:79], v[80:81], v[78:79]
	v_fma_f64 v[80:81], -v[64:65], v[78:79], 1.0
	v_fma_f64 v[78:79], v[78:79], v[80:81], v[78:79]
	v_mul_f64 v[80:81], v[82:83], v[78:79]
	v_fma_f64 v[64:65], -v[64:65], v[80:81], v[82:83]
	v_div_fmas_f64 v[64:65], v[64:65], v[78:79], v[80:81]
	v_div_fixup_f64 v[64:65], v[64:65], v[62:63], 1.0
	v_mul_f64 v[62:63], v[76:77], v[64:65]
	v_xor_b32_e32 v65, 0x80000000, v65
.LBB28_259:
	s_andn2_saveexec_b64 s[2:3], s[2:3]
	s_cbranch_execz .LBB28_261
; %bb.260:
	v_div_scale_f64 v[76:77], s[4:5], v[62:63], v[62:63], v[64:65]
	v_rcp_f64_e32 v[78:79], v[76:77]
	v_fma_f64 v[80:81], -v[76:77], v[78:79], 1.0
	v_fma_f64 v[78:79], v[78:79], v[80:81], v[78:79]
	v_div_scale_f64 v[80:81], vcc, v[64:65], v[62:63], v[64:65]
	v_fma_f64 v[82:83], -v[76:77], v[78:79], 1.0
	v_fma_f64 v[78:79], v[78:79], v[82:83], v[78:79]
	v_mul_f64 v[82:83], v[80:81], v[78:79]
	v_fma_f64 v[76:77], -v[76:77], v[82:83], v[80:81]
	v_div_fmas_f64 v[76:77], v[76:77], v[78:79], v[82:83]
	v_div_fixup_f64 v[76:77], v[76:77], v[62:63], v[64:65]
	v_fma_f64 v[62:63], v[64:65], v[76:77], v[62:63]
	v_div_scale_f64 v[64:65], s[4:5], v[62:63], v[62:63], 1.0
	v_div_scale_f64 v[82:83], vcc, 1.0, v[62:63], 1.0
	v_rcp_f64_e32 v[78:79], v[64:65]
	v_fma_f64 v[80:81], -v[64:65], v[78:79], 1.0
	v_fma_f64 v[78:79], v[78:79], v[80:81], v[78:79]
	v_fma_f64 v[80:81], -v[64:65], v[78:79], 1.0
	v_fma_f64 v[78:79], v[78:79], v[80:81], v[78:79]
	v_mul_f64 v[80:81], v[82:83], v[78:79]
	v_fma_f64 v[64:65], -v[64:65], v[80:81], v[82:83]
	v_div_fmas_f64 v[64:65], v[64:65], v[78:79], v[80:81]
	v_div_fixup_f64 v[62:63], v[64:65], v[62:63], 1.0
	v_mul_f64 v[64:65], v[76:77], -v[62:63]
.LBB28_261:
	s_or_b64 exec, exec, s[2:3]
.LBB28_262:
	s_or_b64 exec, exec, s[0:1]
	v_cmp_ne_u32_e32 vcc, v72, v70
	s_and_saveexec_b64 s[0:1], vcc
	s_xor_b64 s[0:1], exec, s[0:1]
	s_cbranch_execz .LBB28_268
; %bb.263:
	v_cmp_eq_u32_e32 vcc, 12, v72
	s_and_saveexec_b64 s[2:3], vcc
	s_cbranch_execz .LBB28_267
; %bb.264:
	v_cmp_ne_u32_e32 vcc, 12, v70
	s_xor_b64 s[4:5], s[18:19], -1
	s_and_b64 s[24:25], s[4:5], vcc
	s_and_saveexec_b64 s[4:5], s[24:25]
	s_cbranch_execz .LBB28_266
; %bb.265:
	v_ashrrev_i32_e32 v71, 31, v70
	v_lshlrev_b64 v[71:72], 2, v[70:71]
	v_add_co_u32_e32 v71, vcc, v68, v71
	v_addc_co_u32_e32 v72, vcc, v69, v72, vcc
	global_load_dword v0, v[71:72], off
	global_load_dword v76, v[68:69], off offset:48
	s_waitcnt vmcnt(1)
	global_store_dword v[68:69], v0, off offset:48
	s_waitcnt vmcnt(1)
	global_store_dword v[71:72], v76, off
.LBB28_266:
	s_or_b64 exec, exec, s[4:5]
	v_mov_b32_e32 v72, v70
	v_mov_b32_e32 v0, v70
.LBB28_267:
	s_or_b64 exec, exec, s[2:3]
.LBB28_268:
	s_andn2_saveexec_b64 s[0:1], s[0:1]
	s_cbranch_execz .LBB28_270
; %bb.269:
	v_mov_b32_e32 v72, 12
	ds_write2_b64 v1, v[2:3], v[4:5] offset0:26 offset1:27
	ds_write2_b64 v1, v[58:59], v[60:61] offset0:28 offset1:29
.LBB28_270:
	s_or_b64 exec, exec, s[0:1]
	v_cmp_lt_i32_e32 vcc, 12, v72
	s_waitcnt vmcnt(0) lgkmcnt(0)
	s_barrier
	s_and_saveexec_b64 s[0:1], vcc
	s_cbranch_execz .LBB28_272
; %bb.271:
	v_mul_f64 v[70:71], v[62:63], v[8:9]
	v_mul_f64 v[8:9], v[64:65], v[8:9]
	ds_read2_b64 v[76:79], v1 offset0:26 offset1:27
	ds_read2_b64 v[80:83], v1 offset0:28 offset1:29
	v_fma_f64 v[64:65], v[64:65], v[6:7], v[70:71]
	v_fma_f64 v[6:7], v[62:63], v[6:7], -v[8:9]
	s_waitcnt lgkmcnt(1)
	v_mul_f64 v[8:9], v[78:79], v[64:65]
	v_mul_f64 v[62:63], v[76:77], v[64:65]
	s_waitcnt lgkmcnt(0)
	v_mul_f64 v[70:71], v[82:83], v[64:65]
	v_mul_f64 v[84:85], v[80:81], v[64:65]
	v_fma_f64 v[8:9], v[76:77], v[6:7], -v[8:9]
	v_fma_f64 v[62:63], v[78:79], v[6:7], v[62:63]
	v_fma_f64 v[70:71], v[80:81], v[6:7], -v[70:71]
	v_fma_f64 v[76:77], v[82:83], v[6:7], v[84:85]
	v_add_f64 v[2:3], v[2:3], -v[8:9]
	v_add_f64 v[4:5], v[4:5], -v[62:63]
	;; [unrolled: 1-line block ×4, first 2 shown]
	v_mov_b32_e32 v8, v64
	v_mov_b32_e32 v9, v65
.LBB28_272:
	s_or_b64 exec, exec, s[0:1]
	v_lshl_add_u32 v62, v72, 4, v1
	s_barrier
	ds_write2_b64 v62, v[2:3], v[4:5] offset1:1
	s_waitcnt lgkmcnt(0)
	s_barrier
	ds_read2_b64 v[62:65], v1 offset0:26 offset1:27
	s_cmp_lt_i32 s22, 15
	v_mov_b32_e32 v70, 13
	s_cbranch_scc1 .LBB28_275
; %bb.273:
	v_add_u32_e32 v71, 0xe0, v1
	s_mov_b32 s2, 14
	v_mov_b32_e32 v70, 13
.LBB28_274:                             ; =>This Inner Loop Header: Depth=1
	s_waitcnt lgkmcnt(0)
	v_cmp_gt_f64_e32 vcc, 0, v[64:65]
	v_cmp_gt_f64_e64 s[0:1], 0, v[62:63]
	ds_read2_b64 v[76:79], v71 offset1:1
	v_xor_b32_e32 v81, 0x80000000, v63
	v_xor_b32_e32 v83, 0x80000000, v65
	v_mov_b32_e32 v80, v62
	v_mov_b32_e32 v82, v64
	s_waitcnt lgkmcnt(0)
	v_xor_b32_e32 v85, 0x80000000, v79
	v_cndmask_b32_e32 v83, v65, v83, vcc
	v_cndmask_b32_e64 v81, v63, v81, s[0:1]
	v_cmp_gt_f64_e32 vcc, 0, v[78:79]
	v_cmp_gt_f64_e64 s[0:1], 0, v[76:77]
	v_add_f64 v[80:81], v[80:81], v[82:83]
	v_xor_b32_e32 v83, 0x80000000, v77
	v_mov_b32_e32 v82, v76
	v_mov_b32_e32 v84, v78
	v_add_u32_e32 v71, 16, v71
	v_cndmask_b32_e32 v85, v79, v85, vcc
	v_cndmask_b32_e64 v83, v77, v83, s[0:1]
	v_add_f64 v[82:83], v[82:83], v[84:85]
	v_mov_b32_e32 v84, s2
	s_add_i32 s2, s2, 1
	s_cmp_lg_u32 s22, s2
	v_cmp_lt_f64_e32 vcc, v[80:81], v[82:83]
	v_cndmask_b32_e32 v63, v63, v77, vcc
	v_cndmask_b32_e32 v62, v62, v76, vcc
	;; [unrolled: 1-line block ×5, first 2 shown]
	s_cbranch_scc1 .LBB28_274
.LBB28_275:
	s_waitcnt lgkmcnt(0)
	v_cmp_eq_f64_e32 vcc, 0, v[62:63]
	v_cmp_eq_f64_e64 s[0:1], 0, v[64:65]
	s_and_b64 s[0:1], vcc, s[0:1]
	s_and_saveexec_b64 s[2:3], s[0:1]
	s_xor_b64 s[0:1], exec, s[2:3]
; %bb.276:
	v_cmp_ne_u32_e32 vcc, 0, v75
	v_cndmask_b32_e32 v75, 14, v75, vcc
; %bb.277:
	s_andn2_saveexec_b64 s[0:1], s[0:1]
	s_cbranch_execz .LBB28_283
; %bb.278:
	v_cmp_ngt_f64_e64 s[2:3], |v[62:63]|, |v[64:65]|
	s_and_saveexec_b64 s[4:5], s[2:3]
	s_xor_b64 s[2:3], exec, s[4:5]
	s_cbranch_execz .LBB28_280
; %bb.279:
	v_div_scale_f64 v[76:77], s[4:5], v[64:65], v[64:65], v[62:63]
	v_rcp_f64_e32 v[78:79], v[76:77]
	v_fma_f64 v[80:81], -v[76:77], v[78:79], 1.0
	v_fma_f64 v[78:79], v[78:79], v[80:81], v[78:79]
	v_div_scale_f64 v[80:81], vcc, v[62:63], v[64:65], v[62:63]
	v_fma_f64 v[82:83], -v[76:77], v[78:79], 1.0
	v_fma_f64 v[78:79], v[78:79], v[82:83], v[78:79]
	v_mul_f64 v[82:83], v[80:81], v[78:79]
	v_fma_f64 v[76:77], -v[76:77], v[82:83], v[80:81]
	v_div_fmas_f64 v[76:77], v[76:77], v[78:79], v[82:83]
	v_div_fixup_f64 v[76:77], v[76:77], v[64:65], v[62:63]
	v_fma_f64 v[62:63], v[62:63], v[76:77], v[64:65]
	v_div_scale_f64 v[64:65], s[4:5], v[62:63], v[62:63], 1.0
	v_div_scale_f64 v[82:83], vcc, 1.0, v[62:63], 1.0
	v_rcp_f64_e32 v[78:79], v[64:65]
	v_fma_f64 v[80:81], -v[64:65], v[78:79], 1.0
	v_fma_f64 v[78:79], v[78:79], v[80:81], v[78:79]
	v_fma_f64 v[80:81], -v[64:65], v[78:79], 1.0
	v_fma_f64 v[78:79], v[78:79], v[80:81], v[78:79]
	v_mul_f64 v[80:81], v[82:83], v[78:79]
	v_fma_f64 v[64:65], -v[64:65], v[80:81], v[82:83]
	v_div_fmas_f64 v[64:65], v[64:65], v[78:79], v[80:81]
	v_div_fixup_f64 v[64:65], v[64:65], v[62:63], 1.0
	v_mul_f64 v[62:63], v[76:77], v[64:65]
	v_xor_b32_e32 v65, 0x80000000, v65
.LBB28_280:
	s_andn2_saveexec_b64 s[2:3], s[2:3]
	s_cbranch_execz .LBB28_282
; %bb.281:
	v_div_scale_f64 v[76:77], s[4:5], v[62:63], v[62:63], v[64:65]
	v_rcp_f64_e32 v[78:79], v[76:77]
	v_fma_f64 v[80:81], -v[76:77], v[78:79], 1.0
	v_fma_f64 v[78:79], v[78:79], v[80:81], v[78:79]
	v_div_scale_f64 v[80:81], vcc, v[64:65], v[62:63], v[64:65]
	v_fma_f64 v[82:83], -v[76:77], v[78:79], 1.0
	v_fma_f64 v[78:79], v[78:79], v[82:83], v[78:79]
	v_mul_f64 v[82:83], v[80:81], v[78:79]
	v_fma_f64 v[76:77], -v[76:77], v[82:83], v[80:81]
	v_div_fmas_f64 v[76:77], v[76:77], v[78:79], v[82:83]
	v_div_fixup_f64 v[76:77], v[76:77], v[62:63], v[64:65]
	v_fma_f64 v[62:63], v[64:65], v[76:77], v[62:63]
	v_div_scale_f64 v[64:65], s[4:5], v[62:63], v[62:63], 1.0
	v_div_scale_f64 v[82:83], vcc, 1.0, v[62:63], 1.0
	v_rcp_f64_e32 v[78:79], v[64:65]
	v_fma_f64 v[80:81], -v[64:65], v[78:79], 1.0
	v_fma_f64 v[78:79], v[78:79], v[80:81], v[78:79]
	v_fma_f64 v[80:81], -v[64:65], v[78:79], 1.0
	v_fma_f64 v[78:79], v[78:79], v[80:81], v[78:79]
	v_mul_f64 v[80:81], v[82:83], v[78:79]
	v_fma_f64 v[64:65], -v[64:65], v[80:81], v[82:83]
	v_div_fmas_f64 v[64:65], v[64:65], v[78:79], v[80:81]
	v_div_fixup_f64 v[62:63], v[64:65], v[62:63], 1.0
	v_mul_f64 v[64:65], v[76:77], -v[62:63]
.LBB28_282:
	s_or_b64 exec, exec, s[2:3]
.LBB28_283:
	s_or_b64 exec, exec, s[0:1]
	v_cmp_ne_u32_e32 vcc, v72, v70
	s_and_saveexec_b64 s[0:1], vcc
	s_xor_b64 s[0:1], exec, s[0:1]
	s_cbranch_execz .LBB28_289
; %bb.284:
	v_cmp_eq_u32_e32 vcc, 13, v72
	s_and_saveexec_b64 s[2:3], vcc
	s_cbranch_execz .LBB28_288
; %bb.285:
	v_cmp_ne_u32_e32 vcc, 13, v70
	s_xor_b64 s[4:5], s[18:19], -1
	s_and_b64 s[24:25], s[4:5], vcc
	s_and_saveexec_b64 s[4:5], s[24:25]
	s_cbranch_execz .LBB28_287
; %bb.286:
	v_ashrrev_i32_e32 v71, 31, v70
	v_lshlrev_b64 v[71:72], 2, v[70:71]
	v_add_co_u32_e32 v71, vcc, v68, v71
	v_addc_co_u32_e32 v72, vcc, v69, v72, vcc
	global_load_dword v0, v[71:72], off
	global_load_dword v76, v[68:69], off offset:52
	s_waitcnt vmcnt(1)
	global_store_dword v[68:69], v0, off offset:52
	s_waitcnt vmcnt(1)
	global_store_dword v[71:72], v76, off
.LBB28_287:
	s_or_b64 exec, exec, s[4:5]
	v_mov_b32_e32 v72, v70
	v_mov_b32_e32 v0, v70
.LBB28_288:
	s_or_b64 exec, exec, s[2:3]
.LBB28_289:
	s_andn2_saveexec_b64 s[0:1], s[0:1]
; %bb.290:
	v_mov_b32_e32 v72, 13
	ds_write2_b64 v1, v[58:59], v[60:61] offset0:28 offset1:29
; %bb.291:
	s_or_b64 exec, exec, s[0:1]
	v_cmp_lt_i32_e32 vcc, 13, v72
	s_waitcnt vmcnt(0) lgkmcnt(0)
	s_barrier
	s_and_saveexec_b64 s[0:1], vcc
	s_cbranch_execz .LBB28_293
; %bb.292:
	v_mul_f64 v[70:71], v[62:63], v[4:5]
	v_mul_f64 v[4:5], v[64:65], v[4:5]
	ds_read2_b64 v[76:79], v1 offset0:28 offset1:29
	v_fma_f64 v[64:65], v[64:65], v[2:3], v[70:71]
	v_fma_f64 v[2:3], v[62:63], v[2:3], -v[4:5]
	s_waitcnt lgkmcnt(0)
	v_mul_f64 v[4:5], v[78:79], v[64:65]
	v_mul_f64 v[62:63], v[76:77], v[64:65]
	v_fma_f64 v[4:5], v[76:77], v[2:3], -v[4:5]
	v_fma_f64 v[62:63], v[78:79], v[2:3], v[62:63]
	v_add_f64 v[58:59], v[58:59], -v[4:5]
	v_add_f64 v[60:61], v[60:61], -v[62:63]
	v_mov_b32_e32 v4, v64
	v_mov_b32_e32 v5, v65
.LBB28_293:
	s_or_b64 exec, exec, s[0:1]
	v_lshl_add_u32 v62, v72, 4, v1
	s_barrier
	ds_write2_b64 v62, v[58:59], v[60:61] offset1:1
	s_waitcnt lgkmcnt(0)
	s_barrier
	ds_read2_b64 v[62:65], v1 offset0:28 offset1:29
	s_cmp_lt_i32 s22, 16
	v_mov_b32_e32 v70, 14
	s_cbranch_scc1 .LBB28_296
; %bb.294:
	v_add_u32_e32 v1, 0xf0, v1
	s_mov_b32 s2, 15
	v_mov_b32_e32 v70, 14
.LBB28_295:                             ; =>This Inner Loop Header: Depth=1
	s_waitcnt lgkmcnt(0)
	v_cmp_gt_f64_e32 vcc, 0, v[64:65]
	v_cmp_gt_f64_e64 s[0:1], 0, v[62:63]
	ds_read2_b64 v[76:79], v1 offset1:1
	v_xor_b32_e32 v71, 0x80000000, v63
	v_xor_b32_e32 v83, 0x80000000, v65
	v_mov_b32_e32 v80, v62
	v_mov_b32_e32 v82, v64
	s_waitcnt lgkmcnt(0)
	v_xor_b32_e32 v85, 0x80000000, v79
	v_cndmask_b32_e32 v83, v65, v83, vcc
	v_cndmask_b32_e64 v81, v63, v71, s[0:1]
	v_cmp_gt_f64_e32 vcc, 0, v[78:79]
	v_cmp_gt_f64_e64 s[0:1], 0, v[76:77]
	v_xor_b32_e32 v71, 0x80000000, v77
	v_add_f64 v[80:81], v[80:81], v[82:83]
	v_mov_b32_e32 v82, v76
	v_mov_b32_e32 v84, v78
	v_add_u32_e32 v1, 16, v1
	v_cndmask_b32_e32 v85, v79, v85, vcc
	v_cndmask_b32_e64 v83, v77, v71, s[0:1]
	v_add_f64 v[82:83], v[82:83], v[84:85]
	v_mov_b32_e32 v71, s2
	s_add_i32 s2, s2, 1
	s_cmp_lg_u32 s22, s2
	v_cmp_lt_f64_e32 vcc, v[80:81], v[82:83]
	v_cndmask_b32_e32 v63, v63, v77, vcc
	v_cndmask_b32_e32 v62, v62, v76, vcc
	;; [unrolled: 1-line block ×5, first 2 shown]
	s_cbranch_scc1 .LBB28_295
.LBB28_296:
	s_waitcnt lgkmcnt(0)
	v_cmp_eq_f64_e32 vcc, 0, v[62:63]
	v_cmp_eq_f64_e64 s[0:1], 0, v[64:65]
	s_and_b64 s[0:1], vcc, s[0:1]
	s_and_saveexec_b64 s[2:3], s[0:1]
	s_xor_b64 s[0:1], exec, s[2:3]
; %bb.297:
	v_cmp_ne_u32_e32 vcc, 0, v75
	v_cndmask_b32_e32 v75, 15, v75, vcc
; %bb.298:
	s_andn2_saveexec_b64 s[0:1], s[0:1]
	s_cbranch_execz .LBB28_304
; %bb.299:
	v_cmp_ngt_f64_e64 s[2:3], |v[62:63]|, |v[64:65]|
	s_and_saveexec_b64 s[4:5], s[2:3]
	s_xor_b64 s[2:3], exec, s[4:5]
	s_cbranch_execz .LBB28_301
; %bb.300:
	v_div_scale_f64 v[76:77], s[4:5], v[64:65], v[64:65], v[62:63]
	v_rcp_f64_e32 v[78:79], v[76:77]
	v_fma_f64 v[80:81], -v[76:77], v[78:79], 1.0
	v_fma_f64 v[78:79], v[78:79], v[80:81], v[78:79]
	v_div_scale_f64 v[80:81], vcc, v[62:63], v[64:65], v[62:63]
	v_fma_f64 v[82:83], -v[76:77], v[78:79], 1.0
	v_fma_f64 v[78:79], v[78:79], v[82:83], v[78:79]
	v_mul_f64 v[82:83], v[80:81], v[78:79]
	v_fma_f64 v[76:77], -v[76:77], v[82:83], v[80:81]
	v_div_fmas_f64 v[76:77], v[76:77], v[78:79], v[82:83]
	v_div_fixup_f64 v[76:77], v[76:77], v[64:65], v[62:63]
	v_fma_f64 v[62:63], v[62:63], v[76:77], v[64:65]
	v_div_scale_f64 v[64:65], s[4:5], v[62:63], v[62:63], 1.0
	v_div_scale_f64 v[82:83], vcc, 1.0, v[62:63], 1.0
	v_rcp_f64_e32 v[78:79], v[64:65]
	v_fma_f64 v[80:81], -v[64:65], v[78:79], 1.0
	v_fma_f64 v[78:79], v[78:79], v[80:81], v[78:79]
	v_fma_f64 v[80:81], -v[64:65], v[78:79], 1.0
	v_fma_f64 v[78:79], v[78:79], v[80:81], v[78:79]
	v_mul_f64 v[80:81], v[82:83], v[78:79]
	v_fma_f64 v[64:65], -v[64:65], v[80:81], v[82:83]
	v_div_fmas_f64 v[64:65], v[64:65], v[78:79], v[80:81]
	v_div_fixup_f64 v[64:65], v[64:65], v[62:63], 1.0
	v_mul_f64 v[62:63], v[76:77], v[64:65]
	v_xor_b32_e32 v65, 0x80000000, v65
.LBB28_301:
	s_andn2_saveexec_b64 s[2:3], s[2:3]
	s_cbranch_execz .LBB28_303
; %bb.302:
	v_div_scale_f64 v[76:77], s[4:5], v[62:63], v[62:63], v[64:65]
	v_rcp_f64_e32 v[78:79], v[76:77]
	v_fma_f64 v[80:81], -v[76:77], v[78:79], 1.0
	v_fma_f64 v[78:79], v[78:79], v[80:81], v[78:79]
	v_div_scale_f64 v[80:81], vcc, v[64:65], v[62:63], v[64:65]
	v_fma_f64 v[82:83], -v[76:77], v[78:79], 1.0
	v_fma_f64 v[78:79], v[78:79], v[82:83], v[78:79]
	v_mul_f64 v[82:83], v[80:81], v[78:79]
	v_fma_f64 v[76:77], -v[76:77], v[82:83], v[80:81]
	v_div_fmas_f64 v[76:77], v[76:77], v[78:79], v[82:83]
	v_div_fixup_f64 v[76:77], v[76:77], v[62:63], v[64:65]
	v_fma_f64 v[62:63], v[64:65], v[76:77], v[62:63]
	v_div_scale_f64 v[64:65], s[4:5], v[62:63], v[62:63], 1.0
	v_div_scale_f64 v[82:83], vcc, 1.0, v[62:63], 1.0
	v_rcp_f64_e32 v[78:79], v[64:65]
	v_fma_f64 v[80:81], -v[64:65], v[78:79], 1.0
	v_fma_f64 v[78:79], v[78:79], v[80:81], v[78:79]
	v_fma_f64 v[80:81], -v[64:65], v[78:79], 1.0
	v_fma_f64 v[78:79], v[78:79], v[80:81], v[78:79]
	v_mul_f64 v[80:81], v[82:83], v[78:79]
	v_fma_f64 v[64:65], -v[64:65], v[80:81], v[82:83]
	v_div_fmas_f64 v[64:65], v[64:65], v[78:79], v[80:81]
	v_div_fixup_f64 v[62:63], v[64:65], v[62:63], 1.0
	v_mul_f64 v[64:65], v[76:77], -v[62:63]
.LBB28_303:
	s_or_b64 exec, exec, s[2:3]
.LBB28_304:
	s_or_b64 exec, exec, s[0:1]
	v_cmp_ne_u32_e32 vcc, v72, v70
	v_mov_b32_e32 v71, 14
	s_and_saveexec_b64 s[0:1], vcc
	s_cbranch_execz .LBB28_310
; %bb.305:
	v_cmp_eq_u32_e32 vcc, 14, v72
	s_and_saveexec_b64 s[2:3], vcc
	s_cbranch_execz .LBB28_309
; %bb.306:
	v_cmp_ne_u32_e32 vcc, 14, v70
	s_xor_b64 s[4:5], s[18:19], -1
	s_and_b64 s[18:19], s[4:5], vcc
	s_and_saveexec_b64 s[4:5], s[18:19]
	s_cbranch_execz .LBB28_308
; %bb.307:
	v_ashrrev_i32_e32 v71, 31, v70
	v_lshlrev_b64 v[0:1], 2, v[70:71]
	v_add_co_u32_e32 v0, vcc, v68, v0
	v_addc_co_u32_e32 v1, vcc, v69, v1, vcc
	global_load_dword v71, v[0:1], off
	global_load_dword v72, v[68:69], off offset:56
	s_waitcnt vmcnt(1)
	global_store_dword v[68:69], v71, off offset:56
	s_waitcnt vmcnt(1)
	global_store_dword v[0:1], v72, off
.LBB28_308:
	s_or_b64 exec, exec, s[4:5]
	v_mov_b32_e32 v72, v70
	v_mov_b32_e32 v0, v70
.LBB28_309:
	s_or_b64 exec, exec, s[2:3]
	v_mov_b32_e32 v71, v72
.LBB28_310:
	s_or_b64 exec, exec, s[0:1]
	v_cmp_gt_i32_e32 vcc, 15, v71
	v_ashrrev_i32_e32 v72, 31, v71
	s_waitcnt vmcnt(0)
	s_barrier
	s_barrier
	s_and_saveexec_b64 s[0:1], vcc
	s_cbranch_execz .LBB28_312
; %bb.311:
	v_mul_lo_u32 v1, s15, v66
	v_mul_lo_u32 v70, s14, v67
	v_mad_u64_u32 v[68:69], s[2:3], s14, v66, 0
	s_lshl_b64 s[2:3], s[12:13], 2
	v_add3_u32 v0, v0, s17, 1
	v_add3_u32 v69, v69, v70, v1
	v_lshlrev_b64 v[68:69], 2, v[68:69]
	v_mov_b32_e32 v1, s11
	v_add_co_u32_e32 v68, vcc, s10, v68
	v_addc_co_u32_e32 v1, vcc, v1, v69, vcc
	v_mov_b32_e32 v69, s3
	v_add_co_u32_e32 v70, vcc, s2, v68
	v_addc_co_u32_e32 v1, vcc, v1, v69, vcc
	v_lshlrev_b64 v[68:69], 2, v[71:72]
	v_add_co_u32_e32 v68, vcc, v70, v68
	v_addc_co_u32_e32 v69, vcc, v1, v69, vcc
	global_store_dword v[68:69], v0, off
.LBB28_312:
	s_or_b64 exec, exec, s[0:1]
	v_cmp_eq_u32_e32 vcc, 0, v71
	s_and_saveexec_b64 s[2:3], vcc
	s_cbranch_execz .LBB28_315
; %bb.313:
	v_lshlrev_b64 v[0:1], 2, v[66:67]
	v_mov_b32_e32 v66, s21
	v_add_co_u32_e32 v0, vcc, s20, v0
	v_addc_co_u32_e32 v1, vcc, v66, v1, vcc
	global_load_dword v66, v[0:1], off
	v_cmp_ne_u32_e64 s[0:1], 0, v75
	s_waitcnt vmcnt(0)
	v_cmp_eq_u32_e32 vcc, 0, v66
	s_and_b64 s[0:1], vcc, s[0:1]
	s_and_b64 exec, exec, s[0:1]
	s_cbranch_execz .LBB28_315
; %bb.314:
	v_add_u32_e32 v66, s17, v75
	global_store_dword v[0:1], v66, off
.LBB28_315:
	s_or_b64 exec, exec, s[2:3]
	v_mul_f64 v[0:1], v[62:63], v[60:61]
	v_mul_f64 v[66:67], v[64:65], v[60:61]
	v_lshlrev_b64 v[68:69], 4, v[71:72]
	v_mov_b32_e32 v70, s9
	v_fma_f64 v[0:1], v[64:65], v[58:59], v[0:1]
	v_fma_f64 v[62:63], v[62:63], v[58:59], -v[66:67]
	v_add_co_u32_e32 v64, vcc, v73, v68
	v_addc_co_u32_e32 v65, vcc, v74, v69, vcc
	v_cmp_lt_i32_e32 vcc, 14, v71
	global_store_dwordx4 v[64:65], v[54:57], off
	s_nop 0
	v_cndmask_b32_e32 v57, v61, v1, vcc
	v_cndmask_b32_e32 v56, v60, v0, vcc
	;; [unrolled: 1-line block ×4, first 2 shown]
	v_add_co_u32_e32 v0, vcc, s8, v64
	v_addc_co_u32_e32 v1, vcc, v65, v70, vcc
	global_store_dwordx4 v[0:1], v[50:53], off
	v_add_u32_e32 v0, s16, v71
	v_ashrrev_i32_e32 v1, 31, v0
	v_lshlrev_b64 v[50:51], 4, v[0:1]
	v_add_u32_e32 v0, s6, v0
	v_add_co_u32_e32 v50, vcc, v73, v50
	v_addc_co_u32_e32 v51, vcc, v74, v51, vcc
	v_ashrrev_i32_e32 v1, 31, v0
	global_store_dwordx4 v[50:51], v[46:49], off
	s_nop 0
	v_lshlrev_b64 v[46:47], 4, v[0:1]
	v_add_u32_e32 v0, s6, v0
	v_add_co_u32_e32 v46, vcc, v73, v46
	v_addc_co_u32_e32 v47, vcc, v74, v47, vcc
	v_ashrrev_i32_e32 v1, 31, v0
	global_store_dwordx4 v[46:47], v[42:45], off
	s_nop 0
	;; [unrolled: 7-line block ×11, first 2 shown]
	v_lshlrev_b64 v[6:7], 4, v[0:1]
	v_add_u32_e32 v0, s6, v0
	v_ashrrev_i32_e32 v1, 31, v0
	v_add_co_u32_e32 v6, vcc, v73, v6
	v_lshlrev_b64 v[0:1], 4, v[0:1]
	v_addc_co_u32_e32 v7, vcc, v74, v7, vcc
	v_add_co_u32_e32 v0, vcc, v73, v0
	v_addc_co_u32_e32 v1, vcc, v74, v1, vcc
	global_store_dwordx4 v[6:7], v[2:5], off
	global_store_dwordx4 v[0:1], v[54:57], off
.LBB28_316:
	s_endpgm
	.section	.rodata,"a",@progbits
	.p2align	6, 0x0
	.amdhsa_kernel _ZN9rocsolver6v33100L18getf2_small_kernelILi15E19rocblas_complex_numIdEiiPS3_EEvT1_T3_lS5_lPS5_llPT2_S5_S5_S7_l
		.amdhsa_group_segment_fixed_size 0
		.amdhsa_private_segment_fixed_size 0
		.amdhsa_kernarg_size 352
		.amdhsa_user_sgpr_count 6
		.amdhsa_user_sgpr_private_segment_buffer 1
		.amdhsa_user_sgpr_dispatch_ptr 0
		.amdhsa_user_sgpr_queue_ptr 0
		.amdhsa_user_sgpr_kernarg_segment_ptr 1
		.amdhsa_user_sgpr_dispatch_id 0
		.amdhsa_user_sgpr_flat_scratch_init 0
		.amdhsa_user_sgpr_private_segment_size 0
		.amdhsa_uses_dynamic_stack 0
		.amdhsa_system_sgpr_private_segment_wavefront_offset 0
		.amdhsa_system_sgpr_workgroup_id_x 1
		.amdhsa_system_sgpr_workgroup_id_y 1
		.amdhsa_system_sgpr_workgroup_id_z 0
		.amdhsa_system_sgpr_workgroup_info 0
		.amdhsa_system_vgpr_workitem_id 1
		.amdhsa_next_free_vgpr 118
		.amdhsa_next_free_sgpr 26
		.amdhsa_reserve_vcc 1
		.amdhsa_reserve_flat_scratch 0
		.amdhsa_float_round_mode_32 0
		.amdhsa_float_round_mode_16_64 0
		.amdhsa_float_denorm_mode_32 3
		.amdhsa_float_denorm_mode_16_64 3
		.amdhsa_dx10_clamp 1
		.amdhsa_ieee_mode 1
		.amdhsa_fp16_overflow 0
		.amdhsa_exception_fp_ieee_invalid_op 0
		.amdhsa_exception_fp_denorm_src 0
		.amdhsa_exception_fp_ieee_div_zero 0
		.amdhsa_exception_fp_ieee_overflow 0
		.amdhsa_exception_fp_ieee_underflow 0
		.amdhsa_exception_fp_ieee_inexact 0
		.amdhsa_exception_int_div_zero 0
	.end_amdhsa_kernel
	.section	.text._ZN9rocsolver6v33100L18getf2_small_kernelILi15E19rocblas_complex_numIdEiiPS3_EEvT1_T3_lS5_lPS5_llPT2_S5_S5_S7_l,"axG",@progbits,_ZN9rocsolver6v33100L18getf2_small_kernelILi15E19rocblas_complex_numIdEiiPS3_EEvT1_T3_lS5_lPS5_llPT2_S5_S5_S7_l,comdat
.Lfunc_end28:
	.size	_ZN9rocsolver6v33100L18getf2_small_kernelILi15E19rocblas_complex_numIdEiiPS3_EEvT1_T3_lS5_lPS5_llPT2_S5_S5_S7_l, .Lfunc_end28-_ZN9rocsolver6v33100L18getf2_small_kernelILi15E19rocblas_complex_numIdEiiPS3_EEvT1_T3_lS5_lPS5_llPT2_S5_S5_S7_l
                                        ; -- End function
	.set _ZN9rocsolver6v33100L18getf2_small_kernelILi15E19rocblas_complex_numIdEiiPS3_EEvT1_T3_lS5_lPS5_llPT2_S5_S5_S7_l.num_vgpr, 118
	.set _ZN9rocsolver6v33100L18getf2_small_kernelILi15E19rocblas_complex_numIdEiiPS3_EEvT1_T3_lS5_lPS5_llPT2_S5_S5_S7_l.num_agpr, 0
	.set _ZN9rocsolver6v33100L18getf2_small_kernelILi15E19rocblas_complex_numIdEiiPS3_EEvT1_T3_lS5_lPS5_llPT2_S5_S5_S7_l.numbered_sgpr, 26
	.set _ZN9rocsolver6v33100L18getf2_small_kernelILi15E19rocblas_complex_numIdEiiPS3_EEvT1_T3_lS5_lPS5_llPT2_S5_S5_S7_l.num_named_barrier, 0
	.set _ZN9rocsolver6v33100L18getf2_small_kernelILi15E19rocblas_complex_numIdEiiPS3_EEvT1_T3_lS5_lPS5_llPT2_S5_S5_S7_l.private_seg_size, 0
	.set _ZN9rocsolver6v33100L18getf2_small_kernelILi15E19rocblas_complex_numIdEiiPS3_EEvT1_T3_lS5_lPS5_llPT2_S5_S5_S7_l.uses_vcc, 1
	.set _ZN9rocsolver6v33100L18getf2_small_kernelILi15E19rocblas_complex_numIdEiiPS3_EEvT1_T3_lS5_lPS5_llPT2_S5_S5_S7_l.uses_flat_scratch, 0
	.set _ZN9rocsolver6v33100L18getf2_small_kernelILi15E19rocblas_complex_numIdEiiPS3_EEvT1_T3_lS5_lPS5_llPT2_S5_S5_S7_l.has_dyn_sized_stack, 0
	.set _ZN9rocsolver6v33100L18getf2_small_kernelILi15E19rocblas_complex_numIdEiiPS3_EEvT1_T3_lS5_lPS5_llPT2_S5_S5_S7_l.has_recursion, 0
	.set _ZN9rocsolver6v33100L18getf2_small_kernelILi15E19rocblas_complex_numIdEiiPS3_EEvT1_T3_lS5_lPS5_llPT2_S5_S5_S7_l.has_indirect_call, 0
	.section	.AMDGPU.csdata,"",@progbits
; Kernel info:
; codeLenInByte = 22020
; TotalNumSgprs: 30
; NumVgprs: 118
; ScratchSize: 0
; MemoryBound: 0
; FloatMode: 240
; IeeeMode: 1
; LDSByteSize: 0 bytes/workgroup (compile time only)
; SGPRBlocks: 3
; VGPRBlocks: 29
; NumSGPRsForWavesPerEU: 30
; NumVGPRsForWavesPerEU: 118
; Occupancy: 2
; WaveLimiterHint : 0
; COMPUTE_PGM_RSRC2:SCRATCH_EN: 0
; COMPUTE_PGM_RSRC2:USER_SGPR: 6
; COMPUTE_PGM_RSRC2:TRAP_HANDLER: 0
; COMPUTE_PGM_RSRC2:TGID_X_EN: 1
; COMPUTE_PGM_RSRC2:TGID_Y_EN: 1
; COMPUTE_PGM_RSRC2:TGID_Z_EN: 0
; COMPUTE_PGM_RSRC2:TIDIG_COMP_CNT: 1
	.section	.text._ZN9rocsolver6v33100L23getf2_npvt_small_kernelILi15E19rocblas_complex_numIdEiiPS3_EEvT1_T3_lS5_lPT2_S5_S5_,"axG",@progbits,_ZN9rocsolver6v33100L23getf2_npvt_small_kernelILi15E19rocblas_complex_numIdEiiPS3_EEvT1_T3_lS5_lPT2_S5_S5_,comdat
	.globl	_ZN9rocsolver6v33100L23getf2_npvt_small_kernelILi15E19rocblas_complex_numIdEiiPS3_EEvT1_T3_lS5_lPT2_S5_S5_ ; -- Begin function _ZN9rocsolver6v33100L23getf2_npvt_small_kernelILi15E19rocblas_complex_numIdEiiPS3_EEvT1_T3_lS5_lPT2_S5_S5_
	.p2align	8
	.type	_ZN9rocsolver6v33100L23getf2_npvt_small_kernelILi15E19rocblas_complex_numIdEiiPS3_EEvT1_T3_lS5_lPT2_S5_S5_,@function
_ZN9rocsolver6v33100L23getf2_npvt_small_kernelILi15E19rocblas_complex_numIdEiiPS3_EEvT1_T3_lS5_lPT2_S5_S5_: ; @_ZN9rocsolver6v33100L23getf2_npvt_small_kernelILi15E19rocblas_complex_numIdEiiPS3_EEvT1_T3_lS5_lPT2_S5_S5_
; %bb.0:
	s_mov_b64 s[22:23], s[2:3]
	s_mov_b64 s[20:21], s[0:1]
	s_load_dword s0, s[4:5], 0x44
	s_load_dwordx2 s[12:13], s[4:5], 0x30
	s_add_u32 s20, s20, s8
	s_addc_u32 s21, s21, 0
	s_waitcnt lgkmcnt(0)
	s_lshr_b32 s2, s0, 16
	s_mul_i32 s7, s7, s2
	v_add_u32_e32 v122, s7, v1
	v_cmp_gt_i32_e32 vcc, s12, v122
	s_and_saveexec_b64 s[0:1], vcc
	s_cbranch_execz .LBB29_138
; %bb.1:
	s_load_dwordx4 s[8:11], s[4:5], 0x20
	s_load_dwordx4 s[16:19], s[4:5], 0x8
	v_ashrrev_i32_e32 v123, 31, v122
	s_mulk_i32 s2, 0xf0
	s_waitcnt lgkmcnt(0)
	v_mul_lo_u32 v4, s9, v122
	v_mul_lo_u32 v5, s8, v123
	v_mad_u64_u32 v[2:3], s[0:1], s8, v122, 0
	s_load_dword s0, s[4:5], 0x18
	v_mov_b32_e32 v6, s17
	v_add3_u32 v3, v3, v5, v4
	v_lshlrev_b64 v[2:3], 4, v[2:3]
	s_lshl_b64 s[4:5], s[18:19], 4
	v_add_co_u32_e32 v2, vcc, s16, v2
	v_addc_co_u32_e32 v3, vcc, v6, v3, vcc
	s_waitcnt lgkmcnt(0)
	s_add_i32 s1, s0, s0
	v_mov_b32_e32 v4, s5
	v_add_co_u32_e32 v5, vcc, s4, v2
	v_add_u32_e32 v2, s1, v0
	v_addc_co_u32_e32 v6, vcc, v3, v4, vcc
	v_ashrrev_i32_e32 v3, 31, v2
	v_lshlrev_b64 v[3:4], 4, v[2:3]
	v_add_u32_e32 v2, s0, v2
	v_add_co_u32_e32 v7, vcc, v5, v3
	v_ashrrev_i32_e32 v3, 31, v2
	v_addc_co_u32_e32 v8, vcc, v6, v4, vcc
	v_lshlrev_b64 v[3:4], 4, v[2:3]
	v_add_u32_e32 v2, s0, v2
	v_add_co_u32_e32 v9, vcc, v5, v3
	v_ashrrev_i32_e32 v3, 31, v2
	v_addc_co_u32_e32 v10, vcc, v6, v4, vcc
	;; [unrolled: 5-line block ×11, first 2 shown]
	v_lshlrev_b64 v[3:4], 4, v[2:3]
	v_add_u32_e32 v2, s0, v2
	v_add_co_u32_e32 v66, vcc, v5, v3
	v_ashrrev_i32_e32 v3, 31, v2
	v_lshlrev_b64 v[2:3], 4, v[2:3]
	v_addc_co_u32_e32 v67, vcc, v6, v4, vcc
	v_add_co_u32_e32 v68, vcc, v5, v2
	v_addc_co_u32_e32 v69, vcc, v6, v3, vcc
	v_lshlrev_b32_e32 v2, 4, v0
	v_add_co_u32_e32 v124, vcc, v5, v2
	v_addc_co_u32_e32 v125, vcc, 0, v6, vcc
	global_load_dwordx4 v[21:24], v[124:125], off
	s_ashr_i32 s1, s0, 31
	s_lshl_b64 s[0:1], s[0:1], 4
	v_mov_b32_e32 v2, s1
	v_add_co_u32_e32 v3, vcc, s0, v124
	v_addc_co_u32_e32 v4, vcc, v125, v2, vcc
	s_movk_i32 s0, 0xf0
	s_add_i32 s1, s2, 0
	v_mad_u32_u24 v126, v1, s0, 0
	v_lshl_add_u32 v1, v1, 4, s1
	v_cmp_ne_u32_e64 s[2:3], 0, v0
	v_cmp_eq_u32_e64 s[0:1], 0, v0
	s_waitcnt vmcnt(0)
	buffer_store_dword v21, off, s[20:23], 0 ; 4-byte Folded Spill
	s_nop 0
	buffer_store_dword v22, off, s[20:23], 0 offset:4 ; 4-byte Folded Spill
	buffer_store_dword v23, off, s[20:23], 0 offset:8 ; 4-byte Folded Spill
	buffer_store_dword v24, off, s[20:23], 0 offset:12 ; 4-byte Folded Spill
	buffer_store_dword v3, off, s[20:23], 0 offset:120 ; 4-byte Folded Spill
	s_nop 0
	buffer_store_dword v4, off, s[20:23], 0 offset:124 ; 4-byte Folded Spill
	global_load_dwordx4 v[54:57], v[3:4], off
	s_nop 0
	buffer_store_dword v7, off, s[20:23], 0 offset:16 ; 4-byte Folded Spill
	s_nop 0
	buffer_store_dword v8, off, s[20:23], 0 offset:20 ; 4-byte Folded Spill
	global_load_dwordx4 v[50:53], v[7:8], off
	s_nop 0
	buffer_store_dword v9, off, s[20:23], 0 offset:24 ; 4-byte Folded Spill
	;; [unrolled: 5-line block ×13, first 2 shown]
	s_nop 0
	buffer_store_dword v69, off, s[20:23], 0 offset:116 ; 4-byte Folded Spill
	global_load_dwordx4 v[30:33], v[68:69], off
	s_and_saveexec_b64 s[6:7], s[0:1]
	s_cbranch_execz .LBB29_8
; %bb.2:
	buffer_load_dword v58, off, s[20:23], 0 ; 4-byte Folded Reload
	buffer_load_dword v59, off, s[20:23], 0 offset:4 ; 4-byte Folded Reload
	buffer_load_dword v60, off, s[20:23], 0 offset:8 ; 4-byte Folded Reload
	;; [unrolled: 1-line block ×3, first 2 shown]
	s_waitcnt vmcnt(0)
	ds_write2_b64 v1, v[58:59], v[60:61] offset1:1
	ds_write2_b64 v126, v[54:55], v[56:57] offset0:2 offset1:3
	ds_write2_b64 v126, v[50:51], v[52:53] offset0:4 offset1:5
	;; [unrolled: 1-line block ×14, first 2 shown]
	ds_read2_b64 v[62:65], v1 offset1:1
	s_waitcnt lgkmcnt(0)
	v_cmp_neq_f64_e32 vcc, 0, v[62:63]
	v_cmp_neq_f64_e64 s[4:5], 0, v[64:65]
	s_or_b64 s[4:5], vcc, s[4:5]
	s_and_b64 exec, exec, s[4:5]
	s_cbranch_execz .LBB29_8
; %bb.3:
	v_cmp_ngt_f64_e64 s[4:5], |v[62:63]|, |v[64:65]|
                                        ; implicit-def: $vgpr66_vgpr67
	s_and_saveexec_b64 s[8:9], s[4:5]
	s_xor_b64 s[4:5], exec, s[8:9]
                                        ; implicit-def: $vgpr68_vgpr69
	s_cbranch_execz .LBB29_5
; %bb.4:
	v_div_scale_f64 v[66:67], s[8:9], v[64:65], v[64:65], v[62:63]
	v_rcp_f64_e32 v[68:69], v[66:67]
	v_fma_f64 v[70:71], -v[66:67], v[68:69], 1.0
	v_fma_f64 v[68:69], v[68:69], v[70:71], v[68:69]
	v_div_scale_f64 v[70:71], vcc, v[62:63], v[64:65], v[62:63]
	v_fma_f64 v[72:73], -v[66:67], v[68:69], 1.0
	v_fma_f64 v[68:69], v[68:69], v[72:73], v[68:69]
	v_mul_f64 v[72:73], v[70:71], v[68:69]
	v_fma_f64 v[66:67], -v[66:67], v[72:73], v[70:71]
	v_div_fmas_f64 v[66:67], v[66:67], v[68:69], v[72:73]
	v_div_fixup_f64 v[66:67], v[66:67], v[64:65], v[62:63]
	v_fma_f64 v[62:63], v[62:63], v[66:67], v[64:65]
	v_div_scale_f64 v[64:65], s[8:9], v[62:63], v[62:63], 1.0
	v_div_scale_f64 v[72:73], vcc, 1.0, v[62:63], 1.0
	v_rcp_f64_e32 v[68:69], v[64:65]
	v_fma_f64 v[70:71], -v[64:65], v[68:69], 1.0
	v_fma_f64 v[68:69], v[68:69], v[70:71], v[68:69]
	v_fma_f64 v[70:71], -v[64:65], v[68:69], 1.0
	v_fma_f64 v[68:69], v[68:69], v[70:71], v[68:69]
	v_mul_f64 v[70:71], v[72:73], v[68:69]
	v_fma_f64 v[64:65], -v[64:65], v[70:71], v[72:73]
	v_div_fmas_f64 v[64:65], v[64:65], v[68:69], v[70:71]
	v_div_fixup_f64 v[68:69], v[64:65], v[62:63], 1.0
                                        ; implicit-def: $vgpr62_vgpr63
	v_mul_f64 v[66:67], v[66:67], v[68:69]
	v_xor_b32_e32 v69, 0x80000000, v69
.LBB29_5:
	s_andn2_saveexec_b64 s[4:5], s[4:5]
	s_cbranch_execz .LBB29_7
; %bb.6:
	v_div_scale_f64 v[66:67], s[8:9], v[62:63], v[62:63], v[64:65]
	v_rcp_f64_e32 v[68:69], v[66:67]
	v_fma_f64 v[70:71], -v[66:67], v[68:69], 1.0
	v_fma_f64 v[68:69], v[68:69], v[70:71], v[68:69]
	v_div_scale_f64 v[70:71], vcc, v[64:65], v[62:63], v[64:65]
	v_fma_f64 v[72:73], -v[66:67], v[68:69], 1.0
	v_fma_f64 v[68:69], v[68:69], v[72:73], v[68:69]
	v_mul_f64 v[72:73], v[70:71], v[68:69]
	v_fma_f64 v[66:67], -v[66:67], v[72:73], v[70:71]
	v_div_fmas_f64 v[66:67], v[66:67], v[68:69], v[72:73]
	v_div_fixup_f64 v[68:69], v[66:67], v[62:63], v[64:65]
	v_fma_f64 v[62:63], v[64:65], v[68:69], v[62:63]
	v_div_scale_f64 v[64:65], s[8:9], v[62:63], v[62:63], 1.0
	v_div_scale_f64 v[72:73], vcc, 1.0, v[62:63], 1.0
	v_rcp_f64_e32 v[66:67], v[64:65]
	v_fma_f64 v[70:71], -v[64:65], v[66:67], 1.0
	v_fma_f64 v[66:67], v[66:67], v[70:71], v[66:67]
	v_fma_f64 v[70:71], -v[64:65], v[66:67], 1.0
	v_fma_f64 v[66:67], v[66:67], v[70:71], v[66:67]
	v_mul_f64 v[70:71], v[72:73], v[66:67]
	v_fma_f64 v[64:65], -v[64:65], v[70:71], v[72:73]
	v_div_fmas_f64 v[64:65], v[64:65], v[66:67], v[70:71]
	v_div_fixup_f64 v[66:67], v[64:65], v[62:63], 1.0
	v_mul_f64 v[68:69], v[68:69], -v[66:67]
.LBB29_7:
	s_or_b64 exec, exec, s[4:5]
	ds_write2_b64 v1, v[66:67], v[68:69] offset1:1
.LBB29_8:
	s_or_b64 exec, exec, s[6:7]
	s_waitcnt vmcnt(0) lgkmcnt(0)
	s_barrier
	ds_read2_b64 v[62:65], v1 offset1:1
	s_waitcnt lgkmcnt(0)
	buffer_store_dword v62, off, s[20:23], 0 offset:128 ; 4-byte Folded Spill
	s_nop 0
	buffer_store_dword v63, off, s[20:23], 0 offset:132 ; 4-byte Folded Spill
	buffer_store_dword v64, off, s[20:23], 0 offset:136 ; 4-byte Folded Spill
	;; [unrolled: 1-line block ×3, first 2 shown]
	s_and_saveexec_b64 s[4:5], s[2:3]
	s_cbranch_execz .LBB29_10
; %bb.9:
	buffer_load_dword v62, off, s[20:23], 0 offset:128 ; 4-byte Folded Reload
	buffer_load_dword v63, off, s[20:23], 0 offset:132 ; 4-byte Folded Reload
	;; [unrolled: 1-line block ×4, first 2 shown]
	buffer_load_dword v58, off, s[20:23], 0 ; 4-byte Folded Reload
	buffer_load_dword v59, off, s[20:23], 0 offset:4 ; 4-byte Folded Reload
	buffer_load_dword v60, off, s[20:23], 0 offset:8 ; 4-byte Folded Reload
	;; [unrolled: 1-line block ×3, first 2 shown]
	ds_read2_b64 v[68:71], v126 offset0:2 offset1:3
	s_waitcnt vmcnt(0)
	v_mul_f64 v[66:67], v[62:63], v[60:61]
	v_mul_f64 v[60:61], v[64:65], v[60:61]
	v_fma_f64 v[66:67], v[64:65], v[58:59], v[66:67]
	v_fma_f64 v[58:59], v[62:63], v[58:59], -v[60:61]
	s_waitcnt lgkmcnt(0)
	v_mul_f64 v[60:61], v[70:71], v[66:67]
	v_fma_f64 v[60:61], v[68:69], v[58:59], -v[60:61]
	v_mul_f64 v[68:69], v[68:69], v[66:67]
	v_add_f64 v[54:55], v[54:55], -v[60:61]
	v_fma_f64 v[68:69], v[70:71], v[58:59], v[68:69]
	v_add_f64 v[56:57], v[56:57], -v[68:69]
	ds_read2_b64 v[68:71], v126 offset0:4 offset1:5
	s_waitcnt lgkmcnt(0)
	v_mul_f64 v[60:61], v[70:71], v[66:67]
	v_fma_f64 v[60:61], v[68:69], v[58:59], -v[60:61]
	v_mul_f64 v[68:69], v[68:69], v[66:67]
	v_add_f64 v[50:51], v[50:51], -v[60:61]
	v_fma_f64 v[68:69], v[70:71], v[58:59], v[68:69]
	v_add_f64 v[52:53], v[52:53], -v[68:69]
	ds_read2_b64 v[68:71], v126 offset0:6 offset1:7
	s_waitcnt lgkmcnt(0)
	v_mul_f64 v[60:61], v[70:71], v[66:67]
	v_fma_f64 v[60:61], v[68:69], v[58:59], -v[60:61]
	v_mul_f64 v[68:69], v[68:69], v[66:67]
	v_add_f64 v[46:47], v[46:47], -v[60:61]
	v_fma_f64 v[68:69], v[70:71], v[58:59], v[68:69]
	v_add_f64 v[48:49], v[48:49], -v[68:69]
	ds_read2_b64 v[68:71], v126 offset0:8 offset1:9
	s_waitcnt lgkmcnt(0)
	v_mul_f64 v[60:61], v[70:71], v[66:67]
	v_fma_f64 v[60:61], v[68:69], v[58:59], -v[60:61]
	v_mul_f64 v[68:69], v[68:69], v[66:67]
	v_add_f64 v[42:43], v[42:43], -v[60:61]
	v_fma_f64 v[68:69], v[70:71], v[58:59], v[68:69]
	v_add_f64 v[44:45], v[44:45], -v[68:69]
	ds_read2_b64 v[68:71], v126 offset0:10 offset1:11
	s_waitcnt lgkmcnt(0)
	v_mul_f64 v[60:61], v[70:71], v[66:67]
	v_fma_f64 v[60:61], v[68:69], v[58:59], -v[60:61]
	v_mul_f64 v[68:69], v[68:69], v[66:67]
	v_add_f64 v[38:39], v[38:39], -v[60:61]
	v_fma_f64 v[68:69], v[70:71], v[58:59], v[68:69]
	v_add_f64 v[40:41], v[40:41], -v[68:69]
	ds_read2_b64 v[68:71], v126 offset0:12 offset1:13
	s_waitcnt lgkmcnt(0)
	v_mul_f64 v[60:61], v[70:71], v[66:67]
	v_fma_f64 v[60:61], v[68:69], v[58:59], -v[60:61]
	v_mul_f64 v[68:69], v[68:69], v[66:67]
	v_add_f64 v[34:35], v[34:35], -v[60:61]
	v_fma_f64 v[68:69], v[70:71], v[58:59], v[68:69]
	v_add_f64 v[36:37], v[36:37], -v[68:69]
	ds_read2_b64 v[68:71], v126 offset0:14 offset1:15
	s_waitcnt lgkmcnt(0)
	v_mul_f64 v[60:61], v[70:71], v[66:67]
	v_fma_f64 v[60:61], v[68:69], v[58:59], -v[60:61]
	v_mul_f64 v[68:69], v[68:69], v[66:67]
	v_add_f64 v[26:27], v[26:27], -v[60:61]
	v_fma_f64 v[68:69], v[70:71], v[58:59], v[68:69]
	v_add_f64 v[28:29], v[28:29], -v[68:69]
	ds_read2_b64 v[68:71], v126 offset0:16 offset1:17
	s_waitcnt lgkmcnt(0)
	v_mul_f64 v[60:61], v[70:71], v[66:67]
	v_fma_f64 v[60:61], v[68:69], v[58:59], -v[60:61]
	v_mul_f64 v[68:69], v[68:69], v[66:67]
	v_add_f64 v[22:23], v[22:23], -v[60:61]
	v_fma_f64 v[68:69], v[70:71], v[58:59], v[68:69]
	v_add_f64 v[24:25], v[24:25], -v[68:69]
	ds_read2_b64 v[68:71], v126 offset0:18 offset1:19
	s_waitcnt lgkmcnt(0)
	v_mul_f64 v[60:61], v[70:71], v[66:67]
	v_fma_f64 v[60:61], v[68:69], v[58:59], -v[60:61]
	v_mul_f64 v[68:69], v[68:69], v[66:67]
	v_add_f64 v[18:19], v[18:19], -v[60:61]
	v_fma_f64 v[68:69], v[70:71], v[58:59], v[68:69]
	v_add_f64 v[20:21], v[20:21], -v[68:69]
	ds_read2_b64 v[68:71], v126 offset0:20 offset1:21
	s_waitcnt lgkmcnt(0)
	v_mul_f64 v[60:61], v[70:71], v[66:67]
	v_fma_f64 v[60:61], v[68:69], v[58:59], -v[60:61]
	v_mul_f64 v[68:69], v[68:69], v[66:67]
	v_add_f64 v[14:15], v[14:15], -v[60:61]
	v_fma_f64 v[68:69], v[70:71], v[58:59], v[68:69]
	v_add_f64 v[16:17], v[16:17], -v[68:69]
	ds_read2_b64 v[68:71], v126 offset0:22 offset1:23
	s_waitcnt lgkmcnt(0)
	v_mul_f64 v[60:61], v[70:71], v[66:67]
	v_fma_f64 v[60:61], v[68:69], v[58:59], -v[60:61]
	v_mul_f64 v[68:69], v[68:69], v[66:67]
	v_add_f64 v[10:11], v[10:11], -v[60:61]
	v_fma_f64 v[68:69], v[70:71], v[58:59], v[68:69]
	v_add_f64 v[12:13], v[12:13], -v[68:69]
	ds_read2_b64 v[68:71], v126 offset0:24 offset1:25
	s_waitcnt lgkmcnt(0)
	v_mul_f64 v[60:61], v[70:71], v[66:67]
	v_fma_f64 v[60:61], v[68:69], v[58:59], -v[60:61]
	v_mul_f64 v[68:69], v[68:69], v[66:67]
	v_add_f64 v[6:7], v[6:7], -v[60:61]
	v_fma_f64 v[68:69], v[70:71], v[58:59], v[68:69]
	v_add_f64 v[8:9], v[8:9], -v[68:69]
	ds_read2_b64 v[68:71], v126 offset0:26 offset1:27
	s_waitcnt lgkmcnt(0)
	v_mul_f64 v[60:61], v[70:71], v[66:67]
	v_fma_f64 v[60:61], v[68:69], v[58:59], -v[60:61]
	v_mul_f64 v[68:69], v[68:69], v[66:67]
	v_add_f64 v[2:3], v[2:3], -v[60:61]
	v_fma_f64 v[68:69], v[70:71], v[58:59], v[68:69]
	v_add_f64 v[4:5], v[4:5], -v[68:69]
	ds_read2_b64 v[68:71], v126 offset0:28 offset1:29
	s_waitcnt lgkmcnt(0)
	v_mul_f64 v[60:61], v[70:71], v[66:67]
	v_fma_f64 v[60:61], v[68:69], v[58:59], -v[60:61]
	v_mul_f64 v[68:69], v[68:69], v[66:67]
	v_add_f64 v[30:31], v[30:31], -v[60:61]
	v_fma_f64 v[68:69], v[70:71], v[58:59], v[68:69]
	v_mov_b32_e32 v60, v66
	v_mov_b32_e32 v61, v67
	buffer_store_dword v58, off, s[20:23], 0 ; 4-byte Folded Spill
	s_nop 0
	buffer_store_dword v59, off, s[20:23], 0 offset:4 ; 4-byte Folded Spill
	buffer_store_dword v60, off, s[20:23], 0 offset:8 ; 4-byte Folded Spill
	;; [unrolled: 1-line block ×3, first 2 shown]
	v_add_f64 v[32:33], v[32:33], -v[68:69]
.LBB29_10:
	s_or_b64 exec, exec, s[4:5]
	v_cmp_eq_u32_e32 vcc, 1, v0
	s_waitcnt vmcnt(0)
	s_barrier
	s_and_saveexec_b64 s[4:5], vcc
	s_cbranch_execz .LBB29_17
; %bb.11:
	ds_write2_b64 v1, v[54:55], v[56:57] offset1:1
	ds_write2_b64 v126, v[50:51], v[52:53] offset0:4 offset1:5
	ds_write2_b64 v126, v[46:47], v[48:49] offset0:6 offset1:7
	ds_write2_b64 v126, v[42:43], v[44:45] offset0:8 offset1:9
	ds_write2_b64 v126, v[38:39], v[40:41] offset0:10 offset1:11
	ds_write2_b64 v126, v[34:35], v[36:37] offset0:12 offset1:13
	ds_write2_b64 v126, v[26:27], v[28:29] offset0:14 offset1:15
	ds_write2_b64 v126, v[22:23], v[24:25] offset0:16 offset1:17
	ds_write2_b64 v126, v[18:19], v[20:21] offset0:18 offset1:19
	ds_write2_b64 v126, v[14:15], v[16:17] offset0:20 offset1:21
	ds_write2_b64 v126, v[10:11], v[12:13] offset0:22 offset1:23
	ds_write2_b64 v126, v[6:7], v[8:9] offset0:24 offset1:25
	ds_write2_b64 v126, v[2:3], v[4:5] offset0:26 offset1:27
	ds_write2_b64 v126, v[30:31], v[32:33] offset0:28 offset1:29
	ds_read2_b64 v[66:69], v1 offset1:1
	s_waitcnt lgkmcnt(0)
	v_cmp_neq_f64_e32 vcc, 0, v[66:67]
	v_cmp_neq_f64_e64 s[2:3], 0, v[68:69]
	s_or_b64 s[2:3], vcc, s[2:3]
	s_and_b64 exec, exec, s[2:3]
	s_cbranch_execz .LBB29_17
; %bb.12:
	v_cmp_ngt_f64_e64 s[2:3], |v[66:67]|, |v[68:69]|
                                        ; implicit-def: $vgpr70_vgpr71
	s_and_saveexec_b64 s[6:7], s[2:3]
	s_xor_b64 s[2:3], exec, s[6:7]
                                        ; implicit-def: $vgpr72_vgpr73
	s_cbranch_execz .LBB29_14
; %bb.13:
	v_div_scale_f64 v[70:71], s[6:7], v[68:69], v[68:69], v[66:67]
	v_rcp_f64_e32 v[72:73], v[70:71]
	v_fma_f64 v[74:75], -v[70:71], v[72:73], 1.0
	v_fma_f64 v[72:73], v[72:73], v[74:75], v[72:73]
	v_div_scale_f64 v[74:75], vcc, v[66:67], v[68:69], v[66:67]
	v_fma_f64 v[76:77], -v[70:71], v[72:73], 1.0
	v_fma_f64 v[72:73], v[72:73], v[76:77], v[72:73]
	v_mul_f64 v[76:77], v[74:75], v[72:73]
	v_fma_f64 v[70:71], -v[70:71], v[76:77], v[74:75]
	v_div_fmas_f64 v[70:71], v[70:71], v[72:73], v[76:77]
	v_div_fixup_f64 v[70:71], v[70:71], v[68:69], v[66:67]
	v_fma_f64 v[66:67], v[66:67], v[70:71], v[68:69]
	v_div_scale_f64 v[68:69], s[6:7], v[66:67], v[66:67], 1.0
	v_div_scale_f64 v[76:77], vcc, 1.0, v[66:67], 1.0
	v_rcp_f64_e32 v[72:73], v[68:69]
	v_fma_f64 v[74:75], -v[68:69], v[72:73], 1.0
	v_fma_f64 v[72:73], v[72:73], v[74:75], v[72:73]
	v_fma_f64 v[74:75], -v[68:69], v[72:73], 1.0
	v_fma_f64 v[72:73], v[72:73], v[74:75], v[72:73]
	v_mul_f64 v[74:75], v[76:77], v[72:73]
	v_fma_f64 v[68:69], -v[68:69], v[74:75], v[76:77]
	v_div_fmas_f64 v[68:69], v[68:69], v[72:73], v[74:75]
	v_div_fixup_f64 v[72:73], v[68:69], v[66:67], 1.0
                                        ; implicit-def: $vgpr66_vgpr67
	v_mul_f64 v[70:71], v[70:71], v[72:73]
	v_xor_b32_e32 v73, 0x80000000, v73
.LBB29_14:
	s_andn2_saveexec_b64 s[2:3], s[2:3]
	s_cbranch_execz .LBB29_16
; %bb.15:
	v_div_scale_f64 v[70:71], s[6:7], v[66:67], v[66:67], v[68:69]
	v_rcp_f64_e32 v[72:73], v[70:71]
	v_fma_f64 v[74:75], -v[70:71], v[72:73], 1.0
	v_fma_f64 v[72:73], v[72:73], v[74:75], v[72:73]
	v_div_scale_f64 v[74:75], vcc, v[68:69], v[66:67], v[68:69]
	v_fma_f64 v[76:77], -v[70:71], v[72:73], 1.0
	v_fma_f64 v[72:73], v[72:73], v[76:77], v[72:73]
	v_mul_f64 v[76:77], v[74:75], v[72:73]
	v_fma_f64 v[70:71], -v[70:71], v[76:77], v[74:75]
	v_div_fmas_f64 v[70:71], v[70:71], v[72:73], v[76:77]
	v_div_fixup_f64 v[72:73], v[70:71], v[66:67], v[68:69]
	v_fma_f64 v[66:67], v[68:69], v[72:73], v[66:67]
	v_div_scale_f64 v[68:69], s[6:7], v[66:67], v[66:67], 1.0
	v_div_scale_f64 v[76:77], vcc, 1.0, v[66:67], 1.0
	v_rcp_f64_e32 v[70:71], v[68:69]
	v_fma_f64 v[74:75], -v[68:69], v[70:71], 1.0
	v_fma_f64 v[70:71], v[70:71], v[74:75], v[70:71]
	v_fma_f64 v[74:75], -v[68:69], v[70:71], 1.0
	v_fma_f64 v[70:71], v[70:71], v[74:75], v[70:71]
	v_mul_f64 v[74:75], v[76:77], v[70:71]
	v_fma_f64 v[68:69], -v[68:69], v[74:75], v[76:77]
	v_div_fmas_f64 v[68:69], v[68:69], v[70:71], v[74:75]
	v_div_fixup_f64 v[70:71], v[68:69], v[66:67], 1.0
	v_mul_f64 v[72:73], v[72:73], -v[70:71]
.LBB29_16:
	s_or_b64 exec, exec, s[2:3]
	ds_write2_b64 v1, v[70:71], v[72:73] offset1:1
.LBB29_17:
	s_or_b64 exec, exec, s[4:5]
	s_waitcnt lgkmcnt(0)
	s_barrier
	ds_read2_b64 v[66:69], v1 offset1:1
	v_cmp_lt_u32_e32 vcc, 1, v0
	s_and_saveexec_b64 s[2:3], vcc
	s_cbranch_execz .LBB29_19
; %bb.18:
	s_waitcnt lgkmcnt(0)
	v_mul_f64 v[70:71], v[66:67], v[56:57]
	v_mul_f64 v[56:57], v[68:69], v[56:57]
	ds_read2_b64 v[72:75], v126 offset0:4 offset1:5
	v_fma_f64 v[70:71], v[68:69], v[54:55], v[70:71]
	v_fma_f64 v[54:55], v[66:67], v[54:55], -v[56:57]
	s_waitcnt lgkmcnt(0)
	v_mul_f64 v[56:57], v[74:75], v[70:71]
	v_fma_f64 v[56:57], v[72:73], v[54:55], -v[56:57]
	v_mul_f64 v[72:73], v[72:73], v[70:71]
	v_add_f64 v[50:51], v[50:51], -v[56:57]
	v_fma_f64 v[72:73], v[74:75], v[54:55], v[72:73]
	v_add_f64 v[52:53], v[52:53], -v[72:73]
	ds_read2_b64 v[72:75], v126 offset0:6 offset1:7
	s_waitcnt lgkmcnt(0)
	v_mul_f64 v[56:57], v[74:75], v[70:71]
	v_fma_f64 v[56:57], v[72:73], v[54:55], -v[56:57]
	v_mul_f64 v[72:73], v[72:73], v[70:71]
	v_add_f64 v[46:47], v[46:47], -v[56:57]
	v_fma_f64 v[72:73], v[74:75], v[54:55], v[72:73]
	v_add_f64 v[48:49], v[48:49], -v[72:73]
	ds_read2_b64 v[72:75], v126 offset0:8 offset1:9
	;; [unrolled: 8-line block ×12, first 2 shown]
	s_waitcnt lgkmcnt(0)
	v_mul_f64 v[56:57], v[74:75], v[70:71]
	v_fma_f64 v[56:57], v[72:73], v[54:55], -v[56:57]
	v_mul_f64 v[72:73], v[72:73], v[70:71]
	v_add_f64 v[30:31], v[30:31], -v[56:57]
	v_fma_f64 v[72:73], v[74:75], v[54:55], v[72:73]
	v_mov_b32_e32 v56, v70
	v_mov_b32_e32 v57, v71
	v_add_f64 v[32:33], v[32:33], -v[72:73]
.LBB29_19:
	s_or_b64 exec, exec, s[2:3]
	v_cmp_eq_u32_e32 vcc, 2, v0
	s_waitcnt lgkmcnt(0)
	s_barrier
	s_and_saveexec_b64 s[4:5], vcc
	s_cbranch_execz .LBB29_26
; %bb.20:
	ds_write2_b64 v1, v[50:51], v[52:53] offset1:1
	ds_write2_b64 v126, v[46:47], v[48:49] offset0:6 offset1:7
	ds_write2_b64 v126, v[42:43], v[44:45] offset0:8 offset1:9
	;; [unrolled: 1-line block ×12, first 2 shown]
	ds_read2_b64 v[70:73], v1 offset1:1
	s_waitcnt lgkmcnt(0)
	v_cmp_neq_f64_e32 vcc, 0, v[70:71]
	v_cmp_neq_f64_e64 s[2:3], 0, v[72:73]
	s_or_b64 s[2:3], vcc, s[2:3]
	s_and_b64 exec, exec, s[2:3]
	s_cbranch_execz .LBB29_26
; %bb.21:
	v_cmp_ngt_f64_e64 s[2:3], |v[70:71]|, |v[72:73]|
                                        ; implicit-def: $vgpr74_vgpr75
	s_and_saveexec_b64 s[6:7], s[2:3]
	s_xor_b64 s[2:3], exec, s[6:7]
                                        ; implicit-def: $vgpr76_vgpr77
	s_cbranch_execz .LBB29_23
; %bb.22:
	v_div_scale_f64 v[74:75], s[6:7], v[72:73], v[72:73], v[70:71]
	v_rcp_f64_e32 v[76:77], v[74:75]
	v_fma_f64 v[78:79], -v[74:75], v[76:77], 1.0
	v_fma_f64 v[76:77], v[76:77], v[78:79], v[76:77]
	v_div_scale_f64 v[78:79], vcc, v[70:71], v[72:73], v[70:71]
	v_fma_f64 v[80:81], -v[74:75], v[76:77], 1.0
	v_fma_f64 v[76:77], v[76:77], v[80:81], v[76:77]
	v_mul_f64 v[80:81], v[78:79], v[76:77]
	v_fma_f64 v[74:75], -v[74:75], v[80:81], v[78:79]
	v_div_fmas_f64 v[74:75], v[74:75], v[76:77], v[80:81]
	v_div_fixup_f64 v[74:75], v[74:75], v[72:73], v[70:71]
	v_fma_f64 v[70:71], v[70:71], v[74:75], v[72:73]
	v_div_scale_f64 v[72:73], s[6:7], v[70:71], v[70:71], 1.0
	v_div_scale_f64 v[80:81], vcc, 1.0, v[70:71], 1.0
	v_rcp_f64_e32 v[76:77], v[72:73]
	v_fma_f64 v[78:79], -v[72:73], v[76:77], 1.0
	v_fma_f64 v[76:77], v[76:77], v[78:79], v[76:77]
	v_fma_f64 v[78:79], -v[72:73], v[76:77], 1.0
	v_fma_f64 v[76:77], v[76:77], v[78:79], v[76:77]
	v_mul_f64 v[78:79], v[80:81], v[76:77]
	v_fma_f64 v[72:73], -v[72:73], v[78:79], v[80:81]
	v_div_fmas_f64 v[72:73], v[72:73], v[76:77], v[78:79]
	v_div_fixup_f64 v[76:77], v[72:73], v[70:71], 1.0
                                        ; implicit-def: $vgpr70_vgpr71
	v_mul_f64 v[74:75], v[74:75], v[76:77]
	v_xor_b32_e32 v77, 0x80000000, v77
.LBB29_23:
	s_andn2_saveexec_b64 s[2:3], s[2:3]
	s_cbranch_execz .LBB29_25
; %bb.24:
	v_div_scale_f64 v[74:75], s[6:7], v[70:71], v[70:71], v[72:73]
	v_rcp_f64_e32 v[76:77], v[74:75]
	v_fma_f64 v[78:79], -v[74:75], v[76:77], 1.0
	v_fma_f64 v[76:77], v[76:77], v[78:79], v[76:77]
	v_div_scale_f64 v[78:79], vcc, v[72:73], v[70:71], v[72:73]
	v_fma_f64 v[80:81], -v[74:75], v[76:77], 1.0
	v_fma_f64 v[76:77], v[76:77], v[80:81], v[76:77]
	v_mul_f64 v[80:81], v[78:79], v[76:77]
	v_fma_f64 v[74:75], -v[74:75], v[80:81], v[78:79]
	v_div_fmas_f64 v[74:75], v[74:75], v[76:77], v[80:81]
	v_div_fixup_f64 v[76:77], v[74:75], v[70:71], v[72:73]
	v_fma_f64 v[70:71], v[72:73], v[76:77], v[70:71]
	v_div_scale_f64 v[72:73], s[6:7], v[70:71], v[70:71], 1.0
	v_div_scale_f64 v[80:81], vcc, 1.0, v[70:71], 1.0
	v_rcp_f64_e32 v[74:75], v[72:73]
	v_fma_f64 v[78:79], -v[72:73], v[74:75], 1.0
	v_fma_f64 v[74:75], v[74:75], v[78:79], v[74:75]
	v_fma_f64 v[78:79], -v[72:73], v[74:75], 1.0
	v_fma_f64 v[74:75], v[74:75], v[78:79], v[74:75]
	v_mul_f64 v[78:79], v[80:81], v[74:75]
	v_fma_f64 v[72:73], -v[72:73], v[78:79], v[80:81]
	v_div_fmas_f64 v[72:73], v[72:73], v[74:75], v[78:79]
	v_div_fixup_f64 v[74:75], v[72:73], v[70:71], 1.0
	v_mul_f64 v[76:77], v[76:77], -v[74:75]
.LBB29_25:
	s_or_b64 exec, exec, s[2:3]
	ds_write2_b64 v1, v[74:75], v[76:77] offset1:1
.LBB29_26:
	s_or_b64 exec, exec, s[4:5]
	s_waitcnt lgkmcnt(0)
	s_barrier
	ds_read2_b64 v[70:73], v1 offset1:1
	v_cmp_lt_u32_e32 vcc, 2, v0
	s_and_saveexec_b64 s[2:3], vcc
	s_cbranch_execz .LBB29_28
; %bb.27:
	s_waitcnt lgkmcnt(0)
	v_mul_f64 v[74:75], v[70:71], v[52:53]
	v_mul_f64 v[52:53], v[72:73], v[52:53]
	ds_read2_b64 v[76:79], v126 offset0:6 offset1:7
	v_fma_f64 v[74:75], v[72:73], v[50:51], v[74:75]
	v_fma_f64 v[50:51], v[70:71], v[50:51], -v[52:53]
	s_waitcnt lgkmcnt(0)
	v_mul_f64 v[52:53], v[78:79], v[74:75]
	v_fma_f64 v[52:53], v[76:77], v[50:51], -v[52:53]
	v_mul_f64 v[76:77], v[76:77], v[74:75]
	v_add_f64 v[46:47], v[46:47], -v[52:53]
	v_fma_f64 v[76:77], v[78:79], v[50:51], v[76:77]
	v_add_f64 v[48:49], v[48:49], -v[76:77]
	ds_read2_b64 v[76:79], v126 offset0:8 offset1:9
	s_waitcnt lgkmcnt(0)
	v_mul_f64 v[52:53], v[78:79], v[74:75]
	v_fma_f64 v[52:53], v[76:77], v[50:51], -v[52:53]
	v_mul_f64 v[76:77], v[76:77], v[74:75]
	v_add_f64 v[42:43], v[42:43], -v[52:53]
	v_fma_f64 v[76:77], v[78:79], v[50:51], v[76:77]
	v_add_f64 v[44:45], v[44:45], -v[76:77]
	ds_read2_b64 v[76:79], v126 offset0:10 offset1:11
	;; [unrolled: 8-line block ×11, first 2 shown]
	s_waitcnt lgkmcnt(0)
	v_mul_f64 v[52:53], v[78:79], v[74:75]
	v_fma_f64 v[52:53], v[76:77], v[50:51], -v[52:53]
	v_mul_f64 v[76:77], v[76:77], v[74:75]
	v_add_f64 v[30:31], v[30:31], -v[52:53]
	v_fma_f64 v[76:77], v[78:79], v[50:51], v[76:77]
	v_mov_b32_e32 v52, v74
	v_mov_b32_e32 v53, v75
	v_add_f64 v[32:33], v[32:33], -v[76:77]
.LBB29_28:
	s_or_b64 exec, exec, s[2:3]
	v_cmp_eq_u32_e32 vcc, 3, v0
	s_waitcnt lgkmcnt(0)
	s_barrier
	s_and_saveexec_b64 s[4:5], vcc
	s_cbranch_execz .LBB29_35
; %bb.29:
	ds_write2_b64 v1, v[46:47], v[48:49] offset1:1
	ds_write2_b64 v126, v[42:43], v[44:45] offset0:8 offset1:9
	ds_write2_b64 v126, v[38:39], v[40:41] offset0:10 offset1:11
	;; [unrolled: 1-line block ×11, first 2 shown]
	ds_read2_b64 v[74:77], v1 offset1:1
	s_waitcnt lgkmcnt(0)
	v_cmp_neq_f64_e32 vcc, 0, v[74:75]
	v_cmp_neq_f64_e64 s[2:3], 0, v[76:77]
	s_or_b64 s[2:3], vcc, s[2:3]
	s_and_b64 exec, exec, s[2:3]
	s_cbranch_execz .LBB29_35
; %bb.30:
	v_cmp_ngt_f64_e64 s[2:3], |v[74:75]|, |v[76:77]|
                                        ; implicit-def: $vgpr78_vgpr79
	s_and_saveexec_b64 s[6:7], s[2:3]
	s_xor_b64 s[2:3], exec, s[6:7]
                                        ; implicit-def: $vgpr80_vgpr81
	s_cbranch_execz .LBB29_32
; %bb.31:
	v_div_scale_f64 v[78:79], s[6:7], v[76:77], v[76:77], v[74:75]
	v_rcp_f64_e32 v[80:81], v[78:79]
	v_fma_f64 v[82:83], -v[78:79], v[80:81], 1.0
	v_fma_f64 v[80:81], v[80:81], v[82:83], v[80:81]
	v_div_scale_f64 v[82:83], vcc, v[74:75], v[76:77], v[74:75]
	v_fma_f64 v[84:85], -v[78:79], v[80:81], 1.0
	v_fma_f64 v[80:81], v[80:81], v[84:85], v[80:81]
	v_mul_f64 v[84:85], v[82:83], v[80:81]
	v_fma_f64 v[78:79], -v[78:79], v[84:85], v[82:83]
	v_div_fmas_f64 v[78:79], v[78:79], v[80:81], v[84:85]
	v_div_fixup_f64 v[78:79], v[78:79], v[76:77], v[74:75]
	v_fma_f64 v[74:75], v[74:75], v[78:79], v[76:77]
	v_div_scale_f64 v[76:77], s[6:7], v[74:75], v[74:75], 1.0
	v_div_scale_f64 v[84:85], vcc, 1.0, v[74:75], 1.0
	v_rcp_f64_e32 v[80:81], v[76:77]
	v_fma_f64 v[82:83], -v[76:77], v[80:81], 1.0
	v_fma_f64 v[80:81], v[80:81], v[82:83], v[80:81]
	v_fma_f64 v[82:83], -v[76:77], v[80:81], 1.0
	v_fma_f64 v[80:81], v[80:81], v[82:83], v[80:81]
	v_mul_f64 v[82:83], v[84:85], v[80:81]
	v_fma_f64 v[76:77], -v[76:77], v[82:83], v[84:85]
	v_div_fmas_f64 v[76:77], v[76:77], v[80:81], v[82:83]
	v_div_fixup_f64 v[80:81], v[76:77], v[74:75], 1.0
                                        ; implicit-def: $vgpr74_vgpr75
	v_mul_f64 v[78:79], v[78:79], v[80:81]
	v_xor_b32_e32 v81, 0x80000000, v81
.LBB29_32:
	s_andn2_saveexec_b64 s[2:3], s[2:3]
	s_cbranch_execz .LBB29_34
; %bb.33:
	v_div_scale_f64 v[78:79], s[6:7], v[74:75], v[74:75], v[76:77]
	v_rcp_f64_e32 v[80:81], v[78:79]
	v_fma_f64 v[82:83], -v[78:79], v[80:81], 1.0
	v_fma_f64 v[80:81], v[80:81], v[82:83], v[80:81]
	v_div_scale_f64 v[82:83], vcc, v[76:77], v[74:75], v[76:77]
	v_fma_f64 v[84:85], -v[78:79], v[80:81], 1.0
	v_fma_f64 v[80:81], v[80:81], v[84:85], v[80:81]
	v_mul_f64 v[84:85], v[82:83], v[80:81]
	v_fma_f64 v[78:79], -v[78:79], v[84:85], v[82:83]
	v_div_fmas_f64 v[78:79], v[78:79], v[80:81], v[84:85]
	v_div_fixup_f64 v[80:81], v[78:79], v[74:75], v[76:77]
	v_fma_f64 v[74:75], v[76:77], v[80:81], v[74:75]
	v_div_scale_f64 v[76:77], s[6:7], v[74:75], v[74:75], 1.0
	v_div_scale_f64 v[84:85], vcc, 1.0, v[74:75], 1.0
	v_rcp_f64_e32 v[78:79], v[76:77]
	v_fma_f64 v[82:83], -v[76:77], v[78:79], 1.0
	v_fma_f64 v[78:79], v[78:79], v[82:83], v[78:79]
	v_fma_f64 v[82:83], -v[76:77], v[78:79], 1.0
	v_fma_f64 v[78:79], v[78:79], v[82:83], v[78:79]
	v_mul_f64 v[82:83], v[84:85], v[78:79]
	v_fma_f64 v[76:77], -v[76:77], v[82:83], v[84:85]
	v_div_fmas_f64 v[76:77], v[76:77], v[78:79], v[82:83]
	v_div_fixup_f64 v[78:79], v[76:77], v[74:75], 1.0
	v_mul_f64 v[80:81], v[80:81], -v[78:79]
.LBB29_34:
	s_or_b64 exec, exec, s[2:3]
	ds_write2_b64 v1, v[78:79], v[80:81] offset1:1
.LBB29_35:
	s_or_b64 exec, exec, s[4:5]
	s_waitcnt lgkmcnt(0)
	s_barrier
	ds_read2_b64 v[74:77], v1 offset1:1
	v_cmp_lt_u32_e32 vcc, 3, v0
	s_and_saveexec_b64 s[2:3], vcc
	s_cbranch_execz .LBB29_37
; %bb.36:
	s_waitcnt lgkmcnt(0)
	v_mul_f64 v[78:79], v[74:75], v[48:49]
	v_mul_f64 v[48:49], v[76:77], v[48:49]
	ds_read2_b64 v[80:83], v126 offset0:8 offset1:9
	v_fma_f64 v[78:79], v[76:77], v[46:47], v[78:79]
	v_fma_f64 v[46:47], v[74:75], v[46:47], -v[48:49]
	s_waitcnt lgkmcnt(0)
	v_mul_f64 v[48:49], v[82:83], v[78:79]
	v_fma_f64 v[48:49], v[80:81], v[46:47], -v[48:49]
	v_mul_f64 v[80:81], v[80:81], v[78:79]
	v_add_f64 v[42:43], v[42:43], -v[48:49]
	v_fma_f64 v[80:81], v[82:83], v[46:47], v[80:81]
	v_add_f64 v[44:45], v[44:45], -v[80:81]
	ds_read2_b64 v[80:83], v126 offset0:10 offset1:11
	s_waitcnt lgkmcnt(0)
	v_mul_f64 v[48:49], v[82:83], v[78:79]
	v_fma_f64 v[48:49], v[80:81], v[46:47], -v[48:49]
	v_mul_f64 v[80:81], v[80:81], v[78:79]
	v_add_f64 v[38:39], v[38:39], -v[48:49]
	v_fma_f64 v[80:81], v[82:83], v[46:47], v[80:81]
	v_add_f64 v[40:41], v[40:41], -v[80:81]
	ds_read2_b64 v[80:83], v126 offset0:12 offset1:13
	s_waitcnt lgkmcnt(0)
	v_mul_f64 v[48:49], v[82:83], v[78:79]
	v_fma_f64 v[48:49], v[80:81], v[46:47], -v[48:49]
	v_mul_f64 v[80:81], v[80:81], v[78:79]
	v_add_f64 v[34:35], v[34:35], -v[48:49]
	v_fma_f64 v[80:81], v[82:83], v[46:47], v[80:81]
	v_add_f64 v[36:37], v[36:37], -v[80:81]
	ds_read2_b64 v[80:83], v126 offset0:14 offset1:15
	s_waitcnt lgkmcnt(0)
	v_mul_f64 v[48:49], v[82:83], v[78:79]
	v_fma_f64 v[48:49], v[80:81], v[46:47], -v[48:49]
	v_mul_f64 v[80:81], v[80:81], v[78:79]
	v_add_f64 v[26:27], v[26:27], -v[48:49]
	v_fma_f64 v[80:81], v[82:83], v[46:47], v[80:81]
	v_add_f64 v[28:29], v[28:29], -v[80:81]
	ds_read2_b64 v[80:83], v126 offset0:16 offset1:17
	s_waitcnt lgkmcnt(0)
	v_mul_f64 v[48:49], v[82:83], v[78:79]
	v_fma_f64 v[48:49], v[80:81], v[46:47], -v[48:49]
	v_mul_f64 v[80:81], v[80:81], v[78:79]
	v_add_f64 v[22:23], v[22:23], -v[48:49]
	v_fma_f64 v[80:81], v[82:83], v[46:47], v[80:81]
	v_add_f64 v[24:25], v[24:25], -v[80:81]
	ds_read2_b64 v[80:83], v126 offset0:18 offset1:19
	s_waitcnt lgkmcnt(0)
	v_mul_f64 v[48:49], v[82:83], v[78:79]
	v_fma_f64 v[48:49], v[80:81], v[46:47], -v[48:49]
	v_mul_f64 v[80:81], v[80:81], v[78:79]
	v_add_f64 v[18:19], v[18:19], -v[48:49]
	v_fma_f64 v[80:81], v[82:83], v[46:47], v[80:81]
	v_add_f64 v[20:21], v[20:21], -v[80:81]
	ds_read2_b64 v[80:83], v126 offset0:20 offset1:21
	s_waitcnt lgkmcnt(0)
	v_mul_f64 v[48:49], v[82:83], v[78:79]
	v_fma_f64 v[48:49], v[80:81], v[46:47], -v[48:49]
	v_mul_f64 v[80:81], v[80:81], v[78:79]
	v_add_f64 v[14:15], v[14:15], -v[48:49]
	v_fma_f64 v[80:81], v[82:83], v[46:47], v[80:81]
	v_add_f64 v[16:17], v[16:17], -v[80:81]
	ds_read2_b64 v[80:83], v126 offset0:22 offset1:23
	s_waitcnt lgkmcnt(0)
	v_mul_f64 v[48:49], v[82:83], v[78:79]
	v_fma_f64 v[48:49], v[80:81], v[46:47], -v[48:49]
	v_mul_f64 v[80:81], v[80:81], v[78:79]
	v_add_f64 v[10:11], v[10:11], -v[48:49]
	v_fma_f64 v[80:81], v[82:83], v[46:47], v[80:81]
	v_add_f64 v[12:13], v[12:13], -v[80:81]
	ds_read2_b64 v[80:83], v126 offset0:24 offset1:25
	s_waitcnt lgkmcnt(0)
	v_mul_f64 v[48:49], v[82:83], v[78:79]
	v_fma_f64 v[48:49], v[80:81], v[46:47], -v[48:49]
	v_mul_f64 v[80:81], v[80:81], v[78:79]
	v_add_f64 v[6:7], v[6:7], -v[48:49]
	v_fma_f64 v[80:81], v[82:83], v[46:47], v[80:81]
	v_add_f64 v[8:9], v[8:9], -v[80:81]
	ds_read2_b64 v[80:83], v126 offset0:26 offset1:27
	s_waitcnt lgkmcnt(0)
	v_mul_f64 v[48:49], v[82:83], v[78:79]
	v_fma_f64 v[48:49], v[80:81], v[46:47], -v[48:49]
	v_mul_f64 v[80:81], v[80:81], v[78:79]
	v_add_f64 v[2:3], v[2:3], -v[48:49]
	v_fma_f64 v[80:81], v[82:83], v[46:47], v[80:81]
	v_add_f64 v[4:5], v[4:5], -v[80:81]
	ds_read2_b64 v[80:83], v126 offset0:28 offset1:29
	s_waitcnt lgkmcnt(0)
	v_mul_f64 v[48:49], v[82:83], v[78:79]
	v_fma_f64 v[48:49], v[80:81], v[46:47], -v[48:49]
	v_mul_f64 v[80:81], v[80:81], v[78:79]
	v_add_f64 v[30:31], v[30:31], -v[48:49]
	v_fma_f64 v[80:81], v[82:83], v[46:47], v[80:81]
	v_mov_b32_e32 v48, v78
	v_mov_b32_e32 v49, v79
	v_add_f64 v[32:33], v[32:33], -v[80:81]
.LBB29_37:
	s_or_b64 exec, exec, s[2:3]
	v_cmp_eq_u32_e32 vcc, 4, v0
	s_waitcnt lgkmcnt(0)
	s_barrier
	s_and_saveexec_b64 s[4:5], vcc
	s_cbranch_execz .LBB29_44
; %bb.38:
	ds_write2_b64 v1, v[42:43], v[44:45] offset1:1
	ds_write2_b64 v126, v[38:39], v[40:41] offset0:10 offset1:11
	ds_write2_b64 v126, v[34:35], v[36:37] offset0:12 offset1:13
	;; [unrolled: 1-line block ×10, first 2 shown]
	ds_read2_b64 v[78:81], v1 offset1:1
	s_waitcnt lgkmcnt(0)
	v_cmp_neq_f64_e32 vcc, 0, v[78:79]
	v_cmp_neq_f64_e64 s[2:3], 0, v[80:81]
	s_or_b64 s[2:3], vcc, s[2:3]
	s_and_b64 exec, exec, s[2:3]
	s_cbranch_execz .LBB29_44
; %bb.39:
	v_cmp_ngt_f64_e64 s[2:3], |v[78:79]|, |v[80:81]|
                                        ; implicit-def: $vgpr82_vgpr83
	s_and_saveexec_b64 s[6:7], s[2:3]
	s_xor_b64 s[2:3], exec, s[6:7]
                                        ; implicit-def: $vgpr84_vgpr85
	s_cbranch_execz .LBB29_41
; %bb.40:
	v_div_scale_f64 v[82:83], s[6:7], v[80:81], v[80:81], v[78:79]
	v_rcp_f64_e32 v[84:85], v[82:83]
	v_fma_f64 v[86:87], -v[82:83], v[84:85], 1.0
	v_fma_f64 v[84:85], v[84:85], v[86:87], v[84:85]
	v_div_scale_f64 v[86:87], vcc, v[78:79], v[80:81], v[78:79]
	v_fma_f64 v[88:89], -v[82:83], v[84:85], 1.0
	v_fma_f64 v[84:85], v[84:85], v[88:89], v[84:85]
	v_mul_f64 v[88:89], v[86:87], v[84:85]
	v_fma_f64 v[82:83], -v[82:83], v[88:89], v[86:87]
	v_div_fmas_f64 v[82:83], v[82:83], v[84:85], v[88:89]
	v_div_fixup_f64 v[82:83], v[82:83], v[80:81], v[78:79]
	v_fma_f64 v[78:79], v[78:79], v[82:83], v[80:81]
	v_div_scale_f64 v[80:81], s[6:7], v[78:79], v[78:79], 1.0
	v_div_scale_f64 v[88:89], vcc, 1.0, v[78:79], 1.0
	v_rcp_f64_e32 v[84:85], v[80:81]
	v_fma_f64 v[86:87], -v[80:81], v[84:85], 1.0
	v_fma_f64 v[84:85], v[84:85], v[86:87], v[84:85]
	v_fma_f64 v[86:87], -v[80:81], v[84:85], 1.0
	v_fma_f64 v[84:85], v[84:85], v[86:87], v[84:85]
	v_mul_f64 v[86:87], v[88:89], v[84:85]
	v_fma_f64 v[80:81], -v[80:81], v[86:87], v[88:89]
	v_div_fmas_f64 v[80:81], v[80:81], v[84:85], v[86:87]
	v_div_fixup_f64 v[84:85], v[80:81], v[78:79], 1.0
                                        ; implicit-def: $vgpr78_vgpr79
	v_mul_f64 v[82:83], v[82:83], v[84:85]
	v_xor_b32_e32 v85, 0x80000000, v85
.LBB29_41:
	s_andn2_saveexec_b64 s[2:3], s[2:3]
	s_cbranch_execz .LBB29_43
; %bb.42:
	v_div_scale_f64 v[82:83], s[6:7], v[78:79], v[78:79], v[80:81]
	v_rcp_f64_e32 v[84:85], v[82:83]
	v_fma_f64 v[86:87], -v[82:83], v[84:85], 1.0
	v_fma_f64 v[84:85], v[84:85], v[86:87], v[84:85]
	v_div_scale_f64 v[86:87], vcc, v[80:81], v[78:79], v[80:81]
	v_fma_f64 v[88:89], -v[82:83], v[84:85], 1.0
	v_fma_f64 v[84:85], v[84:85], v[88:89], v[84:85]
	v_mul_f64 v[88:89], v[86:87], v[84:85]
	v_fma_f64 v[82:83], -v[82:83], v[88:89], v[86:87]
	v_div_fmas_f64 v[82:83], v[82:83], v[84:85], v[88:89]
	v_div_fixup_f64 v[84:85], v[82:83], v[78:79], v[80:81]
	v_fma_f64 v[78:79], v[80:81], v[84:85], v[78:79]
	v_div_scale_f64 v[80:81], s[6:7], v[78:79], v[78:79], 1.0
	v_div_scale_f64 v[88:89], vcc, 1.0, v[78:79], 1.0
	v_rcp_f64_e32 v[82:83], v[80:81]
	v_fma_f64 v[86:87], -v[80:81], v[82:83], 1.0
	v_fma_f64 v[82:83], v[82:83], v[86:87], v[82:83]
	v_fma_f64 v[86:87], -v[80:81], v[82:83], 1.0
	v_fma_f64 v[82:83], v[82:83], v[86:87], v[82:83]
	v_mul_f64 v[86:87], v[88:89], v[82:83]
	v_fma_f64 v[80:81], -v[80:81], v[86:87], v[88:89]
	v_div_fmas_f64 v[80:81], v[80:81], v[82:83], v[86:87]
	v_div_fixup_f64 v[82:83], v[80:81], v[78:79], 1.0
	v_mul_f64 v[84:85], v[84:85], -v[82:83]
.LBB29_43:
	s_or_b64 exec, exec, s[2:3]
	ds_write2_b64 v1, v[82:83], v[84:85] offset1:1
.LBB29_44:
	s_or_b64 exec, exec, s[4:5]
	s_waitcnt lgkmcnt(0)
	s_barrier
	ds_read2_b64 v[78:81], v1 offset1:1
	v_cmp_lt_u32_e32 vcc, 4, v0
	s_and_saveexec_b64 s[2:3], vcc
	s_cbranch_execz .LBB29_46
; %bb.45:
	s_waitcnt lgkmcnt(0)
	v_mul_f64 v[82:83], v[78:79], v[44:45]
	v_mul_f64 v[44:45], v[80:81], v[44:45]
	ds_read2_b64 v[84:87], v126 offset0:10 offset1:11
	v_fma_f64 v[82:83], v[80:81], v[42:43], v[82:83]
	v_fma_f64 v[42:43], v[78:79], v[42:43], -v[44:45]
	s_waitcnt lgkmcnt(0)
	v_mul_f64 v[44:45], v[86:87], v[82:83]
	v_fma_f64 v[44:45], v[84:85], v[42:43], -v[44:45]
	v_mul_f64 v[84:85], v[84:85], v[82:83]
	v_add_f64 v[38:39], v[38:39], -v[44:45]
	v_fma_f64 v[84:85], v[86:87], v[42:43], v[84:85]
	v_add_f64 v[40:41], v[40:41], -v[84:85]
	ds_read2_b64 v[84:87], v126 offset0:12 offset1:13
	s_waitcnt lgkmcnt(0)
	v_mul_f64 v[44:45], v[86:87], v[82:83]
	v_fma_f64 v[44:45], v[84:85], v[42:43], -v[44:45]
	v_mul_f64 v[84:85], v[84:85], v[82:83]
	v_add_f64 v[34:35], v[34:35], -v[44:45]
	v_fma_f64 v[84:85], v[86:87], v[42:43], v[84:85]
	v_add_f64 v[36:37], v[36:37], -v[84:85]
	ds_read2_b64 v[84:87], v126 offset0:14 offset1:15
	;; [unrolled: 8-line block ×9, first 2 shown]
	s_waitcnt lgkmcnt(0)
	v_mul_f64 v[44:45], v[86:87], v[82:83]
	v_fma_f64 v[44:45], v[84:85], v[42:43], -v[44:45]
	v_mul_f64 v[84:85], v[84:85], v[82:83]
	v_add_f64 v[30:31], v[30:31], -v[44:45]
	v_fma_f64 v[84:85], v[86:87], v[42:43], v[84:85]
	v_mov_b32_e32 v44, v82
	v_mov_b32_e32 v45, v83
	v_add_f64 v[32:33], v[32:33], -v[84:85]
.LBB29_46:
	s_or_b64 exec, exec, s[2:3]
	v_cmp_eq_u32_e32 vcc, 5, v0
	s_waitcnt lgkmcnt(0)
	s_barrier
	s_and_saveexec_b64 s[4:5], vcc
	s_cbranch_execz .LBB29_53
; %bb.47:
	ds_write2_b64 v1, v[38:39], v[40:41] offset1:1
	ds_write2_b64 v126, v[34:35], v[36:37] offset0:12 offset1:13
	ds_write2_b64 v126, v[26:27], v[28:29] offset0:14 offset1:15
	;; [unrolled: 1-line block ×9, first 2 shown]
	ds_read2_b64 v[82:85], v1 offset1:1
	s_waitcnt lgkmcnt(0)
	v_cmp_neq_f64_e32 vcc, 0, v[82:83]
	v_cmp_neq_f64_e64 s[2:3], 0, v[84:85]
	s_or_b64 s[2:3], vcc, s[2:3]
	s_and_b64 exec, exec, s[2:3]
	s_cbranch_execz .LBB29_53
; %bb.48:
	v_cmp_ngt_f64_e64 s[2:3], |v[82:83]|, |v[84:85]|
                                        ; implicit-def: $vgpr86_vgpr87
	s_and_saveexec_b64 s[6:7], s[2:3]
	s_xor_b64 s[2:3], exec, s[6:7]
                                        ; implicit-def: $vgpr88_vgpr89
	s_cbranch_execz .LBB29_50
; %bb.49:
	v_div_scale_f64 v[86:87], s[6:7], v[84:85], v[84:85], v[82:83]
	v_rcp_f64_e32 v[88:89], v[86:87]
	v_fma_f64 v[90:91], -v[86:87], v[88:89], 1.0
	v_fma_f64 v[88:89], v[88:89], v[90:91], v[88:89]
	v_div_scale_f64 v[90:91], vcc, v[82:83], v[84:85], v[82:83]
	v_fma_f64 v[92:93], -v[86:87], v[88:89], 1.0
	v_fma_f64 v[88:89], v[88:89], v[92:93], v[88:89]
	v_mul_f64 v[92:93], v[90:91], v[88:89]
	v_fma_f64 v[86:87], -v[86:87], v[92:93], v[90:91]
	v_div_fmas_f64 v[86:87], v[86:87], v[88:89], v[92:93]
	v_div_fixup_f64 v[86:87], v[86:87], v[84:85], v[82:83]
	v_fma_f64 v[82:83], v[82:83], v[86:87], v[84:85]
	v_div_scale_f64 v[84:85], s[6:7], v[82:83], v[82:83], 1.0
	v_div_scale_f64 v[92:93], vcc, 1.0, v[82:83], 1.0
	v_rcp_f64_e32 v[88:89], v[84:85]
	v_fma_f64 v[90:91], -v[84:85], v[88:89], 1.0
	v_fma_f64 v[88:89], v[88:89], v[90:91], v[88:89]
	v_fma_f64 v[90:91], -v[84:85], v[88:89], 1.0
	v_fma_f64 v[88:89], v[88:89], v[90:91], v[88:89]
	v_mul_f64 v[90:91], v[92:93], v[88:89]
	v_fma_f64 v[84:85], -v[84:85], v[90:91], v[92:93]
	v_div_fmas_f64 v[84:85], v[84:85], v[88:89], v[90:91]
	v_div_fixup_f64 v[88:89], v[84:85], v[82:83], 1.0
                                        ; implicit-def: $vgpr82_vgpr83
	v_mul_f64 v[86:87], v[86:87], v[88:89]
	v_xor_b32_e32 v89, 0x80000000, v89
.LBB29_50:
	s_andn2_saveexec_b64 s[2:3], s[2:3]
	s_cbranch_execz .LBB29_52
; %bb.51:
	v_div_scale_f64 v[86:87], s[6:7], v[82:83], v[82:83], v[84:85]
	v_rcp_f64_e32 v[88:89], v[86:87]
	v_fma_f64 v[90:91], -v[86:87], v[88:89], 1.0
	v_fma_f64 v[88:89], v[88:89], v[90:91], v[88:89]
	v_div_scale_f64 v[90:91], vcc, v[84:85], v[82:83], v[84:85]
	v_fma_f64 v[92:93], -v[86:87], v[88:89], 1.0
	v_fma_f64 v[88:89], v[88:89], v[92:93], v[88:89]
	v_mul_f64 v[92:93], v[90:91], v[88:89]
	v_fma_f64 v[86:87], -v[86:87], v[92:93], v[90:91]
	v_div_fmas_f64 v[86:87], v[86:87], v[88:89], v[92:93]
	v_div_fixup_f64 v[88:89], v[86:87], v[82:83], v[84:85]
	v_fma_f64 v[82:83], v[84:85], v[88:89], v[82:83]
	v_div_scale_f64 v[84:85], s[6:7], v[82:83], v[82:83], 1.0
	v_div_scale_f64 v[92:93], vcc, 1.0, v[82:83], 1.0
	v_rcp_f64_e32 v[86:87], v[84:85]
	v_fma_f64 v[90:91], -v[84:85], v[86:87], 1.0
	v_fma_f64 v[86:87], v[86:87], v[90:91], v[86:87]
	v_fma_f64 v[90:91], -v[84:85], v[86:87], 1.0
	v_fma_f64 v[86:87], v[86:87], v[90:91], v[86:87]
	v_mul_f64 v[90:91], v[92:93], v[86:87]
	v_fma_f64 v[84:85], -v[84:85], v[90:91], v[92:93]
	v_div_fmas_f64 v[84:85], v[84:85], v[86:87], v[90:91]
	v_div_fixup_f64 v[86:87], v[84:85], v[82:83], 1.0
	v_mul_f64 v[88:89], v[88:89], -v[86:87]
.LBB29_52:
	s_or_b64 exec, exec, s[2:3]
	ds_write2_b64 v1, v[86:87], v[88:89] offset1:1
.LBB29_53:
	s_or_b64 exec, exec, s[4:5]
	s_waitcnt lgkmcnt(0)
	s_barrier
	ds_read2_b64 v[82:85], v1 offset1:1
	v_cmp_lt_u32_e32 vcc, 5, v0
	s_and_saveexec_b64 s[2:3], vcc
	s_cbranch_execz .LBB29_55
; %bb.54:
	s_waitcnt lgkmcnt(0)
	v_mul_f64 v[86:87], v[82:83], v[40:41]
	v_mul_f64 v[40:41], v[84:85], v[40:41]
	ds_read2_b64 v[88:91], v126 offset0:12 offset1:13
	v_fma_f64 v[86:87], v[84:85], v[38:39], v[86:87]
	v_fma_f64 v[38:39], v[82:83], v[38:39], -v[40:41]
	s_waitcnt lgkmcnt(0)
	v_mul_f64 v[40:41], v[90:91], v[86:87]
	v_fma_f64 v[40:41], v[88:89], v[38:39], -v[40:41]
	v_mul_f64 v[88:89], v[88:89], v[86:87]
	v_add_f64 v[34:35], v[34:35], -v[40:41]
	v_fma_f64 v[88:89], v[90:91], v[38:39], v[88:89]
	v_add_f64 v[36:37], v[36:37], -v[88:89]
	ds_read2_b64 v[88:91], v126 offset0:14 offset1:15
	s_waitcnt lgkmcnt(0)
	v_mul_f64 v[40:41], v[90:91], v[86:87]
	v_fma_f64 v[40:41], v[88:89], v[38:39], -v[40:41]
	v_mul_f64 v[88:89], v[88:89], v[86:87]
	v_add_f64 v[26:27], v[26:27], -v[40:41]
	v_fma_f64 v[88:89], v[90:91], v[38:39], v[88:89]
	v_add_f64 v[28:29], v[28:29], -v[88:89]
	ds_read2_b64 v[88:91], v126 offset0:16 offset1:17
	;; [unrolled: 8-line block ×8, first 2 shown]
	s_waitcnt lgkmcnt(0)
	v_mul_f64 v[40:41], v[90:91], v[86:87]
	v_fma_f64 v[40:41], v[88:89], v[38:39], -v[40:41]
	v_mul_f64 v[88:89], v[88:89], v[86:87]
	v_add_f64 v[30:31], v[30:31], -v[40:41]
	v_fma_f64 v[88:89], v[90:91], v[38:39], v[88:89]
	v_mov_b32_e32 v40, v86
	v_mov_b32_e32 v41, v87
	v_add_f64 v[32:33], v[32:33], -v[88:89]
.LBB29_55:
	s_or_b64 exec, exec, s[2:3]
	v_cmp_eq_u32_e32 vcc, 6, v0
	s_waitcnt lgkmcnt(0)
	s_barrier
	s_and_saveexec_b64 s[4:5], vcc
	s_cbranch_execz .LBB29_62
; %bb.56:
	ds_write2_b64 v1, v[34:35], v[36:37] offset1:1
	ds_write2_b64 v126, v[26:27], v[28:29] offset0:14 offset1:15
	ds_write2_b64 v126, v[22:23], v[24:25] offset0:16 offset1:17
	;; [unrolled: 1-line block ×8, first 2 shown]
	ds_read2_b64 v[86:89], v1 offset1:1
	s_waitcnt lgkmcnt(0)
	v_cmp_neq_f64_e32 vcc, 0, v[86:87]
	v_cmp_neq_f64_e64 s[2:3], 0, v[88:89]
	s_or_b64 s[2:3], vcc, s[2:3]
	s_and_b64 exec, exec, s[2:3]
	s_cbranch_execz .LBB29_62
; %bb.57:
	v_cmp_ngt_f64_e64 s[2:3], |v[86:87]|, |v[88:89]|
                                        ; implicit-def: $vgpr90_vgpr91
	s_and_saveexec_b64 s[6:7], s[2:3]
	s_xor_b64 s[2:3], exec, s[6:7]
                                        ; implicit-def: $vgpr92_vgpr93
	s_cbranch_execz .LBB29_59
; %bb.58:
	v_div_scale_f64 v[90:91], s[6:7], v[88:89], v[88:89], v[86:87]
	v_rcp_f64_e32 v[92:93], v[90:91]
	v_fma_f64 v[94:95], -v[90:91], v[92:93], 1.0
	v_fma_f64 v[92:93], v[92:93], v[94:95], v[92:93]
	v_div_scale_f64 v[94:95], vcc, v[86:87], v[88:89], v[86:87]
	v_fma_f64 v[96:97], -v[90:91], v[92:93], 1.0
	v_fma_f64 v[92:93], v[92:93], v[96:97], v[92:93]
	v_mul_f64 v[96:97], v[94:95], v[92:93]
	v_fma_f64 v[90:91], -v[90:91], v[96:97], v[94:95]
	v_div_fmas_f64 v[90:91], v[90:91], v[92:93], v[96:97]
	v_div_fixup_f64 v[90:91], v[90:91], v[88:89], v[86:87]
	v_fma_f64 v[86:87], v[86:87], v[90:91], v[88:89]
	v_div_scale_f64 v[88:89], s[6:7], v[86:87], v[86:87], 1.0
	v_div_scale_f64 v[96:97], vcc, 1.0, v[86:87], 1.0
	v_rcp_f64_e32 v[92:93], v[88:89]
	v_fma_f64 v[94:95], -v[88:89], v[92:93], 1.0
	v_fma_f64 v[92:93], v[92:93], v[94:95], v[92:93]
	v_fma_f64 v[94:95], -v[88:89], v[92:93], 1.0
	v_fma_f64 v[92:93], v[92:93], v[94:95], v[92:93]
	v_mul_f64 v[94:95], v[96:97], v[92:93]
	v_fma_f64 v[88:89], -v[88:89], v[94:95], v[96:97]
	v_div_fmas_f64 v[88:89], v[88:89], v[92:93], v[94:95]
	v_div_fixup_f64 v[92:93], v[88:89], v[86:87], 1.0
                                        ; implicit-def: $vgpr86_vgpr87
	v_mul_f64 v[90:91], v[90:91], v[92:93]
	v_xor_b32_e32 v93, 0x80000000, v93
.LBB29_59:
	s_andn2_saveexec_b64 s[2:3], s[2:3]
	s_cbranch_execz .LBB29_61
; %bb.60:
	v_div_scale_f64 v[90:91], s[6:7], v[86:87], v[86:87], v[88:89]
	v_rcp_f64_e32 v[92:93], v[90:91]
	v_fma_f64 v[94:95], -v[90:91], v[92:93], 1.0
	v_fma_f64 v[92:93], v[92:93], v[94:95], v[92:93]
	v_div_scale_f64 v[94:95], vcc, v[88:89], v[86:87], v[88:89]
	v_fma_f64 v[96:97], -v[90:91], v[92:93], 1.0
	v_fma_f64 v[92:93], v[92:93], v[96:97], v[92:93]
	v_mul_f64 v[96:97], v[94:95], v[92:93]
	v_fma_f64 v[90:91], -v[90:91], v[96:97], v[94:95]
	v_div_fmas_f64 v[90:91], v[90:91], v[92:93], v[96:97]
	v_div_fixup_f64 v[92:93], v[90:91], v[86:87], v[88:89]
	v_fma_f64 v[86:87], v[88:89], v[92:93], v[86:87]
	v_div_scale_f64 v[88:89], s[6:7], v[86:87], v[86:87], 1.0
	v_div_scale_f64 v[96:97], vcc, 1.0, v[86:87], 1.0
	v_rcp_f64_e32 v[90:91], v[88:89]
	v_fma_f64 v[94:95], -v[88:89], v[90:91], 1.0
	v_fma_f64 v[90:91], v[90:91], v[94:95], v[90:91]
	v_fma_f64 v[94:95], -v[88:89], v[90:91], 1.0
	v_fma_f64 v[90:91], v[90:91], v[94:95], v[90:91]
	v_mul_f64 v[94:95], v[96:97], v[90:91]
	v_fma_f64 v[88:89], -v[88:89], v[94:95], v[96:97]
	v_div_fmas_f64 v[88:89], v[88:89], v[90:91], v[94:95]
	v_div_fixup_f64 v[90:91], v[88:89], v[86:87], 1.0
	v_mul_f64 v[92:93], v[92:93], -v[90:91]
.LBB29_61:
	s_or_b64 exec, exec, s[2:3]
	ds_write2_b64 v1, v[90:91], v[92:93] offset1:1
.LBB29_62:
	s_or_b64 exec, exec, s[4:5]
	s_waitcnt lgkmcnt(0)
	s_barrier
	ds_read2_b64 v[86:89], v1 offset1:1
	v_cmp_lt_u32_e32 vcc, 6, v0
	s_and_saveexec_b64 s[2:3], vcc
	s_cbranch_execz .LBB29_64
; %bb.63:
	s_waitcnt lgkmcnt(0)
	v_mul_f64 v[90:91], v[86:87], v[36:37]
	v_mul_f64 v[36:37], v[88:89], v[36:37]
	ds_read2_b64 v[92:95], v126 offset0:14 offset1:15
	v_fma_f64 v[90:91], v[88:89], v[34:35], v[90:91]
	v_fma_f64 v[34:35], v[86:87], v[34:35], -v[36:37]
	s_waitcnt lgkmcnt(0)
	v_mul_f64 v[36:37], v[94:95], v[90:91]
	v_fma_f64 v[36:37], v[92:93], v[34:35], -v[36:37]
	v_mul_f64 v[92:93], v[92:93], v[90:91]
	v_add_f64 v[26:27], v[26:27], -v[36:37]
	v_fma_f64 v[92:93], v[94:95], v[34:35], v[92:93]
	v_add_f64 v[28:29], v[28:29], -v[92:93]
	ds_read2_b64 v[92:95], v126 offset0:16 offset1:17
	s_waitcnt lgkmcnt(0)
	v_mul_f64 v[36:37], v[94:95], v[90:91]
	v_fma_f64 v[36:37], v[92:93], v[34:35], -v[36:37]
	v_mul_f64 v[92:93], v[92:93], v[90:91]
	v_add_f64 v[22:23], v[22:23], -v[36:37]
	v_fma_f64 v[92:93], v[94:95], v[34:35], v[92:93]
	v_add_f64 v[24:25], v[24:25], -v[92:93]
	ds_read2_b64 v[92:95], v126 offset0:18 offset1:19
	;; [unrolled: 8-line block ×7, first 2 shown]
	s_waitcnt lgkmcnt(0)
	v_mul_f64 v[36:37], v[94:95], v[90:91]
	v_fma_f64 v[36:37], v[92:93], v[34:35], -v[36:37]
	v_mul_f64 v[92:93], v[92:93], v[90:91]
	v_add_f64 v[30:31], v[30:31], -v[36:37]
	v_fma_f64 v[92:93], v[94:95], v[34:35], v[92:93]
	v_mov_b32_e32 v36, v90
	v_mov_b32_e32 v37, v91
	v_add_f64 v[32:33], v[32:33], -v[92:93]
.LBB29_64:
	s_or_b64 exec, exec, s[2:3]
	v_cmp_eq_u32_e32 vcc, 7, v0
	s_waitcnt lgkmcnt(0)
	s_barrier
	s_and_saveexec_b64 s[4:5], vcc
	s_cbranch_execz .LBB29_71
; %bb.65:
	ds_write2_b64 v1, v[26:27], v[28:29] offset1:1
	ds_write2_b64 v126, v[22:23], v[24:25] offset0:16 offset1:17
	ds_write2_b64 v126, v[18:19], v[20:21] offset0:18 offset1:19
	;; [unrolled: 1-line block ×7, first 2 shown]
	ds_read2_b64 v[90:93], v1 offset1:1
	s_waitcnt lgkmcnt(0)
	v_cmp_neq_f64_e32 vcc, 0, v[90:91]
	v_cmp_neq_f64_e64 s[2:3], 0, v[92:93]
	s_or_b64 s[2:3], vcc, s[2:3]
	s_and_b64 exec, exec, s[2:3]
	s_cbranch_execz .LBB29_71
; %bb.66:
	v_cmp_ngt_f64_e64 s[2:3], |v[90:91]|, |v[92:93]|
                                        ; implicit-def: $vgpr94_vgpr95
	s_and_saveexec_b64 s[6:7], s[2:3]
	s_xor_b64 s[2:3], exec, s[6:7]
                                        ; implicit-def: $vgpr96_vgpr97
	s_cbranch_execz .LBB29_68
; %bb.67:
	v_div_scale_f64 v[94:95], s[6:7], v[92:93], v[92:93], v[90:91]
	v_rcp_f64_e32 v[96:97], v[94:95]
	v_fma_f64 v[98:99], -v[94:95], v[96:97], 1.0
	v_fma_f64 v[96:97], v[96:97], v[98:99], v[96:97]
	v_div_scale_f64 v[98:99], vcc, v[90:91], v[92:93], v[90:91]
	v_fma_f64 v[100:101], -v[94:95], v[96:97], 1.0
	v_fma_f64 v[96:97], v[96:97], v[100:101], v[96:97]
	v_mul_f64 v[100:101], v[98:99], v[96:97]
	v_fma_f64 v[94:95], -v[94:95], v[100:101], v[98:99]
	v_div_fmas_f64 v[94:95], v[94:95], v[96:97], v[100:101]
	v_div_fixup_f64 v[94:95], v[94:95], v[92:93], v[90:91]
	v_fma_f64 v[90:91], v[90:91], v[94:95], v[92:93]
	v_div_scale_f64 v[92:93], s[6:7], v[90:91], v[90:91], 1.0
	v_div_scale_f64 v[100:101], vcc, 1.0, v[90:91], 1.0
	v_rcp_f64_e32 v[96:97], v[92:93]
	v_fma_f64 v[98:99], -v[92:93], v[96:97], 1.0
	v_fma_f64 v[96:97], v[96:97], v[98:99], v[96:97]
	v_fma_f64 v[98:99], -v[92:93], v[96:97], 1.0
	v_fma_f64 v[96:97], v[96:97], v[98:99], v[96:97]
	v_mul_f64 v[98:99], v[100:101], v[96:97]
	v_fma_f64 v[92:93], -v[92:93], v[98:99], v[100:101]
	v_div_fmas_f64 v[92:93], v[92:93], v[96:97], v[98:99]
	v_div_fixup_f64 v[96:97], v[92:93], v[90:91], 1.0
                                        ; implicit-def: $vgpr90_vgpr91
	v_mul_f64 v[94:95], v[94:95], v[96:97]
	v_xor_b32_e32 v97, 0x80000000, v97
.LBB29_68:
	s_andn2_saveexec_b64 s[2:3], s[2:3]
	s_cbranch_execz .LBB29_70
; %bb.69:
	v_div_scale_f64 v[94:95], s[6:7], v[90:91], v[90:91], v[92:93]
	v_rcp_f64_e32 v[96:97], v[94:95]
	v_fma_f64 v[98:99], -v[94:95], v[96:97], 1.0
	v_fma_f64 v[96:97], v[96:97], v[98:99], v[96:97]
	v_div_scale_f64 v[98:99], vcc, v[92:93], v[90:91], v[92:93]
	v_fma_f64 v[100:101], -v[94:95], v[96:97], 1.0
	v_fma_f64 v[96:97], v[96:97], v[100:101], v[96:97]
	v_mul_f64 v[100:101], v[98:99], v[96:97]
	v_fma_f64 v[94:95], -v[94:95], v[100:101], v[98:99]
	v_div_fmas_f64 v[94:95], v[94:95], v[96:97], v[100:101]
	v_div_fixup_f64 v[96:97], v[94:95], v[90:91], v[92:93]
	v_fma_f64 v[90:91], v[92:93], v[96:97], v[90:91]
	v_div_scale_f64 v[92:93], s[6:7], v[90:91], v[90:91], 1.0
	v_div_scale_f64 v[100:101], vcc, 1.0, v[90:91], 1.0
	v_rcp_f64_e32 v[94:95], v[92:93]
	v_fma_f64 v[98:99], -v[92:93], v[94:95], 1.0
	v_fma_f64 v[94:95], v[94:95], v[98:99], v[94:95]
	v_fma_f64 v[98:99], -v[92:93], v[94:95], 1.0
	v_fma_f64 v[94:95], v[94:95], v[98:99], v[94:95]
	v_mul_f64 v[98:99], v[100:101], v[94:95]
	v_fma_f64 v[92:93], -v[92:93], v[98:99], v[100:101]
	v_div_fmas_f64 v[92:93], v[92:93], v[94:95], v[98:99]
	v_div_fixup_f64 v[94:95], v[92:93], v[90:91], 1.0
	v_mul_f64 v[96:97], v[96:97], -v[94:95]
.LBB29_70:
	s_or_b64 exec, exec, s[2:3]
	ds_write2_b64 v1, v[94:95], v[96:97] offset1:1
.LBB29_71:
	s_or_b64 exec, exec, s[4:5]
	s_waitcnt lgkmcnt(0)
	s_barrier
	ds_read2_b64 v[90:93], v1 offset1:1
	v_cmp_lt_u32_e32 vcc, 7, v0
	s_and_saveexec_b64 s[2:3], vcc
	s_cbranch_execz .LBB29_73
; %bb.72:
	s_waitcnt lgkmcnt(0)
	v_mul_f64 v[94:95], v[90:91], v[28:29]
	v_mul_f64 v[28:29], v[92:93], v[28:29]
	ds_read2_b64 v[96:99], v126 offset0:16 offset1:17
	v_fma_f64 v[94:95], v[92:93], v[26:27], v[94:95]
	v_fma_f64 v[26:27], v[90:91], v[26:27], -v[28:29]
	s_waitcnt lgkmcnt(0)
	v_mul_f64 v[28:29], v[98:99], v[94:95]
	v_fma_f64 v[28:29], v[96:97], v[26:27], -v[28:29]
	v_mul_f64 v[96:97], v[96:97], v[94:95]
	v_add_f64 v[22:23], v[22:23], -v[28:29]
	v_fma_f64 v[96:97], v[98:99], v[26:27], v[96:97]
	v_add_f64 v[24:25], v[24:25], -v[96:97]
	ds_read2_b64 v[96:99], v126 offset0:18 offset1:19
	s_waitcnt lgkmcnt(0)
	v_mul_f64 v[28:29], v[98:99], v[94:95]
	v_fma_f64 v[28:29], v[96:97], v[26:27], -v[28:29]
	v_mul_f64 v[96:97], v[96:97], v[94:95]
	v_add_f64 v[18:19], v[18:19], -v[28:29]
	v_fma_f64 v[96:97], v[98:99], v[26:27], v[96:97]
	v_add_f64 v[20:21], v[20:21], -v[96:97]
	ds_read2_b64 v[96:99], v126 offset0:20 offset1:21
	;; [unrolled: 8-line block ×6, first 2 shown]
	s_waitcnt lgkmcnt(0)
	v_mul_f64 v[28:29], v[98:99], v[94:95]
	v_fma_f64 v[28:29], v[96:97], v[26:27], -v[28:29]
	v_mul_f64 v[96:97], v[96:97], v[94:95]
	v_add_f64 v[30:31], v[30:31], -v[28:29]
	v_fma_f64 v[96:97], v[98:99], v[26:27], v[96:97]
	v_mov_b32_e32 v28, v94
	v_mov_b32_e32 v29, v95
	v_add_f64 v[32:33], v[32:33], -v[96:97]
.LBB29_73:
	s_or_b64 exec, exec, s[2:3]
	v_cmp_eq_u32_e32 vcc, 8, v0
	s_waitcnt lgkmcnt(0)
	s_barrier
	s_and_saveexec_b64 s[4:5], vcc
	s_cbranch_execz .LBB29_80
; %bb.74:
	ds_write2_b64 v1, v[22:23], v[24:25] offset1:1
	ds_write2_b64 v126, v[18:19], v[20:21] offset0:18 offset1:19
	ds_write2_b64 v126, v[14:15], v[16:17] offset0:20 offset1:21
	;; [unrolled: 1-line block ×6, first 2 shown]
	ds_read2_b64 v[94:97], v1 offset1:1
	s_waitcnt lgkmcnt(0)
	v_cmp_neq_f64_e32 vcc, 0, v[94:95]
	v_cmp_neq_f64_e64 s[2:3], 0, v[96:97]
	s_or_b64 s[2:3], vcc, s[2:3]
	s_and_b64 exec, exec, s[2:3]
	s_cbranch_execz .LBB29_80
; %bb.75:
	v_cmp_ngt_f64_e64 s[2:3], |v[94:95]|, |v[96:97]|
                                        ; implicit-def: $vgpr98_vgpr99
	s_and_saveexec_b64 s[6:7], s[2:3]
	s_xor_b64 s[2:3], exec, s[6:7]
                                        ; implicit-def: $vgpr100_vgpr101
	s_cbranch_execz .LBB29_77
; %bb.76:
	v_div_scale_f64 v[98:99], s[6:7], v[96:97], v[96:97], v[94:95]
	v_rcp_f64_e32 v[100:101], v[98:99]
	v_fma_f64 v[102:103], -v[98:99], v[100:101], 1.0
	v_fma_f64 v[100:101], v[100:101], v[102:103], v[100:101]
	v_div_scale_f64 v[102:103], vcc, v[94:95], v[96:97], v[94:95]
	v_fma_f64 v[104:105], -v[98:99], v[100:101], 1.0
	v_fma_f64 v[100:101], v[100:101], v[104:105], v[100:101]
	v_mul_f64 v[104:105], v[102:103], v[100:101]
	v_fma_f64 v[98:99], -v[98:99], v[104:105], v[102:103]
	v_div_fmas_f64 v[98:99], v[98:99], v[100:101], v[104:105]
	v_div_fixup_f64 v[98:99], v[98:99], v[96:97], v[94:95]
	v_fma_f64 v[94:95], v[94:95], v[98:99], v[96:97]
	v_div_scale_f64 v[96:97], s[6:7], v[94:95], v[94:95], 1.0
	v_div_scale_f64 v[104:105], vcc, 1.0, v[94:95], 1.0
	v_rcp_f64_e32 v[100:101], v[96:97]
	v_fma_f64 v[102:103], -v[96:97], v[100:101], 1.0
	v_fma_f64 v[100:101], v[100:101], v[102:103], v[100:101]
	v_fma_f64 v[102:103], -v[96:97], v[100:101], 1.0
	v_fma_f64 v[100:101], v[100:101], v[102:103], v[100:101]
	v_mul_f64 v[102:103], v[104:105], v[100:101]
	v_fma_f64 v[96:97], -v[96:97], v[102:103], v[104:105]
	v_div_fmas_f64 v[96:97], v[96:97], v[100:101], v[102:103]
	v_div_fixup_f64 v[100:101], v[96:97], v[94:95], 1.0
                                        ; implicit-def: $vgpr94_vgpr95
	v_mul_f64 v[98:99], v[98:99], v[100:101]
	v_xor_b32_e32 v101, 0x80000000, v101
.LBB29_77:
	s_andn2_saveexec_b64 s[2:3], s[2:3]
	s_cbranch_execz .LBB29_79
; %bb.78:
	v_div_scale_f64 v[98:99], s[6:7], v[94:95], v[94:95], v[96:97]
	v_rcp_f64_e32 v[100:101], v[98:99]
	v_fma_f64 v[102:103], -v[98:99], v[100:101], 1.0
	v_fma_f64 v[100:101], v[100:101], v[102:103], v[100:101]
	v_div_scale_f64 v[102:103], vcc, v[96:97], v[94:95], v[96:97]
	v_fma_f64 v[104:105], -v[98:99], v[100:101], 1.0
	v_fma_f64 v[100:101], v[100:101], v[104:105], v[100:101]
	v_mul_f64 v[104:105], v[102:103], v[100:101]
	v_fma_f64 v[98:99], -v[98:99], v[104:105], v[102:103]
	v_div_fmas_f64 v[98:99], v[98:99], v[100:101], v[104:105]
	v_div_fixup_f64 v[100:101], v[98:99], v[94:95], v[96:97]
	v_fma_f64 v[94:95], v[96:97], v[100:101], v[94:95]
	v_div_scale_f64 v[96:97], s[6:7], v[94:95], v[94:95], 1.0
	v_div_scale_f64 v[104:105], vcc, 1.0, v[94:95], 1.0
	v_rcp_f64_e32 v[98:99], v[96:97]
	v_fma_f64 v[102:103], -v[96:97], v[98:99], 1.0
	v_fma_f64 v[98:99], v[98:99], v[102:103], v[98:99]
	v_fma_f64 v[102:103], -v[96:97], v[98:99], 1.0
	v_fma_f64 v[98:99], v[98:99], v[102:103], v[98:99]
	v_mul_f64 v[102:103], v[104:105], v[98:99]
	v_fma_f64 v[96:97], -v[96:97], v[102:103], v[104:105]
	v_div_fmas_f64 v[96:97], v[96:97], v[98:99], v[102:103]
	v_div_fixup_f64 v[98:99], v[96:97], v[94:95], 1.0
	v_mul_f64 v[100:101], v[100:101], -v[98:99]
.LBB29_79:
	s_or_b64 exec, exec, s[2:3]
	ds_write2_b64 v1, v[98:99], v[100:101] offset1:1
.LBB29_80:
	s_or_b64 exec, exec, s[4:5]
	s_waitcnt lgkmcnt(0)
	s_barrier
	ds_read2_b64 v[58:61], v1 offset1:1
	v_cmp_lt_u32_e32 vcc, 8, v0
	s_and_saveexec_b64 s[2:3], vcc
	s_cbranch_execz .LBB29_82
; %bb.81:
	s_waitcnt lgkmcnt(0)
	v_mul_f64 v[98:99], v[58:59], v[24:25]
	v_mul_f64 v[24:25], v[60:61], v[24:25]
	ds_read2_b64 v[100:103], v126 offset0:18 offset1:19
	v_fma_f64 v[98:99], v[60:61], v[22:23], v[98:99]
	v_fma_f64 v[22:23], v[58:59], v[22:23], -v[24:25]
	s_waitcnt lgkmcnt(0)
	v_mul_f64 v[24:25], v[102:103], v[98:99]
	v_fma_f64 v[24:25], v[100:101], v[22:23], -v[24:25]
	v_mul_f64 v[100:101], v[100:101], v[98:99]
	v_add_f64 v[18:19], v[18:19], -v[24:25]
	v_fma_f64 v[100:101], v[102:103], v[22:23], v[100:101]
	v_add_f64 v[20:21], v[20:21], -v[100:101]
	ds_read2_b64 v[100:103], v126 offset0:20 offset1:21
	s_waitcnt lgkmcnt(0)
	v_mul_f64 v[24:25], v[102:103], v[98:99]
	v_fma_f64 v[24:25], v[100:101], v[22:23], -v[24:25]
	v_mul_f64 v[100:101], v[100:101], v[98:99]
	v_add_f64 v[14:15], v[14:15], -v[24:25]
	v_fma_f64 v[100:101], v[102:103], v[22:23], v[100:101]
	v_add_f64 v[16:17], v[16:17], -v[100:101]
	ds_read2_b64 v[100:103], v126 offset0:22 offset1:23
	;; [unrolled: 8-line block ×5, first 2 shown]
	s_waitcnt lgkmcnt(0)
	v_mul_f64 v[24:25], v[102:103], v[98:99]
	v_fma_f64 v[24:25], v[100:101], v[22:23], -v[24:25]
	v_mul_f64 v[100:101], v[100:101], v[98:99]
	v_add_f64 v[30:31], v[30:31], -v[24:25]
	v_fma_f64 v[100:101], v[102:103], v[22:23], v[100:101]
	v_mov_b32_e32 v24, v98
	v_mov_b32_e32 v25, v99
	v_add_f64 v[32:33], v[32:33], -v[100:101]
.LBB29_82:
	s_or_b64 exec, exec, s[2:3]
	v_cmp_eq_u32_e32 vcc, 9, v0
	s_waitcnt lgkmcnt(0)
	s_barrier
	s_and_saveexec_b64 s[4:5], vcc
	s_cbranch_execz .LBB29_89
; %bb.83:
	ds_write2_b64 v1, v[18:19], v[20:21] offset1:1
	ds_write2_b64 v126, v[14:15], v[16:17] offset0:20 offset1:21
	ds_write2_b64 v126, v[10:11], v[12:13] offset0:22 offset1:23
	;; [unrolled: 1-line block ×5, first 2 shown]
	ds_read2_b64 v[98:101], v1 offset1:1
	s_waitcnt lgkmcnt(0)
	v_cmp_neq_f64_e32 vcc, 0, v[98:99]
	v_cmp_neq_f64_e64 s[2:3], 0, v[100:101]
	s_or_b64 s[2:3], vcc, s[2:3]
	s_and_b64 exec, exec, s[2:3]
	s_cbranch_execz .LBB29_89
; %bb.84:
	v_cmp_ngt_f64_e64 s[2:3], |v[98:99]|, |v[100:101]|
                                        ; implicit-def: $vgpr102_vgpr103
	s_and_saveexec_b64 s[6:7], s[2:3]
	s_xor_b64 s[2:3], exec, s[6:7]
                                        ; implicit-def: $vgpr104_vgpr105
	s_cbranch_execz .LBB29_86
; %bb.85:
	v_div_scale_f64 v[102:103], s[6:7], v[100:101], v[100:101], v[98:99]
	v_rcp_f64_e32 v[104:105], v[102:103]
	v_fma_f64 v[106:107], -v[102:103], v[104:105], 1.0
	v_fma_f64 v[104:105], v[104:105], v[106:107], v[104:105]
	v_div_scale_f64 v[106:107], vcc, v[98:99], v[100:101], v[98:99]
	v_fma_f64 v[108:109], -v[102:103], v[104:105], 1.0
	v_fma_f64 v[104:105], v[104:105], v[108:109], v[104:105]
	v_mul_f64 v[108:109], v[106:107], v[104:105]
	v_fma_f64 v[102:103], -v[102:103], v[108:109], v[106:107]
	v_div_fmas_f64 v[102:103], v[102:103], v[104:105], v[108:109]
	v_div_fixup_f64 v[102:103], v[102:103], v[100:101], v[98:99]
	v_fma_f64 v[98:99], v[98:99], v[102:103], v[100:101]
	v_div_scale_f64 v[100:101], s[6:7], v[98:99], v[98:99], 1.0
	v_div_scale_f64 v[108:109], vcc, 1.0, v[98:99], 1.0
	v_rcp_f64_e32 v[104:105], v[100:101]
	v_fma_f64 v[106:107], -v[100:101], v[104:105], 1.0
	v_fma_f64 v[104:105], v[104:105], v[106:107], v[104:105]
	v_fma_f64 v[106:107], -v[100:101], v[104:105], 1.0
	v_fma_f64 v[104:105], v[104:105], v[106:107], v[104:105]
	v_mul_f64 v[106:107], v[108:109], v[104:105]
	v_fma_f64 v[100:101], -v[100:101], v[106:107], v[108:109]
	v_div_fmas_f64 v[100:101], v[100:101], v[104:105], v[106:107]
	v_div_fixup_f64 v[104:105], v[100:101], v[98:99], 1.0
                                        ; implicit-def: $vgpr98_vgpr99
	v_mul_f64 v[102:103], v[102:103], v[104:105]
	v_xor_b32_e32 v105, 0x80000000, v105
.LBB29_86:
	s_andn2_saveexec_b64 s[2:3], s[2:3]
	s_cbranch_execz .LBB29_88
; %bb.87:
	v_div_scale_f64 v[102:103], s[6:7], v[98:99], v[98:99], v[100:101]
	v_rcp_f64_e32 v[104:105], v[102:103]
	v_fma_f64 v[106:107], -v[102:103], v[104:105], 1.0
	v_fma_f64 v[104:105], v[104:105], v[106:107], v[104:105]
	v_div_scale_f64 v[106:107], vcc, v[100:101], v[98:99], v[100:101]
	v_fma_f64 v[108:109], -v[102:103], v[104:105], 1.0
	v_fma_f64 v[104:105], v[104:105], v[108:109], v[104:105]
	v_mul_f64 v[108:109], v[106:107], v[104:105]
	v_fma_f64 v[102:103], -v[102:103], v[108:109], v[106:107]
	v_div_fmas_f64 v[102:103], v[102:103], v[104:105], v[108:109]
	v_div_fixup_f64 v[104:105], v[102:103], v[98:99], v[100:101]
	v_fma_f64 v[98:99], v[100:101], v[104:105], v[98:99]
	v_div_scale_f64 v[100:101], s[6:7], v[98:99], v[98:99], 1.0
	v_div_scale_f64 v[108:109], vcc, 1.0, v[98:99], 1.0
	v_rcp_f64_e32 v[102:103], v[100:101]
	v_fma_f64 v[106:107], -v[100:101], v[102:103], 1.0
	v_fma_f64 v[102:103], v[102:103], v[106:107], v[102:103]
	v_fma_f64 v[106:107], -v[100:101], v[102:103], 1.0
	v_fma_f64 v[102:103], v[102:103], v[106:107], v[102:103]
	v_mul_f64 v[106:107], v[108:109], v[102:103]
	v_fma_f64 v[100:101], -v[100:101], v[106:107], v[108:109]
	v_div_fmas_f64 v[100:101], v[100:101], v[102:103], v[106:107]
	v_div_fixup_f64 v[102:103], v[100:101], v[98:99], 1.0
	v_mul_f64 v[104:105], v[104:105], -v[102:103]
.LBB29_88:
	s_or_b64 exec, exec, s[2:3]
	ds_write2_b64 v1, v[102:103], v[104:105] offset1:1
.LBB29_89:
	s_or_b64 exec, exec, s[4:5]
	s_waitcnt lgkmcnt(0)
	s_barrier
	ds_read2_b64 v[98:101], v1 offset1:1
	v_cmp_lt_u32_e32 vcc, 9, v0
	s_and_saveexec_b64 s[2:3], vcc
	s_cbranch_execz .LBB29_91
; %bb.90:
	s_waitcnt lgkmcnt(0)
	v_mul_f64 v[102:103], v[98:99], v[20:21]
	v_mul_f64 v[20:21], v[100:101], v[20:21]
	v_fma_f64 v[106:107], v[100:101], v[18:19], v[102:103]
	ds_read2_b64 v[102:105], v126 offset0:20 offset1:21
	v_fma_f64 v[18:19], v[98:99], v[18:19], -v[20:21]
	s_waitcnt lgkmcnt(0)
	v_mul_f64 v[20:21], v[104:105], v[106:107]
	v_fma_f64 v[20:21], v[102:103], v[18:19], -v[20:21]
	v_mul_f64 v[102:103], v[102:103], v[106:107]
	v_add_f64 v[14:15], v[14:15], -v[20:21]
	v_fma_f64 v[102:103], v[104:105], v[18:19], v[102:103]
	v_add_f64 v[16:17], v[16:17], -v[102:103]
	ds_read2_b64 v[102:105], v126 offset0:22 offset1:23
	s_waitcnt lgkmcnt(0)
	v_mul_f64 v[20:21], v[104:105], v[106:107]
	v_fma_f64 v[20:21], v[102:103], v[18:19], -v[20:21]
	v_mul_f64 v[102:103], v[102:103], v[106:107]
	v_add_f64 v[10:11], v[10:11], -v[20:21]
	v_fma_f64 v[102:103], v[104:105], v[18:19], v[102:103]
	v_add_f64 v[12:13], v[12:13], -v[102:103]
	ds_read2_b64 v[102:105], v126 offset0:24 offset1:25
	;; [unrolled: 8-line block ×4, first 2 shown]
	s_waitcnt lgkmcnt(0)
	v_mul_f64 v[20:21], v[104:105], v[106:107]
	v_fma_f64 v[20:21], v[102:103], v[18:19], -v[20:21]
	v_mul_f64 v[102:103], v[102:103], v[106:107]
	v_add_f64 v[30:31], v[30:31], -v[20:21]
	v_fma_f64 v[102:103], v[104:105], v[18:19], v[102:103]
	v_mov_b32_e32 v20, v106
	v_mov_b32_e32 v21, v107
	v_add_f64 v[32:33], v[32:33], -v[102:103]
.LBB29_91:
	s_or_b64 exec, exec, s[2:3]
	v_cmp_eq_u32_e32 vcc, 10, v0
	s_waitcnt lgkmcnt(0)
	s_barrier
	s_and_saveexec_b64 s[4:5], vcc
	s_cbranch_execz .LBB29_98
; %bb.92:
	ds_write2_b64 v1, v[14:15], v[16:17] offset1:1
	ds_write2_b64 v126, v[10:11], v[12:13] offset0:22 offset1:23
	ds_write2_b64 v126, v[6:7], v[8:9] offset0:24 offset1:25
	;; [unrolled: 1-line block ×4, first 2 shown]
	ds_read2_b64 v[102:105], v1 offset1:1
	s_waitcnt lgkmcnt(0)
	v_cmp_neq_f64_e32 vcc, 0, v[102:103]
	v_cmp_neq_f64_e64 s[2:3], 0, v[104:105]
	s_or_b64 s[2:3], vcc, s[2:3]
	s_and_b64 exec, exec, s[2:3]
	s_cbranch_execz .LBB29_98
; %bb.93:
	v_cmp_ngt_f64_e64 s[2:3], |v[102:103]|, |v[104:105]|
                                        ; implicit-def: $vgpr106_vgpr107
	s_and_saveexec_b64 s[6:7], s[2:3]
	s_xor_b64 s[2:3], exec, s[6:7]
                                        ; implicit-def: $vgpr108_vgpr109
	s_cbranch_execz .LBB29_95
; %bb.94:
	v_div_scale_f64 v[106:107], s[6:7], v[104:105], v[104:105], v[102:103]
	v_rcp_f64_e32 v[108:109], v[106:107]
	v_fma_f64 v[110:111], -v[106:107], v[108:109], 1.0
	v_fma_f64 v[108:109], v[108:109], v[110:111], v[108:109]
	v_div_scale_f64 v[110:111], vcc, v[102:103], v[104:105], v[102:103]
	v_fma_f64 v[112:113], -v[106:107], v[108:109], 1.0
	v_fma_f64 v[108:109], v[108:109], v[112:113], v[108:109]
	v_mul_f64 v[112:113], v[110:111], v[108:109]
	v_fma_f64 v[106:107], -v[106:107], v[112:113], v[110:111]
	v_div_fmas_f64 v[106:107], v[106:107], v[108:109], v[112:113]
	v_div_fixup_f64 v[106:107], v[106:107], v[104:105], v[102:103]
	v_fma_f64 v[102:103], v[102:103], v[106:107], v[104:105]
	v_div_scale_f64 v[104:105], s[6:7], v[102:103], v[102:103], 1.0
	v_div_scale_f64 v[112:113], vcc, 1.0, v[102:103], 1.0
	v_rcp_f64_e32 v[108:109], v[104:105]
	v_fma_f64 v[110:111], -v[104:105], v[108:109], 1.0
	v_fma_f64 v[108:109], v[108:109], v[110:111], v[108:109]
	v_fma_f64 v[110:111], -v[104:105], v[108:109], 1.0
	v_fma_f64 v[108:109], v[108:109], v[110:111], v[108:109]
	v_mul_f64 v[110:111], v[112:113], v[108:109]
	v_fma_f64 v[104:105], -v[104:105], v[110:111], v[112:113]
	v_div_fmas_f64 v[104:105], v[104:105], v[108:109], v[110:111]
	v_div_fixup_f64 v[108:109], v[104:105], v[102:103], 1.0
                                        ; implicit-def: $vgpr102_vgpr103
	v_mul_f64 v[106:107], v[106:107], v[108:109]
	v_xor_b32_e32 v109, 0x80000000, v109
.LBB29_95:
	s_andn2_saveexec_b64 s[2:3], s[2:3]
	s_cbranch_execz .LBB29_97
; %bb.96:
	v_div_scale_f64 v[106:107], s[6:7], v[102:103], v[102:103], v[104:105]
	v_rcp_f64_e32 v[108:109], v[106:107]
	v_fma_f64 v[110:111], -v[106:107], v[108:109], 1.0
	v_fma_f64 v[108:109], v[108:109], v[110:111], v[108:109]
	v_div_scale_f64 v[110:111], vcc, v[104:105], v[102:103], v[104:105]
	v_fma_f64 v[112:113], -v[106:107], v[108:109], 1.0
	v_fma_f64 v[108:109], v[108:109], v[112:113], v[108:109]
	v_mul_f64 v[112:113], v[110:111], v[108:109]
	v_fma_f64 v[106:107], -v[106:107], v[112:113], v[110:111]
	v_div_fmas_f64 v[106:107], v[106:107], v[108:109], v[112:113]
	v_div_fixup_f64 v[108:109], v[106:107], v[102:103], v[104:105]
	v_fma_f64 v[102:103], v[104:105], v[108:109], v[102:103]
	v_div_scale_f64 v[104:105], s[6:7], v[102:103], v[102:103], 1.0
	v_div_scale_f64 v[112:113], vcc, 1.0, v[102:103], 1.0
	v_rcp_f64_e32 v[106:107], v[104:105]
	v_fma_f64 v[110:111], -v[104:105], v[106:107], 1.0
	v_fma_f64 v[106:107], v[106:107], v[110:111], v[106:107]
	v_fma_f64 v[110:111], -v[104:105], v[106:107], 1.0
	v_fma_f64 v[106:107], v[106:107], v[110:111], v[106:107]
	v_mul_f64 v[110:111], v[112:113], v[106:107]
	v_fma_f64 v[104:105], -v[104:105], v[110:111], v[112:113]
	v_div_fmas_f64 v[104:105], v[104:105], v[106:107], v[110:111]
	v_div_fixup_f64 v[106:107], v[104:105], v[102:103], 1.0
	v_mul_f64 v[108:109], v[108:109], -v[106:107]
.LBB29_97:
	s_or_b64 exec, exec, s[2:3]
	ds_write2_b64 v1, v[106:107], v[108:109] offset1:1
.LBB29_98:
	s_or_b64 exec, exec, s[4:5]
	s_waitcnt lgkmcnt(0)
	s_barrier
	ds_read2_b64 v[102:105], v1 offset1:1
	v_cmp_lt_u32_e32 vcc, 10, v0
	s_and_saveexec_b64 s[2:3], vcc
	s_cbranch_execz .LBB29_100
; %bb.99:
	s_waitcnt lgkmcnt(0)
	v_mul_f64 v[106:107], v[102:103], v[16:17]
	v_mul_f64 v[16:17], v[104:105], v[16:17]
	v_fma_f64 v[110:111], v[104:105], v[14:15], v[106:107]
	ds_read2_b64 v[106:109], v126 offset0:22 offset1:23
	v_fma_f64 v[14:15], v[102:103], v[14:15], -v[16:17]
	s_waitcnt lgkmcnt(0)
	v_mul_f64 v[16:17], v[108:109], v[110:111]
	v_fma_f64 v[16:17], v[106:107], v[14:15], -v[16:17]
	v_mul_f64 v[106:107], v[106:107], v[110:111]
	v_add_f64 v[10:11], v[10:11], -v[16:17]
	v_fma_f64 v[106:107], v[108:109], v[14:15], v[106:107]
	v_add_f64 v[12:13], v[12:13], -v[106:107]
	ds_read2_b64 v[106:109], v126 offset0:24 offset1:25
	s_waitcnt lgkmcnt(0)
	v_mul_f64 v[16:17], v[108:109], v[110:111]
	v_fma_f64 v[16:17], v[106:107], v[14:15], -v[16:17]
	v_mul_f64 v[106:107], v[106:107], v[110:111]
	v_add_f64 v[6:7], v[6:7], -v[16:17]
	v_fma_f64 v[106:107], v[108:109], v[14:15], v[106:107]
	v_add_f64 v[8:9], v[8:9], -v[106:107]
	ds_read2_b64 v[106:109], v126 offset0:26 offset1:27
	;; [unrolled: 8-line block ×3, first 2 shown]
	s_waitcnt lgkmcnt(0)
	v_mul_f64 v[16:17], v[108:109], v[110:111]
	v_fma_f64 v[16:17], v[106:107], v[14:15], -v[16:17]
	v_mul_f64 v[106:107], v[106:107], v[110:111]
	v_add_f64 v[30:31], v[30:31], -v[16:17]
	v_fma_f64 v[106:107], v[108:109], v[14:15], v[106:107]
	v_mov_b32_e32 v16, v110
	v_mov_b32_e32 v17, v111
	v_add_f64 v[32:33], v[32:33], -v[106:107]
.LBB29_100:
	s_or_b64 exec, exec, s[2:3]
	v_cmp_eq_u32_e32 vcc, 11, v0
	s_waitcnt lgkmcnt(0)
	s_barrier
	s_and_saveexec_b64 s[4:5], vcc
	s_cbranch_execz .LBB29_107
; %bb.101:
	ds_write2_b64 v1, v[10:11], v[12:13] offset1:1
	ds_write2_b64 v126, v[6:7], v[8:9] offset0:24 offset1:25
	ds_write2_b64 v126, v[2:3], v[4:5] offset0:26 offset1:27
	;; [unrolled: 1-line block ×3, first 2 shown]
	ds_read2_b64 v[106:109], v1 offset1:1
	s_waitcnt lgkmcnt(0)
	v_cmp_neq_f64_e32 vcc, 0, v[106:107]
	v_cmp_neq_f64_e64 s[2:3], 0, v[108:109]
	s_or_b64 s[2:3], vcc, s[2:3]
	s_and_b64 exec, exec, s[2:3]
	s_cbranch_execz .LBB29_107
; %bb.102:
	v_cmp_ngt_f64_e64 s[2:3], |v[106:107]|, |v[108:109]|
                                        ; implicit-def: $vgpr110_vgpr111
	s_and_saveexec_b64 s[6:7], s[2:3]
	s_xor_b64 s[2:3], exec, s[6:7]
                                        ; implicit-def: $vgpr112_vgpr113
	s_cbranch_execz .LBB29_104
; %bb.103:
	v_div_scale_f64 v[110:111], s[6:7], v[108:109], v[108:109], v[106:107]
	v_rcp_f64_e32 v[112:113], v[110:111]
	v_fma_f64 v[114:115], -v[110:111], v[112:113], 1.0
	v_fma_f64 v[112:113], v[112:113], v[114:115], v[112:113]
	v_div_scale_f64 v[114:115], vcc, v[106:107], v[108:109], v[106:107]
	v_fma_f64 v[116:117], -v[110:111], v[112:113], 1.0
	v_fma_f64 v[112:113], v[112:113], v[116:117], v[112:113]
	v_mul_f64 v[116:117], v[114:115], v[112:113]
	v_fma_f64 v[110:111], -v[110:111], v[116:117], v[114:115]
	v_div_fmas_f64 v[110:111], v[110:111], v[112:113], v[116:117]
	v_div_fixup_f64 v[110:111], v[110:111], v[108:109], v[106:107]
	v_fma_f64 v[106:107], v[106:107], v[110:111], v[108:109]
	v_div_scale_f64 v[108:109], s[6:7], v[106:107], v[106:107], 1.0
	v_div_scale_f64 v[116:117], vcc, 1.0, v[106:107], 1.0
	v_rcp_f64_e32 v[112:113], v[108:109]
	v_fma_f64 v[114:115], -v[108:109], v[112:113], 1.0
	v_fma_f64 v[112:113], v[112:113], v[114:115], v[112:113]
	v_fma_f64 v[114:115], -v[108:109], v[112:113], 1.0
	v_fma_f64 v[112:113], v[112:113], v[114:115], v[112:113]
	v_mul_f64 v[114:115], v[116:117], v[112:113]
	v_fma_f64 v[108:109], -v[108:109], v[114:115], v[116:117]
	v_div_fmas_f64 v[108:109], v[108:109], v[112:113], v[114:115]
	v_div_fixup_f64 v[112:113], v[108:109], v[106:107], 1.0
                                        ; implicit-def: $vgpr106_vgpr107
	v_mul_f64 v[110:111], v[110:111], v[112:113]
	v_xor_b32_e32 v113, 0x80000000, v113
.LBB29_104:
	s_andn2_saveexec_b64 s[2:3], s[2:3]
	s_cbranch_execz .LBB29_106
; %bb.105:
	v_div_scale_f64 v[110:111], s[6:7], v[106:107], v[106:107], v[108:109]
	v_rcp_f64_e32 v[112:113], v[110:111]
	v_fma_f64 v[114:115], -v[110:111], v[112:113], 1.0
	v_fma_f64 v[112:113], v[112:113], v[114:115], v[112:113]
	v_div_scale_f64 v[114:115], vcc, v[108:109], v[106:107], v[108:109]
	v_fma_f64 v[116:117], -v[110:111], v[112:113], 1.0
	v_fma_f64 v[112:113], v[112:113], v[116:117], v[112:113]
	v_mul_f64 v[116:117], v[114:115], v[112:113]
	v_fma_f64 v[110:111], -v[110:111], v[116:117], v[114:115]
	v_div_fmas_f64 v[110:111], v[110:111], v[112:113], v[116:117]
	v_div_fixup_f64 v[112:113], v[110:111], v[106:107], v[108:109]
	v_fma_f64 v[106:107], v[108:109], v[112:113], v[106:107]
	v_div_scale_f64 v[108:109], s[6:7], v[106:107], v[106:107], 1.0
	v_div_scale_f64 v[116:117], vcc, 1.0, v[106:107], 1.0
	v_rcp_f64_e32 v[110:111], v[108:109]
	v_fma_f64 v[114:115], -v[108:109], v[110:111], 1.0
	v_fma_f64 v[110:111], v[110:111], v[114:115], v[110:111]
	v_fma_f64 v[114:115], -v[108:109], v[110:111], 1.0
	v_fma_f64 v[110:111], v[110:111], v[114:115], v[110:111]
	v_mul_f64 v[114:115], v[116:117], v[110:111]
	v_fma_f64 v[108:109], -v[108:109], v[114:115], v[116:117]
	v_div_fmas_f64 v[108:109], v[108:109], v[110:111], v[114:115]
	v_div_fixup_f64 v[110:111], v[108:109], v[106:107], 1.0
	v_mul_f64 v[112:113], v[112:113], -v[110:111]
.LBB29_106:
	s_or_b64 exec, exec, s[2:3]
	ds_write2_b64 v1, v[110:111], v[112:113] offset1:1
.LBB29_107:
	s_or_b64 exec, exec, s[4:5]
	s_waitcnt lgkmcnt(0)
	s_barrier
	ds_read2_b64 v[106:109], v1 offset1:1
	v_cmp_lt_u32_e32 vcc, 11, v0
	s_and_saveexec_b64 s[2:3], vcc
	s_cbranch_execz .LBB29_109
; %bb.108:
	s_waitcnt lgkmcnt(0)
	v_mul_f64 v[110:111], v[106:107], v[12:13]
	v_mul_f64 v[12:13], v[108:109], v[12:13]
	v_fma_f64 v[114:115], v[108:109], v[10:11], v[110:111]
	ds_read2_b64 v[110:113], v126 offset0:24 offset1:25
	v_fma_f64 v[10:11], v[106:107], v[10:11], -v[12:13]
	s_waitcnt lgkmcnt(0)
	v_mul_f64 v[12:13], v[112:113], v[114:115]
	v_fma_f64 v[12:13], v[110:111], v[10:11], -v[12:13]
	v_mul_f64 v[110:111], v[110:111], v[114:115]
	v_add_f64 v[6:7], v[6:7], -v[12:13]
	v_fma_f64 v[110:111], v[112:113], v[10:11], v[110:111]
	v_add_f64 v[8:9], v[8:9], -v[110:111]
	ds_read2_b64 v[110:113], v126 offset0:26 offset1:27
	s_waitcnt lgkmcnt(0)
	v_mul_f64 v[12:13], v[112:113], v[114:115]
	v_fma_f64 v[12:13], v[110:111], v[10:11], -v[12:13]
	v_mul_f64 v[110:111], v[110:111], v[114:115]
	v_add_f64 v[2:3], v[2:3], -v[12:13]
	v_fma_f64 v[110:111], v[112:113], v[10:11], v[110:111]
	v_add_f64 v[4:5], v[4:5], -v[110:111]
	ds_read2_b64 v[110:113], v126 offset0:28 offset1:29
	s_waitcnt lgkmcnt(0)
	v_mul_f64 v[12:13], v[112:113], v[114:115]
	v_fma_f64 v[12:13], v[110:111], v[10:11], -v[12:13]
	v_mul_f64 v[110:111], v[110:111], v[114:115]
	v_add_f64 v[30:31], v[30:31], -v[12:13]
	v_fma_f64 v[110:111], v[112:113], v[10:11], v[110:111]
	v_mov_b32_e32 v12, v114
	v_mov_b32_e32 v13, v115
	v_add_f64 v[32:33], v[32:33], -v[110:111]
.LBB29_109:
	s_or_b64 exec, exec, s[2:3]
	v_cmp_eq_u32_e32 vcc, 12, v0
	s_waitcnt lgkmcnt(0)
	s_barrier
	s_and_saveexec_b64 s[4:5], vcc
	s_cbranch_execz .LBB29_116
; %bb.110:
	ds_write2_b64 v1, v[6:7], v[8:9] offset1:1
	ds_write2_b64 v126, v[2:3], v[4:5] offset0:26 offset1:27
	ds_write2_b64 v126, v[30:31], v[32:33] offset0:28 offset1:29
	ds_read2_b64 v[110:113], v1 offset1:1
	s_waitcnt lgkmcnt(0)
	v_cmp_neq_f64_e32 vcc, 0, v[110:111]
	v_cmp_neq_f64_e64 s[2:3], 0, v[112:113]
	s_or_b64 s[2:3], vcc, s[2:3]
	s_and_b64 exec, exec, s[2:3]
	s_cbranch_execz .LBB29_116
; %bb.111:
	v_cmp_ngt_f64_e64 s[2:3], |v[110:111]|, |v[112:113]|
                                        ; implicit-def: $vgpr114_vgpr115
	s_and_saveexec_b64 s[6:7], s[2:3]
	s_xor_b64 s[2:3], exec, s[6:7]
                                        ; implicit-def: $vgpr116_vgpr117
	s_cbranch_execz .LBB29_113
; %bb.112:
	v_div_scale_f64 v[114:115], s[6:7], v[112:113], v[112:113], v[110:111]
	v_rcp_f64_e32 v[116:117], v[114:115]
	v_fma_f64 v[118:119], -v[114:115], v[116:117], 1.0
	v_fma_f64 v[116:117], v[116:117], v[118:119], v[116:117]
	v_div_scale_f64 v[118:119], vcc, v[110:111], v[112:113], v[110:111]
	v_fma_f64 v[120:121], -v[114:115], v[116:117], 1.0
	v_fma_f64 v[116:117], v[116:117], v[120:121], v[116:117]
	v_mul_f64 v[120:121], v[118:119], v[116:117]
	v_fma_f64 v[114:115], -v[114:115], v[120:121], v[118:119]
	v_div_fmas_f64 v[114:115], v[114:115], v[116:117], v[120:121]
	v_div_fixup_f64 v[114:115], v[114:115], v[112:113], v[110:111]
	v_fma_f64 v[110:111], v[110:111], v[114:115], v[112:113]
	v_div_scale_f64 v[112:113], s[6:7], v[110:111], v[110:111], 1.0
	v_div_scale_f64 v[120:121], vcc, 1.0, v[110:111], 1.0
	v_rcp_f64_e32 v[116:117], v[112:113]
	v_fma_f64 v[118:119], -v[112:113], v[116:117], 1.0
	v_fma_f64 v[116:117], v[116:117], v[118:119], v[116:117]
	v_fma_f64 v[118:119], -v[112:113], v[116:117], 1.0
	v_fma_f64 v[116:117], v[116:117], v[118:119], v[116:117]
	v_mul_f64 v[118:119], v[120:121], v[116:117]
	v_fma_f64 v[112:113], -v[112:113], v[118:119], v[120:121]
	v_div_fmas_f64 v[112:113], v[112:113], v[116:117], v[118:119]
	v_div_fixup_f64 v[116:117], v[112:113], v[110:111], 1.0
                                        ; implicit-def: $vgpr110_vgpr111
	v_mul_f64 v[114:115], v[114:115], v[116:117]
	v_xor_b32_e32 v117, 0x80000000, v117
.LBB29_113:
	s_andn2_saveexec_b64 s[2:3], s[2:3]
	s_cbranch_execz .LBB29_115
; %bb.114:
	v_div_scale_f64 v[114:115], s[6:7], v[110:111], v[110:111], v[112:113]
	v_rcp_f64_e32 v[116:117], v[114:115]
	v_fma_f64 v[118:119], -v[114:115], v[116:117], 1.0
	v_fma_f64 v[116:117], v[116:117], v[118:119], v[116:117]
	v_div_scale_f64 v[118:119], vcc, v[112:113], v[110:111], v[112:113]
	v_fma_f64 v[120:121], -v[114:115], v[116:117], 1.0
	v_fma_f64 v[116:117], v[116:117], v[120:121], v[116:117]
	v_mul_f64 v[120:121], v[118:119], v[116:117]
	v_fma_f64 v[114:115], -v[114:115], v[120:121], v[118:119]
	v_div_fmas_f64 v[114:115], v[114:115], v[116:117], v[120:121]
	v_div_fixup_f64 v[116:117], v[114:115], v[110:111], v[112:113]
	v_fma_f64 v[110:111], v[112:113], v[116:117], v[110:111]
	v_div_scale_f64 v[112:113], s[6:7], v[110:111], v[110:111], 1.0
	v_div_scale_f64 v[120:121], vcc, 1.0, v[110:111], 1.0
	v_rcp_f64_e32 v[114:115], v[112:113]
	v_fma_f64 v[118:119], -v[112:113], v[114:115], 1.0
	v_fma_f64 v[114:115], v[114:115], v[118:119], v[114:115]
	v_fma_f64 v[118:119], -v[112:113], v[114:115], 1.0
	v_fma_f64 v[114:115], v[114:115], v[118:119], v[114:115]
	v_mul_f64 v[118:119], v[120:121], v[114:115]
	v_fma_f64 v[112:113], -v[112:113], v[118:119], v[120:121]
	v_div_fmas_f64 v[112:113], v[112:113], v[114:115], v[118:119]
	v_div_fixup_f64 v[114:115], v[112:113], v[110:111], 1.0
	v_mul_f64 v[116:117], v[116:117], -v[114:115]
.LBB29_115:
	s_or_b64 exec, exec, s[2:3]
	ds_write2_b64 v1, v[114:115], v[116:117] offset1:1
.LBB29_116:
	s_or_b64 exec, exec, s[4:5]
	s_waitcnt lgkmcnt(0)
	s_barrier
	ds_read2_b64 v[114:117], v1 offset1:1
	v_cmp_lt_u32_e32 vcc, 12, v0
	s_and_saveexec_b64 s[2:3], vcc
	s_cbranch_execz .LBB29_118
; %bb.117:
	s_waitcnt lgkmcnt(0)
	v_mul_f64 v[110:111], v[114:115], v[8:9]
	v_mul_f64 v[8:9], v[116:117], v[8:9]
	v_fma_f64 v[118:119], v[116:117], v[6:7], v[110:111]
	ds_read2_b64 v[110:113], v126 offset0:26 offset1:27
	v_fma_f64 v[6:7], v[114:115], v[6:7], -v[8:9]
	s_waitcnt lgkmcnt(0)
	v_mul_f64 v[8:9], v[112:113], v[118:119]
	v_fma_f64 v[8:9], v[110:111], v[6:7], -v[8:9]
	v_mul_f64 v[110:111], v[110:111], v[118:119]
	v_add_f64 v[2:3], v[2:3], -v[8:9]
	v_fma_f64 v[110:111], v[112:113], v[6:7], v[110:111]
	v_add_f64 v[4:5], v[4:5], -v[110:111]
	ds_read2_b64 v[110:113], v126 offset0:28 offset1:29
	s_waitcnt lgkmcnt(0)
	v_mul_f64 v[8:9], v[112:113], v[118:119]
	v_fma_f64 v[8:9], v[110:111], v[6:7], -v[8:9]
	v_mul_f64 v[110:111], v[110:111], v[118:119]
	v_add_f64 v[30:31], v[30:31], -v[8:9]
	v_fma_f64 v[110:111], v[112:113], v[6:7], v[110:111]
	v_mov_b32_e32 v8, v118
	v_mov_b32_e32 v9, v119
	v_add_f64 v[32:33], v[32:33], -v[110:111]
.LBB29_118:
	s_or_b64 exec, exec, s[2:3]
	v_cmp_eq_u32_e32 vcc, 13, v0
	s_waitcnt lgkmcnt(0)
	s_barrier
	s_and_saveexec_b64 s[4:5], vcc
	s_cbranch_execz .LBB29_125
; %bb.119:
	ds_write2_b64 v1, v[2:3], v[4:5] offset1:1
	ds_write2_b64 v126, v[30:31], v[32:33] offset0:28 offset1:29
	ds_read2_b64 v[110:113], v1 offset1:1
	s_waitcnt lgkmcnt(0)
	v_cmp_neq_f64_e32 vcc, 0, v[110:111]
	v_cmp_neq_f64_e64 s[2:3], 0, v[112:113]
	s_or_b64 s[2:3], vcc, s[2:3]
	s_and_b64 exec, exec, s[2:3]
	s_cbranch_execz .LBB29_125
; %bb.120:
	v_cmp_ngt_f64_e64 s[2:3], |v[110:111]|, |v[112:113]|
                                        ; implicit-def: $vgpr118_vgpr119
	s_and_saveexec_b64 s[6:7], s[2:3]
	s_xor_b64 s[2:3], exec, s[6:7]
                                        ; implicit-def: $vgpr120_vgpr121
	s_cbranch_execz .LBB29_122
; %bb.121:
	v_div_scale_f64 v[118:119], s[6:7], v[112:113], v[112:113], v[110:111]
	v_div_scale_f64 v[64:65], vcc, v[110:111], v[112:113], v[110:111]
	v_rcp_f64_e32 v[120:121], v[118:119]
	v_fma_f64 v[62:63], -v[118:119], v[120:121], 1.0
	v_fma_f64 v[62:63], v[120:121], v[62:63], v[120:121]
	v_fma_f64 v[120:121], -v[118:119], v[62:63], 1.0
	v_fma_f64 v[62:63], v[62:63], v[120:121], v[62:63]
	v_mul_f64 v[120:121], v[64:65], v[62:63]
	v_fma_f64 v[64:65], -v[118:119], v[120:121], v[64:65]
	v_div_fmas_f64 v[62:63], v[64:65], v[62:63], v[120:121]
	v_div_fixup_f64 v[62:63], v[62:63], v[112:113], v[110:111]
	v_fma_f64 v[64:65], v[110:111], v[62:63], v[112:113]
	v_div_scale_f64 v[110:111], s[6:7], v[64:65], v[64:65], 1.0
	v_div_scale_f64 v[120:121], vcc, 1.0, v[64:65], 1.0
	v_rcp_f64_e32 v[112:113], v[110:111]
	v_fma_f64 v[118:119], -v[110:111], v[112:113], 1.0
	v_fma_f64 v[112:113], v[112:113], v[118:119], v[112:113]
	v_fma_f64 v[118:119], -v[110:111], v[112:113], 1.0
	v_fma_f64 v[112:113], v[112:113], v[118:119], v[112:113]
	v_mul_f64 v[118:119], v[120:121], v[112:113]
	v_fma_f64 v[110:111], -v[110:111], v[118:119], v[120:121]
	v_div_fmas_f64 v[110:111], v[110:111], v[112:113], v[118:119]
	v_div_fixup_f64 v[120:121], v[110:111], v[64:65], 1.0
                                        ; implicit-def: $vgpr110_vgpr111
	v_mul_f64 v[118:119], v[62:63], v[120:121]
	v_xor_b32_e32 v121, 0x80000000, v121
.LBB29_122:
	s_andn2_saveexec_b64 s[2:3], s[2:3]
	s_cbranch_execz .LBB29_124
; %bb.123:
	v_div_scale_f64 v[62:63], s[6:7], v[110:111], v[110:111], v[112:113]
	v_rcp_f64_e32 v[64:65], v[62:63]
	v_fma_f64 v[118:119], -v[62:63], v[64:65], 1.0
	v_fma_f64 v[64:65], v[64:65], v[118:119], v[64:65]
	v_div_scale_f64 v[118:119], vcc, v[112:113], v[110:111], v[112:113]
	v_fma_f64 v[120:121], -v[62:63], v[64:65], 1.0
	v_fma_f64 v[64:65], v[64:65], v[120:121], v[64:65]
	v_mul_f64 v[120:121], v[118:119], v[64:65]
	v_fma_f64 v[62:63], -v[62:63], v[120:121], v[118:119]
	v_div_fmas_f64 v[62:63], v[62:63], v[64:65], v[120:121]
	v_div_fixup_f64 v[62:63], v[62:63], v[110:111], v[112:113]
	v_fma_f64 v[64:65], v[112:113], v[62:63], v[110:111]
	v_div_scale_f64 v[110:111], s[6:7], v[64:65], v[64:65], 1.0
	v_div_scale_f64 v[120:121], vcc, 1.0, v[64:65], 1.0
	v_rcp_f64_e32 v[112:113], v[110:111]
	v_fma_f64 v[118:119], -v[110:111], v[112:113], 1.0
	v_fma_f64 v[112:113], v[112:113], v[118:119], v[112:113]
	v_fma_f64 v[118:119], -v[110:111], v[112:113], 1.0
	v_fma_f64 v[112:113], v[112:113], v[118:119], v[112:113]
	v_mul_f64 v[118:119], v[120:121], v[112:113]
	v_fma_f64 v[110:111], -v[110:111], v[118:119], v[120:121]
	v_div_fmas_f64 v[110:111], v[110:111], v[112:113], v[118:119]
	v_div_fixup_f64 v[118:119], v[110:111], v[64:65], 1.0
	v_mul_f64 v[120:121], v[62:63], -v[118:119]
.LBB29_124:
	s_or_b64 exec, exec, s[2:3]
	ds_write2_b64 v1, v[118:119], v[120:121] offset1:1
.LBB29_125:
	s_or_b64 exec, exec, s[4:5]
	s_waitcnt lgkmcnt(0)
	s_barrier
	ds_read2_b64 v[118:121], v1 offset1:1
	v_cmp_lt_u32_e32 vcc, 13, v0
	s_and_saveexec_b64 s[2:3], vcc
	s_cbranch_execz .LBB29_127
; %bb.126:
	s_waitcnt lgkmcnt(0)
	v_mul_f64 v[62:63], v[118:119], v[4:5]
	v_mul_f64 v[4:5], v[120:121], v[4:5]
	ds_read2_b64 v[110:113], v126 offset0:28 offset1:29
	v_fma_f64 v[62:63], v[120:121], v[2:3], v[62:63]
	v_fma_f64 v[2:3], v[118:119], v[2:3], -v[4:5]
	s_waitcnt lgkmcnt(0)
	v_mul_f64 v[4:5], v[112:113], v[62:63]
	v_mul_f64 v[64:65], v[110:111], v[62:63]
	v_fma_f64 v[4:5], v[110:111], v[2:3], -v[4:5]
	v_fma_f64 v[64:65], v[112:113], v[2:3], v[64:65]
	v_add_f64 v[30:31], v[30:31], -v[4:5]
	v_add_f64 v[32:33], v[32:33], -v[64:65]
	v_mov_b32_e32 v4, v62
	v_mov_b32_e32 v5, v63
.LBB29_127:
	s_or_b64 exec, exec, s[2:3]
	v_cmp_eq_u32_e32 vcc, 14, v0
	s_waitcnt lgkmcnt(0)
	s_barrier
	s_and_saveexec_b64 s[4:5], vcc
	s_cbranch_execz .LBB29_134
; %bb.128:
	v_cmp_neq_f64_e32 vcc, 0, v[30:31]
	v_cmp_neq_f64_e64 s[2:3], 0, v[32:33]
	ds_write2_b64 v1, v[30:31], v[32:33] offset1:1
	s_or_b64 s[2:3], vcc, s[2:3]
	s_and_b64 exec, exec, s[2:3]
	s_cbranch_execz .LBB29_134
; %bb.129:
	v_cmp_ngt_f64_e64 s[2:3], |v[30:31]|, |v[32:33]|
                                        ; implicit-def: $vgpr110_vgpr111
	s_and_saveexec_b64 s[6:7], s[2:3]
	s_xor_b64 s[2:3], exec, s[6:7]
                                        ; implicit-def: $vgpr112_vgpr113
	s_cbranch_execz .LBB29_131
; %bb.130:
	v_div_scale_f64 v[62:63], s[6:7], v[32:33], v[32:33], v[30:31]
	v_mov_b32_e32 v97, v93
	v_mov_b32_e32 v96, v92
	;; [unrolled: 1-line block ×14, first 2 shown]
	v_rcp_f64_e32 v[64:65], v[62:63]
	v_mov_b32_e32 v83, v79
	v_mov_b32_e32 v82, v78
	v_mov_b32_e32 v81, v77
	v_mov_b32_e32 v80, v76
	v_mov_b32_e32 v79, v75
	v_mov_b32_e32 v78, v74
	v_mov_b32_e32 v77, v73
	v_mov_b32_e32 v76, v72
	v_mov_b32_e32 v75, v71
	v_mov_b32_e32 v74, v70
	v_mov_b32_e32 v73, v69
	v_mov_b32_e32 v72, v68
	v_mov_b32_e32 v71, v67
	v_mov_b32_e32 v70, v66
	v_fma_f64 v[110:111], -v[62:63], v[64:65], 1.0
	v_fma_f64 v[64:65], v[64:65], v[110:111], v[64:65]
	v_div_scale_f64 v[110:111], vcc, v[30:31], v[32:33], v[30:31]
	v_fma_f64 v[112:113], -v[62:63], v[64:65], 1.0
	v_fma_f64 v[64:65], v[64:65], v[112:113], v[64:65]
	v_mul_f64 v[112:113], v[110:111], v[64:65]
	v_fma_f64 v[62:63], -v[62:63], v[112:113], v[110:111]
	v_div_fmas_f64 v[62:63], v[62:63], v[64:65], v[112:113]
	v_div_fixup_f64 v[62:63], v[62:63], v[32:33], v[30:31]
	v_fma_f64 v[64:65], v[30:31], v[62:63], v[32:33]
	v_div_scale_f64 v[110:111], s[6:7], v[64:65], v[64:65], 1.0
	v_div_scale_f64 v[66:67], vcc, 1.0, v[64:65], 1.0
	v_rcp_f64_e32 v[112:113], v[110:111]
	v_fma_f64 v[126:127], -v[110:111], v[112:113], 1.0
	v_fma_f64 v[112:113], v[112:113], v[126:127], v[112:113]
	v_fma_f64 v[126:127], -v[110:111], v[112:113], 1.0
	v_fma_f64 v[68:69], v[112:113], v[126:127], v[112:113]
	v_mul_f64 v[112:113], v[66:67], v[68:69]
	v_fma_f64 v[66:67], -v[110:111], v[112:113], v[66:67]
	v_div_fmas_f64 v[66:67], v[66:67], v[68:69], v[112:113]
	v_div_fixup_f64 v[112:113], v[66:67], v[64:65], 1.0
	v_mov_b32_e32 v66, v70
	v_mov_b32_e32 v67, v71
	;; [unrolled: 1-line block ×7, first 2 shown]
	v_mul_f64 v[110:111], v[62:63], v[112:113]
	v_mov_b32_e32 v73, v77
	v_mov_b32_e32 v74, v78
	;; [unrolled: 1-line block ×21, first 2 shown]
	v_xor_b32_e32 v113, 0x80000000, v113
.LBB29_131:
	s_andn2_saveexec_b64 s[2:3], s[2:3]
	s_cbranch_execz .LBB29_133
; %bb.132:
	v_div_scale_f64 v[62:63], s[6:7], v[30:31], v[30:31], v[32:33]
	v_mov_b32_e32 v95, v93
	v_mov_b32_e32 v94, v92
	v_mov_b32_e32 v93, v91
	v_mov_b32_e32 v92, v90
	v_mov_b32_e32 v91, v89
	v_mov_b32_e32 v90, v88
	v_mov_b32_e32 v89, v87
	v_mov_b32_e32 v88, v86
	v_mov_b32_e32 v87, v85
	v_mov_b32_e32 v86, v84
	v_mov_b32_e32 v85, v83
	v_mov_b32_e32 v84, v82
	v_mov_b32_e32 v83, v81
	v_mov_b32_e32 v82, v80
	v_rcp_f64_e32 v[64:65], v[62:63]
	v_mov_b32_e32 v81, v79
	v_mov_b32_e32 v80, v78
	;; [unrolled: 1-line block ×16, first 2 shown]
	v_fma_f64 v[66:67], -v[62:63], v[64:65], 1.0
	v_fma_f64 v[64:65], v[64:65], v[66:67], v[64:65]
	v_div_scale_f64 v[66:67], vcc, v[32:33], v[30:31], v[32:33]
	v_fma_f64 v[68:69], -v[62:63], v[64:65], 1.0
	v_fma_f64 v[64:65], v[64:65], v[68:69], v[64:65]
	v_mul_f64 v[68:69], v[66:67], v[64:65]
	v_fma_f64 v[62:63], -v[62:63], v[68:69], v[66:67]
	v_div_fmas_f64 v[62:63], v[62:63], v[64:65], v[68:69]
	v_div_fixup_f64 v[62:63], v[62:63], v[30:31], v[32:33]
	v_fma_f64 v[64:65], v[32:33], v[62:63], v[30:31]
	v_div_scale_f64 v[66:67], s[6:7], v[64:65], v[64:65], 1.0
	v_div_scale_f64 v[112:113], vcc, 1.0, v[64:65], 1.0
	v_rcp_f64_e32 v[68:69], v[66:67]
	v_fma_f64 v[110:111], -v[66:67], v[68:69], 1.0
	v_fma_f64 v[68:69], v[68:69], v[110:111], v[68:69]
	v_fma_f64 v[110:111], -v[66:67], v[68:69], 1.0
	v_fma_f64 v[68:69], v[68:69], v[110:111], v[68:69]
	v_mul_f64 v[110:111], v[112:113], v[68:69]
	v_fma_f64 v[66:67], -v[66:67], v[110:111], v[112:113]
	v_div_fmas_f64 v[66:67], v[66:67], v[68:69], v[110:111]
	v_div_fixup_f64 v[110:111], v[66:67], v[64:65], 1.0
	v_mov_b32_e32 v66, v70
	v_mov_b32_e32 v67, v71
	;; [unrolled: 1-line block ×7, first 2 shown]
	v_mul_f64 v[112:113], v[62:63], -v[110:111]
	v_mov_b32_e32 v73, v77
	v_mov_b32_e32 v74, v124
	;; [unrolled: 1-line block ×23, first 2 shown]
.LBB29_133:
	s_or_b64 exec, exec, s[2:3]
	ds_write2_b64 v1, v[110:111], v[112:113] offset1:1
.LBB29_134:
	s_or_b64 exec, exec, s[4:5]
	s_waitcnt lgkmcnt(0)
	s_barrier
	ds_read2_b64 v[110:113], v1 offset1:1
	s_waitcnt lgkmcnt(0)
	s_barrier
	s_and_saveexec_b64 s[2:3], s[0:1]
	s_cbranch_execz .LBB29_137
; %bb.135:
	buffer_load_dword v62, off, s[20:23], 0 offset:128 ; 4-byte Folded Reload
	buffer_load_dword v63, off, s[20:23], 0 offset:132 ; 4-byte Folded Reload
	;; [unrolled: 1-line block ×4, first 2 shown]
	s_waitcnt vmcnt(2)
	v_cmp_eq_f64_e32 vcc, 0, v[62:63]
	v_lshlrev_b64 v[62:63], 2, v[122:123]
	s_waitcnt vmcnt(0)
	v_cmp_eq_f64_e64 s[0:1], 0, v[64:65]
	v_mov_b32_e32 v64, s11
	s_and_b64 s[4:5], vcc, s[0:1]
	v_cmp_neq_f64_e32 vcc, 0, v[66:67]
	v_cmp_neq_f64_e64 s[0:1], 0, v[68:69]
	v_cndmask_b32_e64 v1, 0, 1, s[4:5]
	s_or_b64 s[0:1], vcc, s[0:1]
	s_or_b64 vcc, s[0:1], s[4:5]
	v_cndmask_b32_e32 v1, 2, v1, vcc
	v_cmp_eq_f64_e32 vcc, 0, v[70:71]
	v_cmp_eq_f64_e64 s[0:1], 0, v[72:73]
	s_and_b64 s[0:1], vcc, s[0:1]
	v_cmp_eq_u32_e32 vcc, 0, v1
	s_and_b64 s[0:1], s[0:1], vcc
	v_cndmask_b32_e64 v1, v1, 3, s[0:1]
	v_cmp_eq_f64_e32 vcc, 0, v[74:75]
	v_cmp_eq_f64_e64 s[0:1], 0, v[76:77]
	s_and_b64 s[0:1], vcc, s[0:1]
	v_cmp_eq_u32_e32 vcc, 0, v1
	s_and_b64 s[0:1], s[0:1], vcc
	v_cndmask_b32_e64 v1, v1, 4, s[0:1]
	;; [unrolled: 6-line block ×12, first 2 shown]
	v_cmp_eq_f64_e32 vcc, 0, v[110:111]
	v_cmp_eq_f64_e64 s[0:1], 0, v[112:113]
	s_and_b64 s[0:1], vcc, s[0:1]
	v_cmp_eq_u32_e32 vcc, 0, v1
	s_and_b64 s[0:1], s[0:1], vcc
	v_add_co_u32_e32 v62, vcc, s10, v62
	v_addc_co_u32_e32 v63, vcc, v64, v63, vcc
	global_load_dword v64, v[62:63], off
	v_cndmask_b32_e64 v1, v1, 15, s[0:1]
	v_cmp_ne_u32_e64 s[0:1], 0, v1
	s_waitcnt vmcnt(0)
	v_cmp_eq_u32_e32 vcc, 0, v64
	s_and_b64 s[0:1], vcc, s[0:1]
	s_and_b64 exec, exec, s[0:1]
	s_cbranch_execz .LBB29_137
; %bb.136:
	v_add_u32_e32 v1, s13, v1
	global_store_dword v[62:63], v1, off
.LBB29_137:
	s_or_b64 exec, exec, s[2:3]
	buffer_load_dword v58, off, s[20:23], 0 ; 4-byte Folded Reload
	buffer_load_dword v59, off, s[20:23], 0 offset:4 ; 4-byte Folded Reload
	buffer_load_dword v60, off, s[20:23], 0 offset:8 ; 4-byte Folded Reload
	;; [unrolled: 1-line block ×3, first 2 shown]
	v_cmp_lt_u32_e32 vcc, 14, v0
	v_mul_f64 v[62:63], v[110:111], v[32:33]
	v_mul_f64 v[64:65], v[112:113], v[32:33]
	s_waitcnt vmcnt(0)
	global_store_dwordx4 v[124:125], v[58:61], off
	buffer_load_dword v58, off, s[20:23], 0 offset:120 ; 4-byte Folded Reload
	s_nop 0
	buffer_load_dword v59, off, s[20:23], 0 offset:124 ; 4-byte Folded Reload
	s_waitcnt vmcnt(0)
	global_store_dwordx4 v[58:59], v[54:57], off
	buffer_load_dword v54, off, s[20:23], 0 offset:16 ; 4-byte Folded Reload
	s_nop 0
	buffer_load_dword v55, off, s[20:23], 0 offset:20 ; 4-byte Folded Reload
	;; [unrolled: 5-line block ×3, first 2 shown]
	v_fma_f64 v[50:51], v[112:113], v[30:31], v[62:63]
	s_waitcnt vmcnt(0)
	global_store_dwordx4 v[52:53], v[46:49], off
	buffer_load_dword v48, off, s[20:23], 0 offset:32 ; 4-byte Folded Reload
	s_nop 0
	buffer_load_dword v49, off, s[20:23], 0 offset:36 ; 4-byte Folded Reload
	v_fma_f64 v[46:47], v[110:111], v[30:31], -v[64:65]
	s_waitcnt vmcnt(0)
	global_store_dwordx4 v[48:49], v[42:45], off
	buffer_load_dword v42, off, s[20:23], 0 offset:40 ; 4-byte Folded Reload
	s_nop 0
	buffer_load_dword v43, off, s[20:23], 0 offset:44 ; 4-byte Folded Reload
	s_waitcnt vmcnt(0)
	global_store_dwordx4 v[42:43], v[38:41], off
	buffer_load_dword v38, off, s[20:23], 0 offset:48 ; 4-byte Folded Reload
	s_nop 0
	buffer_load_dword v39, off, s[20:23], 0 offset:52 ; 4-byte Folded Reload
	;; [unrolled: 5-line block ×3, first 2 shown]
	s_waitcnt vmcnt(0)
	global_store_dwordx4 v[34:35], v[26:29], off
	buffer_load_dword v0, off, s[20:23], 0 offset:64 ; 4-byte Folded Reload
	buffer_load_dword v1, off, s[20:23], 0 offset:68 ; 4-byte Folded Reload
	v_cndmask_b32_e32 v29, v33, v51, vcc
	v_cndmask_b32_e32 v28, v32, v50, vcc
	v_cndmask_b32_e32 v27, v31, v47, vcc
	v_cndmask_b32_e32 v26, v30, v46, vcc
	s_waitcnt vmcnt(0)
	global_store_dwordx4 v[0:1], v[22:25], off
	buffer_load_dword v0, off, s[20:23], 0 offset:72 ; 4-byte Folded Reload
	s_nop 0
	buffer_load_dword v1, off, s[20:23], 0 offset:76 ; 4-byte Folded Reload
	s_waitcnt vmcnt(0)
	global_store_dwordx4 v[0:1], v[18:21], off
	buffer_load_dword v0, off, s[20:23], 0 offset:80 ; 4-byte Folded Reload
	s_nop 0
	buffer_load_dword v1, off, s[20:23], 0 offset:84 ; 4-byte Folded Reload
	;; [unrolled: 5-line block ×6, first 2 shown]
	s_waitcnt vmcnt(0)
	global_store_dwordx4 v[0:1], v[26:29], off
.LBB29_138:
	s_endpgm
	.section	.rodata,"a",@progbits
	.p2align	6, 0x0
	.amdhsa_kernel _ZN9rocsolver6v33100L23getf2_npvt_small_kernelILi15E19rocblas_complex_numIdEiiPS3_EEvT1_T3_lS5_lPT2_S5_S5_
		.amdhsa_group_segment_fixed_size 0
		.amdhsa_private_segment_fixed_size 148
		.amdhsa_kernarg_size 312
		.amdhsa_user_sgpr_count 6
		.amdhsa_user_sgpr_private_segment_buffer 1
		.amdhsa_user_sgpr_dispatch_ptr 0
		.amdhsa_user_sgpr_queue_ptr 0
		.amdhsa_user_sgpr_kernarg_segment_ptr 1
		.amdhsa_user_sgpr_dispatch_id 0
		.amdhsa_user_sgpr_flat_scratch_init 0
		.amdhsa_user_sgpr_private_segment_size 0
		.amdhsa_uses_dynamic_stack 0
		.amdhsa_system_sgpr_private_segment_wavefront_offset 1
		.amdhsa_system_sgpr_workgroup_id_x 1
		.amdhsa_system_sgpr_workgroup_id_y 1
		.amdhsa_system_sgpr_workgroup_id_z 0
		.amdhsa_system_sgpr_workgroup_info 0
		.amdhsa_system_vgpr_workitem_id 1
		.amdhsa_next_free_vgpr 128
		.amdhsa_next_free_sgpr 24
		.amdhsa_reserve_vcc 1
		.amdhsa_reserve_flat_scratch 0
		.amdhsa_float_round_mode_32 0
		.amdhsa_float_round_mode_16_64 0
		.amdhsa_float_denorm_mode_32 3
		.amdhsa_float_denorm_mode_16_64 3
		.amdhsa_dx10_clamp 1
		.amdhsa_ieee_mode 1
		.amdhsa_fp16_overflow 0
		.amdhsa_exception_fp_ieee_invalid_op 0
		.amdhsa_exception_fp_denorm_src 0
		.amdhsa_exception_fp_ieee_div_zero 0
		.amdhsa_exception_fp_ieee_overflow 0
		.amdhsa_exception_fp_ieee_underflow 0
		.amdhsa_exception_fp_ieee_inexact 0
		.amdhsa_exception_int_div_zero 0
	.end_amdhsa_kernel
	.section	.text._ZN9rocsolver6v33100L23getf2_npvt_small_kernelILi15E19rocblas_complex_numIdEiiPS3_EEvT1_T3_lS5_lPT2_S5_S5_,"axG",@progbits,_ZN9rocsolver6v33100L23getf2_npvt_small_kernelILi15E19rocblas_complex_numIdEiiPS3_EEvT1_T3_lS5_lPT2_S5_S5_,comdat
.Lfunc_end29:
	.size	_ZN9rocsolver6v33100L23getf2_npvt_small_kernelILi15E19rocblas_complex_numIdEiiPS3_EEvT1_T3_lS5_lPT2_S5_S5_, .Lfunc_end29-_ZN9rocsolver6v33100L23getf2_npvt_small_kernelILi15E19rocblas_complex_numIdEiiPS3_EEvT1_T3_lS5_lPT2_S5_S5_
                                        ; -- End function
	.set _ZN9rocsolver6v33100L23getf2_npvt_small_kernelILi15E19rocblas_complex_numIdEiiPS3_EEvT1_T3_lS5_lPT2_S5_S5_.num_vgpr, 128
	.set _ZN9rocsolver6v33100L23getf2_npvt_small_kernelILi15E19rocblas_complex_numIdEiiPS3_EEvT1_T3_lS5_lPT2_S5_S5_.num_agpr, 0
	.set _ZN9rocsolver6v33100L23getf2_npvt_small_kernelILi15E19rocblas_complex_numIdEiiPS3_EEvT1_T3_lS5_lPT2_S5_S5_.numbered_sgpr, 24
	.set _ZN9rocsolver6v33100L23getf2_npvt_small_kernelILi15E19rocblas_complex_numIdEiiPS3_EEvT1_T3_lS5_lPT2_S5_S5_.num_named_barrier, 0
	.set _ZN9rocsolver6v33100L23getf2_npvt_small_kernelILi15E19rocblas_complex_numIdEiiPS3_EEvT1_T3_lS5_lPT2_S5_S5_.private_seg_size, 148
	.set _ZN9rocsolver6v33100L23getf2_npvt_small_kernelILi15E19rocblas_complex_numIdEiiPS3_EEvT1_T3_lS5_lPT2_S5_S5_.uses_vcc, 1
	.set _ZN9rocsolver6v33100L23getf2_npvt_small_kernelILi15E19rocblas_complex_numIdEiiPS3_EEvT1_T3_lS5_lPT2_S5_S5_.uses_flat_scratch, 0
	.set _ZN9rocsolver6v33100L23getf2_npvt_small_kernelILi15E19rocblas_complex_numIdEiiPS3_EEvT1_T3_lS5_lPT2_S5_S5_.has_dyn_sized_stack, 0
	.set _ZN9rocsolver6v33100L23getf2_npvt_small_kernelILi15E19rocblas_complex_numIdEiiPS3_EEvT1_T3_lS5_lPT2_S5_S5_.has_recursion, 0
	.set _ZN9rocsolver6v33100L23getf2_npvt_small_kernelILi15E19rocblas_complex_numIdEiiPS3_EEvT1_T3_lS5_lPT2_S5_S5_.has_indirect_call, 0
	.section	.AMDGPU.csdata,"",@progbits
; Kernel info:
; codeLenInByte = 18276
; TotalNumSgprs: 28
; NumVgprs: 128
; ScratchSize: 148
; MemoryBound: 1
; FloatMode: 240
; IeeeMode: 1
; LDSByteSize: 0 bytes/workgroup (compile time only)
; SGPRBlocks: 3
; VGPRBlocks: 31
; NumSGPRsForWavesPerEU: 28
; NumVGPRsForWavesPerEU: 128
; Occupancy: 2
; WaveLimiterHint : 0
; COMPUTE_PGM_RSRC2:SCRATCH_EN: 1
; COMPUTE_PGM_RSRC2:USER_SGPR: 6
; COMPUTE_PGM_RSRC2:TRAP_HANDLER: 0
; COMPUTE_PGM_RSRC2:TGID_X_EN: 1
; COMPUTE_PGM_RSRC2:TGID_Y_EN: 1
; COMPUTE_PGM_RSRC2:TGID_Z_EN: 0
; COMPUTE_PGM_RSRC2:TIDIG_COMP_CNT: 1
	.section	.text._ZN9rocsolver6v33100L18getf2_small_kernelILi16E19rocblas_complex_numIdEiiPS3_EEvT1_T3_lS5_lPS5_llPT2_S5_S5_S7_l,"axG",@progbits,_ZN9rocsolver6v33100L18getf2_small_kernelILi16E19rocblas_complex_numIdEiiPS3_EEvT1_T3_lS5_lPS5_llPT2_S5_S5_S7_l,comdat
	.globl	_ZN9rocsolver6v33100L18getf2_small_kernelILi16E19rocblas_complex_numIdEiiPS3_EEvT1_T3_lS5_lPS5_llPT2_S5_S5_S7_l ; -- Begin function _ZN9rocsolver6v33100L18getf2_small_kernelILi16E19rocblas_complex_numIdEiiPS3_EEvT1_T3_lS5_lPS5_llPT2_S5_S5_S7_l
	.p2align	8
	.type	_ZN9rocsolver6v33100L18getf2_small_kernelILi16E19rocblas_complex_numIdEiiPS3_EEvT1_T3_lS5_lPS5_llPT2_S5_S5_S7_l,@function
_ZN9rocsolver6v33100L18getf2_small_kernelILi16E19rocblas_complex_numIdEiiPS3_EEvT1_T3_lS5_lPS5_llPT2_S5_S5_S7_l: ; @_ZN9rocsolver6v33100L18getf2_small_kernelILi16E19rocblas_complex_numIdEiiPS3_EEvT1_T3_lS5_lPS5_llPT2_S5_S5_S7_l
; %bb.0:
	s_load_dword s0, s[4:5], 0x6c
	s_load_dwordx2 s[16:17], s[4:5], 0x48
	s_waitcnt lgkmcnt(0)
	s_lshr_b32 s0, s0, 16
	s_mul_i32 s7, s7, s0
	v_add_u32_e32 v70, s7, v1
	v_cmp_gt_i32_e32 vcc, s16, v70
	s_and_saveexec_b64 s[0:1], vcc
	s_cbranch_execz .LBB30_337
; %bb.1:
	s_load_dwordx4 s[0:3], s[4:5], 0x50
	v_mov_b32_e32 v72, 0
	v_ashrrev_i32_e32 v71, 31, v70
	v_mov_b32_e32 v73, 0
	s_waitcnt lgkmcnt(0)
	s_cmp_eq_u64 s[0:1], 0
	s_cselect_b64 s[18:19], -1, 0
	s_and_b64 vcc, exec, s[18:19]
	s_cbranch_vccnz .LBB30_3
; %bb.2:
	v_mul_lo_u32 v4, s3, v70
	v_mul_lo_u32 v5, s2, v71
	v_mad_u64_u32 v[2:3], s[2:3], s2, v70, 0
	v_add3_u32 v3, v3, v5, v4
	v_lshlrev_b64 v[2:3], 2, v[2:3]
	v_mov_b32_e32 v4, s1
	v_add_co_u32_e32 v72, vcc, s0, v2
	v_addc_co_u32_e32 v73, vcc, v4, v3, vcc
.LBB30_3:
	s_load_dwordx8 s[8:15], s[4:5], 0x20
	s_load_dwordx4 s[0:3], s[4:5], 0x8
	v_lshlrev_b32_e32 v76, 4, v0
	s_load_dwordx2 s[20:21], s[4:5], 0x40
	s_waitcnt lgkmcnt(0)
	v_mul_lo_u32 v4, s9, v70
	v_mul_lo_u32 v5, s8, v71
	v_mad_u64_u32 v[2:3], s[6:7], s8, v70, 0
	s_load_dword s6, s[4:5], 0x18
	s_load_dword s22, s[4:5], 0x0
	v_mov_b32_e32 v6, s1
	v_add3_u32 v3, v3, v5, v4
	v_lshlrev_b64 v[2:3], 4, v[2:3]
	s_waitcnt lgkmcnt(0)
	s_add_i32 s16, s6, s6
	v_add_co_u32_e32 v2, vcc, s0, v2
	v_addc_co_u32_e32 v3, vcc, v6, v3, vcc
	s_lshl_b64 s[0:1], s[2:3], 4
	v_mov_b32_e32 v4, s1
	v_add_co_u32_e32 v77, vcc, s0, v2
	v_add_u32_e32 v2, s16, v0
	v_addc_co_u32_e32 v78, vcc, v3, v4, vcc
	v_ashrrev_i32_e32 v3, 31, v2
	v_lshlrev_b64 v[3:4], 4, v[2:3]
	v_add_u32_e32 v5, s6, v2
	v_ashrrev_i32_e32 v6, 31, v5
	v_add_co_u32_e32 v3, vcc, v77, v3
	v_lshlrev_b64 v[6:7], 4, v[5:6]
	v_add_u32_e32 v8, s6, v5
	v_addc_co_u32_e32 v4, vcc, v78, v4, vcc
	v_ashrrev_i32_e32 v9, 31, v8
	v_add_co_u32_e32 v6, vcc, v77, v6
	v_lshlrev_b64 v[9:10], 4, v[8:9]
	v_add_u32_e32 v11, s6, v8
	v_addc_co_u32_e32 v7, vcc, v78, v7, vcc
	;; [unrolled: 5-line block ×7, first 2 shown]
	v_ashrrev_i32_e32 v27, 31, v26
	v_add_co_u32_e32 v24, vcc, v77, v24
	v_lshlrev_b64 v[27:28], 4, v[26:27]
	v_addc_co_u32_e32 v25, vcc, v78, v25, vcc
	v_add_u32_e32 v26, s6, v26
	v_add_co_u32_e32 v62, vcc, v77, v27
	v_ashrrev_i32_e32 v27, 31, v26
	v_addc_co_u32_e32 v63, vcc, v78, v28, vcc
	v_lshlrev_b64 v[27:28], 4, v[26:27]
	v_add_u32_e32 v26, s6, v26
	v_add_co_u32_e32 v64, vcc, v77, v27
	v_ashrrev_i32_e32 v27, 31, v26
	v_addc_co_u32_e32 v65, vcc, v78, v28, vcc
	v_lshlrev_b64 v[27:28], 4, v[26:27]
	;; [unrolled: 5-line block ×4, first 2 shown]
	v_add_u32_e32 v26, s6, v26
	v_add_co_u32_e32 v74, vcc, v77, v27
	v_ashrrev_i32_e32 v27, 31, v26
	v_lshlrev_b64 v[26:27], 4, v[26:27]
	v_addc_co_u32_e32 v75, vcc, v78, v28, vcc
	v_add_co_u32_e32 v79, vcc, v77, v26
	v_addc_co_u32_e32 v80, vcc, v78, v27, vcc
	v_add_co_u32_e32 v26, vcc, v77, v76
	s_ashr_i32 s7, s6, 31
	v_addc_co_u32_e32 v27, vcc, 0, v78, vcc
	s_lshl_b64 s[8:9], s[6:7], 4
	v_mov_b32_e32 v2, s9
	v_add_co_u32_e32 v28, vcc, s8, v26
	v_addc_co_u32_e32 v29, vcc, v27, v2, vcc
	global_load_dwordx4 v[58:61], v[26:27], off
	global_load_dwordx4 v[54:57], v[28:29], off
	;; [unrolled: 1-line block ×5, first 2 shown]
                                        ; kill: killed $vgpr6 killed $vgpr7
                                        ; kill: killed $vgpr26 killed $vgpr27
                                        ; kill: killed $vgpr3 killed $vgpr4
                                        ; kill: killed $vgpr28 killed $vgpr29
                                        ; kill: killed $vgpr9 killed $vgpr10
	global_load_dwordx4 v[38:41], v[12:13], off
	global_load_dwordx4 v[34:37], v[15:16], off
	;; [unrolled: 1-line block ×3, first 2 shown]
                                        ; kill: killed $vgpr15 killed $vgpr16
                                        ; kill: killed $vgpr12 killed $vgpr13
                                        ; kill: killed $vgpr18 killed $vgpr19
	global_load_dwordx4 v[26:29], v[21:22], off
	s_nop 0
	global_load_dwordx4 v[22:25], v[24:25], off
	s_nop 0
	global_load_dwordx4 v[18:21], v[62:63], off
	global_load_dwordx4 v[14:17], v[64:65], off
	;; [unrolled: 1-line block ×5, first 2 shown]
	s_nop 0
	global_load_dwordx4 v[62:65], v[79:80], off
	s_max_i32 s0, s22, 16
	v_mul_lo_u32 v74, s0, v1
	s_cmp_lt_i32 s22, 2
	v_lshl_add_u32 v1, v74, 4, 0
	v_add_u32_e32 v66, v1, v76
	v_lshlrev_b32_e32 v80, 4, v74
	v_mov_b32_e32 v74, 0
	s_waitcnt vmcnt(15)
	ds_write2_b64 v66, v[58:59], v[60:61] offset1:1
	s_waitcnt vmcnt(0) lgkmcnt(0)
	s_barrier
	ds_read2_b64 v[66:69], v1 offset1:1
	s_cbranch_scc1 .LBB30_6
; %bb.4:
	v_add3_u32 v75, v80, 0, 16
	s_mov_b32 s7, 1
	v_mov_b32_e32 v74, 0
.LBB30_5:                               ; =>This Inner Loop Header: Depth=1
	ds_read2_b64 v[81:84], v75 offset1:1
	s_waitcnt lgkmcnt(1)
	v_cmp_gt_f64_e32 vcc, 0, v[68:69]
	v_cmp_gt_f64_e64 s[0:1], 0, v[66:67]
	v_xor_b32_e32 v76, 0x80000000, v67
	v_xor_b32_e32 v79, 0x80000000, v69
	s_waitcnt lgkmcnt(0)
	v_cmp_gt_f64_e64 s[2:3], 0, v[81:82]
	v_cmp_gt_f64_e64 s[4:5], 0, v[83:84]
	v_xor_b32_e32 v90, 0x80000000, v82
	v_xor_b32_e32 v92, 0x80000000, v84
	v_mov_b32_e32 v85, v66
	v_mov_b32_e32 v87, v68
	;; [unrolled: 1-line block ×4, first 2 shown]
	v_cndmask_b32_e64 v86, v67, v76, s[0:1]
	v_cndmask_b32_e32 v88, v69, v79, vcc
	v_cndmask_b32_e64 v90, v82, v90, s[2:3]
	v_cndmask_b32_e64 v92, v84, v92, s[4:5]
	v_add_f64 v[85:86], v[85:86], v[87:88]
	v_add_f64 v[87:88], v[89:90], v[91:92]
	v_mov_b32_e32 v76, s7
	s_add_i32 s7, s7, 1
	v_add_u32_e32 v75, 16, v75
	s_cmp_eq_u32 s22, s7
	v_cmp_lt_f64_e32 vcc, v[85:86], v[87:88]
	v_cndmask_b32_e32 v67, v67, v82, vcc
	v_cndmask_b32_e32 v66, v66, v81, vcc
	;; [unrolled: 1-line block ×5, first 2 shown]
	s_cbranch_scc0 .LBB30_5
.LBB30_6:
	s_waitcnt lgkmcnt(0)
	v_cmp_neq_f64_e32 vcc, 0, v[66:67]
	v_cmp_neq_f64_e64 s[0:1], 0, v[68:69]
	v_mov_b32_e32 v79, 1
	v_mov_b32_e32 v81, 1
	s_or_b64 s[2:3], vcc, s[0:1]
	s_and_saveexec_b64 s[0:1], s[2:3]
	s_cbranch_execz .LBB30_12
; %bb.7:
	v_cmp_ngt_f64_e64 s[2:3], |v[66:67]|, |v[68:69]|
	s_and_saveexec_b64 s[4:5], s[2:3]
	s_xor_b64 s[2:3], exec, s[4:5]
	s_cbranch_execz .LBB30_9
; %bb.8:
	v_div_scale_f64 v[75:76], s[4:5], v[68:69], v[68:69], v[66:67]
	v_rcp_f64_e32 v[81:82], v[75:76]
	v_fma_f64 v[83:84], -v[75:76], v[81:82], 1.0
	v_fma_f64 v[81:82], v[81:82], v[83:84], v[81:82]
	v_div_scale_f64 v[83:84], vcc, v[66:67], v[68:69], v[66:67]
	v_fma_f64 v[85:86], -v[75:76], v[81:82], 1.0
	v_fma_f64 v[81:82], v[81:82], v[85:86], v[81:82]
	v_mul_f64 v[85:86], v[83:84], v[81:82]
	v_fma_f64 v[75:76], -v[75:76], v[85:86], v[83:84]
	v_div_fmas_f64 v[75:76], v[75:76], v[81:82], v[85:86]
	v_div_fixup_f64 v[75:76], v[75:76], v[68:69], v[66:67]
	v_fma_f64 v[66:67], v[66:67], v[75:76], v[68:69]
	v_div_scale_f64 v[68:69], s[4:5], v[66:67], v[66:67], 1.0
	v_div_scale_f64 v[85:86], vcc, 1.0, v[66:67], 1.0
	v_rcp_f64_e32 v[81:82], v[68:69]
	v_fma_f64 v[83:84], -v[68:69], v[81:82], 1.0
	v_fma_f64 v[81:82], v[81:82], v[83:84], v[81:82]
	v_fma_f64 v[83:84], -v[68:69], v[81:82], 1.0
	v_fma_f64 v[81:82], v[81:82], v[83:84], v[81:82]
	v_mul_f64 v[83:84], v[85:86], v[81:82]
	v_fma_f64 v[68:69], -v[68:69], v[83:84], v[85:86]
	v_div_fmas_f64 v[68:69], v[68:69], v[81:82], v[83:84]
	v_div_fixup_f64 v[68:69], v[68:69], v[66:67], 1.0
	v_mul_f64 v[66:67], v[75:76], v[68:69]
	v_xor_b32_e32 v69, 0x80000000, v69
.LBB30_9:
	s_andn2_saveexec_b64 s[2:3], s[2:3]
	s_cbranch_execz .LBB30_11
; %bb.10:
	v_div_scale_f64 v[75:76], s[4:5], v[66:67], v[66:67], v[68:69]
	v_rcp_f64_e32 v[81:82], v[75:76]
	v_fma_f64 v[83:84], -v[75:76], v[81:82], 1.0
	v_fma_f64 v[81:82], v[81:82], v[83:84], v[81:82]
	v_div_scale_f64 v[83:84], vcc, v[68:69], v[66:67], v[68:69]
	v_fma_f64 v[85:86], -v[75:76], v[81:82], 1.0
	v_fma_f64 v[81:82], v[81:82], v[85:86], v[81:82]
	v_mul_f64 v[85:86], v[83:84], v[81:82]
	v_fma_f64 v[75:76], -v[75:76], v[85:86], v[83:84]
	v_div_fmas_f64 v[75:76], v[75:76], v[81:82], v[85:86]
	v_div_fixup_f64 v[75:76], v[75:76], v[66:67], v[68:69]
	v_fma_f64 v[66:67], v[68:69], v[75:76], v[66:67]
	v_div_scale_f64 v[68:69], s[4:5], v[66:67], v[66:67], 1.0
	v_div_scale_f64 v[85:86], vcc, 1.0, v[66:67], 1.0
	v_rcp_f64_e32 v[81:82], v[68:69]
	v_fma_f64 v[83:84], -v[68:69], v[81:82], 1.0
	v_fma_f64 v[81:82], v[81:82], v[83:84], v[81:82]
	v_fma_f64 v[83:84], -v[68:69], v[81:82], 1.0
	v_fma_f64 v[81:82], v[81:82], v[83:84], v[81:82]
	v_mul_f64 v[83:84], v[85:86], v[81:82]
	v_fma_f64 v[68:69], -v[68:69], v[83:84], v[85:86]
	v_div_fmas_f64 v[68:69], v[68:69], v[81:82], v[83:84]
	v_div_fixup_f64 v[66:67], v[68:69], v[66:67], 1.0
	v_mul_f64 v[68:69], v[75:76], -v[66:67]
.LBB30_11:
	s_or_b64 exec, exec, s[2:3]
	v_mov_b32_e32 v81, 0
	v_mov_b32_e32 v79, 2
.LBB30_12:
	s_or_b64 exec, exec, s[0:1]
	v_cmp_ne_u32_e32 vcc, v0, v74
	s_and_saveexec_b64 s[0:1], vcc
	s_xor_b64 s[0:1], exec, s[0:1]
	s_cbranch_execz .LBB30_18
; %bb.13:
	v_cmp_eq_u32_e32 vcc, 0, v0
	s_and_saveexec_b64 s[2:3], vcc
	s_cbranch_execz .LBB30_17
; %bb.14:
	v_cmp_ne_u32_e32 vcc, 0, v74
	s_xor_b64 s[4:5], s[18:19], -1
	s_and_b64 s[24:25], s[4:5], vcc
	s_and_saveexec_b64 s[4:5], s[24:25]
	s_cbranch_execz .LBB30_16
; %bb.15:
	v_ashrrev_i32_e32 v75, 31, v74
	v_lshlrev_b64 v[75:76], 2, v[74:75]
	v_add_co_u32_e32 v75, vcc, v72, v75
	v_addc_co_u32_e32 v76, vcc, v73, v76, vcc
	global_load_dword v0, v[75:76], off
	global_load_dword v82, v[72:73], off
	s_waitcnt vmcnt(1)
	global_store_dword v[72:73], v0, off
	s_waitcnt vmcnt(1)
	global_store_dword v[75:76], v82, off
.LBB30_16:
	s_or_b64 exec, exec, s[4:5]
	v_mov_b32_e32 v0, v74
.LBB30_17:
	s_or_b64 exec, exec, s[2:3]
.LBB30_18:
	s_or_saveexec_b64 s[0:1], s[0:1]
	v_mov_b32_e32 v76, v0
	s_xor_b64 exec, exec, s[0:1]
	s_cbranch_execz .LBB30_20
; %bb.19:
	v_mov_b32_e32 v76, 0
	ds_write2_b64 v1, v[54:55], v[56:57] offset0:2 offset1:3
	ds_write2_b64 v1, v[50:51], v[52:53] offset0:4 offset1:5
	;; [unrolled: 1-line block ×15, first 2 shown]
.LBB30_20:
	s_or_b64 exec, exec, s[0:1]
	v_cmp_lt_i32_e32 vcc, 0, v76
	s_waitcnt vmcnt(0) lgkmcnt(0)
	s_barrier
	s_and_saveexec_b64 s[0:1], vcc
	s_cbranch_execz .LBB30_22
; %bb.21:
	v_mul_f64 v[74:75], v[66:67], v[60:61]
	v_mul_f64 v[110:111], v[68:69], v[60:61]
	ds_read2_b64 v[82:85], v1 offset0:2 offset1:3
	ds_read2_b64 v[86:89], v1 offset0:4 offset1:5
	ds_read2_b64 v[90:93], v1 offset0:6 offset1:7
	ds_read2_b64 v[94:97], v1 offset0:8 offset1:9
	ds_read2_b64 v[98:101], v1 offset0:10 offset1:11
	ds_read2_b64 v[102:105], v1 offset0:12 offset1:13
	ds_read2_b64 v[106:109], v1 offset0:14 offset1:15
	v_fma_f64 v[60:61], v[68:69], v[58:59], v[74:75]
	v_fma_f64 v[58:59], v[66:67], v[58:59], -v[110:111]
	s_waitcnt lgkmcnt(6)
	v_mul_f64 v[66:67], v[84:85], v[60:61]
	v_mul_f64 v[68:69], v[82:83], v[60:61]
	s_waitcnt lgkmcnt(5)
	v_mul_f64 v[74:75], v[88:89], v[60:61]
	v_mul_f64 v[110:111], v[86:87], v[60:61]
	;; [unrolled: 3-line block ×4, first 2 shown]
	v_fma_f64 v[66:67], v[82:83], v[58:59], -v[66:67]
	v_fma_f64 v[68:69], v[84:85], v[58:59], v[68:69]
	v_fma_f64 v[74:75], v[86:87], v[58:59], -v[74:75]
	v_fma_f64 v[82:83], v[88:89], v[58:59], v[110:111]
	;; [unrolled: 2-line block ×3, first 2 shown]
	s_waitcnt lgkmcnt(2)
	v_mul_f64 v[88:89], v[100:101], v[60:61]
	v_mul_f64 v[90:91], v[98:99], v[60:61]
	s_waitcnt lgkmcnt(0)
	v_mul_f64 v[92:93], v[106:107], v[60:61]
	v_add_f64 v[54:55], v[54:55], -v[66:67]
	v_add_f64 v[50:51], v[50:51], -v[74:75]
	v_add_f64 v[52:53], v[52:53], -v[82:83]
	v_add_f64 v[46:47], v[46:47], -v[84:85]
	v_add_f64 v[48:49], v[48:49], -v[86:87]
	v_mul_f64 v[82:83], v[102:103], v[60:61]
	v_mul_f64 v[84:85], v[108:109], v[60:61]
	v_fma_f64 v[86:87], v[94:95], v[58:59], -v[116:117]
	v_mul_f64 v[74:75], v[104:105], v[60:61]
	v_fma_f64 v[88:89], v[98:99], v[58:59], -v[88:89]
	v_fma_f64 v[90:91], v[100:101], v[58:59], v[90:91]
	v_add_f64 v[56:57], v[56:57], -v[68:69]
	ds_read2_b64 v[66:69], v1 offset0:16 offset1:17
	v_fma_f64 v[82:83], v[104:105], v[58:59], v[82:83]
	v_fma_f64 v[84:85], v[106:107], v[58:59], -v[84:85]
	v_add_f64 v[42:43], v[42:43], -v[86:87]
	v_fma_f64 v[86:87], v[108:109], v[58:59], v[92:93]
	v_fma_f64 v[74:75], v[102:103], v[58:59], -v[74:75]
	v_add_f64 v[38:39], v[38:39], -v[88:89]
	v_add_f64 v[40:41], v[40:41], -v[90:91]
	ds_read2_b64 v[90:93], v1 offset0:22 offset1:23
	v_add_f64 v[36:37], v[36:37], -v[82:83]
	v_add_f64 v[30:31], v[30:31], -v[84:85]
	ds_read2_b64 v[82:85], v1 offset0:18 offset1:19
	v_add_f64 v[32:33], v[32:33], -v[86:87]
	ds_read2_b64 v[86:89], v1 offset0:20 offset1:21
	v_add_f64 v[34:35], v[34:35], -v[74:75]
	s_waitcnt lgkmcnt(3)
	v_mul_f64 v[74:75], v[68:69], v[60:61]
	v_mul_f64 v[98:99], v[66:67], v[60:61]
	s_waitcnt lgkmcnt(1)
	v_mul_f64 v[100:101], v[84:85], v[60:61]
	v_mul_f64 v[102:103], v[82:83], v[60:61]
	;; [unrolled: 3-line block ×3, first 2 shown]
	v_mul_f64 v[108:109], v[92:93], v[60:61]
	v_mul_f64 v[110:111], v[90:91], v[60:61]
	v_fma_f64 v[94:95], v[96:97], v[58:59], v[118:119]
	v_fma_f64 v[66:67], v[66:67], v[58:59], -v[74:75]
	v_fma_f64 v[68:69], v[68:69], v[58:59], v[98:99]
	v_fma_f64 v[74:75], v[82:83], v[58:59], -v[100:101]
	;; [unrolled: 2-line block ×4, first 2 shown]
	v_fma_f64 v[90:91], v[92:93], v[58:59], v[110:111]
	v_add_f64 v[44:45], v[44:45], -v[94:95]
	ds_read2_b64 v[94:97], v1 offset0:24 offset1:25
	v_add_f64 v[26:27], v[26:27], -v[66:67]
	v_add_f64 v[28:29], v[28:29], -v[68:69]
	;; [unrolled: 1-line block ×6, first 2 shown]
	ds_read2_b64 v[66:69], v1 offset0:26 offset1:27
	ds_read2_b64 v[82:85], v1 offset0:28 offset1:29
	;; [unrolled: 1-line block ×3, first 2 shown]
	v_add_f64 v[22:23], v[22:23], -v[74:75]
	v_add_f64 v[16:17], v[16:17], -v[90:91]
	s_waitcnt lgkmcnt(3)
	v_mul_f64 v[74:75], v[96:97], v[60:61]
	v_mul_f64 v[90:91], v[94:95], v[60:61]
	s_waitcnt lgkmcnt(2)
	v_mul_f64 v[92:93], v[68:69], v[60:61]
	v_mul_f64 v[98:99], v[66:67], v[60:61]
	;; [unrolled: 3-line block ×4, first 2 shown]
	v_fma_f64 v[74:75], v[94:95], v[58:59], -v[74:75]
	v_fma_f64 v[90:91], v[96:97], v[58:59], v[90:91]
	v_fma_f64 v[66:67], v[66:67], v[58:59], -v[92:93]
	v_fma_f64 v[68:69], v[68:69], v[58:59], v[98:99]
	;; [unrolled: 2-line block ×4, first 2 shown]
	v_add_f64 v[10:11], v[10:11], -v[74:75]
	v_add_f64 v[12:13], v[12:13], -v[90:91]
	v_add_f64 v[6:7], v[6:7], -v[66:67]
	v_add_f64 v[8:9], v[8:9], -v[68:69]
	v_add_f64 v[2:3], v[2:3], -v[82:83]
	v_add_f64 v[4:5], v[4:5], -v[84:85]
	v_add_f64 v[62:63], v[62:63], -v[86:87]
	v_add_f64 v[64:65], v[64:65], -v[88:89]
.LBB30_22:
	s_or_b64 exec, exec, s[0:1]
	v_lshl_add_u32 v66, v76, 4, v1
	s_barrier
	ds_write2_b64 v66, v[54:55], v[56:57] offset1:1
	s_waitcnt lgkmcnt(0)
	s_barrier
	ds_read2_b64 v[66:69], v1 offset0:2 offset1:3
	s_cmp_lt_i32 s22, 3
	v_mov_b32_e32 v74, 1
	s_cbranch_scc1 .LBB30_25
; %bb.23:
	v_add3_u32 v75, v80, 0, 32
	s_mov_b32 s2, 2
	v_mov_b32_e32 v74, 1
.LBB30_24:                              ; =>This Inner Loop Header: Depth=1
	s_waitcnt lgkmcnt(0)
	v_cmp_gt_f64_e32 vcc, 0, v[68:69]
	v_cmp_gt_f64_e64 s[0:1], 0, v[66:67]
	ds_read2_b64 v[82:85], v75 offset1:1
	v_xor_b32_e32 v87, 0x80000000, v67
	v_xor_b32_e32 v89, 0x80000000, v69
	v_mov_b32_e32 v86, v66
	v_mov_b32_e32 v88, v68
	s_waitcnt lgkmcnt(0)
	v_xor_b32_e32 v91, 0x80000000, v85
	v_cndmask_b32_e32 v89, v69, v89, vcc
	v_cndmask_b32_e64 v87, v67, v87, s[0:1]
	v_cmp_gt_f64_e32 vcc, 0, v[84:85]
	v_cmp_gt_f64_e64 s[0:1], 0, v[82:83]
	v_add_f64 v[86:87], v[86:87], v[88:89]
	v_xor_b32_e32 v89, 0x80000000, v83
	v_mov_b32_e32 v88, v82
	v_mov_b32_e32 v90, v84
	v_add_u32_e32 v75, 16, v75
	v_cndmask_b32_e32 v91, v85, v91, vcc
	v_cndmask_b32_e64 v89, v83, v89, s[0:1]
	v_add_f64 v[88:89], v[88:89], v[90:91]
	v_mov_b32_e32 v90, s2
	s_add_i32 s2, s2, 1
	s_cmp_lg_u32 s22, s2
	v_cmp_lt_f64_e32 vcc, v[86:87], v[88:89]
	v_cndmask_b32_e32 v67, v67, v83, vcc
	v_cndmask_b32_e32 v66, v66, v82, vcc
	v_cndmask_b32_e32 v69, v69, v85, vcc
	v_cndmask_b32_e32 v68, v68, v84, vcc
	v_cndmask_b32_e32 v74, v74, v90, vcc
	s_cbranch_scc1 .LBB30_24
.LBB30_25:
	s_waitcnt lgkmcnt(0)
	v_cmp_neq_f64_e32 vcc, 0, v[66:67]
	v_cmp_neq_f64_e64 s[0:1], 0, v[68:69]
	s_or_b64 s[2:3], vcc, s[0:1]
	s_and_saveexec_b64 s[0:1], s[2:3]
	s_cbranch_execz .LBB30_31
; %bb.26:
	v_cmp_ngt_f64_e64 s[2:3], |v[66:67]|, |v[68:69]|
	s_and_saveexec_b64 s[4:5], s[2:3]
	s_xor_b64 s[2:3], exec, s[4:5]
	s_cbranch_execz .LBB30_28
; %bb.27:
	v_div_scale_f64 v[82:83], s[4:5], v[68:69], v[68:69], v[66:67]
	v_rcp_f64_e32 v[84:85], v[82:83]
	v_fma_f64 v[86:87], -v[82:83], v[84:85], 1.0
	v_fma_f64 v[84:85], v[84:85], v[86:87], v[84:85]
	v_div_scale_f64 v[86:87], vcc, v[66:67], v[68:69], v[66:67]
	v_fma_f64 v[88:89], -v[82:83], v[84:85], 1.0
	v_fma_f64 v[84:85], v[84:85], v[88:89], v[84:85]
	v_mul_f64 v[88:89], v[86:87], v[84:85]
	v_fma_f64 v[82:83], -v[82:83], v[88:89], v[86:87]
	v_div_fmas_f64 v[82:83], v[82:83], v[84:85], v[88:89]
	v_div_fixup_f64 v[82:83], v[82:83], v[68:69], v[66:67]
	v_fma_f64 v[66:67], v[66:67], v[82:83], v[68:69]
	v_div_scale_f64 v[68:69], s[4:5], v[66:67], v[66:67], 1.0
	v_div_scale_f64 v[88:89], vcc, 1.0, v[66:67], 1.0
	v_rcp_f64_e32 v[84:85], v[68:69]
	v_fma_f64 v[86:87], -v[68:69], v[84:85], 1.0
	v_fma_f64 v[84:85], v[84:85], v[86:87], v[84:85]
	v_fma_f64 v[86:87], -v[68:69], v[84:85], 1.0
	v_fma_f64 v[84:85], v[84:85], v[86:87], v[84:85]
	v_mul_f64 v[86:87], v[88:89], v[84:85]
	v_fma_f64 v[68:69], -v[68:69], v[86:87], v[88:89]
	v_div_fmas_f64 v[68:69], v[68:69], v[84:85], v[86:87]
	v_div_fixup_f64 v[68:69], v[68:69], v[66:67], 1.0
	v_mul_f64 v[66:67], v[82:83], v[68:69]
	v_xor_b32_e32 v69, 0x80000000, v69
.LBB30_28:
	s_andn2_saveexec_b64 s[2:3], s[2:3]
	s_cbranch_execz .LBB30_30
; %bb.29:
	v_div_scale_f64 v[82:83], s[4:5], v[66:67], v[66:67], v[68:69]
	v_rcp_f64_e32 v[84:85], v[82:83]
	v_fma_f64 v[86:87], -v[82:83], v[84:85], 1.0
	v_fma_f64 v[84:85], v[84:85], v[86:87], v[84:85]
	v_div_scale_f64 v[86:87], vcc, v[68:69], v[66:67], v[68:69]
	v_fma_f64 v[88:89], -v[82:83], v[84:85], 1.0
	v_fma_f64 v[84:85], v[84:85], v[88:89], v[84:85]
	v_mul_f64 v[88:89], v[86:87], v[84:85]
	v_fma_f64 v[82:83], -v[82:83], v[88:89], v[86:87]
	v_div_fmas_f64 v[82:83], v[82:83], v[84:85], v[88:89]
	v_div_fixup_f64 v[82:83], v[82:83], v[66:67], v[68:69]
	v_fma_f64 v[66:67], v[68:69], v[82:83], v[66:67]
	v_div_scale_f64 v[68:69], s[4:5], v[66:67], v[66:67], 1.0
	v_div_scale_f64 v[88:89], vcc, 1.0, v[66:67], 1.0
	v_rcp_f64_e32 v[84:85], v[68:69]
	v_fma_f64 v[86:87], -v[68:69], v[84:85], 1.0
	v_fma_f64 v[84:85], v[84:85], v[86:87], v[84:85]
	v_fma_f64 v[86:87], -v[68:69], v[84:85], 1.0
	v_fma_f64 v[84:85], v[84:85], v[86:87], v[84:85]
	v_mul_f64 v[86:87], v[88:89], v[84:85]
	v_fma_f64 v[68:69], -v[68:69], v[86:87], v[88:89]
	v_div_fmas_f64 v[68:69], v[68:69], v[84:85], v[86:87]
	v_div_fixup_f64 v[66:67], v[68:69], v[66:67], 1.0
	v_mul_f64 v[68:69], v[82:83], -v[66:67]
.LBB30_30:
	s_or_b64 exec, exec, s[2:3]
	v_mov_b32_e32 v79, v81
.LBB30_31:
	s_or_b64 exec, exec, s[0:1]
	v_cmp_ne_u32_e32 vcc, v76, v74
	s_and_saveexec_b64 s[0:1], vcc
	s_xor_b64 s[0:1], exec, s[0:1]
	s_cbranch_execz .LBB30_37
; %bb.32:
	v_cmp_eq_u32_e32 vcc, 1, v76
	s_and_saveexec_b64 s[2:3], vcc
	s_cbranch_execz .LBB30_36
; %bb.33:
	v_cmp_ne_u32_e32 vcc, 1, v74
	s_xor_b64 s[4:5], s[18:19], -1
	s_and_b64 s[24:25], s[4:5], vcc
	s_and_saveexec_b64 s[4:5], s[24:25]
	s_cbranch_execz .LBB30_35
; %bb.34:
	v_ashrrev_i32_e32 v75, 31, v74
	v_lshlrev_b64 v[75:76], 2, v[74:75]
	v_add_co_u32_e32 v75, vcc, v72, v75
	v_addc_co_u32_e32 v76, vcc, v73, v76, vcc
	global_load_dword v0, v[75:76], off
	global_load_dword v81, v[72:73], off offset:4
	s_waitcnt vmcnt(1)
	global_store_dword v[72:73], v0, off offset:4
	s_waitcnt vmcnt(1)
	global_store_dword v[75:76], v81, off
.LBB30_35:
	s_or_b64 exec, exec, s[4:5]
	v_mov_b32_e32 v76, v74
	v_mov_b32_e32 v0, v74
.LBB30_36:
	s_or_b64 exec, exec, s[2:3]
.LBB30_37:
	s_andn2_saveexec_b64 s[0:1], s[0:1]
	s_cbranch_execz .LBB30_39
; %bb.38:
	v_mov_b32_e32 v76, 1
	ds_write2_b64 v1, v[50:51], v[52:53] offset0:4 offset1:5
	ds_write2_b64 v1, v[46:47], v[48:49] offset0:6 offset1:7
	;; [unrolled: 1-line block ×14, first 2 shown]
.LBB30_39:
	s_or_b64 exec, exec, s[0:1]
	v_cmp_lt_i32_e32 vcc, 1, v76
	s_waitcnt vmcnt(0) lgkmcnt(0)
	s_barrier
	s_and_saveexec_b64 s[0:1], vcc
	s_cbranch_execz .LBB30_41
; %bb.40:
	v_mul_f64 v[74:75], v[66:67], v[56:57]
	v_mul_f64 v[105:106], v[68:69], v[56:57]
	ds_read2_b64 v[81:84], v1 offset0:4 offset1:5
	ds_read2_b64 v[85:88], v1 offset0:6 offset1:7
	;; [unrolled: 1-line block ×6, first 2 shown]
	v_fma_f64 v[56:57], v[68:69], v[54:55], v[74:75]
	v_fma_f64 v[54:55], v[66:67], v[54:55], -v[105:106]
	s_waitcnt lgkmcnt(5)
	v_mul_f64 v[66:67], v[83:84], v[56:57]
	s_waitcnt lgkmcnt(4)
	v_mul_f64 v[74:75], v[87:88], v[56:57]
	v_mul_f64 v[105:106], v[85:86], v[56:57]
	;; [unrolled: 1-line block ×3, first 2 shown]
	s_waitcnt lgkmcnt(3)
	v_mul_f64 v[107:108], v[91:92], v[56:57]
	v_mul_f64 v[109:110], v[89:90], v[56:57]
	s_waitcnt lgkmcnt(2)
	v_mul_f64 v[113:114], v[93:94], v[56:57]
	s_waitcnt lgkmcnt(1)
	v_mul_f64 v[115:116], v[99:100], v[56:57]
	v_fma_f64 v[66:67], v[81:82], v[54:55], -v[66:67]
	v_mul_f64 v[117:118], v[97:98], v[56:57]
	v_fma_f64 v[74:75], v[85:86], v[54:55], -v[74:75]
	v_fma_f64 v[81:82], v[87:88], v[54:55], v[105:106]
	v_mul_f64 v[111:112], v[95:96], v[56:57]
	s_waitcnt lgkmcnt(0)
	v_mul_f64 v[119:120], v[103:104], v[56:57]
	v_fma_f64 v[68:69], v[83:84], v[54:55], v[68:69]
	v_mul_f64 v[83:84], v[101:102], v[56:57]
	v_fma_f64 v[85:86], v[89:90], v[54:55], -v[107:108]
	v_fma_f64 v[87:88], v[91:92], v[54:55], v[109:110]
	v_add_f64 v[50:51], v[50:51], -v[66:67]
	v_fma_f64 v[66:67], v[95:96], v[54:55], v[113:114]
	v_add_f64 v[46:47], v[46:47], -v[74:75]
	v_add_f64 v[48:49], v[48:49], -v[81:82]
	v_fma_f64 v[74:75], v[97:98], v[54:55], -v[115:116]
	v_fma_f64 v[81:82], v[99:100], v[54:55], v[117:118]
	v_fma_f64 v[89:90], v[93:94], v[54:55], -v[111:112]
	v_add_f64 v[52:53], v[52:53], -v[68:69]
	v_add_f64 v[42:43], v[42:43], -v[85:86]
	v_fma_f64 v[85:86], v[101:102], v[54:55], -v[119:120]
	v_add_f64 v[44:45], v[44:45], -v[87:88]
	v_fma_f64 v[87:88], v[103:104], v[54:55], v[83:84]
	v_add_f64 v[40:41], v[40:41], -v[66:67]
	ds_read2_b64 v[66:69], v1 offset0:16 offset1:17
	v_add_f64 v[34:35], v[34:35], -v[74:75]
	v_add_f64 v[36:37], v[36:37], -v[81:82]
	ds_read2_b64 v[81:84], v1 offset0:18 offset1:19
	v_add_f64 v[38:39], v[38:39], -v[89:90]
	s_waitcnt lgkmcnt(1)
	v_mul_f64 v[74:75], v[68:69], v[56:57]
	v_add_f64 v[30:31], v[30:31], -v[85:86]
	v_add_f64 v[32:33], v[32:33], -v[87:88]
	ds_read2_b64 v[85:88], v1 offset0:20 offset1:21
	ds_read2_b64 v[89:92], v1 offset0:22 offset1:23
	v_mul_f64 v[93:94], v[66:67], v[56:57]
	s_waitcnt lgkmcnt(2)
	v_mul_f64 v[95:96], v[83:84], v[56:57]
	v_mul_f64 v[97:98], v[81:82], v[56:57]
	s_waitcnt lgkmcnt(1)
	v_mul_f64 v[99:100], v[87:88], v[56:57]
	v_fma_f64 v[66:67], v[66:67], v[54:55], -v[74:75]
	v_mul_f64 v[74:75], v[85:86], v[56:57]
	s_waitcnt lgkmcnt(0)
	v_mul_f64 v[101:102], v[91:92], v[56:57]
	v_mul_f64 v[103:104], v[89:90], v[56:57]
	v_fma_f64 v[68:69], v[68:69], v[54:55], v[93:94]
	v_fma_f64 v[81:82], v[81:82], v[54:55], -v[95:96]
	v_fma_f64 v[83:84], v[83:84], v[54:55], v[97:98]
	v_fma_f64 v[85:86], v[85:86], v[54:55], -v[99:100]
	v_add_f64 v[26:27], v[26:27], -v[66:67]
	v_fma_f64 v[74:75], v[87:88], v[54:55], v[74:75]
	v_fma_f64 v[87:88], v[89:90], v[54:55], -v[101:102]
	v_fma_f64 v[89:90], v[91:92], v[54:55], v[103:104]
	v_add_f64 v[28:29], v[28:29], -v[68:69]
	v_add_f64 v[22:23], v[22:23], -v[81:82]
	v_add_f64 v[24:25], v[24:25], -v[83:84]
	v_add_f64 v[18:19], v[18:19], -v[85:86]
	ds_read2_b64 v[66:69], v1 offset0:24 offset1:25
	ds_read2_b64 v[81:84], v1 offset0:26 offset1:27
	v_add_f64 v[14:15], v[14:15], -v[87:88]
	v_add_f64 v[16:17], v[16:17], -v[89:90]
	ds_read2_b64 v[85:88], v1 offset0:28 offset1:29
	ds_read2_b64 v[89:92], v1 offset0:30 offset1:31
	v_add_f64 v[20:21], v[20:21], -v[74:75]
	s_waitcnt lgkmcnt(3)
	v_mul_f64 v[74:75], v[68:69], v[56:57]
	v_mul_f64 v[93:94], v[66:67], v[56:57]
	s_waitcnt lgkmcnt(2)
	v_mul_f64 v[95:96], v[83:84], v[56:57]
	v_mul_f64 v[97:98], v[81:82], v[56:57]
	;; [unrolled: 3-line block ×4, first 2 shown]
	v_fma_f64 v[66:67], v[66:67], v[54:55], -v[74:75]
	v_fma_f64 v[68:69], v[68:69], v[54:55], v[93:94]
	v_fma_f64 v[74:75], v[81:82], v[54:55], -v[95:96]
	v_fma_f64 v[81:82], v[83:84], v[54:55], v[97:98]
	v_fma_f64 v[83:84], v[85:86], v[54:55], -v[99:100]
	v_fma_f64 v[85:86], v[87:88], v[54:55], v[101:102]
	v_fma_f64 v[87:88], v[89:90], v[54:55], -v[103:104]
	v_fma_f64 v[89:90], v[91:92], v[54:55], v[105:106]
	v_add_f64 v[10:11], v[10:11], -v[66:67]
	v_add_f64 v[12:13], v[12:13], -v[68:69]
	;; [unrolled: 1-line block ×8, first 2 shown]
.LBB30_41:
	s_or_b64 exec, exec, s[0:1]
	v_lshl_add_u32 v66, v76, 4, v1
	s_barrier
	ds_write2_b64 v66, v[50:51], v[52:53] offset1:1
	s_waitcnt lgkmcnt(0)
	s_barrier
	ds_read2_b64 v[66:69], v1 offset0:4 offset1:5
	s_cmp_lt_i32 s22, 4
	v_mov_b32_e32 v74, 2
	s_cbranch_scc1 .LBB30_44
; %bb.42:
	v_add3_u32 v75, v80, 0, 48
	s_mov_b32 s2, 3
	v_mov_b32_e32 v74, 2
.LBB30_43:                              ; =>This Inner Loop Header: Depth=1
	s_waitcnt lgkmcnt(0)
	v_cmp_gt_f64_e32 vcc, 0, v[68:69]
	v_cmp_gt_f64_e64 s[0:1], 0, v[66:67]
	ds_read2_b64 v[81:84], v75 offset1:1
	v_xor_b32_e32 v86, 0x80000000, v67
	v_xor_b32_e32 v88, 0x80000000, v69
	v_mov_b32_e32 v85, v66
	v_mov_b32_e32 v87, v68
	s_waitcnt lgkmcnt(0)
	v_xor_b32_e32 v90, 0x80000000, v84
	v_cndmask_b32_e32 v88, v69, v88, vcc
	v_cndmask_b32_e64 v86, v67, v86, s[0:1]
	v_cmp_gt_f64_e32 vcc, 0, v[83:84]
	v_cmp_gt_f64_e64 s[0:1], 0, v[81:82]
	v_add_f64 v[85:86], v[85:86], v[87:88]
	v_xor_b32_e32 v88, 0x80000000, v82
	v_mov_b32_e32 v87, v81
	v_mov_b32_e32 v89, v83
	v_add_u32_e32 v75, 16, v75
	v_cndmask_b32_e32 v90, v84, v90, vcc
	v_cndmask_b32_e64 v88, v82, v88, s[0:1]
	v_add_f64 v[87:88], v[87:88], v[89:90]
	v_mov_b32_e32 v89, s2
	s_add_i32 s2, s2, 1
	s_cmp_lg_u32 s22, s2
	v_cmp_lt_f64_e32 vcc, v[85:86], v[87:88]
	v_cndmask_b32_e32 v67, v67, v82, vcc
	v_cndmask_b32_e32 v66, v66, v81, vcc
	;; [unrolled: 1-line block ×5, first 2 shown]
	s_cbranch_scc1 .LBB30_43
.LBB30_44:
	s_waitcnt lgkmcnt(0)
	v_cmp_eq_f64_e32 vcc, 0, v[66:67]
	v_cmp_eq_f64_e64 s[0:1], 0, v[68:69]
	s_and_b64 s[0:1], vcc, s[0:1]
	s_and_saveexec_b64 s[2:3], s[0:1]
	s_xor_b64 s[0:1], exec, s[2:3]
; %bb.45:
	v_cmp_ne_u32_e32 vcc, 0, v79
	v_cndmask_b32_e32 v79, 3, v79, vcc
; %bb.46:
	s_andn2_saveexec_b64 s[0:1], s[0:1]
	s_cbranch_execz .LBB30_52
; %bb.47:
	v_cmp_ngt_f64_e64 s[2:3], |v[66:67]|, |v[68:69]|
	s_and_saveexec_b64 s[4:5], s[2:3]
	s_xor_b64 s[2:3], exec, s[4:5]
	s_cbranch_execz .LBB30_49
; %bb.48:
	v_div_scale_f64 v[81:82], s[4:5], v[68:69], v[68:69], v[66:67]
	v_rcp_f64_e32 v[83:84], v[81:82]
	v_fma_f64 v[85:86], -v[81:82], v[83:84], 1.0
	v_fma_f64 v[83:84], v[83:84], v[85:86], v[83:84]
	v_div_scale_f64 v[85:86], vcc, v[66:67], v[68:69], v[66:67]
	v_fma_f64 v[87:88], -v[81:82], v[83:84], 1.0
	v_fma_f64 v[83:84], v[83:84], v[87:88], v[83:84]
	v_mul_f64 v[87:88], v[85:86], v[83:84]
	v_fma_f64 v[81:82], -v[81:82], v[87:88], v[85:86]
	v_div_fmas_f64 v[81:82], v[81:82], v[83:84], v[87:88]
	v_div_fixup_f64 v[81:82], v[81:82], v[68:69], v[66:67]
	v_fma_f64 v[66:67], v[66:67], v[81:82], v[68:69]
	v_div_scale_f64 v[68:69], s[4:5], v[66:67], v[66:67], 1.0
	v_div_scale_f64 v[87:88], vcc, 1.0, v[66:67], 1.0
	v_rcp_f64_e32 v[83:84], v[68:69]
	v_fma_f64 v[85:86], -v[68:69], v[83:84], 1.0
	v_fma_f64 v[83:84], v[83:84], v[85:86], v[83:84]
	v_fma_f64 v[85:86], -v[68:69], v[83:84], 1.0
	v_fma_f64 v[83:84], v[83:84], v[85:86], v[83:84]
	v_mul_f64 v[85:86], v[87:88], v[83:84]
	v_fma_f64 v[68:69], -v[68:69], v[85:86], v[87:88]
	v_div_fmas_f64 v[68:69], v[68:69], v[83:84], v[85:86]
	v_div_fixup_f64 v[68:69], v[68:69], v[66:67], 1.0
	v_mul_f64 v[66:67], v[81:82], v[68:69]
	v_xor_b32_e32 v69, 0x80000000, v69
.LBB30_49:
	s_andn2_saveexec_b64 s[2:3], s[2:3]
	s_cbranch_execz .LBB30_51
; %bb.50:
	v_div_scale_f64 v[81:82], s[4:5], v[66:67], v[66:67], v[68:69]
	v_rcp_f64_e32 v[83:84], v[81:82]
	v_fma_f64 v[85:86], -v[81:82], v[83:84], 1.0
	v_fma_f64 v[83:84], v[83:84], v[85:86], v[83:84]
	v_div_scale_f64 v[85:86], vcc, v[68:69], v[66:67], v[68:69]
	v_fma_f64 v[87:88], -v[81:82], v[83:84], 1.0
	v_fma_f64 v[83:84], v[83:84], v[87:88], v[83:84]
	v_mul_f64 v[87:88], v[85:86], v[83:84]
	v_fma_f64 v[81:82], -v[81:82], v[87:88], v[85:86]
	v_div_fmas_f64 v[81:82], v[81:82], v[83:84], v[87:88]
	v_div_fixup_f64 v[81:82], v[81:82], v[66:67], v[68:69]
	v_fma_f64 v[66:67], v[68:69], v[81:82], v[66:67]
	v_div_scale_f64 v[68:69], s[4:5], v[66:67], v[66:67], 1.0
	v_div_scale_f64 v[87:88], vcc, 1.0, v[66:67], 1.0
	v_rcp_f64_e32 v[83:84], v[68:69]
	v_fma_f64 v[85:86], -v[68:69], v[83:84], 1.0
	v_fma_f64 v[83:84], v[83:84], v[85:86], v[83:84]
	v_fma_f64 v[85:86], -v[68:69], v[83:84], 1.0
	v_fma_f64 v[83:84], v[83:84], v[85:86], v[83:84]
	v_mul_f64 v[85:86], v[87:88], v[83:84]
	v_fma_f64 v[68:69], -v[68:69], v[85:86], v[87:88]
	v_div_fmas_f64 v[68:69], v[68:69], v[83:84], v[85:86]
	v_div_fixup_f64 v[66:67], v[68:69], v[66:67], 1.0
	v_mul_f64 v[68:69], v[81:82], -v[66:67]
.LBB30_51:
	s_or_b64 exec, exec, s[2:3]
.LBB30_52:
	s_or_b64 exec, exec, s[0:1]
	v_cmp_ne_u32_e32 vcc, v76, v74
	s_and_saveexec_b64 s[0:1], vcc
	s_xor_b64 s[0:1], exec, s[0:1]
	s_cbranch_execz .LBB30_58
; %bb.53:
	v_cmp_eq_u32_e32 vcc, 2, v76
	s_and_saveexec_b64 s[2:3], vcc
	s_cbranch_execz .LBB30_57
; %bb.54:
	v_cmp_ne_u32_e32 vcc, 2, v74
	s_xor_b64 s[4:5], s[18:19], -1
	s_and_b64 s[24:25], s[4:5], vcc
	s_and_saveexec_b64 s[4:5], s[24:25]
	s_cbranch_execz .LBB30_56
; %bb.55:
	v_ashrrev_i32_e32 v75, 31, v74
	v_lshlrev_b64 v[75:76], 2, v[74:75]
	v_add_co_u32_e32 v75, vcc, v72, v75
	v_addc_co_u32_e32 v76, vcc, v73, v76, vcc
	global_load_dword v0, v[75:76], off
	global_load_dword v81, v[72:73], off offset:8
	s_waitcnt vmcnt(1)
	global_store_dword v[72:73], v0, off offset:8
	s_waitcnt vmcnt(1)
	global_store_dword v[75:76], v81, off
.LBB30_56:
	s_or_b64 exec, exec, s[4:5]
	v_mov_b32_e32 v76, v74
	v_mov_b32_e32 v0, v74
.LBB30_57:
	s_or_b64 exec, exec, s[2:3]
.LBB30_58:
	s_andn2_saveexec_b64 s[0:1], s[0:1]
	s_cbranch_execz .LBB30_60
; %bb.59:
	v_mov_b32_e32 v76, 2
	ds_write2_b64 v1, v[46:47], v[48:49] offset0:6 offset1:7
	ds_write2_b64 v1, v[42:43], v[44:45] offset0:8 offset1:9
	ds_write2_b64 v1, v[38:39], v[40:41] offset0:10 offset1:11
	ds_write2_b64 v1, v[34:35], v[36:37] offset0:12 offset1:13
	ds_write2_b64 v1, v[30:31], v[32:33] offset0:14 offset1:15
	ds_write2_b64 v1, v[26:27], v[28:29] offset0:16 offset1:17
	ds_write2_b64 v1, v[22:23], v[24:25] offset0:18 offset1:19
	ds_write2_b64 v1, v[18:19], v[20:21] offset0:20 offset1:21
	ds_write2_b64 v1, v[14:15], v[16:17] offset0:22 offset1:23
	ds_write2_b64 v1, v[10:11], v[12:13] offset0:24 offset1:25
	ds_write2_b64 v1, v[6:7], v[8:9] offset0:26 offset1:27
	ds_write2_b64 v1, v[2:3], v[4:5] offset0:28 offset1:29
	ds_write2_b64 v1, v[62:63], v[64:65] offset0:30 offset1:31
.LBB30_60:
	s_or_b64 exec, exec, s[0:1]
	v_cmp_lt_i32_e32 vcc, 2, v76
	s_waitcnt vmcnt(0) lgkmcnt(0)
	s_barrier
	s_and_saveexec_b64 s[0:1], vcc
	s_cbranch_execz .LBB30_62
; %bb.61:
	v_mul_f64 v[74:75], v[66:67], v[52:53]
	v_mul_f64 v[52:53], v[68:69], v[52:53]
	ds_read2_b64 v[81:84], v1 offset0:6 offset1:7
	ds_read2_b64 v[85:88], v1 offset0:8 offset1:9
	;; [unrolled: 1-line block ×6, first 2 shown]
	v_fma_f64 v[74:75], v[68:69], v[50:51], v[74:75]
	v_fma_f64 v[50:51], v[66:67], v[50:51], -v[52:53]
	s_waitcnt lgkmcnt(5)
	v_mul_f64 v[52:53], v[83:84], v[74:75]
	v_mul_f64 v[66:67], v[81:82], v[74:75]
	s_waitcnt lgkmcnt(4)
	v_mul_f64 v[68:69], v[87:88], v[74:75]
	v_mul_f64 v[105:106], v[85:86], v[74:75]
	s_waitcnt lgkmcnt(3)
	v_mul_f64 v[107:108], v[91:92], v[74:75]
	v_mul_f64 v[109:110], v[89:90], v[74:75]
	s_waitcnt lgkmcnt(2)
	v_mul_f64 v[111:112], v[95:96], v[74:75]
	v_mul_f64 v[113:114], v[93:94], v[74:75]
	s_waitcnt lgkmcnt(1)
	v_mul_f64 v[115:116], v[99:100], v[74:75]
	v_fma_f64 v[52:53], v[81:82], v[50:51], -v[52:53]
	v_fma_f64 v[66:67], v[83:84], v[50:51], v[66:67]
	v_fma_f64 v[68:69], v[85:86], v[50:51], -v[68:69]
	v_fma_f64 v[81:82], v[87:88], v[50:51], v[105:106]
	;; [unrolled: 2-line block ×3, first 2 shown]
	v_fma_f64 v[87:88], v[93:94], v[50:51], -v[111:112]
	v_mul_f64 v[117:118], v[97:98], v[74:75]
	v_fma_f64 v[89:90], v[95:96], v[50:51], v[113:114]
	v_fma_f64 v[91:92], v[97:98], v[50:51], -v[115:116]
	v_add_f64 v[48:49], v[48:49], -v[66:67]
	v_add_f64 v[42:43], v[42:43], -v[68:69]
	;; [unrolled: 1-line block ×6, first 2 shown]
	ds_read2_b64 v[66:69], v1 offset0:18 offset1:19
	ds_read2_b64 v[81:84], v1 offset0:20 offset1:21
	;; [unrolled: 1-line block ×3, first 2 shown]
	v_fma_f64 v[93:94], v[99:100], v[50:51], v[117:118]
	v_add_f64 v[36:37], v[36:37], -v[89:90]
	v_add_f64 v[30:31], v[30:31], -v[91:92]
	s_waitcnt lgkmcnt(2)
	v_mul_f64 v[95:96], v[68:69], v[74:75]
	v_mul_f64 v[97:98], v[66:67], v[74:75]
	s_waitcnt lgkmcnt(1)
	v_mul_f64 v[99:100], v[83:84], v[74:75]
	v_mul_f64 v[105:106], v[81:82], v[74:75]
	ds_read2_b64 v[89:92], v1 offset0:24 offset1:25
	s_waitcnt lgkmcnt(1)
	v_mul_f64 v[107:108], v[87:88], v[74:75]
	v_mul_f64 v[109:110], v[85:86], v[74:75]
	v_add_f64 v[46:47], v[46:47], -v[52:53]
	v_add_f64 v[32:33], v[32:33], -v[93:94]
	v_mul_f64 v[52:53], v[103:104], v[74:75]
	v_mul_f64 v[93:94], v[101:102], v[74:75]
	v_fma_f64 v[66:67], v[66:67], v[50:51], -v[95:96]
	v_fma_f64 v[68:69], v[68:69], v[50:51], v[97:98]
	v_fma_f64 v[81:82], v[81:82], v[50:51], -v[99:100]
	v_fma_f64 v[83:84], v[83:84], v[50:51], v[105:106]
	;; [unrolled: 2-line block ×4, first 2 shown]
	v_add_f64 v[22:23], v[22:23], -v[66:67]
	v_add_f64 v[24:25], v[24:25], -v[68:69]
	;; [unrolled: 1-line block ×6, first 2 shown]
	ds_read2_b64 v[66:69], v1 offset0:26 offset1:27
	ds_read2_b64 v[81:84], v1 offset0:28 offset1:29
	;; [unrolled: 1-line block ×3, first 2 shown]
	v_add_f64 v[26:27], v[26:27], -v[52:53]
	v_add_f64 v[28:29], v[28:29], -v[93:94]
	s_waitcnt lgkmcnt(3)
	v_mul_f64 v[52:53], v[91:92], v[74:75]
	v_mul_f64 v[93:94], v[89:90], v[74:75]
	s_waitcnt lgkmcnt(2)
	v_mul_f64 v[95:96], v[68:69], v[74:75]
	v_mul_f64 v[97:98], v[66:67], v[74:75]
	;; [unrolled: 3-line block ×4, first 2 shown]
	v_fma_f64 v[52:53], v[89:90], v[50:51], -v[52:53]
	v_fma_f64 v[89:90], v[91:92], v[50:51], v[93:94]
	v_fma_f64 v[66:67], v[66:67], v[50:51], -v[95:96]
	v_fma_f64 v[68:69], v[68:69], v[50:51], v[97:98]
	;; [unrolled: 2-line block ×4, first 2 shown]
	v_add_f64 v[10:11], v[10:11], -v[52:53]
	v_add_f64 v[12:13], v[12:13], -v[89:90]
	;; [unrolled: 1-line block ×8, first 2 shown]
	v_mov_b32_e32 v52, v74
	v_mov_b32_e32 v53, v75
.LBB30_62:
	s_or_b64 exec, exec, s[0:1]
	v_lshl_add_u32 v66, v76, 4, v1
	s_barrier
	ds_write2_b64 v66, v[46:47], v[48:49] offset1:1
	s_waitcnt lgkmcnt(0)
	s_barrier
	ds_read2_b64 v[66:69], v1 offset0:6 offset1:7
	s_mov_b32 s2, 4
	s_cmp_lt_i32 s22, 5
	v_mov_b32_e32 v74, 3
	s_cbranch_scc1 .LBB30_65
; %bb.63:
	v_add3_u32 v75, v80, 0, 64
	v_mov_b32_e32 v74, 3
.LBB30_64:                              ; =>This Inner Loop Header: Depth=1
	s_waitcnt lgkmcnt(0)
	v_cmp_gt_f64_e32 vcc, 0, v[68:69]
	v_cmp_gt_f64_e64 s[0:1], 0, v[66:67]
	ds_read2_b64 v[80:83], v75 offset1:1
	v_xor_b32_e32 v85, 0x80000000, v67
	v_xor_b32_e32 v87, 0x80000000, v69
	v_mov_b32_e32 v84, v66
	v_mov_b32_e32 v86, v68
	s_waitcnt lgkmcnt(0)
	v_xor_b32_e32 v89, 0x80000000, v83
	v_cndmask_b32_e32 v87, v69, v87, vcc
	v_cndmask_b32_e64 v85, v67, v85, s[0:1]
	v_cmp_gt_f64_e32 vcc, 0, v[82:83]
	v_cmp_gt_f64_e64 s[0:1], 0, v[80:81]
	v_add_f64 v[84:85], v[84:85], v[86:87]
	v_xor_b32_e32 v87, 0x80000000, v81
	v_mov_b32_e32 v86, v80
	v_mov_b32_e32 v88, v82
	v_add_u32_e32 v75, 16, v75
	v_cndmask_b32_e32 v89, v83, v89, vcc
	v_cndmask_b32_e64 v87, v81, v87, s[0:1]
	v_add_f64 v[86:87], v[86:87], v[88:89]
	v_mov_b32_e32 v88, s2
	s_add_i32 s2, s2, 1
	s_cmp_lg_u32 s22, s2
	v_cmp_lt_f64_e32 vcc, v[84:85], v[86:87]
	v_cndmask_b32_e32 v67, v67, v81, vcc
	v_cndmask_b32_e32 v66, v66, v80, vcc
	;; [unrolled: 1-line block ×5, first 2 shown]
	s_cbranch_scc1 .LBB30_64
.LBB30_65:
	s_waitcnt lgkmcnt(0)
	v_cmp_eq_f64_e32 vcc, 0, v[66:67]
	v_cmp_eq_f64_e64 s[0:1], 0, v[68:69]
	s_and_b64 s[0:1], vcc, s[0:1]
	s_and_saveexec_b64 s[2:3], s[0:1]
	s_xor_b64 s[0:1], exec, s[2:3]
; %bb.66:
	v_cmp_ne_u32_e32 vcc, 0, v79
	v_cndmask_b32_e32 v79, 4, v79, vcc
; %bb.67:
	s_andn2_saveexec_b64 s[0:1], s[0:1]
	s_cbranch_execz .LBB30_73
; %bb.68:
	v_cmp_ngt_f64_e64 s[2:3], |v[66:67]|, |v[68:69]|
	s_and_saveexec_b64 s[4:5], s[2:3]
	s_xor_b64 s[2:3], exec, s[4:5]
	s_cbranch_execz .LBB30_70
; %bb.69:
	v_div_scale_f64 v[80:81], s[4:5], v[68:69], v[68:69], v[66:67]
	v_rcp_f64_e32 v[82:83], v[80:81]
	v_fma_f64 v[84:85], -v[80:81], v[82:83], 1.0
	v_fma_f64 v[82:83], v[82:83], v[84:85], v[82:83]
	v_div_scale_f64 v[84:85], vcc, v[66:67], v[68:69], v[66:67]
	v_fma_f64 v[86:87], -v[80:81], v[82:83], 1.0
	v_fma_f64 v[82:83], v[82:83], v[86:87], v[82:83]
	v_mul_f64 v[86:87], v[84:85], v[82:83]
	v_fma_f64 v[80:81], -v[80:81], v[86:87], v[84:85]
	v_div_fmas_f64 v[80:81], v[80:81], v[82:83], v[86:87]
	v_div_fixup_f64 v[80:81], v[80:81], v[68:69], v[66:67]
	v_fma_f64 v[66:67], v[66:67], v[80:81], v[68:69]
	v_div_scale_f64 v[68:69], s[4:5], v[66:67], v[66:67], 1.0
	v_div_scale_f64 v[86:87], vcc, 1.0, v[66:67], 1.0
	v_rcp_f64_e32 v[82:83], v[68:69]
	v_fma_f64 v[84:85], -v[68:69], v[82:83], 1.0
	v_fma_f64 v[82:83], v[82:83], v[84:85], v[82:83]
	v_fma_f64 v[84:85], -v[68:69], v[82:83], 1.0
	v_fma_f64 v[82:83], v[82:83], v[84:85], v[82:83]
	v_mul_f64 v[84:85], v[86:87], v[82:83]
	v_fma_f64 v[68:69], -v[68:69], v[84:85], v[86:87]
	v_div_fmas_f64 v[68:69], v[68:69], v[82:83], v[84:85]
	v_div_fixup_f64 v[68:69], v[68:69], v[66:67], 1.0
	v_mul_f64 v[66:67], v[80:81], v[68:69]
	v_xor_b32_e32 v69, 0x80000000, v69
.LBB30_70:
	s_andn2_saveexec_b64 s[2:3], s[2:3]
	s_cbranch_execz .LBB30_72
; %bb.71:
	v_div_scale_f64 v[80:81], s[4:5], v[66:67], v[66:67], v[68:69]
	v_rcp_f64_e32 v[82:83], v[80:81]
	v_fma_f64 v[84:85], -v[80:81], v[82:83], 1.0
	v_fma_f64 v[82:83], v[82:83], v[84:85], v[82:83]
	v_div_scale_f64 v[84:85], vcc, v[68:69], v[66:67], v[68:69]
	v_fma_f64 v[86:87], -v[80:81], v[82:83], 1.0
	v_fma_f64 v[82:83], v[82:83], v[86:87], v[82:83]
	v_mul_f64 v[86:87], v[84:85], v[82:83]
	v_fma_f64 v[80:81], -v[80:81], v[86:87], v[84:85]
	v_div_fmas_f64 v[80:81], v[80:81], v[82:83], v[86:87]
	v_div_fixup_f64 v[80:81], v[80:81], v[66:67], v[68:69]
	v_fma_f64 v[66:67], v[68:69], v[80:81], v[66:67]
	v_div_scale_f64 v[68:69], s[4:5], v[66:67], v[66:67], 1.0
	v_div_scale_f64 v[86:87], vcc, 1.0, v[66:67], 1.0
	v_rcp_f64_e32 v[82:83], v[68:69]
	v_fma_f64 v[84:85], -v[68:69], v[82:83], 1.0
	v_fma_f64 v[82:83], v[82:83], v[84:85], v[82:83]
	v_fma_f64 v[84:85], -v[68:69], v[82:83], 1.0
	v_fma_f64 v[82:83], v[82:83], v[84:85], v[82:83]
	v_mul_f64 v[84:85], v[86:87], v[82:83]
	v_fma_f64 v[68:69], -v[68:69], v[84:85], v[86:87]
	v_div_fmas_f64 v[68:69], v[68:69], v[82:83], v[84:85]
	v_div_fixup_f64 v[66:67], v[68:69], v[66:67], 1.0
	v_mul_f64 v[68:69], v[80:81], -v[66:67]
.LBB30_72:
	s_or_b64 exec, exec, s[2:3]
.LBB30_73:
	s_or_b64 exec, exec, s[0:1]
	v_cmp_ne_u32_e32 vcc, v76, v74
	s_and_saveexec_b64 s[0:1], vcc
	s_xor_b64 s[0:1], exec, s[0:1]
	s_cbranch_execz .LBB30_79
; %bb.74:
	v_cmp_eq_u32_e32 vcc, 3, v76
	s_and_saveexec_b64 s[2:3], vcc
	s_cbranch_execz .LBB30_78
; %bb.75:
	v_cmp_ne_u32_e32 vcc, 3, v74
	s_xor_b64 s[4:5], s[18:19], -1
	s_and_b64 s[24:25], s[4:5], vcc
	s_and_saveexec_b64 s[4:5], s[24:25]
	s_cbranch_execz .LBB30_77
; %bb.76:
	v_ashrrev_i32_e32 v75, 31, v74
	v_lshlrev_b64 v[75:76], 2, v[74:75]
	v_add_co_u32_e32 v75, vcc, v72, v75
	v_addc_co_u32_e32 v76, vcc, v73, v76, vcc
	global_load_dword v0, v[75:76], off
	global_load_dword v80, v[72:73], off offset:12
	s_waitcnt vmcnt(1)
	global_store_dword v[72:73], v0, off offset:12
	s_waitcnt vmcnt(1)
	global_store_dword v[75:76], v80, off
.LBB30_77:
	s_or_b64 exec, exec, s[4:5]
	v_mov_b32_e32 v76, v74
	v_mov_b32_e32 v0, v74
.LBB30_78:
	s_or_b64 exec, exec, s[2:3]
.LBB30_79:
	s_andn2_saveexec_b64 s[0:1], s[0:1]
	s_cbranch_execz .LBB30_81
; %bb.80:
	v_mov_b32_e32 v76, 3
	ds_write2_b64 v1, v[42:43], v[44:45] offset0:8 offset1:9
	ds_write2_b64 v1, v[38:39], v[40:41] offset0:10 offset1:11
	;; [unrolled: 1-line block ×12, first 2 shown]
.LBB30_81:
	s_or_b64 exec, exec, s[0:1]
	v_cmp_lt_i32_e32 vcc, 3, v76
	s_waitcnt vmcnt(0) lgkmcnt(0)
	s_barrier
	s_and_saveexec_b64 s[0:1], vcc
	s_cbranch_execz .LBB30_83
; %bb.82:
	v_mul_f64 v[74:75], v[66:67], v[48:49]
	v_mul_f64 v[48:49], v[68:69], v[48:49]
	ds_read2_b64 v[80:83], v1 offset0:8 offset1:9
	ds_read2_b64 v[84:87], v1 offset0:10 offset1:11
	;; [unrolled: 1-line block ×6, first 2 shown]
	v_fma_f64 v[74:75], v[68:69], v[46:47], v[74:75]
	v_fma_f64 v[46:47], v[66:67], v[46:47], -v[48:49]
	s_waitcnt lgkmcnt(5)
	v_mul_f64 v[48:49], v[82:83], v[74:75]
	v_mul_f64 v[66:67], v[80:81], v[74:75]
	s_waitcnt lgkmcnt(4)
	v_mul_f64 v[68:69], v[86:87], v[74:75]
	v_mul_f64 v[104:105], v[84:85], v[74:75]
	;; [unrolled: 3-line block ×4, first 2 shown]
	v_fma_f64 v[48:49], v[80:81], v[46:47], -v[48:49]
	v_fma_f64 v[66:67], v[82:83], v[46:47], v[66:67]
	v_fma_f64 v[68:69], v[84:85], v[46:47], -v[68:69]
	v_fma_f64 v[80:81], v[86:87], v[46:47], v[104:105]
	;; [unrolled: 2-line block ×4, first 2 shown]
	v_add_f64 v[42:43], v[42:43], -v[48:49]
	s_waitcnt lgkmcnt(1)
	v_mul_f64 v[48:49], v[98:99], v[74:75]
	v_add_f64 v[44:45], v[44:45], -v[66:67]
	v_add_f64 v[38:39], v[38:39], -v[68:69]
	;; [unrolled: 1-line block ×4, first 2 shown]
	ds_read2_b64 v[66:69], v1 offset0:20 offset1:21
	ds_read2_b64 v[80:83], v1 offset0:22 offset1:23
	v_add_f64 v[36:37], v[36:37], -v[84:85]
	v_add_f64 v[30:31], v[30:31], -v[86:87]
	;; [unrolled: 1-line block ×3, first 2 shown]
	v_mul_f64 v[84:85], v[96:97], v[74:75]
	s_waitcnt lgkmcnt(2)
	v_mul_f64 v[86:87], v[102:103], v[74:75]
	v_mul_f64 v[88:89], v[100:101], v[74:75]
	s_waitcnt lgkmcnt(1)
	v_mul_f64 v[90:91], v[68:69], v[74:75]
	v_fma_f64 v[48:49], v[96:97], v[46:47], -v[48:49]
	s_waitcnt lgkmcnt(0)
	v_mul_f64 v[94:95], v[82:83], v[74:75]
	v_mul_f64 v[96:97], v[80:81], v[74:75]
	;; [unrolled: 1-line block ×3, first 2 shown]
	v_fma_f64 v[84:85], v[98:99], v[46:47], v[84:85]
	v_fma_f64 v[86:87], v[100:101], v[46:47], -v[86:87]
	v_fma_f64 v[88:89], v[102:103], v[46:47], v[88:89]
	v_fma_f64 v[66:67], v[66:67], v[46:47], -v[90:91]
	v_add_f64 v[26:27], v[26:27], -v[48:49]
	v_fma_f64 v[80:81], v[80:81], v[46:47], -v[94:95]
	v_fma_f64 v[82:83], v[82:83], v[46:47], v[96:97]
	v_fma_f64 v[48:49], v[68:69], v[46:47], v[92:93]
	v_add_f64 v[28:29], v[28:29], -v[84:85]
	v_add_f64 v[22:23], v[22:23], -v[86:87]
	;; [unrolled: 1-line block ×4, first 2 shown]
	ds_read2_b64 v[66:69], v1 offset0:24 offset1:25
	v_add_f64 v[14:15], v[14:15], -v[80:81]
	v_add_f64 v[16:17], v[16:17], -v[82:83]
	ds_read2_b64 v[80:83], v1 offset0:26 offset1:27
	ds_read2_b64 v[84:87], v1 offset0:28 offset1:29
	;; [unrolled: 1-line block ×3, first 2 shown]
	v_add_f64 v[20:21], v[20:21], -v[48:49]
	s_waitcnt lgkmcnt(3)
	v_mul_f64 v[48:49], v[68:69], v[74:75]
	v_mul_f64 v[92:93], v[66:67], v[74:75]
	s_waitcnt lgkmcnt(2)
	v_mul_f64 v[94:95], v[82:83], v[74:75]
	v_mul_f64 v[96:97], v[80:81], v[74:75]
	;; [unrolled: 3-line block ×4, first 2 shown]
	v_fma_f64 v[48:49], v[66:67], v[46:47], -v[48:49]
	v_fma_f64 v[66:67], v[68:69], v[46:47], v[92:93]
	v_fma_f64 v[68:69], v[80:81], v[46:47], -v[94:95]
	v_fma_f64 v[80:81], v[82:83], v[46:47], v[96:97]
	;; [unrolled: 2-line block ×4, first 2 shown]
	v_add_f64 v[10:11], v[10:11], -v[48:49]
	v_add_f64 v[12:13], v[12:13], -v[66:67]
	;; [unrolled: 1-line block ×8, first 2 shown]
	v_mov_b32_e32 v48, v74
	v_mov_b32_e32 v49, v75
.LBB30_83:
	s_or_b64 exec, exec, s[0:1]
	v_lshl_add_u32 v66, v76, 4, v1
	s_barrier
	ds_write2_b64 v66, v[42:43], v[44:45] offset1:1
	s_waitcnt lgkmcnt(0)
	s_barrier
	ds_read2_b64 v[66:69], v1 offset0:8 offset1:9
	s_cmp_lt_i32 s22, 6
	v_mov_b32_e32 v74, 4
	s_cbranch_scc1 .LBB30_86
; %bb.84:
	v_mov_b32_e32 v74, 4
	v_add_u32_e32 v75, 0x50, v1
	s_mov_b32 s2, 5
.LBB30_85:                              ; =>This Inner Loop Header: Depth=1
	s_waitcnt lgkmcnt(0)
	v_cmp_gt_f64_e32 vcc, 0, v[68:69]
	v_cmp_gt_f64_e64 s[0:1], 0, v[66:67]
	ds_read2_b64 v[80:83], v75 offset1:1
	v_xor_b32_e32 v85, 0x80000000, v67
	v_xor_b32_e32 v87, 0x80000000, v69
	v_mov_b32_e32 v84, v66
	v_mov_b32_e32 v86, v68
	s_waitcnt lgkmcnt(0)
	v_xor_b32_e32 v89, 0x80000000, v83
	v_cndmask_b32_e32 v87, v69, v87, vcc
	v_cndmask_b32_e64 v85, v67, v85, s[0:1]
	v_cmp_gt_f64_e32 vcc, 0, v[82:83]
	v_cmp_gt_f64_e64 s[0:1], 0, v[80:81]
	v_add_f64 v[84:85], v[84:85], v[86:87]
	v_xor_b32_e32 v87, 0x80000000, v81
	v_mov_b32_e32 v86, v80
	v_mov_b32_e32 v88, v82
	v_add_u32_e32 v75, 16, v75
	v_cndmask_b32_e32 v89, v83, v89, vcc
	v_cndmask_b32_e64 v87, v81, v87, s[0:1]
	v_add_f64 v[86:87], v[86:87], v[88:89]
	v_mov_b32_e32 v88, s2
	s_add_i32 s2, s2, 1
	s_cmp_lg_u32 s22, s2
	v_cmp_lt_f64_e32 vcc, v[84:85], v[86:87]
	v_cndmask_b32_e32 v67, v67, v81, vcc
	v_cndmask_b32_e32 v66, v66, v80, vcc
	v_cndmask_b32_e32 v69, v69, v83, vcc
	v_cndmask_b32_e32 v68, v68, v82, vcc
	v_cndmask_b32_e32 v74, v74, v88, vcc
	s_cbranch_scc1 .LBB30_85
.LBB30_86:
	s_waitcnt lgkmcnt(0)
	v_cmp_eq_f64_e32 vcc, 0, v[66:67]
	v_cmp_eq_f64_e64 s[0:1], 0, v[68:69]
	s_and_b64 s[0:1], vcc, s[0:1]
	s_and_saveexec_b64 s[2:3], s[0:1]
	s_xor_b64 s[0:1], exec, s[2:3]
; %bb.87:
	v_cmp_ne_u32_e32 vcc, 0, v79
	v_cndmask_b32_e32 v79, 5, v79, vcc
; %bb.88:
	s_andn2_saveexec_b64 s[0:1], s[0:1]
	s_cbranch_execz .LBB30_94
; %bb.89:
	v_cmp_ngt_f64_e64 s[2:3], |v[66:67]|, |v[68:69]|
	s_and_saveexec_b64 s[4:5], s[2:3]
	s_xor_b64 s[2:3], exec, s[4:5]
	s_cbranch_execz .LBB30_91
; %bb.90:
	v_div_scale_f64 v[80:81], s[4:5], v[68:69], v[68:69], v[66:67]
	v_rcp_f64_e32 v[82:83], v[80:81]
	v_fma_f64 v[84:85], -v[80:81], v[82:83], 1.0
	v_fma_f64 v[82:83], v[82:83], v[84:85], v[82:83]
	v_div_scale_f64 v[84:85], vcc, v[66:67], v[68:69], v[66:67]
	v_fma_f64 v[86:87], -v[80:81], v[82:83], 1.0
	v_fma_f64 v[82:83], v[82:83], v[86:87], v[82:83]
	v_mul_f64 v[86:87], v[84:85], v[82:83]
	v_fma_f64 v[80:81], -v[80:81], v[86:87], v[84:85]
	v_div_fmas_f64 v[80:81], v[80:81], v[82:83], v[86:87]
	v_div_fixup_f64 v[80:81], v[80:81], v[68:69], v[66:67]
	v_fma_f64 v[66:67], v[66:67], v[80:81], v[68:69]
	v_div_scale_f64 v[68:69], s[4:5], v[66:67], v[66:67], 1.0
	v_div_scale_f64 v[86:87], vcc, 1.0, v[66:67], 1.0
	v_rcp_f64_e32 v[82:83], v[68:69]
	v_fma_f64 v[84:85], -v[68:69], v[82:83], 1.0
	v_fma_f64 v[82:83], v[82:83], v[84:85], v[82:83]
	v_fma_f64 v[84:85], -v[68:69], v[82:83], 1.0
	v_fma_f64 v[82:83], v[82:83], v[84:85], v[82:83]
	v_mul_f64 v[84:85], v[86:87], v[82:83]
	v_fma_f64 v[68:69], -v[68:69], v[84:85], v[86:87]
	v_div_fmas_f64 v[68:69], v[68:69], v[82:83], v[84:85]
	v_div_fixup_f64 v[68:69], v[68:69], v[66:67], 1.0
	v_mul_f64 v[66:67], v[80:81], v[68:69]
	v_xor_b32_e32 v69, 0x80000000, v69
.LBB30_91:
	s_andn2_saveexec_b64 s[2:3], s[2:3]
	s_cbranch_execz .LBB30_93
; %bb.92:
	v_div_scale_f64 v[80:81], s[4:5], v[66:67], v[66:67], v[68:69]
	v_rcp_f64_e32 v[82:83], v[80:81]
	v_fma_f64 v[84:85], -v[80:81], v[82:83], 1.0
	v_fma_f64 v[82:83], v[82:83], v[84:85], v[82:83]
	v_div_scale_f64 v[84:85], vcc, v[68:69], v[66:67], v[68:69]
	v_fma_f64 v[86:87], -v[80:81], v[82:83], 1.0
	v_fma_f64 v[82:83], v[82:83], v[86:87], v[82:83]
	v_mul_f64 v[86:87], v[84:85], v[82:83]
	v_fma_f64 v[80:81], -v[80:81], v[86:87], v[84:85]
	v_div_fmas_f64 v[80:81], v[80:81], v[82:83], v[86:87]
	v_div_fixup_f64 v[80:81], v[80:81], v[66:67], v[68:69]
	v_fma_f64 v[66:67], v[68:69], v[80:81], v[66:67]
	v_div_scale_f64 v[68:69], s[4:5], v[66:67], v[66:67], 1.0
	v_div_scale_f64 v[86:87], vcc, 1.0, v[66:67], 1.0
	v_rcp_f64_e32 v[82:83], v[68:69]
	v_fma_f64 v[84:85], -v[68:69], v[82:83], 1.0
	v_fma_f64 v[82:83], v[82:83], v[84:85], v[82:83]
	v_fma_f64 v[84:85], -v[68:69], v[82:83], 1.0
	v_fma_f64 v[82:83], v[82:83], v[84:85], v[82:83]
	v_mul_f64 v[84:85], v[86:87], v[82:83]
	v_fma_f64 v[68:69], -v[68:69], v[84:85], v[86:87]
	v_div_fmas_f64 v[68:69], v[68:69], v[82:83], v[84:85]
	v_div_fixup_f64 v[66:67], v[68:69], v[66:67], 1.0
	v_mul_f64 v[68:69], v[80:81], -v[66:67]
.LBB30_93:
	s_or_b64 exec, exec, s[2:3]
.LBB30_94:
	s_or_b64 exec, exec, s[0:1]
	v_cmp_ne_u32_e32 vcc, v76, v74
	s_and_saveexec_b64 s[0:1], vcc
	s_xor_b64 s[0:1], exec, s[0:1]
	s_cbranch_execz .LBB30_100
; %bb.95:
	v_cmp_eq_u32_e32 vcc, 4, v76
	s_and_saveexec_b64 s[2:3], vcc
	s_cbranch_execz .LBB30_99
; %bb.96:
	v_cmp_ne_u32_e32 vcc, 4, v74
	s_xor_b64 s[4:5], s[18:19], -1
	s_and_b64 s[24:25], s[4:5], vcc
	s_and_saveexec_b64 s[4:5], s[24:25]
	s_cbranch_execz .LBB30_98
; %bb.97:
	v_ashrrev_i32_e32 v75, 31, v74
	v_lshlrev_b64 v[75:76], 2, v[74:75]
	v_add_co_u32_e32 v75, vcc, v72, v75
	v_addc_co_u32_e32 v76, vcc, v73, v76, vcc
	global_load_dword v0, v[75:76], off
	global_load_dword v80, v[72:73], off offset:16
	s_waitcnt vmcnt(1)
	global_store_dword v[72:73], v0, off offset:16
	s_waitcnt vmcnt(1)
	global_store_dword v[75:76], v80, off
.LBB30_98:
	s_or_b64 exec, exec, s[4:5]
	v_mov_b32_e32 v76, v74
	v_mov_b32_e32 v0, v74
.LBB30_99:
	s_or_b64 exec, exec, s[2:3]
.LBB30_100:
	s_andn2_saveexec_b64 s[0:1], s[0:1]
	s_cbranch_execz .LBB30_102
; %bb.101:
	v_mov_b32_e32 v76, 4
	ds_write2_b64 v1, v[38:39], v[40:41] offset0:10 offset1:11
	ds_write2_b64 v1, v[34:35], v[36:37] offset0:12 offset1:13
	;; [unrolled: 1-line block ×11, first 2 shown]
.LBB30_102:
	s_or_b64 exec, exec, s[0:1]
	v_cmp_lt_i32_e32 vcc, 4, v76
	s_waitcnt vmcnt(0) lgkmcnt(0)
	s_barrier
	s_and_saveexec_b64 s[0:1], vcc
	s_cbranch_execz .LBB30_104
; %bb.103:
	v_mul_f64 v[74:75], v[66:67], v[44:45]
	v_mul_f64 v[44:45], v[68:69], v[44:45]
	ds_read2_b64 v[80:83], v1 offset0:10 offset1:11
	ds_read2_b64 v[84:87], v1 offset0:12 offset1:13
	;; [unrolled: 1-line block ×7, first 2 shown]
	v_fma_f64 v[74:75], v[68:69], v[42:43], v[74:75]
	v_fma_f64 v[42:43], v[66:67], v[42:43], -v[44:45]
	s_waitcnt lgkmcnt(6)
	v_mul_f64 v[44:45], v[82:83], v[74:75]
	v_mul_f64 v[66:67], v[80:81], v[74:75]
	s_waitcnt lgkmcnt(5)
	v_mul_f64 v[68:69], v[86:87], v[74:75]
	v_mul_f64 v[108:109], v[84:85], v[74:75]
	;; [unrolled: 3-line block ×4, first 2 shown]
	v_fma_f64 v[44:45], v[80:81], v[42:43], -v[44:45]
	v_fma_f64 v[66:67], v[82:83], v[42:43], v[66:67]
	v_fma_f64 v[68:69], v[84:85], v[42:43], -v[68:69]
	v_fma_f64 v[80:81], v[86:87], v[42:43], v[108:109]
	;; [unrolled: 2-line block ×3, first 2 shown]
	s_waitcnt lgkmcnt(2)
	v_mul_f64 v[86:87], v[98:99], v[74:75]
	v_mul_f64 v[88:89], v[96:97], v[74:75]
	v_add_f64 v[38:39], v[38:39], -v[44:45]
	s_waitcnt lgkmcnt(1)
	v_mul_f64 v[44:45], v[102:103], v[74:75]
	v_fma_f64 v[90:91], v[92:93], v[42:43], -v[114:115]
	v_add_f64 v[36:37], v[36:37], -v[80:81]
	v_add_f64 v[30:31], v[30:31], -v[82:83]
	;; [unrolled: 1-line block ×3, first 2 shown]
	v_mul_f64 v[80:81], v[100:101], v[74:75]
	s_waitcnt lgkmcnt(0)
	v_mul_f64 v[82:83], v[106:107], v[74:75]
	v_mul_f64 v[84:85], v[104:105], v[74:75]
	v_fma_f64 v[86:87], v[96:97], v[42:43], -v[86:87]
	v_fma_f64 v[88:89], v[98:99], v[42:43], v[88:89]
	v_fma_f64 v[92:93], v[94:95], v[42:43], v[116:117]
	v_fma_f64 v[44:45], v[100:101], v[42:43], -v[44:45]
	v_add_f64 v[40:41], v[40:41], -v[66:67]
	v_fma_f64 v[80:81], v[102:103], v[42:43], v[80:81]
	v_fma_f64 v[82:83], v[104:105], v[42:43], -v[82:83]
	v_fma_f64 v[84:85], v[106:107], v[42:43], v[84:85]
	v_add_f64 v[34:35], v[34:35], -v[68:69]
	ds_read2_b64 v[66:69], v1 offset0:24 offset1:25
	v_add_f64 v[26:27], v[26:27], -v[90:91]
	v_add_f64 v[22:23], v[22:23], -v[86:87]
	;; [unrolled: 1-line block ×6, first 2 shown]
	ds_read2_b64 v[80:83], v1 offset0:26 offset1:27
	ds_read2_b64 v[84:87], v1 offset0:28 offset1:29
	ds_read2_b64 v[88:91], v1 offset0:30 offset1:31
	v_add_f64 v[28:29], v[28:29], -v[92:93]
	v_add_f64 v[18:19], v[18:19], -v[44:45]
	s_waitcnt lgkmcnt(3)
	v_mul_f64 v[44:45], v[68:69], v[74:75]
	v_mul_f64 v[92:93], v[66:67], v[74:75]
	s_waitcnt lgkmcnt(2)
	v_mul_f64 v[94:95], v[82:83], v[74:75]
	v_mul_f64 v[96:97], v[80:81], v[74:75]
	;; [unrolled: 3-line block ×4, first 2 shown]
	v_fma_f64 v[44:45], v[66:67], v[42:43], -v[44:45]
	v_fma_f64 v[66:67], v[68:69], v[42:43], v[92:93]
	v_fma_f64 v[68:69], v[80:81], v[42:43], -v[94:95]
	v_fma_f64 v[80:81], v[82:83], v[42:43], v[96:97]
	;; [unrolled: 2-line block ×4, first 2 shown]
	v_add_f64 v[10:11], v[10:11], -v[44:45]
	v_add_f64 v[12:13], v[12:13], -v[66:67]
	;; [unrolled: 1-line block ×8, first 2 shown]
	v_mov_b32_e32 v44, v74
	v_mov_b32_e32 v45, v75
.LBB30_104:
	s_or_b64 exec, exec, s[0:1]
	v_lshl_add_u32 v66, v76, 4, v1
	s_barrier
	ds_write2_b64 v66, v[38:39], v[40:41] offset1:1
	s_waitcnt lgkmcnt(0)
	s_barrier
	ds_read2_b64 v[66:69], v1 offset0:10 offset1:11
	s_cmp_lt_i32 s22, 7
	v_mov_b32_e32 v74, 5
	s_cbranch_scc1 .LBB30_107
; %bb.105:
	v_add_u32_e32 v75, 0x60, v1
	s_mov_b32 s2, 6
	v_mov_b32_e32 v74, 5
.LBB30_106:                             ; =>This Inner Loop Header: Depth=1
	s_waitcnt lgkmcnt(0)
	v_cmp_gt_f64_e32 vcc, 0, v[68:69]
	v_cmp_gt_f64_e64 s[0:1], 0, v[66:67]
	ds_read2_b64 v[80:83], v75 offset1:1
	v_xor_b32_e32 v85, 0x80000000, v67
	v_xor_b32_e32 v87, 0x80000000, v69
	v_mov_b32_e32 v84, v66
	v_mov_b32_e32 v86, v68
	s_waitcnt lgkmcnt(0)
	v_xor_b32_e32 v89, 0x80000000, v83
	v_cndmask_b32_e32 v87, v69, v87, vcc
	v_cndmask_b32_e64 v85, v67, v85, s[0:1]
	v_cmp_gt_f64_e32 vcc, 0, v[82:83]
	v_cmp_gt_f64_e64 s[0:1], 0, v[80:81]
	v_add_f64 v[84:85], v[84:85], v[86:87]
	v_xor_b32_e32 v87, 0x80000000, v81
	v_mov_b32_e32 v86, v80
	v_mov_b32_e32 v88, v82
	v_add_u32_e32 v75, 16, v75
	v_cndmask_b32_e32 v89, v83, v89, vcc
	v_cndmask_b32_e64 v87, v81, v87, s[0:1]
	v_add_f64 v[86:87], v[86:87], v[88:89]
	v_mov_b32_e32 v88, s2
	s_add_i32 s2, s2, 1
	s_cmp_lg_u32 s22, s2
	v_cmp_lt_f64_e32 vcc, v[84:85], v[86:87]
	v_cndmask_b32_e32 v67, v67, v81, vcc
	v_cndmask_b32_e32 v66, v66, v80, vcc
	;; [unrolled: 1-line block ×5, first 2 shown]
	s_cbranch_scc1 .LBB30_106
.LBB30_107:
	s_waitcnt lgkmcnt(0)
	v_cmp_eq_f64_e32 vcc, 0, v[66:67]
	v_cmp_eq_f64_e64 s[0:1], 0, v[68:69]
	s_and_b64 s[0:1], vcc, s[0:1]
	s_and_saveexec_b64 s[2:3], s[0:1]
	s_xor_b64 s[0:1], exec, s[2:3]
; %bb.108:
	v_cmp_ne_u32_e32 vcc, 0, v79
	v_cndmask_b32_e32 v79, 6, v79, vcc
; %bb.109:
	s_andn2_saveexec_b64 s[0:1], s[0:1]
	s_cbranch_execz .LBB30_115
; %bb.110:
	v_cmp_ngt_f64_e64 s[2:3], |v[66:67]|, |v[68:69]|
	s_and_saveexec_b64 s[4:5], s[2:3]
	s_xor_b64 s[2:3], exec, s[4:5]
	s_cbranch_execz .LBB30_112
; %bb.111:
	v_div_scale_f64 v[80:81], s[4:5], v[68:69], v[68:69], v[66:67]
	v_rcp_f64_e32 v[82:83], v[80:81]
	v_fma_f64 v[84:85], -v[80:81], v[82:83], 1.0
	v_fma_f64 v[82:83], v[82:83], v[84:85], v[82:83]
	v_div_scale_f64 v[84:85], vcc, v[66:67], v[68:69], v[66:67]
	v_fma_f64 v[86:87], -v[80:81], v[82:83], 1.0
	v_fma_f64 v[82:83], v[82:83], v[86:87], v[82:83]
	v_mul_f64 v[86:87], v[84:85], v[82:83]
	v_fma_f64 v[80:81], -v[80:81], v[86:87], v[84:85]
	v_div_fmas_f64 v[80:81], v[80:81], v[82:83], v[86:87]
	v_div_fixup_f64 v[80:81], v[80:81], v[68:69], v[66:67]
	v_fma_f64 v[66:67], v[66:67], v[80:81], v[68:69]
	v_div_scale_f64 v[68:69], s[4:5], v[66:67], v[66:67], 1.0
	v_div_scale_f64 v[86:87], vcc, 1.0, v[66:67], 1.0
	v_rcp_f64_e32 v[82:83], v[68:69]
	v_fma_f64 v[84:85], -v[68:69], v[82:83], 1.0
	v_fma_f64 v[82:83], v[82:83], v[84:85], v[82:83]
	v_fma_f64 v[84:85], -v[68:69], v[82:83], 1.0
	v_fma_f64 v[82:83], v[82:83], v[84:85], v[82:83]
	v_mul_f64 v[84:85], v[86:87], v[82:83]
	v_fma_f64 v[68:69], -v[68:69], v[84:85], v[86:87]
	v_div_fmas_f64 v[68:69], v[68:69], v[82:83], v[84:85]
	v_div_fixup_f64 v[68:69], v[68:69], v[66:67], 1.0
	v_mul_f64 v[66:67], v[80:81], v[68:69]
	v_xor_b32_e32 v69, 0x80000000, v69
.LBB30_112:
	s_andn2_saveexec_b64 s[2:3], s[2:3]
	s_cbranch_execz .LBB30_114
; %bb.113:
	v_div_scale_f64 v[80:81], s[4:5], v[66:67], v[66:67], v[68:69]
	v_rcp_f64_e32 v[82:83], v[80:81]
	v_fma_f64 v[84:85], -v[80:81], v[82:83], 1.0
	v_fma_f64 v[82:83], v[82:83], v[84:85], v[82:83]
	v_div_scale_f64 v[84:85], vcc, v[68:69], v[66:67], v[68:69]
	v_fma_f64 v[86:87], -v[80:81], v[82:83], 1.0
	v_fma_f64 v[82:83], v[82:83], v[86:87], v[82:83]
	v_mul_f64 v[86:87], v[84:85], v[82:83]
	v_fma_f64 v[80:81], -v[80:81], v[86:87], v[84:85]
	v_div_fmas_f64 v[80:81], v[80:81], v[82:83], v[86:87]
	v_div_fixup_f64 v[80:81], v[80:81], v[66:67], v[68:69]
	v_fma_f64 v[66:67], v[68:69], v[80:81], v[66:67]
	v_div_scale_f64 v[68:69], s[4:5], v[66:67], v[66:67], 1.0
	v_div_scale_f64 v[86:87], vcc, 1.0, v[66:67], 1.0
	v_rcp_f64_e32 v[82:83], v[68:69]
	v_fma_f64 v[84:85], -v[68:69], v[82:83], 1.0
	v_fma_f64 v[82:83], v[82:83], v[84:85], v[82:83]
	v_fma_f64 v[84:85], -v[68:69], v[82:83], 1.0
	v_fma_f64 v[82:83], v[82:83], v[84:85], v[82:83]
	v_mul_f64 v[84:85], v[86:87], v[82:83]
	v_fma_f64 v[68:69], -v[68:69], v[84:85], v[86:87]
	v_div_fmas_f64 v[68:69], v[68:69], v[82:83], v[84:85]
	v_div_fixup_f64 v[66:67], v[68:69], v[66:67], 1.0
	v_mul_f64 v[68:69], v[80:81], -v[66:67]
.LBB30_114:
	s_or_b64 exec, exec, s[2:3]
.LBB30_115:
	s_or_b64 exec, exec, s[0:1]
	v_cmp_ne_u32_e32 vcc, v76, v74
	s_and_saveexec_b64 s[0:1], vcc
	s_xor_b64 s[0:1], exec, s[0:1]
	s_cbranch_execz .LBB30_121
; %bb.116:
	v_cmp_eq_u32_e32 vcc, 5, v76
	s_and_saveexec_b64 s[2:3], vcc
	s_cbranch_execz .LBB30_120
; %bb.117:
	v_cmp_ne_u32_e32 vcc, 5, v74
	s_xor_b64 s[4:5], s[18:19], -1
	s_and_b64 s[24:25], s[4:5], vcc
	s_and_saveexec_b64 s[4:5], s[24:25]
	s_cbranch_execz .LBB30_119
; %bb.118:
	v_ashrrev_i32_e32 v75, 31, v74
	v_lshlrev_b64 v[75:76], 2, v[74:75]
	v_add_co_u32_e32 v75, vcc, v72, v75
	v_addc_co_u32_e32 v76, vcc, v73, v76, vcc
	global_load_dword v0, v[75:76], off
	global_load_dword v80, v[72:73], off offset:20
	s_waitcnt vmcnt(1)
	global_store_dword v[72:73], v0, off offset:20
	s_waitcnt vmcnt(1)
	global_store_dword v[75:76], v80, off
.LBB30_119:
	s_or_b64 exec, exec, s[4:5]
	v_mov_b32_e32 v76, v74
	v_mov_b32_e32 v0, v74
.LBB30_120:
	s_or_b64 exec, exec, s[2:3]
.LBB30_121:
	s_andn2_saveexec_b64 s[0:1], s[0:1]
	s_cbranch_execz .LBB30_123
; %bb.122:
	v_mov_b32_e32 v76, 5
	ds_write2_b64 v1, v[34:35], v[36:37] offset0:12 offset1:13
	ds_write2_b64 v1, v[30:31], v[32:33] offset0:14 offset1:15
	;; [unrolled: 1-line block ×10, first 2 shown]
.LBB30_123:
	s_or_b64 exec, exec, s[0:1]
	v_cmp_lt_i32_e32 vcc, 5, v76
	s_waitcnt vmcnt(0) lgkmcnt(0)
	s_barrier
	s_and_saveexec_b64 s[0:1], vcc
	s_cbranch_execz .LBB30_125
; %bb.124:
	v_mul_f64 v[74:75], v[66:67], v[40:41]
	v_mul_f64 v[40:41], v[68:69], v[40:41]
	ds_read2_b64 v[80:83], v1 offset0:12 offset1:13
	ds_read2_b64 v[84:87], v1 offset0:14 offset1:15
	;; [unrolled: 1-line block ×6, first 2 shown]
	v_fma_f64 v[74:75], v[68:69], v[38:39], v[74:75]
	v_fma_f64 v[38:39], v[66:67], v[38:39], -v[40:41]
	s_waitcnt lgkmcnt(5)
	v_mul_f64 v[40:41], v[82:83], v[74:75]
	v_mul_f64 v[66:67], v[80:81], v[74:75]
	s_waitcnt lgkmcnt(4)
	v_mul_f64 v[68:69], v[86:87], v[74:75]
	v_mul_f64 v[104:105], v[84:85], v[74:75]
	;; [unrolled: 3-line block ×3, first 2 shown]
	s_waitcnt lgkmcnt(2)
	v_mul_f64 v[110:111], v[94:95], v[74:75]
	s_waitcnt lgkmcnt(1)
	v_mul_f64 v[114:115], v[98:99], v[74:75]
	v_mul_f64 v[116:117], v[96:97], v[74:75]
	s_waitcnt lgkmcnt(0)
	v_mul_f64 v[118:119], v[102:103], v[74:75]
	v_fma_f64 v[40:41], v[80:81], v[38:39], -v[40:41]
	v_fma_f64 v[66:67], v[82:83], v[38:39], v[66:67]
	v_fma_f64 v[68:69], v[84:85], v[38:39], -v[68:69]
	v_fma_f64 v[80:81], v[86:87], v[38:39], v[104:105]
	v_mul_f64 v[82:83], v[100:101], v[74:75]
	v_fma_f64 v[84:85], v[88:89], v[38:39], -v[106:107]
	v_mul_f64 v[112:113], v[92:93], v[74:75]
	v_fma_f64 v[86:87], v[90:91], v[38:39], v[108:109]
	v_fma_f64 v[88:89], v[92:93], v[38:39], -v[110:111]
	v_add_f64 v[36:37], v[36:37], -v[66:67]
	v_fma_f64 v[66:67], v[96:97], v[38:39], -v[114:115]
	v_add_f64 v[32:33], v[32:33], -v[80:81]
	v_fma_f64 v[80:81], v[98:99], v[38:39], v[116:117]
	v_add_f64 v[26:27], v[26:27], -v[84:85]
	v_fma_f64 v[84:85], v[100:101], v[38:39], -v[118:119]
	v_fma_f64 v[82:83], v[102:103], v[38:39], v[82:83]
	v_add_f64 v[34:35], v[34:35], -v[40:41]
	v_fma_f64 v[40:41], v[94:95], v[38:39], v[112:113]
	v_add_f64 v[30:31], v[30:31], -v[68:69]
	v_add_f64 v[28:29], v[28:29], -v[86:87]
	;; [unrolled: 1-line block ×4, first 2 shown]
	ds_read2_b64 v[66:69], v1 offset0:24 offset1:25
	v_add_f64 v[20:21], v[20:21], -v[80:81]
	v_add_f64 v[14:15], v[14:15], -v[84:85]
	;; [unrolled: 1-line block ×3, first 2 shown]
	ds_read2_b64 v[80:83], v1 offset0:26 offset1:27
	ds_read2_b64 v[84:87], v1 offset0:28 offset1:29
	;; [unrolled: 1-line block ×3, first 2 shown]
	v_add_f64 v[24:25], v[24:25], -v[40:41]
	s_waitcnt lgkmcnt(3)
	v_mul_f64 v[40:41], v[68:69], v[74:75]
	v_mul_f64 v[92:93], v[66:67], v[74:75]
	s_waitcnt lgkmcnt(2)
	v_mul_f64 v[94:95], v[82:83], v[74:75]
	v_mul_f64 v[96:97], v[80:81], v[74:75]
	;; [unrolled: 3-line block ×4, first 2 shown]
	v_fma_f64 v[40:41], v[66:67], v[38:39], -v[40:41]
	v_fma_f64 v[66:67], v[68:69], v[38:39], v[92:93]
	v_fma_f64 v[68:69], v[80:81], v[38:39], -v[94:95]
	v_fma_f64 v[80:81], v[82:83], v[38:39], v[96:97]
	;; [unrolled: 2-line block ×4, first 2 shown]
	v_add_f64 v[10:11], v[10:11], -v[40:41]
	v_add_f64 v[12:13], v[12:13], -v[66:67]
	;; [unrolled: 1-line block ×8, first 2 shown]
	v_mov_b32_e32 v40, v74
	v_mov_b32_e32 v41, v75
.LBB30_125:
	s_or_b64 exec, exec, s[0:1]
	v_lshl_add_u32 v66, v76, 4, v1
	s_barrier
	ds_write2_b64 v66, v[34:35], v[36:37] offset1:1
	s_waitcnt lgkmcnt(0)
	s_barrier
	ds_read2_b64 v[66:69], v1 offset0:12 offset1:13
	s_cmp_lt_i32 s22, 8
	v_mov_b32_e32 v74, 6
	s_cbranch_scc1 .LBB30_128
; %bb.126:
	v_add_u32_e32 v75, 0x70, v1
	s_mov_b32 s2, 7
	v_mov_b32_e32 v74, 6
.LBB30_127:                             ; =>This Inner Loop Header: Depth=1
	s_waitcnt lgkmcnt(0)
	v_cmp_gt_f64_e32 vcc, 0, v[68:69]
	v_cmp_gt_f64_e64 s[0:1], 0, v[66:67]
	ds_read2_b64 v[80:83], v75 offset1:1
	v_xor_b32_e32 v85, 0x80000000, v67
	v_xor_b32_e32 v87, 0x80000000, v69
	v_mov_b32_e32 v84, v66
	v_mov_b32_e32 v86, v68
	s_waitcnt lgkmcnt(0)
	v_xor_b32_e32 v89, 0x80000000, v83
	v_cndmask_b32_e32 v87, v69, v87, vcc
	v_cndmask_b32_e64 v85, v67, v85, s[0:1]
	v_cmp_gt_f64_e32 vcc, 0, v[82:83]
	v_cmp_gt_f64_e64 s[0:1], 0, v[80:81]
	v_add_f64 v[84:85], v[84:85], v[86:87]
	v_xor_b32_e32 v87, 0x80000000, v81
	v_mov_b32_e32 v86, v80
	v_mov_b32_e32 v88, v82
	v_add_u32_e32 v75, 16, v75
	v_cndmask_b32_e32 v89, v83, v89, vcc
	v_cndmask_b32_e64 v87, v81, v87, s[0:1]
	v_add_f64 v[86:87], v[86:87], v[88:89]
	v_mov_b32_e32 v88, s2
	s_add_i32 s2, s2, 1
	s_cmp_lg_u32 s22, s2
	v_cmp_lt_f64_e32 vcc, v[84:85], v[86:87]
	v_cndmask_b32_e32 v67, v67, v81, vcc
	v_cndmask_b32_e32 v66, v66, v80, vcc
	;; [unrolled: 1-line block ×5, first 2 shown]
	s_cbranch_scc1 .LBB30_127
.LBB30_128:
	s_waitcnt lgkmcnt(0)
	v_cmp_eq_f64_e32 vcc, 0, v[66:67]
	v_cmp_eq_f64_e64 s[0:1], 0, v[68:69]
	s_and_b64 s[0:1], vcc, s[0:1]
	s_and_saveexec_b64 s[2:3], s[0:1]
	s_xor_b64 s[0:1], exec, s[2:3]
; %bb.129:
	v_cmp_ne_u32_e32 vcc, 0, v79
	v_cndmask_b32_e32 v79, 7, v79, vcc
; %bb.130:
	s_andn2_saveexec_b64 s[0:1], s[0:1]
	s_cbranch_execz .LBB30_136
; %bb.131:
	v_cmp_ngt_f64_e64 s[2:3], |v[66:67]|, |v[68:69]|
	s_and_saveexec_b64 s[4:5], s[2:3]
	s_xor_b64 s[2:3], exec, s[4:5]
	s_cbranch_execz .LBB30_133
; %bb.132:
	v_div_scale_f64 v[80:81], s[4:5], v[68:69], v[68:69], v[66:67]
	v_rcp_f64_e32 v[82:83], v[80:81]
	v_fma_f64 v[84:85], -v[80:81], v[82:83], 1.0
	v_fma_f64 v[82:83], v[82:83], v[84:85], v[82:83]
	v_div_scale_f64 v[84:85], vcc, v[66:67], v[68:69], v[66:67]
	v_fma_f64 v[86:87], -v[80:81], v[82:83], 1.0
	v_fma_f64 v[82:83], v[82:83], v[86:87], v[82:83]
	v_mul_f64 v[86:87], v[84:85], v[82:83]
	v_fma_f64 v[80:81], -v[80:81], v[86:87], v[84:85]
	v_div_fmas_f64 v[80:81], v[80:81], v[82:83], v[86:87]
	v_div_fixup_f64 v[80:81], v[80:81], v[68:69], v[66:67]
	v_fma_f64 v[66:67], v[66:67], v[80:81], v[68:69]
	v_div_scale_f64 v[68:69], s[4:5], v[66:67], v[66:67], 1.0
	v_div_scale_f64 v[86:87], vcc, 1.0, v[66:67], 1.0
	v_rcp_f64_e32 v[82:83], v[68:69]
	v_fma_f64 v[84:85], -v[68:69], v[82:83], 1.0
	v_fma_f64 v[82:83], v[82:83], v[84:85], v[82:83]
	v_fma_f64 v[84:85], -v[68:69], v[82:83], 1.0
	v_fma_f64 v[82:83], v[82:83], v[84:85], v[82:83]
	v_mul_f64 v[84:85], v[86:87], v[82:83]
	v_fma_f64 v[68:69], -v[68:69], v[84:85], v[86:87]
	v_div_fmas_f64 v[68:69], v[68:69], v[82:83], v[84:85]
	v_div_fixup_f64 v[68:69], v[68:69], v[66:67], 1.0
	v_mul_f64 v[66:67], v[80:81], v[68:69]
	v_xor_b32_e32 v69, 0x80000000, v69
.LBB30_133:
	s_andn2_saveexec_b64 s[2:3], s[2:3]
	s_cbranch_execz .LBB30_135
; %bb.134:
	v_div_scale_f64 v[80:81], s[4:5], v[66:67], v[66:67], v[68:69]
	v_rcp_f64_e32 v[82:83], v[80:81]
	v_fma_f64 v[84:85], -v[80:81], v[82:83], 1.0
	v_fma_f64 v[82:83], v[82:83], v[84:85], v[82:83]
	v_div_scale_f64 v[84:85], vcc, v[68:69], v[66:67], v[68:69]
	v_fma_f64 v[86:87], -v[80:81], v[82:83], 1.0
	v_fma_f64 v[82:83], v[82:83], v[86:87], v[82:83]
	v_mul_f64 v[86:87], v[84:85], v[82:83]
	v_fma_f64 v[80:81], -v[80:81], v[86:87], v[84:85]
	v_div_fmas_f64 v[80:81], v[80:81], v[82:83], v[86:87]
	v_div_fixup_f64 v[80:81], v[80:81], v[66:67], v[68:69]
	v_fma_f64 v[66:67], v[68:69], v[80:81], v[66:67]
	v_div_scale_f64 v[68:69], s[4:5], v[66:67], v[66:67], 1.0
	v_div_scale_f64 v[86:87], vcc, 1.0, v[66:67], 1.0
	v_rcp_f64_e32 v[82:83], v[68:69]
	v_fma_f64 v[84:85], -v[68:69], v[82:83], 1.0
	v_fma_f64 v[82:83], v[82:83], v[84:85], v[82:83]
	v_fma_f64 v[84:85], -v[68:69], v[82:83], 1.0
	v_fma_f64 v[82:83], v[82:83], v[84:85], v[82:83]
	v_mul_f64 v[84:85], v[86:87], v[82:83]
	v_fma_f64 v[68:69], -v[68:69], v[84:85], v[86:87]
	v_div_fmas_f64 v[68:69], v[68:69], v[82:83], v[84:85]
	v_div_fixup_f64 v[66:67], v[68:69], v[66:67], 1.0
	v_mul_f64 v[68:69], v[80:81], -v[66:67]
.LBB30_135:
	s_or_b64 exec, exec, s[2:3]
.LBB30_136:
	s_or_b64 exec, exec, s[0:1]
	v_cmp_ne_u32_e32 vcc, v76, v74
	s_and_saveexec_b64 s[0:1], vcc
	s_xor_b64 s[0:1], exec, s[0:1]
	s_cbranch_execz .LBB30_142
; %bb.137:
	v_cmp_eq_u32_e32 vcc, 6, v76
	s_and_saveexec_b64 s[2:3], vcc
	s_cbranch_execz .LBB30_141
; %bb.138:
	v_cmp_ne_u32_e32 vcc, 6, v74
	s_xor_b64 s[4:5], s[18:19], -1
	s_and_b64 s[24:25], s[4:5], vcc
	s_and_saveexec_b64 s[4:5], s[24:25]
	s_cbranch_execz .LBB30_140
; %bb.139:
	v_ashrrev_i32_e32 v75, 31, v74
	v_lshlrev_b64 v[75:76], 2, v[74:75]
	v_add_co_u32_e32 v75, vcc, v72, v75
	v_addc_co_u32_e32 v76, vcc, v73, v76, vcc
	global_load_dword v0, v[75:76], off
	global_load_dword v80, v[72:73], off offset:24
	s_waitcnt vmcnt(1)
	global_store_dword v[72:73], v0, off offset:24
	s_waitcnt vmcnt(1)
	global_store_dword v[75:76], v80, off
.LBB30_140:
	s_or_b64 exec, exec, s[4:5]
	v_mov_b32_e32 v76, v74
	v_mov_b32_e32 v0, v74
.LBB30_141:
	s_or_b64 exec, exec, s[2:3]
.LBB30_142:
	s_andn2_saveexec_b64 s[0:1], s[0:1]
	s_cbranch_execz .LBB30_144
; %bb.143:
	v_mov_b32_e32 v76, 6
	ds_write2_b64 v1, v[30:31], v[32:33] offset0:14 offset1:15
	ds_write2_b64 v1, v[26:27], v[28:29] offset0:16 offset1:17
	;; [unrolled: 1-line block ×9, first 2 shown]
.LBB30_144:
	s_or_b64 exec, exec, s[0:1]
	v_cmp_lt_i32_e32 vcc, 6, v76
	s_waitcnt vmcnt(0) lgkmcnt(0)
	s_barrier
	s_and_saveexec_b64 s[0:1], vcc
	s_cbranch_execz .LBB30_146
; %bb.145:
	v_mul_f64 v[74:75], v[66:67], v[36:37]
	v_mul_f64 v[36:37], v[68:69], v[36:37]
	ds_read2_b64 v[80:83], v1 offset0:14 offset1:15
	ds_read2_b64 v[84:87], v1 offset0:16 offset1:17
	;; [unrolled: 1-line block ×6, first 2 shown]
	v_fma_f64 v[74:75], v[68:69], v[34:35], v[74:75]
	v_fma_f64 v[34:35], v[66:67], v[34:35], -v[36:37]
	s_waitcnt lgkmcnt(5)
	v_mul_f64 v[36:37], v[82:83], v[74:75]
	v_mul_f64 v[66:67], v[80:81], v[74:75]
	s_waitcnt lgkmcnt(4)
	v_mul_f64 v[68:69], v[86:87], v[74:75]
	v_mul_f64 v[104:105], v[84:85], v[74:75]
	;; [unrolled: 3-line block ×5, first 2 shown]
	v_fma_f64 v[36:37], v[80:81], v[34:35], -v[36:37]
	v_fma_f64 v[66:67], v[82:83], v[34:35], v[66:67]
	v_fma_f64 v[68:69], v[84:85], v[34:35], -v[68:69]
	v_fma_f64 v[80:81], v[86:87], v[34:35], v[104:105]
	;; [unrolled: 2-line block ×5, first 2 shown]
	v_add_f64 v[32:33], v[32:33], -v[66:67]
	v_add_f64 v[26:27], v[26:27], -v[68:69]
	;; [unrolled: 1-line block ×6, first 2 shown]
	ds_read2_b64 v[66:69], v1 offset0:26 offset1:27
	ds_read2_b64 v[80:83], v1 offset0:28 offset1:29
	;; [unrolled: 1-line block ×3, first 2 shown]
	v_add_f64 v[30:31], v[30:31], -v[36:37]
	v_add_f64 v[20:21], v[20:21], -v[88:89]
	;; [unrolled: 1-line block ×4, first 2 shown]
	s_waitcnt lgkmcnt(3)
	v_mul_f64 v[36:37], v[102:103], v[74:75]
	v_mul_f64 v[88:89], v[100:101], v[74:75]
	s_waitcnt lgkmcnt(2)
	v_mul_f64 v[90:91], v[68:69], v[74:75]
	v_mul_f64 v[92:93], v[66:67], v[74:75]
	;; [unrolled: 3-line block ×4, first 2 shown]
	v_fma_f64 v[36:37], v[100:101], v[34:35], -v[36:37]
	v_fma_f64 v[88:89], v[102:103], v[34:35], v[88:89]
	v_fma_f64 v[66:67], v[66:67], v[34:35], -v[90:91]
	v_fma_f64 v[68:69], v[68:69], v[34:35], v[92:93]
	v_fma_f64 v[80:81], v[80:81], v[34:35], -v[94:95]
	v_fma_f64 v[82:83], v[82:83], v[34:35], v[96:97]
	v_fma_f64 v[84:85], v[84:85], v[34:35], -v[98:99]
	v_fma_f64 v[86:87], v[86:87], v[34:35], v[104:105]
	v_add_f64 v[10:11], v[10:11], -v[36:37]
	v_add_f64 v[12:13], v[12:13], -v[88:89]
	;; [unrolled: 1-line block ×8, first 2 shown]
	v_mov_b32_e32 v36, v74
	v_mov_b32_e32 v37, v75
.LBB30_146:
	s_or_b64 exec, exec, s[0:1]
	v_lshl_add_u32 v66, v76, 4, v1
	s_barrier
	ds_write2_b64 v66, v[30:31], v[32:33] offset1:1
	s_waitcnt lgkmcnt(0)
	s_barrier
	ds_read2_b64 v[66:69], v1 offset0:14 offset1:15
	s_cmp_lt_i32 s22, 9
	v_mov_b32_e32 v74, 7
	s_cbranch_scc1 .LBB30_149
; %bb.147:
	v_add_u32_e32 v75, 0x80, v1
	s_mov_b32 s2, 8
	v_mov_b32_e32 v74, 7
.LBB30_148:                             ; =>This Inner Loop Header: Depth=1
	s_waitcnt lgkmcnt(0)
	v_cmp_gt_f64_e32 vcc, 0, v[68:69]
	v_cmp_gt_f64_e64 s[0:1], 0, v[66:67]
	ds_read2_b64 v[80:83], v75 offset1:1
	v_xor_b32_e32 v85, 0x80000000, v67
	v_xor_b32_e32 v87, 0x80000000, v69
	v_mov_b32_e32 v84, v66
	v_mov_b32_e32 v86, v68
	s_waitcnt lgkmcnt(0)
	v_xor_b32_e32 v89, 0x80000000, v83
	v_cndmask_b32_e32 v87, v69, v87, vcc
	v_cndmask_b32_e64 v85, v67, v85, s[0:1]
	v_cmp_gt_f64_e32 vcc, 0, v[82:83]
	v_cmp_gt_f64_e64 s[0:1], 0, v[80:81]
	v_add_f64 v[84:85], v[84:85], v[86:87]
	v_xor_b32_e32 v87, 0x80000000, v81
	v_mov_b32_e32 v86, v80
	v_mov_b32_e32 v88, v82
	v_add_u32_e32 v75, 16, v75
	v_cndmask_b32_e32 v89, v83, v89, vcc
	v_cndmask_b32_e64 v87, v81, v87, s[0:1]
	v_add_f64 v[86:87], v[86:87], v[88:89]
	v_mov_b32_e32 v88, s2
	s_add_i32 s2, s2, 1
	s_cmp_lg_u32 s22, s2
	v_cmp_lt_f64_e32 vcc, v[84:85], v[86:87]
	v_cndmask_b32_e32 v67, v67, v81, vcc
	v_cndmask_b32_e32 v66, v66, v80, vcc
	;; [unrolled: 1-line block ×5, first 2 shown]
	s_cbranch_scc1 .LBB30_148
.LBB30_149:
	s_waitcnt lgkmcnt(0)
	v_cmp_eq_f64_e32 vcc, 0, v[66:67]
	v_cmp_eq_f64_e64 s[0:1], 0, v[68:69]
	s_and_b64 s[0:1], vcc, s[0:1]
	s_and_saveexec_b64 s[2:3], s[0:1]
	s_xor_b64 s[0:1], exec, s[2:3]
; %bb.150:
	v_cmp_ne_u32_e32 vcc, 0, v79
	v_cndmask_b32_e32 v79, 8, v79, vcc
; %bb.151:
	s_andn2_saveexec_b64 s[0:1], s[0:1]
	s_cbranch_execz .LBB30_157
; %bb.152:
	v_cmp_ngt_f64_e64 s[2:3], |v[66:67]|, |v[68:69]|
	s_and_saveexec_b64 s[4:5], s[2:3]
	s_xor_b64 s[2:3], exec, s[4:5]
	s_cbranch_execz .LBB30_154
; %bb.153:
	v_div_scale_f64 v[80:81], s[4:5], v[68:69], v[68:69], v[66:67]
	v_rcp_f64_e32 v[82:83], v[80:81]
	v_fma_f64 v[84:85], -v[80:81], v[82:83], 1.0
	v_fma_f64 v[82:83], v[82:83], v[84:85], v[82:83]
	v_div_scale_f64 v[84:85], vcc, v[66:67], v[68:69], v[66:67]
	v_fma_f64 v[86:87], -v[80:81], v[82:83], 1.0
	v_fma_f64 v[82:83], v[82:83], v[86:87], v[82:83]
	v_mul_f64 v[86:87], v[84:85], v[82:83]
	v_fma_f64 v[80:81], -v[80:81], v[86:87], v[84:85]
	v_div_fmas_f64 v[80:81], v[80:81], v[82:83], v[86:87]
	v_div_fixup_f64 v[80:81], v[80:81], v[68:69], v[66:67]
	v_fma_f64 v[66:67], v[66:67], v[80:81], v[68:69]
	v_div_scale_f64 v[68:69], s[4:5], v[66:67], v[66:67], 1.0
	v_div_scale_f64 v[86:87], vcc, 1.0, v[66:67], 1.0
	v_rcp_f64_e32 v[82:83], v[68:69]
	v_fma_f64 v[84:85], -v[68:69], v[82:83], 1.0
	v_fma_f64 v[82:83], v[82:83], v[84:85], v[82:83]
	v_fma_f64 v[84:85], -v[68:69], v[82:83], 1.0
	v_fma_f64 v[82:83], v[82:83], v[84:85], v[82:83]
	v_mul_f64 v[84:85], v[86:87], v[82:83]
	v_fma_f64 v[68:69], -v[68:69], v[84:85], v[86:87]
	v_div_fmas_f64 v[68:69], v[68:69], v[82:83], v[84:85]
	v_div_fixup_f64 v[68:69], v[68:69], v[66:67], 1.0
	v_mul_f64 v[66:67], v[80:81], v[68:69]
	v_xor_b32_e32 v69, 0x80000000, v69
.LBB30_154:
	s_andn2_saveexec_b64 s[2:3], s[2:3]
	s_cbranch_execz .LBB30_156
; %bb.155:
	v_div_scale_f64 v[80:81], s[4:5], v[66:67], v[66:67], v[68:69]
	v_rcp_f64_e32 v[82:83], v[80:81]
	v_fma_f64 v[84:85], -v[80:81], v[82:83], 1.0
	v_fma_f64 v[82:83], v[82:83], v[84:85], v[82:83]
	v_div_scale_f64 v[84:85], vcc, v[68:69], v[66:67], v[68:69]
	v_fma_f64 v[86:87], -v[80:81], v[82:83], 1.0
	v_fma_f64 v[82:83], v[82:83], v[86:87], v[82:83]
	v_mul_f64 v[86:87], v[84:85], v[82:83]
	v_fma_f64 v[80:81], -v[80:81], v[86:87], v[84:85]
	v_div_fmas_f64 v[80:81], v[80:81], v[82:83], v[86:87]
	v_div_fixup_f64 v[80:81], v[80:81], v[66:67], v[68:69]
	v_fma_f64 v[66:67], v[68:69], v[80:81], v[66:67]
	v_div_scale_f64 v[68:69], s[4:5], v[66:67], v[66:67], 1.0
	v_div_scale_f64 v[86:87], vcc, 1.0, v[66:67], 1.0
	v_rcp_f64_e32 v[82:83], v[68:69]
	v_fma_f64 v[84:85], -v[68:69], v[82:83], 1.0
	v_fma_f64 v[82:83], v[82:83], v[84:85], v[82:83]
	v_fma_f64 v[84:85], -v[68:69], v[82:83], 1.0
	v_fma_f64 v[82:83], v[82:83], v[84:85], v[82:83]
	v_mul_f64 v[84:85], v[86:87], v[82:83]
	v_fma_f64 v[68:69], -v[68:69], v[84:85], v[86:87]
	v_div_fmas_f64 v[68:69], v[68:69], v[82:83], v[84:85]
	v_div_fixup_f64 v[66:67], v[68:69], v[66:67], 1.0
	v_mul_f64 v[68:69], v[80:81], -v[66:67]
.LBB30_156:
	s_or_b64 exec, exec, s[2:3]
.LBB30_157:
	s_or_b64 exec, exec, s[0:1]
	v_cmp_ne_u32_e32 vcc, v76, v74
	s_and_saveexec_b64 s[0:1], vcc
	s_xor_b64 s[0:1], exec, s[0:1]
	s_cbranch_execz .LBB30_163
; %bb.158:
	v_cmp_eq_u32_e32 vcc, 7, v76
	s_and_saveexec_b64 s[2:3], vcc
	s_cbranch_execz .LBB30_162
; %bb.159:
	v_cmp_ne_u32_e32 vcc, 7, v74
	s_xor_b64 s[4:5], s[18:19], -1
	s_and_b64 s[24:25], s[4:5], vcc
	s_and_saveexec_b64 s[4:5], s[24:25]
	s_cbranch_execz .LBB30_161
; %bb.160:
	v_ashrrev_i32_e32 v75, 31, v74
	v_lshlrev_b64 v[75:76], 2, v[74:75]
	v_add_co_u32_e32 v75, vcc, v72, v75
	v_addc_co_u32_e32 v76, vcc, v73, v76, vcc
	global_load_dword v0, v[75:76], off
	global_load_dword v80, v[72:73], off offset:28
	s_waitcnt vmcnt(1)
	global_store_dword v[72:73], v0, off offset:28
	s_waitcnt vmcnt(1)
	global_store_dword v[75:76], v80, off
.LBB30_161:
	s_or_b64 exec, exec, s[4:5]
	v_mov_b32_e32 v76, v74
	v_mov_b32_e32 v0, v74
.LBB30_162:
	s_or_b64 exec, exec, s[2:3]
.LBB30_163:
	s_andn2_saveexec_b64 s[0:1], s[0:1]
	s_cbranch_execz .LBB30_165
; %bb.164:
	v_mov_b32_e32 v76, 7
	ds_write2_b64 v1, v[26:27], v[28:29] offset0:16 offset1:17
	ds_write2_b64 v1, v[22:23], v[24:25] offset0:18 offset1:19
	;; [unrolled: 1-line block ×8, first 2 shown]
.LBB30_165:
	s_or_b64 exec, exec, s[0:1]
	v_cmp_lt_i32_e32 vcc, 7, v76
	s_waitcnt vmcnt(0) lgkmcnt(0)
	s_barrier
	s_and_saveexec_b64 s[0:1], vcc
	s_cbranch_execz .LBB30_167
; %bb.166:
	v_mul_f64 v[74:75], v[66:67], v[32:33]
	v_mul_f64 v[32:33], v[68:69], v[32:33]
	ds_read2_b64 v[80:83], v1 offset0:16 offset1:17
	ds_read2_b64 v[84:87], v1 offset0:18 offset1:19
	;; [unrolled: 1-line block ×5, first 2 shown]
	v_fma_f64 v[74:75], v[68:69], v[30:31], v[74:75]
	v_fma_f64 v[30:31], v[66:67], v[30:31], -v[32:33]
	s_waitcnt lgkmcnt(4)
	v_mul_f64 v[32:33], v[82:83], v[74:75]
	v_mul_f64 v[66:67], v[80:81], v[74:75]
	s_waitcnt lgkmcnt(3)
	v_mul_f64 v[68:69], v[86:87], v[74:75]
	v_mul_f64 v[100:101], v[84:85], v[74:75]
	;; [unrolled: 3-line block ×4, first 2 shown]
	v_fma_f64 v[32:33], v[80:81], v[30:31], -v[32:33]
	v_fma_f64 v[66:67], v[82:83], v[30:31], v[66:67]
	v_fma_f64 v[68:69], v[84:85], v[30:31], -v[68:69]
	v_fma_f64 v[80:81], v[86:87], v[30:31], v[100:101]
	;; [unrolled: 2-line block ×4, first 2 shown]
	v_add_f64 v[26:27], v[26:27], -v[32:33]
	v_add_f64 v[28:29], v[28:29], -v[66:67]
	v_add_f64 v[22:23], v[22:23], -v[68:69]
	v_add_f64 v[24:25], v[24:25], -v[80:81]
	v_add_f64 v[18:19], v[18:19], -v[82:83]
	v_add_f64 v[20:21], v[20:21], -v[84:85]
	v_add_f64 v[14:15], v[14:15], -v[86:87]
	ds_read2_b64 v[66:69], v1 offset0:26 offset1:27
	ds_read2_b64 v[80:83], v1 offset0:28 offset1:29
	;; [unrolled: 1-line block ×3, first 2 shown]
	v_add_f64 v[16:17], v[16:17], -v[88:89]
	s_waitcnt lgkmcnt(3)
	v_mul_f64 v[32:33], v[98:99], v[74:75]
	v_mul_f64 v[88:89], v[96:97], v[74:75]
	s_waitcnt lgkmcnt(2)
	v_mul_f64 v[90:91], v[68:69], v[74:75]
	v_mul_f64 v[92:93], v[66:67], v[74:75]
	;; [unrolled: 3-line block ×4, first 2 shown]
	v_fma_f64 v[32:33], v[96:97], v[30:31], -v[32:33]
	v_fma_f64 v[88:89], v[98:99], v[30:31], v[88:89]
	v_fma_f64 v[66:67], v[66:67], v[30:31], -v[90:91]
	v_fma_f64 v[68:69], v[68:69], v[30:31], v[92:93]
	;; [unrolled: 2-line block ×4, first 2 shown]
	v_add_f64 v[10:11], v[10:11], -v[32:33]
	v_add_f64 v[12:13], v[12:13], -v[88:89]
	;; [unrolled: 1-line block ×8, first 2 shown]
	v_mov_b32_e32 v32, v74
	v_mov_b32_e32 v33, v75
.LBB30_167:
	s_or_b64 exec, exec, s[0:1]
	v_lshl_add_u32 v66, v76, 4, v1
	s_barrier
	ds_write2_b64 v66, v[26:27], v[28:29] offset1:1
	s_waitcnt lgkmcnt(0)
	s_barrier
	ds_read2_b64 v[66:69], v1 offset0:16 offset1:17
	s_cmp_lt_i32 s22, 10
	v_mov_b32_e32 v74, 8
	s_cbranch_scc1 .LBB30_170
; %bb.168:
	v_add_u32_e32 v75, 0x90, v1
	s_mov_b32 s2, 9
	v_mov_b32_e32 v74, 8
.LBB30_169:                             ; =>This Inner Loop Header: Depth=1
	s_waitcnt lgkmcnt(0)
	v_cmp_gt_f64_e32 vcc, 0, v[68:69]
	v_cmp_gt_f64_e64 s[0:1], 0, v[66:67]
	ds_read2_b64 v[80:83], v75 offset1:1
	v_xor_b32_e32 v85, 0x80000000, v67
	v_xor_b32_e32 v87, 0x80000000, v69
	v_mov_b32_e32 v84, v66
	v_mov_b32_e32 v86, v68
	s_waitcnt lgkmcnt(0)
	v_xor_b32_e32 v89, 0x80000000, v83
	v_cndmask_b32_e32 v87, v69, v87, vcc
	v_cndmask_b32_e64 v85, v67, v85, s[0:1]
	v_cmp_gt_f64_e32 vcc, 0, v[82:83]
	v_cmp_gt_f64_e64 s[0:1], 0, v[80:81]
	v_add_f64 v[84:85], v[84:85], v[86:87]
	v_xor_b32_e32 v87, 0x80000000, v81
	v_mov_b32_e32 v86, v80
	v_mov_b32_e32 v88, v82
	v_add_u32_e32 v75, 16, v75
	v_cndmask_b32_e32 v89, v83, v89, vcc
	v_cndmask_b32_e64 v87, v81, v87, s[0:1]
	v_add_f64 v[86:87], v[86:87], v[88:89]
	v_mov_b32_e32 v88, s2
	s_add_i32 s2, s2, 1
	s_cmp_lg_u32 s22, s2
	v_cmp_lt_f64_e32 vcc, v[84:85], v[86:87]
	v_cndmask_b32_e32 v67, v67, v81, vcc
	v_cndmask_b32_e32 v66, v66, v80, vcc
	;; [unrolled: 1-line block ×5, first 2 shown]
	s_cbranch_scc1 .LBB30_169
.LBB30_170:
	s_waitcnt lgkmcnt(0)
	v_cmp_eq_f64_e32 vcc, 0, v[66:67]
	v_cmp_eq_f64_e64 s[0:1], 0, v[68:69]
	s_and_b64 s[0:1], vcc, s[0:1]
	s_and_saveexec_b64 s[2:3], s[0:1]
	s_xor_b64 s[0:1], exec, s[2:3]
; %bb.171:
	v_cmp_ne_u32_e32 vcc, 0, v79
	v_cndmask_b32_e32 v79, 9, v79, vcc
; %bb.172:
	s_andn2_saveexec_b64 s[0:1], s[0:1]
	s_cbranch_execz .LBB30_178
; %bb.173:
	v_cmp_ngt_f64_e64 s[2:3], |v[66:67]|, |v[68:69]|
	s_and_saveexec_b64 s[4:5], s[2:3]
	s_xor_b64 s[2:3], exec, s[4:5]
	s_cbranch_execz .LBB30_175
; %bb.174:
	v_div_scale_f64 v[80:81], s[4:5], v[68:69], v[68:69], v[66:67]
	v_rcp_f64_e32 v[82:83], v[80:81]
	v_fma_f64 v[84:85], -v[80:81], v[82:83], 1.0
	v_fma_f64 v[82:83], v[82:83], v[84:85], v[82:83]
	v_div_scale_f64 v[84:85], vcc, v[66:67], v[68:69], v[66:67]
	v_fma_f64 v[86:87], -v[80:81], v[82:83], 1.0
	v_fma_f64 v[82:83], v[82:83], v[86:87], v[82:83]
	v_mul_f64 v[86:87], v[84:85], v[82:83]
	v_fma_f64 v[80:81], -v[80:81], v[86:87], v[84:85]
	v_div_fmas_f64 v[80:81], v[80:81], v[82:83], v[86:87]
	v_div_fixup_f64 v[80:81], v[80:81], v[68:69], v[66:67]
	v_fma_f64 v[66:67], v[66:67], v[80:81], v[68:69]
	v_div_scale_f64 v[68:69], s[4:5], v[66:67], v[66:67], 1.0
	v_div_scale_f64 v[86:87], vcc, 1.0, v[66:67], 1.0
	v_rcp_f64_e32 v[82:83], v[68:69]
	v_fma_f64 v[84:85], -v[68:69], v[82:83], 1.0
	v_fma_f64 v[82:83], v[82:83], v[84:85], v[82:83]
	v_fma_f64 v[84:85], -v[68:69], v[82:83], 1.0
	v_fma_f64 v[82:83], v[82:83], v[84:85], v[82:83]
	v_mul_f64 v[84:85], v[86:87], v[82:83]
	v_fma_f64 v[68:69], -v[68:69], v[84:85], v[86:87]
	v_div_fmas_f64 v[68:69], v[68:69], v[82:83], v[84:85]
	v_div_fixup_f64 v[68:69], v[68:69], v[66:67], 1.0
	v_mul_f64 v[66:67], v[80:81], v[68:69]
	v_xor_b32_e32 v69, 0x80000000, v69
.LBB30_175:
	s_andn2_saveexec_b64 s[2:3], s[2:3]
	s_cbranch_execz .LBB30_177
; %bb.176:
	v_div_scale_f64 v[80:81], s[4:5], v[66:67], v[66:67], v[68:69]
	v_rcp_f64_e32 v[82:83], v[80:81]
	v_fma_f64 v[84:85], -v[80:81], v[82:83], 1.0
	v_fma_f64 v[82:83], v[82:83], v[84:85], v[82:83]
	v_div_scale_f64 v[84:85], vcc, v[68:69], v[66:67], v[68:69]
	v_fma_f64 v[86:87], -v[80:81], v[82:83], 1.0
	v_fma_f64 v[82:83], v[82:83], v[86:87], v[82:83]
	v_mul_f64 v[86:87], v[84:85], v[82:83]
	v_fma_f64 v[80:81], -v[80:81], v[86:87], v[84:85]
	v_div_fmas_f64 v[80:81], v[80:81], v[82:83], v[86:87]
	v_div_fixup_f64 v[80:81], v[80:81], v[66:67], v[68:69]
	v_fma_f64 v[66:67], v[68:69], v[80:81], v[66:67]
	v_div_scale_f64 v[68:69], s[4:5], v[66:67], v[66:67], 1.0
	v_div_scale_f64 v[86:87], vcc, 1.0, v[66:67], 1.0
	v_rcp_f64_e32 v[82:83], v[68:69]
	v_fma_f64 v[84:85], -v[68:69], v[82:83], 1.0
	v_fma_f64 v[82:83], v[82:83], v[84:85], v[82:83]
	v_fma_f64 v[84:85], -v[68:69], v[82:83], 1.0
	v_fma_f64 v[82:83], v[82:83], v[84:85], v[82:83]
	v_mul_f64 v[84:85], v[86:87], v[82:83]
	v_fma_f64 v[68:69], -v[68:69], v[84:85], v[86:87]
	v_div_fmas_f64 v[68:69], v[68:69], v[82:83], v[84:85]
	v_div_fixup_f64 v[66:67], v[68:69], v[66:67], 1.0
	v_mul_f64 v[68:69], v[80:81], -v[66:67]
.LBB30_177:
	s_or_b64 exec, exec, s[2:3]
.LBB30_178:
	s_or_b64 exec, exec, s[0:1]
	v_cmp_ne_u32_e32 vcc, v76, v74
	s_and_saveexec_b64 s[0:1], vcc
	s_xor_b64 s[0:1], exec, s[0:1]
	s_cbranch_execz .LBB30_184
; %bb.179:
	v_cmp_eq_u32_e32 vcc, 8, v76
	s_and_saveexec_b64 s[2:3], vcc
	s_cbranch_execz .LBB30_183
; %bb.180:
	v_cmp_ne_u32_e32 vcc, 8, v74
	s_xor_b64 s[4:5], s[18:19], -1
	s_and_b64 s[24:25], s[4:5], vcc
	s_and_saveexec_b64 s[4:5], s[24:25]
	s_cbranch_execz .LBB30_182
; %bb.181:
	v_ashrrev_i32_e32 v75, 31, v74
	v_lshlrev_b64 v[75:76], 2, v[74:75]
	v_add_co_u32_e32 v75, vcc, v72, v75
	v_addc_co_u32_e32 v76, vcc, v73, v76, vcc
	global_load_dword v0, v[75:76], off
	global_load_dword v80, v[72:73], off offset:32
	s_waitcnt vmcnt(1)
	global_store_dword v[72:73], v0, off offset:32
	s_waitcnt vmcnt(1)
	global_store_dword v[75:76], v80, off
.LBB30_182:
	s_or_b64 exec, exec, s[4:5]
	v_mov_b32_e32 v76, v74
	v_mov_b32_e32 v0, v74
.LBB30_183:
	s_or_b64 exec, exec, s[2:3]
.LBB30_184:
	s_andn2_saveexec_b64 s[0:1], s[0:1]
	s_cbranch_execz .LBB30_186
; %bb.185:
	v_mov_b32_e32 v76, 8
	ds_write2_b64 v1, v[22:23], v[24:25] offset0:18 offset1:19
	ds_write2_b64 v1, v[18:19], v[20:21] offset0:20 offset1:21
	;; [unrolled: 1-line block ×7, first 2 shown]
.LBB30_186:
	s_or_b64 exec, exec, s[0:1]
	v_cmp_lt_i32_e32 vcc, 8, v76
	s_waitcnt vmcnt(0) lgkmcnt(0)
	s_barrier
	s_and_saveexec_b64 s[0:1], vcc
	s_cbranch_execz .LBB30_188
; %bb.187:
	v_mul_f64 v[74:75], v[66:67], v[28:29]
	v_mul_f64 v[28:29], v[68:69], v[28:29]
	ds_read2_b64 v[80:83], v1 offset0:18 offset1:19
	ds_read2_b64 v[84:87], v1 offset0:20 offset1:21
	;; [unrolled: 1-line block ×7, first 2 shown]
	v_fma_f64 v[68:69], v[68:69], v[26:27], v[74:75]
	v_fma_f64 v[26:27], v[66:67], v[26:27], -v[28:29]
	s_waitcnt lgkmcnt(6)
	v_mul_f64 v[28:29], v[82:83], v[68:69]
	v_mul_f64 v[66:67], v[80:81], v[68:69]
	s_waitcnt lgkmcnt(5)
	v_mul_f64 v[74:75], v[86:87], v[68:69]
	v_mul_f64 v[108:109], v[84:85], v[68:69]
	;; [unrolled: 3-line block ×4, first 2 shown]
	v_fma_f64 v[28:29], v[80:81], v[26:27], -v[28:29]
	v_fma_f64 v[66:67], v[82:83], v[26:27], v[66:67]
	v_fma_f64 v[74:75], v[84:85], v[26:27], -v[74:75]
	v_fma_f64 v[80:81], v[86:87], v[26:27], v[108:109]
	;; [unrolled: 2-line block ×3, first 2 shown]
	s_waitcnt lgkmcnt(2)
	v_mul_f64 v[86:87], v[98:99], v[68:69]
	v_mul_f64 v[88:89], v[96:97], v[68:69]
	v_add_f64 v[22:23], v[22:23], -v[28:29]
	v_add_f64 v[24:25], v[24:25], -v[66:67]
	;; [unrolled: 1-line block ×4, first 2 shown]
	s_waitcnt lgkmcnt(1)
	v_mul_f64 v[28:29], v[102:103], v[68:69]
	v_mul_f64 v[66:67], v[100:101], v[68:69]
	s_waitcnt lgkmcnt(0)
	v_mul_f64 v[74:75], v[106:107], v[68:69]
	v_mul_f64 v[80:81], v[104:105], v[68:69]
	v_add_f64 v[14:15], v[14:15], -v[82:83]
	v_add_f64 v[16:17], v[16:17], -v[84:85]
	v_fma_f64 v[82:83], v[92:93], v[26:27], -v[114:115]
	v_fma_f64 v[84:85], v[94:95], v[26:27], v[116:117]
	v_fma_f64 v[86:87], v[96:97], v[26:27], -v[86:87]
	v_fma_f64 v[88:89], v[98:99], v[26:27], v[88:89]
	;; [unrolled: 2-line block ×4, first 2 shown]
	v_add_f64 v[10:11], v[10:11], -v[82:83]
	v_add_f64 v[12:13], v[12:13], -v[84:85]
	;; [unrolled: 1-line block ×8, first 2 shown]
	v_mov_b32_e32 v28, v68
	v_mov_b32_e32 v29, v69
.LBB30_188:
	s_or_b64 exec, exec, s[0:1]
	v_lshl_add_u32 v66, v76, 4, v1
	s_barrier
	ds_write2_b64 v66, v[22:23], v[24:25] offset1:1
	s_waitcnt lgkmcnt(0)
	s_barrier
	ds_read2_b64 v[66:69], v1 offset0:18 offset1:19
	s_cmp_lt_i32 s22, 11
	v_mov_b32_e32 v74, 9
	s_cbranch_scc1 .LBB30_191
; %bb.189:
	v_add_u32_e32 v75, 0xa0, v1
	s_mov_b32 s2, 10
	v_mov_b32_e32 v74, 9
.LBB30_190:                             ; =>This Inner Loop Header: Depth=1
	s_waitcnt lgkmcnt(0)
	v_cmp_gt_f64_e32 vcc, 0, v[68:69]
	v_cmp_gt_f64_e64 s[0:1], 0, v[66:67]
	ds_read2_b64 v[80:83], v75 offset1:1
	v_xor_b32_e32 v85, 0x80000000, v67
	v_xor_b32_e32 v87, 0x80000000, v69
	v_mov_b32_e32 v84, v66
	v_mov_b32_e32 v86, v68
	s_waitcnt lgkmcnt(0)
	v_xor_b32_e32 v89, 0x80000000, v83
	v_cndmask_b32_e32 v87, v69, v87, vcc
	v_cndmask_b32_e64 v85, v67, v85, s[0:1]
	v_cmp_gt_f64_e32 vcc, 0, v[82:83]
	v_cmp_gt_f64_e64 s[0:1], 0, v[80:81]
	v_add_f64 v[84:85], v[84:85], v[86:87]
	v_xor_b32_e32 v87, 0x80000000, v81
	v_mov_b32_e32 v86, v80
	v_mov_b32_e32 v88, v82
	v_add_u32_e32 v75, 16, v75
	v_cndmask_b32_e32 v89, v83, v89, vcc
	v_cndmask_b32_e64 v87, v81, v87, s[0:1]
	v_add_f64 v[86:87], v[86:87], v[88:89]
	v_mov_b32_e32 v88, s2
	s_add_i32 s2, s2, 1
	s_cmp_lg_u32 s22, s2
	v_cmp_lt_f64_e32 vcc, v[84:85], v[86:87]
	v_cndmask_b32_e32 v67, v67, v81, vcc
	v_cndmask_b32_e32 v66, v66, v80, vcc
	;; [unrolled: 1-line block ×5, first 2 shown]
	s_cbranch_scc1 .LBB30_190
.LBB30_191:
	s_waitcnt lgkmcnt(0)
	v_cmp_eq_f64_e32 vcc, 0, v[66:67]
	v_cmp_eq_f64_e64 s[0:1], 0, v[68:69]
	s_and_b64 s[0:1], vcc, s[0:1]
	s_and_saveexec_b64 s[2:3], s[0:1]
	s_xor_b64 s[0:1], exec, s[2:3]
; %bb.192:
	v_cmp_ne_u32_e32 vcc, 0, v79
	v_cndmask_b32_e32 v79, 10, v79, vcc
; %bb.193:
	s_andn2_saveexec_b64 s[0:1], s[0:1]
	s_cbranch_execz .LBB30_199
; %bb.194:
	v_cmp_ngt_f64_e64 s[2:3], |v[66:67]|, |v[68:69]|
	s_and_saveexec_b64 s[4:5], s[2:3]
	s_xor_b64 s[2:3], exec, s[4:5]
	s_cbranch_execz .LBB30_196
; %bb.195:
	v_div_scale_f64 v[80:81], s[4:5], v[68:69], v[68:69], v[66:67]
	v_rcp_f64_e32 v[82:83], v[80:81]
	v_fma_f64 v[84:85], -v[80:81], v[82:83], 1.0
	v_fma_f64 v[82:83], v[82:83], v[84:85], v[82:83]
	v_div_scale_f64 v[84:85], vcc, v[66:67], v[68:69], v[66:67]
	v_fma_f64 v[86:87], -v[80:81], v[82:83], 1.0
	v_fma_f64 v[82:83], v[82:83], v[86:87], v[82:83]
	v_mul_f64 v[86:87], v[84:85], v[82:83]
	v_fma_f64 v[80:81], -v[80:81], v[86:87], v[84:85]
	v_div_fmas_f64 v[80:81], v[80:81], v[82:83], v[86:87]
	v_div_fixup_f64 v[80:81], v[80:81], v[68:69], v[66:67]
	v_fma_f64 v[66:67], v[66:67], v[80:81], v[68:69]
	v_div_scale_f64 v[68:69], s[4:5], v[66:67], v[66:67], 1.0
	v_div_scale_f64 v[86:87], vcc, 1.0, v[66:67], 1.0
	v_rcp_f64_e32 v[82:83], v[68:69]
	v_fma_f64 v[84:85], -v[68:69], v[82:83], 1.0
	v_fma_f64 v[82:83], v[82:83], v[84:85], v[82:83]
	v_fma_f64 v[84:85], -v[68:69], v[82:83], 1.0
	v_fma_f64 v[82:83], v[82:83], v[84:85], v[82:83]
	v_mul_f64 v[84:85], v[86:87], v[82:83]
	v_fma_f64 v[68:69], -v[68:69], v[84:85], v[86:87]
	v_div_fmas_f64 v[68:69], v[68:69], v[82:83], v[84:85]
	v_div_fixup_f64 v[68:69], v[68:69], v[66:67], 1.0
	v_mul_f64 v[66:67], v[80:81], v[68:69]
	v_xor_b32_e32 v69, 0x80000000, v69
.LBB30_196:
	s_andn2_saveexec_b64 s[2:3], s[2:3]
	s_cbranch_execz .LBB30_198
; %bb.197:
	v_div_scale_f64 v[80:81], s[4:5], v[66:67], v[66:67], v[68:69]
	v_rcp_f64_e32 v[82:83], v[80:81]
	v_fma_f64 v[84:85], -v[80:81], v[82:83], 1.0
	v_fma_f64 v[82:83], v[82:83], v[84:85], v[82:83]
	v_div_scale_f64 v[84:85], vcc, v[68:69], v[66:67], v[68:69]
	v_fma_f64 v[86:87], -v[80:81], v[82:83], 1.0
	v_fma_f64 v[82:83], v[82:83], v[86:87], v[82:83]
	v_mul_f64 v[86:87], v[84:85], v[82:83]
	v_fma_f64 v[80:81], -v[80:81], v[86:87], v[84:85]
	v_div_fmas_f64 v[80:81], v[80:81], v[82:83], v[86:87]
	v_div_fixup_f64 v[80:81], v[80:81], v[66:67], v[68:69]
	v_fma_f64 v[66:67], v[68:69], v[80:81], v[66:67]
	v_div_scale_f64 v[68:69], s[4:5], v[66:67], v[66:67], 1.0
	v_div_scale_f64 v[86:87], vcc, 1.0, v[66:67], 1.0
	v_rcp_f64_e32 v[82:83], v[68:69]
	v_fma_f64 v[84:85], -v[68:69], v[82:83], 1.0
	v_fma_f64 v[82:83], v[82:83], v[84:85], v[82:83]
	v_fma_f64 v[84:85], -v[68:69], v[82:83], 1.0
	v_fma_f64 v[82:83], v[82:83], v[84:85], v[82:83]
	v_mul_f64 v[84:85], v[86:87], v[82:83]
	v_fma_f64 v[68:69], -v[68:69], v[84:85], v[86:87]
	v_div_fmas_f64 v[68:69], v[68:69], v[82:83], v[84:85]
	v_div_fixup_f64 v[66:67], v[68:69], v[66:67], 1.0
	v_mul_f64 v[68:69], v[80:81], -v[66:67]
.LBB30_198:
	s_or_b64 exec, exec, s[2:3]
.LBB30_199:
	s_or_b64 exec, exec, s[0:1]
	v_cmp_ne_u32_e32 vcc, v76, v74
	s_and_saveexec_b64 s[0:1], vcc
	s_xor_b64 s[0:1], exec, s[0:1]
	s_cbranch_execz .LBB30_205
; %bb.200:
	v_cmp_eq_u32_e32 vcc, 9, v76
	s_and_saveexec_b64 s[2:3], vcc
	s_cbranch_execz .LBB30_204
; %bb.201:
	v_cmp_ne_u32_e32 vcc, 9, v74
	s_xor_b64 s[4:5], s[18:19], -1
	s_and_b64 s[24:25], s[4:5], vcc
	s_and_saveexec_b64 s[4:5], s[24:25]
	s_cbranch_execz .LBB30_203
; %bb.202:
	v_ashrrev_i32_e32 v75, 31, v74
	v_lshlrev_b64 v[75:76], 2, v[74:75]
	v_add_co_u32_e32 v75, vcc, v72, v75
	v_addc_co_u32_e32 v76, vcc, v73, v76, vcc
	global_load_dword v0, v[75:76], off
	global_load_dword v80, v[72:73], off offset:36
	s_waitcnt vmcnt(1)
	global_store_dword v[72:73], v0, off offset:36
	s_waitcnt vmcnt(1)
	global_store_dword v[75:76], v80, off
.LBB30_203:
	s_or_b64 exec, exec, s[4:5]
	v_mov_b32_e32 v76, v74
	v_mov_b32_e32 v0, v74
.LBB30_204:
	s_or_b64 exec, exec, s[2:3]
.LBB30_205:
	s_andn2_saveexec_b64 s[0:1], s[0:1]
	s_cbranch_execz .LBB30_207
; %bb.206:
	v_mov_b32_e32 v76, 9
	ds_write2_b64 v1, v[18:19], v[20:21] offset0:20 offset1:21
	ds_write2_b64 v1, v[14:15], v[16:17] offset0:22 offset1:23
	;; [unrolled: 1-line block ×6, first 2 shown]
.LBB30_207:
	s_or_b64 exec, exec, s[0:1]
	v_cmp_lt_i32_e32 vcc, 9, v76
	s_waitcnt vmcnt(0) lgkmcnt(0)
	s_barrier
	s_and_saveexec_b64 s[0:1], vcc
	s_cbranch_execz .LBB30_209
; %bb.208:
	v_mul_f64 v[74:75], v[66:67], v[24:25]
	v_mul_f64 v[24:25], v[68:69], v[24:25]
	ds_read2_b64 v[80:83], v1 offset0:20 offset1:21
	ds_read2_b64 v[84:87], v1 offset0:22 offset1:23
	ds_read2_b64 v[88:91], v1 offset0:24 offset1:25
	ds_read2_b64 v[92:95], v1 offset0:26 offset1:27
	ds_read2_b64 v[96:99], v1 offset0:28 offset1:29
	ds_read2_b64 v[100:103], v1 offset0:30 offset1:31
	v_fma_f64 v[68:69], v[68:69], v[22:23], v[74:75]
	v_fma_f64 v[22:23], v[66:67], v[22:23], -v[24:25]
	s_waitcnt lgkmcnt(5)
	v_mul_f64 v[24:25], v[82:83], v[68:69]
	v_mul_f64 v[66:67], v[80:81], v[68:69]
	s_waitcnt lgkmcnt(4)
	v_mul_f64 v[74:75], v[86:87], v[68:69]
	v_mul_f64 v[104:105], v[84:85], v[68:69]
	;; [unrolled: 3-line block ×5, first 2 shown]
	s_waitcnt lgkmcnt(0)
	v_mul_f64 v[118:119], v[102:103], v[68:69]
	v_fma_f64 v[24:25], v[80:81], v[22:23], -v[24:25]
	v_fma_f64 v[66:67], v[82:83], v[22:23], v[66:67]
	v_fma_f64 v[74:75], v[84:85], v[22:23], -v[74:75]
	v_fma_f64 v[80:81], v[86:87], v[22:23], v[104:105]
	v_mul_f64 v[82:83], v[100:101], v[68:69]
	v_fma_f64 v[84:85], v[88:89], v[22:23], -v[106:107]
	v_fma_f64 v[86:87], v[90:91], v[22:23], v[108:109]
	v_fma_f64 v[88:89], v[92:93], v[22:23], -v[110:111]
	v_add_f64 v[18:19], v[18:19], -v[24:25]
	v_add_f64 v[20:21], v[20:21], -v[66:67]
	;; [unrolled: 1-line block ×4, first 2 shown]
	v_fma_f64 v[24:25], v[94:95], v[22:23], v[112:113]
	v_fma_f64 v[66:67], v[96:97], v[22:23], -v[114:115]
	v_fma_f64 v[74:75], v[98:99], v[22:23], v[116:117]
	v_fma_f64 v[80:81], v[100:101], v[22:23], -v[118:119]
	v_fma_f64 v[82:83], v[102:103], v[22:23], v[82:83]
	v_add_f64 v[10:11], v[10:11], -v[84:85]
	v_add_f64 v[12:13], v[12:13], -v[86:87]
	v_add_f64 v[6:7], v[6:7], -v[88:89]
	v_add_f64 v[8:9], v[8:9], -v[24:25]
	v_add_f64 v[2:3], v[2:3], -v[66:67]
	v_add_f64 v[4:5], v[4:5], -v[74:75]
	v_add_f64 v[62:63], v[62:63], -v[80:81]
	v_add_f64 v[64:65], v[64:65], -v[82:83]
	v_mov_b32_e32 v24, v68
	v_mov_b32_e32 v25, v69
.LBB30_209:
	s_or_b64 exec, exec, s[0:1]
	v_lshl_add_u32 v66, v76, 4, v1
	s_barrier
	ds_write2_b64 v66, v[18:19], v[20:21] offset1:1
	s_waitcnt lgkmcnt(0)
	s_barrier
	ds_read2_b64 v[66:69], v1 offset0:20 offset1:21
	s_cmp_lt_i32 s22, 12
	v_mov_b32_e32 v74, 10
	s_cbranch_scc1 .LBB30_212
; %bb.210:
	v_add_u32_e32 v75, 0xb0, v1
	s_mov_b32 s2, 11
	v_mov_b32_e32 v74, 10
.LBB30_211:                             ; =>This Inner Loop Header: Depth=1
	s_waitcnt lgkmcnt(0)
	v_cmp_gt_f64_e32 vcc, 0, v[68:69]
	v_cmp_gt_f64_e64 s[0:1], 0, v[66:67]
	ds_read2_b64 v[80:83], v75 offset1:1
	v_xor_b32_e32 v85, 0x80000000, v67
	v_xor_b32_e32 v87, 0x80000000, v69
	v_mov_b32_e32 v84, v66
	v_mov_b32_e32 v86, v68
	s_waitcnt lgkmcnt(0)
	v_xor_b32_e32 v89, 0x80000000, v83
	v_cndmask_b32_e32 v87, v69, v87, vcc
	v_cndmask_b32_e64 v85, v67, v85, s[0:1]
	v_cmp_gt_f64_e32 vcc, 0, v[82:83]
	v_cmp_gt_f64_e64 s[0:1], 0, v[80:81]
	v_add_f64 v[84:85], v[84:85], v[86:87]
	v_xor_b32_e32 v87, 0x80000000, v81
	v_mov_b32_e32 v86, v80
	v_mov_b32_e32 v88, v82
	v_add_u32_e32 v75, 16, v75
	v_cndmask_b32_e32 v89, v83, v89, vcc
	v_cndmask_b32_e64 v87, v81, v87, s[0:1]
	v_add_f64 v[86:87], v[86:87], v[88:89]
	v_mov_b32_e32 v88, s2
	s_add_i32 s2, s2, 1
	s_cmp_lg_u32 s22, s2
	v_cmp_lt_f64_e32 vcc, v[84:85], v[86:87]
	v_cndmask_b32_e32 v67, v67, v81, vcc
	v_cndmask_b32_e32 v66, v66, v80, vcc
	;; [unrolled: 1-line block ×5, first 2 shown]
	s_cbranch_scc1 .LBB30_211
.LBB30_212:
	s_waitcnt lgkmcnt(0)
	v_cmp_eq_f64_e32 vcc, 0, v[66:67]
	v_cmp_eq_f64_e64 s[0:1], 0, v[68:69]
	s_and_b64 s[0:1], vcc, s[0:1]
	s_and_saveexec_b64 s[2:3], s[0:1]
	s_xor_b64 s[0:1], exec, s[2:3]
; %bb.213:
	v_cmp_ne_u32_e32 vcc, 0, v79
	v_cndmask_b32_e32 v79, 11, v79, vcc
; %bb.214:
	s_andn2_saveexec_b64 s[0:1], s[0:1]
	s_cbranch_execz .LBB30_220
; %bb.215:
	v_cmp_ngt_f64_e64 s[2:3], |v[66:67]|, |v[68:69]|
	s_and_saveexec_b64 s[4:5], s[2:3]
	s_xor_b64 s[2:3], exec, s[4:5]
	s_cbranch_execz .LBB30_217
; %bb.216:
	v_div_scale_f64 v[80:81], s[4:5], v[68:69], v[68:69], v[66:67]
	v_rcp_f64_e32 v[82:83], v[80:81]
	v_fma_f64 v[84:85], -v[80:81], v[82:83], 1.0
	v_fma_f64 v[82:83], v[82:83], v[84:85], v[82:83]
	v_div_scale_f64 v[84:85], vcc, v[66:67], v[68:69], v[66:67]
	v_fma_f64 v[86:87], -v[80:81], v[82:83], 1.0
	v_fma_f64 v[82:83], v[82:83], v[86:87], v[82:83]
	v_mul_f64 v[86:87], v[84:85], v[82:83]
	v_fma_f64 v[80:81], -v[80:81], v[86:87], v[84:85]
	v_div_fmas_f64 v[80:81], v[80:81], v[82:83], v[86:87]
	v_div_fixup_f64 v[80:81], v[80:81], v[68:69], v[66:67]
	v_fma_f64 v[66:67], v[66:67], v[80:81], v[68:69]
	v_div_scale_f64 v[68:69], s[4:5], v[66:67], v[66:67], 1.0
	v_div_scale_f64 v[86:87], vcc, 1.0, v[66:67], 1.0
	v_rcp_f64_e32 v[82:83], v[68:69]
	v_fma_f64 v[84:85], -v[68:69], v[82:83], 1.0
	v_fma_f64 v[82:83], v[82:83], v[84:85], v[82:83]
	v_fma_f64 v[84:85], -v[68:69], v[82:83], 1.0
	v_fma_f64 v[82:83], v[82:83], v[84:85], v[82:83]
	v_mul_f64 v[84:85], v[86:87], v[82:83]
	v_fma_f64 v[68:69], -v[68:69], v[84:85], v[86:87]
	v_div_fmas_f64 v[68:69], v[68:69], v[82:83], v[84:85]
	v_div_fixup_f64 v[68:69], v[68:69], v[66:67], 1.0
	v_mul_f64 v[66:67], v[80:81], v[68:69]
	v_xor_b32_e32 v69, 0x80000000, v69
.LBB30_217:
	s_andn2_saveexec_b64 s[2:3], s[2:3]
	s_cbranch_execz .LBB30_219
; %bb.218:
	v_div_scale_f64 v[80:81], s[4:5], v[66:67], v[66:67], v[68:69]
	v_rcp_f64_e32 v[82:83], v[80:81]
	v_fma_f64 v[84:85], -v[80:81], v[82:83], 1.0
	v_fma_f64 v[82:83], v[82:83], v[84:85], v[82:83]
	v_div_scale_f64 v[84:85], vcc, v[68:69], v[66:67], v[68:69]
	v_fma_f64 v[86:87], -v[80:81], v[82:83], 1.0
	v_fma_f64 v[82:83], v[82:83], v[86:87], v[82:83]
	v_mul_f64 v[86:87], v[84:85], v[82:83]
	v_fma_f64 v[80:81], -v[80:81], v[86:87], v[84:85]
	v_div_fmas_f64 v[80:81], v[80:81], v[82:83], v[86:87]
	v_div_fixup_f64 v[80:81], v[80:81], v[66:67], v[68:69]
	v_fma_f64 v[66:67], v[68:69], v[80:81], v[66:67]
	v_div_scale_f64 v[68:69], s[4:5], v[66:67], v[66:67], 1.0
	v_div_scale_f64 v[86:87], vcc, 1.0, v[66:67], 1.0
	v_rcp_f64_e32 v[82:83], v[68:69]
	v_fma_f64 v[84:85], -v[68:69], v[82:83], 1.0
	v_fma_f64 v[82:83], v[82:83], v[84:85], v[82:83]
	v_fma_f64 v[84:85], -v[68:69], v[82:83], 1.0
	v_fma_f64 v[82:83], v[82:83], v[84:85], v[82:83]
	v_mul_f64 v[84:85], v[86:87], v[82:83]
	v_fma_f64 v[68:69], -v[68:69], v[84:85], v[86:87]
	v_div_fmas_f64 v[68:69], v[68:69], v[82:83], v[84:85]
	v_div_fixup_f64 v[66:67], v[68:69], v[66:67], 1.0
	v_mul_f64 v[68:69], v[80:81], -v[66:67]
.LBB30_219:
	s_or_b64 exec, exec, s[2:3]
.LBB30_220:
	s_or_b64 exec, exec, s[0:1]
	v_cmp_ne_u32_e32 vcc, v76, v74
	s_and_saveexec_b64 s[0:1], vcc
	s_xor_b64 s[0:1], exec, s[0:1]
	s_cbranch_execz .LBB30_226
; %bb.221:
	v_cmp_eq_u32_e32 vcc, 10, v76
	s_and_saveexec_b64 s[2:3], vcc
	s_cbranch_execz .LBB30_225
; %bb.222:
	v_cmp_ne_u32_e32 vcc, 10, v74
	s_xor_b64 s[4:5], s[18:19], -1
	s_and_b64 s[24:25], s[4:5], vcc
	s_and_saveexec_b64 s[4:5], s[24:25]
	s_cbranch_execz .LBB30_224
; %bb.223:
	v_ashrrev_i32_e32 v75, 31, v74
	v_lshlrev_b64 v[75:76], 2, v[74:75]
	v_add_co_u32_e32 v75, vcc, v72, v75
	v_addc_co_u32_e32 v76, vcc, v73, v76, vcc
	global_load_dword v0, v[75:76], off
	global_load_dword v80, v[72:73], off offset:40
	s_waitcnt vmcnt(1)
	global_store_dword v[72:73], v0, off offset:40
	s_waitcnt vmcnt(1)
	global_store_dword v[75:76], v80, off
.LBB30_224:
	s_or_b64 exec, exec, s[4:5]
	v_mov_b32_e32 v76, v74
	v_mov_b32_e32 v0, v74
.LBB30_225:
	s_or_b64 exec, exec, s[2:3]
.LBB30_226:
	s_andn2_saveexec_b64 s[0:1], s[0:1]
	s_cbranch_execz .LBB30_228
; %bb.227:
	v_mov_b32_e32 v76, 10
	ds_write2_b64 v1, v[14:15], v[16:17] offset0:22 offset1:23
	ds_write2_b64 v1, v[10:11], v[12:13] offset0:24 offset1:25
	;; [unrolled: 1-line block ×5, first 2 shown]
.LBB30_228:
	s_or_b64 exec, exec, s[0:1]
	v_cmp_lt_i32_e32 vcc, 10, v76
	s_waitcnt vmcnt(0) lgkmcnt(0)
	s_barrier
	s_and_saveexec_b64 s[0:1], vcc
	s_cbranch_execz .LBB30_230
; %bb.229:
	v_mul_f64 v[74:75], v[66:67], v[20:21]
	v_mul_f64 v[20:21], v[68:69], v[20:21]
	ds_read2_b64 v[80:83], v1 offset0:22 offset1:23
	ds_read2_b64 v[84:87], v1 offset0:24 offset1:25
	;; [unrolled: 1-line block ×5, first 2 shown]
	v_fma_f64 v[68:69], v[68:69], v[18:19], v[74:75]
	v_fma_f64 v[18:19], v[66:67], v[18:19], -v[20:21]
	s_waitcnt lgkmcnt(4)
	v_mul_f64 v[20:21], v[82:83], v[68:69]
	v_mul_f64 v[66:67], v[80:81], v[68:69]
	s_waitcnt lgkmcnt(3)
	v_mul_f64 v[74:75], v[86:87], v[68:69]
	v_mul_f64 v[100:101], v[84:85], v[68:69]
	;; [unrolled: 3-line block ×5, first 2 shown]
	v_fma_f64 v[20:21], v[80:81], v[18:19], -v[20:21]
	v_fma_f64 v[66:67], v[82:83], v[18:19], v[66:67]
	v_fma_f64 v[74:75], v[84:85], v[18:19], -v[74:75]
	v_fma_f64 v[80:81], v[86:87], v[18:19], v[100:101]
	;; [unrolled: 2-line block ×5, first 2 shown]
	v_add_f64 v[14:15], v[14:15], -v[20:21]
	v_add_f64 v[16:17], v[16:17], -v[66:67]
	;; [unrolled: 1-line block ×10, first 2 shown]
	v_mov_b32_e32 v20, v68
	v_mov_b32_e32 v21, v69
.LBB30_230:
	s_or_b64 exec, exec, s[0:1]
	v_lshl_add_u32 v66, v76, 4, v1
	s_barrier
	ds_write2_b64 v66, v[14:15], v[16:17] offset1:1
	s_waitcnt lgkmcnt(0)
	s_barrier
	ds_read2_b64 v[66:69], v1 offset0:22 offset1:23
	s_cmp_lt_i32 s22, 13
	v_mov_b32_e32 v74, 11
	s_cbranch_scc1 .LBB30_233
; %bb.231:
	v_add_u32_e32 v75, 0xc0, v1
	s_mov_b32 s2, 12
	v_mov_b32_e32 v74, 11
.LBB30_232:                             ; =>This Inner Loop Header: Depth=1
	s_waitcnt lgkmcnt(0)
	v_cmp_gt_f64_e32 vcc, 0, v[68:69]
	v_cmp_gt_f64_e64 s[0:1], 0, v[66:67]
	ds_read2_b64 v[80:83], v75 offset1:1
	v_xor_b32_e32 v85, 0x80000000, v67
	v_xor_b32_e32 v87, 0x80000000, v69
	v_mov_b32_e32 v84, v66
	v_mov_b32_e32 v86, v68
	s_waitcnt lgkmcnt(0)
	v_xor_b32_e32 v89, 0x80000000, v83
	v_cndmask_b32_e32 v87, v69, v87, vcc
	v_cndmask_b32_e64 v85, v67, v85, s[0:1]
	v_cmp_gt_f64_e32 vcc, 0, v[82:83]
	v_cmp_gt_f64_e64 s[0:1], 0, v[80:81]
	v_add_f64 v[84:85], v[84:85], v[86:87]
	v_xor_b32_e32 v87, 0x80000000, v81
	v_mov_b32_e32 v86, v80
	v_mov_b32_e32 v88, v82
	v_add_u32_e32 v75, 16, v75
	v_cndmask_b32_e32 v89, v83, v89, vcc
	v_cndmask_b32_e64 v87, v81, v87, s[0:1]
	v_add_f64 v[86:87], v[86:87], v[88:89]
	v_mov_b32_e32 v88, s2
	s_add_i32 s2, s2, 1
	s_cmp_lg_u32 s22, s2
	v_cmp_lt_f64_e32 vcc, v[84:85], v[86:87]
	v_cndmask_b32_e32 v67, v67, v81, vcc
	v_cndmask_b32_e32 v66, v66, v80, vcc
	;; [unrolled: 1-line block ×5, first 2 shown]
	s_cbranch_scc1 .LBB30_232
.LBB30_233:
	s_waitcnt lgkmcnt(0)
	v_cmp_eq_f64_e32 vcc, 0, v[66:67]
	v_cmp_eq_f64_e64 s[0:1], 0, v[68:69]
	s_and_b64 s[0:1], vcc, s[0:1]
	s_and_saveexec_b64 s[2:3], s[0:1]
	s_xor_b64 s[0:1], exec, s[2:3]
; %bb.234:
	v_cmp_ne_u32_e32 vcc, 0, v79
	v_cndmask_b32_e32 v79, 12, v79, vcc
; %bb.235:
	s_andn2_saveexec_b64 s[0:1], s[0:1]
	s_cbranch_execz .LBB30_241
; %bb.236:
	v_cmp_ngt_f64_e64 s[2:3], |v[66:67]|, |v[68:69]|
	s_and_saveexec_b64 s[4:5], s[2:3]
	s_xor_b64 s[2:3], exec, s[4:5]
	s_cbranch_execz .LBB30_238
; %bb.237:
	v_div_scale_f64 v[80:81], s[4:5], v[68:69], v[68:69], v[66:67]
	v_rcp_f64_e32 v[82:83], v[80:81]
	v_fma_f64 v[84:85], -v[80:81], v[82:83], 1.0
	v_fma_f64 v[82:83], v[82:83], v[84:85], v[82:83]
	v_div_scale_f64 v[84:85], vcc, v[66:67], v[68:69], v[66:67]
	v_fma_f64 v[86:87], -v[80:81], v[82:83], 1.0
	v_fma_f64 v[82:83], v[82:83], v[86:87], v[82:83]
	v_mul_f64 v[86:87], v[84:85], v[82:83]
	v_fma_f64 v[80:81], -v[80:81], v[86:87], v[84:85]
	v_div_fmas_f64 v[80:81], v[80:81], v[82:83], v[86:87]
	v_div_fixup_f64 v[80:81], v[80:81], v[68:69], v[66:67]
	v_fma_f64 v[66:67], v[66:67], v[80:81], v[68:69]
	v_div_scale_f64 v[68:69], s[4:5], v[66:67], v[66:67], 1.0
	v_div_scale_f64 v[86:87], vcc, 1.0, v[66:67], 1.0
	v_rcp_f64_e32 v[82:83], v[68:69]
	v_fma_f64 v[84:85], -v[68:69], v[82:83], 1.0
	v_fma_f64 v[82:83], v[82:83], v[84:85], v[82:83]
	v_fma_f64 v[84:85], -v[68:69], v[82:83], 1.0
	v_fma_f64 v[82:83], v[82:83], v[84:85], v[82:83]
	v_mul_f64 v[84:85], v[86:87], v[82:83]
	v_fma_f64 v[68:69], -v[68:69], v[84:85], v[86:87]
	v_div_fmas_f64 v[68:69], v[68:69], v[82:83], v[84:85]
	v_div_fixup_f64 v[68:69], v[68:69], v[66:67], 1.0
	v_mul_f64 v[66:67], v[80:81], v[68:69]
	v_xor_b32_e32 v69, 0x80000000, v69
.LBB30_238:
	s_andn2_saveexec_b64 s[2:3], s[2:3]
	s_cbranch_execz .LBB30_240
; %bb.239:
	v_div_scale_f64 v[80:81], s[4:5], v[66:67], v[66:67], v[68:69]
	v_rcp_f64_e32 v[82:83], v[80:81]
	v_fma_f64 v[84:85], -v[80:81], v[82:83], 1.0
	v_fma_f64 v[82:83], v[82:83], v[84:85], v[82:83]
	v_div_scale_f64 v[84:85], vcc, v[68:69], v[66:67], v[68:69]
	v_fma_f64 v[86:87], -v[80:81], v[82:83], 1.0
	v_fma_f64 v[82:83], v[82:83], v[86:87], v[82:83]
	v_mul_f64 v[86:87], v[84:85], v[82:83]
	v_fma_f64 v[80:81], -v[80:81], v[86:87], v[84:85]
	v_div_fmas_f64 v[80:81], v[80:81], v[82:83], v[86:87]
	v_div_fixup_f64 v[80:81], v[80:81], v[66:67], v[68:69]
	v_fma_f64 v[66:67], v[68:69], v[80:81], v[66:67]
	v_div_scale_f64 v[68:69], s[4:5], v[66:67], v[66:67], 1.0
	v_div_scale_f64 v[86:87], vcc, 1.0, v[66:67], 1.0
	v_rcp_f64_e32 v[82:83], v[68:69]
	v_fma_f64 v[84:85], -v[68:69], v[82:83], 1.0
	v_fma_f64 v[82:83], v[82:83], v[84:85], v[82:83]
	v_fma_f64 v[84:85], -v[68:69], v[82:83], 1.0
	v_fma_f64 v[82:83], v[82:83], v[84:85], v[82:83]
	v_mul_f64 v[84:85], v[86:87], v[82:83]
	v_fma_f64 v[68:69], -v[68:69], v[84:85], v[86:87]
	v_div_fmas_f64 v[68:69], v[68:69], v[82:83], v[84:85]
	v_div_fixup_f64 v[66:67], v[68:69], v[66:67], 1.0
	v_mul_f64 v[68:69], v[80:81], -v[66:67]
.LBB30_240:
	s_or_b64 exec, exec, s[2:3]
.LBB30_241:
	s_or_b64 exec, exec, s[0:1]
	v_cmp_ne_u32_e32 vcc, v76, v74
	s_and_saveexec_b64 s[0:1], vcc
	s_xor_b64 s[0:1], exec, s[0:1]
	s_cbranch_execz .LBB30_247
; %bb.242:
	v_cmp_eq_u32_e32 vcc, 11, v76
	s_and_saveexec_b64 s[2:3], vcc
	s_cbranch_execz .LBB30_246
; %bb.243:
	v_cmp_ne_u32_e32 vcc, 11, v74
	s_xor_b64 s[4:5], s[18:19], -1
	s_and_b64 s[24:25], s[4:5], vcc
	s_and_saveexec_b64 s[4:5], s[24:25]
	s_cbranch_execz .LBB30_245
; %bb.244:
	v_ashrrev_i32_e32 v75, 31, v74
	v_lshlrev_b64 v[75:76], 2, v[74:75]
	v_add_co_u32_e32 v75, vcc, v72, v75
	v_addc_co_u32_e32 v76, vcc, v73, v76, vcc
	global_load_dword v0, v[75:76], off
	global_load_dword v80, v[72:73], off offset:44
	s_waitcnt vmcnt(1)
	global_store_dword v[72:73], v0, off offset:44
	s_waitcnt vmcnt(1)
	global_store_dword v[75:76], v80, off
.LBB30_245:
	s_or_b64 exec, exec, s[4:5]
	v_mov_b32_e32 v76, v74
	v_mov_b32_e32 v0, v74
.LBB30_246:
	s_or_b64 exec, exec, s[2:3]
.LBB30_247:
	s_andn2_saveexec_b64 s[0:1], s[0:1]
	s_cbranch_execz .LBB30_249
; %bb.248:
	v_mov_b32_e32 v76, 11
	ds_write2_b64 v1, v[10:11], v[12:13] offset0:24 offset1:25
	ds_write2_b64 v1, v[6:7], v[8:9] offset0:26 offset1:27
	;; [unrolled: 1-line block ×4, first 2 shown]
.LBB30_249:
	s_or_b64 exec, exec, s[0:1]
	v_cmp_lt_i32_e32 vcc, 11, v76
	s_waitcnt vmcnt(0) lgkmcnt(0)
	s_barrier
	s_and_saveexec_b64 s[0:1], vcc
	s_cbranch_execz .LBB30_251
; %bb.250:
	v_mul_f64 v[74:75], v[66:67], v[16:17]
	v_mul_f64 v[16:17], v[68:69], v[16:17]
	ds_read2_b64 v[80:83], v1 offset0:24 offset1:25
	ds_read2_b64 v[84:87], v1 offset0:26 offset1:27
	;; [unrolled: 1-line block ×4, first 2 shown]
	v_fma_f64 v[68:69], v[68:69], v[14:15], v[74:75]
	v_fma_f64 v[14:15], v[66:67], v[14:15], -v[16:17]
	s_waitcnt lgkmcnt(3)
	v_mul_f64 v[16:17], v[82:83], v[68:69]
	v_mul_f64 v[66:67], v[80:81], v[68:69]
	s_waitcnt lgkmcnt(2)
	v_mul_f64 v[74:75], v[86:87], v[68:69]
	v_mul_f64 v[96:97], v[84:85], v[68:69]
	;; [unrolled: 3-line block ×4, first 2 shown]
	v_fma_f64 v[16:17], v[80:81], v[14:15], -v[16:17]
	v_fma_f64 v[66:67], v[82:83], v[14:15], v[66:67]
	v_fma_f64 v[74:75], v[84:85], v[14:15], -v[74:75]
	v_fma_f64 v[80:81], v[86:87], v[14:15], v[96:97]
	;; [unrolled: 2-line block ×4, first 2 shown]
	v_add_f64 v[10:11], v[10:11], -v[16:17]
	v_add_f64 v[12:13], v[12:13], -v[66:67]
	;; [unrolled: 1-line block ×8, first 2 shown]
	v_mov_b32_e32 v16, v68
	v_mov_b32_e32 v17, v69
.LBB30_251:
	s_or_b64 exec, exec, s[0:1]
	v_lshl_add_u32 v66, v76, 4, v1
	s_barrier
	ds_write2_b64 v66, v[10:11], v[12:13] offset1:1
	s_waitcnt lgkmcnt(0)
	s_barrier
	ds_read2_b64 v[66:69], v1 offset0:24 offset1:25
	s_cmp_lt_i32 s22, 14
	v_mov_b32_e32 v74, 12
	s_cbranch_scc1 .LBB30_254
; %bb.252:
	v_add_u32_e32 v75, 0xd0, v1
	s_mov_b32 s2, 13
	v_mov_b32_e32 v74, 12
.LBB30_253:                             ; =>This Inner Loop Header: Depth=1
	s_waitcnt lgkmcnt(0)
	v_cmp_gt_f64_e32 vcc, 0, v[68:69]
	v_cmp_gt_f64_e64 s[0:1], 0, v[66:67]
	ds_read2_b64 v[80:83], v75 offset1:1
	v_xor_b32_e32 v85, 0x80000000, v67
	v_xor_b32_e32 v87, 0x80000000, v69
	v_mov_b32_e32 v84, v66
	v_mov_b32_e32 v86, v68
	s_waitcnt lgkmcnt(0)
	v_xor_b32_e32 v89, 0x80000000, v83
	v_cndmask_b32_e32 v87, v69, v87, vcc
	v_cndmask_b32_e64 v85, v67, v85, s[0:1]
	v_cmp_gt_f64_e32 vcc, 0, v[82:83]
	v_cmp_gt_f64_e64 s[0:1], 0, v[80:81]
	v_add_f64 v[84:85], v[84:85], v[86:87]
	v_xor_b32_e32 v87, 0x80000000, v81
	v_mov_b32_e32 v86, v80
	v_mov_b32_e32 v88, v82
	v_add_u32_e32 v75, 16, v75
	v_cndmask_b32_e32 v89, v83, v89, vcc
	v_cndmask_b32_e64 v87, v81, v87, s[0:1]
	v_add_f64 v[86:87], v[86:87], v[88:89]
	v_mov_b32_e32 v88, s2
	s_add_i32 s2, s2, 1
	s_cmp_lg_u32 s22, s2
	v_cmp_lt_f64_e32 vcc, v[84:85], v[86:87]
	v_cndmask_b32_e32 v67, v67, v81, vcc
	v_cndmask_b32_e32 v66, v66, v80, vcc
	;; [unrolled: 1-line block ×5, first 2 shown]
	s_cbranch_scc1 .LBB30_253
.LBB30_254:
	s_waitcnt lgkmcnt(0)
	v_cmp_eq_f64_e32 vcc, 0, v[66:67]
	v_cmp_eq_f64_e64 s[0:1], 0, v[68:69]
	s_and_b64 s[0:1], vcc, s[0:1]
	s_and_saveexec_b64 s[2:3], s[0:1]
	s_xor_b64 s[0:1], exec, s[2:3]
; %bb.255:
	v_cmp_ne_u32_e32 vcc, 0, v79
	v_cndmask_b32_e32 v79, 13, v79, vcc
; %bb.256:
	s_andn2_saveexec_b64 s[0:1], s[0:1]
	s_cbranch_execz .LBB30_262
; %bb.257:
	v_cmp_ngt_f64_e64 s[2:3], |v[66:67]|, |v[68:69]|
	s_and_saveexec_b64 s[4:5], s[2:3]
	s_xor_b64 s[2:3], exec, s[4:5]
	s_cbranch_execz .LBB30_259
; %bb.258:
	v_div_scale_f64 v[80:81], s[4:5], v[68:69], v[68:69], v[66:67]
	v_rcp_f64_e32 v[82:83], v[80:81]
	v_fma_f64 v[84:85], -v[80:81], v[82:83], 1.0
	v_fma_f64 v[82:83], v[82:83], v[84:85], v[82:83]
	v_div_scale_f64 v[84:85], vcc, v[66:67], v[68:69], v[66:67]
	v_fma_f64 v[86:87], -v[80:81], v[82:83], 1.0
	v_fma_f64 v[82:83], v[82:83], v[86:87], v[82:83]
	v_mul_f64 v[86:87], v[84:85], v[82:83]
	v_fma_f64 v[80:81], -v[80:81], v[86:87], v[84:85]
	v_div_fmas_f64 v[80:81], v[80:81], v[82:83], v[86:87]
	v_div_fixup_f64 v[80:81], v[80:81], v[68:69], v[66:67]
	v_fma_f64 v[66:67], v[66:67], v[80:81], v[68:69]
	v_div_scale_f64 v[68:69], s[4:5], v[66:67], v[66:67], 1.0
	v_div_scale_f64 v[86:87], vcc, 1.0, v[66:67], 1.0
	v_rcp_f64_e32 v[82:83], v[68:69]
	v_fma_f64 v[84:85], -v[68:69], v[82:83], 1.0
	v_fma_f64 v[82:83], v[82:83], v[84:85], v[82:83]
	v_fma_f64 v[84:85], -v[68:69], v[82:83], 1.0
	v_fma_f64 v[82:83], v[82:83], v[84:85], v[82:83]
	v_mul_f64 v[84:85], v[86:87], v[82:83]
	v_fma_f64 v[68:69], -v[68:69], v[84:85], v[86:87]
	v_div_fmas_f64 v[68:69], v[68:69], v[82:83], v[84:85]
	v_div_fixup_f64 v[68:69], v[68:69], v[66:67], 1.0
	v_mul_f64 v[66:67], v[80:81], v[68:69]
	v_xor_b32_e32 v69, 0x80000000, v69
.LBB30_259:
	s_andn2_saveexec_b64 s[2:3], s[2:3]
	s_cbranch_execz .LBB30_261
; %bb.260:
	v_div_scale_f64 v[80:81], s[4:5], v[66:67], v[66:67], v[68:69]
	v_rcp_f64_e32 v[82:83], v[80:81]
	v_fma_f64 v[84:85], -v[80:81], v[82:83], 1.0
	v_fma_f64 v[82:83], v[82:83], v[84:85], v[82:83]
	v_div_scale_f64 v[84:85], vcc, v[68:69], v[66:67], v[68:69]
	v_fma_f64 v[86:87], -v[80:81], v[82:83], 1.0
	v_fma_f64 v[82:83], v[82:83], v[86:87], v[82:83]
	v_mul_f64 v[86:87], v[84:85], v[82:83]
	v_fma_f64 v[80:81], -v[80:81], v[86:87], v[84:85]
	v_div_fmas_f64 v[80:81], v[80:81], v[82:83], v[86:87]
	v_div_fixup_f64 v[80:81], v[80:81], v[66:67], v[68:69]
	v_fma_f64 v[66:67], v[68:69], v[80:81], v[66:67]
	v_div_scale_f64 v[68:69], s[4:5], v[66:67], v[66:67], 1.0
	v_div_scale_f64 v[86:87], vcc, 1.0, v[66:67], 1.0
	v_rcp_f64_e32 v[82:83], v[68:69]
	v_fma_f64 v[84:85], -v[68:69], v[82:83], 1.0
	v_fma_f64 v[82:83], v[82:83], v[84:85], v[82:83]
	v_fma_f64 v[84:85], -v[68:69], v[82:83], 1.0
	v_fma_f64 v[82:83], v[82:83], v[84:85], v[82:83]
	v_mul_f64 v[84:85], v[86:87], v[82:83]
	v_fma_f64 v[68:69], -v[68:69], v[84:85], v[86:87]
	v_div_fmas_f64 v[68:69], v[68:69], v[82:83], v[84:85]
	v_div_fixup_f64 v[66:67], v[68:69], v[66:67], 1.0
	v_mul_f64 v[68:69], v[80:81], -v[66:67]
.LBB30_261:
	s_or_b64 exec, exec, s[2:3]
.LBB30_262:
	s_or_b64 exec, exec, s[0:1]
	v_cmp_ne_u32_e32 vcc, v76, v74
	s_and_saveexec_b64 s[0:1], vcc
	s_xor_b64 s[0:1], exec, s[0:1]
	s_cbranch_execz .LBB30_268
; %bb.263:
	v_cmp_eq_u32_e32 vcc, 12, v76
	s_and_saveexec_b64 s[2:3], vcc
	s_cbranch_execz .LBB30_267
; %bb.264:
	v_cmp_ne_u32_e32 vcc, 12, v74
	s_xor_b64 s[4:5], s[18:19], -1
	s_and_b64 s[24:25], s[4:5], vcc
	s_and_saveexec_b64 s[4:5], s[24:25]
	s_cbranch_execz .LBB30_266
; %bb.265:
	v_ashrrev_i32_e32 v75, 31, v74
	v_lshlrev_b64 v[75:76], 2, v[74:75]
	v_add_co_u32_e32 v75, vcc, v72, v75
	v_addc_co_u32_e32 v76, vcc, v73, v76, vcc
	global_load_dword v0, v[75:76], off
	global_load_dword v80, v[72:73], off offset:48
	s_waitcnt vmcnt(1)
	global_store_dword v[72:73], v0, off offset:48
	s_waitcnt vmcnt(1)
	global_store_dword v[75:76], v80, off
.LBB30_266:
	s_or_b64 exec, exec, s[4:5]
	v_mov_b32_e32 v76, v74
	v_mov_b32_e32 v0, v74
.LBB30_267:
	s_or_b64 exec, exec, s[2:3]
.LBB30_268:
	s_andn2_saveexec_b64 s[0:1], s[0:1]
	s_cbranch_execz .LBB30_270
; %bb.269:
	v_mov_b32_e32 v76, 12
	ds_write2_b64 v1, v[6:7], v[8:9] offset0:26 offset1:27
	ds_write2_b64 v1, v[2:3], v[4:5] offset0:28 offset1:29
	;; [unrolled: 1-line block ×3, first 2 shown]
.LBB30_270:
	s_or_b64 exec, exec, s[0:1]
	v_cmp_lt_i32_e32 vcc, 12, v76
	s_waitcnt vmcnt(0) lgkmcnt(0)
	s_barrier
	s_and_saveexec_b64 s[0:1], vcc
	s_cbranch_execz .LBB30_272
; %bb.271:
	v_mul_f64 v[74:75], v[66:67], v[12:13]
	v_mul_f64 v[12:13], v[68:69], v[12:13]
	ds_read2_b64 v[80:83], v1 offset0:26 offset1:27
	ds_read2_b64 v[84:87], v1 offset0:28 offset1:29
	;; [unrolled: 1-line block ×3, first 2 shown]
	v_fma_f64 v[68:69], v[68:69], v[10:11], v[74:75]
	v_fma_f64 v[10:11], v[66:67], v[10:11], -v[12:13]
	s_waitcnt lgkmcnt(2)
	v_mul_f64 v[12:13], v[82:83], v[68:69]
	v_mul_f64 v[66:67], v[80:81], v[68:69]
	s_waitcnt lgkmcnt(1)
	v_mul_f64 v[74:75], v[86:87], v[68:69]
	v_mul_f64 v[92:93], v[84:85], v[68:69]
	;; [unrolled: 3-line block ×3, first 2 shown]
	v_fma_f64 v[12:13], v[80:81], v[10:11], -v[12:13]
	v_fma_f64 v[66:67], v[82:83], v[10:11], v[66:67]
	v_fma_f64 v[74:75], v[84:85], v[10:11], -v[74:75]
	v_fma_f64 v[80:81], v[86:87], v[10:11], v[92:93]
	;; [unrolled: 2-line block ×3, first 2 shown]
	v_add_f64 v[6:7], v[6:7], -v[12:13]
	v_add_f64 v[8:9], v[8:9], -v[66:67]
	;; [unrolled: 1-line block ×6, first 2 shown]
	v_mov_b32_e32 v12, v68
	v_mov_b32_e32 v13, v69
.LBB30_272:
	s_or_b64 exec, exec, s[0:1]
	v_lshl_add_u32 v66, v76, 4, v1
	s_barrier
	ds_write2_b64 v66, v[6:7], v[8:9] offset1:1
	s_waitcnt lgkmcnt(0)
	s_barrier
	ds_read2_b64 v[66:69], v1 offset0:26 offset1:27
	s_cmp_lt_i32 s22, 15
	v_mov_b32_e32 v74, 13
	s_cbranch_scc1 .LBB30_275
; %bb.273:
	v_add_u32_e32 v75, 0xe0, v1
	s_mov_b32 s2, 14
	v_mov_b32_e32 v74, 13
.LBB30_274:                             ; =>This Inner Loop Header: Depth=1
	s_waitcnt lgkmcnt(0)
	v_cmp_gt_f64_e32 vcc, 0, v[68:69]
	v_cmp_gt_f64_e64 s[0:1], 0, v[66:67]
	ds_read2_b64 v[80:83], v75 offset1:1
	v_xor_b32_e32 v85, 0x80000000, v67
	v_xor_b32_e32 v87, 0x80000000, v69
	v_mov_b32_e32 v84, v66
	v_mov_b32_e32 v86, v68
	s_waitcnt lgkmcnt(0)
	v_xor_b32_e32 v89, 0x80000000, v83
	v_cndmask_b32_e32 v87, v69, v87, vcc
	v_cndmask_b32_e64 v85, v67, v85, s[0:1]
	v_cmp_gt_f64_e32 vcc, 0, v[82:83]
	v_cmp_gt_f64_e64 s[0:1], 0, v[80:81]
	v_add_f64 v[84:85], v[84:85], v[86:87]
	v_xor_b32_e32 v87, 0x80000000, v81
	v_mov_b32_e32 v86, v80
	v_mov_b32_e32 v88, v82
	v_add_u32_e32 v75, 16, v75
	v_cndmask_b32_e32 v89, v83, v89, vcc
	v_cndmask_b32_e64 v87, v81, v87, s[0:1]
	v_add_f64 v[86:87], v[86:87], v[88:89]
	v_mov_b32_e32 v88, s2
	s_add_i32 s2, s2, 1
	s_cmp_lg_u32 s22, s2
	v_cmp_lt_f64_e32 vcc, v[84:85], v[86:87]
	v_cndmask_b32_e32 v67, v67, v81, vcc
	v_cndmask_b32_e32 v66, v66, v80, vcc
	;; [unrolled: 1-line block ×5, first 2 shown]
	s_cbranch_scc1 .LBB30_274
.LBB30_275:
	s_waitcnt lgkmcnt(0)
	v_cmp_eq_f64_e32 vcc, 0, v[66:67]
	v_cmp_eq_f64_e64 s[0:1], 0, v[68:69]
	s_and_b64 s[0:1], vcc, s[0:1]
	s_and_saveexec_b64 s[2:3], s[0:1]
	s_xor_b64 s[0:1], exec, s[2:3]
; %bb.276:
	v_cmp_ne_u32_e32 vcc, 0, v79
	v_cndmask_b32_e32 v79, 14, v79, vcc
; %bb.277:
	s_andn2_saveexec_b64 s[0:1], s[0:1]
	s_cbranch_execz .LBB30_283
; %bb.278:
	v_cmp_ngt_f64_e64 s[2:3], |v[66:67]|, |v[68:69]|
	s_and_saveexec_b64 s[4:5], s[2:3]
	s_xor_b64 s[2:3], exec, s[4:5]
	s_cbranch_execz .LBB30_280
; %bb.279:
	v_div_scale_f64 v[80:81], s[4:5], v[68:69], v[68:69], v[66:67]
	v_rcp_f64_e32 v[82:83], v[80:81]
	v_fma_f64 v[84:85], -v[80:81], v[82:83], 1.0
	v_fma_f64 v[82:83], v[82:83], v[84:85], v[82:83]
	v_div_scale_f64 v[84:85], vcc, v[66:67], v[68:69], v[66:67]
	v_fma_f64 v[86:87], -v[80:81], v[82:83], 1.0
	v_fma_f64 v[82:83], v[82:83], v[86:87], v[82:83]
	v_mul_f64 v[86:87], v[84:85], v[82:83]
	v_fma_f64 v[80:81], -v[80:81], v[86:87], v[84:85]
	v_div_fmas_f64 v[80:81], v[80:81], v[82:83], v[86:87]
	v_div_fixup_f64 v[80:81], v[80:81], v[68:69], v[66:67]
	v_fma_f64 v[66:67], v[66:67], v[80:81], v[68:69]
	v_div_scale_f64 v[68:69], s[4:5], v[66:67], v[66:67], 1.0
	v_div_scale_f64 v[86:87], vcc, 1.0, v[66:67], 1.0
	v_rcp_f64_e32 v[82:83], v[68:69]
	v_fma_f64 v[84:85], -v[68:69], v[82:83], 1.0
	v_fma_f64 v[82:83], v[82:83], v[84:85], v[82:83]
	v_fma_f64 v[84:85], -v[68:69], v[82:83], 1.0
	v_fma_f64 v[82:83], v[82:83], v[84:85], v[82:83]
	v_mul_f64 v[84:85], v[86:87], v[82:83]
	v_fma_f64 v[68:69], -v[68:69], v[84:85], v[86:87]
	v_div_fmas_f64 v[68:69], v[68:69], v[82:83], v[84:85]
	v_div_fixup_f64 v[68:69], v[68:69], v[66:67], 1.0
	v_mul_f64 v[66:67], v[80:81], v[68:69]
	v_xor_b32_e32 v69, 0x80000000, v69
.LBB30_280:
	s_andn2_saveexec_b64 s[2:3], s[2:3]
	s_cbranch_execz .LBB30_282
; %bb.281:
	v_div_scale_f64 v[80:81], s[4:5], v[66:67], v[66:67], v[68:69]
	v_rcp_f64_e32 v[82:83], v[80:81]
	v_fma_f64 v[84:85], -v[80:81], v[82:83], 1.0
	v_fma_f64 v[82:83], v[82:83], v[84:85], v[82:83]
	v_div_scale_f64 v[84:85], vcc, v[68:69], v[66:67], v[68:69]
	v_fma_f64 v[86:87], -v[80:81], v[82:83], 1.0
	v_fma_f64 v[82:83], v[82:83], v[86:87], v[82:83]
	v_mul_f64 v[86:87], v[84:85], v[82:83]
	v_fma_f64 v[80:81], -v[80:81], v[86:87], v[84:85]
	v_div_fmas_f64 v[80:81], v[80:81], v[82:83], v[86:87]
	v_div_fixup_f64 v[80:81], v[80:81], v[66:67], v[68:69]
	v_fma_f64 v[66:67], v[68:69], v[80:81], v[66:67]
	v_div_scale_f64 v[68:69], s[4:5], v[66:67], v[66:67], 1.0
	v_div_scale_f64 v[86:87], vcc, 1.0, v[66:67], 1.0
	v_rcp_f64_e32 v[82:83], v[68:69]
	v_fma_f64 v[84:85], -v[68:69], v[82:83], 1.0
	v_fma_f64 v[82:83], v[82:83], v[84:85], v[82:83]
	v_fma_f64 v[84:85], -v[68:69], v[82:83], 1.0
	v_fma_f64 v[82:83], v[82:83], v[84:85], v[82:83]
	v_mul_f64 v[84:85], v[86:87], v[82:83]
	v_fma_f64 v[68:69], -v[68:69], v[84:85], v[86:87]
	v_div_fmas_f64 v[68:69], v[68:69], v[82:83], v[84:85]
	v_div_fixup_f64 v[66:67], v[68:69], v[66:67], 1.0
	v_mul_f64 v[68:69], v[80:81], -v[66:67]
.LBB30_282:
	s_or_b64 exec, exec, s[2:3]
.LBB30_283:
	s_or_b64 exec, exec, s[0:1]
	v_cmp_ne_u32_e32 vcc, v76, v74
	s_and_saveexec_b64 s[0:1], vcc
	s_xor_b64 s[0:1], exec, s[0:1]
	s_cbranch_execz .LBB30_289
; %bb.284:
	v_cmp_eq_u32_e32 vcc, 13, v76
	s_and_saveexec_b64 s[2:3], vcc
	s_cbranch_execz .LBB30_288
; %bb.285:
	v_cmp_ne_u32_e32 vcc, 13, v74
	s_xor_b64 s[4:5], s[18:19], -1
	s_and_b64 s[24:25], s[4:5], vcc
	s_and_saveexec_b64 s[4:5], s[24:25]
	s_cbranch_execz .LBB30_287
; %bb.286:
	v_ashrrev_i32_e32 v75, 31, v74
	v_lshlrev_b64 v[75:76], 2, v[74:75]
	v_add_co_u32_e32 v75, vcc, v72, v75
	v_addc_co_u32_e32 v76, vcc, v73, v76, vcc
	global_load_dword v0, v[75:76], off
	global_load_dword v80, v[72:73], off offset:52
	s_waitcnt vmcnt(1)
	global_store_dword v[72:73], v0, off offset:52
	s_waitcnt vmcnt(1)
	global_store_dword v[75:76], v80, off
.LBB30_287:
	s_or_b64 exec, exec, s[4:5]
	v_mov_b32_e32 v76, v74
	v_mov_b32_e32 v0, v74
.LBB30_288:
	s_or_b64 exec, exec, s[2:3]
.LBB30_289:
	s_andn2_saveexec_b64 s[0:1], s[0:1]
	s_cbranch_execz .LBB30_291
; %bb.290:
	v_mov_b32_e32 v76, 13
	ds_write2_b64 v1, v[2:3], v[4:5] offset0:28 offset1:29
	ds_write2_b64 v1, v[62:63], v[64:65] offset0:30 offset1:31
.LBB30_291:
	s_or_b64 exec, exec, s[0:1]
	v_cmp_lt_i32_e32 vcc, 13, v76
	s_waitcnt vmcnt(0) lgkmcnt(0)
	s_barrier
	s_and_saveexec_b64 s[0:1], vcc
	s_cbranch_execz .LBB30_293
; %bb.292:
	v_mul_f64 v[74:75], v[66:67], v[8:9]
	v_mul_f64 v[8:9], v[68:69], v[8:9]
	ds_read2_b64 v[80:83], v1 offset0:28 offset1:29
	ds_read2_b64 v[84:87], v1 offset0:30 offset1:31
	v_fma_f64 v[68:69], v[68:69], v[6:7], v[74:75]
	v_fma_f64 v[6:7], v[66:67], v[6:7], -v[8:9]
	s_waitcnt lgkmcnt(1)
	v_mul_f64 v[8:9], v[82:83], v[68:69]
	v_mul_f64 v[66:67], v[80:81], v[68:69]
	s_waitcnt lgkmcnt(0)
	v_mul_f64 v[74:75], v[86:87], v[68:69]
	v_mul_f64 v[88:89], v[84:85], v[68:69]
	v_fma_f64 v[8:9], v[80:81], v[6:7], -v[8:9]
	v_fma_f64 v[66:67], v[82:83], v[6:7], v[66:67]
	v_fma_f64 v[74:75], v[84:85], v[6:7], -v[74:75]
	v_fma_f64 v[80:81], v[86:87], v[6:7], v[88:89]
	v_add_f64 v[2:3], v[2:3], -v[8:9]
	v_add_f64 v[4:5], v[4:5], -v[66:67]
	;; [unrolled: 1-line block ×4, first 2 shown]
	v_mov_b32_e32 v8, v68
	v_mov_b32_e32 v9, v69
.LBB30_293:
	s_or_b64 exec, exec, s[0:1]
	v_lshl_add_u32 v66, v76, 4, v1
	s_barrier
	ds_write2_b64 v66, v[2:3], v[4:5] offset1:1
	s_waitcnt lgkmcnt(0)
	s_barrier
	ds_read2_b64 v[66:69], v1 offset0:28 offset1:29
	s_cmp_lt_i32 s22, 16
	v_mov_b32_e32 v74, 14
	s_cbranch_scc1 .LBB30_296
; %bb.294:
	v_add_u32_e32 v75, 0xf0, v1
	s_mov_b32 s2, 15
	v_mov_b32_e32 v74, 14
.LBB30_295:                             ; =>This Inner Loop Header: Depth=1
	s_waitcnt lgkmcnt(0)
	v_cmp_gt_f64_e32 vcc, 0, v[68:69]
	v_cmp_gt_f64_e64 s[0:1], 0, v[66:67]
	ds_read2_b64 v[80:83], v75 offset1:1
	v_xor_b32_e32 v85, 0x80000000, v67
	v_xor_b32_e32 v87, 0x80000000, v69
	v_mov_b32_e32 v84, v66
	v_mov_b32_e32 v86, v68
	s_waitcnt lgkmcnt(0)
	v_xor_b32_e32 v89, 0x80000000, v83
	v_cndmask_b32_e32 v87, v69, v87, vcc
	v_cndmask_b32_e64 v85, v67, v85, s[0:1]
	v_cmp_gt_f64_e32 vcc, 0, v[82:83]
	v_cmp_gt_f64_e64 s[0:1], 0, v[80:81]
	v_add_f64 v[84:85], v[84:85], v[86:87]
	v_xor_b32_e32 v87, 0x80000000, v81
	v_mov_b32_e32 v86, v80
	v_mov_b32_e32 v88, v82
	v_add_u32_e32 v75, 16, v75
	v_cndmask_b32_e32 v89, v83, v89, vcc
	v_cndmask_b32_e64 v87, v81, v87, s[0:1]
	v_add_f64 v[86:87], v[86:87], v[88:89]
	v_mov_b32_e32 v88, s2
	s_add_i32 s2, s2, 1
	s_cmp_lg_u32 s22, s2
	v_cmp_lt_f64_e32 vcc, v[84:85], v[86:87]
	v_cndmask_b32_e32 v67, v67, v81, vcc
	v_cndmask_b32_e32 v66, v66, v80, vcc
	;; [unrolled: 1-line block ×5, first 2 shown]
	s_cbranch_scc1 .LBB30_295
.LBB30_296:
	s_waitcnt lgkmcnt(0)
	v_cmp_eq_f64_e32 vcc, 0, v[66:67]
	v_cmp_eq_f64_e64 s[0:1], 0, v[68:69]
	s_and_b64 s[0:1], vcc, s[0:1]
	s_and_saveexec_b64 s[2:3], s[0:1]
	s_xor_b64 s[0:1], exec, s[2:3]
; %bb.297:
	v_cmp_ne_u32_e32 vcc, 0, v79
	v_cndmask_b32_e32 v79, 15, v79, vcc
; %bb.298:
	s_andn2_saveexec_b64 s[0:1], s[0:1]
	s_cbranch_execz .LBB30_304
; %bb.299:
	v_cmp_ngt_f64_e64 s[2:3], |v[66:67]|, |v[68:69]|
	s_and_saveexec_b64 s[4:5], s[2:3]
	s_xor_b64 s[2:3], exec, s[4:5]
	s_cbranch_execz .LBB30_301
; %bb.300:
	v_div_scale_f64 v[80:81], s[4:5], v[68:69], v[68:69], v[66:67]
	v_rcp_f64_e32 v[82:83], v[80:81]
	v_fma_f64 v[84:85], -v[80:81], v[82:83], 1.0
	v_fma_f64 v[82:83], v[82:83], v[84:85], v[82:83]
	v_div_scale_f64 v[84:85], vcc, v[66:67], v[68:69], v[66:67]
	v_fma_f64 v[86:87], -v[80:81], v[82:83], 1.0
	v_fma_f64 v[82:83], v[82:83], v[86:87], v[82:83]
	v_mul_f64 v[86:87], v[84:85], v[82:83]
	v_fma_f64 v[80:81], -v[80:81], v[86:87], v[84:85]
	v_div_fmas_f64 v[80:81], v[80:81], v[82:83], v[86:87]
	v_div_fixup_f64 v[80:81], v[80:81], v[68:69], v[66:67]
	v_fma_f64 v[66:67], v[66:67], v[80:81], v[68:69]
	v_div_scale_f64 v[68:69], s[4:5], v[66:67], v[66:67], 1.0
	v_div_scale_f64 v[86:87], vcc, 1.0, v[66:67], 1.0
	v_rcp_f64_e32 v[82:83], v[68:69]
	v_fma_f64 v[84:85], -v[68:69], v[82:83], 1.0
	v_fma_f64 v[82:83], v[82:83], v[84:85], v[82:83]
	v_fma_f64 v[84:85], -v[68:69], v[82:83], 1.0
	v_fma_f64 v[82:83], v[82:83], v[84:85], v[82:83]
	v_mul_f64 v[84:85], v[86:87], v[82:83]
	v_fma_f64 v[68:69], -v[68:69], v[84:85], v[86:87]
	v_div_fmas_f64 v[68:69], v[68:69], v[82:83], v[84:85]
	v_div_fixup_f64 v[68:69], v[68:69], v[66:67], 1.0
	v_mul_f64 v[66:67], v[80:81], v[68:69]
	v_xor_b32_e32 v69, 0x80000000, v69
.LBB30_301:
	s_andn2_saveexec_b64 s[2:3], s[2:3]
	s_cbranch_execz .LBB30_303
; %bb.302:
	v_div_scale_f64 v[80:81], s[4:5], v[66:67], v[66:67], v[68:69]
	v_rcp_f64_e32 v[82:83], v[80:81]
	v_fma_f64 v[84:85], -v[80:81], v[82:83], 1.0
	v_fma_f64 v[82:83], v[82:83], v[84:85], v[82:83]
	v_div_scale_f64 v[84:85], vcc, v[68:69], v[66:67], v[68:69]
	v_fma_f64 v[86:87], -v[80:81], v[82:83], 1.0
	v_fma_f64 v[82:83], v[82:83], v[86:87], v[82:83]
	v_mul_f64 v[86:87], v[84:85], v[82:83]
	v_fma_f64 v[80:81], -v[80:81], v[86:87], v[84:85]
	v_div_fmas_f64 v[80:81], v[80:81], v[82:83], v[86:87]
	v_div_fixup_f64 v[80:81], v[80:81], v[66:67], v[68:69]
	v_fma_f64 v[66:67], v[68:69], v[80:81], v[66:67]
	v_div_scale_f64 v[68:69], s[4:5], v[66:67], v[66:67], 1.0
	v_div_scale_f64 v[86:87], vcc, 1.0, v[66:67], 1.0
	v_rcp_f64_e32 v[82:83], v[68:69]
	v_fma_f64 v[84:85], -v[68:69], v[82:83], 1.0
	v_fma_f64 v[82:83], v[82:83], v[84:85], v[82:83]
	v_fma_f64 v[84:85], -v[68:69], v[82:83], 1.0
	v_fma_f64 v[82:83], v[82:83], v[84:85], v[82:83]
	v_mul_f64 v[84:85], v[86:87], v[82:83]
	v_fma_f64 v[68:69], -v[68:69], v[84:85], v[86:87]
	v_div_fmas_f64 v[68:69], v[68:69], v[82:83], v[84:85]
	v_div_fixup_f64 v[66:67], v[68:69], v[66:67], 1.0
	v_mul_f64 v[68:69], v[80:81], -v[66:67]
.LBB30_303:
	s_or_b64 exec, exec, s[2:3]
.LBB30_304:
	s_or_b64 exec, exec, s[0:1]
	v_cmp_ne_u32_e32 vcc, v76, v74
	s_and_saveexec_b64 s[0:1], vcc
	s_xor_b64 s[0:1], exec, s[0:1]
	s_cbranch_execz .LBB30_310
; %bb.305:
	v_cmp_eq_u32_e32 vcc, 14, v76
	s_and_saveexec_b64 s[2:3], vcc
	s_cbranch_execz .LBB30_309
; %bb.306:
	v_cmp_ne_u32_e32 vcc, 14, v74
	s_xor_b64 s[4:5], s[18:19], -1
	s_and_b64 s[24:25], s[4:5], vcc
	s_and_saveexec_b64 s[4:5], s[24:25]
	s_cbranch_execz .LBB30_308
; %bb.307:
	v_ashrrev_i32_e32 v75, 31, v74
	v_lshlrev_b64 v[75:76], 2, v[74:75]
	v_add_co_u32_e32 v75, vcc, v72, v75
	v_addc_co_u32_e32 v76, vcc, v73, v76, vcc
	global_load_dword v0, v[75:76], off
	global_load_dword v80, v[72:73], off offset:56
	s_waitcnt vmcnt(1)
	global_store_dword v[72:73], v0, off offset:56
	s_waitcnt vmcnt(1)
	global_store_dword v[75:76], v80, off
.LBB30_308:
	s_or_b64 exec, exec, s[4:5]
	v_mov_b32_e32 v76, v74
	v_mov_b32_e32 v0, v74
.LBB30_309:
	s_or_b64 exec, exec, s[2:3]
.LBB30_310:
	s_andn2_saveexec_b64 s[0:1], s[0:1]
; %bb.311:
	v_mov_b32_e32 v76, 14
	ds_write2_b64 v1, v[62:63], v[64:65] offset0:30 offset1:31
; %bb.312:
	s_or_b64 exec, exec, s[0:1]
	v_cmp_lt_i32_e32 vcc, 14, v76
	s_waitcnt vmcnt(0) lgkmcnt(0)
	s_barrier
	s_and_saveexec_b64 s[0:1], vcc
	s_cbranch_execz .LBB30_314
; %bb.313:
	v_mul_f64 v[74:75], v[66:67], v[4:5]
	v_mul_f64 v[4:5], v[68:69], v[4:5]
	ds_read2_b64 v[80:83], v1 offset0:30 offset1:31
	v_fma_f64 v[68:69], v[68:69], v[2:3], v[74:75]
	v_fma_f64 v[2:3], v[66:67], v[2:3], -v[4:5]
	s_waitcnt lgkmcnt(0)
	v_mul_f64 v[4:5], v[82:83], v[68:69]
	v_mul_f64 v[66:67], v[80:81], v[68:69]
	v_fma_f64 v[4:5], v[80:81], v[2:3], -v[4:5]
	v_fma_f64 v[66:67], v[82:83], v[2:3], v[66:67]
	v_add_f64 v[62:63], v[62:63], -v[4:5]
	v_add_f64 v[64:65], v[64:65], -v[66:67]
	v_mov_b32_e32 v4, v68
	v_mov_b32_e32 v5, v69
.LBB30_314:
	s_or_b64 exec, exec, s[0:1]
	v_lshl_add_u32 v66, v76, 4, v1
	s_barrier
	ds_write2_b64 v66, v[62:63], v[64:65] offset1:1
	s_waitcnt lgkmcnt(0)
	s_barrier
	ds_read2_b64 v[66:69], v1 offset0:30 offset1:31
	s_cmp_lt_i32 s22, 17
	v_mov_b32_e32 v74, 15
	s_cbranch_scc1 .LBB30_317
; %bb.315:
	v_add_u32_e32 v1, 0x100, v1
	s_mov_b32 s2, 16
	v_mov_b32_e32 v74, 15
.LBB30_316:                             ; =>This Inner Loop Header: Depth=1
	s_waitcnt lgkmcnt(0)
	v_cmp_gt_f64_e32 vcc, 0, v[68:69]
	v_cmp_gt_f64_e64 s[0:1], 0, v[66:67]
	ds_read2_b64 v[80:83], v1 offset1:1
	v_xor_b32_e32 v75, 0x80000000, v67
	v_xor_b32_e32 v87, 0x80000000, v69
	v_mov_b32_e32 v84, v66
	v_mov_b32_e32 v86, v68
	s_waitcnt lgkmcnt(0)
	v_xor_b32_e32 v89, 0x80000000, v83
	v_cndmask_b32_e32 v87, v69, v87, vcc
	v_cndmask_b32_e64 v85, v67, v75, s[0:1]
	v_cmp_gt_f64_e32 vcc, 0, v[82:83]
	v_cmp_gt_f64_e64 s[0:1], 0, v[80:81]
	v_xor_b32_e32 v75, 0x80000000, v81
	v_add_f64 v[84:85], v[84:85], v[86:87]
	v_mov_b32_e32 v86, v80
	v_mov_b32_e32 v88, v82
	v_add_u32_e32 v1, 16, v1
	v_cndmask_b32_e32 v89, v83, v89, vcc
	v_cndmask_b32_e64 v87, v81, v75, s[0:1]
	v_add_f64 v[86:87], v[86:87], v[88:89]
	v_mov_b32_e32 v75, s2
	s_add_i32 s2, s2, 1
	s_cmp_lg_u32 s22, s2
	v_cmp_lt_f64_e32 vcc, v[84:85], v[86:87]
	v_cndmask_b32_e32 v67, v67, v81, vcc
	v_cndmask_b32_e32 v66, v66, v80, vcc
	;; [unrolled: 1-line block ×5, first 2 shown]
	s_cbranch_scc1 .LBB30_316
.LBB30_317:
	s_waitcnt lgkmcnt(0)
	v_cmp_eq_f64_e32 vcc, 0, v[66:67]
	v_cmp_eq_f64_e64 s[0:1], 0, v[68:69]
	s_and_b64 s[0:1], vcc, s[0:1]
	s_and_saveexec_b64 s[2:3], s[0:1]
	s_xor_b64 s[0:1], exec, s[2:3]
; %bb.318:
	v_cmp_ne_u32_e32 vcc, 0, v79
	v_cndmask_b32_e32 v79, 16, v79, vcc
; %bb.319:
	s_andn2_saveexec_b64 s[0:1], s[0:1]
	s_cbranch_execz .LBB30_325
; %bb.320:
	v_cmp_ngt_f64_e64 s[2:3], |v[66:67]|, |v[68:69]|
	s_and_saveexec_b64 s[4:5], s[2:3]
	s_xor_b64 s[2:3], exec, s[4:5]
	s_cbranch_execz .LBB30_322
; %bb.321:
	v_div_scale_f64 v[80:81], s[4:5], v[68:69], v[68:69], v[66:67]
	v_rcp_f64_e32 v[82:83], v[80:81]
	v_fma_f64 v[84:85], -v[80:81], v[82:83], 1.0
	v_fma_f64 v[82:83], v[82:83], v[84:85], v[82:83]
	v_div_scale_f64 v[84:85], vcc, v[66:67], v[68:69], v[66:67]
	v_fma_f64 v[86:87], -v[80:81], v[82:83], 1.0
	v_fma_f64 v[82:83], v[82:83], v[86:87], v[82:83]
	v_mul_f64 v[86:87], v[84:85], v[82:83]
	v_fma_f64 v[80:81], -v[80:81], v[86:87], v[84:85]
	v_div_fmas_f64 v[80:81], v[80:81], v[82:83], v[86:87]
	v_div_fixup_f64 v[80:81], v[80:81], v[68:69], v[66:67]
	v_fma_f64 v[66:67], v[66:67], v[80:81], v[68:69]
	v_div_scale_f64 v[68:69], s[4:5], v[66:67], v[66:67], 1.0
	v_div_scale_f64 v[86:87], vcc, 1.0, v[66:67], 1.0
	v_rcp_f64_e32 v[82:83], v[68:69]
	v_fma_f64 v[84:85], -v[68:69], v[82:83], 1.0
	v_fma_f64 v[82:83], v[82:83], v[84:85], v[82:83]
	v_fma_f64 v[84:85], -v[68:69], v[82:83], 1.0
	v_fma_f64 v[82:83], v[82:83], v[84:85], v[82:83]
	v_mul_f64 v[84:85], v[86:87], v[82:83]
	v_fma_f64 v[68:69], -v[68:69], v[84:85], v[86:87]
	v_div_fmas_f64 v[68:69], v[68:69], v[82:83], v[84:85]
	v_div_fixup_f64 v[68:69], v[68:69], v[66:67], 1.0
	v_mul_f64 v[66:67], v[80:81], v[68:69]
	v_xor_b32_e32 v69, 0x80000000, v69
.LBB30_322:
	s_andn2_saveexec_b64 s[2:3], s[2:3]
	s_cbranch_execz .LBB30_324
; %bb.323:
	v_div_scale_f64 v[80:81], s[4:5], v[66:67], v[66:67], v[68:69]
	v_rcp_f64_e32 v[82:83], v[80:81]
	v_fma_f64 v[84:85], -v[80:81], v[82:83], 1.0
	v_fma_f64 v[82:83], v[82:83], v[84:85], v[82:83]
	v_div_scale_f64 v[84:85], vcc, v[68:69], v[66:67], v[68:69]
	v_fma_f64 v[86:87], -v[80:81], v[82:83], 1.0
	v_fma_f64 v[82:83], v[82:83], v[86:87], v[82:83]
	v_mul_f64 v[86:87], v[84:85], v[82:83]
	v_fma_f64 v[80:81], -v[80:81], v[86:87], v[84:85]
	v_div_fmas_f64 v[80:81], v[80:81], v[82:83], v[86:87]
	v_div_fixup_f64 v[80:81], v[80:81], v[66:67], v[68:69]
	v_fma_f64 v[66:67], v[68:69], v[80:81], v[66:67]
	v_div_scale_f64 v[68:69], s[4:5], v[66:67], v[66:67], 1.0
	v_div_scale_f64 v[86:87], vcc, 1.0, v[66:67], 1.0
	v_rcp_f64_e32 v[82:83], v[68:69]
	v_fma_f64 v[84:85], -v[68:69], v[82:83], 1.0
	v_fma_f64 v[82:83], v[82:83], v[84:85], v[82:83]
	v_fma_f64 v[84:85], -v[68:69], v[82:83], 1.0
	v_fma_f64 v[82:83], v[82:83], v[84:85], v[82:83]
	v_mul_f64 v[84:85], v[86:87], v[82:83]
	v_fma_f64 v[68:69], -v[68:69], v[84:85], v[86:87]
	v_div_fmas_f64 v[68:69], v[68:69], v[82:83], v[84:85]
	v_div_fixup_f64 v[66:67], v[68:69], v[66:67], 1.0
	v_mul_f64 v[68:69], v[80:81], -v[66:67]
.LBB30_324:
	s_or_b64 exec, exec, s[2:3]
.LBB30_325:
	s_or_b64 exec, exec, s[0:1]
	v_cmp_ne_u32_e32 vcc, v76, v74
	v_mov_b32_e32 v75, 15
	s_and_saveexec_b64 s[0:1], vcc
	s_cbranch_execz .LBB30_331
; %bb.326:
	v_cmp_eq_u32_e32 vcc, 15, v76
	s_and_saveexec_b64 s[2:3], vcc
	s_cbranch_execz .LBB30_330
; %bb.327:
	v_cmp_ne_u32_e32 vcc, 15, v74
	s_xor_b64 s[4:5], s[18:19], -1
	s_and_b64 s[18:19], s[4:5], vcc
	s_and_saveexec_b64 s[4:5], s[18:19]
	s_cbranch_execz .LBB30_329
; %bb.328:
	v_ashrrev_i32_e32 v75, 31, v74
	v_lshlrev_b64 v[0:1], 2, v[74:75]
	v_add_co_u32_e32 v0, vcc, v72, v0
	v_addc_co_u32_e32 v1, vcc, v73, v1, vcc
	global_load_dword v75, v[0:1], off
	global_load_dword v76, v[72:73], off offset:60
	s_waitcnt vmcnt(1)
	global_store_dword v[72:73], v75, off offset:60
	s_waitcnt vmcnt(1)
	global_store_dword v[0:1], v76, off
.LBB30_329:
	s_or_b64 exec, exec, s[4:5]
	v_mov_b32_e32 v76, v74
	v_mov_b32_e32 v0, v74
.LBB30_330:
	s_or_b64 exec, exec, s[2:3]
	v_mov_b32_e32 v75, v76
.LBB30_331:
	s_or_b64 exec, exec, s[0:1]
	v_cmp_gt_i32_e32 vcc, 16, v75
	v_ashrrev_i32_e32 v76, 31, v75
	s_waitcnt vmcnt(0)
	s_barrier
	s_barrier
	s_and_saveexec_b64 s[0:1], vcc
	s_cbranch_execz .LBB30_333
; %bb.332:
	v_mul_lo_u32 v1, s15, v70
	v_mul_lo_u32 v74, s14, v71
	v_mad_u64_u32 v[72:73], s[2:3], s14, v70, 0
	s_lshl_b64 s[2:3], s[12:13], 2
	v_add3_u32 v0, v0, s17, 1
	v_add3_u32 v73, v73, v74, v1
	v_lshlrev_b64 v[72:73], 2, v[72:73]
	v_mov_b32_e32 v1, s11
	v_add_co_u32_e32 v72, vcc, s10, v72
	v_addc_co_u32_e32 v1, vcc, v1, v73, vcc
	v_mov_b32_e32 v73, s3
	v_add_co_u32_e32 v74, vcc, s2, v72
	v_addc_co_u32_e32 v1, vcc, v1, v73, vcc
	v_lshlrev_b64 v[72:73], 2, v[75:76]
	v_add_co_u32_e32 v72, vcc, v74, v72
	v_addc_co_u32_e32 v73, vcc, v1, v73, vcc
	global_store_dword v[72:73], v0, off
.LBB30_333:
	s_or_b64 exec, exec, s[0:1]
	v_cmp_eq_u32_e32 vcc, 0, v75
	s_and_saveexec_b64 s[2:3], vcc
	s_cbranch_execz .LBB30_336
; %bb.334:
	v_lshlrev_b64 v[0:1], 2, v[70:71]
	v_mov_b32_e32 v70, s21
	v_add_co_u32_e32 v0, vcc, s20, v0
	v_addc_co_u32_e32 v1, vcc, v70, v1, vcc
	global_load_dword v70, v[0:1], off
	v_cmp_ne_u32_e64 s[0:1], 0, v79
	s_waitcnt vmcnt(0)
	v_cmp_eq_u32_e32 vcc, 0, v70
	s_and_b64 s[0:1], vcc, s[0:1]
	s_and_b64 exec, exec, s[0:1]
	s_cbranch_execz .LBB30_336
; %bb.335:
	v_add_u32_e32 v70, s17, v79
	global_store_dword v[0:1], v70, off
.LBB30_336:
	s_or_b64 exec, exec, s[2:3]
	v_mul_f64 v[0:1], v[66:67], v[64:65]
	v_mul_f64 v[70:71], v[68:69], v[64:65]
	v_lshlrev_b64 v[72:73], 4, v[75:76]
	v_mov_b32_e32 v74, s9
	v_fma_f64 v[0:1], v[68:69], v[62:63], v[0:1]
	v_fma_f64 v[66:67], v[66:67], v[62:63], -v[70:71]
	v_add_co_u32_e32 v68, vcc, v77, v72
	v_addc_co_u32_e32 v69, vcc, v78, v73, vcc
	v_cmp_lt_i32_e32 vcc, 15, v75
	global_store_dwordx4 v[68:69], v[58:61], off
	s_nop 0
	v_cndmask_b32_e32 v61, v65, v1, vcc
	v_cndmask_b32_e32 v60, v64, v0, vcc
	;; [unrolled: 1-line block ×4, first 2 shown]
	v_add_co_u32_e32 v0, vcc, s8, v68
	v_addc_co_u32_e32 v1, vcc, v69, v74, vcc
	global_store_dwordx4 v[0:1], v[54:57], off
	v_add_u32_e32 v0, s16, v75
	v_ashrrev_i32_e32 v1, 31, v0
	v_lshlrev_b64 v[54:55], 4, v[0:1]
	v_add_u32_e32 v0, s6, v0
	v_add_co_u32_e32 v54, vcc, v77, v54
	v_addc_co_u32_e32 v55, vcc, v78, v55, vcc
	v_ashrrev_i32_e32 v1, 31, v0
	global_store_dwordx4 v[54:55], v[50:53], off
	s_nop 0
	v_lshlrev_b64 v[50:51], 4, v[0:1]
	v_add_u32_e32 v0, s6, v0
	v_add_co_u32_e32 v50, vcc, v77, v50
	v_addc_co_u32_e32 v51, vcc, v78, v51, vcc
	v_ashrrev_i32_e32 v1, 31, v0
	global_store_dwordx4 v[50:51], v[46:49], off
	s_nop 0
	;; [unrolled: 7-line block ×12, first 2 shown]
	v_lshlrev_b64 v[6:7], 4, v[0:1]
	v_add_u32_e32 v0, s6, v0
	v_ashrrev_i32_e32 v1, 31, v0
	v_add_co_u32_e32 v6, vcc, v77, v6
	v_lshlrev_b64 v[0:1], 4, v[0:1]
	v_addc_co_u32_e32 v7, vcc, v78, v7, vcc
	v_add_co_u32_e32 v0, vcc, v77, v0
	v_addc_co_u32_e32 v1, vcc, v78, v1, vcc
	global_store_dwordx4 v[6:7], v[2:5], off
	global_store_dwordx4 v[0:1], v[58:61], off
.LBB30_337:
	s_endpgm
	.section	.rodata,"a",@progbits
	.p2align	6, 0x0
	.amdhsa_kernel _ZN9rocsolver6v33100L18getf2_small_kernelILi16E19rocblas_complex_numIdEiiPS3_EEvT1_T3_lS5_lPS5_llPT2_S5_S5_S7_l
		.amdhsa_group_segment_fixed_size 0
		.amdhsa_private_segment_fixed_size 0
		.amdhsa_kernarg_size 352
		.amdhsa_user_sgpr_count 6
		.amdhsa_user_sgpr_private_segment_buffer 1
		.amdhsa_user_sgpr_dispatch_ptr 0
		.amdhsa_user_sgpr_queue_ptr 0
		.amdhsa_user_sgpr_kernarg_segment_ptr 1
		.amdhsa_user_sgpr_dispatch_id 0
		.amdhsa_user_sgpr_flat_scratch_init 0
		.amdhsa_user_sgpr_private_segment_size 0
		.amdhsa_uses_dynamic_stack 0
		.amdhsa_system_sgpr_private_segment_wavefront_offset 0
		.amdhsa_system_sgpr_workgroup_id_x 1
		.amdhsa_system_sgpr_workgroup_id_y 1
		.amdhsa_system_sgpr_workgroup_id_z 0
		.amdhsa_system_sgpr_workgroup_info 0
		.amdhsa_system_vgpr_workitem_id 1
		.amdhsa_next_free_vgpr 121
		.amdhsa_next_free_sgpr 26
		.amdhsa_reserve_vcc 1
		.amdhsa_reserve_flat_scratch 0
		.amdhsa_float_round_mode_32 0
		.amdhsa_float_round_mode_16_64 0
		.amdhsa_float_denorm_mode_32 3
		.amdhsa_float_denorm_mode_16_64 3
		.amdhsa_dx10_clamp 1
		.amdhsa_ieee_mode 1
		.amdhsa_fp16_overflow 0
		.amdhsa_exception_fp_ieee_invalid_op 0
		.amdhsa_exception_fp_denorm_src 0
		.amdhsa_exception_fp_ieee_div_zero 0
		.amdhsa_exception_fp_ieee_overflow 0
		.amdhsa_exception_fp_ieee_underflow 0
		.amdhsa_exception_fp_ieee_inexact 0
		.amdhsa_exception_int_div_zero 0
	.end_amdhsa_kernel
	.section	.text._ZN9rocsolver6v33100L18getf2_small_kernelILi16E19rocblas_complex_numIdEiiPS3_EEvT1_T3_lS5_lPS5_llPT2_S5_S5_S7_l,"axG",@progbits,_ZN9rocsolver6v33100L18getf2_small_kernelILi16E19rocblas_complex_numIdEiiPS3_EEvT1_T3_lS5_lPS5_llPT2_S5_S5_S7_l,comdat
.Lfunc_end30:
	.size	_ZN9rocsolver6v33100L18getf2_small_kernelILi16E19rocblas_complex_numIdEiiPS3_EEvT1_T3_lS5_lPS5_llPT2_S5_S5_S7_l, .Lfunc_end30-_ZN9rocsolver6v33100L18getf2_small_kernelILi16E19rocblas_complex_numIdEiiPS3_EEvT1_T3_lS5_lPS5_llPT2_S5_S5_S7_l
                                        ; -- End function
	.set _ZN9rocsolver6v33100L18getf2_small_kernelILi16E19rocblas_complex_numIdEiiPS3_EEvT1_T3_lS5_lPS5_llPT2_S5_S5_S7_l.num_vgpr, 121
	.set _ZN9rocsolver6v33100L18getf2_small_kernelILi16E19rocblas_complex_numIdEiiPS3_EEvT1_T3_lS5_lPS5_llPT2_S5_S5_S7_l.num_agpr, 0
	.set _ZN9rocsolver6v33100L18getf2_small_kernelILi16E19rocblas_complex_numIdEiiPS3_EEvT1_T3_lS5_lPS5_llPT2_S5_S5_S7_l.numbered_sgpr, 26
	.set _ZN9rocsolver6v33100L18getf2_small_kernelILi16E19rocblas_complex_numIdEiiPS3_EEvT1_T3_lS5_lPS5_llPT2_S5_S5_S7_l.num_named_barrier, 0
	.set _ZN9rocsolver6v33100L18getf2_small_kernelILi16E19rocblas_complex_numIdEiiPS3_EEvT1_T3_lS5_lPS5_llPT2_S5_S5_S7_l.private_seg_size, 0
	.set _ZN9rocsolver6v33100L18getf2_small_kernelILi16E19rocblas_complex_numIdEiiPS3_EEvT1_T3_lS5_lPS5_llPT2_S5_S5_S7_l.uses_vcc, 1
	.set _ZN9rocsolver6v33100L18getf2_small_kernelILi16E19rocblas_complex_numIdEiiPS3_EEvT1_T3_lS5_lPS5_llPT2_S5_S5_S7_l.uses_flat_scratch, 0
	.set _ZN9rocsolver6v33100L18getf2_small_kernelILi16E19rocblas_complex_numIdEiiPS3_EEvT1_T3_lS5_lPS5_llPT2_S5_S5_S7_l.has_dyn_sized_stack, 0
	.set _ZN9rocsolver6v33100L18getf2_small_kernelILi16E19rocblas_complex_numIdEiiPS3_EEvT1_T3_lS5_lPS5_llPT2_S5_S5_S7_l.has_recursion, 0
	.set _ZN9rocsolver6v33100L18getf2_small_kernelILi16E19rocblas_complex_numIdEiiPS3_EEvT1_T3_lS5_lPS5_llPT2_S5_S5_S7_l.has_indirect_call, 0
	.section	.AMDGPU.csdata,"",@progbits
; Kernel info:
; codeLenInByte = 23992
; TotalNumSgprs: 30
; NumVgprs: 121
; ScratchSize: 0
; MemoryBound: 0
; FloatMode: 240
; IeeeMode: 1
; LDSByteSize: 0 bytes/workgroup (compile time only)
; SGPRBlocks: 3
; VGPRBlocks: 30
; NumSGPRsForWavesPerEU: 30
; NumVGPRsForWavesPerEU: 121
; Occupancy: 2
; WaveLimiterHint : 0
; COMPUTE_PGM_RSRC2:SCRATCH_EN: 0
; COMPUTE_PGM_RSRC2:USER_SGPR: 6
; COMPUTE_PGM_RSRC2:TRAP_HANDLER: 0
; COMPUTE_PGM_RSRC2:TGID_X_EN: 1
; COMPUTE_PGM_RSRC2:TGID_Y_EN: 1
; COMPUTE_PGM_RSRC2:TGID_Z_EN: 0
; COMPUTE_PGM_RSRC2:TIDIG_COMP_CNT: 1
	.section	.text._ZN9rocsolver6v33100L23getf2_npvt_small_kernelILi16E19rocblas_complex_numIdEiiPS3_EEvT1_T3_lS5_lPT2_S5_S5_,"axG",@progbits,_ZN9rocsolver6v33100L23getf2_npvt_small_kernelILi16E19rocblas_complex_numIdEiiPS3_EEvT1_T3_lS5_lPT2_S5_S5_,comdat
	.globl	_ZN9rocsolver6v33100L23getf2_npvt_small_kernelILi16E19rocblas_complex_numIdEiiPS3_EEvT1_T3_lS5_lPT2_S5_S5_ ; -- Begin function _ZN9rocsolver6v33100L23getf2_npvt_small_kernelILi16E19rocblas_complex_numIdEiiPS3_EEvT1_T3_lS5_lPT2_S5_S5_
	.p2align	8
	.type	_ZN9rocsolver6v33100L23getf2_npvt_small_kernelILi16E19rocblas_complex_numIdEiiPS3_EEvT1_T3_lS5_lPT2_S5_S5_,@function
_ZN9rocsolver6v33100L23getf2_npvt_small_kernelILi16E19rocblas_complex_numIdEiiPS3_EEvT1_T3_lS5_lPT2_S5_S5_: ; @_ZN9rocsolver6v33100L23getf2_npvt_small_kernelILi16E19rocblas_complex_numIdEiiPS3_EEvT1_T3_lS5_lPT2_S5_S5_
; %bb.0:
	s_mov_b64 s[22:23], s[2:3]
	s_mov_b64 s[20:21], s[0:1]
	s_load_dword s0, s[4:5], 0x44
	s_load_dwordx2 s[12:13], s[4:5], 0x30
	s_add_u32 s20, s20, s8
	s_addc_u32 s21, s21, 0
	s_waitcnt lgkmcnt(0)
	s_lshr_b32 s2, s0, 16
	s_mul_i32 s7, s7, s2
	v_add_u32_e32 v70, s7, v1
	v_cmp_gt_i32_e32 vcc, s12, v70
	s_and_saveexec_b64 s[0:1], vcc
	s_cbranch_execz .LBB31_147
; %bb.1:
	s_load_dwordx4 s[8:11], s[4:5], 0x20
	s_load_dwordx4 s[16:19], s[4:5], 0x8
	v_ashrrev_i32_e32 v71, 31, v70
	v_lshl_add_u32 v126, v1, 8, 0
	s_waitcnt lgkmcnt(0)
	v_mul_lo_u32 v4, s9, v70
	v_mul_lo_u32 v5, s8, v71
	v_mad_u64_u32 v[2:3], s[0:1], s8, v70, 0
	s_load_dword s0, s[4:5], 0x18
	v_mov_b32_e32 v6, s17
	v_add3_u32 v3, v3, v5, v4
	v_lshlrev_b64 v[2:3], 4, v[2:3]
	s_lshl_b64 s[4:5], s[18:19], 4
	v_add_co_u32_e32 v2, vcc, s16, v2
	v_addc_co_u32_e32 v3, vcc, v6, v3, vcc
	s_waitcnt lgkmcnt(0)
	s_add_i32 s1, s0, s0
	v_mov_b32_e32 v4, s5
	v_add_co_u32_e32 v5, vcc, s4, v2
	v_add_u32_e32 v2, s1, v0
	v_addc_co_u32_e32 v6, vcc, v3, v4, vcc
	v_ashrrev_i32_e32 v3, 31, v2
	v_lshlrev_b64 v[3:4], 4, v[2:3]
	v_add_u32_e32 v2, s0, v2
	v_add_co_u32_e32 v7, vcc, v5, v3
	v_ashrrev_i32_e32 v3, 31, v2
	v_addc_co_u32_e32 v8, vcc, v6, v4, vcc
	v_lshlrev_b64 v[3:4], 4, v[2:3]
	v_add_u32_e32 v2, s0, v2
	v_add_co_u32_e32 v9, vcc, v5, v3
	v_ashrrev_i32_e32 v3, 31, v2
	v_addc_co_u32_e32 v10, vcc, v6, v4, vcc
	;; [unrolled: 5-line block ×12, first 2 shown]
	v_lshlrev_b64 v[3:4], 4, v[2:3]
	v_add_u32_e32 v2, s0, v2
	v_add_co_u32_e32 v74, vcc, v5, v3
	v_ashrrev_i32_e32 v3, 31, v2
	v_lshlrev_b64 v[2:3], 4, v[2:3]
	v_addc_co_u32_e32 v75, vcc, v6, v4, vcc
	v_add_co_u32_e32 v76, vcc, v5, v2
	v_addc_co_u32_e32 v77, vcc, v6, v3, vcc
	v_lshlrev_b32_e32 v2, 4, v0
	v_add_co_u32_e32 v72, vcc, v5, v2
	v_addc_co_u32_e32 v73, vcc, 0, v6, vcc
	global_load_dwordx4 v[23:26], v[72:73], off
	s_ashr_i32 s1, s0, 31
	s_lshl_b64 s[0:1], s[0:1], 4
	v_mov_b32_e32 v2, s1
	v_add_co_u32_e32 v3, vcc, s0, v72
	v_addc_co_u32_e32 v4, vcc, v73, v2, vcc
	s_lshl_b32 s0, s2, 8
	s_add_i32 s0, s0, 0
	v_lshl_add_u32 v1, v1, 4, s0
	v_cmp_ne_u32_e64 s[2:3], 0, v0
	v_cmp_eq_u32_e64 s[0:1], 0, v0
	s_waitcnt vmcnt(0)
	buffer_store_dword v23, off, s[20:23], 0 offset:16 ; 4-byte Folded Spill
	s_nop 0
	buffer_store_dword v24, off, s[20:23], 0 offset:20 ; 4-byte Folded Spill
	buffer_store_dword v25, off, s[20:23], 0 offset:24 ; 4-byte Folded Spill
	;; [unrolled: 1-line block ×4, first 2 shown]
	s_nop 0
	buffer_store_dword v4, off, s[20:23], 0 offset:148 ; 4-byte Folded Spill
	global_load_dwordx4 v[2:5], v[3:4], off
	s_waitcnt vmcnt(0)
	buffer_store_dword v2, off, s[20:23], 0 ; 4-byte Folded Spill
	s_nop 0
	buffer_store_dword v3, off, s[20:23], 0 offset:4 ; 4-byte Folded Spill
	buffer_store_dword v4, off, s[20:23], 0 offset:8 ; 4-byte Folded Spill
	;; [unrolled: 1-line block ×4, first 2 shown]
	s_nop 0
	buffer_store_dword v8, off, s[20:23], 0 offset:36 ; 4-byte Folded Spill
	global_load_dwordx4 v[54:57], v[7:8], off
	s_nop 0
	buffer_store_dword v9, off, s[20:23], 0 offset:40 ; 4-byte Folded Spill
	s_nop 0
	buffer_store_dword v10, off, s[20:23], 0 offset:44 ; 4-byte Folded Spill
	global_load_dwordx4 v[50:53], v[9:10], off
	s_nop 0
	buffer_store_dword v11, off, s[20:23], 0 offset:48 ; 4-byte Folded Spill
	;; [unrolled: 5-line block ×13, first 2 shown]
	s_nop 0
	buffer_store_dword v77, off, s[20:23], 0 offset:140 ; 4-byte Folded Spill
	global_load_dwordx4 v[34:37], v[76:77], off
	s_and_saveexec_b64 s[6:7], s[0:1]
	s_cbranch_execz .LBB31_8
; %bb.2:
	buffer_load_dword v58, off, s[20:23], 0 offset:16 ; 4-byte Folded Reload
	buffer_load_dword v59, off, s[20:23], 0 offset:20 ; 4-byte Folded Reload
	;; [unrolled: 1-line block ×4, first 2 shown]
	s_waitcnt vmcnt(0)
	ds_write2_b64 v1, v[58:59], v[60:61] offset1:1
	buffer_load_dword v58, off, s[20:23], 0 ; 4-byte Folded Reload
	buffer_load_dword v59, off, s[20:23], 0 offset:4 ; 4-byte Folded Reload
	buffer_load_dword v60, off, s[20:23], 0 offset:8 ; 4-byte Folded Reload
	;; [unrolled: 1-line block ×3, first 2 shown]
	s_waitcnt vmcnt(0)
	ds_write2_b64 v126, v[58:59], v[60:61] offset0:2 offset1:3
	ds_write2_b64 v126, v[54:55], v[56:57] offset0:4 offset1:5
	ds_write2_b64 v126, v[50:51], v[52:53] offset0:6 offset1:7
	ds_write2_b64 v126, v[46:47], v[48:49] offset0:8 offset1:9
	ds_write2_b64 v126, v[42:43], v[44:45] offset0:10 offset1:11
	ds_write2_b64 v126, v[38:39], v[40:41] offset0:12 offset1:13
	ds_write2_b64 v126, v[30:31], v[32:33] offset0:14 offset1:15
	ds_write2_b64 v126, v[26:27], v[28:29] offset0:16 offset1:17
	ds_write2_b64 v126, v[22:23], v[24:25] offset0:18 offset1:19
	ds_write2_b64 v126, v[18:19], v[20:21] offset0:20 offset1:21
	ds_write2_b64 v126, v[14:15], v[16:17] offset0:22 offset1:23
	ds_write2_b64 v126, v[10:11], v[12:13] offset0:24 offset1:25
	ds_write2_b64 v126, v[6:7], v[8:9] offset0:26 offset1:27
	ds_write2_b64 v126, v[2:3], v[4:5] offset0:28 offset1:29
	ds_write2_b64 v126, v[34:35], v[36:37] offset0:30 offset1:31
	ds_read2_b64 v[66:69], v1 offset1:1
	s_waitcnt lgkmcnt(0)
	v_cmp_neq_f64_e32 vcc, 0, v[66:67]
	v_cmp_neq_f64_e64 s[4:5], 0, v[68:69]
	s_or_b64 s[4:5], vcc, s[4:5]
	s_and_b64 exec, exec, s[4:5]
	s_cbranch_execz .LBB31_8
; %bb.3:
	v_cmp_ngt_f64_e64 s[4:5], |v[66:67]|, |v[68:69]|
                                        ; implicit-def: $vgpr74_vgpr75
	s_and_saveexec_b64 s[8:9], s[4:5]
	s_xor_b64 s[4:5], exec, s[8:9]
                                        ; implicit-def: $vgpr76_vgpr77
	s_cbranch_execz .LBB31_5
; %bb.4:
	v_div_scale_f64 v[74:75], s[8:9], v[68:69], v[68:69], v[66:67]
	v_rcp_f64_e32 v[76:77], v[74:75]
	v_fma_f64 v[78:79], -v[74:75], v[76:77], 1.0
	v_fma_f64 v[76:77], v[76:77], v[78:79], v[76:77]
	v_div_scale_f64 v[78:79], vcc, v[66:67], v[68:69], v[66:67]
	v_fma_f64 v[80:81], -v[74:75], v[76:77], 1.0
	v_fma_f64 v[76:77], v[76:77], v[80:81], v[76:77]
	v_mul_f64 v[80:81], v[78:79], v[76:77]
	v_fma_f64 v[74:75], -v[74:75], v[80:81], v[78:79]
	v_div_fmas_f64 v[74:75], v[74:75], v[76:77], v[80:81]
	v_div_fixup_f64 v[74:75], v[74:75], v[68:69], v[66:67]
	v_fma_f64 v[66:67], v[66:67], v[74:75], v[68:69]
	v_div_scale_f64 v[68:69], s[8:9], v[66:67], v[66:67], 1.0
	v_div_scale_f64 v[80:81], vcc, 1.0, v[66:67], 1.0
	v_rcp_f64_e32 v[76:77], v[68:69]
	v_fma_f64 v[78:79], -v[68:69], v[76:77], 1.0
	v_fma_f64 v[76:77], v[76:77], v[78:79], v[76:77]
	v_fma_f64 v[78:79], -v[68:69], v[76:77], 1.0
	v_fma_f64 v[76:77], v[76:77], v[78:79], v[76:77]
	v_mul_f64 v[78:79], v[80:81], v[76:77]
	v_fma_f64 v[68:69], -v[68:69], v[78:79], v[80:81]
	v_div_fmas_f64 v[68:69], v[68:69], v[76:77], v[78:79]
	v_div_fixup_f64 v[76:77], v[68:69], v[66:67], 1.0
                                        ; implicit-def: $vgpr66_vgpr67
	v_mul_f64 v[74:75], v[74:75], v[76:77]
	v_xor_b32_e32 v77, 0x80000000, v77
.LBB31_5:
	s_andn2_saveexec_b64 s[4:5], s[4:5]
	s_cbranch_execz .LBB31_7
; %bb.6:
	v_div_scale_f64 v[74:75], s[8:9], v[66:67], v[66:67], v[68:69]
	v_rcp_f64_e32 v[76:77], v[74:75]
	v_fma_f64 v[78:79], -v[74:75], v[76:77], 1.0
	v_fma_f64 v[76:77], v[76:77], v[78:79], v[76:77]
	v_div_scale_f64 v[78:79], vcc, v[68:69], v[66:67], v[68:69]
	v_fma_f64 v[80:81], -v[74:75], v[76:77], 1.0
	v_fma_f64 v[76:77], v[76:77], v[80:81], v[76:77]
	v_mul_f64 v[80:81], v[78:79], v[76:77]
	v_fma_f64 v[74:75], -v[74:75], v[80:81], v[78:79]
	v_div_fmas_f64 v[74:75], v[74:75], v[76:77], v[80:81]
	v_div_fixup_f64 v[76:77], v[74:75], v[66:67], v[68:69]
	v_fma_f64 v[66:67], v[68:69], v[76:77], v[66:67]
	v_div_scale_f64 v[68:69], s[8:9], v[66:67], v[66:67], 1.0
	v_div_scale_f64 v[80:81], vcc, 1.0, v[66:67], 1.0
	v_rcp_f64_e32 v[74:75], v[68:69]
	v_fma_f64 v[78:79], -v[68:69], v[74:75], 1.0
	v_fma_f64 v[74:75], v[74:75], v[78:79], v[74:75]
	v_fma_f64 v[78:79], -v[68:69], v[74:75], 1.0
	v_fma_f64 v[74:75], v[74:75], v[78:79], v[74:75]
	v_mul_f64 v[78:79], v[80:81], v[74:75]
	v_fma_f64 v[68:69], -v[68:69], v[78:79], v[80:81]
	v_div_fmas_f64 v[68:69], v[68:69], v[74:75], v[78:79]
	v_div_fixup_f64 v[74:75], v[68:69], v[66:67], 1.0
	v_mul_f64 v[76:77], v[76:77], -v[74:75]
.LBB31_7:
	s_or_b64 exec, exec, s[4:5]
	ds_write2_b64 v1, v[74:75], v[76:77] offset1:1
.LBB31_8:
	s_or_b64 exec, exec, s[6:7]
	s_waitcnt vmcnt(0) lgkmcnt(0)
	s_barrier
	ds_read2_b64 v[66:69], v1 offset1:1
	s_waitcnt lgkmcnt(0)
	buffer_store_dword v66, off, s[20:23], 0 offset:152 ; 4-byte Folded Spill
	s_nop 0
	buffer_store_dword v67, off, s[20:23], 0 offset:156 ; 4-byte Folded Spill
	buffer_store_dword v68, off, s[20:23], 0 offset:160 ; 4-byte Folded Spill
	;; [unrolled: 1-line block ×3, first 2 shown]
	s_and_saveexec_b64 s[4:5], s[2:3]
	s_cbranch_execz .LBB31_10
; %bb.9:
	buffer_load_dword v74, off, s[20:23], 0 offset:152 ; 4-byte Folded Reload
	buffer_load_dword v75, off, s[20:23], 0 offset:156 ; 4-byte Folded Reload
	;; [unrolled: 1-line block ×8, first 2 shown]
	s_waitcnt vmcnt(0)
	v_mul_f64 v[66:67], v[74:75], v[64:65]
	v_mul_f64 v[64:65], v[76:77], v[64:65]
	v_fma_f64 v[66:67], v[76:77], v[62:63], v[66:67]
	v_fma_f64 v[62:63], v[74:75], v[62:63], -v[64:65]
	ds_read2_b64 v[74:77], v126 offset0:2 offset1:3
	buffer_load_dword v58, off, s[20:23], 0 ; 4-byte Folded Reload
	buffer_load_dword v59, off, s[20:23], 0 offset:4 ; 4-byte Folded Reload
	buffer_load_dword v60, off, s[20:23], 0 offset:8 ; 4-byte Folded Reload
	;; [unrolled: 1-line block ×3, first 2 shown]
	s_waitcnt lgkmcnt(0)
	v_mul_f64 v[64:65], v[76:77], v[66:67]
	v_mul_f64 v[68:69], v[74:75], v[66:67]
	v_fma_f64 v[64:65], v[74:75], v[62:63], -v[64:65]
	v_fma_f64 v[68:69], v[76:77], v[62:63], v[68:69]
	s_waitcnt vmcnt(2)
	v_add_f64 v[58:59], v[58:59], -v[64:65]
	s_waitcnt vmcnt(0)
	v_add_f64 v[60:61], v[60:61], -v[68:69]
	buffer_store_dword v58, off, s[20:23], 0 ; 4-byte Folded Spill
	s_nop 0
	buffer_store_dword v59, off, s[20:23], 0 offset:4 ; 4-byte Folded Spill
	buffer_store_dword v60, off, s[20:23], 0 offset:8 ; 4-byte Folded Spill
	;; [unrolled: 1-line block ×3, first 2 shown]
	ds_read2_b64 v[74:77], v126 offset0:4 offset1:5
	s_waitcnt lgkmcnt(0)
	v_mul_f64 v[64:65], v[76:77], v[66:67]
	v_mul_f64 v[68:69], v[74:75], v[66:67]
	v_fma_f64 v[64:65], v[74:75], v[62:63], -v[64:65]
	v_fma_f64 v[68:69], v[76:77], v[62:63], v[68:69]
	ds_read2_b64 v[74:77], v126 offset0:6 offset1:7
	v_add_f64 v[54:55], v[54:55], -v[64:65]
	v_add_f64 v[56:57], v[56:57], -v[68:69]
	s_waitcnt lgkmcnt(0)
	v_mul_f64 v[64:65], v[76:77], v[66:67]
	v_mul_f64 v[68:69], v[74:75], v[66:67]
	v_fma_f64 v[64:65], v[74:75], v[62:63], -v[64:65]
	v_fma_f64 v[68:69], v[76:77], v[62:63], v[68:69]
	ds_read2_b64 v[74:77], v126 offset0:8 offset1:9
	v_add_f64 v[50:51], v[50:51], -v[64:65]
	v_add_f64 v[52:53], v[52:53], -v[68:69]
	;; [unrolled: 8-line block ×13, first 2 shown]
	s_waitcnt lgkmcnt(0)
	v_mul_f64 v[64:65], v[76:77], v[66:67]
	v_mul_f64 v[68:69], v[74:75], v[66:67]
	v_fma_f64 v[64:65], v[74:75], v[62:63], -v[64:65]
	v_fma_f64 v[68:69], v[76:77], v[62:63], v[68:69]
	v_add_f64 v[34:35], v[34:35], -v[64:65]
	v_add_f64 v[36:37], v[36:37], -v[68:69]
	v_mov_b32_e32 v64, v66
	v_mov_b32_e32 v65, v67
	buffer_store_dword v62, off, s[20:23], 0 offset:16 ; 4-byte Folded Spill
	s_nop 0
	buffer_store_dword v63, off, s[20:23], 0 offset:20 ; 4-byte Folded Spill
	buffer_store_dword v64, off, s[20:23], 0 offset:24 ; 4-byte Folded Spill
	;; [unrolled: 1-line block ×3, first 2 shown]
.LBB31_10:
	s_or_b64 exec, exec, s[4:5]
	v_cmp_eq_u32_e32 vcc, 1, v0
	s_waitcnt vmcnt(0)
	s_barrier
	s_and_saveexec_b64 s[4:5], vcc
	s_cbranch_execz .LBB31_17
; %bb.11:
	buffer_load_dword v58, off, s[20:23], 0 ; 4-byte Folded Reload
	buffer_load_dword v59, off, s[20:23], 0 offset:4 ; 4-byte Folded Reload
	buffer_load_dword v60, off, s[20:23], 0 offset:8 ; 4-byte Folded Reload
	;; [unrolled: 1-line block ×3, first 2 shown]
	s_waitcnt vmcnt(0)
	ds_write2_b64 v1, v[58:59], v[60:61] offset1:1
	ds_write2_b64 v126, v[54:55], v[56:57] offset0:4 offset1:5
	ds_write2_b64 v126, v[50:51], v[52:53] offset0:6 offset1:7
	;; [unrolled: 1-line block ×14, first 2 shown]
	ds_read2_b64 v[66:69], v1 offset1:1
	s_waitcnt lgkmcnt(0)
	v_cmp_neq_f64_e32 vcc, 0, v[66:67]
	v_cmp_neq_f64_e64 s[2:3], 0, v[68:69]
	s_or_b64 s[2:3], vcc, s[2:3]
	s_and_b64 exec, exec, s[2:3]
	s_cbranch_execz .LBB31_17
; %bb.12:
	v_cmp_ngt_f64_e64 s[2:3], |v[66:67]|, |v[68:69]|
                                        ; implicit-def: $vgpr74_vgpr75
	s_and_saveexec_b64 s[6:7], s[2:3]
	s_xor_b64 s[2:3], exec, s[6:7]
                                        ; implicit-def: $vgpr76_vgpr77
	s_cbranch_execz .LBB31_14
; %bb.13:
	v_div_scale_f64 v[74:75], s[6:7], v[68:69], v[68:69], v[66:67]
	v_rcp_f64_e32 v[76:77], v[74:75]
	v_fma_f64 v[78:79], -v[74:75], v[76:77], 1.0
	v_fma_f64 v[76:77], v[76:77], v[78:79], v[76:77]
	v_div_scale_f64 v[78:79], vcc, v[66:67], v[68:69], v[66:67]
	v_fma_f64 v[80:81], -v[74:75], v[76:77], 1.0
	v_fma_f64 v[76:77], v[76:77], v[80:81], v[76:77]
	v_mul_f64 v[80:81], v[78:79], v[76:77]
	v_fma_f64 v[74:75], -v[74:75], v[80:81], v[78:79]
	v_div_fmas_f64 v[74:75], v[74:75], v[76:77], v[80:81]
	v_div_fixup_f64 v[74:75], v[74:75], v[68:69], v[66:67]
	v_fma_f64 v[66:67], v[66:67], v[74:75], v[68:69]
	v_div_scale_f64 v[68:69], s[6:7], v[66:67], v[66:67], 1.0
	v_div_scale_f64 v[80:81], vcc, 1.0, v[66:67], 1.0
	v_rcp_f64_e32 v[76:77], v[68:69]
	v_fma_f64 v[78:79], -v[68:69], v[76:77], 1.0
	v_fma_f64 v[76:77], v[76:77], v[78:79], v[76:77]
	v_fma_f64 v[78:79], -v[68:69], v[76:77], 1.0
	v_fma_f64 v[76:77], v[76:77], v[78:79], v[76:77]
	v_mul_f64 v[78:79], v[80:81], v[76:77]
	v_fma_f64 v[68:69], -v[68:69], v[78:79], v[80:81]
	v_div_fmas_f64 v[68:69], v[68:69], v[76:77], v[78:79]
	v_div_fixup_f64 v[76:77], v[68:69], v[66:67], 1.0
                                        ; implicit-def: $vgpr66_vgpr67
	v_mul_f64 v[74:75], v[74:75], v[76:77]
	v_xor_b32_e32 v77, 0x80000000, v77
.LBB31_14:
	s_andn2_saveexec_b64 s[2:3], s[2:3]
	s_cbranch_execz .LBB31_16
; %bb.15:
	v_div_scale_f64 v[74:75], s[6:7], v[66:67], v[66:67], v[68:69]
	v_rcp_f64_e32 v[76:77], v[74:75]
	v_fma_f64 v[78:79], -v[74:75], v[76:77], 1.0
	v_fma_f64 v[76:77], v[76:77], v[78:79], v[76:77]
	v_div_scale_f64 v[78:79], vcc, v[68:69], v[66:67], v[68:69]
	v_fma_f64 v[80:81], -v[74:75], v[76:77], 1.0
	v_fma_f64 v[76:77], v[76:77], v[80:81], v[76:77]
	v_mul_f64 v[80:81], v[78:79], v[76:77]
	v_fma_f64 v[74:75], -v[74:75], v[80:81], v[78:79]
	v_div_fmas_f64 v[74:75], v[74:75], v[76:77], v[80:81]
	v_div_fixup_f64 v[76:77], v[74:75], v[66:67], v[68:69]
	v_fma_f64 v[66:67], v[68:69], v[76:77], v[66:67]
	v_div_scale_f64 v[68:69], s[6:7], v[66:67], v[66:67], 1.0
	v_div_scale_f64 v[80:81], vcc, 1.0, v[66:67], 1.0
	v_rcp_f64_e32 v[74:75], v[68:69]
	v_fma_f64 v[78:79], -v[68:69], v[74:75], 1.0
	v_fma_f64 v[74:75], v[74:75], v[78:79], v[74:75]
	v_fma_f64 v[78:79], -v[68:69], v[74:75], 1.0
	v_fma_f64 v[74:75], v[74:75], v[78:79], v[74:75]
	v_mul_f64 v[78:79], v[80:81], v[74:75]
	v_fma_f64 v[68:69], -v[68:69], v[78:79], v[80:81]
	v_div_fmas_f64 v[68:69], v[68:69], v[74:75], v[78:79]
	v_div_fixup_f64 v[74:75], v[68:69], v[66:67], 1.0
	v_mul_f64 v[76:77], v[76:77], -v[74:75]
.LBB31_16:
	s_or_b64 exec, exec, s[2:3]
	ds_write2_b64 v1, v[74:75], v[76:77] offset1:1
.LBB31_17:
	s_or_b64 exec, exec, s[4:5]
	s_waitcnt lgkmcnt(0)
	s_barrier
	ds_read2_b64 v[66:69], v1 offset1:1
	v_cmp_lt_u32_e32 vcc, 1, v0
	s_waitcnt lgkmcnt(0)
	buffer_store_dword v66, off, s[20:23], 0 offset:168 ; 4-byte Folded Spill
	s_nop 0
	buffer_store_dword v67, off, s[20:23], 0 offset:172 ; 4-byte Folded Spill
	buffer_store_dword v68, off, s[20:23], 0 offset:176 ; 4-byte Folded Spill
	;; [unrolled: 1-line block ×3, first 2 shown]
	s_and_saveexec_b64 s[2:3], vcc
	s_cbranch_execz .LBB31_19
; %bb.18:
	buffer_load_dword v74, off, s[20:23], 0 offset:168 ; 4-byte Folded Reload
	buffer_load_dword v75, off, s[20:23], 0 offset:172 ; 4-byte Folded Reload
	;; [unrolled: 1-line block ×4, first 2 shown]
	buffer_load_dword v58, off, s[20:23], 0 ; 4-byte Folded Reload
	buffer_load_dword v59, off, s[20:23], 0 offset:4 ; 4-byte Folded Reload
	buffer_load_dword v60, off, s[20:23], 0 offset:8 ; 4-byte Folded Reload
	;; [unrolled: 1-line block ×3, first 2 shown]
	s_waitcnt vmcnt(0)
	v_mul_f64 v[66:67], v[74:75], v[60:61]
	v_mul_f64 v[60:61], v[76:77], v[60:61]
	v_fma_f64 v[66:67], v[76:77], v[58:59], v[66:67]
	v_fma_f64 v[58:59], v[74:75], v[58:59], -v[60:61]
	ds_read2_b64 v[74:77], v126 offset0:4 offset1:5
	s_waitcnt lgkmcnt(0)
	v_mul_f64 v[60:61], v[76:77], v[66:67]
	v_mul_f64 v[68:69], v[74:75], v[66:67]
	v_fma_f64 v[60:61], v[74:75], v[58:59], -v[60:61]
	v_fma_f64 v[68:69], v[76:77], v[58:59], v[68:69]
	ds_read2_b64 v[74:77], v126 offset0:6 offset1:7
	v_add_f64 v[54:55], v[54:55], -v[60:61]
	v_add_f64 v[56:57], v[56:57], -v[68:69]
	s_waitcnt lgkmcnt(0)
	v_mul_f64 v[60:61], v[76:77], v[66:67]
	v_mul_f64 v[68:69], v[74:75], v[66:67]
	v_fma_f64 v[60:61], v[74:75], v[58:59], -v[60:61]
	v_fma_f64 v[68:69], v[76:77], v[58:59], v[68:69]
	ds_read2_b64 v[74:77], v126 offset0:8 offset1:9
	v_add_f64 v[50:51], v[50:51], -v[60:61]
	v_add_f64 v[52:53], v[52:53], -v[68:69]
	;; [unrolled: 8-line block ×13, first 2 shown]
	s_waitcnt lgkmcnt(0)
	v_mul_f64 v[60:61], v[76:77], v[66:67]
	v_mul_f64 v[68:69], v[74:75], v[66:67]
	v_fma_f64 v[60:61], v[74:75], v[58:59], -v[60:61]
	v_fma_f64 v[68:69], v[76:77], v[58:59], v[68:69]
	v_add_f64 v[34:35], v[34:35], -v[60:61]
	v_add_f64 v[36:37], v[36:37], -v[68:69]
	v_mov_b32_e32 v60, v66
	v_mov_b32_e32 v61, v67
	buffer_store_dword v58, off, s[20:23], 0 ; 4-byte Folded Spill
	s_nop 0
	buffer_store_dword v59, off, s[20:23], 0 offset:4 ; 4-byte Folded Spill
	buffer_store_dword v60, off, s[20:23], 0 offset:8 ; 4-byte Folded Spill
	;; [unrolled: 1-line block ×3, first 2 shown]
.LBB31_19:
	s_or_b64 exec, exec, s[2:3]
	v_cmp_eq_u32_e32 vcc, 2, v0
	s_waitcnt vmcnt(0)
	s_barrier
	s_and_saveexec_b64 s[4:5], vcc
	s_cbranch_execz .LBB31_26
; %bb.20:
	ds_write2_b64 v1, v[54:55], v[56:57] offset1:1
	ds_write2_b64 v126, v[50:51], v[52:53] offset0:6 offset1:7
	ds_write2_b64 v126, v[46:47], v[48:49] offset0:8 offset1:9
	;; [unrolled: 1-line block ×13, first 2 shown]
	ds_read2_b64 v[66:69], v1 offset1:1
	s_waitcnt lgkmcnt(0)
	v_cmp_neq_f64_e32 vcc, 0, v[66:67]
	v_cmp_neq_f64_e64 s[2:3], 0, v[68:69]
	s_or_b64 s[2:3], vcc, s[2:3]
	s_and_b64 exec, exec, s[2:3]
	s_cbranch_execz .LBB31_26
; %bb.21:
	v_cmp_ngt_f64_e64 s[2:3], |v[66:67]|, |v[68:69]|
                                        ; implicit-def: $vgpr74_vgpr75
	s_and_saveexec_b64 s[6:7], s[2:3]
	s_xor_b64 s[2:3], exec, s[6:7]
                                        ; implicit-def: $vgpr76_vgpr77
	s_cbranch_execz .LBB31_23
; %bb.22:
	v_div_scale_f64 v[74:75], s[6:7], v[68:69], v[68:69], v[66:67]
	v_rcp_f64_e32 v[76:77], v[74:75]
	v_fma_f64 v[78:79], -v[74:75], v[76:77], 1.0
	v_fma_f64 v[76:77], v[76:77], v[78:79], v[76:77]
	v_div_scale_f64 v[78:79], vcc, v[66:67], v[68:69], v[66:67]
	v_fma_f64 v[80:81], -v[74:75], v[76:77], 1.0
	v_fma_f64 v[76:77], v[76:77], v[80:81], v[76:77]
	v_mul_f64 v[80:81], v[78:79], v[76:77]
	v_fma_f64 v[74:75], -v[74:75], v[80:81], v[78:79]
	v_div_fmas_f64 v[74:75], v[74:75], v[76:77], v[80:81]
	v_div_fixup_f64 v[74:75], v[74:75], v[68:69], v[66:67]
	v_fma_f64 v[66:67], v[66:67], v[74:75], v[68:69]
	v_div_scale_f64 v[68:69], s[6:7], v[66:67], v[66:67], 1.0
	v_div_scale_f64 v[80:81], vcc, 1.0, v[66:67], 1.0
	v_rcp_f64_e32 v[76:77], v[68:69]
	v_fma_f64 v[78:79], -v[68:69], v[76:77], 1.0
	v_fma_f64 v[76:77], v[76:77], v[78:79], v[76:77]
	v_fma_f64 v[78:79], -v[68:69], v[76:77], 1.0
	v_fma_f64 v[76:77], v[76:77], v[78:79], v[76:77]
	v_mul_f64 v[78:79], v[80:81], v[76:77]
	v_fma_f64 v[68:69], -v[68:69], v[78:79], v[80:81]
	v_div_fmas_f64 v[68:69], v[68:69], v[76:77], v[78:79]
	v_div_fixup_f64 v[76:77], v[68:69], v[66:67], 1.0
                                        ; implicit-def: $vgpr66_vgpr67
	v_mul_f64 v[74:75], v[74:75], v[76:77]
	v_xor_b32_e32 v77, 0x80000000, v77
.LBB31_23:
	s_andn2_saveexec_b64 s[2:3], s[2:3]
	s_cbranch_execz .LBB31_25
; %bb.24:
	v_div_scale_f64 v[74:75], s[6:7], v[66:67], v[66:67], v[68:69]
	v_rcp_f64_e32 v[76:77], v[74:75]
	v_fma_f64 v[78:79], -v[74:75], v[76:77], 1.0
	v_fma_f64 v[76:77], v[76:77], v[78:79], v[76:77]
	v_div_scale_f64 v[78:79], vcc, v[68:69], v[66:67], v[68:69]
	v_fma_f64 v[80:81], -v[74:75], v[76:77], 1.0
	v_fma_f64 v[76:77], v[76:77], v[80:81], v[76:77]
	v_mul_f64 v[80:81], v[78:79], v[76:77]
	v_fma_f64 v[74:75], -v[74:75], v[80:81], v[78:79]
	v_div_fmas_f64 v[74:75], v[74:75], v[76:77], v[80:81]
	v_div_fixup_f64 v[76:77], v[74:75], v[66:67], v[68:69]
	v_fma_f64 v[66:67], v[68:69], v[76:77], v[66:67]
	v_div_scale_f64 v[68:69], s[6:7], v[66:67], v[66:67], 1.0
	v_div_scale_f64 v[80:81], vcc, 1.0, v[66:67], 1.0
	v_rcp_f64_e32 v[74:75], v[68:69]
	v_fma_f64 v[78:79], -v[68:69], v[74:75], 1.0
	v_fma_f64 v[74:75], v[74:75], v[78:79], v[74:75]
	v_fma_f64 v[78:79], -v[68:69], v[74:75], 1.0
	v_fma_f64 v[74:75], v[74:75], v[78:79], v[74:75]
	v_mul_f64 v[78:79], v[80:81], v[74:75]
	v_fma_f64 v[68:69], -v[68:69], v[78:79], v[80:81]
	v_div_fmas_f64 v[68:69], v[68:69], v[74:75], v[78:79]
	v_div_fixup_f64 v[74:75], v[68:69], v[66:67], 1.0
	v_mul_f64 v[76:77], v[76:77], -v[74:75]
.LBB31_25:
	s_or_b64 exec, exec, s[2:3]
	ds_write2_b64 v1, v[74:75], v[76:77] offset1:1
.LBB31_26:
	s_or_b64 exec, exec, s[4:5]
	s_waitcnt lgkmcnt(0)
	s_barrier
	ds_read2_b64 v[66:69], v1 offset1:1
	v_cmp_lt_u32_e32 vcc, 2, v0
	s_waitcnt lgkmcnt(0)
	buffer_store_dword v66, off, s[20:23], 0 offset:184 ; 4-byte Folded Spill
	s_nop 0
	buffer_store_dword v67, off, s[20:23], 0 offset:188 ; 4-byte Folded Spill
	buffer_store_dword v68, off, s[20:23], 0 offset:192 ; 4-byte Folded Spill
	;; [unrolled: 1-line block ×3, first 2 shown]
	s_and_saveexec_b64 s[2:3], vcc
	s_cbranch_execz .LBB31_28
; %bb.27:
	buffer_load_dword v74, off, s[20:23], 0 offset:184 ; 4-byte Folded Reload
	buffer_load_dword v75, off, s[20:23], 0 offset:188 ; 4-byte Folded Reload
	;; [unrolled: 1-line block ×4, first 2 shown]
	ds_read2_b64 v[78:81], v126 offset0:6 offset1:7
	s_waitcnt vmcnt(2)
	v_mul_f64 v[66:67], v[74:75], v[56:57]
	s_waitcnt vmcnt(0)
	v_mul_f64 v[56:57], v[76:77], v[56:57]
	v_fma_f64 v[66:67], v[76:77], v[54:55], v[66:67]
	v_fma_f64 v[54:55], v[74:75], v[54:55], -v[56:57]
	s_waitcnt lgkmcnt(0)
	v_mul_f64 v[56:57], v[80:81], v[66:67]
	v_mul_f64 v[68:69], v[78:79], v[66:67]
	v_fma_f64 v[56:57], v[78:79], v[54:55], -v[56:57]
	v_fma_f64 v[68:69], v[80:81], v[54:55], v[68:69]
	ds_read2_b64 v[78:81], v126 offset0:8 offset1:9
	v_add_f64 v[50:51], v[50:51], -v[56:57]
	v_add_f64 v[52:53], v[52:53], -v[68:69]
	s_waitcnt lgkmcnt(0)
	v_mul_f64 v[56:57], v[80:81], v[66:67]
	v_mul_f64 v[68:69], v[78:79], v[66:67]
	v_fma_f64 v[56:57], v[78:79], v[54:55], -v[56:57]
	v_fma_f64 v[68:69], v[80:81], v[54:55], v[68:69]
	ds_read2_b64 v[78:81], v126 offset0:10 offset1:11
	v_add_f64 v[46:47], v[46:47], -v[56:57]
	v_add_f64 v[48:49], v[48:49], -v[68:69]
	;; [unrolled: 8-line block ×12, first 2 shown]
	s_waitcnt lgkmcnt(0)
	v_mul_f64 v[56:57], v[80:81], v[66:67]
	v_mul_f64 v[68:69], v[78:79], v[66:67]
	v_fma_f64 v[56:57], v[78:79], v[54:55], -v[56:57]
	v_fma_f64 v[68:69], v[80:81], v[54:55], v[68:69]
	v_add_f64 v[34:35], v[34:35], -v[56:57]
	v_add_f64 v[36:37], v[36:37], -v[68:69]
	v_mov_b32_e32 v56, v66
	v_mov_b32_e32 v57, v67
.LBB31_28:
	s_or_b64 exec, exec, s[2:3]
	v_cmp_eq_u32_e32 vcc, 3, v0
	s_waitcnt vmcnt(0)
	s_barrier
	s_and_saveexec_b64 s[4:5], vcc
	s_cbranch_execz .LBB31_35
; %bb.29:
	ds_write2_b64 v1, v[50:51], v[52:53] offset1:1
	ds_write2_b64 v126, v[46:47], v[48:49] offset0:8 offset1:9
	ds_write2_b64 v126, v[42:43], v[44:45] offset0:10 offset1:11
	;; [unrolled: 1-line block ×12, first 2 shown]
	ds_read2_b64 v[66:69], v1 offset1:1
	s_waitcnt lgkmcnt(0)
	v_cmp_neq_f64_e32 vcc, 0, v[66:67]
	v_cmp_neq_f64_e64 s[2:3], 0, v[68:69]
	s_or_b64 s[2:3], vcc, s[2:3]
	s_and_b64 exec, exec, s[2:3]
	s_cbranch_execz .LBB31_35
; %bb.30:
	v_cmp_ngt_f64_e64 s[2:3], |v[66:67]|, |v[68:69]|
                                        ; implicit-def: $vgpr78_vgpr79
	s_and_saveexec_b64 s[6:7], s[2:3]
	s_xor_b64 s[2:3], exec, s[6:7]
                                        ; implicit-def: $vgpr80_vgpr81
	s_cbranch_execz .LBB31_32
; %bb.31:
	v_div_scale_f64 v[78:79], s[6:7], v[68:69], v[68:69], v[66:67]
	v_rcp_f64_e32 v[80:81], v[78:79]
	v_fma_f64 v[82:83], -v[78:79], v[80:81], 1.0
	v_fma_f64 v[80:81], v[80:81], v[82:83], v[80:81]
	v_div_scale_f64 v[82:83], vcc, v[66:67], v[68:69], v[66:67]
	v_fma_f64 v[84:85], -v[78:79], v[80:81], 1.0
	v_fma_f64 v[80:81], v[80:81], v[84:85], v[80:81]
	v_mul_f64 v[84:85], v[82:83], v[80:81]
	v_fma_f64 v[78:79], -v[78:79], v[84:85], v[82:83]
	v_div_fmas_f64 v[78:79], v[78:79], v[80:81], v[84:85]
	v_div_fixup_f64 v[78:79], v[78:79], v[68:69], v[66:67]
	v_fma_f64 v[66:67], v[66:67], v[78:79], v[68:69]
	v_div_scale_f64 v[68:69], s[6:7], v[66:67], v[66:67], 1.0
	v_div_scale_f64 v[84:85], vcc, 1.0, v[66:67], 1.0
	v_rcp_f64_e32 v[80:81], v[68:69]
	v_fma_f64 v[82:83], -v[68:69], v[80:81], 1.0
	v_fma_f64 v[80:81], v[80:81], v[82:83], v[80:81]
	v_fma_f64 v[82:83], -v[68:69], v[80:81], 1.0
	v_fma_f64 v[80:81], v[80:81], v[82:83], v[80:81]
	v_mul_f64 v[82:83], v[84:85], v[80:81]
	v_fma_f64 v[68:69], -v[68:69], v[82:83], v[84:85]
	v_div_fmas_f64 v[68:69], v[68:69], v[80:81], v[82:83]
	v_div_fixup_f64 v[80:81], v[68:69], v[66:67], 1.0
                                        ; implicit-def: $vgpr66_vgpr67
	v_mul_f64 v[78:79], v[78:79], v[80:81]
	v_xor_b32_e32 v81, 0x80000000, v81
.LBB31_32:
	s_andn2_saveexec_b64 s[2:3], s[2:3]
	s_cbranch_execz .LBB31_34
; %bb.33:
	v_div_scale_f64 v[78:79], s[6:7], v[66:67], v[66:67], v[68:69]
	v_rcp_f64_e32 v[80:81], v[78:79]
	v_fma_f64 v[82:83], -v[78:79], v[80:81], 1.0
	v_fma_f64 v[80:81], v[80:81], v[82:83], v[80:81]
	v_div_scale_f64 v[82:83], vcc, v[68:69], v[66:67], v[68:69]
	v_fma_f64 v[84:85], -v[78:79], v[80:81], 1.0
	v_fma_f64 v[80:81], v[80:81], v[84:85], v[80:81]
	v_mul_f64 v[84:85], v[82:83], v[80:81]
	v_fma_f64 v[78:79], -v[78:79], v[84:85], v[82:83]
	v_div_fmas_f64 v[78:79], v[78:79], v[80:81], v[84:85]
	v_div_fixup_f64 v[80:81], v[78:79], v[66:67], v[68:69]
	v_fma_f64 v[66:67], v[68:69], v[80:81], v[66:67]
	v_div_scale_f64 v[68:69], s[6:7], v[66:67], v[66:67], 1.0
	v_div_scale_f64 v[84:85], vcc, 1.0, v[66:67], 1.0
	v_rcp_f64_e32 v[78:79], v[68:69]
	v_fma_f64 v[82:83], -v[68:69], v[78:79], 1.0
	v_fma_f64 v[78:79], v[78:79], v[82:83], v[78:79]
	v_fma_f64 v[82:83], -v[68:69], v[78:79], 1.0
	v_fma_f64 v[78:79], v[78:79], v[82:83], v[78:79]
	v_mul_f64 v[82:83], v[84:85], v[78:79]
	v_fma_f64 v[68:69], -v[68:69], v[82:83], v[84:85]
	v_div_fmas_f64 v[68:69], v[68:69], v[78:79], v[82:83]
	v_div_fixup_f64 v[78:79], v[68:69], v[66:67], 1.0
	v_mul_f64 v[80:81], v[80:81], -v[78:79]
.LBB31_34:
	s_or_b64 exec, exec, s[2:3]
	ds_write2_b64 v1, v[78:79], v[80:81] offset1:1
.LBB31_35:
	s_or_b64 exec, exec, s[4:5]
	s_waitcnt lgkmcnt(0)
	s_barrier
	ds_read2_b64 v[78:81], v1 offset1:1
	v_cmp_lt_u32_e32 vcc, 3, v0
	s_and_saveexec_b64 s[2:3], vcc
	s_cbranch_execz .LBB31_37
; %bb.36:
	s_waitcnt lgkmcnt(0)
	v_mul_f64 v[66:67], v[78:79], v[52:53]
	v_mul_f64 v[52:53], v[80:81], v[52:53]
	ds_read2_b64 v[82:85], v126 offset0:8 offset1:9
	v_fma_f64 v[66:67], v[80:81], v[50:51], v[66:67]
	v_fma_f64 v[50:51], v[78:79], v[50:51], -v[52:53]
	s_waitcnt lgkmcnt(0)
	v_mul_f64 v[52:53], v[84:85], v[66:67]
	v_mul_f64 v[68:69], v[82:83], v[66:67]
	v_fma_f64 v[52:53], v[82:83], v[50:51], -v[52:53]
	v_fma_f64 v[68:69], v[84:85], v[50:51], v[68:69]
	ds_read2_b64 v[82:85], v126 offset0:10 offset1:11
	v_add_f64 v[46:47], v[46:47], -v[52:53]
	v_add_f64 v[48:49], v[48:49], -v[68:69]
	s_waitcnt lgkmcnt(0)
	v_mul_f64 v[52:53], v[84:85], v[66:67]
	v_mul_f64 v[68:69], v[82:83], v[66:67]
	v_fma_f64 v[52:53], v[82:83], v[50:51], -v[52:53]
	v_fma_f64 v[68:69], v[84:85], v[50:51], v[68:69]
	ds_read2_b64 v[82:85], v126 offset0:12 offset1:13
	v_add_f64 v[42:43], v[42:43], -v[52:53]
	v_add_f64 v[44:45], v[44:45], -v[68:69]
	;; [unrolled: 8-line block ×11, first 2 shown]
	s_waitcnt lgkmcnt(0)
	v_mul_f64 v[52:53], v[84:85], v[66:67]
	v_mul_f64 v[68:69], v[82:83], v[66:67]
	v_fma_f64 v[52:53], v[82:83], v[50:51], -v[52:53]
	v_fma_f64 v[68:69], v[84:85], v[50:51], v[68:69]
	v_add_f64 v[34:35], v[34:35], -v[52:53]
	v_add_f64 v[36:37], v[36:37], -v[68:69]
	v_mov_b32_e32 v52, v66
	v_mov_b32_e32 v53, v67
.LBB31_37:
	s_or_b64 exec, exec, s[2:3]
	v_cmp_eq_u32_e32 vcc, 4, v0
	s_waitcnt lgkmcnt(0)
	s_barrier
	s_and_saveexec_b64 s[4:5], vcc
	s_cbranch_execz .LBB31_44
; %bb.38:
	ds_write2_b64 v1, v[46:47], v[48:49] offset1:1
	ds_write2_b64 v126, v[42:43], v[44:45] offset0:10 offset1:11
	ds_write2_b64 v126, v[38:39], v[40:41] offset0:12 offset1:13
	;; [unrolled: 1-line block ×11, first 2 shown]
	ds_read2_b64 v[66:69], v1 offset1:1
	s_waitcnt lgkmcnt(0)
	v_cmp_neq_f64_e32 vcc, 0, v[66:67]
	v_cmp_neq_f64_e64 s[2:3], 0, v[68:69]
	s_or_b64 s[2:3], vcc, s[2:3]
	s_and_b64 exec, exec, s[2:3]
	s_cbranch_execz .LBB31_44
; %bb.39:
	v_cmp_ngt_f64_e64 s[2:3], |v[66:67]|, |v[68:69]|
                                        ; implicit-def: $vgpr82_vgpr83
	s_and_saveexec_b64 s[6:7], s[2:3]
	s_xor_b64 s[2:3], exec, s[6:7]
                                        ; implicit-def: $vgpr84_vgpr85
	s_cbranch_execz .LBB31_41
; %bb.40:
	v_div_scale_f64 v[82:83], s[6:7], v[68:69], v[68:69], v[66:67]
	v_rcp_f64_e32 v[84:85], v[82:83]
	v_fma_f64 v[86:87], -v[82:83], v[84:85], 1.0
	v_fma_f64 v[84:85], v[84:85], v[86:87], v[84:85]
	v_div_scale_f64 v[86:87], vcc, v[66:67], v[68:69], v[66:67]
	v_fma_f64 v[88:89], -v[82:83], v[84:85], 1.0
	v_fma_f64 v[84:85], v[84:85], v[88:89], v[84:85]
	v_mul_f64 v[88:89], v[86:87], v[84:85]
	v_fma_f64 v[82:83], -v[82:83], v[88:89], v[86:87]
	v_div_fmas_f64 v[82:83], v[82:83], v[84:85], v[88:89]
	v_div_fixup_f64 v[82:83], v[82:83], v[68:69], v[66:67]
	v_fma_f64 v[66:67], v[66:67], v[82:83], v[68:69]
	v_div_scale_f64 v[68:69], s[6:7], v[66:67], v[66:67], 1.0
	v_div_scale_f64 v[88:89], vcc, 1.0, v[66:67], 1.0
	v_rcp_f64_e32 v[84:85], v[68:69]
	v_fma_f64 v[86:87], -v[68:69], v[84:85], 1.0
	v_fma_f64 v[84:85], v[84:85], v[86:87], v[84:85]
	v_fma_f64 v[86:87], -v[68:69], v[84:85], 1.0
	v_fma_f64 v[84:85], v[84:85], v[86:87], v[84:85]
	v_mul_f64 v[86:87], v[88:89], v[84:85]
	v_fma_f64 v[68:69], -v[68:69], v[86:87], v[88:89]
	v_div_fmas_f64 v[68:69], v[68:69], v[84:85], v[86:87]
	v_div_fixup_f64 v[84:85], v[68:69], v[66:67], 1.0
                                        ; implicit-def: $vgpr66_vgpr67
	v_mul_f64 v[82:83], v[82:83], v[84:85]
	v_xor_b32_e32 v85, 0x80000000, v85
.LBB31_41:
	s_andn2_saveexec_b64 s[2:3], s[2:3]
	s_cbranch_execz .LBB31_43
; %bb.42:
	v_div_scale_f64 v[82:83], s[6:7], v[66:67], v[66:67], v[68:69]
	v_rcp_f64_e32 v[84:85], v[82:83]
	v_fma_f64 v[86:87], -v[82:83], v[84:85], 1.0
	v_fma_f64 v[84:85], v[84:85], v[86:87], v[84:85]
	v_div_scale_f64 v[86:87], vcc, v[68:69], v[66:67], v[68:69]
	v_fma_f64 v[88:89], -v[82:83], v[84:85], 1.0
	v_fma_f64 v[84:85], v[84:85], v[88:89], v[84:85]
	v_mul_f64 v[88:89], v[86:87], v[84:85]
	v_fma_f64 v[82:83], -v[82:83], v[88:89], v[86:87]
	v_div_fmas_f64 v[82:83], v[82:83], v[84:85], v[88:89]
	v_div_fixup_f64 v[84:85], v[82:83], v[66:67], v[68:69]
	v_fma_f64 v[66:67], v[68:69], v[84:85], v[66:67]
	v_div_scale_f64 v[68:69], s[6:7], v[66:67], v[66:67], 1.0
	v_div_scale_f64 v[88:89], vcc, 1.0, v[66:67], 1.0
	v_rcp_f64_e32 v[82:83], v[68:69]
	v_fma_f64 v[86:87], -v[68:69], v[82:83], 1.0
	v_fma_f64 v[82:83], v[82:83], v[86:87], v[82:83]
	v_fma_f64 v[86:87], -v[68:69], v[82:83], 1.0
	v_fma_f64 v[82:83], v[82:83], v[86:87], v[82:83]
	v_mul_f64 v[86:87], v[88:89], v[82:83]
	v_fma_f64 v[68:69], -v[68:69], v[86:87], v[88:89]
	v_div_fmas_f64 v[68:69], v[68:69], v[82:83], v[86:87]
	v_div_fixup_f64 v[82:83], v[68:69], v[66:67], 1.0
	v_mul_f64 v[84:85], v[84:85], -v[82:83]
.LBB31_43:
	s_or_b64 exec, exec, s[2:3]
	ds_write2_b64 v1, v[82:83], v[84:85] offset1:1
.LBB31_44:
	s_or_b64 exec, exec, s[4:5]
	s_waitcnt lgkmcnt(0)
	s_barrier
	ds_read2_b64 v[82:85], v1 offset1:1
	v_cmp_lt_u32_e32 vcc, 4, v0
	s_and_saveexec_b64 s[2:3], vcc
	s_cbranch_execz .LBB31_46
; %bb.45:
	s_waitcnt lgkmcnt(0)
	v_mul_f64 v[66:67], v[82:83], v[48:49]
	v_mul_f64 v[48:49], v[84:85], v[48:49]
	ds_read2_b64 v[86:89], v126 offset0:10 offset1:11
	v_fma_f64 v[66:67], v[84:85], v[46:47], v[66:67]
	v_fma_f64 v[46:47], v[82:83], v[46:47], -v[48:49]
	s_waitcnt lgkmcnt(0)
	v_mul_f64 v[48:49], v[88:89], v[66:67]
	v_mul_f64 v[68:69], v[86:87], v[66:67]
	v_fma_f64 v[48:49], v[86:87], v[46:47], -v[48:49]
	v_fma_f64 v[68:69], v[88:89], v[46:47], v[68:69]
	ds_read2_b64 v[86:89], v126 offset0:12 offset1:13
	v_add_f64 v[42:43], v[42:43], -v[48:49]
	v_add_f64 v[44:45], v[44:45], -v[68:69]
	s_waitcnt lgkmcnt(0)
	v_mul_f64 v[48:49], v[88:89], v[66:67]
	v_mul_f64 v[68:69], v[86:87], v[66:67]
	v_fma_f64 v[48:49], v[86:87], v[46:47], -v[48:49]
	v_fma_f64 v[68:69], v[88:89], v[46:47], v[68:69]
	ds_read2_b64 v[86:89], v126 offset0:14 offset1:15
	v_add_f64 v[38:39], v[38:39], -v[48:49]
	v_add_f64 v[40:41], v[40:41], -v[68:69]
	;; [unrolled: 8-line block ×10, first 2 shown]
	s_waitcnt lgkmcnt(0)
	v_mul_f64 v[48:49], v[88:89], v[66:67]
	v_mul_f64 v[68:69], v[86:87], v[66:67]
	v_fma_f64 v[48:49], v[86:87], v[46:47], -v[48:49]
	v_fma_f64 v[68:69], v[88:89], v[46:47], v[68:69]
	v_add_f64 v[34:35], v[34:35], -v[48:49]
	v_add_f64 v[36:37], v[36:37], -v[68:69]
	v_mov_b32_e32 v48, v66
	v_mov_b32_e32 v49, v67
.LBB31_46:
	s_or_b64 exec, exec, s[2:3]
	v_cmp_eq_u32_e32 vcc, 5, v0
	s_waitcnt lgkmcnt(0)
	s_barrier
	s_and_saveexec_b64 s[4:5], vcc
	s_cbranch_execz .LBB31_53
; %bb.47:
	ds_write2_b64 v1, v[42:43], v[44:45] offset1:1
	ds_write2_b64 v126, v[38:39], v[40:41] offset0:12 offset1:13
	ds_write2_b64 v126, v[30:31], v[32:33] offset0:14 offset1:15
	;; [unrolled: 1-line block ×10, first 2 shown]
	ds_read2_b64 v[66:69], v1 offset1:1
	s_waitcnt lgkmcnt(0)
	v_cmp_neq_f64_e32 vcc, 0, v[66:67]
	v_cmp_neq_f64_e64 s[2:3], 0, v[68:69]
	s_or_b64 s[2:3], vcc, s[2:3]
	s_and_b64 exec, exec, s[2:3]
	s_cbranch_execz .LBB31_53
; %bb.48:
	v_cmp_ngt_f64_e64 s[2:3], |v[66:67]|, |v[68:69]|
                                        ; implicit-def: $vgpr86_vgpr87
	s_and_saveexec_b64 s[6:7], s[2:3]
	s_xor_b64 s[2:3], exec, s[6:7]
                                        ; implicit-def: $vgpr88_vgpr89
	s_cbranch_execz .LBB31_50
; %bb.49:
	v_div_scale_f64 v[86:87], s[6:7], v[68:69], v[68:69], v[66:67]
	v_rcp_f64_e32 v[88:89], v[86:87]
	v_fma_f64 v[90:91], -v[86:87], v[88:89], 1.0
	v_fma_f64 v[88:89], v[88:89], v[90:91], v[88:89]
	v_div_scale_f64 v[90:91], vcc, v[66:67], v[68:69], v[66:67]
	v_fma_f64 v[92:93], -v[86:87], v[88:89], 1.0
	v_fma_f64 v[88:89], v[88:89], v[92:93], v[88:89]
	v_mul_f64 v[92:93], v[90:91], v[88:89]
	v_fma_f64 v[86:87], -v[86:87], v[92:93], v[90:91]
	v_div_fmas_f64 v[86:87], v[86:87], v[88:89], v[92:93]
	v_div_fixup_f64 v[86:87], v[86:87], v[68:69], v[66:67]
	v_fma_f64 v[66:67], v[66:67], v[86:87], v[68:69]
	v_div_scale_f64 v[68:69], s[6:7], v[66:67], v[66:67], 1.0
	v_div_scale_f64 v[92:93], vcc, 1.0, v[66:67], 1.0
	v_rcp_f64_e32 v[88:89], v[68:69]
	v_fma_f64 v[90:91], -v[68:69], v[88:89], 1.0
	v_fma_f64 v[88:89], v[88:89], v[90:91], v[88:89]
	v_fma_f64 v[90:91], -v[68:69], v[88:89], 1.0
	v_fma_f64 v[88:89], v[88:89], v[90:91], v[88:89]
	v_mul_f64 v[90:91], v[92:93], v[88:89]
	v_fma_f64 v[68:69], -v[68:69], v[90:91], v[92:93]
	v_div_fmas_f64 v[68:69], v[68:69], v[88:89], v[90:91]
	v_div_fixup_f64 v[88:89], v[68:69], v[66:67], 1.0
                                        ; implicit-def: $vgpr66_vgpr67
	v_mul_f64 v[86:87], v[86:87], v[88:89]
	v_xor_b32_e32 v89, 0x80000000, v89
.LBB31_50:
	s_andn2_saveexec_b64 s[2:3], s[2:3]
	s_cbranch_execz .LBB31_52
; %bb.51:
	v_div_scale_f64 v[86:87], s[6:7], v[66:67], v[66:67], v[68:69]
	v_rcp_f64_e32 v[88:89], v[86:87]
	v_fma_f64 v[90:91], -v[86:87], v[88:89], 1.0
	v_fma_f64 v[88:89], v[88:89], v[90:91], v[88:89]
	v_div_scale_f64 v[90:91], vcc, v[68:69], v[66:67], v[68:69]
	v_fma_f64 v[92:93], -v[86:87], v[88:89], 1.0
	v_fma_f64 v[88:89], v[88:89], v[92:93], v[88:89]
	v_mul_f64 v[92:93], v[90:91], v[88:89]
	v_fma_f64 v[86:87], -v[86:87], v[92:93], v[90:91]
	v_div_fmas_f64 v[86:87], v[86:87], v[88:89], v[92:93]
	v_div_fixup_f64 v[88:89], v[86:87], v[66:67], v[68:69]
	v_fma_f64 v[66:67], v[68:69], v[88:89], v[66:67]
	v_div_scale_f64 v[68:69], s[6:7], v[66:67], v[66:67], 1.0
	v_div_scale_f64 v[92:93], vcc, 1.0, v[66:67], 1.0
	v_rcp_f64_e32 v[86:87], v[68:69]
	v_fma_f64 v[90:91], -v[68:69], v[86:87], 1.0
	v_fma_f64 v[86:87], v[86:87], v[90:91], v[86:87]
	v_fma_f64 v[90:91], -v[68:69], v[86:87], 1.0
	v_fma_f64 v[86:87], v[86:87], v[90:91], v[86:87]
	v_mul_f64 v[90:91], v[92:93], v[86:87]
	v_fma_f64 v[68:69], -v[68:69], v[90:91], v[92:93]
	v_div_fmas_f64 v[68:69], v[68:69], v[86:87], v[90:91]
	v_div_fixup_f64 v[86:87], v[68:69], v[66:67], 1.0
	v_mul_f64 v[88:89], v[88:89], -v[86:87]
.LBB31_52:
	s_or_b64 exec, exec, s[2:3]
	ds_write2_b64 v1, v[86:87], v[88:89] offset1:1
.LBB31_53:
	s_or_b64 exec, exec, s[4:5]
	s_waitcnt lgkmcnt(0)
	s_barrier
	ds_read2_b64 v[86:89], v1 offset1:1
	v_cmp_lt_u32_e32 vcc, 5, v0
	s_and_saveexec_b64 s[2:3], vcc
	s_cbranch_execz .LBB31_55
; %bb.54:
	s_waitcnt lgkmcnt(0)
	v_mul_f64 v[66:67], v[86:87], v[44:45]
	v_mul_f64 v[44:45], v[88:89], v[44:45]
	ds_read2_b64 v[90:93], v126 offset0:12 offset1:13
	v_fma_f64 v[66:67], v[88:89], v[42:43], v[66:67]
	v_fma_f64 v[42:43], v[86:87], v[42:43], -v[44:45]
	s_waitcnt lgkmcnt(0)
	v_mul_f64 v[44:45], v[92:93], v[66:67]
	v_mul_f64 v[68:69], v[90:91], v[66:67]
	v_fma_f64 v[44:45], v[90:91], v[42:43], -v[44:45]
	v_fma_f64 v[68:69], v[92:93], v[42:43], v[68:69]
	ds_read2_b64 v[90:93], v126 offset0:14 offset1:15
	v_add_f64 v[38:39], v[38:39], -v[44:45]
	v_add_f64 v[40:41], v[40:41], -v[68:69]
	s_waitcnt lgkmcnt(0)
	v_mul_f64 v[44:45], v[92:93], v[66:67]
	v_mul_f64 v[68:69], v[90:91], v[66:67]
	v_fma_f64 v[44:45], v[90:91], v[42:43], -v[44:45]
	v_fma_f64 v[68:69], v[92:93], v[42:43], v[68:69]
	ds_read2_b64 v[90:93], v126 offset0:16 offset1:17
	v_add_f64 v[30:31], v[30:31], -v[44:45]
	v_add_f64 v[32:33], v[32:33], -v[68:69]
	;; [unrolled: 8-line block ×9, first 2 shown]
	s_waitcnt lgkmcnt(0)
	v_mul_f64 v[44:45], v[92:93], v[66:67]
	v_mul_f64 v[68:69], v[90:91], v[66:67]
	v_fma_f64 v[44:45], v[90:91], v[42:43], -v[44:45]
	v_fma_f64 v[68:69], v[92:93], v[42:43], v[68:69]
	v_add_f64 v[34:35], v[34:35], -v[44:45]
	v_add_f64 v[36:37], v[36:37], -v[68:69]
	v_mov_b32_e32 v44, v66
	v_mov_b32_e32 v45, v67
.LBB31_55:
	s_or_b64 exec, exec, s[2:3]
	v_cmp_eq_u32_e32 vcc, 6, v0
	s_waitcnt lgkmcnt(0)
	s_barrier
	s_and_saveexec_b64 s[4:5], vcc
	s_cbranch_execz .LBB31_62
; %bb.56:
	ds_write2_b64 v1, v[38:39], v[40:41] offset1:1
	ds_write2_b64 v126, v[30:31], v[32:33] offset0:14 offset1:15
	ds_write2_b64 v126, v[26:27], v[28:29] offset0:16 offset1:17
	ds_write2_b64 v126, v[22:23], v[24:25] offset0:18 offset1:19
	ds_write2_b64 v126, v[18:19], v[20:21] offset0:20 offset1:21
	ds_write2_b64 v126, v[14:15], v[16:17] offset0:22 offset1:23
	ds_write2_b64 v126, v[10:11], v[12:13] offset0:24 offset1:25
	ds_write2_b64 v126, v[6:7], v[8:9] offset0:26 offset1:27
	ds_write2_b64 v126, v[2:3], v[4:5] offset0:28 offset1:29
	ds_write2_b64 v126, v[34:35], v[36:37] offset0:30 offset1:31
	ds_read2_b64 v[66:69], v1 offset1:1
	s_waitcnt lgkmcnt(0)
	v_cmp_neq_f64_e32 vcc, 0, v[66:67]
	v_cmp_neq_f64_e64 s[2:3], 0, v[68:69]
	s_or_b64 s[2:3], vcc, s[2:3]
	s_and_b64 exec, exec, s[2:3]
	s_cbranch_execz .LBB31_62
; %bb.57:
	v_cmp_ngt_f64_e64 s[2:3], |v[66:67]|, |v[68:69]|
                                        ; implicit-def: $vgpr90_vgpr91
	s_and_saveexec_b64 s[6:7], s[2:3]
	s_xor_b64 s[2:3], exec, s[6:7]
                                        ; implicit-def: $vgpr92_vgpr93
	s_cbranch_execz .LBB31_59
; %bb.58:
	v_div_scale_f64 v[90:91], s[6:7], v[68:69], v[68:69], v[66:67]
	v_rcp_f64_e32 v[92:93], v[90:91]
	v_fma_f64 v[94:95], -v[90:91], v[92:93], 1.0
	v_fma_f64 v[92:93], v[92:93], v[94:95], v[92:93]
	v_div_scale_f64 v[94:95], vcc, v[66:67], v[68:69], v[66:67]
	v_fma_f64 v[96:97], -v[90:91], v[92:93], 1.0
	v_fma_f64 v[92:93], v[92:93], v[96:97], v[92:93]
	v_mul_f64 v[96:97], v[94:95], v[92:93]
	v_fma_f64 v[90:91], -v[90:91], v[96:97], v[94:95]
	v_div_fmas_f64 v[90:91], v[90:91], v[92:93], v[96:97]
	v_div_fixup_f64 v[90:91], v[90:91], v[68:69], v[66:67]
	v_fma_f64 v[66:67], v[66:67], v[90:91], v[68:69]
	v_div_scale_f64 v[68:69], s[6:7], v[66:67], v[66:67], 1.0
	v_div_scale_f64 v[96:97], vcc, 1.0, v[66:67], 1.0
	v_rcp_f64_e32 v[92:93], v[68:69]
	v_fma_f64 v[94:95], -v[68:69], v[92:93], 1.0
	v_fma_f64 v[92:93], v[92:93], v[94:95], v[92:93]
	v_fma_f64 v[94:95], -v[68:69], v[92:93], 1.0
	v_fma_f64 v[92:93], v[92:93], v[94:95], v[92:93]
	v_mul_f64 v[94:95], v[96:97], v[92:93]
	v_fma_f64 v[68:69], -v[68:69], v[94:95], v[96:97]
	v_div_fmas_f64 v[68:69], v[68:69], v[92:93], v[94:95]
	v_div_fixup_f64 v[92:93], v[68:69], v[66:67], 1.0
                                        ; implicit-def: $vgpr66_vgpr67
	v_mul_f64 v[90:91], v[90:91], v[92:93]
	v_xor_b32_e32 v93, 0x80000000, v93
.LBB31_59:
	s_andn2_saveexec_b64 s[2:3], s[2:3]
	s_cbranch_execz .LBB31_61
; %bb.60:
	v_div_scale_f64 v[90:91], s[6:7], v[66:67], v[66:67], v[68:69]
	v_rcp_f64_e32 v[92:93], v[90:91]
	v_fma_f64 v[94:95], -v[90:91], v[92:93], 1.0
	v_fma_f64 v[92:93], v[92:93], v[94:95], v[92:93]
	v_div_scale_f64 v[94:95], vcc, v[68:69], v[66:67], v[68:69]
	v_fma_f64 v[96:97], -v[90:91], v[92:93], 1.0
	v_fma_f64 v[92:93], v[92:93], v[96:97], v[92:93]
	v_mul_f64 v[96:97], v[94:95], v[92:93]
	v_fma_f64 v[90:91], -v[90:91], v[96:97], v[94:95]
	v_div_fmas_f64 v[90:91], v[90:91], v[92:93], v[96:97]
	v_div_fixup_f64 v[92:93], v[90:91], v[66:67], v[68:69]
	v_fma_f64 v[66:67], v[68:69], v[92:93], v[66:67]
	v_div_scale_f64 v[68:69], s[6:7], v[66:67], v[66:67], 1.0
	v_div_scale_f64 v[96:97], vcc, 1.0, v[66:67], 1.0
	v_rcp_f64_e32 v[90:91], v[68:69]
	v_fma_f64 v[94:95], -v[68:69], v[90:91], 1.0
	v_fma_f64 v[90:91], v[90:91], v[94:95], v[90:91]
	v_fma_f64 v[94:95], -v[68:69], v[90:91], 1.0
	v_fma_f64 v[90:91], v[90:91], v[94:95], v[90:91]
	v_mul_f64 v[94:95], v[96:97], v[90:91]
	v_fma_f64 v[68:69], -v[68:69], v[94:95], v[96:97]
	v_div_fmas_f64 v[68:69], v[68:69], v[90:91], v[94:95]
	v_div_fixup_f64 v[90:91], v[68:69], v[66:67], 1.0
	v_mul_f64 v[92:93], v[92:93], -v[90:91]
.LBB31_61:
	s_or_b64 exec, exec, s[2:3]
	ds_write2_b64 v1, v[90:91], v[92:93] offset1:1
.LBB31_62:
	s_or_b64 exec, exec, s[4:5]
	s_waitcnt lgkmcnt(0)
	s_barrier
	ds_read2_b64 v[90:93], v1 offset1:1
	v_cmp_lt_u32_e32 vcc, 6, v0
	s_and_saveexec_b64 s[2:3], vcc
	s_cbranch_execz .LBB31_64
; %bb.63:
	s_waitcnt lgkmcnt(0)
	v_mul_f64 v[66:67], v[90:91], v[40:41]
	v_mul_f64 v[40:41], v[92:93], v[40:41]
	ds_read2_b64 v[94:97], v126 offset0:14 offset1:15
	v_fma_f64 v[66:67], v[92:93], v[38:39], v[66:67]
	v_fma_f64 v[38:39], v[90:91], v[38:39], -v[40:41]
	s_waitcnt lgkmcnt(0)
	v_mul_f64 v[40:41], v[96:97], v[66:67]
	v_mul_f64 v[68:69], v[94:95], v[66:67]
	v_fma_f64 v[40:41], v[94:95], v[38:39], -v[40:41]
	v_fma_f64 v[68:69], v[96:97], v[38:39], v[68:69]
	ds_read2_b64 v[94:97], v126 offset0:16 offset1:17
	v_add_f64 v[30:31], v[30:31], -v[40:41]
	v_add_f64 v[32:33], v[32:33], -v[68:69]
	s_waitcnt lgkmcnt(0)
	v_mul_f64 v[40:41], v[96:97], v[66:67]
	v_mul_f64 v[68:69], v[94:95], v[66:67]
	v_fma_f64 v[40:41], v[94:95], v[38:39], -v[40:41]
	v_fma_f64 v[68:69], v[96:97], v[38:39], v[68:69]
	ds_read2_b64 v[94:97], v126 offset0:18 offset1:19
	v_add_f64 v[26:27], v[26:27], -v[40:41]
	v_add_f64 v[28:29], v[28:29], -v[68:69]
	;; [unrolled: 8-line block ×8, first 2 shown]
	s_waitcnt lgkmcnt(0)
	v_mul_f64 v[40:41], v[96:97], v[66:67]
	v_mul_f64 v[68:69], v[94:95], v[66:67]
	v_fma_f64 v[40:41], v[94:95], v[38:39], -v[40:41]
	v_fma_f64 v[68:69], v[96:97], v[38:39], v[68:69]
	v_add_f64 v[34:35], v[34:35], -v[40:41]
	v_add_f64 v[36:37], v[36:37], -v[68:69]
	v_mov_b32_e32 v40, v66
	v_mov_b32_e32 v41, v67
.LBB31_64:
	s_or_b64 exec, exec, s[2:3]
	v_cmp_eq_u32_e32 vcc, 7, v0
	s_waitcnt lgkmcnt(0)
	s_barrier
	s_and_saveexec_b64 s[4:5], vcc
	s_cbranch_execz .LBB31_71
; %bb.65:
	ds_write2_b64 v1, v[30:31], v[32:33] offset1:1
	ds_write2_b64 v126, v[26:27], v[28:29] offset0:16 offset1:17
	ds_write2_b64 v126, v[22:23], v[24:25] offset0:18 offset1:19
	;; [unrolled: 1-line block ×8, first 2 shown]
	ds_read2_b64 v[66:69], v1 offset1:1
	s_waitcnt lgkmcnt(0)
	v_cmp_neq_f64_e32 vcc, 0, v[66:67]
	v_cmp_neq_f64_e64 s[2:3], 0, v[68:69]
	s_or_b64 s[2:3], vcc, s[2:3]
	s_and_b64 exec, exec, s[2:3]
	s_cbranch_execz .LBB31_71
; %bb.66:
	v_cmp_ngt_f64_e64 s[2:3], |v[66:67]|, |v[68:69]|
                                        ; implicit-def: $vgpr94_vgpr95
	s_and_saveexec_b64 s[6:7], s[2:3]
	s_xor_b64 s[2:3], exec, s[6:7]
                                        ; implicit-def: $vgpr96_vgpr97
	s_cbranch_execz .LBB31_68
; %bb.67:
	v_div_scale_f64 v[94:95], s[6:7], v[68:69], v[68:69], v[66:67]
	v_rcp_f64_e32 v[96:97], v[94:95]
	v_fma_f64 v[98:99], -v[94:95], v[96:97], 1.0
	v_fma_f64 v[96:97], v[96:97], v[98:99], v[96:97]
	v_div_scale_f64 v[98:99], vcc, v[66:67], v[68:69], v[66:67]
	v_fma_f64 v[100:101], -v[94:95], v[96:97], 1.0
	v_fma_f64 v[96:97], v[96:97], v[100:101], v[96:97]
	v_mul_f64 v[100:101], v[98:99], v[96:97]
	v_fma_f64 v[94:95], -v[94:95], v[100:101], v[98:99]
	v_div_fmas_f64 v[94:95], v[94:95], v[96:97], v[100:101]
	v_div_fixup_f64 v[94:95], v[94:95], v[68:69], v[66:67]
	v_fma_f64 v[66:67], v[66:67], v[94:95], v[68:69]
	v_div_scale_f64 v[68:69], s[6:7], v[66:67], v[66:67], 1.0
	v_div_scale_f64 v[100:101], vcc, 1.0, v[66:67], 1.0
	v_rcp_f64_e32 v[96:97], v[68:69]
	v_fma_f64 v[98:99], -v[68:69], v[96:97], 1.0
	v_fma_f64 v[96:97], v[96:97], v[98:99], v[96:97]
	v_fma_f64 v[98:99], -v[68:69], v[96:97], 1.0
	v_fma_f64 v[96:97], v[96:97], v[98:99], v[96:97]
	v_mul_f64 v[98:99], v[100:101], v[96:97]
	v_fma_f64 v[68:69], -v[68:69], v[98:99], v[100:101]
	v_div_fmas_f64 v[68:69], v[68:69], v[96:97], v[98:99]
	v_div_fixup_f64 v[96:97], v[68:69], v[66:67], 1.0
                                        ; implicit-def: $vgpr66_vgpr67
	v_mul_f64 v[94:95], v[94:95], v[96:97]
	v_xor_b32_e32 v97, 0x80000000, v97
.LBB31_68:
	s_andn2_saveexec_b64 s[2:3], s[2:3]
	s_cbranch_execz .LBB31_70
; %bb.69:
	v_div_scale_f64 v[94:95], s[6:7], v[66:67], v[66:67], v[68:69]
	v_rcp_f64_e32 v[96:97], v[94:95]
	v_fma_f64 v[98:99], -v[94:95], v[96:97], 1.0
	v_fma_f64 v[96:97], v[96:97], v[98:99], v[96:97]
	v_div_scale_f64 v[98:99], vcc, v[68:69], v[66:67], v[68:69]
	v_fma_f64 v[100:101], -v[94:95], v[96:97], 1.0
	v_fma_f64 v[96:97], v[96:97], v[100:101], v[96:97]
	v_mul_f64 v[100:101], v[98:99], v[96:97]
	v_fma_f64 v[94:95], -v[94:95], v[100:101], v[98:99]
	v_div_fmas_f64 v[94:95], v[94:95], v[96:97], v[100:101]
	v_div_fixup_f64 v[96:97], v[94:95], v[66:67], v[68:69]
	v_fma_f64 v[66:67], v[68:69], v[96:97], v[66:67]
	v_div_scale_f64 v[68:69], s[6:7], v[66:67], v[66:67], 1.0
	v_div_scale_f64 v[100:101], vcc, 1.0, v[66:67], 1.0
	v_rcp_f64_e32 v[94:95], v[68:69]
	v_fma_f64 v[98:99], -v[68:69], v[94:95], 1.0
	v_fma_f64 v[94:95], v[94:95], v[98:99], v[94:95]
	v_fma_f64 v[98:99], -v[68:69], v[94:95], 1.0
	v_fma_f64 v[94:95], v[94:95], v[98:99], v[94:95]
	v_mul_f64 v[98:99], v[100:101], v[94:95]
	v_fma_f64 v[68:69], -v[68:69], v[98:99], v[100:101]
	v_div_fmas_f64 v[68:69], v[68:69], v[94:95], v[98:99]
	v_div_fixup_f64 v[94:95], v[68:69], v[66:67], 1.0
	v_mul_f64 v[96:97], v[96:97], -v[94:95]
.LBB31_70:
	s_or_b64 exec, exec, s[2:3]
	ds_write2_b64 v1, v[94:95], v[96:97] offset1:1
.LBB31_71:
	s_or_b64 exec, exec, s[4:5]
	s_waitcnt lgkmcnt(0)
	s_barrier
	ds_read2_b64 v[94:97], v1 offset1:1
	v_cmp_lt_u32_e32 vcc, 7, v0
	s_and_saveexec_b64 s[2:3], vcc
	s_cbranch_execz .LBB31_73
; %bb.72:
	s_waitcnt lgkmcnt(0)
	v_mul_f64 v[66:67], v[94:95], v[32:33]
	v_mul_f64 v[32:33], v[96:97], v[32:33]
	ds_read2_b64 v[98:101], v126 offset0:16 offset1:17
	v_fma_f64 v[66:67], v[96:97], v[30:31], v[66:67]
	v_fma_f64 v[30:31], v[94:95], v[30:31], -v[32:33]
	s_waitcnt lgkmcnt(0)
	v_mul_f64 v[32:33], v[100:101], v[66:67]
	v_mul_f64 v[68:69], v[98:99], v[66:67]
	v_fma_f64 v[32:33], v[98:99], v[30:31], -v[32:33]
	v_fma_f64 v[68:69], v[100:101], v[30:31], v[68:69]
	ds_read2_b64 v[98:101], v126 offset0:18 offset1:19
	v_add_f64 v[26:27], v[26:27], -v[32:33]
	v_add_f64 v[28:29], v[28:29], -v[68:69]
	s_waitcnt lgkmcnt(0)
	v_mul_f64 v[32:33], v[100:101], v[66:67]
	v_mul_f64 v[68:69], v[98:99], v[66:67]
	v_fma_f64 v[32:33], v[98:99], v[30:31], -v[32:33]
	v_fma_f64 v[68:69], v[100:101], v[30:31], v[68:69]
	ds_read2_b64 v[98:101], v126 offset0:20 offset1:21
	v_add_f64 v[22:23], v[22:23], -v[32:33]
	v_add_f64 v[24:25], v[24:25], -v[68:69]
	;; [unrolled: 8-line block ×7, first 2 shown]
	s_waitcnt lgkmcnt(0)
	v_mul_f64 v[32:33], v[100:101], v[66:67]
	v_mul_f64 v[68:69], v[98:99], v[66:67]
	v_fma_f64 v[32:33], v[98:99], v[30:31], -v[32:33]
	v_fma_f64 v[68:69], v[100:101], v[30:31], v[68:69]
	v_add_f64 v[34:35], v[34:35], -v[32:33]
	v_add_f64 v[36:37], v[36:37], -v[68:69]
	v_mov_b32_e32 v32, v66
	v_mov_b32_e32 v33, v67
.LBB31_73:
	s_or_b64 exec, exec, s[2:3]
	v_cmp_eq_u32_e32 vcc, 8, v0
	s_waitcnt lgkmcnt(0)
	s_barrier
	s_and_saveexec_b64 s[4:5], vcc
	s_cbranch_execz .LBB31_80
; %bb.74:
	ds_write2_b64 v1, v[26:27], v[28:29] offset1:1
	ds_write2_b64 v126, v[22:23], v[24:25] offset0:18 offset1:19
	ds_write2_b64 v126, v[18:19], v[20:21] offset0:20 offset1:21
	;; [unrolled: 1-line block ×7, first 2 shown]
	ds_read2_b64 v[66:69], v1 offset1:1
	s_waitcnt lgkmcnt(0)
	v_cmp_neq_f64_e32 vcc, 0, v[66:67]
	v_cmp_neq_f64_e64 s[2:3], 0, v[68:69]
	s_or_b64 s[2:3], vcc, s[2:3]
	s_and_b64 exec, exec, s[2:3]
	s_cbranch_execz .LBB31_80
; %bb.75:
	v_cmp_ngt_f64_e64 s[2:3], |v[66:67]|, |v[68:69]|
                                        ; implicit-def: $vgpr98_vgpr99
	s_and_saveexec_b64 s[6:7], s[2:3]
	s_xor_b64 s[2:3], exec, s[6:7]
                                        ; implicit-def: $vgpr100_vgpr101
	s_cbranch_execz .LBB31_77
; %bb.76:
	v_div_scale_f64 v[98:99], s[6:7], v[68:69], v[68:69], v[66:67]
	v_rcp_f64_e32 v[100:101], v[98:99]
	v_fma_f64 v[102:103], -v[98:99], v[100:101], 1.0
	v_fma_f64 v[100:101], v[100:101], v[102:103], v[100:101]
	v_div_scale_f64 v[102:103], vcc, v[66:67], v[68:69], v[66:67]
	v_fma_f64 v[104:105], -v[98:99], v[100:101], 1.0
	v_fma_f64 v[100:101], v[100:101], v[104:105], v[100:101]
	v_mul_f64 v[104:105], v[102:103], v[100:101]
	v_fma_f64 v[98:99], -v[98:99], v[104:105], v[102:103]
	v_div_fmas_f64 v[98:99], v[98:99], v[100:101], v[104:105]
	v_div_fixup_f64 v[98:99], v[98:99], v[68:69], v[66:67]
	v_fma_f64 v[66:67], v[66:67], v[98:99], v[68:69]
	v_div_scale_f64 v[68:69], s[6:7], v[66:67], v[66:67], 1.0
	v_div_scale_f64 v[104:105], vcc, 1.0, v[66:67], 1.0
	v_rcp_f64_e32 v[100:101], v[68:69]
	v_fma_f64 v[102:103], -v[68:69], v[100:101], 1.0
	v_fma_f64 v[100:101], v[100:101], v[102:103], v[100:101]
	v_fma_f64 v[102:103], -v[68:69], v[100:101], 1.0
	v_fma_f64 v[100:101], v[100:101], v[102:103], v[100:101]
	v_mul_f64 v[102:103], v[104:105], v[100:101]
	v_fma_f64 v[68:69], -v[68:69], v[102:103], v[104:105]
	v_div_fmas_f64 v[68:69], v[68:69], v[100:101], v[102:103]
	v_div_fixup_f64 v[100:101], v[68:69], v[66:67], 1.0
                                        ; implicit-def: $vgpr66_vgpr67
	v_mul_f64 v[98:99], v[98:99], v[100:101]
	v_xor_b32_e32 v101, 0x80000000, v101
.LBB31_77:
	s_andn2_saveexec_b64 s[2:3], s[2:3]
	s_cbranch_execz .LBB31_79
; %bb.78:
	v_div_scale_f64 v[98:99], s[6:7], v[66:67], v[66:67], v[68:69]
	v_rcp_f64_e32 v[100:101], v[98:99]
	v_fma_f64 v[102:103], -v[98:99], v[100:101], 1.0
	v_fma_f64 v[100:101], v[100:101], v[102:103], v[100:101]
	v_div_scale_f64 v[102:103], vcc, v[68:69], v[66:67], v[68:69]
	v_fma_f64 v[104:105], -v[98:99], v[100:101], 1.0
	v_fma_f64 v[100:101], v[100:101], v[104:105], v[100:101]
	v_mul_f64 v[104:105], v[102:103], v[100:101]
	v_fma_f64 v[98:99], -v[98:99], v[104:105], v[102:103]
	v_div_fmas_f64 v[98:99], v[98:99], v[100:101], v[104:105]
	v_div_fixup_f64 v[100:101], v[98:99], v[66:67], v[68:69]
	v_fma_f64 v[66:67], v[68:69], v[100:101], v[66:67]
	v_div_scale_f64 v[68:69], s[6:7], v[66:67], v[66:67], 1.0
	v_div_scale_f64 v[104:105], vcc, 1.0, v[66:67], 1.0
	v_rcp_f64_e32 v[98:99], v[68:69]
	v_fma_f64 v[102:103], -v[68:69], v[98:99], 1.0
	v_fma_f64 v[98:99], v[98:99], v[102:103], v[98:99]
	v_fma_f64 v[102:103], -v[68:69], v[98:99], 1.0
	v_fma_f64 v[98:99], v[98:99], v[102:103], v[98:99]
	v_mul_f64 v[102:103], v[104:105], v[98:99]
	v_fma_f64 v[68:69], -v[68:69], v[102:103], v[104:105]
	v_div_fmas_f64 v[68:69], v[68:69], v[98:99], v[102:103]
	v_div_fixup_f64 v[98:99], v[68:69], v[66:67], 1.0
	v_mul_f64 v[100:101], v[100:101], -v[98:99]
.LBB31_79:
	s_or_b64 exec, exec, s[2:3]
	ds_write2_b64 v1, v[98:99], v[100:101] offset1:1
.LBB31_80:
	s_or_b64 exec, exec, s[4:5]
	s_waitcnt lgkmcnt(0)
	s_barrier
	ds_read2_b64 v[98:101], v1 offset1:1
	v_cmp_lt_u32_e32 vcc, 8, v0
	s_and_saveexec_b64 s[2:3], vcc
	s_cbranch_execz .LBB31_82
; %bb.81:
	s_waitcnt lgkmcnt(0)
	v_mul_f64 v[66:67], v[98:99], v[28:29]
	v_mul_f64 v[28:29], v[100:101], v[28:29]
	ds_read2_b64 v[102:105], v126 offset0:18 offset1:19
	v_fma_f64 v[66:67], v[100:101], v[26:27], v[66:67]
	v_fma_f64 v[26:27], v[98:99], v[26:27], -v[28:29]
	s_waitcnt lgkmcnt(0)
	v_mul_f64 v[28:29], v[104:105], v[66:67]
	v_mul_f64 v[68:69], v[102:103], v[66:67]
	v_fma_f64 v[28:29], v[102:103], v[26:27], -v[28:29]
	v_fma_f64 v[68:69], v[104:105], v[26:27], v[68:69]
	ds_read2_b64 v[102:105], v126 offset0:20 offset1:21
	v_add_f64 v[22:23], v[22:23], -v[28:29]
	v_add_f64 v[24:25], v[24:25], -v[68:69]
	s_waitcnt lgkmcnt(0)
	v_mul_f64 v[28:29], v[104:105], v[66:67]
	v_mul_f64 v[68:69], v[102:103], v[66:67]
	v_fma_f64 v[28:29], v[102:103], v[26:27], -v[28:29]
	v_fma_f64 v[68:69], v[104:105], v[26:27], v[68:69]
	ds_read2_b64 v[102:105], v126 offset0:22 offset1:23
	v_add_f64 v[18:19], v[18:19], -v[28:29]
	v_add_f64 v[20:21], v[20:21], -v[68:69]
	;; [unrolled: 8-line block ×6, first 2 shown]
	s_waitcnt lgkmcnt(0)
	v_mul_f64 v[28:29], v[104:105], v[66:67]
	v_mul_f64 v[68:69], v[102:103], v[66:67]
	v_fma_f64 v[28:29], v[102:103], v[26:27], -v[28:29]
	v_fma_f64 v[68:69], v[104:105], v[26:27], v[68:69]
	v_add_f64 v[34:35], v[34:35], -v[28:29]
	v_add_f64 v[36:37], v[36:37], -v[68:69]
	v_mov_b32_e32 v28, v66
	v_mov_b32_e32 v29, v67
.LBB31_82:
	s_or_b64 exec, exec, s[2:3]
	v_cmp_eq_u32_e32 vcc, 9, v0
	s_waitcnt lgkmcnt(0)
	s_barrier
	s_and_saveexec_b64 s[4:5], vcc
	s_cbranch_execz .LBB31_89
; %bb.83:
	ds_write2_b64 v1, v[22:23], v[24:25] offset1:1
	ds_write2_b64 v126, v[18:19], v[20:21] offset0:20 offset1:21
	ds_write2_b64 v126, v[14:15], v[16:17] offset0:22 offset1:23
	;; [unrolled: 1-line block ×6, first 2 shown]
	ds_read2_b64 v[66:69], v1 offset1:1
	s_waitcnt lgkmcnt(0)
	v_cmp_neq_f64_e32 vcc, 0, v[66:67]
	v_cmp_neq_f64_e64 s[2:3], 0, v[68:69]
	s_or_b64 s[2:3], vcc, s[2:3]
	s_and_b64 exec, exec, s[2:3]
	s_cbranch_execz .LBB31_89
; %bb.84:
	v_cmp_ngt_f64_e64 s[2:3], |v[66:67]|, |v[68:69]|
                                        ; implicit-def: $vgpr102_vgpr103
	s_and_saveexec_b64 s[6:7], s[2:3]
	s_xor_b64 s[2:3], exec, s[6:7]
                                        ; implicit-def: $vgpr104_vgpr105
	s_cbranch_execz .LBB31_86
; %bb.85:
	v_div_scale_f64 v[102:103], s[6:7], v[68:69], v[68:69], v[66:67]
	v_rcp_f64_e32 v[104:105], v[102:103]
	v_fma_f64 v[106:107], -v[102:103], v[104:105], 1.0
	v_fma_f64 v[104:105], v[104:105], v[106:107], v[104:105]
	v_div_scale_f64 v[106:107], vcc, v[66:67], v[68:69], v[66:67]
	v_fma_f64 v[108:109], -v[102:103], v[104:105], 1.0
	v_fma_f64 v[104:105], v[104:105], v[108:109], v[104:105]
	v_mul_f64 v[108:109], v[106:107], v[104:105]
	v_fma_f64 v[102:103], -v[102:103], v[108:109], v[106:107]
	v_div_fmas_f64 v[102:103], v[102:103], v[104:105], v[108:109]
	v_div_fixup_f64 v[102:103], v[102:103], v[68:69], v[66:67]
	v_fma_f64 v[66:67], v[66:67], v[102:103], v[68:69]
	v_div_scale_f64 v[68:69], s[6:7], v[66:67], v[66:67], 1.0
	v_div_scale_f64 v[108:109], vcc, 1.0, v[66:67], 1.0
	v_rcp_f64_e32 v[104:105], v[68:69]
	v_fma_f64 v[106:107], -v[68:69], v[104:105], 1.0
	v_fma_f64 v[104:105], v[104:105], v[106:107], v[104:105]
	v_fma_f64 v[106:107], -v[68:69], v[104:105], 1.0
	v_fma_f64 v[104:105], v[104:105], v[106:107], v[104:105]
	v_mul_f64 v[106:107], v[108:109], v[104:105]
	v_fma_f64 v[68:69], -v[68:69], v[106:107], v[108:109]
	v_div_fmas_f64 v[68:69], v[68:69], v[104:105], v[106:107]
	v_div_fixup_f64 v[104:105], v[68:69], v[66:67], 1.0
                                        ; implicit-def: $vgpr66_vgpr67
	v_mul_f64 v[102:103], v[102:103], v[104:105]
	v_xor_b32_e32 v105, 0x80000000, v105
.LBB31_86:
	s_andn2_saveexec_b64 s[2:3], s[2:3]
	s_cbranch_execz .LBB31_88
; %bb.87:
	v_div_scale_f64 v[102:103], s[6:7], v[66:67], v[66:67], v[68:69]
	v_rcp_f64_e32 v[104:105], v[102:103]
	v_fma_f64 v[106:107], -v[102:103], v[104:105], 1.0
	v_fma_f64 v[104:105], v[104:105], v[106:107], v[104:105]
	v_div_scale_f64 v[106:107], vcc, v[68:69], v[66:67], v[68:69]
	v_fma_f64 v[108:109], -v[102:103], v[104:105], 1.0
	v_fma_f64 v[104:105], v[104:105], v[108:109], v[104:105]
	v_mul_f64 v[108:109], v[106:107], v[104:105]
	v_fma_f64 v[102:103], -v[102:103], v[108:109], v[106:107]
	v_div_fmas_f64 v[102:103], v[102:103], v[104:105], v[108:109]
	v_div_fixup_f64 v[104:105], v[102:103], v[66:67], v[68:69]
	v_fma_f64 v[66:67], v[68:69], v[104:105], v[66:67]
	v_div_scale_f64 v[68:69], s[6:7], v[66:67], v[66:67], 1.0
	v_div_scale_f64 v[108:109], vcc, 1.0, v[66:67], 1.0
	v_rcp_f64_e32 v[102:103], v[68:69]
	v_fma_f64 v[106:107], -v[68:69], v[102:103], 1.0
	v_fma_f64 v[102:103], v[102:103], v[106:107], v[102:103]
	v_fma_f64 v[106:107], -v[68:69], v[102:103], 1.0
	v_fma_f64 v[102:103], v[102:103], v[106:107], v[102:103]
	v_mul_f64 v[106:107], v[108:109], v[102:103]
	v_fma_f64 v[68:69], -v[68:69], v[106:107], v[108:109]
	v_div_fmas_f64 v[68:69], v[68:69], v[102:103], v[106:107]
	v_div_fixup_f64 v[102:103], v[68:69], v[66:67], 1.0
	v_mul_f64 v[104:105], v[104:105], -v[102:103]
.LBB31_88:
	s_or_b64 exec, exec, s[2:3]
	ds_write2_b64 v1, v[102:103], v[104:105] offset1:1
.LBB31_89:
	s_or_b64 exec, exec, s[4:5]
	s_waitcnt lgkmcnt(0)
	s_barrier
	ds_read2_b64 v[62:65], v1 offset1:1
	v_cmp_lt_u32_e32 vcc, 9, v0
	s_and_saveexec_b64 s[2:3], vcc
	s_cbranch_execz .LBB31_91
; %bb.90:
	s_waitcnt lgkmcnt(0)
	v_mul_f64 v[66:67], v[62:63], v[24:25]
	v_mul_f64 v[24:25], v[64:65], v[24:25]
	ds_read2_b64 v[106:109], v126 offset0:20 offset1:21
	v_fma_f64 v[66:67], v[64:65], v[22:23], v[66:67]
	v_fma_f64 v[22:23], v[62:63], v[22:23], -v[24:25]
	s_waitcnt lgkmcnt(0)
	v_mul_f64 v[24:25], v[108:109], v[66:67]
	v_mul_f64 v[68:69], v[106:107], v[66:67]
	v_fma_f64 v[24:25], v[106:107], v[22:23], -v[24:25]
	v_fma_f64 v[68:69], v[108:109], v[22:23], v[68:69]
	ds_read2_b64 v[106:109], v126 offset0:22 offset1:23
	v_add_f64 v[18:19], v[18:19], -v[24:25]
	v_add_f64 v[20:21], v[20:21], -v[68:69]
	s_waitcnt lgkmcnt(0)
	v_mul_f64 v[24:25], v[108:109], v[66:67]
	v_mul_f64 v[68:69], v[106:107], v[66:67]
	v_fma_f64 v[24:25], v[106:107], v[22:23], -v[24:25]
	v_fma_f64 v[68:69], v[108:109], v[22:23], v[68:69]
	ds_read2_b64 v[106:109], v126 offset0:24 offset1:25
	v_add_f64 v[14:15], v[14:15], -v[24:25]
	v_add_f64 v[16:17], v[16:17], -v[68:69]
	;; [unrolled: 8-line block ×5, first 2 shown]
	s_waitcnt lgkmcnt(0)
	v_mul_f64 v[24:25], v[108:109], v[66:67]
	v_mul_f64 v[68:69], v[106:107], v[66:67]
	v_fma_f64 v[24:25], v[106:107], v[22:23], -v[24:25]
	v_fma_f64 v[68:69], v[108:109], v[22:23], v[68:69]
	v_add_f64 v[34:35], v[34:35], -v[24:25]
	v_add_f64 v[36:37], v[36:37], -v[68:69]
	v_mov_b32_e32 v24, v66
	v_mov_b32_e32 v25, v67
.LBB31_91:
	s_or_b64 exec, exec, s[2:3]
	v_cmp_eq_u32_e32 vcc, 10, v0
	s_waitcnt lgkmcnt(0)
	s_barrier
	s_and_saveexec_b64 s[4:5], vcc
	s_cbranch_execz .LBB31_98
; %bb.92:
	ds_write2_b64 v1, v[18:19], v[20:21] offset1:1
	ds_write2_b64 v126, v[14:15], v[16:17] offset0:22 offset1:23
	ds_write2_b64 v126, v[10:11], v[12:13] offset0:24 offset1:25
	ds_write2_b64 v126, v[6:7], v[8:9] offset0:26 offset1:27
	ds_write2_b64 v126, v[2:3], v[4:5] offset0:28 offset1:29
	ds_write2_b64 v126, v[34:35], v[36:37] offset0:30 offset1:31
	ds_read2_b64 v[66:69], v1 offset1:1
	s_waitcnt lgkmcnt(0)
	v_cmp_neq_f64_e32 vcc, 0, v[66:67]
	v_cmp_neq_f64_e64 s[2:3], 0, v[68:69]
	s_or_b64 s[2:3], vcc, s[2:3]
	s_and_b64 exec, exec, s[2:3]
	s_cbranch_execz .LBB31_98
; %bb.93:
	v_cmp_ngt_f64_e64 s[2:3], |v[66:67]|, |v[68:69]|
                                        ; implicit-def: $vgpr106_vgpr107
	s_and_saveexec_b64 s[6:7], s[2:3]
	s_xor_b64 s[2:3], exec, s[6:7]
                                        ; implicit-def: $vgpr108_vgpr109
	s_cbranch_execz .LBB31_95
; %bb.94:
	v_div_scale_f64 v[106:107], s[6:7], v[68:69], v[68:69], v[66:67]
	v_rcp_f64_e32 v[108:109], v[106:107]
	v_fma_f64 v[110:111], -v[106:107], v[108:109], 1.0
	v_fma_f64 v[108:109], v[108:109], v[110:111], v[108:109]
	v_div_scale_f64 v[110:111], vcc, v[66:67], v[68:69], v[66:67]
	v_fma_f64 v[112:113], -v[106:107], v[108:109], 1.0
	v_fma_f64 v[108:109], v[108:109], v[112:113], v[108:109]
	v_mul_f64 v[112:113], v[110:111], v[108:109]
	v_fma_f64 v[106:107], -v[106:107], v[112:113], v[110:111]
	v_div_fmas_f64 v[106:107], v[106:107], v[108:109], v[112:113]
	v_div_fixup_f64 v[106:107], v[106:107], v[68:69], v[66:67]
	v_fma_f64 v[66:67], v[66:67], v[106:107], v[68:69]
	v_div_scale_f64 v[68:69], s[6:7], v[66:67], v[66:67], 1.0
	v_div_scale_f64 v[112:113], vcc, 1.0, v[66:67], 1.0
	v_rcp_f64_e32 v[108:109], v[68:69]
	v_fma_f64 v[110:111], -v[68:69], v[108:109], 1.0
	v_fma_f64 v[108:109], v[108:109], v[110:111], v[108:109]
	v_fma_f64 v[110:111], -v[68:69], v[108:109], 1.0
	v_fma_f64 v[108:109], v[108:109], v[110:111], v[108:109]
	v_mul_f64 v[110:111], v[112:113], v[108:109]
	v_fma_f64 v[68:69], -v[68:69], v[110:111], v[112:113]
	v_div_fmas_f64 v[68:69], v[68:69], v[108:109], v[110:111]
	v_div_fixup_f64 v[108:109], v[68:69], v[66:67], 1.0
                                        ; implicit-def: $vgpr66_vgpr67
	v_mul_f64 v[106:107], v[106:107], v[108:109]
	v_xor_b32_e32 v109, 0x80000000, v109
.LBB31_95:
	s_andn2_saveexec_b64 s[2:3], s[2:3]
	s_cbranch_execz .LBB31_97
; %bb.96:
	v_div_scale_f64 v[106:107], s[6:7], v[66:67], v[66:67], v[68:69]
	v_rcp_f64_e32 v[108:109], v[106:107]
	v_fma_f64 v[110:111], -v[106:107], v[108:109], 1.0
	v_fma_f64 v[108:109], v[108:109], v[110:111], v[108:109]
	v_div_scale_f64 v[110:111], vcc, v[68:69], v[66:67], v[68:69]
	v_fma_f64 v[112:113], -v[106:107], v[108:109], 1.0
	v_fma_f64 v[108:109], v[108:109], v[112:113], v[108:109]
	v_mul_f64 v[112:113], v[110:111], v[108:109]
	v_fma_f64 v[106:107], -v[106:107], v[112:113], v[110:111]
	v_div_fmas_f64 v[106:107], v[106:107], v[108:109], v[112:113]
	v_div_fixup_f64 v[108:109], v[106:107], v[66:67], v[68:69]
	v_fma_f64 v[66:67], v[68:69], v[108:109], v[66:67]
	v_div_scale_f64 v[68:69], s[6:7], v[66:67], v[66:67], 1.0
	v_div_scale_f64 v[112:113], vcc, 1.0, v[66:67], 1.0
	v_rcp_f64_e32 v[106:107], v[68:69]
	v_fma_f64 v[110:111], -v[68:69], v[106:107], 1.0
	v_fma_f64 v[106:107], v[106:107], v[110:111], v[106:107]
	v_fma_f64 v[110:111], -v[68:69], v[106:107], 1.0
	v_fma_f64 v[106:107], v[106:107], v[110:111], v[106:107]
	v_mul_f64 v[110:111], v[112:113], v[106:107]
	v_fma_f64 v[68:69], -v[68:69], v[110:111], v[112:113]
	v_div_fmas_f64 v[68:69], v[68:69], v[106:107], v[110:111]
	v_div_fixup_f64 v[106:107], v[68:69], v[66:67], 1.0
	v_mul_f64 v[108:109], v[108:109], -v[106:107]
.LBB31_97:
	s_or_b64 exec, exec, s[2:3]
	ds_write2_b64 v1, v[106:107], v[108:109] offset1:1
.LBB31_98:
	s_or_b64 exec, exec, s[4:5]
	s_waitcnt lgkmcnt(0)
	s_barrier
	ds_read2_b64 v[58:61], v1 offset1:1
	v_cmp_lt_u32_e32 vcc, 10, v0
	s_and_saveexec_b64 s[2:3], vcc
	s_cbranch_execz .LBB31_100
; %bb.99:
	s_waitcnt lgkmcnt(0)
	v_mul_f64 v[66:67], v[58:59], v[20:21]
	v_mul_f64 v[20:21], v[60:61], v[20:21]
	v_fma_f64 v[110:111], v[60:61], v[18:19], v[66:67]
	ds_read2_b64 v[66:69], v126 offset0:22 offset1:23
	v_fma_f64 v[18:19], v[58:59], v[18:19], -v[20:21]
	s_waitcnt lgkmcnt(0)
	v_mul_f64 v[20:21], v[68:69], v[110:111]
	v_fma_f64 v[20:21], v[66:67], v[18:19], -v[20:21]
	v_mul_f64 v[66:67], v[66:67], v[110:111]
	v_add_f64 v[14:15], v[14:15], -v[20:21]
	v_fma_f64 v[66:67], v[68:69], v[18:19], v[66:67]
	v_add_f64 v[16:17], v[16:17], -v[66:67]
	ds_read2_b64 v[66:69], v126 offset0:24 offset1:25
	s_waitcnt lgkmcnt(0)
	v_mul_f64 v[20:21], v[68:69], v[110:111]
	v_fma_f64 v[20:21], v[66:67], v[18:19], -v[20:21]
	v_mul_f64 v[66:67], v[66:67], v[110:111]
	v_add_f64 v[10:11], v[10:11], -v[20:21]
	v_fma_f64 v[66:67], v[68:69], v[18:19], v[66:67]
	v_add_f64 v[12:13], v[12:13], -v[66:67]
	ds_read2_b64 v[66:69], v126 offset0:26 offset1:27
	;; [unrolled: 8-line block ×4, first 2 shown]
	s_waitcnt lgkmcnt(0)
	v_mul_f64 v[20:21], v[68:69], v[110:111]
	v_fma_f64 v[20:21], v[66:67], v[18:19], -v[20:21]
	v_mul_f64 v[66:67], v[66:67], v[110:111]
	v_add_f64 v[34:35], v[34:35], -v[20:21]
	v_fma_f64 v[66:67], v[68:69], v[18:19], v[66:67]
	v_mov_b32_e32 v20, v110
	v_mov_b32_e32 v21, v111
	v_add_f64 v[36:37], v[36:37], -v[66:67]
.LBB31_100:
	s_or_b64 exec, exec, s[2:3]
	v_cmp_eq_u32_e32 vcc, 11, v0
	s_waitcnt lgkmcnt(0)
	s_barrier
	s_and_saveexec_b64 s[4:5], vcc
	s_cbranch_execz .LBB31_107
; %bb.101:
	ds_write2_b64 v1, v[14:15], v[16:17] offset1:1
	ds_write2_b64 v126, v[10:11], v[12:13] offset0:24 offset1:25
	ds_write2_b64 v126, v[6:7], v[8:9] offset0:26 offset1:27
	;; [unrolled: 1-line block ×4, first 2 shown]
	ds_read2_b64 v[66:69], v1 offset1:1
	s_waitcnt lgkmcnt(0)
	v_cmp_neq_f64_e32 vcc, 0, v[66:67]
	v_cmp_neq_f64_e64 s[2:3], 0, v[68:69]
	s_or_b64 s[2:3], vcc, s[2:3]
	s_and_b64 exec, exec, s[2:3]
	s_cbranch_execz .LBB31_107
; %bb.102:
	v_cmp_ngt_f64_e64 s[2:3], |v[66:67]|, |v[68:69]|
                                        ; implicit-def: $vgpr110_vgpr111
	s_and_saveexec_b64 s[6:7], s[2:3]
	s_xor_b64 s[2:3], exec, s[6:7]
                                        ; implicit-def: $vgpr112_vgpr113
	s_cbranch_execz .LBB31_104
; %bb.103:
	v_div_scale_f64 v[110:111], s[6:7], v[68:69], v[68:69], v[66:67]
	v_rcp_f64_e32 v[112:113], v[110:111]
	v_fma_f64 v[114:115], -v[110:111], v[112:113], 1.0
	v_fma_f64 v[112:113], v[112:113], v[114:115], v[112:113]
	v_div_scale_f64 v[114:115], vcc, v[66:67], v[68:69], v[66:67]
	v_fma_f64 v[116:117], -v[110:111], v[112:113], 1.0
	v_fma_f64 v[112:113], v[112:113], v[116:117], v[112:113]
	v_mul_f64 v[116:117], v[114:115], v[112:113]
	v_fma_f64 v[110:111], -v[110:111], v[116:117], v[114:115]
	v_div_fmas_f64 v[110:111], v[110:111], v[112:113], v[116:117]
	v_div_fixup_f64 v[110:111], v[110:111], v[68:69], v[66:67]
	v_fma_f64 v[66:67], v[66:67], v[110:111], v[68:69]
	v_div_scale_f64 v[68:69], s[6:7], v[66:67], v[66:67], 1.0
	v_div_scale_f64 v[116:117], vcc, 1.0, v[66:67], 1.0
	v_rcp_f64_e32 v[112:113], v[68:69]
	v_fma_f64 v[114:115], -v[68:69], v[112:113], 1.0
	v_fma_f64 v[112:113], v[112:113], v[114:115], v[112:113]
	v_fma_f64 v[114:115], -v[68:69], v[112:113], 1.0
	v_fma_f64 v[112:113], v[112:113], v[114:115], v[112:113]
	v_mul_f64 v[114:115], v[116:117], v[112:113]
	v_fma_f64 v[68:69], -v[68:69], v[114:115], v[116:117]
	v_div_fmas_f64 v[68:69], v[68:69], v[112:113], v[114:115]
	v_div_fixup_f64 v[112:113], v[68:69], v[66:67], 1.0
                                        ; implicit-def: $vgpr66_vgpr67
	v_mul_f64 v[110:111], v[110:111], v[112:113]
	v_xor_b32_e32 v113, 0x80000000, v113
.LBB31_104:
	s_andn2_saveexec_b64 s[2:3], s[2:3]
	s_cbranch_execz .LBB31_106
; %bb.105:
	v_div_scale_f64 v[110:111], s[6:7], v[66:67], v[66:67], v[68:69]
	v_rcp_f64_e32 v[112:113], v[110:111]
	v_fma_f64 v[114:115], -v[110:111], v[112:113], 1.0
	v_fma_f64 v[112:113], v[112:113], v[114:115], v[112:113]
	v_div_scale_f64 v[114:115], vcc, v[68:69], v[66:67], v[68:69]
	v_fma_f64 v[116:117], -v[110:111], v[112:113], 1.0
	v_fma_f64 v[112:113], v[112:113], v[116:117], v[112:113]
	v_mul_f64 v[116:117], v[114:115], v[112:113]
	v_fma_f64 v[110:111], -v[110:111], v[116:117], v[114:115]
	v_div_fmas_f64 v[110:111], v[110:111], v[112:113], v[116:117]
	v_div_fixup_f64 v[112:113], v[110:111], v[66:67], v[68:69]
	v_fma_f64 v[66:67], v[68:69], v[112:113], v[66:67]
	v_div_scale_f64 v[68:69], s[6:7], v[66:67], v[66:67], 1.0
	v_div_scale_f64 v[116:117], vcc, 1.0, v[66:67], 1.0
	v_rcp_f64_e32 v[110:111], v[68:69]
	v_fma_f64 v[114:115], -v[68:69], v[110:111], 1.0
	v_fma_f64 v[110:111], v[110:111], v[114:115], v[110:111]
	v_fma_f64 v[114:115], -v[68:69], v[110:111], 1.0
	v_fma_f64 v[110:111], v[110:111], v[114:115], v[110:111]
	v_mul_f64 v[114:115], v[116:117], v[110:111]
	v_fma_f64 v[68:69], -v[68:69], v[114:115], v[116:117]
	v_div_fmas_f64 v[68:69], v[68:69], v[110:111], v[114:115]
	v_div_fixup_f64 v[110:111], v[68:69], v[66:67], 1.0
	v_mul_f64 v[112:113], v[112:113], -v[110:111]
.LBB31_106:
	s_or_b64 exec, exec, s[2:3]
	ds_write2_b64 v1, v[110:111], v[112:113] offset1:1
.LBB31_107:
	s_or_b64 exec, exec, s[4:5]
	s_waitcnt lgkmcnt(0)
	s_barrier
	ds_read2_b64 v[110:113], v1 offset1:1
	v_cmp_lt_u32_e32 vcc, 11, v0
	s_and_saveexec_b64 s[2:3], vcc
	s_cbranch_execz .LBB31_109
; %bb.108:
	s_waitcnt lgkmcnt(0)
	v_mul_f64 v[66:67], v[110:111], v[16:17]
	v_mul_f64 v[16:17], v[112:113], v[16:17]
	v_fma_f64 v[114:115], v[112:113], v[14:15], v[66:67]
	ds_read2_b64 v[66:69], v126 offset0:24 offset1:25
	v_fma_f64 v[14:15], v[110:111], v[14:15], -v[16:17]
	s_waitcnt lgkmcnt(0)
	v_mul_f64 v[16:17], v[68:69], v[114:115]
	v_fma_f64 v[16:17], v[66:67], v[14:15], -v[16:17]
	v_mul_f64 v[66:67], v[66:67], v[114:115]
	v_add_f64 v[10:11], v[10:11], -v[16:17]
	v_fma_f64 v[66:67], v[68:69], v[14:15], v[66:67]
	v_add_f64 v[12:13], v[12:13], -v[66:67]
	ds_read2_b64 v[66:69], v126 offset0:26 offset1:27
	s_waitcnt lgkmcnt(0)
	v_mul_f64 v[16:17], v[68:69], v[114:115]
	v_fma_f64 v[16:17], v[66:67], v[14:15], -v[16:17]
	v_mul_f64 v[66:67], v[66:67], v[114:115]
	v_add_f64 v[6:7], v[6:7], -v[16:17]
	v_fma_f64 v[66:67], v[68:69], v[14:15], v[66:67]
	v_add_f64 v[8:9], v[8:9], -v[66:67]
	ds_read2_b64 v[66:69], v126 offset0:28 offset1:29
	;; [unrolled: 8-line block ×3, first 2 shown]
	s_waitcnt lgkmcnt(0)
	v_mul_f64 v[16:17], v[68:69], v[114:115]
	v_fma_f64 v[16:17], v[66:67], v[14:15], -v[16:17]
	v_mul_f64 v[66:67], v[66:67], v[114:115]
	v_add_f64 v[34:35], v[34:35], -v[16:17]
	v_fma_f64 v[66:67], v[68:69], v[14:15], v[66:67]
	v_mov_b32_e32 v16, v114
	v_mov_b32_e32 v17, v115
	v_add_f64 v[36:37], v[36:37], -v[66:67]
.LBB31_109:
	s_or_b64 exec, exec, s[2:3]
	v_cmp_eq_u32_e32 vcc, 12, v0
	s_waitcnt lgkmcnt(0)
	s_barrier
	s_and_saveexec_b64 s[4:5], vcc
	s_cbranch_execz .LBB31_116
; %bb.110:
	ds_write2_b64 v1, v[10:11], v[12:13] offset1:1
	ds_write2_b64 v126, v[6:7], v[8:9] offset0:26 offset1:27
	ds_write2_b64 v126, v[2:3], v[4:5] offset0:28 offset1:29
	;; [unrolled: 1-line block ×3, first 2 shown]
	ds_read2_b64 v[66:69], v1 offset1:1
	s_waitcnt lgkmcnt(0)
	v_cmp_neq_f64_e32 vcc, 0, v[66:67]
	v_cmp_neq_f64_e64 s[2:3], 0, v[68:69]
	s_or_b64 s[2:3], vcc, s[2:3]
	s_and_b64 exec, exec, s[2:3]
	s_cbranch_execz .LBB31_116
; %bb.111:
	v_cmp_ngt_f64_e64 s[2:3], |v[66:67]|, |v[68:69]|
                                        ; implicit-def: $vgpr114_vgpr115
	s_and_saveexec_b64 s[6:7], s[2:3]
	s_xor_b64 s[2:3], exec, s[6:7]
                                        ; implicit-def: $vgpr116_vgpr117
	s_cbranch_execz .LBB31_113
; %bb.112:
	v_div_scale_f64 v[114:115], s[6:7], v[68:69], v[68:69], v[66:67]
	v_rcp_f64_e32 v[116:117], v[114:115]
	v_fma_f64 v[118:119], -v[114:115], v[116:117], 1.0
	v_fma_f64 v[116:117], v[116:117], v[118:119], v[116:117]
	v_div_scale_f64 v[118:119], vcc, v[66:67], v[68:69], v[66:67]
	v_fma_f64 v[120:121], -v[114:115], v[116:117], 1.0
	v_fma_f64 v[116:117], v[116:117], v[120:121], v[116:117]
	v_mul_f64 v[120:121], v[118:119], v[116:117]
	v_fma_f64 v[114:115], -v[114:115], v[120:121], v[118:119]
	v_div_fmas_f64 v[114:115], v[114:115], v[116:117], v[120:121]
	v_div_fixup_f64 v[114:115], v[114:115], v[68:69], v[66:67]
	v_fma_f64 v[66:67], v[66:67], v[114:115], v[68:69]
	v_div_scale_f64 v[68:69], s[6:7], v[66:67], v[66:67], 1.0
	v_div_scale_f64 v[120:121], vcc, 1.0, v[66:67], 1.0
	v_rcp_f64_e32 v[116:117], v[68:69]
	v_fma_f64 v[118:119], -v[68:69], v[116:117], 1.0
	v_fma_f64 v[116:117], v[116:117], v[118:119], v[116:117]
	v_fma_f64 v[118:119], -v[68:69], v[116:117], 1.0
	v_fma_f64 v[116:117], v[116:117], v[118:119], v[116:117]
	v_mul_f64 v[118:119], v[120:121], v[116:117]
	v_fma_f64 v[68:69], -v[68:69], v[118:119], v[120:121]
	v_div_fmas_f64 v[68:69], v[68:69], v[116:117], v[118:119]
	v_div_fixup_f64 v[116:117], v[68:69], v[66:67], 1.0
                                        ; implicit-def: $vgpr66_vgpr67
	v_mul_f64 v[114:115], v[114:115], v[116:117]
	v_xor_b32_e32 v117, 0x80000000, v117
.LBB31_113:
	s_andn2_saveexec_b64 s[2:3], s[2:3]
	s_cbranch_execz .LBB31_115
; %bb.114:
	v_div_scale_f64 v[114:115], s[6:7], v[66:67], v[66:67], v[68:69]
	v_rcp_f64_e32 v[116:117], v[114:115]
	v_fma_f64 v[118:119], -v[114:115], v[116:117], 1.0
	v_fma_f64 v[116:117], v[116:117], v[118:119], v[116:117]
	v_div_scale_f64 v[118:119], vcc, v[68:69], v[66:67], v[68:69]
	v_fma_f64 v[120:121], -v[114:115], v[116:117], 1.0
	v_fma_f64 v[116:117], v[116:117], v[120:121], v[116:117]
	v_mul_f64 v[120:121], v[118:119], v[116:117]
	v_fma_f64 v[114:115], -v[114:115], v[120:121], v[118:119]
	v_div_fmas_f64 v[114:115], v[114:115], v[116:117], v[120:121]
	v_div_fixup_f64 v[116:117], v[114:115], v[66:67], v[68:69]
	v_fma_f64 v[66:67], v[68:69], v[116:117], v[66:67]
	v_div_scale_f64 v[68:69], s[6:7], v[66:67], v[66:67], 1.0
	v_div_scale_f64 v[120:121], vcc, 1.0, v[66:67], 1.0
	v_rcp_f64_e32 v[114:115], v[68:69]
	v_fma_f64 v[118:119], -v[68:69], v[114:115], 1.0
	v_fma_f64 v[114:115], v[114:115], v[118:119], v[114:115]
	v_fma_f64 v[118:119], -v[68:69], v[114:115], 1.0
	v_fma_f64 v[114:115], v[114:115], v[118:119], v[114:115]
	v_mul_f64 v[118:119], v[120:121], v[114:115]
	v_fma_f64 v[68:69], -v[68:69], v[118:119], v[120:121]
	v_div_fmas_f64 v[68:69], v[68:69], v[114:115], v[118:119]
	v_div_fixup_f64 v[114:115], v[68:69], v[66:67], 1.0
	v_mul_f64 v[116:117], v[116:117], -v[114:115]
.LBB31_115:
	s_or_b64 exec, exec, s[2:3]
	ds_write2_b64 v1, v[114:115], v[116:117] offset1:1
.LBB31_116:
	s_or_b64 exec, exec, s[4:5]
	s_waitcnt lgkmcnt(0)
	s_barrier
	ds_read2_b64 v[114:117], v1 offset1:1
	v_cmp_lt_u32_e32 vcc, 12, v0
	s_and_saveexec_b64 s[2:3], vcc
	s_cbranch_execz .LBB31_118
; %bb.117:
	s_waitcnt lgkmcnt(0)
	v_mul_f64 v[66:67], v[114:115], v[12:13]
	v_mul_f64 v[12:13], v[116:117], v[12:13]
	v_fma_f64 v[118:119], v[116:117], v[10:11], v[66:67]
	ds_read2_b64 v[66:69], v126 offset0:26 offset1:27
	v_fma_f64 v[10:11], v[114:115], v[10:11], -v[12:13]
	s_waitcnt lgkmcnt(0)
	v_mul_f64 v[12:13], v[68:69], v[118:119]
	v_fma_f64 v[12:13], v[66:67], v[10:11], -v[12:13]
	v_mul_f64 v[66:67], v[66:67], v[118:119]
	v_add_f64 v[6:7], v[6:7], -v[12:13]
	v_fma_f64 v[66:67], v[68:69], v[10:11], v[66:67]
	v_add_f64 v[8:9], v[8:9], -v[66:67]
	ds_read2_b64 v[66:69], v126 offset0:28 offset1:29
	s_waitcnt lgkmcnt(0)
	v_mul_f64 v[12:13], v[68:69], v[118:119]
	v_fma_f64 v[12:13], v[66:67], v[10:11], -v[12:13]
	v_mul_f64 v[66:67], v[66:67], v[118:119]
	v_add_f64 v[2:3], v[2:3], -v[12:13]
	v_fma_f64 v[66:67], v[68:69], v[10:11], v[66:67]
	v_add_f64 v[4:5], v[4:5], -v[66:67]
	ds_read2_b64 v[66:69], v126 offset0:30 offset1:31
	s_waitcnt lgkmcnt(0)
	v_mul_f64 v[12:13], v[68:69], v[118:119]
	v_fma_f64 v[12:13], v[66:67], v[10:11], -v[12:13]
	v_mul_f64 v[66:67], v[66:67], v[118:119]
	v_add_f64 v[34:35], v[34:35], -v[12:13]
	v_fma_f64 v[66:67], v[68:69], v[10:11], v[66:67]
	v_mov_b32_e32 v12, v118
	v_mov_b32_e32 v13, v119
	v_add_f64 v[36:37], v[36:37], -v[66:67]
.LBB31_118:
	s_or_b64 exec, exec, s[2:3]
	v_cmp_eq_u32_e32 vcc, 13, v0
	s_waitcnt lgkmcnt(0)
	s_barrier
	s_and_saveexec_b64 s[4:5], vcc
	s_cbranch_execz .LBB31_125
; %bb.119:
	ds_write2_b64 v1, v[6:7], v[8:9] offset1:1
	ds_write2_b64 v126, v[2:3], v[4:5] offset0:28 offset1:29
	ds_write2_b64 v126, v[34:35], v[36:37] offset0:30 offset1:31
	ds_read2_b64 v[66:69], v1 offset1:1
	s_waitcnt lgkmcnt(0)
	v_cmp_neq_f64_e32 vcc, 0, v[66:67]
	v_cmp_neq_f64_e64 s[2:3], 0, v[68:69]
	s_or_b64 s[2:3], vcc, s[2:3]
	s_and_b64 exec, exec, s[2:3]
	s_cbranch_execz .LBB31_125
; %bb.120:
	v_cmp_ngt_f64_e64 s[2:3], |v[66:67]|, |v[68:69]|
                                        ; implicit-def: $vgpr118_vgpr119
	s_and_saveexec_b64 s[6:7], s[2:3]
	s_xor_b64 s[2:3], exec, s[6:7]
                                        ; implicit-def: $vgpr120_vgpr121
	s_cbranch_execz .LBB31_122
; %bb.121:
	v_div_scale_f64 v[118:119], s[6:7], v[68:69], v[68:69], v[66:67]
	v_rcp_f64_e32 v[120:121], v[118:119]
	v_fma_f64 v[122:123], -v[118:119], v[120:121], 1.0
	v_fma_f64 v[120:121], v[120:121], v[122:123], v[120:121]
	v_div_scale_f64 v[122:123], vcc, v[66:67], v[68:69], v[66:67]
	v_fma_f64 v[124:125], -v[118:119], v[120:121], 1.0
	v_fma_f64 v[120:121], v[120:121], v[124:125], v[120:121]
	v_mul_f64 v[124:125], v[122:123], v[120:121]
	v_fma_f64 v[118:119], -v[118:119], v[124:125], v[122:123]
	v_div_fmas_f64 v[118:119], v[118:119], v[120:121], v[124:125]
	v_div_fixup_f64 v[118:119], v[118:119], v[68:69], v[66:67]
	v_fma_f64 v[66:67], v[66:67], v[118:119], v[68:69]
	v_div_scale_f64 v[68:69], s[6:7], v[66:67], v[66:67], 1.0
	v_div_scale_f64 v[124:125], vcc, 1.0, v[66:67], 1.0
	v_rcp_f64_e32 v[120:121], v[68:69]
	v_fma_f64 v[122:123], -v[68:69], v[120:121], 1.0
	v_fma_f64 v[120:121], v[120:121], v[122:123], v[120:121]
	v_fma_f64 v[122:123], -v[68:69], v[120:121], 1.0
	v_fma_f64 v[120:121], v[120:121], v[122:123], v[120:121]
	v_mul_f64 v[122:123], v[124:125], v[120:121]
	v_fma_f64 v[68:69], -v[68:69], v[122:123], v[124:125]
	v_div_fmas_f64 v[68:69], v[68:69], v[120:121], v[122:123]
	v_div_fixup_f64 v[120:121], v[68:69], v[66:67], 1.0
                                        ; implicit-def: $vgpr66_vgpr67
	v_mul_f64 v[118:119], v[118:119], v[120:121]
	v_xor_b32_e32 v121, 0x80000000, v121
.LBB31_122:
	s_andn2_saveexec_b64 s[2:3], s[2:3]
	s_cbranch_execz .LBB31_124
; %bb.123:
	v_div_scale_f64 v[118:119], s[6:7], v[66:67], v[66:67], v[68:69]
	v_rcp_f64_e32 v[120:121], v[118:119]
	v_fma_f64 v[122:123], -v[118:119], v[120:121], 1.0
	v_fma_f64 v[120:121], v[120:121], v[122:123], v[120:121]
	v_div_scale_f64 v[122:123], vcc, v[68:69], v[66:67], v[68:69]
	v_fma_f64 v[124:125], -v[118:119], v[120:121], 1.0
	v_fma_f64 v[120:121], v[120:121], v[124:125], v[120:121]
	v_mul_f64 v[124:125], v[122:123], v[120:121]
	v_fma_f64 v[118:119], -v[118:119], v[124:125], v[122:123]
	v_div_fmas_f64 v[118:119], v[118:119], v[120:121], v[124:125]
	v_div_fixup_f64 v[120:121], v[118:119], v[66:67], v[68:69]
	v_fma_f64 v[66:67], v[68:69], v[120:121], v[66:67]
	v_div_scale_f64 v[68:69], s[6:7], v[66:67], v[66:67], 1.0
	v_div_scale_f64 v[124:125], vcc, 1.0, v[66:67], 1.0
	v_rcp_f64_e32 v[118:119], v[68:69]
	v_fma_f64 v[122:123], -v[68:69], v[118:119], 1.0
	v_fma_f64 v[118:119], v[118:119], v[122:123], v[118:119]
	v_fma_f64 v[122:123], -v[68:69], v[118:119], 1.0
	v_fma_f64 v[118:119], v[118:119], v[122:123], v[118:119]
	v_mul_f64 v[122:123], v[124:125], v[118:119]
	v_fma_f64 v[68:69], -v[68:69], v[122:123], v[124:125]
	v_div_fmas_f64 v[68:69], v[68:69], v[118:119], v[122:123]
	v_div_fixup_f64 v[118:119], v[68:69], v[66:67], 1.0
	v_mul_f64 v[120:121], v[120:121], -v[118:119]
.LBB31_124:
	s_or_b64 exec, exec, s[2:3]
	ds_write2_b64 v1, v[118:119], v[120:121] offset1:1
.LBB31_125:
	s_or_b64 exec, exec, s[4:5]
	s_waitcnt lgkmcnt(0)
	s_barrier
	ds_read2_b64 v[122:125], v1 offset1:1
	v_cmp_lt_u32_e32 vcc, 13, v0
	s_and_saveexec_b64 s[2:3], vcc
	s_cbranch_execz .LBB31_127
; %bb.126:
	s_waitcnt lgkmcnt(0)
	v_mul_f64 v[66:67], v[122:123], v[8:9]
	v_mul_f64 v[8:9], v[124:125], v[8:9]
	v_fma_f64 v[118:119], v[124:125], v[6:7], v[66:67]
	ds_read2_b64 v[66:69], v126 offset0:28 offset1:29
	v_fma_f64 v[6:7], v[122:123], v[6:7], -v[8:9]
	s_waitcnt lgkmcnt(0)
	v_mul_f64 v[8:9], v[68:69], v[118:119]
	v_fma_f64 v[8:9], v[66:67], v[6:7], -v[8:9]
	v_mul_f64 v[66:67], v[66:67], v[118:119]
	v_add_f64 v[2:3], v[2:3], -v[8:9]
	v_fma_f64 v[66:67], v[68:69], v[6:7], v[66:67]
	v_add_f64 v[4:5], v[4:5], -v[66:67]
	ds_read2_b64 v[66:69], v126 offset0:30 offset1:31
	s_waitcnt lgkmcnt(0)
	v_mul_f64 v[8:9], v[68:69], v[118:119]
	v_fma_f64 v[8:9], v[66:67], v[6:7], -v[8:9]
	v_mul_f64 v[66:67], v[66:67], v[118:119]
	v_add_f64 v[34:35], v[34:35], -v[8:9]
	v_fma_f64 v[66:67], v[68:69], v[6:7], v[66:67]
	v_mov_b32_e32 v8, v118
	v_mov_b32_e32 v9, v119
	v_add_f64 v[36:37], v[36:37], -v[66:67]
.LBB31_127:
	s_or_b64 exec, exec, s[2:3]
	v_cmp_eq_u32_e32 vcc, 14, v0
	s_waitcnt lgkmcnt(0)
	s_barrier
	s_and_saveexec_b64 s[4:5], vcc
	s_cbranch_execz .LBB31_134
; %bb.128:
	ds_write2_b64 v1, v[2:3], v[4:5] offset1:1
	ds_write2_b64 v126, v[34:35], v[36:37] offset0:30 offset1:31
	ds_read2_b64 v[66:69], v1 offset1:1
	s_waitcnt lgkmcnt(0)
	v_cmp_neq_f64_e32 vcc, 0, v[66:67]
	v_cmp_neq_f64_e64 s[2:3], 0, v[68:69]
	s_or_b64 s[2:3], vcc, s[2:3]
	s_and_b64 exec, exec, s[2:3]
	s_cbranch_execz .LBB31_134
; %bb.129:
	v_cmp_ngt_f64_e64 s[2:3], |v[66:67]|, |v[68:69]|
                                        ; implicit-def: $vgpr118_vgpr119
	s_and_saveexec_b64 s[6:7], s[2:3]
	s_xor_b64 s[2:3], exec, s[6:7]
                                        ; implicit-def: $vgpr120_vgpr121
	s_cbranch_execz .LBB31_131
; %bb.130:
	v_div_scale_f64 v[118:119], s[6:7], v[68:69], v[68:69], v[66:67]
	v_div_scale_f64 v[76:77], vcc, v[66:67], v[68:69], v[66:67]
	v_rcp_f64_e32 v[120:121], v[118:119]
	v_fma_f64 v[74:75], -v[118:119], v[120:121], 1.0
	v_fma_f64 v[74:75], v[120:121], v[74:75], v[120:121]
	v_fma_f64 v[120:121], -v[118:119], v[74:75], 1.0
	v_fma_f64 v[74:75], v[74:75], v[120:121], v[74:75]
	v_mul_f64 v[120:121], v[76:77], v[74:75]
	v_fma_f64 v[76:77], -v[118:119], v[120:121], v[76:77]
	v_div_fmas_f64 v[74:75], v[76:77], v[74:75], v[120:121]
	v_div_fixup_f64 v[74:75], v[74:75], v[68:69], v[66:67]
	v_fma_f64 v[66:67], v[66:67], v[74:75], v[68:69]
	v_div_scale_f64 v[68:69], s[6:7], v[66:67], v[66:67], 1.0
	v_div_scale_f64 v[120:121], vcc, 1.0, v[66:67], 1.0
	v_rcp_f64_e32 v[76:77], v[68:69]
	v_fma_f64 v[118:119], -v[68:69], v[76:77], 1.0
	v_fma_f64 v[76:77], v[76:77], v[118:119], v[76:77]
	v_fma_f64 v[118:119], -v[68:69], v[76:77], 1.0
	v_fma_f64 v[76:77], v[76:77], v[118:119], v[76:77]
	v_mul_f64 v[118:119], v[120:121], v[76:77]
	v_fma_f64 v[68:69], -v[68:69], v[118:119], v[120:121]
	v_div_fmas_f64 v[68:69], v[68:69], v[76:77], v[118:119]
	v_div_fixup_f64 v[120:121], v[68:69], v[66:67], 1.0
                                        ; implicit-def: $vgpr66_vgpr67
	v_mul_f64 v[118:119], v[74:75], v[120:121]
	v_xor_b32_e32 v121, 0x80000000, v121
.LBB31_131:
	s_andn2_saveexec_b64 s[2:3], s[2:3]
	s_cbranch_execz .LBB31_133
; %bb.132:
	v_div_scale_f64 v[74:75], s[6:7], v[66:67], v[66:67], v[68:69]
	v_rcp_f64_e32 v[76:77], v[74:75]
	v_fma_f64 v[118:119], -v[74:75], v[76:77], 1.0
	v_fma_f64 v[76:77], v[76:77], v[118:119], v[76:77]
	v_div_scale_f64 v[118:119], vcc, v[68:69], v[66:67], v[68:69]
	v_fma_f64 v[120:121], -v[74:75], v[76:77], 1.0
	v_fma_f64 v[76:77], v[76:77], v[120:121], v[76:77]
	v_mul_f64 v[120:121], v[118:119], v[76:77]
	v_fma_f64 v[74:75], -v[74:75], v[120:121], v[118:119]
	v_div_fmas_f64 v[74:75], v[74:75], v[76:77], v[120:121]
	v_div_fixup_f64 v[74:75], v[74:75], v[66:67], v[68:69]
	v_fma_f64 v[66:67], v[68:69], v[74:75], v[66:67]
	v_div_scale_f64 v[68:69], s[6:7], v[66:67], v[66:67], 1.0
	v_div_scale_f64 v[120:121], vcc, 1.0, v[66:67], 1.0
	v_rcp_f64_e32 v[76:77], v[68:69]
	v_fma_f64 v[118:119], -v[68:69], v[76:77], 1.0
	v_fma_f64 v[76:77], v[76:77], v[118:119], v[76:77]
	v_fma_f64 v[118:119], -v[68:69], v[76:77], 1.0
	v_fma_f64 v[76:77], v[76:77], v[118:119], v[76:77]
	v_mul_f64 v[118:119], v[120:121], v[76:77]
	v_fma_f64 v[68:69], -v[68:69], v[118:119], v[120:121]
	v_div_fmas_f64 v[68:69], v[68:69], v[76:77], v[118:119]
	v_div_fixup_f64 v[118:119], v[68:69], v[66:67], 1.0
	v_mul_f64 v[120:121], v[74:75], -v[118:119]
.LBB31_133:
	s_or_b64 exec, exec, s[2:3]
	ds_write2_b64 v1, v[118:119], v[120:121] offset1:1
.LBB31_134:
	s_or_b64 exec, exec, s[4:5]
	s_waitcnt lgkmcnt(0)
	s_barrier
	ds_read2_b64 v[66:69], v1 offset1:1
	v_cmp_lt_u32_e32 vcc, 14, v0
	s_and_saveexec_b64 s[2:3], vcc
	s_cbranch_execz .LBB31_136
; %bb.135:
	s_waitcnt lgkmcnt(0)
	v_mul_f64 v[74:75], v[66:67], v[4:5]
	v_mul_f64 v[4:5], v[68:69], v[4:5]
	ds_read2_b64 v[118:121], v126 offset0:30 offset1:31
	v_fma_f64 v[74:75], v[68:69], v[2:3], v[74:75]
	v_fma_f64 v[2:3], v[66:67], v[2:3], -v[4:5]
	s_waitcnt lgkmcnt(0)
	v_mul_f64 v[4:5], v[120:121], v[74:75]
	v_mul_f64 v[76:77], v[118:119], v[74:75]
	v_fma_f64 v[4:5], v[118:119], v[2:3], -v[4:5]
	v_fma_f64 v[76:77], v[120:121], v[2:3], v[76:77]
	v_add_f64 v[34:35], v[34:35], -v[4:5]
	v_add_f64 v[36:37], v[36:37], -v[76:77]
	v_mov_b32_e32 v4, v74
	v_mov_b32_e32 v5, v75
.LBB31_136:
	s_or_b64 exec, exec, s[2:3]
	v_cmp_eq_u32_e32 vcc, 15, v0
	s_waitcnt lgkmcnt(0)
	s_barrier
	s_and_saveexec_b64 s[4:5], vcc
	s_cbranch_execz .LBB31_143
; %bb.137:
	v_cmp_neq_f64_e32 vcc, 0, v[34:35]
	v_cmp_neq_f64_e64 s[2:3], 0, v[36:37]
	ds_write2_b64 v1, v[34:35], v[36:37] offset1:1
	s_or_b64 s[2:3], vcc, s[2:3]
	s_and_b64 exec, exec, s[2:3]
	s_cbranch_execz .LBB31_143
; %bb.138:
	v_cmp_ngt_f64_e64 s[2:3], |v[34:35]|, |v[36:37]|
                                        ; implicit-def: $vgpr118_vgpr119
	s_and_saveexec_b64 s[6:7], s[2:3]
	s_xor_b64 s[2:3], exec, s[6:7]
                                        ; implicit-def: $vgpr120_vgpr121
	s_cbranch_execz .LBB31_140
; %bb.139:
	v_div_scale_f64 v[74:75], s[6:7], v[36:37], v[36:37], v[34:35]
	v_mov_b32_e32 v105, v101
	v_mov_b32_e32 v104, v100
	;; [unrolled: 1-line block ×14, first 2 shown]
	v_rcp_f64_e32 v[76:77], v[74:75]
	v_mov_b32_e32 v90, v70
	v_mov_b32_e32 v92, v72
	;; [unrolled: 1-line block ×14, first 2 shown]
	v_fma_f64 v[118:119], -v[74:75], v[76:77], 1.0
	v_fma_f64 v[76:77], v[76:77], v[118:119], v[76:77]
	v_div_scale_f64 v[118:119], vcc, v[34:35], v[36:37], v[34:35]
	v_fma_f64 v[120:121], -v[74:75], v[76:77], 1.0
	v_fma_f64 v[76:77], v[76:77], v[120:121], v[76:77]
	v_mul_f64 v[120:121], v[118:119], v[76:77]
	v_fma_f64 v[74:75], -v[74:75], v[120:121], v[118:119]
	v_div_fmas_f64 v[74:75], v[74:75], v[76:77], v[120:121]
	v_div_fixup_f64 v[74:75], v[74:75], v[36:37], v[34:35]
	v_fma_f64 v[76:77], v[34:35], v[74:75], v[36:37]
	v_div_scale_f64 v[118:119], s[6:7], v[76:77], v[76:77], 1.0
	v_div_scale_f64 v[78:79], vcc, 1.0, v[76:77], 1.0
	v_rcp_f64_e32 v[120:121], v[118:119]
	v_fma_f64 v[126:127], -v[118:119], v[120:121], 1.0
	v_fma_f64 v[120:121], v[120:121], v[126:127], v[120:121]
	v_fma_f64 v[126:127], -v[118:119], v[120:121], 1.0
	v_fma_f64 v[80:81], v[120:121], v[126:127], v[120:121]
	v_mul_f64 v[120:121], v[78:79], v[80:81]
	v_fma_f64 v[78:79], -v[118:119], v[120:121], v[78:79]
	v_div_fmas_f64 v[78:79], v[78:79], v[80:81], v[120:121]
	v_div_fixup_f64 v[120:121], v[78:79], v[76:77], 1.0
	v_mov_b32_e32 v78, v82
	v_mov_b32_e32 v79, v83
	v_mov_b32_e32 v80, v84
	v_mov_b32_e32 v81, v85
	v_mov_b32_e32 v82, v86
	v_mov_b32_e32 v83, v87
	v_mov_b32_e32 v84, v88
	v_mul_f64 v[118:119], v[74:75], v[120:121]
	v_mov_b32_e32 v85, v89
	v_mov_b32_e32 v89, v73
	;; [unrolled: 1-line block ×21, first 2 shown]
	v_xor_b32_e32 v121, 0x80000000, v121
.LBB31_140:
	s_andn2_saveexec_b64 s[2:3], s[2:3]
	s_cbranch_execz .LBB31_142
; %bb.141:
	v_div_scale_f64 v[74:75], s[6:7], v[34:35], v[34:35], v[36:37]
	v_mov_b32_e32 v103, v101
	v_mov_b32_e32 v102, v100
	;; [unrolled: 1-line block ×14, first 2 shown]
	v_rcp_f64_e32 v[76:77], v[74:75]
	v_mov_b32_e32 v126, v70
	v_mov_b32_e32 v90, v72
	;; [unrolled: 1-line block ×14, first 2 shown]
	v_fma_f64 v[78:79], -v[74:75], v[76:77], 1.0
	v_fma_f64 v[76:77], v[76:77], v[78:79], v[76:77]
	v_div_scale_f64 v[78:79], vcc, v[36:37], v[34:35], v[36:37]
	v_fma_f64 v[80:81], -v[74:75], v[76:77], 1.0
	v_fma_f64 v[76:77], v[76:77], v[80:81], v[76:77]
	v_mul_f64 v[80:81], v[78:79], v[76:77]
	v_fma_f64 v[74:75], -v[74:75], v[80:81], v[78:79]
	v_div_fmas_f64 v[74:75], v[74:75], v[76:77], v[80:81]
	v_div_fixup_f64 v[74:75], v[74:75], v[34:35], v[36:37]
	v_fma_f64 v[76:77], v[36:37], v[74:75], v[34:35]
	v_div_scale_f64 v[78:79], s[6:7], v[76:77], v[76:77], 1.0
	v_div_scale_f64 v[120:121], vcc, 1.0, v[76:77], 1.0
	v_rcp_f64_e32 v[80:81], v[78:79]
	v_fma_f64 v[118:119], -v[78:79], v[80:81], 1.0
	v_fma_f64 v[80:81], v[80:81], v[118:119], v[80:81]
	v_fma_f64 v[118:119], -v[78:79], v[80:81], 1.0
	v_fma_f64 v[80:81], v[80:81], v[118:119], v[80:81]
	v_mul_f64 v[118:119], v[120:121], v[80:81]
	v_fma_f64 v[78:79], -v[78:79], v[118:119], v[120:121]
	v_div_fmas_f64 v[78:79], v[78:79], v[80:81], v[118:119]
	v_div_fixup_f64 v[118:119], v[78:79], v[76:77], 1.0
	v_mov_b32_e32 v78, v82
	v_mov_b32_e32 v79, v83
	;; [unrolled: 1-line block ×7, first 2 shown]
	v_mul_f64 v[120:121], v[74:75], -v[118:119]
	v_mov_b32_e32 v85, v89
	v_mov_b32_e32 v89, v73
	;; [unrolled: 1-line block ×21, first 2 shown]
.LBB31_142:
	s_or_b64 exec, exec, s[2:3]
	ds_write2_b64 v1, v[118:119], v[120:121] offset1:1
.LBB31_143:
	s_or_b64 exec, exec, s[4:5]
	s_waitcnt lgkmcnt(0)
	s_barrier
	ds_read2_b64 v[118:121], v1 offset1:1
	s_waitcnt lgkmcnt(0)
	s_barrier
	s_and_saveexec_b64 s[2:3], s[0:1]
	s_cbranch_execz .LBB31_146
; %bb.144:
	buffer_load_dword v74, off, s[20:23], 0 offset:152 ; 4-byte Folded Reload
	buffer_load_dword v75, off, s[20:23], 0 offset:156 ; 4-byte Folded Reload
	;; [unrolled: 1-line block ×4, first 2 shown]
	s_waitcnt vmcnt(2)
	v_cmp_eq_f64_e32 vcc, 0, v[74:75]
	s_waitcnt vmcnt(0)
	v_cmp_eq_f64_e64 s[0:1], 0, v[76:77]
	buffer_load_dword v74, off, s[20:23], 0 offset:168 ; 4-byte Folded Reload
	buffer_load_dword v75, off, s[20:23], 0 offset:172 ; 4-byte Folded Reload
	buffer_load_dword v76, off, s[20:23], 0 offset:176 ; 4-byte Folded Reload
	buffer_load_dword v77, off, s[20:23], 0 offset:180 ; 4-byte Folded Reload
	s_and_b64 s[4:5], vcc, s[0:1]
	v_cndmask_b32_e64 v1, 0, 1, s[4:5]
	s_waitcnt vmcnt(2)
	v_cmp_neq_f64_e32 vcc, 0, v[74:75]
	s_waitcnt vmcnt(0)
	v_cmp_neq_f64_e64 s[0:1], 0, v[76:77]
	buffer_load_dword v74, off, s[20:23], 0 offset:184 ; 4-byte Folded Reload
	buffer_load_dword v75, off, s[20:23], 0 offset:188 ; 4-byte Folded Reload
	;; [unrolled: 1-line block ×4, first 2 shown]
	s_or_b64 s[0:1], vcc, s[0:1]
	s_or_b64 vcc, s[0:1], s[4:5]
	v_cndmask_b32_e32 v1, 2, v1, vcc
	s_waitcnt vmcnt(2)
	v_cmp_eq_f64_e32 vcc, 0, v[74:75]
	s_waitcnt vmcnt(0)
	v_cmp_eq_f64_e64 s[0:1], 0, v[76:77]
	s_and_b64 s[0:1], vcc, s[0:1]
	v_cmp_eq_u32_e32 vcc, 0, v1
	s_and_b64 s[0:1], s[0:1], vcc
	v_cndmask_b32_e64 v1, v1, 3, s[0:1]
	v_cmp_eq_f64_e32 vcc, 0, v[78:79]
	v_cmp_eq_f64_e64 s[0:1], 0, v[80:81]
	s_and_b64 s[0:1], vcc, s[0:1]
	v_cmp_eq_u32_e32 vcc, 0, v1
	s_and_b64 s[0:1], s[0:1], vcc
	v_cndmask_b32_e64 v1, v1, 4, s[0:1]
	v_cmp_eq_f64_e32 vcc, 0, v[82:83]
	;; [unrolled: 6-line block ×12, first 2 shown]
	v_cmp_eq_f64_e64 s[0:1], 0, v[68:69]
	v_lshlrev_b64 v[66:67], 2, v[70:71]
	v_mov_b32_e32 v68, s11
	s_and_b64 s[0:1], vcc, s[0:1]
	v_cmp_eq_u32_e32 vcc, 0, v1
	s_and_b64 s[0:1], s[0:1], vcc
	v_cndmask_b32_e64 v1, v1, 15, s[0:1]
	v_cmp_eq_f64_e32 vcc, 0, v[118:119]
	v_cmp_eq_f64_e64 s[0:1], 0, v[120:121]
	s_and_b64 s[0:1], vcc, s[0:1]
	v_cmp_eq_u32_e32 vcc, 0, v1
	s_and_b64 s[0:1], s[0:1], vcc
	v_add_co_u32_e32 v66, vcc, s10, v66
	v_addc_co_u32_e32 v67, vcc, v68, v67, vcc
	global_load_dword v68, v[66:67], off
	v_cndmask_b32_e64 v1, v1, 16, s[0:1]
	v_cmp_ne_u32_e64 s[0:1], 0, v1
	s_waitcnt vmcnt(0)
	v_cmp_eq_u32_e32 vcc, 0, v68
	s_and_b64 s[0:1], vcc, s[0:1]
	s_and_b64 exec, exec, s[0:1]
	s_cbranch_execz .LBB31_146
; %bb.145:
	v_add_u32_e32 v1, s13, v1
	global_store_dword v[66:67], v1, off
.LBB31_146:
	s_or_b64 exec, exec, s[2:3]
	buffer_load_dword v58, off, s[20:23], 0 offset:16 ; 4-byte Folded Reload
	buffer_load_dword v59, off, s[20:23], 0 offset:20 ; 4-byte Folded Reload
	;; [unrolled: 1-line block ×4, first 2 shown]
	v_cmp_lt_u32_e32 vcc, 15, v0
	v_mul_f64 v[66:67], v[118:119], v[36:37]
	v_mul_f64 v[68:69], v[120:121], v[36:37]
	s_waitcnt vmcnt(0)
	global_store_dwordx4 v[72:73], v[58:61], off
	buffer_load_dword v62, off, s[20:23], 0 offset:144 ; 4-byte Folded Reload
	buffer_load_dword v63, off, s[20:23], 0 offset:148 ; 4-byte Folded Reload
	s_nop 0
	buffer_load_dword v58, off, s[20:23], 0 ; 4-byte Folded Reload
	buffer_load_dword v59, off, s[20:23], 0 offset:4 ; 4-byte Folded Reload
	buffer_load_dword v60, off, s[20:23], 0 offset:8 ; 4-byte Folded Reload
	;; [unrolled: 1-line block ×3, first 2 shown]
	s_waitcnt vmcnt(0)
	global_store_dwordx4 v[62:63], v[58:61], off
	buffer_load_dword v58, off, s[20:23], 0 offset:32 ; 4-byte Folded Reload
	s_nop 0
	buffer_load_dword v59, off, s[20:23], 0 offset:36 ; 4-byte Folded Reload
	s_waitcnt vmcnt(0)
	global_store_dwordx4 v[58:59], v[54:57], off
	buffer_load_dword v56, off, s[20:23], 0 offset:40 ; 4-byte Folded Reload
	s_nop 0
	buffer_load_dword v57, off, s[20:23], 0 offset:44 ; 4-byte Folded Reload
	v_fma_f64 v[54:55], v[120:121], v[34:35], v[66:67]
	s_waitcnt vmcnt(0)
	global_store_dwordx4 v[56:57], v[50:53], off
	buffer_load_dword v52, off, s[20:23], 0 offset:48 ; 4-byte Folded Reload
	s_nop 0
	buffer_load_dword v53, off, s[20:23], 0 offset:52 ; 4-byte Folded Reload
	v_fma_f64 v[50:51], v[118:119], v[34:35], -v[68:69]
	s_waitcnt vmcnt(0)
	global_store_dwordx4 v[52:53], v[46:49], off
	buffer_load_dword v46, off, s[20:23], 0 offset:56 ; 4-byte Folded Reload
	s_nop 0
	buffer_load_dword v47, off, s[20:23], 0 offset:60 ; 4-byte Folded Reload
	s_waitcnt vmcnt(0)
	global_store_dwordx4 v[46:47], v[42:45], off
	buffer_load_dword v42, off, s[20:23], 0 offset:64 ; 4-byte Folded Reload
	s_nop 0
	buffer_load_dword v43, off, s[20:23], 0 offset:68 ; 4-byte Folded Reload
	;; [unrolled: 5-line block ×3, first 2 shown]
	s_waitcnt vmcnt(0)
	global_store_dwordx4 v[38:39], v[30:33], off
	buffer_load_dword v0, off, s[20:23], 0 offset:80 ; 4-byte Folded Reload
	buffer_load_dword v1, off, s[20:23], 0 offset:84 ; 4-byte Folded Reload
	v_cndmask_b32_e32 v33, v37, v55, vcc
	v_cndmask_b32_e32 v32, v36, v54, vcc
	;; [unrolled: 1-line block ×4, first 2 shown]
	s_waitcnt vmcnt(0)
	global_store_dwordx4 v[0:1], v[26:29], off
	buffer_load_dword v0, off, s[20:23], 0 offset:88 ; 4-byte Folded Reload
	s_nop 0
	buffer_load_dword v1, off, s[20:23], 0 offset:92 ; 4-byte Folded Reload
	s_waitcnt vmcnt(0)
	global_store_dwordx4 v[0:1], v[22:25], off
	buffer_load_dword v0, off, s[20:23], 0 offset:96 ; 4-byte Folded Reload
	s_nop 0
	buffer_load_dword v1, off, s[20:23], 0 offset:100 ; 4-byte Folded Reload
	;; [unrolled: 5-line block ×7, first 2 shown]
	s_waitcnt vmcnt(0)
	global_store_dwordx4 v[0:1], v[30:33], off
.LBB31_147:
	s_endpgm
	.section	.rodata,"a",@progbits
	.p2align	6, 0x0
	.amdhsa_kernel _ZN9rocsolver6v33100L23getf2_npvt_small_kernelILi16E19rocblas_complex_numIdEiiPS3_EEvT1_T3_lS5_lPT2_S5_S5_
		.amdhsa_group_segment_fixed_size 0
		.amdhsa_private_segment_fixed_size 204
		.amdhsa_kernarg_size 312
		.amdhsa_user_sgpr_count 6
		.amdhsa_user_sgpr_private_segment_buffer 1
		.amdhsa_user_sgpr_dispatch_ptr 0
		.amdhsa_user_sgpr_queue_ptr 0
		.amdhsa_user_sgpr_kernarg_segment_ptr 1
		.amdhsa_user_sgpr_dispatch_id 0
		.amdhsa_user_sgpr_flat_scratch_init 0
		.amdhsa_user_sgpr_private_segment_size 0
		.amdhsa_uses_dynamic_stack 0
		.amdhsa_system_sgpr_private_segment_wavefront_offset 1
		.amdhsa_system_sgpr_workgroup_id_x 1
		.amdhsa_system_sgpr_workgroup_id_y 1
		.amdhsa_system_sgpr_workgroup_id_z 0
		.amdhsa_system_sgpr_workgroup_info 0
		.amdhsa_system_vgpr_workitem_id 1
		.amdhsa_next_free_vgpr 128
		.amdhsa_next_free_sgpr 24
		.amdhsa_reserve_vcc 1
		.amdhsa_reserve_flat_scratch 0
		.amdhsa_float_round_mode_32 0
		.amdhsa_float_round_mode_16_64 0
		.amdhsa_float_denorm_mode_32 3
		.amdhsa_float_denorm_mode_16_64 3
		.amdhsa_dx10_clamp 1
		.amdhsa_ieee_mode 1
		.amdhsa_fp16_overflow 0
		.amdhsa_exception_fp_ieee_invalid_op 0
		.amdhsa_exception_fp_denorm_src 0
		.amdhsa_exception_fp_ieee_div_zero 0
		.amdhsa_exception_fp_ieee_overflow 0
		.amdhsa_exception_fp_ieee_underflow 0
		.amdhsa_exception_fp_ieee_inexact 0
		.amdhsa_exception_int_div_zero 0
	.end_amdhsa_kernel
	.section	.text._ZN9rocsolver6v33100L23getf2_npvt_small_kernelILi16E19rocblas_complex_numIdEiiPS3_EEvT1_T3_lS5_lPT2_S5_S5_,"axG",@progbits,_ZN9rocsolver6v33100L23getf2_npvt_small_kernelILi16E19rocblas_complex_numIdEiiPS3_EEvT1_T3_lS5_lPT2_S5_S5_,comdat
.Lfunc_end31:
	.size	_ZN9rocsolver6v33100L23getf2_npvt_small_kernelILi16E19rocblas_complex_numIdEiiPS3_EEvT1_T3_lS5_lPT2_S5_S5_, .Lfunc_end31-_ZN9rocsolver6v33100L23getf2_npvt_small_kernelILi16E19rocblas_complex_numIdEiiPS3_EEvT1_T3_lS5_lPT2_S5_S5_
                                        ; -- End function
	.set _ZN9rocsolver6v33100L23getf2_npvt_small_kernelILi16E19rocblas_complex_numIdEiiPS3_EEvT1_T3_lS5_lPT2_S5_S5_.num_vgpr, 128
	.set _ZN9rocsolver6v33100L23getf2_npvt_small_kernelILi16E19rocblas_complex_numIdEiiPS3_EEvT1_T3_lS5_lPT2_S5_S5_.num_agpr, 0
	.set _ZN9rocsolver6v33100L23getf2_npvt_small_kernelILi16E19rocblas_complex_numIdEiiPS3_EEvT1_T3_lS5_lPT2_S5_S5_.numbered_sgpr, 24
	.set _ZN9rocsolver6v33100L23getf2_npvt_small_kernelILi16E19rocblas_complex_numIdEiiPS3_EEvT1_T3_lS5_lPT2_S5_S5_.num_named_barrier, 0
	.set _ZN9rocsolver6v33100L23getf2_npvt_small_kernelILi16E19rocblas_complex_numIdEiiPS3_EEvT1_T3_lS5_lPT2_S5_S5_.private_seg_size, 204
	.set _ZN9rocsolver6v33100L23getf2_npvt_small_kernelILi16E19rocblas_complex_numIdEiiPS3_EEvT1_T3_lS5_lPT2_S5_S5_.uses_vcc, 1
	.set _ZN9rocsolver6v33100L23getf2_npvt_small_kernelILi16E19rocblas_complex_numIdEiiPS3_EEvT1_T3_lS5_lPT2_S5_S5_.uses_flat_scratch, 0
	.set _ZN9rocsolver6v33100L23getf2_npvt_small_kernelILi16E19rocblas_complex_numIdEiiPS3_EEvT1_T3_lS5_lPT2_S5_S5_.has_dyn_sized_stack, 0
	.set _ZN9rocsolver6v33100L23getf2_npvt_small_kernelILi16E19rocblas_complex_numIdEiiPS3_EEvT1_T3_lS5_lPT2_S5_S5_.has_recursion, 0
	.set _ZN9rocsolver6v33100L23getf2_npvt_small_kernelILi16E19rocblas_complex_numIdEiiPS3_EEvT1_T3_lS5_lPT2_S5_S5_.has_indirect_call, 0
	.section	.AMDGPU.csdata,"",@progbits
; Kernel info:
; codeLenInByte = 20468
; TotalNumSgprs: 28
; NumVgprs: 128
; ScratchSize: 204
; MemoryBound: 1
; FloatMode: 240
; IeeeMode: 1
; LDSByteSize: 0 bytes/workgroup (compile time only)
; SGPRBlocks: 3
; VGPRBlocks: 31
; NumSGPRsForWavesPerEU: 28
; NumVGPRsForWavesPerEU: 128
; Occupancy: 2
; WaveLimiterHint : 0
; COMPUTE_PGM_RSRC2:SCRATCH_EN: 1
; COMPUTE_PGM_RSRC2:USER_SGPR: 6
; COMPUTE_PGM_RSRC2:TRAP_HANDLER: 0
; COMPUTE_PGM_RSRC2:TGID_X_EN: 1
; COMPUTE_PGM_RSRC2:TGID_Y_EN: 1
; COMPUTE_PGM_RSRC2:TGID_Z_EN: 0
; COMPUTE_PGM_RSRC2:TIDIG_COMP_CNT: 1
	.section	.text._ZN9rocsolver6v33100L18getf2_small_kernelILi17E19rocblas_complex_numIdEiiPS3_EEvT1_T3_lS5_lPS5_llPT2_S5_S5_S7_l,"axG",@progbits,_ZN9rocsolver6v33100L18getf2_small_kernelILi17E19rocblas_complex_numIdEiiPS3_EEvT1_T3_lS5_lPS5_llPT2_S5_S5_S7_l,comdat
	.globl	_ZN9rocsolver6v33100L18getf2_small_kernelILi17E19rocblas_complex_numIdEiiPS3_EEvT1_T3_lS5_lPS5_llPT2_S5_S5_S7_l ; -- Begin function _ZN9rocsolver6v33100L18getf2_small_kernelILi17E19rocblas_complex_numIdEiiPS3_EEvT1_T3_lS5_lPS5_llPT2_S5_S5_S7_l
	.p2align	8
	.type	_ZN9rocsolver6v33100L18getf2_small_kernelILi17E19rocblas_complex_numIdEiiPS3_EEvT1_T3_lS5_lPS5_llPT2_S5_S5_S7_l,@function
_ZN9rocsolver6v33100L18getf2_small_kernelILi17E19rocblas_complex_numIdEiiPS3_EEvT1_T3_lS5_lPS5_llPT2_S5_S5_S7_l: ; @_ZN9rocsolver6v33100L18getf2_small_kernelILi17E19rocblas_complex_numIdEiiPS3_EEvT1_T3_lS5_lPS5_llPT2_S5_S5_S7_l
; %bb.0:
	s_load_dword s0, s[4:5], 0x6c
	s_load_dwordx2 s[16:17], s[4:5], 0x48
	s_waitcnt lgkmcnt(0)
	s_lshr_b32 s0, s0, 16
	s_mul_i32 s7, s7, s0
	v_add_u32_e32 v74, s7, v1
	v_cmp_gt_i32_e32 vcc, s16, v74
	s_and_saveexec_b64 s[0:1], vcc
	s_cbranch_execz .LBB32_358
; %bb.1:
	s_load_dwordx4 s[0:3], s[4:5], 0x50
	v_mov_b32_e32 v76, 0
	v_ashrrev_i32_e32 v75, 31, v74
	v_mov_b32_e32 v77, 0
	s_waitcnt lgkmcnt(0)
	s_cmp_eq_u64 s[0:1], 0
	s_cselect_b64 s[18:19], -1, 0
	s_and_b64 vcc, exec, s[18:19]
	s_cbranch_vccnz .LBB32_3
; %bb.2:
	v_mul_lo_u32 v4, s3, v74
	v_mul_lo_u32 v5, s2, v75
	v_mad_u64_u32 v[2:3], s[2:3], s2, v74, 0
	v_add3_u32 v3, v3, v5, v4
	v_lshlrev_b64 v[2:3], 2, v[2:3]
	v_mov_b32_e32 v4, s1
	v_add_co_u32_e32 v76, vcc, s0, v2
	v_addc_co_u32_e32 v77, vcc, v4, v3, vcc
.LBB32_3:
	s_load_dwordx8 s[8:15], s[4:5], 0x20
	s_load_dwordx4 s[0:3], s[4:5], 0x8
	v_lshlrev_b32_e32 v80, 4, v0
	s_load_dwordx2 s[20:21], s[4:5], 0x40
	s_waitcnt lgkmcnt(0)
	v_mul_lo_u32 v4, s9, v74
	v_mul_lo_u32 v5, s8, v75
	v_mad_u64_u32 v[2:3], s[6:7], s8, v74, 0
	s_load_dword s6, s[4:5], 0x18
	s_load_dword s22, s[4:5], 0x0
	v_mov_b32_e32 v6, s1
	v_add3_u32 v3, v3, v5, v4
	v_lshlrev_b64 v[2:3], 4, v[2:3]
	s_waitcnt lgkmcnt(0)
	s_add_i32 s16, s6, s6
	v_add_co_u32_e32 v2, vcc, s0, v2
	v_addc_co_u32_e32 v3, vcc, v6, v3, vcc
	s_lshl_b64 s[0:1], s[2:3], 4
	v_mov_b32_e32 v4, s1
	v_add_co_u32_e32 v81, vcc, s0, v2
	v_add_u32_e32 v2, s16, v0
	v_addc_co_u32_e32 v82, vcc, v3, v4, vcc
	v_ashrrev_i32_e32 v3, 31, v2
	v_lshlrev_b64 v[3:4], 4, v[2:3]
	v_add_u32_e32 v5, s6, v2
	v_ashrrev_i32_e32 v6, 31, v5
	v_add_co_u32_e32 v3, vcc, v81, v3
	v_lshlrev_b64 v[6:7], 4, v[5:6]
	v_add_u32_e32 v8, s6, v5
	v_addc_co_u32_e32 v4, vcc, v82, v4, vcc
	v_ashrrev_i32_e32 v9, 31, v8
	v_add_co_u32_e32 v6, vcc, v81, v6
	v_lshlrev_b64 v[9:10], 4, v[8:9]
	v_add_u32_e32 v11, s6, v8
	v_addc_co_u32_e32 v7, vcc, v82, v7, vcc
	;; [unrolled: 5-line block ×7, first 2 shown]
	v_ashrrev_i32_e32 v27, 31, v26
	v_add_co_u32_e32 v24, vcc, v81, v24
	v_lshlrev_b64 v[27:28], 4, v[26:27]
	v_addc_co_u32_e32 v25, vcc, v82, v25, vcc
	v_add_u32_e32 v26, s6, v26
	v_add_co_u32_e32 v66, vcc, v81, v27
	v_ashrrev_i32_e32 v27, 31, v26
	v_addc_co_u32_e32 v67, vcc, v82, v28, vcc
	v_lshlrev_b64 v[27:28], 4, v[26:27]
	v_add_u32_e32 v26, s6, v26
	v_add_co_u32_e32 v68, vcc, v81, v27
	v_ashrrev_i32_e32 v27, 31, v26
	v_addc_co_u32_e32 v69, vcc, v82, v28, vcc
	v_lshlrev_b64 v[27:28], 4, v[26:27]
	;; [unrolled: 5-line block ×5, first 2 shown]
	v_add_u32_e32 v26, s6, v26
	v_add_co_u32_e32 v83, vcc, v81, v27
	v_ashrrev_i32_e32 v27, 31, v26
	v_lshlrev_b64 v[26:27], 4, v[26:27]
	v_addc_co_u32_e32 v84, vcc, v82, v28, vcc
	v_add_co_u32_e32 v85, vcc, v81, v26
	v_addc_co_u32_e32 v86, vcc, v82, v27, vcc
	v_add_co_u32_e32 v26, vcc, v81, v80
	s_ashr_i32 s7, s6, 31
	v_addc_co_u32_e32 v27, vcc, 0, v82, vcc
	s_lshl_b64 s[8:9], s[6:7], 4
	v_mov_b32_e32 v2, s9
	v_add_co_u32_e32 v28, vcc, s8, v26
	v_addc_co_u32_e32 v29, vcc, v27, v2, vcc
	global_load_dwordx4 v[62:65], v[26:27], off
	global_load_dwordx4 v[58:61], v[28:29], off
	;; [unrolled: 1-line block ×5, first 2 shown]
                                        ; kill: killed $vgpr6 killed $vgpr7
                                        ; kill: killed $vgpr26 killed $vgpr27
                                        ; kill: killed $vgpr3 killed $vgpr4
                                        ; kill: killed $vgpr28 killed $vgpr29
                                        ; kill: killed $vgpr9 killed $vgpr10
	global_load_dwordx4 v[42:45], v[12:13], off
	global_load_dwordx4 v[38:41], v[15:16], off
                                        ; kill: killed $vgpr12 killed $vgpr13
                                        ; kill: killed $vgpr15 killed $vgpr16
	global_load_dwordx4 v[34:37], v[18:19], off
	global_load_dwordx4 v[30:33], v[21:22], off
	;; [unrolled: 1-line block ×3, first 2 shown]
	s_nop 0
	global_load_dwordx4 v[22:25], v[66:67], off
	global_load_dwordx4 v[18:21], v[68:69], off
	;; [unrolled: 1-line block ×6, first 2 shown]
	s_nop 0
	global_load_dwordx4 v[66:69], v[85:86], off
	s_max_i32 s0, s22, 17
	v_mul_lo_u32 v78, s0, v1
	s_cmp_lt_i32 s22, 2
	v_lshl_add_u32 v1, v78, 4, 0
	v_add_u32_e32 v70, v1, v80
	v_lshlrev_b32_e32 v84, 4, v78
	v_mov_b32_e32 v78, 0
	s_waitcnt vmcnt(16)
	ds_write2_b64 v70, v[62:63], v[64:65] offset1:1
	s_waitcnt vmcnt(0) lgkmcnt(0)
	s_barrier
	ds_read2_b64 v[70:73], v1 offset1:1
	s_cbranch_scc1 .LBB32_6
; %bb.4:
	v_add3_u32 v79, v84, 0, 16
	s_mov_b32 s7, 1
	v_mov_b32_e32 v78, 0
.LBB32_5:                               ; =>This Inner Loop Header: Depth=1
	ds_read2_b64 v[85:88], v79 offset1:1
	s_waitcnt lgkmcnt(1)
	v_cmp_gt_f64_e32 vcc, 0, v[72:73]
	v_cmp_gt_f64_e64 s[0:1], 0, v[70:71]
	v_xor_b32_e32 v80, 0x80000000, v71
	v_xor_b32_e32 v83, 0x80000000, v73
	s_waitcnt lgkmcnt(0)
	v_cmp_gt_f64_e64 s[2:3], 0, v[85:86]
	v_cmp_gt_f64_e64 s[4:5], 0, v[87:88]
	v_xor_b32_e32 v94, 0x80000000, v86
	v_xor_b32_e32 v96, 0x80000000, v88
	v_mov_b32_e32 v89, v70
	v_mov_b32_e32 v91, v72
	;; [unrolled: 1-line block ×4, first 2 shown]
	v_cndmask_b32_e64 v90, v71, v80, s[0:1]
	v_cndmask_b32_e32 v92, v73, v83, vcc
	v_cndmask_b32_e64 v94, v86, v94, s[2:3]
	v_cndmask_b32_e64 v96, v88, v96, s[4:5]
	v_add_f64 v[89:90], v[89:90], v[91:92]
	v_add_f64 v[91:92], v[93:94], v[95:96]
	v_mov_b32_e32 v80, s7
	s_add_i32 s7, s7, 1
	v_add_u32_e32 v79, 16, v79
	s_cmp_eq_u32 s22, s7
	v_cmp_lt_f64_e32 vcc, v[89:90], v[91:92]
	v_cndmask_b32_e32 v71, v71, v86, vcc
	v_cndmask_b32_e32 v70, v70, v85, vcc
	;; [unrolled: 1-line block ×5, first 2 shown]
	s_cbranch_scc0 .LBB32_5
.LBB32_6:
	s_waitcnt lgkmcnt(0)
	v_cmp_neq_f64_e32 vcc, 0, v[70:71]
	v_cmp_neq_f64_e64 s[0:1], 0, v[72:73]
	v_mov_b32_e32 v83, 1
	v_mov_b32_e32 v85, 1
	s_or_b64 s[2:3], vcc, s[0:1]
	s_and_saveexec_b64 s[0:1], s[2:3]
	s_cbranch_execz .LBB32_12
; %bb.7:
	v_cmp_ngt_f64_e64 s[2:3], |v[70:71]|, |v[72:73]|
	s_and_saveexec_b64 s[4:5], s[2:3]
	s_xor_b64 s[2:3], exec, s[4:5]
	s_cbranch_execz .LBB32_9
; %bb.8:
	v_div_scale_f64 v[79:80], s[4:5], v[72:73], v[72:73], v[70:71]
	v_rcp_f64_e32 v[85:86], v[79:80]
	v_fma_f64 v[87:88], -v[79:80], v[85:86], 1.0
	v_fma_f64 v[85:86], v[85:86], v[87:88], v[85:86]
	v_div_scale_f64 v[87:88], vcc, v[70:71], v[72:73], v[70:71]
	v_fma_f64 v[89:90], -v[79:80], v[85:86], 1.0
	v_fma_f64 v[85:86], v[85:86], v[89:90], v[85:86]
	v_mul_f64 v[89:90], v[87:88], v[85:86]
	v_fma_f64 v[79:80], -v[79:80], v[89:90], v[87:88]
	v_div_fmas_f64 v[79:80], v[79:80], v[85:86], v[89:90]
	v_div_fixup_f64 v[79:80], v[79:80], v[72:73], v[70:71]
	v_fma_f64 v[70:71], v[70:71], v[79:80], v[72:73]
	v_div_scale_f64 v[72:73], s[4:5], v[70:71], v[70:71], 1.0
	v_div_scale_f64 v[89:90], vcc, 1.0, v[70:71], 1.0
	v_rcp_f64_e32 v[85:86], v[72:73]
	v_fma_f64 v[87:88], -v[72:73], v[85:86], 1.0
	v_fma_f64 v[85:86], v[85:86], v[87:88], v[85:86]
	v_fma_f64 v[87:88], -v[72:73], v[85:86], 1.0
	v_fma_f64 v[85:86], v[85:86], v[87:88], v[85:86]
	v_mul_f64 v[87:88], v[89:90], v[85:86]
	v_fma_f64 v[72:73], -v[72:73], v[87:88], v[89:90]
	v_div_fmas_f64 v[72:73], v[72:73], v[85:86], v[87:88]
	v_div_fixup_f64 v[72:73], v[72:73], v[70:71], 1.0
	v_mul_f64 v[70:71], v[79:80], v[72:73]
	v_xor_b32_e32 v73, 0x80000000, v73
.LBB32_9:
	s_andn2_saveexec_b64 s[2:3], s[2:3]
	s_cbranch_execz .LBB32_11
; %bb.10:
	v_div_scale_f64 v[79:80], s[4:5], v[70:71], v[70:71], v[72:73]
	v_rcp_f64_e32 v[85:86], v[79:80]
	v_fma_f64 v[87:88], -v[79:80], v[85:86], 1.0
	v_fma_f64 v[85:86], v[85:86], v[87:88], v[85:86]
	v_div_scale_f64 v[87:88], vcc, v[72:73], v[70:71], v[72:73]
	v_fma_f64 v[89:90], -v[79:80], v[85:86], 1.0
	v_fma_f64 v[85:86], v[85:86], v[89:90], v[85:86]
	v_mul_f64 v[89:90], v[87:88], v[85:86]
	v_fma_f64 v[79:80], -v[79:80], v[89:90], v[87:88]
	v_div_fmas_f64 v[79:80], v[79:80], v[85:86], v[89:90]
	v_div_fixup_f64 v[79:80], v[79:80], v[70:71], v[72:73]
	v_fma_f64 v[70:71], v[72:73], v[79:80], v[70:71]
	v_div_scale_f64 v[72:73], s[4:5], v[70:71], v[70:71], 1.0
	v_div_scale_f64 v[89:90], vcc, 1.0, v[70:71], 1.0
	v_rcp_f64_e32 v[85:86], v[72:73]
	v_fma_f64 v[87:88], -v[72:73], v[85:86], 1.0
	v_fma_f64 v[85:86], v[85:86], v[87:88], v[85:86]
	v_fma_f64 v[87:88], -v[72:73], v[85:86], 1.0
	v_fma_f64 v[85:86], v[85:86], v[87:88], v[85:86]
	v_mul_f64 v[87:88], v[89:90], v[85:86]
	v_fma_f64 v[72:73], -v[72:73], v[87:88], v[89:90]
	v_div_fmas_f64 v[72:73], v[72:73], v[85:86], v[87:88]
	v_div_fixup_f64 v[70:71], v[72:73], v[70:71], 1.0
	v_mul_f64 v[72:73], v[79:80], -v[70:71]
.LBB32_11:
	s_or_b64 exec, exec, s[2:3]
	v_mov_b32_e32 v85, 0
	v_mov_b32_e32 v83, 2
.LBB32_12:
	s_or_b64 exec, exec, s[0:1]
	v_cmp_ne_u32_e32 vcc, v0, v78
	s_and_saveexec_b64 s[0:1], vcc
	s_xor_b64 s[0:1], exec, s[0:1]
	s_cbranch_execz .LBB32_18
; %bb.13:
	v_cmp_eq_u32_e32 vcc, 0, v0
	s_and_saveexec_b64 s[2:3], vcc
	s_cbranch_execz .LBB32_17
; %bb.14:
	v_cmp_ne_u32_e32 vcc, 0, v78
	s_xor_b64 s[4:5], s[18:19], -1
	s_and_b64 s[24:25], s[4:5], vcc
	s_and_saveexec_b64 s[4:5], s[24:25]
	s_cbranch_execz .LBB32_16
; %bb.15:
	v_ashrrev_i32_e32 v79, 31, v78
	v_lshlrev_b64 v[79:80], 2, v[78:79]
	v_add_co_u32_e32 v79, vcc, v76, v79
	v_addc_co_u32_e32 v80, vcc, v77, v80, vcc
	global_load_dword v0, v[79:80], off
	global_load_dword v86, v[76:77], off
	s_waitcnt vmcnt(1)
	global_store_dword v[76:77], v0, off
	s_waitcnt vmcnt(1)
	global_store_dword v[79:80], v86, off
.LBB32_16:
	s_or_b64 exec, exec, s[4:5]
	v_mov_b32_e32 v0, v78
.LBB32_17:
	s_or_b64 exec, exec, s[2:3]
.LBB32_18:
	s_or_saveexec_b64 s[0:1], s[0:1]
	v_mov_b32_e32 v80, v0
	s_xor_b64 exec, exec, s[0:1]
	s_cbranch_execz .LBB32_20
; %bb.19:
	v_mov_b32_e32 v80, 0
	ds_write2_b64 v1, v[58:59], v[60:61] offset0:2 offset1:3
	ds_write2_b64 v1, v[54:55], v[56:57] offset0:4 offset1:5
	;; [unrolled: 1-line block ×16, first 2 shown]
.LBB32_20:
	s_or_b64 exec, exec, s[0:1]
	v_cmp_lt_i32_e32 vcc, 0, v80
	s_waitcnt vmcnt(0) lgkmcnt(0)
	s_barrier
	s_and_saveexec_b64 s[0:1], vcc
	s_cbranch_execz .LBB32_22
; %bb.21:
	v_mul_f64 v[78:79], v[70:71], v[64:65]
	v_mul_f64 v[110:111], v[72:73], v[64:65]
	ds_read2_b64 v[86:89], v1 offset0:2 offset1:3
	ds_read2_b64 v[90:93], v1 offset0:4 offset1:5
	;; [unrolled: 1-line block ×6, first 2 shown]
	v_fma_f64 v[64:65], v[72:73], v[62:63], v[78:79]
	v_fma_f64 v[62:63], v[70:71], v[62:63], -v[110:111]
	s_waitcnt lgkmcnt(5)
	v_mul_f64 v[70:71], v[88:89], v[64:65]
	v_mul_f64 v[72:73], v[86:87], v[64:65]
	s_waitcnt lgkmcnt(4)
	v_mul_f64 v[110:111], v[90:91], v[64:65]
	s_waitcnt lgkmcnt(3)
	v_mul_f64 v[112:113], v[96:97], v[64:65]
	v_mul_f64 v[78:79], v[92:93], v[64:65]
	;; [unrolled: 1-line block ×3, first 2 shown]
	s_waitcnt lgkmcnt(2)
	v_mul_f64 v[116:117], v[100:101], v[64:65]
	v_mul_f64 v[118:119], v[98:99], v[64:65]
	v_fma_f64 v[70:71], v[86:87], v[62:63], -v[70:71]
	v_fma_f64 v[72:73], v[88:89], v[62:63], v[72:73]
	v_fma_f64 v[86:87], v[92:93], v[62:63], v[110:111]
	v_fma_f64 v[88:89], v[94:95], v[62:63], -v[112:113]
	v_fma_f64 v[78:79], v[90:91], v[62:63], -v[78:79]
	s_waitcnt lgkmcnt(1)
	v_mul_f64 v[120:121], v[104:105], v[64:65]
	v_fma_f64 v[90:91], v[96:97], v[62:63], v[114:115]
	v_fma_f64 v[92:93], v[98:99], v[62:63], -v[116:117]
	v_fma_f64 v[94:95], v[100:101], v[62:63], v[118:119]
	v_add_f64 v[58:59], v[58:59], -v[70:71]
	v_add_f64 v[60:61], v[60:61], -v[72:73]
	;; [unrolled: 1-line block ×4, first 2 shown]
	ds_read2_b64 v[70:73], v1 offset0:14 offset1:15
	ds_read2_b64 v[86:89], v1 offset0:16 offset1:17
	v_add_f64 v[54:55], v[54:55], -v[78:79]
	v_mul_f64 v[78:79], v[102:103], v[64:65]
	v_add_f64 v[52:53], v[52:53], -v[90:91]
	v_add_f64 v[46:47], v[46:47], -v[92:93]
	s_waitcnt lgkmcnt(0)
	v_mul_f64 v[100:101], v[88:89], v[64:65]
	v_add_f64 v[48:49], v[48:49], -v[94:95]
	v_mul_f64 v[90:91], v[108:109], v[64:65]
	v_mul_f64 v[92:93], v[106:107], v[64:65]
	v_fma_f64 v[94:95], v[102:103], v[62:63], -v[120:121]
	v_mul_f64 v[96:97], v[72:73], v[64:65]
	v_mul_f64 v[98:99], v[70:71], v[64:65]
	v_fma_f64 v[78:79], v[104:105], v[62:63], v[78:79]
	v_mul_f64 v[102:103], v[86:87], v[64:65]
	v_fma_f64 v[86:87], v[86:87], v[62:63], -v[100:101]
	v_fma_f64 v[90:91], v[106:107], v[62:63], -v[90:91]
	v_fma_f64 v[92:93], v[108:109], v[62:63], v[92:93]
	v_add_f64 v[42:43], v[42:43], -v[94:95]
	v_fma_f64 v[94:95], v[70:71], v[62:63], -v[96:97]
	v_fma_f64 v[96:97], v[72:73], v[62:63], v[98:99]
	ds_read2_b64 v[70:73], v1 offset0:18 offset1:19
	v_add_f64 v[44:45], v[44:45], -v[78:79]
	v_fma_f64 v[78:79], v[88:89], v[62:63], v[102:103]
	v_add_f64 v[30:31], v[30:31], -v[86:87]
	ds_read2_b64 v[86:89], v1 offset0:20 offset1:21
	s_waitcnt lgkmcnt(1)
	v_mul_f64 v[98:99], v[72:73], v[64:65]
	v_add_f64 v[38:39], v[38:39], -v[90:91]
	v_add_f64 v[40:41], v[40:41], -v[92:93]
	;; [unrolled: 1-line block ×4, first 2 shown]
	ds_read2_b64 v[90:93], v1 offset0:22 offset1:23
	ds_read2_b64 v[94:97], v1 offset0:24 offset1:25
	v_add_f64 v[32:33], v[32:33], -v[78:79]
	v_mul_f64 v[78:79], v[70:71], v[64:65]
	s_waitcnt lgkmcnt(2)
	v_mul_f64 v[100:101], v[88:89], v[64:65]
	v_mul_f64 v[102:103], v[86:87], v[64:65]
	s_waitcnt lgkmcnt(1)
	v_mul_f64 v[104:105], v[92:93], v[64:65]
	v_fma_f64 v[70:71], v[70:71], v[62:63], -v[98:99]
	v_mul_f64 v[98:99], v[90:91], v[64:65]
	s_waitcnt lgkmcnt(0)
	v_mul_f64 v[106:107], v[96:97], v[64:65]
	v_mul_f64 v[108:109], v[94:95], v[64:65]
	v_fma_f64 v[72:73], v[72:73], v[62:63], v[78:79]
	v_fma_f64 v[78:79], v[86:87], v[62:63], -v[100:101]
	v_fma_f64 v[86:87], v[88:89], v[62:63], v[102:103]
	v_fma_f64 v[88:89], v[90:91], v[62:63], -v[104:105]
	v_add_f64 v[26:27], v[26:27], -v[70:71]
	v_fma_f64 v[90:91], v[92:93], v[62:63], v[98:99]
	v_fma_f64 v[92:93], v[94:95], v[62:63], -v[106:107]
	v_fma_f64 v[94:95], v[96:97], v[62:63], v[108:109]
	v_add_f64 v[28:29], v[28:29], -v[72:73]
	ds_read2_b64 v[70:73], v1 offset0:26 offset1:27
	v_add_f64 v[24:25], v[24:25], -v[86:87]
	v_add_f64 v[18:19], v[18:19], -v[88:89]
	ds_read2_b64 v[86:89], v1 offset0:28 offset1:29
	v_add_f64 v[20:21], v[20:21], -v[90:91]
	v_add_f64 v[14:15], v[14:15], -v[92:93]
	;; [unrolled: 1-line block ×3, first 2 shown]
	ds_read2_b64 v[90:93], v1 offset0:30 offset1:31
	ds_read2_b64 v[94:97], v1 offset0:32 offset1:33
	v_add_f64 v[22:23], v[22:23], -v[78:79]
	s_waitcnt lgkmcnt(3)
	v_mul_f64 v[78:79], v[72:73], v[64:65]
	v_mul_f64 v[98:99], v[70:71], v[64:65]
	s_waitcnt lgkmcnt(2)
	v_mul_f64 v[100:101], v[88:89], v[64:65]
	v_mul_f64 v[102:103], v[86:87], v[64:65]
	;; [unrolled: 3-line block ×4, first 2 shown]
	v_fma_f64 v[70:71], v[70:71], v[62:63], -v[78:79]
	v_fma_f64 v[72:73], v[72:73], v[62:63], v[98:99]
	v_fma_f64 v[78:79], v[86:87], v[62:63], -v[100:101]
	v_fma_f64 v[86:87], v[88:89], v[62:63], v[102:103]
	;; [unrolled: 2-line block ×4, first 2 shown]
	v_add_f64 v[10:11], v[10:11], -v[70:71]
	v_add_f64 v[12:13], v[12:13], -v[72:73]
	;; [unrolled: 1-line block ×8, first 2 shown]
.LBB32_22:
	s_or_b64 exec, exec, s[0:1]
	v_lshl_add_u32 v70, v80, 4, v1
	s_barrier
	ds_write2_b64 v70, v[58:59], v[60:61] offset1:1
	s_waitcnt lgkmcnt(0)
	s_barrier
	ds_read2_b64 v[70:73], v1 offset0:2 offset1:3
	s_cmp_lt_i32 s22, 3
	v_mov_b32_e32 v78, 1
	s_cbranch_scc1 .LBB32_25
; %bb.23:
	v_add3_u32 v79, v84, 0, 32
	s_mov_b32 s2, 2
	v_mov_b32_e32 v78, 1
.LBB32_24:                              ; =>This Inner Loop Header: Depth=1
	s_waitcnt lgkmcnt(0)
	v_cmp_gt_f64_e32 vcc, 0, v[72:73]
	v_cmp_gt_f64_e64 s[0:1], 0, v[70:71]
	ds_read2_b64 v[86:89], v79 offset1:1
	v_xor_b32_e32 v91, 0x80000000, v71
	v_xor_b32_e32 v93, 0x80000000, v73
	v_mov_b32_e32 v90, v70
	v_mov_b32_e32 v92, v72
	s_waitcnt lgkmcnt(0)
	v_xor_b32_e32 v95, 0x80000000, v89
	v_cndmask_b32_e32 v93, v73, v93, vcc
	v_cndmask_b32_e64 v91, v71, v91, s[0:1]
	v_cmp_gt_f64_e32 vcc, 0, v[88:89]
	v_cmp_gt_f64_e64 s[0:1], 0, v[86:87]
	v_add_f64 v[90:91], v[90:91], v[92:93]
	v_xor_b32_e32 v93, 0x80000000, v87
	v_mov_b32_e32 v92, v86
	v_mov_b32_e32 v94, v88
	v_add_u32_e32 v79, 16, v79
	v_cndmask_b32_e32 v95, v89, v95, vcc
	v_cndmask_b32_e64 v93, v87, v93, s[0:1]
	v_add_f64 v[92:93], v[92:93], v[94:95]
	v_mov_b32_e32 v94, s2
	s_add_i32 s2, s2, 1
	s_cmp_lg_u32 s22, s2
	v_cmp_lt_f64_e32 vcc, v[90:91], v[92:93]
	v_cndmask_b32_e32 v71, v71, v87, vcc
	v_cndmask_b32_e32 v70, v70, v86, vcc
	;; [unrolled: 1-line block ×5, first 2 shown]
	s_cbranch_scc1 .LBB32_24
.LBB32_25:
	s_waitcnt lgkmcnt(0)
	v_cmp_neq_f64_e32 vcc, 0, v[70:71]
	v_cmp_neq_f64_e64 s[0:1], 0, v[72:73]
	s_or_b64 s[2:3], vcc, s[0:1]
	s_and_saveexec_b64 s[0:1], s[2:3]
	s_cbranch_execz .LBB32_31
; %bb.26:
	v_cmp_ngt_f64_e64 s[2:3], |v[70:71]|, |v[72:73]|
	s_and_saveexec_b64 s[4:5], s[2:3]
	s_xor_b64 s[2:3], exec, s[4:5]
	s_cbranch_execz .LBB32_28
; %bb.27:
	v_div_scale_f64 v[86:87], s[4:5], v[72:73], v[72:73], v[70:71]
	v_rcp_f64_e32 v[88:89], v[86:87]
	v_fma_f64 v[90:91], -v[86:87], v[88:89], 1.0
	v_fma_f64 v[88:89], v[88:89], v[90:91], v[88:89]
	v_div_scale_f64 v[90:91], vcc, v[70:71], v[72:73], v[70:71]
	v_fma_f64 v[92:93], -v[86:87], v[88:89], 1.0
	v_fma_f64 v[88:89], v[88:89], v[92:93], v[88:89]
	v_mul_f64 v[92:93], v[90:91], v[88:89]
	v_fma_f64 v[86:87], -v[86:87], v[92:93], v[90:91]
	v_div_fmas_f64 v[86:87], v[86:87], v[88:89], v[92:93]
	v_div_fixup_f64 v[86:87], v[86:87], v[72:73], v[70:71]
	v_fma_f64 v[70:71], v[70:71], v[86:87], v[72:73]
	v_div_scale_f64 v[72:73], s[4:5], v[70:71], v[70:71], 1.0
	v_div_scale_f64 v[92:93], vcc, 1.0, v[70:71], 1.0
	v_rcp_f64_e32 v[88:89], v[72:73]
	v_fma_f64 v[90:91], -v[72:73], v[88:89], 1.0
	v_fma_f64 v[88:89], v[88:89], v[90:91], v[88:89]
	v_fma_f64 v[90:91], -v[72:73], v[88:89], 1.0
	v_fma_f64 v[88:89], v[88:89], v[90:91], v[88:89]
	v_mul_f64 v[90:91], v[92:93], v[88:89]
	v_fma_f64 v[72:73], -v[72:73], v[90:91], v[92:93]
	v_div_fmas_f64 v[72:73], v[72:73], v[88:89], v[90:91]
	v_div_fixup_f64 v[72:73], v[72:73], v[70:71], 1.0
	v_mul_f64 v[70:71], v[86:87], v[72:73]
	v_xor_b32_e32 v73, 0x80000000, v73
.LBB32_28:
	s_andn2_saveexec_b64 s[2:3], s[2:3]
	s_cbranch_execz .LBB32_30
; %bb.29:
	v_div_scale_f64 v[86:87], s[4:5], v[70:71], v[70:71], v[72:73]
	v_rcp_f64_e32 v[88:89], v[86:87]
	v_fma_f64 v[90:91], -v[86:87], v[88:89], 1.0
	v_fma_f64 v[88:89], v[88:89], v[90:91], v[88:89]
	v_div_scale_f64 v[90:91], vcc, v[72:73], v[70:71], v[72:73]
	v_fma_f64 v[92:93], -v[86:87], v[88:89], 1.0
	v_fma_f64 v[88:89], v[88:89], v[92:93], v[88:89]
	v_mul_f64 v[92:93], v[90:91], v[88:89]
	v_fma_f64 v[86:87], -v[86:87], v[92:93], v[90:91]
	v_div_fmas_f64 v[86:87], v[86:87], v[88:89], v[92:93]
	v_div_fixup_f64 v[86:87], v[86:87], v[70:71], v[72:73]
	v_fma_f64 v[70:71], v[72:73], v[86:87], v[70:71]
	v_div_scale_f64 v[72:73], s[4:5], v[70:71], v[70:71], 1.0
	v_div_scale_f64 v[92:93], vcc, 1.0, v[70:71], 1.0
	v_rcp_f64_e32 v[88:89], v[72:73]
	v_fma_f64 v[90:91], -v[72:73], v[88:89], 1.0
	v_fma_f64 v[88:89], v[88:89], v[90:91], v[88:89]
	v_fma_f64 v[90:91], -v[72:73], v[88:89], 1.0
	v_fma_f64 v[88:89], v[88:89], v[90:91], v[88:89]
	v_mul_f64 v[90:91], v[92:93], v[88:89]
	v_fma_f64 v[72:73], -v[72:73], v[90:91], v[92:93]
	v_div_fmas_f64 v[72:73], v[72:73], v[88:89], v[90:91]
	v_div_fixup_f64 v[70:71], v[72:73], v[70:71], 1.0
	v_mul_f64 v[72:73], v[86:87], -v[70:71]
.LBB32_30:
	s_or_b64 exec, exec, s[2:3]
	v_mov_b32_e32 v83, v85
.LBB32_31:
	s_or_b64 exec, exec, s[0:1]
	v_cmp_ne_u32_e32 vcc, v80, v78
	s_and_saveexec_b64 s[0:1], vcc
	s_xor_b64 s[0:1], exec, s[0:1]
	s_cbranch_execz .LBB32_37
; %bb.32:
	v_cmp_eq_u32_e32 vcc, 1, v80
	s_and_saveexec_b64 s[2:3], vcc
	s_cbranch_execz .LBB32_36
; %bb.33:
	v_cmp_ne_u32_e32 vcc, 1, v78
	s_xor_b64 s[4:5], s[18:19], -1
	s_and_b64 s[24:25], s[4:5], vcc
	s_and_saveexec_b64 s[4:5], s[24:25]
	s_cbranch_execz .LBB32_35
; %bb.34:
	v_ashrrev_i32_e32 v79, 31, v78
	v_lshlrev_b64 v[79:80], 2, v[78:79]
	v_add_co_u32_e32 v79, vcc, v76, v79
	v_addc_co_u32_e32 v80, vcc, v77, v80, vcc
	global_load_dword v0, v[79:80], off
	global_load_dword v85, v[76:77], off offset:4
	s_waitcnt vmcnt(1)
	global_store_dword v[76:77], v0, off offset:4
	s_waitcnt vmcnt(1)
	global_store_dword v[79:80], v85, off
.LBB32_35:
	s_or_b64 exec, exec, s[4:5]
	v_mov_b32_e32 v80, v78
	v_mov_b32_e32 v0, v78
.LBB32_36:
	s_or_b64 exec, exec, s[2:3]
.LBB32_37:
	s_andn2_saveexec_b64 s[0:1], s[0:1]
	s_cbranch_execz .LBB32_39
; %bb.38:
	v_mov_b32_e32 v80, 1
	ds_write2_b64 v1, v[54:55], v[56:57] offset0:4 offset1:5
	ds_write2_b64 v1, v[50:51], v[52:53] offset0:6 offset1:7
	;; [unrolled: 1-line block ×15, first 2 shown]
.LBB32_39:
	s_or_b64 exec, exec, s[0:1]
	v_cmp_lt_i32_e32 vcc, 1, v80
	s_waitcnt vmcnt(0) lgkmcnt(0)
	s_barrier
	s_and_saveexec_b64 s[0:1], vcc
	s_cbranch_execz .LBB32_41
; %bb.40:
	v_mul_f64 v[78:79], v[70:71], v[60:61]
	v_mul_f64 v[113:114], v[72:73], v[60:61]
	ds_read2_b64 v[85:88], v1 offset0:4 offset1:5
	ds_read2_b64 v[89:92], v1 offset0:6 offset1:7
	;; [unrolled: 1-line block ×7, first 2 shown]
	v_fma_f64 v[60:61], v[72:73], v[58:59], v[78:79]
	v_fma_f64 v[58:59], v[70:71], v[58:59], -v[113:114]
	s_waitcnt lgkmcnt(6)
	v_mul_f64 v[70:71], v[87:88], v[60:61]
	v_mul_f64 v[72:73], v[85:86], v[60:61]
	s_waitcnt lgkmcnt(5)
	v_mul_f64 v[78:79], v[91:92], v[60:61]
	v_mul_f64 v[113:114], v[89:90], v[60:61]
	;; [unrolled: 3-line block ×4, first 2 shown]
	v_fma_f64 v[70:71], v[85:86], v[58:59], -v[70:71]
	v_fma_f64 v[72:73], v[87:88], v[58:59], v[72:73]
	v_fma_f64 v[78:79], v[89:90], v[58:59], -v[78:79]
	v_fma_f64 v[85:86], v[91:92], v[58:59], v[113:114]
	;; [unrolled: 2-line block ×3, first 2 shown]
	s_waitcnt lgkmcnt(2)
	v_mul_f64 v[91:92], v[103:104], v[60:61]
	v_mul_f64 v[93:94], v[101:102], v[60:61]
	s_waitcnt lgkmcnt(0)
	v_mul_f64 v[95:96], v[109:110], v[60:61]
	v_add_f64 v[54:55], v[54:55], -v[70:71]
	v_add_f64 v[50:51], v[50:51], -v[78:79]
	;; [unrolled: 1-line block ×5, first 2 shown]
	v_mul_f64 v[85:86], v[105:106], v[60:61]
	v_mul_f64 v[87:88], v[111:112], v[60:61]
	v_fma_f64 v[89:90], v[97:98], v[58:59], -v[119:120]
	v_mul_f64 v[78:79], v[107:108], v[60:61]
	v_fma_f64 v[91:92], v[101:102], v[58:59], -v[91:92]
	v_fma_f64 v[93:94], v[103:104], v[58:59], v[93:94]
	v_add_f64 v[56:57], v[56:57], -v[72:73]
	ds_read2_b64 v[70:73], v1 offset0:18 offset1:19
	v_fma_f64 v[85:86], v[107:108], v[58:59], v[85:86]
	v_fma_f64 v[87:88], v[109:110], v[58:59], -v[87:88]
	v_add_f64 v[42:43], v[42:43], -v[89:90]
	v_fma_f64 v[89:90], v[111:112], v[58:59], v[95:96]
	v_fma_f64 v[78:79], v[105:106], v[58:59], -v[78:79]
	v_add_f64 v[38:39], v[38:39], -v[91:92]
	v_add_f64 v[40:41], v[40:41], -v[93:94]
	ds_read2_b64 v[93:96], v1 offset0:24 offset1:25
	v_add_f64 v[36:37], v[36:37], -v[85:86]
	v_add_f64 v[30:31], v[30:31], -v[87:88]
	ds_read2_b64 v[85:88], v1 offset0:20 offset1:21
	v_add_f64 v[32:33], v[32:33], -v[89:90]
	ds_read2_b64 v[89:92], v1 offset0:22 offset1:23
	v_add_f64 v[34:35], v[34:35], -v[78:79]
	s_waitcnt lgkmcnt(3)
	v_mul_f64 v[78:79], v[72:73], v[60:61]
	v_mul_f64 v[101:102], v[70:71], v[60:61]
	s_waitcnt lgkmcnt(1)
	v_mul_f64 v[103:104], v[87:88], v[60:61]
	v_mul_f64 v[105:106], v[85:86], v[60:61]
	;; [unrolled: 3-line block ×3, first 2 shown]
	v_mul_f64 v[111:112], v[95:96], v[60:61]
	v_mul_f64 v[113:114], v[93:94], v[60:61]
	v_fma_f64 v[97:98], v[99:100], v[58:59], v[121:122]
	v_fma_f64 v[70:71], v[70:71], v[58:59], -v[78:79]
	v_fma_f64 v[72:73], v[72:73], v[58:59], v[101:102]
	v_fma_f64 v[78:79], v[85:86], v[58:59], -v[103:104]
	;; [unrolled: 2-line block ×4, first 2 shown]
	v_fma_f64 v[93:94], v[95:96], v[58:59], v[113:114]
	v_add_f64 v[44:45], v[44:45], -v[97:98]
	ds_read2_b64 v[97:100], v1 offset0:26 offset1:27
	v_add_f64 v[26:27], v[26:27], -v[70:71]
	v_add_f64 v[28:29], v[28:29], -v[72:73]
	;; [unrolled: 1-line block ×6, first 2 shown]
	ds_read2_b64 v[70:73], v1 offset0:28 offset1:29
	ds_read2_b64 v[85:88], v1 offset0:30 offset1:31
	;; [unrolled: 1-line block ×3, first 2 shown]
	v_add_f64 v[22:23], v[22:23], -v[78:79]
	v_add_f64 v[16:17], v[16:17], -v[93:94]
	s_waitcnt lgkmcnt(3)
	v_mul_f64 v[78:79], v[99:100], v[60:61]
	v_mul_f64 v[93:94], v[97:98], v[60:61]
	s_waitcnt lgkmcnt(2)
	v_mul_f64 v[95:96], v[72:73], v[60:61]
	v_mul_f64 v[101:102], v[70:71], v[60:61]
	;; [unrolled: 3-line block ×4, first 2 shown]
	v_fma_f64 v[78:79], v[97:98], v[58:59], -v[78:79]
	v_fma_f64 v[93:94], v[99:100], v[58:59], v[93:94]
	v_fma_f64 v[70:71], v[70:71], v[58:59], -v[95:96]
	v_fma_f64 v[72:73], v[72:73], v[58:59], v[101:102]
	;; [unrolled: 2-line block ×4, first 2 shown]
	v_add_f64 v[10:11], v[10:11], -v[78:79]
	v_add_f64 v[12:13], v[12:13], -v[93:94]
	;; [unrolled: 1-line block ×8, first 2 shown]
.LBB32_41:
	s_or_b64 exec, exec, s[0:1]
	v_lshl_add_u32 v70, v80, 4, v1
	s_barrier
	ds_write2_b64 v70, v[54:55], v[56:57] offset1:1
	s_waitcnt lgkmcnt(0)
	s_barrier
	ds_read2_b64 v[70:73], v1 offset0:4 offset1:5
	s_cmp_lt_i32 s22, 4
	v_mov_b32_e32 v78, 2
	s_cbranch_scc1 .LBB32_44
; %bb.42:
	v_add3_u32 v79, v84, 0, 48
	s_mov_b32 s2, 3
	v_mov_b32_e32 v78, 2
.LBB32_43:                              ; =>This Inner Loop Header: Depth=1
	s_waitcnt lgkmcnt(0)
	v_cmp_gt_f64_e32 vcc, 0, v[72:73]
	v_cmp_gt_f64_e64 s[0:1], 0, v[70:71]
	ds_read2_b64 v[85:88], v79 offset1:1
	v_xor_b32_e32 v90, 0x80000000, v71
	v_xor_b32_e32 v92, 0x80000000, v73
	v_mov_b32_e32 v89, v70
	v_mov_b32_e32 v91, v72
	s_waitcnt lgkmcnt(0)
	v_xor_b32_e32 v94, 0x80000000, v88
	v_cndmask_b32_e32 v92, v73, v92, vcc
	v_cndmask_b32_e64 v90, v71, v90, s[0:1]
	v_cmp_gt_f64_e32 vcc, 0, v[87:88]
	v_cmp_gt_f64_e64 s[0:1], 0, v[85:86]
	v_add_f64 v[89:90], v[89:90], v[91:92]
	v_xor_b32_e32 v92, 0x80000000, v86
	v_mov_b32_e32 v91, v85
	v_mov_b32_e32 v93, v87
	v_add_u32_e32 v79, 16, v79
	v_cndmask_b32_e32 v94, v88, v94, vcc
	v_cndmask_b32_e64 v92, v86, v92, s[0:1]
	v_add_f64 v[91:92], v[91:92], v[93:94]
	v_mov_b32_e32 v93, s2
	s_add_i32 s2, s2, 1
	s_cmp_lg_u32 s22, s2
	v_cmp_lt_f64_e32 vcc, v[89:90], v[91:92]
	v_cndmask_b32_e32 v71, v71, v86, vcc
	v_cndmask_b32_e32 v70, v70, v85, vcc
	v_cndmask_b32_e32 v73, v73, v88, vcc
	v_cndmask_b32_e32 v72, v72, v87, vcc
	v_cndmask_b32_e32 v78, v78, v93, vcc
	s_cbranch_scc1 .LBB32_43
.LBB32_44:
	s_waitcnt lgkmcnt(0)
	v_cmp_eq_f64_e32 vcc, 0, v[70:71]
	v_cmp_eq_f64_e64 s[0:1], 0, v[72:73]
	s_and_b64 s[0:1], vcc, s[0:1]
	s_and_saveexec_b64 s[2:3], s[0:1]
	s_xor_b64 s[0:1], exec, s[2:3]
; %bb.45:
	v_cmp_ne_u32_e32 vcc, 0, v83
	v_cndmask_b32_e32 v83, 3, v83, vcc
; %bb.46:
	s_andn2_saveexec_b64 s[0:1], s[0:1]
	s_cbranch_execz .LBB32_52
; %bb.47:
	v_cmp_ngt_f64_e64 s[2:3], |v[70:71]|, |v[72:73]|
	s_and_saveexec_b64 s[4:5], s[2:3]
	s_xor_b64 s[2:3], exec, s[4:5]
	s_cbranch_execz .LBB32_49
; %bb.48:
	v_div_scale_f64 v[85:86], s[4:5], v[72:73], v[72:73], v[70:71]
	v_rcp_f64_e32 v[87:88], v[85:86]
	v_fma_f64 v[89:90], -v[85:86], v[87:88], 1.0
	v_fma_f64 v[87:88], v[87:88], v[89:90], v[87:88]
	v_div_scale_f64 v[89:90], vcc, v[70:71], v[72:73], v[70:71]
	v_fma_f64 v[91:92], -v[85:86], v[87:88], 1.0
	v_fma_f64 v[87:88], v[87:88], v[91:92], v[87:88]
	v_mul_f64 v[91:92], v[89:90], v[87:88]
	v_fma_f64 v[85:86], -v[85:86], v[91:92], v[89:90]
	v_div_fmas_f64 v[85:86], v[85:86], v[87:88], v[91:92]
	v_div_fixup_f64 v[85:86], v[85:86], v[72:73], v[70:71]
	v_fma_f64 v[70:71], v[70:71], v[85:86], v[72:73]
	v_div_scale_f64 v[72:73], s[4:5], v[70:71], v[70:71], 1.0
	v_div_scale_f64 v[91:92], vcc, 1.0, v[70:71], 1.0
	v_rcp_f64_e32 v[87:88], v[72:73]
	v_fma_f64 v[89:90], -v[72:73], v[87:88], 1.0
	v_fma_f64 v[87:88], v[87:88], v[89:90], v[87:88]
	v_fma_f64 v[89:90], -v[72:73], v[87:88], 1.0
	v_fma_f64 v[87:88], v[87:88], v[89:90], v[87:88]
	v_mul_f64 v[89:90], v[91:92], v[87:88]
	v_fma_f64 v[72:73], -v[72:73], v[89:90], v[91:92]
	v_div_fmas_f64 v[72:73], v[72:73], v[87:88], v[89:90]
	v_div_fixup_f64 v[72:73], v[72:73], v[70:71], 1.0
	v_mul_f64 v[70:71], v[85:86], v[72:73]
	v_xor_b32_e32 v73, 0x80000000, v73
.LBB32_49:
	s_andn2_saveexec_b64 s[2:3], s[2:3]
	s_cbranch_execz .LBB32_51
; %bb.50:
	v_div_scale_f64 v[85:86], s[4:5], v[70:71], v[70:71], v[72:73]
	v_rcp_f64_e32 v[87:88], v[85:86]
	v_fma_f64 v[89:90], -v[85:86], v[87:88], 1.0
	v_fma_f64 v[87:88], v[87:88], v[89:90], v[87:88]
	v_div_scale_f64 v[89:90], vcc, v[72:73], v[70:71], v[72:73]
	v_fma_f64 v[91:92], -v[85:86], v[87:88], 1.0
	v_fma_f64 v[87:88], v[87:88], v[91:92], v[87:88]
	v_mul_f64 v[91:92], v[89:90], v[87:88]
	v_fma_f64 v[85:86], -v[85:86], v[91:92], v[89:90]
	v_div_fmas_f64 v[85:86], v[85:86], v[87:88], v[91:92]
	v_div_fixup_f64 v[85:86], v[85:86], v[70:71], v[72:73]
	v_fma_f64 v[70:71], v[72:73], v[85:86], v[70:71]
	v_div_scale_f64 v[72:73], s[4:5], v[70:71], v[70:71], 1.0
	v_div_scale_f64 v[91:92], vcc, 1.0, v[70:71], 1.0
	v_rcp_f64_e32 v[87:88], v[72:73]
	v_fma_f64 v[89:90], -v[72:73], v[87:88], 1.0
	v_fma_f64 v[87:88], v[87:88], v[89:90], v[87:88]
	v_fma_f64 v[89:90], -v[72:73], v[87:88], 1.0
	v_fma_f64 v[87:88], v[87:88], v[89:90], v[87:88]
	v_mul_f64 v[89:90], v[91:92], v[87:88]
	v_fma_f64 v[72:73], -v[72:73], v[89:90], v[91:92]
	v_div_fmas_f64 v[72:73], v[72:73], v[87:88], v[89:90]
	v_div_fixup_f64 v[70:71], v[72:73], v[70:71], 1.0
	v_mul_f64 v[72:73], v[85:86], -v[70:71]
.LBB32_51:
	s_or_b64 exec, exec, s[2:3]
.LBB32_52:
	s_or_b64 exec, exec, s[0:1]
	v_cmp_ne_u32_e32 vcc, v80, v78
	s_and_saveexec_b64 s[0:1], vcc
	s_xor_b64 s[0:1], exec, s[0:1]
	s_cbranch_execz .LBB32_58
; %bb.53:
	v_cmp_eq_u32_e32 vcc, 2, v80
	s_and_saveexec_b64 s[2:3], vcc
	s_cbranch_execz .LBB32_57
; %bb.54:
	v_cmp_ne_u32_e32 vcc, 2, v78
	s_xor_b64 s[4:5], s[18:19], -1
	s_and_b64 s[24:25], s[4:5], vcc
	s_and_saveexec_b64 s[4:5], s[24:25]
	s_cbranch_execz .LBB32_56
; %bb.55:
	v_ashrrev_i32_e32 v79, 31, v78
	v_lshlrev_b64 v[79:80], 2, v[78:79]
	v_add_co_u32_e32 v79, vcc, v76, v79
	v_addc_co_u32_e32 v80, vcc, v77, v80, vcc
	global_load_dword v0, v[79:80], off
	global_load_dword v85, v[76:77], off offset:8
	s_waitcnt vmcnt(1)
	global_store_dword v[76:77], v0, off offset:8
	s_waitcnt vmcnt(1)
	global_store_dword v[79:80], v85, off
.LBB32_56:
	s_or_b64 exec, exec, s[4:5]
	v_mov_b32_e32 v80, v78
	v_mov_b32_e32 v0, v78
.LBB32_57:
	s_or_b64 exec, exec, s[2:3]
.LBB32_58:
	s_andn2_saveexec_b64 s[0:1], s[0:1]
	s_cbranch_execz .LBB32_60
; %bb.59:
	v_mov_b32_e32 v80, 2
	ds_write2_b64 v1, v[50:51], v[52:53] offset0:6 offset1:7
	ds_write2_b64 v1, v[46:47], v[48:49] offset0:8 offset1:9
	;; [unrolled: 1-line block ×14, first 2 shown]
.LBB32_60:
	s_or_b64 exec, exec, s[0:1]
	v_cmp_lt_i32_e32 vcc, 2, v80
	s_waitcnt vmcnt(0) lgkmcnt(0)
	s_barrier
	s_and_saveexec_b64 s[0:1], vcc
	s_cbranch_execz .LBB32_62
; %bb.61:
	v_mul_f64 v[78:79], v[70:71], v[56:57]
	v_mul_f64 v[109:110], v[72:73], v[56:57]
	ds_read2_b64 v[85:88], v1 offset0:6 offset1:7
	ds_read2_b64 v[89:92], v1 offset0:8 offset1:9
	;; [unrolled: 1-line block ×6, first 2 shown]
	v_fma_f64 v[56:57], v[72:73], v[54:55], v[78:79]
	v_fma_f64 v[54:55], v[70:71], v[54:55], -v[109:110]
	s_waitcnt lgkmcnt(5)
	v_mul_f64 v[70:71], v[87:88], v[56:57]
	s_waitcnt lgkmcnt(4)
	v_mul_f64 v[78:79], v[91:92], v[56:57]
	v_mul_f64 v[109:110], v[89:90], v[56:57]
	v_mul_f64 v[72:73], v[85:86], v[56:57]
	s_waitcnt lgkmcnt(3)
	v_mul_f64 v[111:112], v[95:96], v[56:57]
	v_mul_f64 v[113:114], v[93:94], v[56:57]
	s_waitcnt lgkmcnt(2)
	v_mul_f64 v[117:118], v[97:98], v[56:57]
	s_waitcnt lgkmcnt(1)
	v_mul_f64 v[119:120], v[103:104], v[56:57]
	v_fma_f64 v[70:71], v[85:86], v[54:55], -v[70:71]
	v_mul_f64 v[121:122], v[101:102], v[56:57]
	v_fma_f64 v[78:79], v[89:90], v[54:55], -v[78:79]
	v_fma_f64 v[85:86], v[91:92], v[54:55], v[109:110]
	v_mul_f64 v[115:116], v[99:100], v[56:57]
	s_waitcnt lgkmcnt(0)
	v_mul_f64 v[123:124], v[107:108], v[56:57]
	v_fma_f64 v[72:73], v[87:88], v[54:55], v[72:73]
	v_mul_f64 v[87:88], v[105:106], v[56:57]
	v_fma_f64 v[89:90], v[93:94], v[54:55], -v[111:112]
	v_fma_f64 v[91:92], v[95:96], v[54:55], v[113:114]
	v_add_f64 v[50:51], v[50:51], -v[70:71]
	v_fma_f64 v[70:71], v[99:100], v[54:55], v[117:118]
	v_add_f64 v[46:47], v[46:47], -v[78:79]
	v_add_f64 v[48:49], v[48:49], -v[85:86]
	v_fma_f64 v[78:79], v[101:102], v[54:55], -v[119:120]
	v_fma_f64 v[85:86], v[103:104], v[54:55], v[121:122]
	v_fma_f64 v[93:94], v[97:98], v[54:55], -v[115:116]
	v_add_f64 v[52:53], v[52:53], -v[72:73]
	v_add_f64 v[42:43], v[42:43], -v[89:90]
	v_fma_f64 v[89:90], v[105:106], v[54:55], -v[123:124]
	v_add_f64 v[44:45], v[44:45], -v[91:92]
	v_fma_f64 v[91:92], v[107:108], v[54:55], v[87:88]
	v_add_f64 v[40:41], v[40:41], -v[70:71]
	ds_read2_b64 v[70:73], v1 offset0:18 offset1:19
	v_add_f64 v[34:35], v[34:35], -v[78:79]
	v_add_f64 v[36:37], v[36:37], -v[85:86]
	ds_read2_b64 v[85:88], v1 offset0:20 offset1:21
	v_add_f64 v[38:39], v[38:39], -v[93:94]
	s_waitcnt lgkmcnt(1)
	v_mul_f64 v[78:79], v[72:73], v[56:57]
	v_add_f64 v[30:31], v[30:31], -v[89:90]
	v_add_f64 v[32:33], v[32:33], -v[91:92]
	ds_read2_b64 v[89:92], v1 offset0:22 offset1:23
	ds_read2_b64 v[93:96], v1 offset0:24 offset1:25
	v_mul_f64 v[97:98], v[70:71], v[56:57]
	s_waitcnt lgkmcnt(2)
	v_mul_f64 v[99:100], v[87:88], v[56:57]
	v_mul_f64 v[101:102], v[85:86], v[56:57]
	s_waitcnt lgkmcnt(1)
	v_mul_f64 v[103:104], v[91:92], v[56:57]
	v_fma_f64 v[70:71], v[70:71], v[54:55], -v[78:79]
	v_mul_f64 v[78:79], v[89:90], v[56:57]
	s_waitcnt lgkmcnt(0)
	v_mul_f64 v[105:106], v[95:96], v[56:57]
	v_mul_f64 v[107:108], v[93:94], v[56:57]
	v_fma_f64 v[72:73], v[72:73], v[54:55], v[97:98]
	v_fma_f64 v[85:86], v[85:86], v[54:55], -v[99:100]
	v_fma_f64 v[87:88], v[87:88], v[54:55], v[101:102]
	v_fma_f64 v[89:90], v[89:90], v[54:55], -v[103:104]
	v_add_f64 v[26:27], v[26:27], -v[70:71]
	v_fma_f64 v[78:79], v[91:92], v[54:55], v[78:79]
	v_fma_f64 v[91:92], v[93:94], v[54:55], -v[105:106]
	v_fma_f64 v[93:94], v[95:96], v[54:55], v[107:108]
	v_add_f64 v[28:29], v[28:29], -v[72:73]
	v_add_f64 v[22:23], v[22:23], -v[85:86]
	;; [unrolled: 1-line block ×4, first 2 shown]
	ds_read2_b64 v[70:73], v1 offset0:26 offset1:27
	ds_read2_b64 v[85:88], v1 offset0:28 offset1:29
	v_add_f64 v[14:15], v[14:15], -v[91:92]
	v_add_f64 v[16:17], v[16:17], -v[93:94]
	ds_read2_b64 v[89:92], v1 offset0:30 offset1:31
	ds_read2_b64 v[93:96], v1 offset0:32 offset1:33
	v_add_f64 v[20:21], v[20:21], -v[78:79]
	s_waitcnt lgkmcnt(3)
	v_mul_f64 v[78:79], v[72:73], v[56:57]
	v_mul_f64 v[97:98], v[70:71], v[56:57]
	s_waitcnt lgkmcnt(2)
	v_mul_f64 v[99:100], v[87:88], v[56:57]
	v_mul_f64 v[101:102], v[85:86], v[56:57]
	;; [unrolled: 3-line block ×4, first 2 shown]
	v_fma_f64 v[70:71], v[70:71], v[54:55], -v[78:79]
	v_fma_f64 v[72:73], v[72:73], v[54:55], v[97:98]
	v_fma_f64 v[78:79], v[85:86], v[54:55], -v[99:100]
	v_fma_f64 v[85:86], v[87:88], v[54:55], v[101:102]
	;; [unrolled: 2-line block ×4, first 2 shown]
	v_add_f64 v[10:11], v[10:11], -v[70:71]
	v_add_f64 v[12:13], v[12:13], -v[72:73]
	;; [unrolled: 1-line block ×8, first 2 shown]
.LBB32_62:
	s_or_b64 exec, exec, s[0:1]
	v_lshl_add_u32 v70, v80, 4, v1
	s_barrier
	ds_write2_b64 v70, v[50:51], v[52:53] offset1:1
	s_waitcnt lgkmcnt(0)
	s_barrier
	ds_read2_b64 v[70:73], v1 offset0:6 offset1:7
	s_mov_b32 s2, 4
	s_cmp_lt_i32 s22, 5
	v_mov_b32_e32 v78, 3
	s_cbranch_scc1 .LBB32_65
; %bb.63:
	v_add3_u32 v79, v84, 0, 64
	v_mov_b32_e32 v78, 3
.LBB32_64:                              ; =>This Inner Loop Header: Depth=1
	s_waitcnt lgkmcnt(0)
	v_cmp_gt_f64_e32 vcc, 0, v[72:73]
	v_cmp_gt_f64_e64 s[0:1], 0, v[70:71]
	ds_read2_b64 v[84:87], v79 offset1:1
	v_xor_b32_e32 v89, 0x80000000, v71
	v_xor_b32_e32 v91, 0x80000000, v73
	v_mov_b32_e32 v88, v70
	v_mov_b32_e32 v90, v72
	s_waitcnt lgkmcnt(0)
	v_xor_b32_e32 v93, 0x80000000, v87
	v_cndmask_b32_e32 v91, v73, v91, vcc
	v_cndmask_b32_e64 v89, v71, v89, s[0:1]
	v_cmp_gt_f64_e32 vcc, 0, v[86:87]
	v_cmp_gt_f64_e64 s[0:1], 0, v[84:85]
	v_add_f64 v[88:89], v[88:89], v[90:91]
	v_xor_b32_e32 v91, 0x80000000, v85
	v_mov_b32_e32 v90, v84
	v_mov_b32_e32 v92, v86
	v_add_u32_e32 v79, 16, v79
	v_cndmask_b32_e32 v93, v87, v93, vcc
	v_cndmask_b32_e64 v91, v85, v91, s[0:1]
	v_add_f64 v[90:91], v[90:91], v[92:93]
	v_mov_b32_e32 v92, s2
	s_add_i32 s2, s2, 1
	s_cmp_lg_u32 s22, s2
	v_cmp_lt_f64_e32 vcc, v[88:89], v[90:91]
	v_cndmask_b32_e32 v71, v71, v85, vcc
	v_cndmask_b32_e32 v70, v70, v84, vcc
	;; [unrolled: 1-line block ×5, first 2 shown]
	s_cbranch_scc1 .LBB32_64
.LBB32_65:
	s_waitcnt lgkmcnt(0)
	v_cmp_eq_f64_e32 vcc, 0, v[70:71]
	v_cmp_eq_f64_e64 s[0:1], 0, v[72:73]
	s_and_b64 s[0:1], vcc, s[0:1]
	s_and_saveexec_b64 s[2:3], s[0:1]
	s_xor_b64 s[0:1], exec, s[2:3]
; %bb.66:
	v_cmp_ne_u32_e32 vcc, 0, v83
	v_cndmask_b32_e32 v83, 4, v83, vcc
; %bb.67:
	s_andn2_saveexec_b64 s[0:1], s[0:1]
	s_cbranch_execz .LBB32_73
; %bb.68:
	v_cmp_ngt_f64_e64 s[2:3], |v[70:71]|, |v[72:73]|
	s_and_saveexec_b64 s[4:5], s[2:3]
	s_xor_b64 s[2:3], exec, s[4:5]
	s_cbranch_execz .LBB32_70
; %bb.69:
	v_div_scale_f64 v[84:85], s[4:5], v[72:73], v[72:73], v[70:71]
	v_rcp_f64_e32 v[86:87], v[84:85]
	v_fma_f64 v[88:89], -v[84:85], v[86:87], 1.0
	v_fma_f64 v[86:87], v[86:87], v[88:89], v[86:87]
	v_div_scale_f64 v[88:89], vcc, v[70:71], v[72:73], v[70:71]
	v_fma_f64 v[90:91], -v[84:85], v[86:87], 1.0
	v_fma_f64 v[86:87], v[86:87], v[90:91], v[86:87]
	v_mul_f64 v[90:91], v[88:89], v[86:87]
	v_fma_f64 v[84:85], -v[84:85], v[90:91], v[88:89]
	v_div_fmas_f64 v[84:85], v[84:85], v[86:87], v[90:91]
	v_div_fixup_f64 v[84:85], v[84:85], v[72:73], v[70:71]
	v_fma_f64 v[70:71], v[70:71], v[84:85], v[72:73]
	v_div_scale_f64 v[72:73], s[4:5], v[70:71], v[70:71], 1.0
	v_div_scale_f64 v[90:91], vcc, 1.0, v[70:71], 1.0
	v_rcp_f64_e32 v[86:87], v[72:73]
	v_fma_f64 v[88:89], -v[72:73], v[86:87], 1.0
	v_fma_f64 v[86:87], v[86:87], v[88:89], v[86:87]
	v_fma_f64 v[88:89], -v[72:73], v[86:87], 1.0
	v_fma_f64 v[86:87], v[86:87], v[88:89], v[86:87]
	v_mul_f64 v[88:89], v[90:91], v[86:87]
	v_fma_f64 v[72:73], -v[72:73], v[88:89], v[90:91]
	v_div_fmas_f64 v[72:73], v[72:73], v[86:87], v[88:89]
	v_div_fixup_f64 v[72:73], v[72:73], v[70:71], 1.0
	v_mul_f64 v[70:71], v[84:85], v[72:73]
	v_xor_b32_e32 v73, 0x80000000, v73
.LBB32_70:
	s_andn2_saveexec_b64 s[2:3], s[2:3]
	s_cbranch_execz .LBB32_72
; %bb.71:
	v_div_scale_f64 v[84:85], s[4:5], v[70:71], v[70:71], v[72:73]
	v_rcp_f64_e32 v[86:87], v[84:85]
	v_fma_f64 v[88:89], -v[84:85], v[86:87], 1.0
	v_fma_f64 v[86:87], v[86:87], v[88:89], v[86:87]
	v_div_scale_f64 v[88:89], vcc, v[72:73], v[70:71], v[72:73]
	v_fma_f64 v[90:91], -v[84:85], v[86:87], 1.0
	v_fma_f64 v[86:87], v[86:87], v[90:91], v[86:87]
	v_mul_f64 v[90:91], v[88:89], v[86:87]
	v_fma_f64 v[84:85], -v[84:85], v[90:91], v[88:89]
	v_div_fmas_f64 v[84:85], v[84:85], v[86:87], v[90:91]
	v_div_fixup_f64 v[84:85], v[84:85], v[70:71], v[72:73]
	v_fma_f64 v[70:71], v[72:73], v[84:85], v[70:71]
	v_div_scale_f64 v[72:73], s[4:5], v[70:71], v[70:71], 1.0
	v_div_scale_f64 v[90:91], vcc, 1.0, v[70:71], 1.0
	v_rcp_f64_e32 v[86:87], v[72:73]
	v_fma_f64 v[88:89], -v[72:73], v[86:87], 1.0
	v_fma_f64 v[86:87], v[86:87], v[88:89], v[86:87]
	v_fma_f64 v[88:89], -v[72:73], v[86:87], 1.0
	v_fma_f64 v[86:87], v[86:87], v[88:89], v[86:87]
	v_mul_f64 v[88:89], v[90:91], v[86:87]
	v_fma_f64 v[72:73], -v[72:73], v[88:89], v[90:91]
	v_div_fmas_f64 v[72:73], v[72:73], v[86:87], v[88:89]
	v_div_fixup_f64 v[70:71], v[72:73], v[70:71], 1.0
	v_mul_f64 v[72:73], v[84:85], -v[70:71]
.LBB32_72:
	s_or_b64 exec, exec, s[2:3]
.LBB32_73:
	s_or_b64 exec, exec, s[0:1]
	v_cmp_ne_u32_e32 vcc, v80, v78
	s_and_saveexec_b64 s[0:1], vcc
	s_xor_b64 s[0:1], exec, s[0:1]
	s_cbranch_execz .LBB32_79
; %bb.74:
	v_cmp_eq_u32_e32 vcc, 3, v80
	s_and_saveexec_b64 s[2:3], vcc
	s_cbranch_execz .LBB32_78
; %bb.75:
	v_cmp_ne_u32_e32 vcc, 3, v78
	s_xor_b64 s[4:5], s[18:19], -1
	s_and_b64 s[24:25], s[4:5], vcc
	s_and_saveexec_b64 s[4:5], s[24:25]
	s_cbranch_execz .LBB32_77
; %bb.76:
	v_ashrrev_i32_e32 v79, 31, v78
	v_lshlrev_b64 v[79:80], 2, v[78:79]
	v_add_co_u32_e32 v79, vcc, v76, v79
	v_addc_co_u32_e32 v80, vcc, v77, v80, vcc
	global_load_dword v0, v[79:80], off
	global_load_dword v84, v[76:77], off offset:12
	s_waitcnt vmcnt(1)
	global_store_dword v[76:77], v0, off offset:12
	s_waitcnt vmcnt(1)
	global_store_dword v[79:80], v84, off
.LBB32_77:
	s_or_b64 exec, exec, s[4:5]
	v_mov_b32_e32 v80, v78
	v_mov_b32_e32 v0, v78
.LBB32_78:
	s_or_b64 exec, exec, s[2:3]
.LBB32_79:
	s_andn2_saveexec_b64 s[0:1], s[0:1]
	s_cbranch_execz .LBB32_81
; %bb.80:
	v_mov_b32_e32 v80, 3
	ds_write2_b64 v1, v[46:47], v[48:49] offset0:8 offset1:9
	ds_write2_b64 v1, v[42:43], v[44:45] offset0:10 offset1:11
	;; [unrolled: 1-line block ×13, first 2 shown]
.LBB32_81:
	s_or_b64 exec, exec, s[0:1]
	v_cmp_lt_i32_e32 vcc, 3, v80
	s_waitcnt vmcnt(0) lgkmcnt(0)
	s_barrier
	s_and_saveexec_b64 s[0:1], vcc
	s_cbranch_execz .LBB32_83
; %bb.82:
	v_mul_f64 v[78:79], v[70:71], v[52:53]
	v_mul_f64 v[52:53], v[72:73], v[52:53]
	ds_read2_b64 v[84:87], v1 offset0:8 offset1:9
	ds_read2_b64 v[88:91], v1 offset0:10 offset1:11
	;; [unrolled: 1-line block ×6, first 2 shown]
	v_fma_f64 v[78:79], v[72:73], v[50:51], v[78:79]
	v_fma_f64 v[50:51], v[70:71], v[50:51], -v[52:53]
	s_waitcnt lgkmcnt(5)
	v_mul_f64 v[52:53], v[86:87], v[78:79]
	v_mul_f64 v[70:71], v[84:85], v[78:79]
	s_waitcnt lgkmcnt(4)
	v_mul_f64 v[72:73], v[90:91], v[78:79]
	v_mul_f64 v[108:109], v[88:89], v[78:79]
	s_waitcnt lgkmcnt(3)
	v_mul_f64 v[110:111], v[94:95], v[78:79]
	v_mul_f64 v[112:113], v[92:93], v[78:79]
	s_waitcnt lgkmcnt(2)
	v_mul_f64 v[114:115], v[98:99], v[78:79]
	v_mul_f64 v[116:117], v[96:97], v[78:79]
	s_waitcnt lgkmcnt(1)
	v_mul_f64 v[118:119], v[102:103], v[78:79]
	v_fma_f64 v[52:53], v[84:85], v[50:51], -v[52:53]
	v_fma_f64 v[70:71], v[86:87], v[50:51], v[70:71]
	v_fma_f64 v[72:73], v[88:89], v[50:51], -v[72:73]
	v_fma_f64 v[84:85], v[90:91], v[50:51], v[108:109]
	;; [unrolled: 2-line block ×3, first 2 shown]
	v_fma_f64 v[90:91], v[96:97], v[50:51], -v[114:115]
	v_mul_f64 v[120:121], v[100:101], v[78:79]
	v_fma_f64 v[92:93], v[98:99], v[50:51], v[116:117]
	v_fma_f64 v[94:95], v[100:101], v[50:51], -v[118:119]
	v_add_f64 v[48:49], v[48:49], -v[70:71]
	v_add_f64 v[42:43], v[42:43], -v[72:73]
	;; [unrolled: 1-line block ×6, first 2 shown]
	ds_read2_b64 v[70:73], v1 offset0:20 offset1:21
	ds_read2_b64 v[84:87], v1 offset0:22 offset1:23
	ds_read2_b64 v[88:91], v1 offset0:24 offset1:25
	v_fma_f64 v[96:97], v[102:103], v[50:51], v[120:121]
	v_add_f64 v[36:37], v[36:37], -v[92:93]
	v_add_f64 v[30:31], v[30:31], -v[94:95]
	s_waitcnt lgkmcnt(2)
	v_mul_f64 v[98:99], v[72:73], v[78:79]
	v_mul_f64 v[100:101], v[70:71], v[78:79]
	s_waitcnt lgkmcnt(1)
	v_mul_f64 v[102:103], v[86:87], v[78:79]
	v_mul_f64 v[108:109], v[84:85], v[78:79]
	ds_read2_b64 v[92:95], v1 offset0:26 offset1:27
	s_waitcnt lgkmcnt(1)
	v_mul_f64 v[110:111], v[90:91], v[78:79]
	v_mul_f64 v[112:113], v[88:89], v[78:79]
	v_add_f64 v[46:47], v[46:47], -v[52:53]
	v_add_f64 v[32:33], v[32:33], -v[96:97]
	v_mul_f64 v[52:53], v[106:107], v[78:79]
	v_mul_f64 v[96:97], v[104:105], v[78:79]
	v_fma_f64 v[70:71], v[70:71], v[50:51], -v[98:99]
	v_fma_f64 v[72:73], v[72:73], v[50:51], v[100:101]
	v_fma_f64 v[84:85], v[84:85], v[50:51], -v[102:103]
	v_fma_f64 v[86:87], v[86:87], v[50:51], v[108:109]
	;; [unrolled: 2-line block ×4, first 2 shown]
	v_add_f64 v[22:23], v[22:23], -v[70:71]
	v_add_f64 v[24:25], v[24:25], -v[72:73]
	;; [unrolled: 1-line block ×6, first 2 shown]
	ds_read2_b64 v[70:73], v1 offset0:28 offset1:29
	ds_read2_b64 v[84:87], v1 offset0:30 offset1:31
	;; [unrolled: 1-line block ×3, first 2 shown]
	v_add_f64 v[26:27], v[26:27], -v[52:53]
	v_add_f64 v[28:29], v[28:29], -v[96:97]
	s_waitcnt lgkmcnt(3)
	v_mul_f64 v[52:53], v[94:95], v[78:79]
	v_mul_f64 v[96:97], v[92:93], v[78:79]
	s_waitcnt lgkmcnt(2)
	v_mul_f64 v[98:99], v[72:73], v[78:79]
	v_mul_f64 v[100:101], v[70:71], v[78:79]
	;; [unrolled: 3-line block ×4, first 2 shown]
	v_fma_f64 v[52:53], v[92:93], v[50:51], -v[52:53]
	v_fma_f64 v[92:93], v[94:95], v[50:51], v[96:97]
	v_fma_f64 v[70:71], v[70:71], v[50:51], -v[98:99]
	v_fma_f64 v[72:73], v[72:73], v[50:51], v[100:101]
	;; [unrolled: 2-line block ×4, first 2 shown]
	v_add_f64 v[10:11], v[10:11], -v[52:53]
	v_add_f64 v[12:13], v[12:13], -v[92:93]
	;; [unrolled: 1-line block ×8, first 2 shown]
	v_mov_b32_e32 v52, v78
	v_mov_b32_e32 v53, v79
.LBB32_83:
	s_or_b64 exec, exec, s[0:1]
	v_lshl_add_u32 v70, v80, 4, v1
	s_barrier
	ds_write2_b64 v70, v[46:47], v[48:49] offset1:1
	s_waitcnt lgkmcnt(0)
	s_barrier
	ds_read2_b64 v[70:73], v1 offset0:8 offset1:9
	s_cmp_lt_i32 s22, 6
	v_mov_b32_e32 v78, 4
	s_cbranch_scc1 .LBB32_86
; %bb.84:
	v_mov_b32_e32 v78, 4
	v_add_u32_e32 v79, 0x50, v1
	s_mov_b32 s2, 5
.LBB32_85:                              ; =>This Inner Loop Header: Depth=1
	s_waitcnt lgkmcnt(0)
	v_cmp_gt_f64_e32 vcc, 0, v[72:73]
	v_cmp_gt_f64_e64 s[0:1], 0, v[70:71]
	ds_read2_b64 v[84:87], v79 offset1:1
	v_xor_b32_e32 v89, 0x80000000, v71
	v_xor_b32_e32 v91, 0x80000000, v73
	v_mov_b32_e32 v88, v70
	v_mov_b32_e32 v90, v72
	s_waitcnt lgkmcnt(0)
	v_xor_b32_e32 v93, 0x80000000, v87
	v_cndmask_b32_e32 v91, v73, v91, vcc
	v_cndmask_b32_e64 v89, v71, v89, s[0:1]
	v_cmp_gt_f64_e32 vcc, 0, v[86:87]
	v_cmp_gt_f64_e64 s[0:1], 0, v[84:85]
	v_add_f64 v[88:89], v[88:89], v[90:91]
	v_xor_b32_e32 v91, 0x80000000, v85
	v_mov_b32_e32 v90, v84
	v_mov_b32_e32 v92, v86
	v_add_u32_e32 v79, 16, v79
	v_cndmask_b32_e32 v93, v87, v93, vcc
	v_cndmask_b32_e64 v91, v85, v91, s[0:1]
	v_add_f64 v[90:91], v[90:91], v[92:93]
	v_mov_b32_e32 v92, s2
	s_add_i32 s2, s2, 1
	s_cmp_lg_u32 s22, s2
	v_cmp_lt_f64_e32 vcc, v[88:89], v[90:91]
	v_cndmask_b32_e32 v71, v71, v85, vcc
	v_cndmask_b32_e32 v70, v70, v84, vcc
	;; [unrolled: 1-line block ×5, first 2 shown]
	s_cbranch_scc1 .LBB32_85
.LBB32_86:
	s_waitcnt lgkmcnt(0)
	v_cmp_eq_f64_e32 vcc, 0, v[70:71]
	v_cmp_eq_f64_e64 s[0:1], 0, v[72:73]
	s_and_b64 s[0:1], vcc, s[0:1]
	s_and_saveexec_b64 s[2:3], s[0:1]
	s_xor_b64 s[0:1], exec, s[2:3]
; %bb.87:
	v_cmp_ne_u32_e32 vcc, 0, v83
	v_cndmask_b32_e32 v83, 5, v83, vcc
; %bb.88:
	s_andn2_saveexec_b64 s[0:1], s[0:1]
	s_cbranch_execz .LBB32_94
; %bb.89:
	v_cmp_ngt_f64_e64 s[2:3], |v[70:71]|, |v[72:73]|
	s_and_saveexec_b64 s[4:5], s[2:3]
	s_xor_b64 s[2:3], exec, s[4:5]
	s_cbranch_execz .LBB32_91
; %bb.90:
	v_div_scale_f64 v[84:85], s[4:5], v[72:73], v[72:73], v[70:71]
	v_rcp_f64_e32 v[86:87], v[84:85]
	v_fma_f64 v[88:89], -v[84:85], v[86:87], 1.0
	v_fma_f64 v[86:87], v[86:87], v[88:89], v[86:87]
	v_div_scale_f64 v[88:89], vcc, v[70:71], v[72:73], v[70:71]
	v_fma_f64 v[90:91], -v[84:85], v[86:87], 1.0
	v_fma_f64 v[86:87], v[86:87], v[90:91], v[86:87]
	v_mul_f64 v[90:91], v[88:89], v[86:87]
	v_fma_f64 v[84:85], -v[84:85], v[90:91], v[88:89]
	v_div_fmas_f64 v[84:85], v[84:85], v[86:87], v[90:91]
	v_div_fixup_f64 v[84:85], v[84:85], v[72:73], v[70:71]
	v_fma_f64 v[70:71], v[70:71], v[84:85], v[72:73]
	v_div_scale_f64 v[72:73], s[4:5], v[70:71], v[70:71], 1.0
	v_div_scale_f64 v[90:91], vcc, 1.0, v[70:71], 1.0
	v_rcp_f64_e32 v[86:87], v[72:73]
	v_fma_f64 v[88:89], -v[72:73], v[86:87], 1.0
	v_fma_f64 v[86:87], v[86:87], v[88:89], v[86:87]
	v_fma_f64 v[88:89], -v[72:73], v[86:87], 1.0
	v_fma_f64 v[86:87], v[86:87], v[88:89], v[86:87]
	v_mul_f64 v[88:89], v[90:91], v[86:87]
	v_fma_f64 v[72:73], -v[72:73], v[88:89], v[90:91]
	v_div_fmas_f64 v[72:73], v[72:73], v[86:87], v[88:89]
	v_div_fixup_f64 v[72:73], v[72:73], v[70:71], 1.0
	v_mul_f64 v[70:71], v[84:85], v[72:73]
	v_xor_b32_e32 v73, 0x80000000, v73
.LBB32_91:
	s_andn2_saveexec_b64 s[2:3], s[2:3]
	s_cbranch_execz .LBB32_93
; %bb.92:
	v_div_scale_f64 v[84:85], s[4:5], v[70:71], v[70:71], v[72:73]
	v_rcp_f64_e32 v[86:87], v[84:85]
	v_fma_f64 v[88:89], -v[84:85], v[86:87], 1.0
	v_fma_f64 v[86:87], v[86:87], v[88:89], v[86:87]
	v_div_scale_f64 v[88:89], vcc, v[72:73], v[70:71], v[72:73]
	v_fma_f64 v[90:91], -v[84:85], v[86:87], 1.0
	v_fma_f64 v[86:87], v[86:87], v[90:91], v[86:87]
	v_mul_f64 v[90:91], v[88:89], v[86:87]
	v_fma_f64 v[84:85], -v[84:85], v[90:91], v[88:89]
	v_div_fmas_f64 v[84:85], v[84:85], v[86:87], v[90:91]
	v_div_fixup_f64 v[84:85], v[84:85], v[70:71], v[72:73]
	v_fma_f64 v[70:71], v[72:73], v[84:85], v[70:71]
	v_div_scale_f64 v[72:73], s[4:5], v[70:71], v[70:71], 1.0
	v_div_scale_f64 v[90:91], vcc, 1.0, v[70:71], 1.0
	v_rcp_f64_e32 v[86:87], v[72:73]
	v_fma_f64 v[88:89], -v[72:73], v[86:87], 1.0
	v_fma_f64 v[86:87], v[86:87], v[88:89], v[86:87]
	v_fma_f64 v[88:89], -v[72:73], v[86:87], 1.0
	v_fma_f64 v[86:87], v[86:87], v[88:89], v[86:87]
	v_mul_f64 v[88:89], v[90:91], v[86:87]
	v_fma_f64 v[72:73], -v[72:73], v[88:89], v[90:91]
	v_div_fmas_f64 v[72:73], v[72:73], v[86:87], v[88:89]
	v_div_fixup_f64 v[70:71], v[72:73], v[70:71], 1.0
	v_mul_f64 v[72:73], v[84:85], -v[70:71]
.LBB32_93:
	s_or_b64 exec, exec, s[2:3]
.LBB32_94:
	s_or_b64 exec, exec, s[0:1]
	v_cmp_ne_u32_e32 vcc, v80, v78
	s_and_saveexec_b64 s[0:1], vcc
	s_xor_b64 s[0:1], exec, s[0:1]
	s_cbranch_execz .LBB32_100
; %bb.95:
	v_cmp_eq_u32_e32 vcc, 4, v80
	s_and_saveexec_b64 s[2:3], vcc
	s_cbranch_execz .LBB32_99
; %bb.96:
	v_cmp_ne_u32_e32 vcc, 4, v78
	s_xor_b64 s[4:5], s[18:19], -1
	s_and_b64 s[24:25], s[4:5], vcc
	s_and_saveexec_b64 s[4:5], s[24:25]
	s_cbranch_execz .LBB32_98
; %bb.97:
	v_ashrrev_i32_e32 v79, 31, v78
	v_lshlrev_b64 v[79:80], 2, v[78:79]
	v_add_co_u32_e32 v79, vcc, v76, v79
	v_addc_co_u32_e32 v80, vcc, v77, v80, vcc
	global_load_dword v0, v[79:80], off
	global_load_dword v84, v[76:77], off offset:16
	s_waitcnt vmcnt(1)
	global_store_dword v[76:77], v0, off offset:16
	s_waitcnt vmcnt(1)
	global_store_dword v[79:80], v84, off
.LBB32_98:
	s_or_b64 exec, exec, s[4:5]
	v_mov_b32_e32 v80, v78
	v_mov_b32_e32 v0, v78
.LBB32_99:
	s_or_b64 exec, exec, s[2:3]
.LBB32_100:
	s_andn2_saveexec_b64 s[0:1], s[0:1]
	s_cbranch_execz .LBB32_102
; %bb.101:
	v_mov_b32_e32 v80, 4
	ds_write2_b64 v1, v[42:43], v[44:45] offset0:10 offset1:11
	ds_write2_b64 v1, v[38:39], v[40:41] offset0:12 offset1:13
	;; [unrolled: 1-line block ×12, first 2 shown]
.LBB32_102:
	s_or_b64 exec, exec, s[0:1]
	v_cmp_lt_i32_e32 vcc, 4, v80
	s_waitcnt vmcnt(0) lgkmcnt(0)
	s_barrier
	s_and_saveexec_b64 s[0:1], vcc
	s_cbranch_execz .LBB32_104
; %bb.103:
	v_mul_f64 v[78:79], v[70:71], v[48:49]
	v_mul_f64 v[48:49], v[72:73], v[48:49]
	ds_read2_b64 v[84:87], v1 offset0:10 offset1:11
	ds_read2_b64 v[88:91], v1 offset0:12 offset1:13
	;; [unrolled: 1-line block ×6, first 2 shown]
	v_fma_f64 v[78:79], v[72:73], v[46:47], v[78:79]
	v_fma_f64 v[46:47], v[70:71], v[46:47], -v[48:49]
	s_waitcnt lgkmcnt(5)
	v_mul_f64 v[48:49], v[86:87], v[78:79]
	v_mul_f64 v[70:71], v[84:85], v[78:79]
	s_waitcnt lgkmcnt(4)
	v_mul_f64 v[72:73], v[90:91], v[78:79]
	v_mul_f64 v[108:109], v[88:89], v[78:79]
	;; [unrolled: 3-line block ×4, first 2 shown]
	v_fma_f64 v[48:49], v[84:85], v[46:47], -v[48:49]
	v_fma_f64 v[70:71], v[86:87], v[46:47], v[70:71]
	v_fma_f64 v[72:73], v[88:89], v[46:47], -v[72:73]
	v_fma_f64 v[84:85], v[90:91], v[46:47], v[108:109]
	;; [unrolled: 2-line block ×4, first 2 shown]
	v_add_f64 v[42:43], v[42:43], -v[48:49]
	s_waitcnt lgkmcnt(1)
	v_mul_f64 v[48:49], v[102:103], v[78:79]
	v_add_f64 v[44:45], v[44:45], -v[70:71]
	v_add_f64 v[38:39], v[38:39], -v[72:73]
	;; [unrolled: 1-line block ×4, first 2 shown]
	ds_read2_b64 v[70:73], v1 offset0:22 offset1:23
	ds_read2_b64 v[84:87], v1 offset0:24 offset1:25
	v_add_f64 v[36:37], v[36:37], -v[88:89]
	v_add_f64 v[30:31], v[30:31], -v[90:91]
	v_add_f64 v[32:33], v[32:33], -v[92:93]
	v_mul_f64 v[88:89], v[100:101], v[78:79]
	s_waitcnt lgkmcnt(2)
	v_mul_f64 v[90:91], v[106:107], v[78:79]
	v_mul_f64 v[92:93], v[104:105], v[78:79]
	s_waitcnt lgkmcnt(1)
	v_mul_f64 v[94:95], v[72:73], v[78:79]
	v_fma_f64 v[48:49], v[100:101], v[46:47], -v[48:49]
	s_waitcnt lgkmcnt(0)
	v_mul_f64 v[98:99], v[86:87], v[78:79]
	v_mul_f64 v[100:101], v[84:85], v[78:79]
	;; [unrolled: 1-line block ×3, first 2 shown]
	v_fma_f64 v[88:89], v[102:103], v[46:47], v[88:89]
	v_fma_f64 v[90:91], v[104:105], v[46:47], -v[90:91]
	v_fma_f64 v[92:93], v[106:107], v[46:47], v[92:93]
	v_fma_f64 v[70:71], v[70:71], v[46:47], -v[94:95]
	v_add_f64 v[26:27], v[26:27], -v[48:49]
	v_fma_f64 v[84:85], v[84:85], v[46:47], -v[98:99]
	v_fma_f64 v[86:87], v[86:87], v[46:47], v[100:101]
	v_fma_f64 v[48:49], v[72:73], v[46:47], v[96:97]
	v_add_f64 v[28:29], v[28:29], -v[88:89]
	v_add_f64 v[22:23], v[22:23], -v[90:91]
	v_add_f64 v[24:25], v[24:25], -v[92:93]
	v_add_f64 v[18:19], v[18:19], -v[70:71]
	ds_read2_b64 v[70:73], v1 offset0:26 offset1:27
	v_add_f64 v[14:15], v[14:15], -v[84:85]
	v_add_f64 v[16:17], v[16:17], -v[86:87]
	ds_read2_b64 v[84:87], v1 offset0:28 offset1:29
	ds_read2_b64 v[88:91], v1 offset0:30 offset1:31
	;; [unrolled: 1-line block ×3, first 2 shown]
	v_add_f64 v[20:21], v[20:21], -v[48:49]
	s_waitcnt lgkmcnt(3)
	v_mul_f64 v[48:49], v[72:73], v[78:79]
	v_mul_f64 v[96:97], v[70:71], v[78:79]
	s_waitcnt lgkmcnt(2)
	v_mul_f64 v[98:99], v[86:87], v[78:79]
	v_mul_f64 v[100:101], v[84:85], v[78:79]
	;; [unrolled: 3-line block ×4, first 2 shown]
	v_fma_f64 v[48:49], v[70:71], v[46:47], -v[48:49]
	v_fma_f64 v[70:71], v[72:73], v[46:47], v[96:97]
	v_fma_f64 v[72:73], v[84:85], v[46:47], -v[98:99]
	v_fma_f64 v[84:85], v[86:87], v[46:47], v[100:101]
	;; [unrolled: 2-line block ×4, first 2 shown]
	v_add_f64 v[10:11], v[10:11], -v[48:49]
	v_add_f64 v[12:13], v[12:13], -v[70:71]
	;; [unrolled: 1-line block ×8, first 2 shown]
	v_mov_b32_e32 v48, v78
	v_mov_b32_e32 v49, v79
.LBB32_104:
	s_or_b64 exec, exec, s[0:1]
	v_lshl_add_u32 v70, v80, 4, v1
	s_barrier
	ds_write2_b64 v70, v[42:43], v[44:45] offset1:1
	s_waitcnt lgkmcnt(0)
	s_barrier
	ds_read2_b64 v[70:73], v1 offset0:10 offset1:11
	s_cmp_lt_i32 s22, 7
	v_mov_b32_e32 v78, 5
	s_cbranch_scc1 .LBB32_107
; %bb.105:
	v_add_u32_e32 v79, 0x60, v1
	s_mov_b32 s2, 6
	v_mov_b32_e32 v78, 5
.LBB32_106:                             ; =>This Inner Loop Header: Depth=1
	s_waitcnt lgkmcnt(0)
	v_cmp_gt_f64_e32 vcc, 0, v[72:73]
	v_cmp_gt_f64_e64 s[0:1], 0, v[70:71]
	ds_read2_b64 v[84:87], v79 offset1:1
	v_xor_b32_e32 v89, 0x80000000, v71
	v_xor_b32_e32 v91, 0x80000000, v73
	v_mov_b32_e32 v88, v70
	v_mov_b32_e32 v90, v72
	s_waitcnt lgkmcnt(0)
	v_xor_b32_e32 v93, 0x80000000, v87
	v_cndmask_b32_e32 v91, v73, v91, vcc
	v_cndmask_b32_e64 v89, v71, v89, s[0:1]
	v_cmp_gt_f64_e32 vcc, 0, v[86:87]
	v_cmp_gt_f64_e64 s[0:1], 0, v[84:85]
	v_add_f64 v[88:89], v[88:89], v[90:91]
	v_xor_b32_e32 v91, 0x80000000, v85
	v_mov_b32_e32 v90, v84
	v_mov_b32_e32 v92, v86
	v_add_u32_e32 v79, 16, v79
	v_cndmask_b32_e32 v93, v87, v93, vcc
	v_cndmask_b32_e64 v91, v85, v91, s[0:1]
	v_add_f64 v[90:91], v[90:91], v[92:93]
	v_mov_b32_e32 v92, s2
	s_add_i32 s2, s2, 1
	s_cmp_lg_u32 s22, s2
	v_cmp_lt_f64_e32 vcc, v[88:89], v[90:91]
	v_cndmask_b32_e32 v71, v71, v85, vcc
	v_cndmask_b32_e32 v70, v70, v84, vcc
	v_cndmask_b32_e32 v73, v73, v87, vcc
	v_cndmask_b32_e32 v72, v72, v86, vcc
	v_cndmask_b32_e32 v78, v78, v92, vcc
	s_cbranch_scc1 .LBB32_106
.LBB32_107:
	s_waitcnt lgkmcnt(0)
	v_cmp_eq_f64_e32 vcc, 0, v[70:71]
	v_cmp_eq_f64_e64 s[0:1], 0, v[72:73]
	s_and_b64 s[0:1], vcc, s[0:1]
	s_and_saveexec_b64 s[2:3], s[0:1]
	s_xor_b64 s[0:1], exec, s[2:3]
; %bb.108:
	v_cmp_ne_u32_e32 vcc, 0, v83
	v_cndmask_b32_e32 v83, 6, v83, vcc
; %bb.109:
	s_andn2_saveexec_b64 s[0:1], s[0:1]
	s_cbranch_execz .LBB32_115
; %bb.110:
	v_cmp_ngt_f64_e64 s[2:3], |v[70:71]|, |v[72:73]|
	s_and_saveexec_b64 s[4:5], s[2:3]
	s_xor_b64 s[2:3], exec, s[4:5]
	s_cbranch_execz .LBB32_112
; %bb.111:
	v_div_scale_f64 v[84:85], s[4:5], v[72:73], v[72:73], v[70:71]
	v_rcp_f64_e32 v[86:87], v[84:85]
	v_fma_f64 v[88:89], -v[84:85], v[86:87], 1.0
	v_fma_f64 v[86:87], v[86:87], v[88:89], v[86:87]
	v_div_scale_f64 v[88:89], vcc, v[70:71], v[72:73], v[70:71]
	v_fma_f64 v[90:91], -v[84:85], v[86:87], 1.0
	v_fma_f64 v[86:87], v[86:87], v[90:91], v[86:87]
	v_mul_f64 v[90:91], v[88:89], v[86:87]
	v_fma_f64 v[84:85], -v[84:85], v[90:91], v[88:89]
	v_div_fmas_f64 v[84:85], v[84:85], v[86:87], v[90:91]
	v_div_fixup_f64 v[84:85], v[84:85], v[72:73], v[70:71]
	v_fma_f64 v[70:71], v[70:71], v[84:85], v[72:73]
	v_div_scale_f64 v[72:73], s[4:5], v[70:71], v[70:71], 1.0
	v_div_scale_f64 v[90:91], vcc, 1.0, v[70:71], 1.0
	v_rcp_f64_e32 v[86:87], v[72:73]
	v_fma_f64 v[88:89], -v[72:73], v[86:87], 1.0
	v_fma_f64 v[86:87], v[86:87], v[88:89], v[86:87]
	v_fma_f64 v[88:89], -v[72:73], v[86:87], 1.0
	v_fma_f64 v[86:87], v[86:87], v[88:89], v[86:87]
	v_mul_f64 v[88:89], v[90:91], v[86:87]
	v_fma_f64 v[72:73], -v[72:73], v[88:89], v[90:91]
	v_div_fmas_f64 v[72:73], v[72:73], v[86:87], v[88:89]
	v_div_fixup_f64 v[72:73], v[72:73], v[70:71], 1.0
	v_mul_f64 v[70:71], v[84:85], v[72:73]
	v_xor_b32_e32 v73, 0x80000000, v73
.LBB32_112:
	s_andn2_saveexec_b64 s[2:3], s[2:3]
	s_cbranch_execz .LBB32_114
; %bb.113:
	v_div_scale_f64 v[84:85], s[4:5], v[70:71], v[70:71], v[72:73]
	v_rcp_f64_e32 v[86:87], v[84:85]
	v_fma_f64 v[88:89], -v[84:85], v[86:87], 1.0
	v_fma_f64 v[86:87], v[86:87], v[88:89], v[86:87]
	v_div_scale_f64 v[88:89], vcc, v[72:73], v[70:71], v[72:73]
	v_fma_f64 v[90:91], -v[84:85], v[86:87], 1.0
	v_fma_f64 v[86:87], v[86:87], v[90:91], v[86:87]
	v_mul_f64 v[90:91], v[88:89], v[86:87]
	v_fma_f64 v[84:85], -v[84:85], v[90:91], v[88:89]
	v_div_fmas_f64 v[84:85], v[84:85], v[86:87], v[90:91]
	v_div_fixup_f64 v[84:85], v[84:85], v[70:71], v[72:73]
	v_fma_f64 v[70:71], v[72:73], v[84:85], v[70:71]
	v_div_scale_f64 v[72:73], s[4:5], v[70:71], v[70:71], 1.0
	v_div_scale_f64 v[90:91], vcc, 1.0, v[70:71], 1.0
	v_rcp_f64_e32 v[86:87], v[72:73]
	v_fma_f64 v[88:89], -v[72:73], v[86:87], 1.0
	v_fma_f64 v[86:87], v[86:87], v[88:89], v[86:87]
	v_fma_f64 v[88:89], -v[72:73], v[86:87], 1.0
	v_fma_f64 v[86:87], v[86:87], v[88:89], v[86:87]
	v_mul_f64 v[88:89], v[90:91], v[86:87]
	v_fma_f64 v[72:73], -v[72:73], v[88:89], v[90:91]
	v_div_fmas_f64 v[72:73], v[72:73], v[86:87], v[88:89]
	v_div_fixup_f64 v[70:71], v[72:73], v[70:71], 1.0
	v_mul_f64 v[72:73], v[84:85], -v[70:71]
.LBB32_114:
	s_or_b64 exec, exec, s[2:3]
.LBB32_115:
	s_or_b64 exec, exec, s[0:1]
	v_cmp_ne_u32_e32 vcc, v80, v78
	s_and_saveexec_b64 s[0:1], vcc
	s_xor_b64 s[0:1], exec, s[0:1]
	s_cbranch_execz .LBB32_121
; %bb.116:
	v_cmp_eq_u32_e32 vcc, 5, v80
	s_and_saveexec_b64 s[2:3], vcc
	s_cbranch_execz .LBB32_120
; %bb.117:
	v_cmp_ne_u32_e32 vcc, 5, v78
	s_xor_b64 s[4:5], s[18:19], -1
	s_and_b64 s[24:25], s[4:5], vcc
	s_and_saveexec_b64 s[4:5], s[24:25]
	s_cbranch_execz .LBB32_119
; %bb.118:
	v_ashrrev_i32_e32 v79, 31, v78
	v_lshlrev_b64 v[79:80], 2, v[78:79]
	v_add_co_u32_e32 v79, vcc, v76, v79
	v_addc_co_u32_e32 v80, vcc, v77, v80, vcc
	global_load_dword v0, v[79:80], off
	global_load_dword v84, v[76:77], off offset:20
	s_waitcnt vmcnt(1)
	global_store_dword v[76:77], v0, off offset:20
	s_waitcnt vmcnt(1)
	global_store_dword v[79:80], v84, off
.LBB32_119:
	s_or_b64 exec, exec, s[4:5]
	v_mov_b32_e32 v80, v78
	v_mov_b32_e32 v0, v78
.LBB32_120:
	s_or_b64 exec, exec, s[2:3]
.LBB32_121:
	s_andn2_saveexec_b64 s[0:1], s[0:1]
	s_cbranch_execz .LBB32_123
; %bb.122:
	v_mov_b32_e32 v80, 5
	ds_write2_b64 v1, v[38:39], v[40:41] offset0:12 offset1:13
	ds_write2_b64 v1, v[34:35], v[36:37] offset0:14 offset1:15
	;; [unrolled: 1-line block ×11, first 2 shown]
.LBB32_123:
	s_or_b64 exec, exec, s[0:1]
	v_cmp_lt_i32_e32 vcc, 5, v80
	s_waitcnt vmcnt(0) lgkmcnt(0)
	s_barrier
	s_and_saveexec_b64 s[0:1], vcc
	s_cbranch_execz .LBB32_125
; %bb.124:
	v_mul_f64 v[78:79], v[70:71], v[44:45]
	v_mul_f64 v[44:45], v[72:73], v[44:45]
	ds_read2_b64 v[84:87], v1 offset0:12 offset1:13
	ds_read2_b64 v[88:91], v1 offset0:14 offset1:15
	;; [unrolled: 1-line block ×7, first 2 shown]
	v_fma_f64 v[78:79], v[72:73], v[42:43], v[78:79]
	v_fma_f64 v[42:43], v[70:71], v[42:43], -v[44:45]
	s_waitcnt lgkmcnt(6)
	v_mul_f64 v[44:45], v[86:87], v[78:79]
	v_mul_f64 v[70:71], v[84:85], v[78:79]
	s_waitcnt lgkmcnt(5)
	v_mul_f64 v[72:73], v[90:91], v[78:79]
	v_mul_f64 v[112:113], v[88:89], v[78:79]
	;; [unrolled: 3-line block ×4, first 2 shown]
	v_fma_f64 v[44:45], v[84:85], v[42:43], -v[44:45]
	v_fma_f64 v[70:71], v[86:87], v[42:43], v[70:71]
	v_fma_f64 v[72:73], v[88:89], v[42:43], -v[72:73]
	v_fma_f64 v[84:85], v[90:91], v[42:43], v[112:113]
	;; [unrolled: 2-line block ×3, first 2 shown]
	s_waitcnt lgkmcnt(2)
	v_mul_f64 v[90:91], v[102:103], v[78:79]
	v_mul_f64 v[92:93], v[100:101], v[78:79]
	v_add_f64 v[38:39], v[38:39], -v[44:45]
	s_waitcnt lgkmcnt(1)
	v_mul_f64 v[44:45], v[106:107], v[78:79]
	v_fma_f64 v[94:95], v[96:97], v[42:43], -v[118:119]
	v_add_f64 v[36:37], v[36:37], -v[84:85]
	v_add_f64 v[30:31], v[30:31], -v[86:87]
	v_add_f64 v[32:33], v[32:33], -v[88:89]
	v_mul_f64 v[84:85], v[104:105], v[78:79]
	s_waitcnt lgkmcnt(0)
	v_mul_f64 v[86:87], v[110:111], v[78:79]
	v_mul_f64 v[88:89], v[108:109], v[78:79]
	v_fma_f64 v[90:91], v[100:101], v[42:43], -v[90:91]
	v_fma_f64 v[92:93], v[102:103], v[42:43], v[92:93]
	v_fma_f64 v[96:97], v[98:99], v[42:43], v[120:121]
	v_fma_f64 v[44:45], v[104:105], v[42:43], -v[44:45]
	v_add_f64 v[40:41], v[40:41], -v[70:71]
	v_fma_f64 v[84:85], v[106:107], v[42:43], v[84:85]
	v_fma_f64 v[86:87], v[108:109], v[42:43], -v[86:87]
	v_fma_f64 v[88:89], v[110:111], v[42:43], v[88:89]
	v_add_f64 v[34:35], v[34:35], -v[72:73]
	ds_read2_b64 v[70:73], v1 offset0:26 offset1:27
	v_add_f64 v[26:27], v[26:27], -v[94:95]
	v_add_f64 v[22:23], v[22:23], -v[90:91]
	;; [unrolled: 1-line block ×6, first 2 shown]
	ds_read2_b64 v[84:87], v1 offset0:28 offset1:29
	ds_read2_b64 v[88:91], v1 offset0:30 offset1:31
	;; [unrolled: 1-line block ×3, first 2 shown]
	v_add_f64 v[28:29], v[28:29], -v[96:97]
	v_add_f64 v[18:19], v[18:19], -v[44:45]
	s_waitcnt lgkmcnt(3)
	v_mul_f64 v[44:45], v[72:73], v[78:79]
	v_mul_f64 v[96:97], v[70:71], v[78:79]
	s_waitcnt lgkmcnt(2)
	v_mul_f64 v[98:99], v[86:87], v[78:79]
	v_mul_f64 v[100:101], v[84:85], v[78:79]
	;; [unrolled: 3-line block ×4, first 2 shown]
	v_fma_f64 v[44:45], v[70:71], v[42:43], -v[44:45]
	v_fma_f64 v[70:71], v[72:73], v[42:43], v[96:97]
	v_fma_f64 v[72:73], v[84:85], v[42:43], -v[98:99]
	v_fma_f64 v[84:85], v[86:87], v[42:43], v[100:101]
	;; [unrolled: 2-line block ×4, first 2 shown]
	v_add_f64 v[10:11], v[10:11], -v[44:45]
	v_add_f64 v[12:13], v[12:13], -v[70:71]
	v_add_f64 v[6:7], v[6:7], -v[72:73]
	v_add_f64 v[8:9], v[8:9], -v[84:85]
	v_add_f64 v[2:3], v[2:3], -v[86:87]
	v_add_f64 v[4:5], v[4:5], -v[88:89]
	v_add_f64 v[66:67], v[66:67], -v[90:91]
	v_add_f64 v[68:69], v[68:69], -v[92:93]
	v_mov_b32_e32 v44, v78
	v_mov_b32_e32 v45, v79
.LBB32_125:
	s_or_b64 exec, exec, s[0:1]
	v_lshl_add_u32 v70, v80, 4, v1
	s_barrier
	ds_write2_b64 v70, v[38:39], v[40:41] offset1:1
	s_waitcnt lgkmcnt(0)
	s_barrier
	ds_read2_b64 v[70:73], v1 offset0:12 offset1:13
	s_cmp_lt_i32 s22, 8
	v_mov_b32_e32 v78, 6
	s_cbranch_scc1 .LBB32_128
; %bb.126:
	v_add_u32_e32 v79, 0x70, v1
	s_mov_b32 s2, 7
	v_mov_b32_e32 v78, 6
.LBB32_127:                             ; =>This Inner Loop Header: Depth=1
	s_waitcnt lgkmcnt(0)
	v_cmp_gt_f64_e32 vcc, 0, v[72:73]
	v_cmp_gt_f64_e64 s[0:1], 0, v[70:71]
	ds_read2_b64 v[84:87], v79 offset1:1
	v_xor_b32_e32 v89, 0x80000000, v71
	v_xor_b32_e32 v91, 0x80000000, v73
	v_mov_b32_e32 v88, v70
	v_mov_b32_e32 v90, v72
	s_waitcnt lgkmcnt(0)
	v_xor_b32_e32 v93, 0x80000000, v87
	v_cndmask_b32_e32 v91, v73, v91, vcc
	v_cndmask_b32_e64 v89, v71, v89, s[0:1]
	v_cmp_gt_f64_e32 vcc, 0, v[86:87]
	v_cmp_gt_f64_e64 s[0:1], 0, v[84:85]
	v_add_f64 v[88:89], v[88:89], v[90:91]
	v_xor_b32_e32 v91, 0x80000000, v85
	v_mov_b32_e32 v90, v84
	v_mov_b32_e32 v92, v86
	v_add_u32_e32 v79, 16, v79
	v_cndmask_b32_e32 v93, v87, v93, vcc
	v_cndmask_b32_e64 v91, v85, v91, s[0:1]
	v_add_f64 v[90:91], v[90:91], v[92:93]
	v_mov_b32_e32 v92, s2
	s_add_i32 s2, s2, 1
	s_cmp_lg_u32 s22, s2
	v_cmp_lt_f64_e32 vcc, v[88:89], v[90:91]
	v_cndmask_b32_e32 v71, v71, v85, vcc
	v_cndmask_b32_e32 v70, v70, v84, vcc
	;; [unrolled: 1-line block ×5, first 2 shown]
	s_cbranch_scc1 .LBB32_127
.LBB32_128:
	s_waitcnt lgkmcnt(0)
	v_cmp_eq_f64_e32 vcc, 0, v[70:71]
	v_cmp_eq_f64_e64 s[0:1], 0, v[72:73]
	s_and_b64 s[0:1], vcc, s[0:1]
	s_and_saveexec_b64 s[2:3], s[0:1]
	s_xor_b64 s[0:1], exec, s[2:3]
; %bb.129:
	v_cmp_ne_u32_e32 vcc, 0, v83
	v_cndmask_b32_e32 v83, 7, v83, vcc
; %bb.130:
	s_andn2_saveexec_b64 s[0:1], s[0:1]
	s_cbranch_execz .LBB32_136
; %bb.131:
	v_cmp_ngt_f64_e64 s[2:3], |v[70:71]|, |v[72:73]|
	s_and_saveexec_b64 s[4:5], s[2:3]
	s_xor_b64 s[2:3], exec, s[4:5]
	s_cbranch_execz .LBB32_133
; %bb.132:
	v_div_scale_f64 v[84:85], s[4:5], v[72:73], v[72:73], v[70:71]
	v_rcp_f64_e32 v[86:87], v[84:85]
	v_fma_f64 v[88:89], -v[84:85], v[86:87], 1.0
	v_fma_f64 v[86:87], v[86:87], v[88:89], v[86:87]
	v_div_scale_f64 v[88:89], vcc, v[70:71], v[72:73], v[70:71]
	v_fma_f64 v[90:91], -v[84:85], v[86:87], 1.0
	v_fma_f64 v[86:87], v[86:87], v[90:91], v[86:87]
	v_mul_f64 v[90:91], v[88:89], v[86:87]
	v_fma_f64 v[84:85], -v[84:85], v[90:91], v[88:89]
	v_div_fmas_f64 v[84:85], v[84:85], v[86:87], v[90:91]
	v_div_fixup_f64 v[84:85], v[84:85], v[72:73], v[70:71]
	v_fma_f64 v[70:71], v[70:71], v[84:85], v[72:73]
	v_div_scale_f64 v[72:73], s[4:5], v[70:71], v[70:71], 1.0
	v_div_scale_f64 v[90:91], vcc, 1.0, v[70:71], 1.0
	v_rcp_f64_e32 v[86:87], v[72:73]
	v_fma_f64 v[88:89], -v[72:73], v[86:87], 1.0
	v_fma_f64 v[86:87], v[86:87], v[88:89], v[86:87]
	v_fma_f64 v[88:89], -v[72:73], v[86:87], 1.0
	v_fma_f64 v[86:87], v[86:87], v[88:89], v[86:87]
	v_mul_f64 v[88:89], v[90:91], v[86:87]
	v_fma_f64 v[72:73], -v[72:73], v[88:89], v[90:91]
	v_div_fmas_f64 v[72:73], v[72:73], v[86:87], v[88:89]
	v_div_fixup_f64 v[72:73], v[72:73], v[70:71], 1.0
	v_mul_f64 v[70:71], v[84:85], v[72:73]
	v_xor_b32_e32 v73, 0x80000000, v73
.LBB32_133:
	s_andn2_saveexec_b64 s[2:3], s[2:3]
	s_cbranch_execz .LBB32_135
; %bb.134:
	v_div_scale_f64 v[84:85], s[4:5], v[70:71], v[70:71], v[72:73]
	v_rcp_f64_e32 v[86:87], v[84:85]
	v_fma_f64 v[88:89], -v[84:85], v[86:87], 1.0
	v_fma_f64 v[86:87], v[86:87], v[88:89], v[86:87]
	v_div_scale_f64 v[88:89], vcc, v[72:73], v[70:71], v[72:73]
	v_fma_f64 v[90:91], -v[84:85], v[86:87], 1.0
	v_fma_f64 v[86:87], v[86:87], v[90:91], v[86:87]
	v_mul_f64 v[90:91], v[88:89], v[86:87]
	v_fma_f64 v[84:85], -v[84:85], v[90:91], v[88:89]
	v_div_fmas_f64 v[84:85], v[84:85], v[86:87], v[90:91]
	v_div_fixup_f64 v[84:85], v[84:85], v[70:71], v[72:73]
	v_fma_f64 v[70:71], v[72:73], v[84:85], v[70:71]
	v_div_scale_f64 v[72:73], s[4:5], v[70:71], v[70:71], 1.0
	v_div_scale_f64 v[90:91], vcc, 1.0, v[70:71], 1.0
	v_rcp_f64_e32 v[86:87], v[72:73]
	v_fma_f64 v[88:89], -v[72:73], v[86:87], 1.0
	v_fma_f64 v[86:87], v[86:87], v[88:89], v[86:87]
	v_fma_f64 v[88:89], -v[72:73], v[86:87], 1.0
	v_fma_f64 v[86:87], v[86:87], v[88:89], v[86:87]
	v_mul_f64 v[88:89], v[90:91], v[86:87]
	v_fma_f64 v[72:73], -v[72:73], v[88:89], v[90:91]
	v_div_fmas_f64 v[72:73], v[72:73], v[86:87], v[88:89]
	v_div_fixup_f64 v[70:71], v[72:73], v[70:71], 1.0
	v_mul_f64 v[72:73], v[84:85], -v[70:71]
.LBB32_135:
	s_or_b64 exec, exec, s[2:3]
.LBB32_136:
	s_or_b64 exec, exec, s[0:1]
	v_cmp_ne_u32_e32 vcc, v80, v78
	s_and_saveexec_b64 s[0:1], vcc
	s_xor_b64 s[0:1], exec, s[0:1]
	s_cbranch_execz .LBB32_142
; %bb.137:
	v_cmp_eq_u32_e32 vcc, 6, v80
	s_and_saveexec_b64 s[2:3], vcc
	s_cbranch_execz .LBB32_141
; %bb.138:
	v_cmp_ne_u32_e32 vcc, 6, v78
	s_xor_b64 s[4:5], s[18:19], -1
	s_and_b64 s[24:25], s[4:5], vcc
	s_and_saveexec_b64 s[4:5], s[24:25]
	s_cbranch_execz .LBB32_140
; %bb.139:
	v_ashrrev_i32_e32 v79, 31, v78
	v_lshlrev_b64 v[79:80], 2, v[78:79]
	v_add_co_u32_e32 v79, vcc, v76, v79
	v_addc_co_u32_e32 v80, vcc, v77, v80, vcc
	global_load_dword v0, v[79:80], off
	global_load_dword v84, v[76:77], off offset:24
	s_waitcnt vmcnt(1)
	global_store_dword v[76:77], v0, off offset:24
	s_waitcnt vmcnt(1)
	global_store_dword v[79:80], v84, off
.LBB32_140:
	s_or_b64 exec, exec, s[4:5]
	v_mov_b32_e32 v80, v78
	v_mov_b32_e32 v0, v78
.LBB32_141:
	s_or_b64 exec, exec, s[2:3]
.LBB32_142:
	s_andn2_saveexec_b64 s[0:1], s[0:1]
	s_cbranch_execz .LBB32_144
; %bb.143:
	v_mov_b32_e32 v80, 6
	ds_write2_b64 v1, v[34:35], v[36:37] offset0:14 offset1:15
	ds_write2_b64 v1, v[30:31], v[32:33] offset0:16 offset1:17
	;; [unrolled: 1-line block ×10, first 2 shown]
.LBB32_144:
	s_or_b64 exec, exec, s[0:1]
	v_cmp_lt_i32_e32 vcc, 6, v80
	s_waitcnt vmcnt(0) lgkmcnt(0)
	s_barrier
	s_and_saveexec_b64 s[0:1], vcc
	s_cbranch_execz .LBB32_146
; %bb.145:
	v_mul_f64 v[78:79], v[70:71], v[40:41]
	v_mul_f64 v[40:41], v[72:73], v[40:41]
	ds_read2_b64 v[84:87], v1 offset0:14 offset1:15
	ds_read2_b64 v[88:91], v1 offset0:16 offset1:17
	;; [unrolled: 1-line block ×6, first 2 shown]
	v_fma_f64 v[78:79], v[72:73], v[38:39], v[78:79]
	v_fma_f64 v[38:39], v[70:71], v[38:39], -v[40:41]
	s_waitcnt lgkmcnt(5)
	v_mul_f64 v[40:41], v[86:87], v[78:79]
	v_mul_f64 v[70:71], v[84:85], v[78:79]
	s_waitcnt lgkmcnt(4)
	v_mul_f64 v[72:73], v[90:91], v[78:79]
	v_mul_f64 v[108:109], v[88:89], v[78:79]
	;; [unrolled: 3-line block ×3, first 2 shown]
	s_waitcnt lgkmcnt(2)
	v_mul_f64 v[114:115], v[98:99], v[78:79]
	s_waitcnt lgkmcnt(1)
	v_mul_f64 v[118:119], v[102:103], v[78:79]
	v_mul_f64 v[120:121], v[100:101], v[78:79]
	s_waitcnt lgkmcnt(0)
	v_mul_f64 v[122:123], v[106:107], v[78:79]
	v_fma_f64 v[40:41], v[84:85], v[38:39], -v[40:41]
	v_fma_f64 v[70:71], v[86:87], v[38:39], v[70:71]
	v_fma_f64 v[72:73], v[88:89], v[38:39], -v[72:73]
	v_fma_f64 v[84:85], v[90:91], v[38:39], v[108:109]
	v_mul_f64 v[86:87], v[104:105], v[78:79]
	v_fma_f64 v[88:89], v[92:93], v[38:39], -v[110:111]
	v_mul_f64 v[116:117], v[96:97], v[78:79]
	v_fma_f64 v[90:91], v[94:95], v[38:39], v[112:113]
	v_fma_f64 v[92:93], v[96:97], v[38:39], -v[114:115]
	v_add_f64 v[36:37], v[36:37], -v[70:71]
	v_fma_f64 v[70:71], v[100:101], v[38:39], -v[118:119]
	v_add_f64 v[32:33], v[32:33], -v[84:85]
	v_fma_f64 v[84:85], v[102:103], v[38:39], v[120:121]
	v_add_f64 v[26:27], v[26:27], -v[88:89]
	v_fma_f64 v[88:89], v[104:105], v[38:39], -v[122:123]
	v_fma_f64 v[86:87], v[106:107], v[38:39], v[86:87]
	v_add_f64 v[34:35], v[34:35], -v[40:41]
	v_fma_f64 v[40:41], v[98:99], v[38:39], v[116:117]
	v_add_f64 v[30:31], v[30:31], -v[72:73]
	v_add_f64 v[28:29], v[28:29], -v[90:91]
	;; [unrolled: 1-line block ×4, first 2 shown]
	ds_read2_b64 v[70:73], v1 offset0:26 offset1:27
	v_add_f64 v[20:21], v[20:21], -v[84:85]
	v_add_f64 v[14:15], v[14:15], -v[88:89]
	;; [unrolled: 1-line block ×3, first 2 shown]
	ds_read2_b64 v[84:87], v1 offset0:28 offset1:29
	ds_read2_b64 v[88:91], v1 offset0:30 offset1:31
	;; [unrolled: 1-line block ×3, first 2 shown]
	v_add_f64 v[24:25], v[24:25], -v[40:41]
	s_waitcnt lgkmcnt(3)
	v_mul_f64 v[40:41], v[72:73], v[78:79]
	v_mul_f64 v[96:97], v[70:71], v[78:79]
	s_waitcnt lgkmcnt(2)
	v_mul_f64 v[98:99], v[86:87], v[78:79]
	v_mul_f64 v[100:101], v[84:85], v[78:79]
	;; [unrolled: 3-line block ×4, first 2 shown]
	v_fma_f64 v[40:41], v[70:71], v[38:39], -v[40:41]
	v_fma_f64 v[70:71], v[72:73], v[38:39], v[96:97]
	v_fma_f64 v[72:73], v[84:85], v[38:39], -v[98:99]
	v_fma_f64 v[84:85], v[86:87], v[38:39], v[100:101]
	v_fma_f64 v[86:87], v[88:89], v[38:39], -v[102:103]
	v_fma_f64 v[88:89], v[90:91], v[38:39], v[104:105]
	v_fma_f64 v[90:91], v[92:93], v[38:39], -v[106:107]
	v_fma_f64 v[92:93], v[94:95], v[38:39], v[108:109]
	v_add_f64 v[10:11], v[10:11], -v[40:41]
	v_add_f64 v[12:13], v[12:13], -v[70:71]
	;; [unrolled: 1-line block ×8, first 2 shown]
	v_mov_b32_e32 v40, v78
	v_mov_b32_e32 v41, v79
.LBB32_146:
	s_or_b64 exec, exec, s[0:1]
	v_lshl_add_u32 v70, v80, 4, v1
	s_barrier
	ds_write2_b64 v70, v[34:35], v[36:37] offset1:1
	s_waitcnt lgkmcnt(0)
	s_barrier
	ds_read2_b64 v[70:73], v1 offset0:14 offset1:15
	s_cmp_lt_i32 s22, 9
	v_mov_b32_e32 v78, 7
	s_cbranch_scc1 .LBB32_149
; %bb.147:
	v_add_u32_e32 v79, 0x80, v1
	s_mov_b32 s2, 8
	v_mov_b32_e32 v78, 7
.LBB32_148:                             ; =>This Inner Loop Header: Depth=1
	s_waitcnt lgkmcnt(0)
	v_cmp_gt_f64_e32 vcc, 0, v[72:73]
	v_cmp_gt_f64_e64 s[0:1], 0, v[70:71]
	ds_read2_b64 v[84:87], v79 offset1:1
	v_xor_b32_e32 v89, 0x80000000, v71
	v_xor_b32_e32 v91, 0x80000000, v73
	v_mov_b32_e32 v88, v70
	v_mov_b32_e32 v90, v72
	s_waitcnt lgkmcnt(0)
	v_xor_b32_e32 v93, 0x80000000, v87
	v_cndmask_b32_e32 v91, v73, v91, vcc
	v_cndmask_b32_e64 v89, v71, v89, s[0:1]
	v_cmp_gt_f64_e32 vcc, 0, v[86:87]
	v_cmp_gt_f64_e64 s[0:1], 0, v[84:85]
	v_add_f64 v[88:89], v[88:89], v[90:91]
	v_xor_b32_e32 v91, 0x80000000, v85
	v_mov_b32_e32 v90, v84
	v_mov_b32_e32 v92, v86
	v_add_u32_e32 v79, 16, v79
	v_cndmask_b32_e32 v93, v87, v93, vcc
	v_cndmask_b32_e64 v91, v85, v91, s[0:1]
	v_add_f64 v[90:91], v[90:91], v[92:93]
	v_mov_b32_e32 v92, s2
	s_add_i32 s2, s2, 1
	s_cmp_lg_u32 s22, s2
	v_cmp_lt_f64_e32 vcc, v[88:89], v[90:91]
	v_cndmask_b32_e32 v71, v71, v85, vcc
	v_cndmask_b32_e32 v70, v70, v84, vcc
	;; [unrolled: 1-line block ×5, first 2 shown]
	s_cbranch_scc1 .LBB32_148
.LBB32_149:
	s_waitcnt lgkmcnt(0)
	v_cmp_eq_f64_e32 vcc, 0, v[70:71]
	v_cmp_eq_f64_e64 s[0:1], 0, v[72:73]
	s_and_b64 s[0:1], vcc, s[0:1]
	s_and_saveexec_b64 s[2:3], s[0:1]
	s_xor_b64 s[0:1], exec, s[2:3]
; %bb.150:
	v_cmp_ne_u32_e32 vcc, 0, v83
	v_cndmask_b32_e32 v83, 8, v83, vcc
; %bb.151:
	s_andn2_saveexec_b64 s[0:1], s[0:1]
	s_cbranch_execz .LBB32_157
; %bb.152:
	v_cmp_ngt_f64_e64 s[2:3], |v[70:71]|, |v[72:73]|
	s_and_saveexec_b64 s[4:5], s[2:3]
	s_xor_b64 s[2:3], exec, s[4:5]
	s_cbranch_execz .LBB32_154
; %bb.153:
	v_div_scale_f64 v[84:85], s[4:5], v[72:73], v[72:73], v[70:71]
	v_rcp_f64_e32 v[86:87], v[84:85]
	v_fma_f64 v[88:89], -v[84:85], v[86:87], 1.0
	v_fma_f64 v[86:87], v[86:87], v[88:89], v[86:87]
	v_div_scale_f64 v[88:89], vcc, v[70:71], v[72:73], v[70:71]
	v_fma_f64 v[90:91], -v[84:85], v[86:87], 1.0
	v_fma_f64 v[86:87], v[86:87], v[90:91], v[86:87]
	v_mul_f64 v[90:91], v[88:89], v[86:87]
	v_fma_f64 v[84:85], -v[84:85], v[90:91], v[88:89]
	v_div_fmas_f64 v[84:85], v[84:85], v[86:87], v[90:91]
	v_div_fixup_f64 v[84:85], v[84:85], v[72:73], v[70:71]
	v_fma_f64 v[70:71], v[70:71], v[84:85], v[72:73]
	v_div_scale_f64 v[72:73], s[4:5], v[70:71], v[70:71], 1.0
	v_div_scale_f64 v[90:91], vcc, 1.0, v[70:71], 1.0
	v_rcp_f64_e32 v[86:87], v[72:73]
	v_fma_f64 v[88:89], -v[72:73], v[86:87], 1.0
	v_fma_f64 v[86:87], v[86:87], v[88:89], v[86:87]
	v_fma_f64 v[88:89], -v[72:73], v[86:87], 1.0
	v_fma_f64 v[86:87], v[86:87], v[88:89], v[86:87]
	v_mul_f64 v[88:89], v[90:91], v[86:87]
	v_fma_f64 v[72:73], -v[72:73], v[88:89], v[90:91]
	v_div_fmas_f64 v[72:73], v[72:73], v[86:87], v[88:89]
	v_div_fixup_f64 v[72:73], v[72:73], v[70:71], 1.0
	v_mul_f64 v[70:71], v[84:85], v[72:73]
	v_xor_b32_e32 v73, 0x80000000, v73
.LBB32_154:
	s_andn2_saveexec_b64 s[2:3], s[2:3]
	s_cbranch_execz .LBB32_156
; %bb.155:
	v_div_scale_f64 v[84:85], s[4:5], v[70:71], v[70:71], v[72:73]
	v_rcp_f64_e32 v[86:87], v[84:85]
	v_fma_f64 v[88:89], -v[84:85], v[86:87], 1.0
	v_fma_f64 v[86:87], v[86:87], v[88:89], v[86:87]
	v_div_scale_f64 v[88:89], vcc, v[72:73], v[70:71], v[72:73]
	v_fma_f64 v[90:91], -v[84:85], v[86:87], 1.0
	v_fma_f64 v[86:87], v[86:87], v[90:91], v[86:87]
	v_mul_f64 v[90:91], v[88:89], v[86:87]
	v_fma_f64 v[84:85], -v[84:85], v[90:91], v[88:89]
	v_div_fmas_f64 v[84:85], v[84:85], v[86:87], v[90:91]
	v_div_fixup_f64 v[84:85], v[84:85], v[70:71], v[72:73]
	v_fma_f64 v[70:71], v[72:73], v[84:85], v[70:71]
	v_div_scale_f64 v[72:73], s[4:5], v[70:71], v[70:71], 1.0
	v_div_scale_f64 v[90:91], vcc, 1.0, v[70:71], 1.0
	v_rcp_f64_e32 v[86:87], v[72:73]
	v_fma_f64 v[88:89], -v[72:73], v[86:87], 1.0
	v_fma_f64 v[86:87], v[86:87], v[88:89], v[86:87]
	v_fma_f64 v[88:89], -v[72:73], v[86:87], 1.0
	v_fma_f64 v[86:87], v[86:87], v[88:89], v[86:87]
	v_mul_f64 v[88:89], v[90:91], v[86:87]
	v_fma_f64 v[72:73], -v[72:73], v[88:89], v[90:91]
	v_div_fmas_f64 v[72:73], v[72:73], v[86:87], v[88:89]
	v_div_fixup_f64 v[70:71], v[72:73], v[70:71], 1.0
	v_mul_f64 v[72:73], v[84:85], -v[70:71]
.LBB32_156:
	s_or_b64 exec, exec, s[2:3]
.LBB32_157:
	s_or_b64 exec, exec, s[0:1]
	v_cmp_ne_u32_e32 vcc, v80, v78
	s_and_saveexec_b64 s[0:1], vcc
	s_xor_b64 s[0:1], exec, s[0:1]
	s_cbranch_execz .LBB32_163
; %bb.158:
	v_cmp_eq_u32_e32 vcc, 7, v80
	s_and_saveexec_b64 s[2:3], vcc
	s_cbranch_execz .LBB32_162
; %bb.159:
	v_cmp_ne_u32_e32 vcc, 7, v78
	s_xor_b64 s[4:5], s[18:19], -1
	s_and_b64 s[24:25], s[4:5], vcc
	s_and_saveexec_b64 s[4:5], s[24:25]
	s_cbranch_execz .LBB32_161
; %bb.160:
	v_ashrrev_i32_e32 v79, 31, v78
	v_lshlrev_b64 v[79:80], 2, v[78:79]
	v_add_co_u32_e32 v79, vcc, v76, v79
	v_addc_co_u32_e32 v80, vcc, v77, v80, vcc
	global_load_dword v0, v[79:80], off
	global_load_dword v84, v[76:77], off offset:28
	s_waitcnt vmcnt(1)
	global_store_dword v[76:77], v0, off offset:28
	s_waitcnt vmcnt(1)
	global_store_dword v[79:80], v84, off
.LBB32_161:
	s_or_b64 exec, exec, s[4:5]
	v_mov_b32_e32 v80, v78
	v_mov_b32_e32 v0, v78
.LBB32_162:
	s_or_b64 exec, exec, s[2:3]
.LBB32_163:
	s_andn2_saveexec_b64 s[0:1], s[0:1]
	s_cbranch_execz .LBB32_165
; %bb.164:
	v_mov_b32_e32 v80, 7
	ds_write2_b64 v1, v[30:31], v[32:33] offset0:16 offset1:17
	ds_write2_b64 v1, v[26:27], v[28:29] offset0:18 offset1:19
	;; [unrolled: 1-line block ×9, first 2 shown]
.LBB32_165:
	s_or_b64 exec, exec, s[0:1]
	v_cmp_lt_i32_e32 vcc, 7, v80
	s_waitcnt vmcnt(0) lgkmcnt(0)
	s_barrier
	s_and_saveexec_b64 s[0:1], vcc
	s_cbranch_execz .LBB32_167
; %bb.166:
	v_mul_f64 v[78:79], v[70:71], v[36:37]
	v_mul_f64 v[36:37], v[72:73], v[36:37]
	ds_read2_b64 v[84:87], v1 offset0:16 offset1:17
	ds_read2_b64 v[88:91], v1 offset0:18 offset1:19
	;; [unrolled: 1-line block ×6, first 2 shown]
	v_fma_f64 v[78:79], v[72:73], v[34:35], v[78:79]
	v_fma_f64 v[34:35], v[70:71], v[34:35], -v[36:37]
	s_waitcnt lgkmcnt(5)
	v_mul_f64 v[36:37], v[86:87], v[78:79]
	v_mul_f64 v[70:71], v[84:85], v[78:79]
	s_waitcnt lgkmcnt(4)
	v_mul_f64 v[72:73], v[90:91], v[78:79]
	v_mul_f64 v[108:109], v[88:89], v[78:79]
	;; [unrolled: 3-line block ×5, first 2 shown]
	v_fma_f64 v[36:37], v[84:85], v[34:35], -v[36:37]
	v_fma_f64 v[70:71], v[86:87], v[34:35], v[70:71]
	v_fma_f64 v[72:73], v[88:89], v[34:35], -v[72:73]
	v_fma_f64 v[84:85], v[90:91], v[34:35], v[108:109]
	;; [unrolled: 2-line block ×5, first 2 shown]
	v_add_f64 v[32:33], v[32:33], -v[70:71]
	v_add_f64 v[26:27], v[26:27], -v[72:73]
	;; [unrolled: 1-line block ×6, first 2 shown]
	ds_read2_b64 v[70:73], v1 offset0:28 offset1:29
	ds_read2_b64 v[84:87], v1 offset0:30 offset1:31
	;; [unrolled: 1-line block ×3, first 2 shown]
	v_add_f64 v[30:31], v[30:31], -v[36:37]
	v_add_f64 v[20:21], v[20:21], -v[92:93]
	v_add_f64 v[14:15], v[14:15], -v[94:95]
	v_add_f64 v[16:17], v[16:17], -v[96:97]
	s_waitcnt lgkmcnt(3)
	v_mul_f64 v[36:37], v[106:107], v[78:79]
	v_mul_f64 v[92:93], v[104:105], v[78:79]
	s_waitcnt lgkmcnt(2)
	v_mul_f64 v[94:95], v[72:73], v[78:79]
	v_mul_f64 v[96:97], v[70:71], v[78:79]
	;; [unrolled: 3-line block ×4, first 2 shown]
	v_fma_f64 v[36:37], v[104:105], v[34:35], -v[36:37]
	v_fma_f64 v[92:93], v[106:107], v[34:35], v[92:93]
	v_fma_f64 v[70:71], v[70:71], v[34:35], -v[94:95]
	v_fma_f64 v[72:73], v[72:73], v[34:35], v[96:97]
	;; [unrolled: 2-line block ×4, first 2 shown]
	v_add_f64 v[10:11], v[10:11], -v[36:37]
	v_add_f64 v[12:13], v[12:13], -v[92:93]
	;; [unrolled: 1-line block ×8, first 2 shown]
	v_mov_b32_e32 v36, v78
	v_mov_b32_e32 v37, v79
.LBB32_167:
	s_or_b64 exec, exec, s[0:1]
	v_lshl_add_u32 v70, v80, 4, v1
	s_barrier
	ds_write2_b64 v70, v[30:31], v[32:33] offset1:1
	s_waitcnt lgkmcnt(0)
	s_barrier
	ds_read2_b64 v[70:73], v1 offset0:16 offset1:17
	s_cmp_lt_i32 s22, 10
	v_mov_b32_e32 v78, 8
	s_cbranch_scc1 .LBB32_170
; %bb.168:
	v_add_u32_e32 v79, 0x90, v1
	s_mov_b32 s2, 9
	v_mov_b32_e32 v78, 8
.LBB32_169:                             ; =>This Inner Loop Header: Depth=1
	s_waitcnt lgkmcnt(0)
	v_cmp_gt_f64_e32 vcc, 0, v[72:73]
	v_cmp_gt_f64_e64 s[0:1], 0, v[70:71]
	ds_read2_b64 v[84:87], v79 offset1:1
	v_xor_b32_e32 v89, 0x80000000, v71
	v_xor_b32_e32 v91, 0x80000000, v73
	v_mov_b32_e32 v88, v70
	v_mov_b32_e32 v90, v72
	s_waitcnt lgkmcnt(0)
	v_xor_b32_e32 v93, 0x80000000, v87
	v_cndmask_b32_e32 v91, v73, v91, vcc
	v_cndmask_b32_e64 v89, v71, v89, s[0:1]
	v_cmp_gt_f64_e32 vcc, 0, v[86:87]
	v_cmp_gt_f64_e64 s[0:1], 0, v[84:85]
	v_add_f64 v[88:89], v[88:89], v[90:91]
	v_xor_b32_e32 v91, 0x80000000, v85
	v_mov_b32_e32 v90, v84
	v_mov_b32_e32 v92, v86
	v_add_u32_e32 v79, 16, v79
	v_cndmask_b32_e32 v93, v87, v93, vcc
	v_cndmask_b32_e64 v91, v85, v91, s[0:1]
	v_add_f64 v[90:91], v[90:91], v[92:93]
	v_mov_b32_e32 v92, s2
	s_add_i32 s2, s2, 1
	s_cmp_lg_u32 s22, s2
	v_cmp_lt_f64_e32 vcc, v[88:89], v[90:91]
	v_cndmask_b32_e32 v71, v71, v85, vcc
	v_cndmask_b32_e32 v70, v70, v84, vcc
	;; [unrolled: 1-line block ×5, first 2 shown]
	s_cbranch_scc1 .LBB32_169
.LBB32_170:
	s_waitcnt lgkmcnt(0)
	v_cmp_eq_f64_e32 vcc, 0, v[70:71]
	v_cmp_eq_f64_e64 s[0:1], 0, v[72:73]
	s_and_b64 s[0:1], vcc, s[0:1]
	s_and_saveexec_b64 s[2:3], s[0:1]
	s_xor_b64 s[0:1], exec, s[2:3]
; %bb.171:
	v_cmp_ne_u32_e32 vcc, 0, v83
	v_cndmask_b32_e32 v83, 9, v83, vcc
; %bb.172:
	s_andn2_saveexec_b64 s[0:1], s[0:1]
	s_cbranch_execz .LBB32_178
; %bb.173:
	v_cmp_ngt_f64_e64 s[2:3], |v[70:71]|, |v[72:73]|
	s_and_saveexec_b64 s[4:5], s[2:3]
	s_xor_b64 s[2:3], exec, s[4:5]
	s_cbranch_execz .LBB32_175
; %bb.174:
	v_div_scale_f64 v[84:85], s[4:5], v[72:73], v[72:73], v[70:71]
	v_rcp_f64_e32 v[86:87], v[84:85]
	v_fma_f64 v[88:89], -v[84:85], v[86:87], 1.0
	v_fma_f64 v[86:87], v[86:87], v[88:89], v[86:87]
	v_div_scale_f64 v[88:89], vcc, v[70:71], v[72:73], v[70:71]
	v_fma_f64 v[90:91], -v[84:85], v[86:87], 1.0
	v_fma_f64 v[86:87], v[86:87], v[90:91], v[86:87]
	v_mul_f64 v[90:91], v[88:89], v[86:87]
	v_fma_f64 v[84:85], -v[84:85], v[90:91], v[88:89]
	v_div_fmas_f64 v[84:85], v[84:85], v[86:87], v[90:91]
	v_div_fixup_f64 v[84:85], v[84:85], v[72:73], v[70:71]
	v_fma_f64 v[70:71], v[70:71], v[84:85], v[72:73]
	v_div_scale_f64 v[72:73], s[4:5], v[70:71], v[70:71], 1.0
	v_div_scale_f64 v[90:91], vcc, 1.0, v[70:71], 1.0
	v_rcp_f64_e32 v[86:87], v[72:73]
	v_fma_f64 v[88:89], -v[72:73], v[86:87], 1.0
	v_fma_f64 v[86:87], v[86:87], v[88:89], v[86:87]
	v_fma_f64 v[88:89], -v[72:73], v[86:87], 1.0
	v_fma_f64 v[86:87], v[86:87], v[88:89], v[86:87]
	v_mul_f64 v[88:89], v[90:91], v[86:87]
	v_fma_f64 v[72:73], -v[72:73], v[88:89], v[90:91]
	v_div_fmas_f64 v[72:73], v[72:73], v[86:87], v[88:89]
	v_div_fixup_f64 v[72:73], v[72:73], v[70:71], 1.0
	v_mul_f64 v[70:71], v[84:85], v[72:73]
	v_xor_b32_e32 v73, 0x80000000, v73
.LBB32_175:
	s_andn2_saveexec_b64 s[2:3], s[2:3]
	s_cbranch_execz .LBB32_177
; %bb.176:
	v_div_scale_f64 v[84:85], s[4:5], v[70:71], v[70:71], v[72:73]
	v_rcp_f64_e32 v[86:87], v[84:85]
	v_fma_f64 v[88:89], -v[84:85], v[86:87], 1.0
	v_fma_f64 v[86:87], v[86:87], v[88:89], v[86:87]
	v_div_scale_f64 v[88:89], vcc, v[72:73], v[70:71], v[72:73]
	v_fma_f64 v[90:91], -v[84:85], v[86:87], 1.0
	v_fma_f64 v[86:87], v[86:87], v[90:91], v[86:87]
	v_mul_f64 v[90:91], v[88:89], v[86:87]
	v_fma_f64 v[84:85], -v[84:85], v[90:91], v[88:89]
	v_div_fmas_f64 v[84:85], v[84:85], v[86:87], v[90:91]
	v_div_fixup_f64 v[84:85], v[84:85], v[70:71], v[72:73]
	v_fma_f64 v[70:71], v[72:73], v[84:85], v[70:71]
	v_div_scale_f64 v[72:73], s[4:5], v[70:71], v[70:71], 1.0
	v_div_scale_f64 v[90:91], vcc, 1.0, v[70:71], 1.0
	v_rcp_f64_e32 v[86:87], v[72:73]
	v_fma_f64 v[88:89], -v[72:73], v[86:87], 1.0
	v_fma_f64 v[86:87], v[86:87], v[88:89], v[86:87]
	v_fma_f64 v[88:89], -v[72:73], v[86:87], 1.0
	v_fma_f64 v[86:87], v[86:87], v[88:89], v[86:87]
	v_mul_f64 v[88:89], v[90:91], v[86:87]
	v_fma_f64 v[72:73], -v[72:73], v[88:89], v[90:91]
	v_div_fmas_f64 v[72:73], v[72:73], v[86:87], v[88:89]
	v_div_fixup_f64 v[70:71], v[72:73], v[70:71], 1.0
	v_mul_f64 v[72:73], v[84:85], -v[70:71]
.LBB32_177:
	s_or_b64 exec, exec, s[2:3]
.LBB32_178:
	s_or_b64 exec, exec, s[0:1]
	v_cmp_ne_u32_e32 vcc, v80, v78
	s_and_saveexec_b64 s[0:1], vcc
	s_xor_b64 s[0:1], exec, s[0:1]
	s_cbranch_execz .LBB32_184
; %bb.179:
	v_cmp_eq_u32_e32 vcc, 8, v80
	s_and_saveexec_b64 s[2:3], vcc
	s_cbranch_execz .LBB32_183
; %bb.180:
	v_cmp_ne_u32_e32 vcc, 8, v78
	s_xor_b64 s[4:5], s[18:19], -1
	s_and_b64 s[24:25], s[4:5], vcc
	s_and_saveexec_b64 s[4:5], s[24:25]
	s_cbranch_execz .LBB32_182
; %bb.181:
	v_ashrrev_i32_e32 v79, 31, v78
	v_lshlrev_b64 v[79:80], 2, v[78:79]
	v_add_co_u32_e32 v79, vcc, v76, v79
	v_addc_co_u32_e32 v80, vcc, v77, v80, vcc
	global_load_dword v0, v[79:80], off
	global_load_dword v84, v[76:77], off offset:32
	s_waitcnt vmcnt(1)
	global_store_dword v[76:77], v0, off offset:32
	s_waitcnt vmcnt(1)
	global_store_dword v[79:80], v84, off
.LBB32_182:
	s_or_b64 exec, exec, s[4:5]
	v_mov_b32_e32 v80, v78
	v_mov_b32_e32 v0, v78
.LBB32_183:
	s_or_b64 exec, exec, s[2:3]
.LBB32_184:
	s_andn2_saveexec_b64 s[0:1], s[0:1]
	s_cbranch_execz .LBB32_186
; %bb.185:
	v_mov_b32_e32 v80, 8
	ds_write2_b64 v1, v[26:27], v[28:29] offset0:18 offset1:19
	ds_write2_b64 v1, v[22:23], v[24:25] offset0:20 offset1:21
	;; [unrolled: 1-line block ×8, first 2 shown]
.LBB32_186:
	s_or_b64 exec, exec, s[0:1]
	v_cmp_lt_i32_e32 vcc, 8, v80
	s_waitcnt vmcnt(0) lgkmcnt(0)
	s_barrier
	s_and_saveexec_b64 s[0:1], vcc
	s_cbranch_execz .LBB32_188
; %bb.187:
	v_mul_f64 v[78:79], v[70:71], v[32:33]
	v_mul_f64 v[32:33], v[72:73], v[32:33]
	ds_read2_b64 v[84:87], v1 offset0:18 offset1:19
	ds_read2_b64 v[88:91], v1 offset0:20 offset1:21
	;; [unrolled: 1-line block ×5, first 2 shown]
	v_fma_f64 v[78:79], v[72:73], v[30:31], v[78:79]
	v_fma_f64 v[30:31], v[70:71], v[30:31], -v[32:33]
	s_waitcnt lgkmcnt(4)
	v_mul_f64 v[32:33], v[86:87], v[78:79]
	v_mul_f64 v[70:71], v[84:85], v[78:79]
	s_waitcnt lgkmcnt(3)
	v_mul_f64 v[72:73], v[90:91], v[78:79]
	v_mul_f64 v[104:105], v[88:89], v[78:79]
	;; [unrolled: 3-line block ×4, first 2 shown]
	v_fma_f64 v[32:33], v[84:85], v[30:31], -v[32:33]
	v_fma_f64 v[70:71], v[86:87], v[30:31], v[70:71]
	v_fma_f64 v[72:73], v[88:89], v[30:31], -v[72:73]
	v_fma_f64 v[84:85], v[90:91], v[30:31], v[104:105]
	v_fma_f64 v[86:87], v[92:93], v[30:31], -v[106:107]
	v_fma_f64 v[88:89], v[94:95], v[30:31], v[108:109]
	v_fma_f64 v[90:91], v[96:97], v[30:31], -v[110:111]
	v_fma_f64 v[92:93], v[98:99], v[30:31], v[112:113]
	v_add_f64 v[26:27], v[26:27], -v[32:33]
	v_add_f64 v[28:29], v[28:29], -v[70:71]
	;; [unrolled: 1-line block ×7, first 2 shown]
	ds_read2_b64 v[70:73], v1 offset0:28 offset1:29
	ds_read2_b64 v[84:87], v1 offset0:30 offset1:31
	;; [unrolled: 1-line block ×3, first 2 shown]
	v_add_f64 v[16:17], v[16:17], -v[92:93]
	s_waitcnt lgkmcnt(3)
	v_mul_f64 v[32:33], v[102:103], v[78:79]
	v_mul_f64 v[92:93], v[100:101], v[78:79]
	s_waitcnt lgkmcnt(2)
	v_mul_f64 v[94:95], v[72:73], v[78:79]
	v_mul_f64 v[96:97], v[70:71], v[78:79]
	;; [unrolled: 3-line block ×4, first 2 shown]
	v_fma_f64 v[32:33], v[100:101], v[30:31], -v[32:33]
	v_fma_f64 v[92:93], v[102:103], v[30:31], v[92:93]
	v_fma_f64 v[70:71], v[70:71], v[30:31], -v[94:95]
	v_fma_f64 v[72:73], v[72:73], v[30:31], v[96:97]
	;; [unrolled: 2-line block ×4, first 2 shown]
	v_add_f64 v[10:11], v[10:11], -v[32:33]
	v_add_f64 v[12:13], v[12:13], -v[92:93]
	;; [unrolled: 1-line block ×8, first 2 shown]
	v_mov_b32_e32 v32, v78
	v_mov_b32_e32 v33, v79
.LBB32_188:
	s_or_b64 exec, exec, s[0:1]
	v_lshl_add_u32 v70, v80, 4, v1
	s_barrier
	ds_write2_b64 v70, v[26:27], v[28:29] offset1:1
	s_waitcnt lgkmcnt(0)
	s_barrier
	ds_read2_b64 v[70:73], v1 offset0:18 offset1:19
	s_cmp_lt_i32 s22, 11
	v_mov_b32_e32 v78, 9
	s_cbranch_scc1 .LBB32_191
; %bb.189:
	v_add_u32_e32 v79, 0xa0, v1
	s_mov_b32 s2, 10
	v_mov_b32_e32 v78, 9
.LBB32_190:                             ; =>This Inner Loop Header: Depth=1
	s_waitcnt lgkmcnt(0)
	v_cmp_gt_f64_e32 vcc, 0, v[72:73]
	v_cmp_gt_f64_e64 s[0:1], 0, v[70:71]
	ds_read2_b64 v[84:87], v79 offset1:1
	v_xor_b32_e32 v89, 0x80000000, v71
	v_xor_b32_e32 v91, 0x80000000, v73
	v_mov_b32_e32 v88, v70
	v_mov_b32_e32 v90, v72
	s_waitcnt lgkmcnt(0)
	v_xor_b32_e32 v93, 0x80000000, v87
	v_cndmask_b32_e32 v91, v73, v91, vcc
	v_cndmask_b32_e64 v89, v71, v89, s[0:1]
	v_cmp_gt_f64_e32 vcc, 0, v[86:87]
	v_cmp_gt_f64_e64 s[0:1], 0, v[84:85]
	v_add_f64 v[88:89], v[88:89], v[90:91]
	v_xor_b32_e32 v91, 0x80000000, v85
	v_mov_b32_e32 v90, v84
	v_mov_b32_e32 v92, v86
	v_add_u32_e32 v79, 16, v79
	v_cndmask_b32_e32 v93, v87, v93, vcc
	v_cndmask_b32_e64 v91, v85, v91, s[0:1]
	v_add_f64 v[90:91], v[90:91], v[92:93]
	v_mov_b32_e32 v92, s2
	s_add_i32 s2, s2, 1
	s_cmp_lg_u32 s22, s2
	v_cmp_lt_f64_e32 vcc, v[88:89], v[90:91]
	v_cndmask_b32_e32 v71, v71, v85, vcc
	v_cndmask_b32_e32 v70, v70, v84, vcc
	;; [unrolled: 1-line block ×5, first 2 shown]
	s_cbranch_scc1 .LBB32_190
.LBB32_191:
	s_waitcnt lgkmcnt(0)
	v_cmp_eq_f64_e32 vcc, 0, v[70:71]
	v_cmp_eq_f64_e64 s[0:1], 0, v[72:73]
	s_and_b64 s[0:1], vcc, s[0:1]
	s_and_saveexec_b64 s[2:3], s[0:1]
	s_xor_b64 s[0:1], exec, s[2:3]
; %bb.192:
	v_cmp_ne_u32_e32 vcc, 0, v83
	v_cndmask_b32_e32 v83, 10, v83, vcc
; %bb.193:
	s_andn2_saveexec_b64 s[0:1], s[0:1]
	s_cbranch_execz .LBB32_199
; %bb.194:
	v_cmp_ngt_f64_e64 s[2:3], |v[70:71]|, |v[72:73]|
	s_and_saveexec_b64 s[4:5], s[2:3]
	s_xor_b64 s[2:3], exec, s[4:5]
	s_cbranch_execz .LBB32_196
; %bb.195:
	v_div_scale_f64 v[84:85], s[4:5], v[72:73], v[72:73], v[70:71]
	v_rcp_f64_e32 v[86:87], v[84:85]
	v_fma_f64 v[88:89], -v[84:85], v[86:87], 1.0
	v_fma_f64 v[86:87], v[86:87], v[88:89], v[86:87]
	v_div_scale_f64 v[88:89], vcc, v[70:71], v[72:73], v[70:71]
	v_fma_f64 v[90:91], -v[84:85], v[86:87], 1.0
	v_fma_f64 v[86:87], v[86:87], v[90:91], v[86:87]
	v_mul_f64 v[90:91], v[88:89], v[86:87]
	v_fma_f64 v[84:85], -v[84:85], v[90:91], v[88:89]
	v_div_fmas_f64 v[84:85], v[84:85], v[86:87], v[90:91]
	v_div_fixup_f64 v[84:85], v[84:85], v[72:73], v[70:71]
	v_fma_f64 v[70:71], v[70:71], v[84:85], v[72:73]
	v_div_scale_f64 v[72:73], s[4:5], v[70:71], v[70:71], 1.0
	v_div_scale_f64 v[90:91], vcc, 1.0, v[70:71], 1.0
	v_rcp_f64_e32 v[86:87], v[72:73]
	v_fma_f64 v[88:89], -v[72:73], v[86:87], 1.0
	v_fma_f64 v[86:87], v[86:87], v[88:89], v[86:87]
	v_fma_f64 v[88:89], -v[72:73], v[86:87], 1.0
	v_fma_f64 v[86:87], v[86:87], v[88:89], v[86:87]
	v_mul_f64 v[88:89], v[90:91], v[86:87]
	v_fma_f64 v[72:73], -v[72:73], v[88:89], v[90:91]
	v_div_fmas_f64 v[72:73], v[72:73], v[86:87], v[88:89]
	v_div_fixup_f64 v[72:73], v[72:73], v[70:71], 1.0
	v_mul_f64 v[70:71], v[84:85], v[72:73]
	v_xor_b32_e32 v73, 0x80000000, v73
.LBB32_196:
	s_andn2_saveexec_b64 s[2:3], s[2:3]
	s_cbranch_execz .LBB32_198
; %bb.197:
	v_div_scale_f64 v[84:85], s[4:5], v[70:71], v[70:71], v[72:73]
	v_rcp_f64_e32 v[86:87], v[84:85]
	v_fma_f64 v[88:89], -v[84:85], v[86:87], 1.0
	v_fma_f64 v[86:87], v[86:87], v[88:89], v[86:87]
	v_div_scale_f64 v[88:89], vcc, v[72:73], v[70:71], v[72:73]
	v_fma_f64 v[90:91], -v[84:85], v[86:87], 1.0
	v_fma_f64 v[86:87], v[86:87], v[90:91], v[86:87]
	v_mul_f64 v[90:91], v[88:89], v[86:87]
	v_fma_f64 v[84:85], -v[84:85], v[90:91], v[88:89]
	v_div_fmas_f64 v[84:85], v[84:85], v[86:87], v[90:91]
	v_div_fixup_f64 v[84:85], v[84:85], v[70:71], v[72:73]
	v_fma_f64 v[70:71], v[72:73], v[84:85], v[70:71]
	v_div_scale_f64 v[72:73], s[4:5], v[70:71], v[70:71], 1.0
	v_div_scale_f64 v[90:91], vcc, 1.0, v[70:71], 1.0
	v_rcp_f64_e32 v[86:87], v[72:73]
	v_fma_f64 v[88:89], -v[72:73], v[86:87], 1.0
	v_fma_f64 v[86:87], v[86:87], v[88:89], v[86:87]
	v_fma_f64 v[88:89], -v[72:73], v[86:87], 1.0
	v_fma_f64 v[86:87], v[86:87], v[88:89], v[86:87]
	v_mul_f64 v[88:89], v[90:91], v[86:87]
	v_fma_f64 v[72:73], -v[72:73], v[88:89], v[90:91]
	v_div_fmas_f64 v[72:73], v[72:73], v[86:87], v[88:89]
	v_div_fixup_f64 v[70:71], v[72:73], v[70:71], 1.0
	v_mul_f64 v[72:73], v[84:85], -v[70:71]
.LBB32_198:
	s_or_b64 exec, exec, s[2:3]
.LBB32_199:
	s_or_b64 exec, exec, s[0:1]
	v_cmp_ne_u32_e32 vcc, v80, v78
	s_and_saveexec_b64 s[0:1], vcc
	s_xor_b64 s[0:1], exec, s[0:1]
	s_cbranch_execz .LBB32_205
; %bb.200:
	v_cmp_eq_u32_e32 vcc, 9, v80
	s_and_saveexec_b64 s[2:3], vcc
	s_cbranch_execz .LBB32_204
; %bb.201:
	v_cmp_ne_u32_e32 vcc, 9, v78
	s_xor_b64 s[4:5], s[18:19], -1
	s_and_b64 s[24:25], s[4:5], vcc
	s_and_saveexec_b64 s[4:5], s[24:25]
	s_cbranch_execz .LBB32_203
; %bb.202:
	v_ashrrev_i32_e32 v79, 31, v78
	v_lshlrev_b64 v[79:80], 2, v[78:79]
	v_add_co_u32_e32 v79, vcc, v76, v79
	v_addc_co_u32_e32 v80, vcc, v77, v80, vcc
	global_load_dword v0, v[79:80], off
	global_load_dword v84, v[76:77], off offset:36
	s_waitcnt vmcnt(1)
	global_store_dword v[76:77], v0, off offset:36
	s_waitcnt vmcnt(1)
	global_store_dword v[79:80], v84, off
.LBB32_203:
	s_or_b64 exec, exec, s[4:5]
	v_mov_b32_e32 v80, v78
	v_mov_b32_e32 v0, v78
.LBB32_204:
	s_or_b64 exec, exec, s[2:3]
.LBB32_205:
	s_andn2_saveexec_b64 s[0:1], s[0:1]
	s_cbranch_execz .LBB32_207
; %bb.206:
	v_mov_b32_e32 v80, 9
	ds_write2_b64 v1, v[22:23], v[24:25] offset0:20 offset1:21
	ds_write2_b64 v1, v[18:19], v[20:21] offset0:22 offset1:23
	;; [unrolled: 1-line block ×7, first 2 shown]
.LBB32_207:
	s_or_b64 exec, exec, s[0:1]
	v_cmp_lt_i32_e32 vcc, 9, v80
	s_waitcnt vmcnt(0) lgkmcnt(0)
	s_barrier
	s_and_saveexec_b64 s[0:1], vcc
	s_cbranch_execz .LBB32_209
; %bb.208:
	v_mul_f64 v[78:79], v[70:71], v[28:29]
	v_mul_f64 v[28:29], v[72:73], v[28:29]
	ds_read2_b64 v[84:87], v1 offset0:20 offset1:21
	ds_read2_b64 v[88:91], v1 offset0:22 offset1:23
	ds_read2_b64 v[92:95], v1 offset0:24 offset1:25
	ds_read2_b64 v[96:99], v1 offset0:26 offset1:27
	ds_read2_b64 v[100:103], v1 offset0:28 offset1:29
	ds_read2_b64 v[104:107], v1 offset0:30 offset1:31
	ds_read2_b64 v[108:111], v1 offset0:32 offset1:33
	v_fma_f64 v[72:73], v[72:73], v[26:27], v[78:79]
	v_fma_f64 v[26:27], v[70:71], v[26:27], -v[28:29]
	s_waitcnt lgkmcnt(6)
	v_mul_f64 v[28:29], v[86:87], v[72:73]
	v_mul_f64 v[70:71], v[84:85], v[72:73]
	s_waitcnt lgkmcnt(5)
	v_mul_f64 v[78:79], v[90:91], v[72:73]
	v_mul_f64 v[112:113], v[88:89], v[72:73]
	;; [unrolled: 3-line block ×4, first 2 shown]
	v_fma_f64 v[28:29], v[84:85], v[26:27], -v[28:29]
	v_fma_f64 v[70:71], v[86:87], v[26:27], v[70:71]
	v_fma_f64 v[78:79], v[88:89], v[26:27], -v[78:79]
	v_fma_f64 v[84:85], v[90:91], v[26:27], v[112:113]
	;; [unrolled: 2-line block ×3, first 2 shown]
	s_waitcnt lgkmcnt(2)
	v_mul_f64 v[90:91], v[102:103], v[72:73]
	v_mul_f64 v[92:93], v[100:101], v[72:73]
	v_add_f64 v[22:23], v[22:23], -v[28:29]
	v_add_f64 v[24:25], v[24:25], -v[70:71]
	;; [unrolled: 1-line block ×4, first 2 shown]
	s_waitcnt lgkmcnt(1)
	v_mul_f64 v[28:29], v[106:107], v[72:73]
	v_mul_f64 v[70:71], v[104:105], v[72:73]
	s_waitcnt lgkmcnt(0)
	v_mul_f64 v[78:79], v[110:111], v[72:73]
	v_mul_f64 v[84:85], v[108:109], v[72:73]
	v_add_f64 v[14:15], v[14:15], -v[86:87]
	v_add_f64 v[16:17], v[16:17], -v[88:89]
	v_fma_f64 v[86:87], v[96:97], v[26:27], -v[118:119]
	v_fma_f64 v[88:89], v[98:99], v[26:27], v[120:121]
	v_fma_f64 v[90:91], v[100:101], v[26:27], -v[90:91]
	v_fma_f64 v[92:93], v[102:103], v[26:27], v[92:93]
	;; [unrolled: 2-line block ×4, first 2 shown]
	v_add_f64 v[10:11], v[10:11], -v[86:87]
	v_add_f64 v[12:13], v[12:13], -v[88:89]
	;; [unrolled: 1-line block ×8, first 2 shown]
	v_mov_b32_e32 v28, v72
	v_mov_b32_e32 v29, v73
.LBB32_209:
	s_or_b64 exec, exec, s[0:1]
	v_lshl_add_u32 v70, v80, 4, v1
	s_barrier
	ds_write2_b64 v70, v[22:23], v[24:25] offset1:1
	s_waitcnt lgkmcnt(0)
	s_barrier
	ds_read2_b64 v[70:73], v1 offset0:20 offset1:21
	s_cmp_lt_i32 s22, 12
	v_mov_b32_e32 v78, 10
	s_cbranch_scc1 .LBB32_212
; %bb.210:
	v_add_u32_e32 v79, 0xb0, v1
	s_mov_b32 s2, 11
	v_mov_b32_e32 v78, 10
.LBB32_211:                             ; =>This Inner Loop Header: Depth=1
	s_waitcnt lgkmcnt(0)
	v_cmp_gt_f64_e32 vcc, 0, v[72:73]
	v_cmp_gt_f64_e64 s[0:1], 0, v[70:71]
	ds_read2_b64 v[84:87], v79 offset1:1
	v_xor_b32_e32 v89, 0x80000000, v71
	v_xor_b32_e32 v91, 0x80000000, v73
	v_mov_b32_e32 v88, v70
	v_mov_b32_e32 v90, v72
	s_waitcnt lgkmcnt(0)
	v_xor_b32_e32 v93, 0x80000000, v87
	v_cndmask_b32_e32 v91, v73, v91, vcc
	v_cndmask_b32_e64 v89, v71, v89, s[0:1]
	v_cmp_gt_f64_e32 vcc, 0, v[86:87]
	v_cmp_gt_f64_e64 s[0:1], 0, v[84:85]
	v_add_f64 v[88:89], v[88:89], v[90:91]
	v_xor_b32_e32 v91, 0x80000000, v85
	v_mov_b32_e32 v90, v84
	v_mov_b32_e32 v92, v86
	v_add_u32_e32 v79, 16, v79
	v_cndmask_b32_e32 v93, v87, v93, vcc
	v_cndmask_b32_e64 v91, v85, v91, s[0:1]
	v_add_f64 v[90:91], v[90:91], v[92:93]
	v_mov_b32_e32 v92, s2
	s_add_i32 s2, s2, 1
	s_cmp_lg_u32 s22, s2
	v_cmp_lt_f64_e32 vcc, v[88:89], v[90:91]
	v_cndmask_b32_e32 v71, v71, v85, vcc
	v_cndmask_b32_e32 v70, v70, v84, vcc
	;; [unrolled: 1-line block ×5, first 2 shown]
	s_cbranch_scc1 .LBB32_211
.LBB32_212:
	s_waitcnt lgkmcnt(0)
	v_cmp_eq_f64_e32 vcc, 0, v[70:71]
	v_cmp_eq_f64_e64 s[0:1], 0, v[72:73]
	s_and_b64 s[0:1], vcc, s[0:1]
	s_and_saveexec_b64 s[2:3], s[0:1]
	s_xor_b64 s[0:1], exec, s[2:3]
; %bb.213:
	v_cmp_ne_u32_e32 vcc, 0, v83
	v_cndmask_b32_e32 v83, 11, v83, vcc
; %bb.214:
	s_andn2_saveexec_b64 s[0:1], s[0:1]
	s_cbranch_execz .LBB32_220
; %bb.215:
	v_cmp_ngt_f64_e64 s[2:3], |v[70:71]|, |v[72:73]|
	s_and_saveexec_b64 s[4:5], s[2:3]
	s_xor_b64 s[2:3], exec, s[4:5]
	s_cbranch_execz .LBB32_217
; %bb.216:
	v_div_scale_f64 v[84:85], s[4:5], v[72:73], v[72:73], v[70:71]
	v_rcp_f64_e32 v[86:87], v[84:85]
	v_fma_f64 v[88:89], -v[84:85], v[86:87], 1.0
	v_fma_f64 v[86:87], v[86:87], v[88:89], v[86:87]
	v_div_scale_f64 v[88:89], vcc, v[70:71], v[72:73], v[70:71]
	v_fma_f64 v[90:91], -v[84:85], v[86:87], 1.0
	v_fma_f64 v[86:87], v[86:87], v[90:91], v[86:87]
	v_mul_f64 v[90:91], v[88:89], v[86:87]
	v_fma_f64 v[84:85], -v[84:85], v[90:91], v[88:89]
	v_div_fmas_f64 v[84:85], v[84:85], v[86:87], v[90:91]
	v_div_fixup_f64 v[84:85], v[84:85], v[72:73], v[70:71]
	v_fma_f64 v[70:71], v[70:71], v[84:85], v[72:73]
	v_div_scale_f64 v[72:73], s[4:5], v[70:71], v[70:71], 1.0
	v_div_scale_f64 v[90:91], vcc, 1.0, v[70:71], 1.0
	v_rcp_f64_e32 v[86:87], v[72:73]
	v_fma_f64 v[88:89], -v[72:73], v[86:87], 1.0
	v_fma_f64 v[86:87], v[86:87], v[88:89], v[86:87]
	v_fma_f64 v[88:89], -v[72:73], v[86:87], 1.0
	v_fma_f64 v[86:87], v[86:87], v[88:89], v[86:87]
	v_mul_f64 v[88:89], v[90:91], v[86:87]
	v_fma_f64 v[72:73], -v[72:73], v[88:89], v[90:91]
	v_div_fmas_f64 v[72:73], v[72:73], v[86:87], v[88:89]
	v_div_fixup_f64 v[72:73], v[72:73], v[70:71], 1.0
	v_mul_f64 v[70:71], v[84:85], v[72:73]
	v_xor_b32_e32 v73, 0x80000000, v73
.LBB32_217:
	s_andn2_saveexec_b64 s[2:3], s[2:3]
	s_cbranch_execz .LBB32_219
; %bb.218:
	v_div_scale_f64 v[84:85], s[4:5], v[70:71], v[70:71], v[72:73]
	v_rcp_f64_e32 v[86:87], v[84:85]
	v_fma_f64 v[88:89], -v[84:85], v[86:87], 1.0
	v_fma_f64 v[86:87], v[86:87], v[88:89], v[86:87]
	v_div_scale_f64 v[88:89], vcc, v[72:73], v[70:71], v[72:73]
	v_fma_f64 v[90:91], -v[84:85], v[86:87], 1.0
	v_fma_f64 v[86:87], v[86:87], v[90:91], v[86:87]
	v_mul_f64 v[90:91], v[88:89], v[86:87]
	v_fma_f64 v[84:85], -v[84:85], v[90:91], v[88:89]
	v_div_fmas_f64 v[84:85], v[84:85], v[86:87], v[90:91]
	v_div_fixup_f64 v[84:85], v[84:85], v[70:71], v[72:73]
	v_fma_f64 v[70:71], v[72:73], v[84:85], v[70:71]
	v_div_scale_f64 v[72:73], s[4:5], v[70:71], v[70:71], 1.0
	v_div_scale_f64 v[90:91], vcc, 1.0, v[70:71], 1.0
	v_rcp_f64_e32 v[86:87], v[72:73]
	v_fma_f64 v[88:89], -v[72:73], v[86:87], 1.0
	v_fma_f64 v[86:87], v[86:87], v[88:89], v[86:87]
	v_fma_f64 v[88:89], -v[72:73], v[86:87], 1.0
	v_fma_f64 v[86:87], v[86:87], v[88:89], v[86:87]
	v_mul_f64 v[88:89], v[90:91], v[86:87]
	v_fma_f64 v[72:73], -v[72:73], v[88:89], v[90:91]
	v_div_fmas_f64 v[72:73], v[72:73], v[86:87], v[88:89]
	v_div_fixup_f64 v[70:71], v[72:73], v[70:71], 1.0
	v_mul_f64 v[72:73], v[84:85], -v[70:71]
.LBB32_219:
	s_or_b64 exec, exec, s[2:3]
.LBB32_220:
	s_or_b64 exec, exec, s[0:1]
	v_cmp_ne_u32_e32 vcc, v80, v78
	s_and_saveexec_b64 s[0:1], vcc
	s_xor_b64 s[0:1], exec, s[0:1]
	s_cbranch_execz .LBB32_226
; %bb.221:
	v_cmp_eq_u32_e32 vcc, 10, v80
	s_and_saveexec_b64 s[2:3], vcc
	s_cbranch_execz .LBB32_225
; %bb.222:
	v_cmp_ne_u32_e32 vcc, 10, v78
	s_xor_b64 s[4:5], s[18:19], -1
	s_and_b64 s[24:25], s[4:5], vcc
	s_and_saveexec_b64 s[4:5], s[24:25]
	s_cbranch_execz .LBB32_224
; %bb.223:
	v_ashrrev_i32_e32 v79, 31, v78
	v_lshlrev_b64 v[79:80], 2, v[78:79]
	v_add_co_u32_e32 v79, vcc, v76, v79
	v_addc_co_u32_e32 v80, vcc, v77, v80, vcc
	global_load_dword v0, v[79:80], off
	global_load_dword v84, v[76:77], off offset:40
	s_waitcnt vmcnt(1)
	global_store_dword v[76:77], v0, off offset:40
	s_waitcnt vmcnt(1)
	global_store_dword v[79:80], v84, off
.LBB32_224:
	s_or_b64 exec, exec, s[4:5]
	v_mov_b32_e32 v80, v78
	v_mov_b32_e32 v0, v78
.LBB32_225:
	s_or_b64 exec, exec, s[2:3]
.LBB32_226:
	s_andn2_saveexec_b64 s[0:1], s[0:1]
	s_cbranch_execz .LBB32_228
; %bb.227:
	v_mov_b32_e32 v80, 10
	ds_write2_b64 v1, v[18:19], v[20:21] offset0:22 offset1:23
	ds_write2_b64 v1, v[14:15], v[16:17] offset0:24 offset1:25
	;; [unrolled: 1-line block ×6, first 2 shown]
.LBB32_228:
	s_or_b64 exec, exec, s[0:1]
	v_cmp_lt_i32_e32 vcc, 10, v80
	s_waitcnt vmcnt(0) lgkmcnt(0)
	s_barrier
	s_and_saveexec_b64 s[0:1], vcc
	s_cbranch_execz .LBB32_230
; %bb.229:
	v_mul_f64 v[78:79], v[70:71], v[24:25]
	v_mul_f64 v[24:25], v[72:73], v[24:25]
	ds_read2_b64 v[84:87], v1 offset0:22 offset1:23
	ds_read2_b64 v[88:91], v1 offset0:24 offset1:25
	ds_read2_b64 v[92:95], v1 offset0:26 offset1:27
	ds_read2_b64 v[96:99], v1 offset0:28 offset1:29
	ds_read2_b64 v[100:103], v1 offset0:30 offset1:31
	ds_read2_b64 v[104:107], v1 offset0:32 offset1:33
	v_fma_f64 v[72:73], v[72:73], v[22:23], v[78:79]
	v_fma_f64 v[22:23], v[70:71], v[22:23], -v[24:25]
	s_waitcnt lgkmcnt(5)
	v_mul_f64 v[24:25], v[86:87], v[72:73]
	v_mul_f64 v[70:71], v[84:85], v[72:73]
	s_waitcnt lgkmcnt(4)
	v_mul_f64 v[78:79], v[90:91], v[72:73]
	v_mul_f64 v[108:109], v[88:89], v[72:73]
	;; [unrolled: 3-line block ×5, first 2 shown]
	s_waitcnt lgkmcnt(0)
	v_mul_f64 v[122:123], v[106:107], v[72:73]
	v_fma_f64 v[24:25], v[84:85], v[22:23], -v[24:25]
	v_fma_f64 v[70:71], v[86:87], v[22:23], v[70:71]
	v_fma_f64 v[78:79], v[88:89], v[22:23], -v[78:79]
	v_fma_f64 v[84:85], v[90:91], v[22:23], v[108:109]
	v_mul_f64 v[86:87], v[104:105], v[72:73]
	v_fma_f64 v[88:89], v[92:93], v[22:23], -v[110:111]
	v_fma_f64 v[90:91], v[94:95], v[22:23], v[112:113]
	v_fma_f64 v[92:93], v[96:97], v[22:23], -v[114:115]
	v_add_f64 v[18:19], v[18:19], -v[24:25]
	v_add_f64 v[20:21], v[20:21], -v[70:71]
	;; [unrolled: 1-line block ×4, first 2 shown]
	v_fma_f64 v[24:25], v[98:99], v[22:23], v[116:117]
	v_fma_f64 v[70:71], v[100:101], v[22:23], -v[118:119]
	v_fma_f64 v[78:79], v[102:103], v[22:23], v[120:121]
	v_fma_f64 v[84:85], v[104:105], v[22:23], -v[122:123]
	v_fma_f64 v[86:87], v[106:107], v[22:23], v[86:87]
	v_add_f64 v[10:11], v[10:11], -v[88:89]
	v_add_f64 v[12:13], v[12:13], -v[90:91]
	;; [unrolled: 1-line block ×8, first 2 shown]
	v_mov_b32_e32 v24, v72
	v_mov_b32_e32 v25, v73
.LBB32_230:
	s_or_b64 exec, exec, s[0:1]
	v_lshl_add_u32 v70, v80, 4, v1
	s_barrier
	ds_write2_b64 v70, v[18:19], v[20:21] offset1:1
	s_waitcnt lgkmcnt(0)
	s_barrier
	ds_read2_b64 v[70:73], v1 offset0:22 offset1:23
	s_cmp_lt_i32 s22, 13
	v_mov_b32_e32 v78, 11
	s_cbranch_scc1 .LBB32_233
; %bb.231:
	v_add_u32_e32 v79, 0xc0, v1
	s_mov_b32 s2, 12
	v_mov_b32_e32 v78, 11
.LBB32_232:                             ; =>This Inner Loop Header: Depth=1
	s_waitcnt lgkmcnt(0)
	v_cmp_gt_f64_e32 vcc, 0, v[72:73]
	v_cmp_gt_f64_e64 s[0:1], 0, v[70:71]
	ds_read2_b64 v[84:87], v79 offset1:1
	v_xor_b32_e32 v89, 0x80000000, v71
	v_xor_b32_e32 v91, 0x80000000, v73
	v_mov_b32_e32 v88, v70
	v_mov_b32_e32 v90, v72
	s_waitcnt lgkmcnt(0)
	v_xor_b32_e32 v93, 0x80000000, v87
	v_cndmask_b32_e32 v91, v73, v91, vcc
	v_cndmask_b32_e64 v89, v71, v89, s[0:1]
	v_cmp_gt_f64_e32 vcc, 0, v[86:87]
	v_cmp_gt_f64_e64 s[0:1], 0, v[84:85]
	v_add_f64 v[88:89], v[88:89], v[90:91]
	v_xor_b32_e32 v91, 0x80000000, v85
	v_mov_b32_e32 v90, v84
	v_mov_b32_e32 v92, v86
	v_add_u32_e32 v79, 16, v79
	v_cndmask_b32_e32 v93, v87, v93, vcc
	v_cndmask_b32_e64 v91, v85, v91, s[0:1]
	v_add_f64 v[90:91], v[90:91], v[92:93]
	v_mov_b32_e32 v92, s2
	s_add_i32 s2, s2, 1
	s_cmp_lg_u32 s22, s2
	v_cmp_lt_f64_e32 vcc, v[88:89], v[90:91]
	v_cndmask_b32_e32 v71, v71, v85, vcc
	v_cndmask_b32_e32 v70, v70, v84, vcc
	;; [unrolled: 1-line block ×5, first 2 shown]
	s_cbranch_scc1 .LBB32_232
.LBB32_233:
	s_waitcnt lgkmcnt(0)
	v_cmp_eq_f64_e32 vcc, 0, v[70:71]
	v_cmp_eq_f64_e64 s[0:1], 0, v[72:73]
	s_and_b64 s[0:1], vcc, s[0:1]
	s_and_saveexec_b64 s[2:3], s[0:1]
	s_xor_b64 s[0:1], exec, s[2:3]
; %bb.234:
	v_cmp_ne_u32_e32 vcc, 0, v83
	v_cndmask_b32_e32 v83, 12, v83, vcc
; %bb.235:
	s_andn2_saveexec_b64 s[0:1], s[0:1]
	s_cbranch_execz .LBB32_241
; %bb.236:
	v_cmp_ngt_f64_e64 s[2:3], |v[70:71]|, |v[72:73]|
	s_and_saveexec_b64 s[4:5], s[2:3]
	s_xor_b64 s[2:3], exec, s[4:5]
	s_cbranch_execz .LBB32_238
; %bb.237:
	v_div_scale_f64 v[84:85], s[4:5], v[72:73], v[72:73], v[70:71]
	v_rcp_f64_e32 v[86:87], v[84:85]
	v_fma_f64 v[88:89], -v[84:85], v[86:87], 1.0
	v_fma_f64 v[86:87], v[86:87], v[88:89], v[86:87]
	v_div_scale_f64 v[88:89], vcc, v[70:71], v[72:73], v[70:71]
	v_fma_f64 v[90:91], -v[84:85], v[86:87], 1.0
	v_fma_f64 v[86:87], v[86:87], v[90:91], v[86:87]
	v_mul_f64 v[90:91], v[88:89], v[86:87]
	v_fma_f64 v[84:85], -v[84:85], v[90:91], v[88:89]
	v_div_fmas_f64 v[84:85], v[84:85], v[86:87], v[90:91]
	v_div_fixup_f64 v[84:85], v[84:85], v[72:73], v[70:71]
	v_fma_f64 v[70:71], v[70:71], v[84:85], v[72:73]
	v_div_scale_f64 v[72:73], s[4:5], v[70:71], v[70:71], 1.0
	v_div_scale_f64 v[90:91], vcc, 1.0, v[70:71], 1.0
	v_rcp_f64_e32 v[86:87], v[72:73]
	v_fma_f64 v[88:89], -v[72:73], v[86:87], 1.0
	v_fma_f64 v[86:87], v[86:87], v[88:89], v[86:87]
	v_fma_f64 v[88:89], -v[72:73], v[86:87], 1.0
	v_fma_f64 v[86:87], v[86:87], v[88:89], v[86:87]
	v_mul_f64 v[88:89], v[90:91], v[86:87]
	v_fma_f64 v[72:73], -v[72:73], v[88:89], v[90:91]
	v_div_fmas_f64 v[72:73], v[72:73], v[86:87], v[88:89]
	v_div_fixup_f64 v[72:73], v[72:73], v[70:71], 1.0
	v_mul_f64 v[70:71], v[84:85], v[72:73]
	v_xor_b32_e32 v73, 0x80000000, v73
.LBB32_238:
	s_andn2_saveexec_b64 s[2:3], s[2:3]
	s_cbranch_execz .LBB32_240
; %bb.239:
	v_div_scale_f64 v[84:85], s[4:5], v[70:71], v[70:71], v[72:73]
	v_rcp_f64_e32 v[86:87], v[84:85]
	v_fma_f64 v[88:89], -v[84:85], v[86:87], 1.0
	v_fma_f64 v[86:87], v[86:87], v[88:89], v[86:87]
	v_div_scale_f64 v[88:89], vcc, v[72:73], v[70:71], v[72:73]
	v_fma_f64 v[90:91], -v[84:85], v[86:87], 1.0
	v_fma_f64 v[86:87], v[86:87], v[90:91], v[86:87]
	v_mul_f64 v[90:91], v[88:89], v[86:87]
	v_fma_f64 v[84:85], -v[84:85], v[90:91], v[88:89]
	v_div_fmas_f64 v[84:85], v[84:85], v[86:87], v[90:91]
	v_div_fixup_f64 v[84:85], v[84:85], v[70:71], v[72:73]
	v_fma_f64 v[70:71], v[72:73], v[84:85], v[70:71]
	v_div_scale_f64 v[72:73], s[4:5], v[70:71], v[70:71], 1.0
	v_div_scale_f64 v[90:91], vcc, 1.0, v[70:71], 1.0
	v_rcp_f64_e32 v[86:87], v[72:73]
	v_fma_f64 v[88:89], -v[72:73], v[86:87], 1.0
	v_fma_f64 v[86:87], v[86:87], v[88:89], v[86:87]
	v_fma_f64 v[88:89], -v[72:73], v[86:87], 1.0
	v_fma_f64 v[86:87], v[86:87], v[88:89], v[86:87]
	v_mul_f64 v[88:89], v[90:91], v[86:87]
	v_fma_f64 v[72:73], -v[72:73], v[88:89], v[90:91]
	v_div_fmas_f64 v[72:73], v[72:73], v[86:87], v[88:89]
	v_div_fixup_f64 v[70:71], v[72:73], v[70:71], 1.0
	v_mul_f64 v[72:73], v[84:85], -v[70:71]
.LBB32_240:
	s_or_b64 exec, exec, s[2:3]
.LBB32_241:
	s_or_b64 exec, exec, s[0:1]
	v_cmp_ne_u32_e32 vcc, v80, v78
	s_and_saveexec_b64 s[0:1], vcc
	s_xor_b64 s[0:1], exec, s[0:1]
	s_cbranch_execz .LBB32_247
; %bb.242:
	v_cmp_eq_u32_e32 vcc, 11, v80
	s_and_saveexec_b64 s[2:3], vcc
	s_cbranch_execz .LBB32_246
; %bb.243:
	v_cmp_ne_u32_e32 vcc, 11, v78
	s_xor_b64 s[4:5], s[18:19], -1
	s_and_b64 s[24:25], s[4:5], vcc
	s_and_saveexec_b64 s[4:5], s[24:25]
	s_cbranch_execz .LBB32_245
; %bb.244:
	v_ashrrev_i32_e32 v79, 31, v78
	v_lshlrev_b64 v[79:80], 2, v[78:79]
	v_add_co_u32_e32 v79, vcc, v76, v79
	v_addc_co_u32_e32 v80, vcc, v77, v80, vcc
	global_load_dword v0, v[79:80], off
	global_load_dword v84, v[76:77], off offset:44
	s_waitcnt vmcnt(1)
	global_store_dword v[76:77], v0, off offset:44
	s_waitcnt vmcnt(1)
	global_store_dword v[79:80], v84, off
.LBB32_245:
	s_or_b64 exec, exec, s[4:5]
	v_mov_b32_e32 v80, v78
	v_mov_b32_e32 v0, v78
.LBB32_246:
	s_or_b64 exec, exec, s[2:3]
.LBB32_247:
	s_andn2_saveexec_b64 s[0:1], s[0:1]
	s_cbranch_execz .LBB32_249
; %bb.248:
	v_mov_b32_e32 v80, 11
	ds_write2_b64 v1, v[14:15], v[16:17] offset0:24 offset1:25
	ds_write2_b64 v1, v[10:11], v[12:13] offset0:26 offset1:27
	ds_write2_b64 v1, v[6:7], v[8:9] offset0:28 offset1:29
	ds_write2_b64 v1, v[2:3], v[4:5] offset0:30 offset1:31
	ds_write2_b64 v1, v[66:67], v[68:69] offset0:32 offset1:33
.LBB32_249:
	s_or_b64 exec, exec, s[0:1]
	v_cmp_lt_i32_e32 vcc, 11, v80
	s_waitcnt vmcnt(0) lgkmcnt(0)
	s_barrier
	s_and_saveexec_b64 s[0:1], vcc
	s_cbranch_execz .LBB32_251
; %bb.250:
	v_mul_f64 v[78:79], v[70:71], v[20:21]
	v_mul_f64 v[20:21], v[72:73], v[20:21]
	ds_read2_b64 v[84:87], v1 offset0:24 offset1:25
	ds_read2_b64 v[88:91], v1 offset0:26 offset1:27
	;; [unrolled: 1-line block ×5, first 2 shown]
	v_fma_f64 v[72:73], v[72:73], v[18:19], v[78:79]
	v_fma_f64 v[18:19], v[70:71], v[18:19], -v[20:21]
	s_waitcnt lgkmcnt(4)
	v_mul_f64 v[20:21], v[86:87], v[72:73]
	v_mul_f64 v[70:71], v[84:85], v[72:73]
	s_waitcnt lgkmcnt(3)
	v_mul_f64 v[78:79], v[90:91], v[72:73]
	v_mul_f64 v[104:105], v[88:89], v[72:73]
	;; [unrolled: 3-line block ×5, first 2 shown]
	v_fma_f64 v[20:21], v[84:85], v[18:19], -v[20:21]
	v_fma_f64 v[70:71], v[86:87], v[18:19], v[70:71]
	v_fma_f64 v[78:79], v[88:89], v[18:19], -v[78:79]
	v_fma_f64 v[84:85], v[90:91], v[18:19], v[104:105]
	;; [unrolled: 2-line block ×5, first 2 shown]
	v_add_f64 v[14:15], v[14:15], -v[20:21]
	v_add_f64 v[16:17], v[16:17], -v[70:71]
	;; [unrolled: 1-line block ×10, first 2 shown]
	v_mov_b32_e32 v20, v72
	v_mov_b32_e32 v21, v73
.LBB32_251:
	s_or_b64 exec, exec, s[0:1]
	v_lshl_add_u32 v70, v80, 4, v1
	s_barrier
	ds_write2_b64 v70, v[14:15], v[16:17] offset1:1
	s_waitcnt lgkmcnt(0)
	s_barrier
	ds_read2_b64 v[70:73], v1 offset0:24 offset1:25
	s_cmp_lt_i32 s22, 14
	v_mov_b32_e32 v78, 12
	s_cbranch_scc1 .LBB32_254
; %bb.252:
	v_add_u32_e32 v79, 0xd0, v1
	s_mov_b32 s2, 13
	v_mov_b32_e32 v78, 12
.LBB32_253:                             ; =>This Inner Loop Header: Depth=1
	s_waitcnt lgkmcnt(0)
	v_cmp_gt_f64_e32 vcc, 0, v[72:73]
	v_cmp_gt_f64_e64 s[0:1], 0, v[70:71]
	ds_read2_b64 v[84:87], v79 offset1:1
	v_xor_b32_e32 v89, 0x80000000, v71
	v_xor_b32_e32 v91, 0x80000000, v73
	v_mov_b32_e32 v88, v70
	v_mov_b32_e32 v90, v72
	s_waitcnt lgkmcnt(0)
	v_xor_b32_e32 v93, 0x80000000, v87
	v_cndmask_b32_e32 v91, v73, v91, vcc
	v_cndmask_b32_e64 v89, v71, v89, s[0:1]
	v_cmp_gt_f64_e32 vcc, 0, v[86:87]
	v_cmp_gt_f64_e64 s[0:1], 0, v[84:85]
	v_add_f64 v[88:89], v[88:89], v[90:91]
	v_xor_b32_e32 v91, 0x80000000, v85
	v_mov_b32_e32 v90, v84
	v_mov_b32_e32 v92, v86
	v_add_u32_e32 v79, 16, v79
	v_cndmask_b32_e32 v93, v87, v93, vcc
	v_cndmask_b32_e64 v91, v85, v91, s[0:1]
	v_add_f64 v[90:91], v[90:91], v[92:93]
	v_mov_b32_e32 v92, s2
	s_add_i32 s2, s2, 1
	s_cmp_lg_u32 s22, s2
	v_cmp_lt_f64_e32 vcc, v[88:89], v[90:91]
	v_cndmask_b32_e32 v71, v71, v85, vcc
	v_cndmask_b32_e32 v70, v70, v84, vcc
	;; [unrolled: 1-line block ×5, first 2 shown]
	s_cbranch_scc1 .LBB32_253
.LBB32_254:
	s_waitcnt lgkmcnt(0)
	v_cmp_eq_f64_e32 vcc, 0, v[70:71]
	v_cmp_eq_f64_e64 s[0:1], 0, v[72:73]
	s_and_b64 s[0:1], vcc, s[0:1]
	s_and_saveexec_b64 s[2:3], s[0:1]
	s_xor_b64 s[0:1], exec, s[2:3]
; %bb.255:
	v_cmp_ne_u32_e32 vcc, 0, v83
	v_cndmask_b32_e32 v83, 13, v83, vcc
; %bb.256:
	s_andn2_saveexec_b64 s[0:1], s[0:1]
	s_cbranch_execz .LBB32_262
; %bb.257:
	v_cmp_ngt_f64_e64 s[2:3], |v[70:71]|, |v[72:73]|
	s_and_saveexec_b64 s[4:5], s[2:3]
	s_xor_b64 s[2:3], exec, s[4:5]
	s_cbranch_execz .LBB32_259
; %bb.258:
	v_div_scale_f64 v[84:85], s[4:5], v[72:73], v[72:73], v[70:71]
	v_rcp_f64_e32 v[86:87], v[84:85]
	v_fma_f64 v[88:89], -v[84:85], v[86:87], 1.0
	v_fma_f64 v[86:87], v[86:87], v[88:89], v[86:87]
	v_div_scale_f64 v[88:89], vcc, v[70:71], v[72:73], v[70:71]
	v_fma_f64 v[90:91], -v[84:85], v[86:87], 1.0
	v_fma_f64 v[86:87], v[86:87], v[90:91], v[86:87]
	v_mul_f64 v[90:91], v[88:89], v[86:87]
	v_fma_f64 v[84:85], -v[84:85], v[90:91], v[88:89]
	v_div_fmas_f64 v[84:85], v[84:85], v[86:87], v[90:91]
	v_div_fixup_f64 v[84:85], v[84:85], v[72:73], v[70:71]
	v_fma_f64 v[70:71], v[70:71], v[84:85], v[72:73]
	v_div_scale_f64 v[72:73], s[4:5], v[70:71], v[70:71], 1.0
	v_div_scale_f64 v[90:91], vcc, 1.0, v[70:71], 1.0
	v_rcp_f64_e32 v[86:87], v[72:73]
	v_fma_f64 v[88:89], -v[72:73], v[86:87], 1.0
	v_fma_f64 v[86:87], v[86:87], v[88:89], v[86:87]
	v_fma_f64 v[88:89], -v[72:73], v[86:87], 1.0
	v_fma_f64 v[86:87], v[86:87], v[88:89], v[86:87]
	v_mul_f64 v[88:89], v[90:91], v[86:87]
	v_fma_f64 v[72:73], -v[72:73], v[88:89], v[90:91]
	v_div_fmas_f64 v[72:73], v[72:73], v[86:87], v[88:89]
	v_div_fixup_f64 v[72:73], v[72:73], v[70:71], 1.0
	v_mul_f64 v[70:71], v[84:85], v[72:73]
	v_xor_b32_e32 v73, 0x80000000, v73
.LBB32_259:
	s_andn2_saveexec_b64 s[2:3], s[2:3]
	s_cbranch_execz .LBB32_261
; %bb.260:
	v_div_scale_f64 v[84:85], s[4:5], v[70:71], v[70:71], v[72:73]
	v_rcp_f64_e32 v[86:87], v[84:85]
	v_fma_f64 v[88:89], -v[84:85], v[86:87], 1.0
	v_fma_f64 v[86:87], v[86:87], v[88:89], v[86:87]
	v_div_scale_f64 v[88:89], vcc, v[72:73], v[70:71], v[72:73]
	v_fma_f64 v[90:91], -v[84:85], v[86:87], 1.0
	v_fma_f64 v[86:87], v[86:87], v[90:91], v[86:87]
	v_mul_f64 v[90:91], v[88:89], v[86:87]
	v_fma_f64 v[84:85], -v[84:85], v[90:91], v[88:89]
	v_div_fmas_f64 v[84:85], v[84:85], v[86:87], v[90:91]
	v_div_fixup_f64 v[84:85], v[84:85], v[70:71], v[72:73]
	v_fma_f64 v[70:71], v[72:73], v[84:85], v[70:71]
	v_div_scale_f64 v[72:73], s[4:5], v[70:71], v[70:71], 1.0
	v_div_scale_f64 v[90:91], vcc, 1.0, v[70:71], 1.0
	v_rcp_f64_e32 v[86:87], v[72:73]
	v_fma_f64 v[88:89], -v[72:73], v[86:87], 1.0
	v_fma_f64 v[86:87], v[86:87], v[88:89], v[86:87]
	v_fma_f64 v[88:89], -v[72:73], v[86:87], 1.0
	v_fma_f64 v[86:87], v[86:87], v[88:89], v[86:87]
	v_mul_f64 v[88:89], v[90:91], v[86:87]
	v_fma_f64 v[72:73], -v[72:73], v[88:89], v[90:91]
	v_div_fmas_f64 v[72:73], v[72:73], v[86:87], v[88:89]
	v_div_fixup_f64 v[70:71], v[72:73], v[70:71], 1.0
	v_mul_f64 v[72:73], v[84:85], -v[70:71]
.LBB32_261:
	s_or_b64 exec, exec, s[2:3]
.LBB32_262:
	s_or_b64 exec, exec, s[0:1]
	v_cmp_ne_u32_e32 vcc, v80, v78
	s_and_saveexec_b64 s[0:1], vcc
	s_xor_b64 s[0:1], exec, s[0:1]
	s_cbranch_execz .LBB32_268
; %bb.263:
	v_cmp_eq_u32_e32 vcc, 12, v80
	s_and_saveexec_b64 s[2:3], vcc
	s_cbranch_execz .LBB32_267
; %bb.264:
	v_cmp_ne_u32_e32 vcc, 12, v78
	s_xor_b64 s[4:5], s[18:19], -1
	s_and_b64 s[24:25], s[4:5], vcc
	s_and_saveexec_b64 s[4:5], s[24:25]
	s_cbranch_execz .LBB32_266
; %bb.265:
	v_ashrrev_i32_e32 v79, 31, v78
	v_lshlrev_b64 v[79:80], 2, v[78:79]
	v_add_co_u32_e32 v79, vcc, v76, v79
	v_addc_co_u32_e32 v80, vcc, v77, v80, vcc
	global_load_dword v0, v[79:80], off
	global_load_dword v84, v[76:77], off offset:48
	s_waitcnt vmcnt(1)
	global_store_dword v[76:77], v0, off offset:48
	s_waitcnt vmcnt(1)
	global_store_dword v[79:80], v84, off
.LBB32_266:
	s_or_b64 exec, exec, s[4:5]
	v_mov_b32_e32 v80, v78
	v_mov_b32_e32 v0, v78
.LBB32_267:
	s_or_b64 exec, exec, s[2:3]
.LBB32_268:
	s_andn2_saveexec_b64 s[0:1], s[0:1]
	s_cbranch_execz .LBB32_270
; %bb.269:
	v_mov_b32_e32 v80, 12
	ds_write2_b64 v1, v[10:11], v[12:13] offset0:26 offset1:27
	ds_write2_b64 v1, v[6:7], v[8:9] offset0:28 offset1:29
	;; [unrolled: 1-line block ×4, first 2 shown]
.LBB32_270:
	s_or_b64 exec, exec, s[0:1]
	v_cmp_lt_i32_e32 vcc, 12, v80
	s_waitcnt vmcnt(0) lgkmcnt(0)
	s_barrier
	s_and_saveexec_b64 s[0:1], vcc
	s_cbranch_execz .LBB32_272
; %bb.271:
	v_mul_f64 v[78:79], v[70:71], v[16:17]
	v_mul_f64 v[16:17], v[72:73], v[16:17]
	ds_read2_b64 v[84:87], v1 offset0:26 offset1:27
	ds_read2_b64 v[88:91], v1 offset0:28 offset1:29
	;; [unrolled: 1-line block ×4, first 2 shown]
	v_fma_f64 v[72:73], v[72:73], v[14:15], v[78:79]
	v_fma_f64 v[14:15], v[70:71], v[14:15], -v[16:17]
	s_waitcnt lgkmcnt(3)
	v_mul_f64 v[16:17], v[86:87], v[72:73]
	v_mul_f64 v[70:71], v[84:85], v[72:73]
	s_waitcnt lgkmcnt(2)
	v_mul_f64 v[78:79], v[90:91], v[72:73]
	v_mul_f64 v[100:101], v[88:89], v[72:73]
	;; [unrolled: 3-line block ×4, first 2 shown]
	v_fma_f64 v[16:17], v[84:85], v[14:15], -v[16:17]
	v_fma_f64 v[70:71], v[86:87], v[14:15], v[70:71]
	v_fma_f64 v[78:79], v[88:89], v[14:15], -v[78:79]
	v_fma_f64 v[84:85], v[90:91], v[14:15], v[100:101]
	;; [unrolled: 2-line block ×4, first 2 shown]
	v_add_f64 v[10:11], v[10:11], -v[16:17]
	v_add_f64 v[12:13], v[12:13], -v[70:71]
	;; [unrolled: 1-line block ×8, first 2 shown]
	v_mov_b32_e32 v16, v72
	v_mov_b32_e32 v17, v73
.LBB32_272:
	s_or_b64 exec, exec, s[0:1]
	v_lshl_add_u32 v70, v80, 4, v1
	s_barrier
	ds_write2_b64 v70, v[10:11], v[12:13] offset1:1
	s_waitcnt lgkmcnt(0)
	s_barrier
	ds_read2_b64 v[70:73], v1 offset0:26 offset1:27
	s_cmp_lt_i32 s22, 15
	v_mov_b32_e32 v78, 13
	s_cbranch_scc1 .LBB32_275
; %bb.273:
	v_add_u32_e32 v79, 0xe0, v1
	s_mov_b32 s2, 14
	v_mov_b32_e32 v78, 13
.LBB32_274:                             ; =>This Inner Loop Header: Depth=1
	s_waitcnt lgkmcnt(0)
	v_cmp_gt_f64_e32 vcc, 0, v[72:73]
	v_cmp_gt_f64_e64 s[0:1], 0, v[70:71]
	ds_read2_b64 v[84:87], v79 offset1:1
	v_xor_b32_e32 v89, 0x80000000, v71
	v_xor_b32_e32 v91, 0x80000000, v73
	v_mov_b32_e32 v88, v70
	v_mov_b32_e32 v90, v72
	s_waitcnt lgkmcnt(0)
	v_xor_b32_e32 v93, 0x80000000, v87
	v_cndmask_b32_e32 v91, v73, v91, vcc
	v_cndmask_b32_e64 v89, v71, v89, s[0:1]
	v_cmp_gt_f64_e32 vcc, 0, v[86:87]
	v_cmp_gt_f64_e64 s[0:1], 0, v[84:85]
	v_add_f64 v[88:89], v[88:89], v[90:91]
	v_xor_b32_e32 v91, 0x80000000, v85
	v_mov_b32_e32 v90, v84
	v_mov_b32_e32 v92, v86
	v_add_u32_e32 v79, 16, v79
	v_cndmask_b32_e32 v93, v87, v93, vcc
	v_cndmask_b32_e64 v91, v85, v91, s[0:1]
	v_add_f64 v[90:91], v[90:91], v[92:93]
	v_mov_b32_e32 v92, s2
	s_add_i32 s2, s2, 1
	s_cmp_lg_u32 s22, s2
	v_cmp_lt_f64_e32 vcc, v[88:89], v[90:91]
	v_cndmask_b32_e32 v71, v71, v85, vcc
	v_cndmask_b32_e32 v70, v70, v84, vcc
	;; [unrolled: 1-line block ×5, first 2 shown]
	s_cbranch_scc1 .LBB32_274
.LBB32_275:
	s_waitcnt lgkmcnt(0)
	v_cmp_eq_f64_e32 vcc, 0, v[70:71]
	v_cmp_eq_f64_e64 s[0:1], 0, v[72:73]
	s_and_b64 s[0:1], vcc, s[0:1]
	s_and_saveexec_b64 s[2:3], s[0:1]
	s_xor_b64 s[0:1], exec, s[2:3]
; %bb.276:
	v_cmp_ne_u32_e32 vcc, 0, v83
	v_cndmask_b32_e32 v83, 14, v83, vcc
; %bb.277:
	s_andn2_saveexec_b64 s[0:1], s[0:1]
	s_cbranch_execz .LBB32_283
; %bb.278:
	v_cmp_ngt_f64_e64 s[2:3], |v[70:71]|, |v[72:73]|
	s_and_saveexec_b64 s[4:5], s[2:3]
	s_xor_b64 s[2:3], exec, s[4:5]
	s_cbranch_execz .LBB32_280
; %bb.279:
	v_div_scale_f64 v[84:85], s[4:5], v[72:73], v[72:73], v[70:71]
	v_rcp_f64_e32 v[86:87], v[84:85]
	v_fma_f64 v[88:89], -v[84:85], v[86:87], 1.0
	v_fma_f64 v[86:87], v[86:87], v[88:89], v[86:87]
	v_div_scale_f64 v[88:89], vcc, v[70:71], v[72:73], v[70:71]
	v_fma_f64 v[90:91], -v[84:85], v[86:87], 1.0
	v_fma_f64 v[86:87], v[86:87], v[90:91], v[86:87]
	v_mul_f64 v[90:91], v[88:89], v[86:87]
	v_fma_f64 v[84:85], -v[84:85], v[90:91], v[88:89]
	v_div_fmas_f64 v[84:85], v[84:85], v[86:87], v[90:91]
	v_div_fixup_f64 v[84:85], v[84:85], v[72:73], v[70:71]
	v_fma_f64 v[70:71], v[70:71], v[84:85], v[72:73]
	v_div_scale_f64 v[72:73], s[4:5], v[70:71], v[70:71], 1.0
	v_div_scale_f64 v[90:91], vcc, 1.0, v[70:71], 1.0
	v_rcp_f64_e32 v[86:87], v[72:73]
	v_fma_f64 v[88:89], -v[72:73], v[86:87], 1.0
	v_fma_f64 v[86:87], v[86:87], v[88:89], v[86:87]
	v_fma_f64 v[88:89], -v[72:73], v[86:87], 1.0
	v_fma_f64 v[86:87], v[86:87], v[88:89], v[86:87]
	v_mul_f64 v[88:89], v[90:91], v[86:87]
	v_fma_f64 v[72:73], -v[72:73], v[88:89], v[90:91]
	v_div_fmas_f64 v[72:73], v[72:73], v[86:87], v[88:89]
	v_div_fixup_f64 v[72:73], v[72:73], v[70:71], 1.0
	v_mul_f64 v[70:71], v[84:85], v[72:73]
	v_xor_b32_e32 v73, 0x80000000, v73
.LBB32_280:
	s_andn2_saveexec_b64 s[2:3], s[2:3]
	s_cbranch_execz .LBB32_282
; %bb.281:
	v_div_scale_f64 v[84:85], s[4:5], v[70:71], v[70:71], v[72:73]
	v_rcp_f64_e32 v[86:87], v[84:85]
	v_fma_f64 v[88:89], -v[84:85], v[86:87], 1.0
	v_fma_f64 v[86:87], v[86:87], v[88:89], v[86:87]
	v_div_scale_f64 v[88:89], vcc, v[72:73], v[70:71], v[72:73]
	v_fma_f64 v[90:91], -v[84:85], v[86:87], 1.0
	v_fma_f64 v[86:87], v[86:87], v[90:91], v[86:87]
	v_mul_f64 v[90:91], v[88:89], v[86:87]
	v_fma_f64 v[84:85], -v[84:85], v[90:91], v[88:89]
	v_div_fmas_f64 v[84:85], v[84:85], v[86:87], v[90:91]
	v_div_fixup_f64 v[84:85], v[84:85], v[70:71], v[72:73]
	v_fma_f64 v[70:71], v[72:73], v[84:85], v[70:71]
	v_div_scale_f64 v[72:73], s[4:5], v[70:71], v[70:71], 1.0
	v_div_scale_f64 v[90:91], vcc, 1.0, v[70:71], 1.0
	v_rcp_f64_e32 v[86:87], v[72:73]
	v_fma_f64 v[88:89], -v[72:73], v[86:87], 1.0
	v_fma_f64 v[86:87], v[86:87], v[88:89], v[86:87]
	v_fma_f64 v[88:89], -v[72:73], v[86:87], 1.0
	v_fma_f64 v[86:87], v[86:87], v[88:89], v[86:87]
	v_mul_f64 v[88:89], v[90:91], v[86:87]
	v_fma_f64 v[72:73], -v[72:73], v[88:89], v[90:91]
	v_div_fmas_f64 v[72:73], v[72:73], v[86:87], v[88:89]
	v_div_fixup_f64 v[70:71], v[72:73], v[70:71], 1.0
	v_mul_f64 v[72:73], v[84:85], -v[70:71]
.LBB32_282:
	s_or_b64 exec, exec, s[2:3]
.LBB32_283:
	s_or_b64 exec, exec, s[0:1]
	v_cmp_ne_u32_e32 vcc, v80, v78
	s_and_saveexec_b64 s[0:1], vcc
	s_xor_b64 s[0:1], exec, s[0:1]
	s_cbranch_execz .LBB32_289
; %bb.284:
	v_cmp_eq_u32_e32 vcc, 13, v80
	s_and_saveexec_b64 s[2:3], vcc
	s_cbranch_execz .LBB32_288
; %bb.285:
	v_cmp_ne_u32_e32 vcc, 13, v78
	s_xor_b64 s[4:5], s[18:19], -1
	s_and_b64 s[24:25], s[4:5], vcc
	s_and_saveexec_b64 s[4:5], s[24:25]
	s_cbranch_execz .LBB32_287
; %bb.286:
	v_ashrrev_i32_e32 v79, 31, v78
	v_lshlrev_b64 v[79:80], 2, v[78:79]
	v_add_co_u32_e32 v79, vcc, v76, v79
	v_addc_co_u32_e32 v80, vcc, v77, v80, vcc
	global_load_dword v0, v[79:80], off
	global_load_dword v84, v[76:77], off offset:52
	s_waitcnt vmcnt(1)
	global_store_dword v[76:77], v0, off offset:52
	s_waitcnt vmcnt(1)
	global_store_dword v[79:80], v84, off
.LBB32_287:
	s_or_b64 exec, exec, s[4:5]
	v_mov_b32_e32 v80, v78
	v_mov_b32_e32 v0, v78
.LBB32_288:
	s_or_b64 exec, exec, s[2:3]
.LBB32_289:
	s_andn2_saveexec_b64 s[0:1], s[0:1]
	s_cbranch_execz .LBB32_291
; %bb.290:
	v_mov_b32_e32 v80, 13
	ds_write2_b64 v1, v[6:7], v[8:9] offset0:28 offset1:29
	ds_write2_b64 v1, v[2:3], v[4:5] offset0:30 offset1:31
	;; [unrolled: 1-line block ×3, first 2 shown]
.LBB32_291:
	s_or_b64 exec, exec, s[0:1]
	v_cmp_lt_i32_e32 vcc, 13, v80
	s_waitcnt vmcnt(0) lgkmcnt(0)
	s_barrier
	s_and_saveexec_b64 s[0:1], vcc
	s_cbranch_execz .LBB32_293
; %bb.292:
	v_mul_f64 v[78:79], v[70:71], v[12:13]
	v_mul_f64 v[12:13], v[72:73], v[12:13]
	ds_read2_b64 v[84:87], v1 offset0:28 offset1:29
	ds_read2_b64 v[88:91], v1 offset0:30 offset1:31
	;; [unrolled: 1-line block ×3, first 2 shown]
	v_fma_f64 v[72:73], v[72:73], v[10:11], v[78:79]
	v_fma_f64 v[10:11], v[70:71], v[10:11], -v[12:13]
	s_waitcnt lgkmcnt(2)
	v_mul_f64 v[12:13], v[86:87], v[72:73]
	v_mul_f64 v[70:71], v[84:85], v[72:73]
	s_waitcnt lgkmcnt(1)
	v_mul_f64 v[78:79], v[90:91], v[72:73]
	v_mul_f64 v[96:97], v[88:89], v[72:73]
	;; [unrolled: 3-line block ×3, first 2 shown]
	v_fma_f64 v[12:13], v[84:85], v[10:11], -v[12:13]
	v_fma_f64 v[70:71], v[86:87], v[10:11], v[70:71]
	v_fma_f64 v[78:79], v[88:89], v[10:11], -v[78:79]
	v_fma_f64 v[84:85], v[90:91], v[10:11], v[96:97]
	v_fma_f64 v[86:87], v[92:93], v[10:11], -v[98:99]
	v_fma_f64 v[88:89], v[94:95], v[10:11], v[100:101]
	v_add_f64 v[6:7], v[6:7], -v[12:13]
	v_add_f64 v[8:9], v[8:9], -v[70:71]
	;; [unrolled: 1-line block ×6, first 2 shown]
	v_mov_b32_e32 v12, v72
	v_mov_b32_e32 v13, v73
.LBB32_293:
	s_or_b64 exec, exec, s[0:1]
	v_lshl_add_u32 v70, v80, 4, v1
	s_barrier
	ds_write2_b64 v70, v[6:7], v[8:9] offset1:1
	s_waitcnt lgkmcnt(0)
	s_barrier
	ds_read2_b64 v[70:73], v1 offset0:28 offset1:29
	s_cmp_lt_i32 s22, 16
	v_mov_b32_e32 v78, 14
	s_cbranch_scc1 .LBB32_296
; %bb.294:
	v_add_u32_e32 v79, 0xf0, v1
	s_mov_b32 s2, 15
	v_mov_b32_e32 v78, 14
.LBB32_295:                             ; =>This Inner Loop Header: Depth=1
	s_waitcnt lgkmcnt(0)
	v_cmp_gt_f64_e32 vcc, 0, v[72:73]
	v_cmp_gt_f64_e64 s[0:1], 0, v[70:71]
	ds_read2_b64 v[84:87], v79 offset1:1
	v_xor_b32_e32 v89, 0x80000000, v71
	v_xor_b32_e32 v91, 0x80000000, v73
	v_mov_b32_e32 v88, v70
	v_mov_b32_e32 v90, v72
	s_waitcnt lgkmcnt(0)
	v_xor_b32_e32 v93, 0x80000000, v87
	v_cndmask_b32_e32 v91, v73, v91, vcc
	v_cndmask_b32_e64 v89, v71, v89, s[0:1]
	v_cmp_gt_f64_e32 vcc, 0, v[86:87]
	v_cmp_gt_f64_e64 s[0:1], 0, v[84:85]
	v_add_f64 v[88:89], v[88:89], v[90:91]
	v_xor_b32_e32 v91, 0x80000000, v85
	v_mov_b32_e32 v90, v84
	v_mov_b32_e32 v92, v86
	v_add_u32_e32 v79, 16, v79
	v_cndmask_b32_e32 v93, v87, v93, vcc
	v_cndmask_b32_e64 v91, v85, v91, s[0:1]
	v_add_f64 v[90:91], v[90:91], v[92:93]
	v_mov_b32_e32 v92, s2
	s_add_i32 s2, s2, 1
	s_cmp_lg_u32 s22, s2
	v_cmp_lt_f64_e32 vcc, v[88:89], v[90:91]
	v_cndmask_b32_e32 v71, v71, v85, vcc
	v_cndmask_b32_e32 v70, v70, v84, vcc
	;; [unrolled: 1-line block ×5, first 2 shown]
	s_cbranch_scc1 .LBB32_295
.LBB32_296:
	s_waitcnt lgkmcnt(0)
	v_cmp_eq_f64_e32 vcc, 0, v[70:71]
	v_cmp_eq_f64_e64 s[0:1], 0, v[72:73]
	s_and_b64 s[0:1], vcc, s[0:1]
	s_and_saveexec_b64 s[2:3], s[0:1]
	s_xor_b64 s[0:1], exec, s[2:3]
; %bb.297:
	v_cmp_ne_u32_e32 vcc, 0, v83
	v_cndmask_b32_e32 v83, 15, v83, vcc
; %bb.298:
	s_andn2_saveexec_b64 s[0:1], s[0:1]
	s_cbranch_execz .LBB32_304
; %bb.299:
	v_cmp_ngt_f64_e64 s[2:3], |v[70:71]|, |v[72:73]|
	s_and_saveexec_b64 s[4:5], s[2:3]
	s_xor_b64 s[2:3], exec, s[4:5]
	s_cbranch_execz .LBB32_301
; %bb.300:
	v_div_scale_f64 v[84:85], s[4:5], v[72:73], v[72:73], v[70:71]
	v_rcp_f64_e32 v[86:87], v[84:85]
	v_fma_f64 v[88:89], -v[84:85], v[86:87], 1.0
	v_fma_f64 v[86:87], v[86:87], v[88:89], v[86:87]
	v_div_scale_f64 v[88:89], vcc, v[70:71], v[72:73], v[70:71]
	v_fma_f64 v[90:91], -v[84:85], v[86:87], 1.0
	v_fma_f64 v[86:87], v[86:87], v[90:91], v[86:87]
	v_mul_f64 v[90:91], v[88:89], v[86:87]
	v_fma_f64 v[84:85], -v[84:85], v[90:91], v[88:89]
	v_div_fmas_f64 v[84:85], v[84:85], v[86:87], v[90:91]
	v_div_fixup_f64 v[84:85], v[84:85], v[72:73], v[70:71]
	v_fma_f64 v[70:71], v[70:71], v[84:85], v[72:73]
	v_div_scale_f64 v[72:73], s[4:5], v[70:71], v[70:71], 1.0
	v_div_scale_f64 v[90:91], vcc, 1.0, v[70:71], 1.0
	v_rcp_f64_e32 v[86:87], v[72:73]
	v_fma_f64 v[88:89], -v[72:73], v[86:87], 1.0
	v_fma_f64 v[86:87], v[86:87], v[88:89], v[86:87]
	v_fma_f64 v[88:89], -v[72:73], v[86:87], 1.0
	v_fma_f64 v[86:87], v[86:87], v[88:89], v[86:87]
	v_mul_f64 v[88:89], v[90:91], v[86:87]
	v_fma_f64 v[72:73], -v[72:73], v[88:89], v[90:91]
	v_div_fmas_f64 v[72:73], v[72:73], v[86:87], v[88:89]
	v_div_fixup_f64 v[72:73], v[72:73], v[70:71], 1.0
	v_mul_f64 v[70:71], v[84:85], v[72:73]
	v_xor_b32_e32 v73, 0x80000000, v73
.LBB32_301:
	s_andn2_saveexec_b64 s[2:3], s[2:3]
	s_cbranch_execz .LBB32_303
; %bb.302:
	v_div_scale_f64 v[84:85], s[4:5], v[70:71], v[70:71], v[72:73]
	v_rcp_f64_e32 v[86:87], v[84:85]
	v_fma_f64 v[88:89], -v[84:85], v[86:87], 1.0
	v_fma_f64 v[86:87], v[86:87], v[88:89], v[86:87]
	v_div_scale_f64 v[88:89], vcc, v[72:73], v[70:71], v[72:73]
	v_fma_f64 v[90:91], -v[84:85], v[86:87], 1.0
	v_fma_f64 v[86:87], v[86:87], v[90:91], v[86:87]
	v_mul_f64 v[90:91], v[88:89], v[86:87]
	v_fma_f64 v[84:85], -v[84:85], v[90:91], v[88:89]
	v_div_fmas_f64 v[84:85], v[84:85], v[86:87], v[90:91]
	v_div_fixup_f64 v[84:85], v[84:85], v[70:71], v[72:73]
	v_fma_f64 v[70:71], v[72:73], v[84:85], v[70:71]
	v_div_scale_f64 v[72:73], s[4:5], v[70:71], v[70:71], 1.0
	v_div_scale_f64 v[90:91], vcc, 1.0, v[70:71], 1.0
	v_rcp_f64_e32 v[86:87], v[72:73]
	v_fma_f64 v[88:89], -v[72:73], v[86:87], 1.0
	v_fma_f64 v[86:87], v[86:87], v[88:89], v[86:87]
	v_fma_f64 v[88:89], -v[72:73], v[86:87], 1.0
	v_fma_f64 v[86:87], v[86:87], v[88:89], v[86:87]
	v_mul_f64 v[88:89], v[90:91], v[86:87]
	v_fma_f64 v[72:73], -v[72:73], v[88:89], v[90:91]
	v_div_fmas_f64 v[72:73], v[72:73], v[86:87], v[88:89]
	v_div_fixup_f64 v[70:71], v[72:73], v[70:71], 1.0
	v_mul_f64 v[72:73], v[84:85], -v[70:71]
.LBB32_303:
	s_or_b64 exec, exec, s[2:3]
.LBB32_304:
	s_or_b64 exec, exec, s[0:1]
	v_cmp_ne_u32_e32 vcc, v80, v78
	s_and_saveexec_b64 s[0:1], vcc
	s_xor_b64 s[0:1], exec, s[0:1]
	s_cbranch_execz .LBB32_310
; %bb.305:
	v_cmp_eq_u32_e32 vcc, 14, v80
	s_and_saveexec_b64 s[2:3], vcc
	s_cbranch_execz .LBB32_309
; %bb.306:
	v_cmp_ne_u32_e32 vcc, 14, v78
	s_xor_b64 s[4:5], s[18:19], -1
	s_and_b64 s[24:25], s[4:5], vcc
	s_and_saveexec_b64 s[4:5], s[24:25]
	s_cbranch_execz .LBB32_308
; %bb.307:
	v_ashrrev_i32_e32 v79, 31, v78
	v_lshlrev_b64 v[79:80], 2, v[78:79]
	v_add_co_u32_e32 v79, vcc, v76, v79
	v_addc_co_u32_e32 v80, vcc, v77, v80, vcc
	global_load_dword v0, v[79:80], off
	global_load_dword v84, v[76:77], off offset:56
	s_waitcnt vmcnt(1)
	global_store_dword v[76:77], v0, off offset:56
	s_waitcnt vmcnt(1)
	global_store_dword v[79:80], v84, off
.LBB32_308:
	s_or_b64 exec, exec, s[4:5]
	v_mov_b32_e32 v80, v78
	v_mov_b32_e32 v0, v78
.LBB32_309:
	s_or_b64 exec, exec, s[2:3]
.LBB32_310:
	s_andn2_saveexec_b64 s[0:1], s[0:1]
	s_cbranch_execz .LBB32_312
; %bb.311:
	v_mov_b32_e32 v80, 14
	ds_write2_b64 v1, v[2:3], v[4:5] offset0:30 offset1:31
	ds_write2_b64 v1, v[66:67], v[68:69] offset0:32 offset1:33
.LBB32_312:
	s_or_b64 exec, exec, s[0:1]
	v_cmp_lt_i32_e32 vcc, 14, v80
	s_waitcnt vmcnt(0) lgkmcnt(0)
	s_barrier
	s_and_saveexec_b64 s[0:1], vcc
	s_cbranch_execz .LBB32_314
; %bb.313:
	v_mul_f64 v[78:79], v[70:71], v[8:9]
	v_mul_f64 v[8:9], v[72:73], v[8:9]
	ds_read2_b64 v[84:87], v1 offset0:30 offset1:31
	ds_read2_b64 v[88:91], v1 offset0:32 offset1:33
	v_fma_f64 v[72:73], v[72:73], v[6:7], v[78:79]
	v_fma_f64 v[6:7], v[70:71], v[6:7], -v[8:9]
	s_waitcnt lgkmcnt(1)
	v_mul_f64 v[8:9], v[86:87], v[72:73]
	v_mul_f64 v[70:71], v[84:85], v[72:73]
	s_waitcnt lgkmcnt(0)
	v_mul_f64 v[78:79], v[90:91], v[72:73]
	v_mul_f64 v[92:93], v[88:89], v[72:73]
	v_fma_f64 v[8:9], v[84:85], v[6:7], -v[8:9]
	v_fma_f64 v[70:71], v[86:87], v[6:7], v[70:71]
	v_fma_f64 v[78:79], v[88:89], v[6:7], -v[78:79]
	v_fma_f64 v[84:85], v[90:91], v[6:7], v[92:93]
	v_add_f64 v[2:3], v[2:3], -v[8:9]
	v_add_f64 v[4:5], v[4:5], -v[70:71]
	;; [unrolled: 1-line block ×4, first 2 shown]
	v_mov_b32_e32 v8, v72
	v_mov_b32_e32 v9, v73
.LBB32_314:
	s_or_b64 exec, exec, s[0:1]
	v_lshl_add_u32 v70, v80, 4, v1
	s_barrier
	ds_write2_b64 v70, v[2:3], v[4:5] offset1:1
	s_waitcnt lgkmcnt(0)
	s_barrier
	ds_read2_b64 v[70:73], v1 offset0:30 offset1:31
	s_cmp_lt_i32 s22, 17
	v_mov_b32_e32 v78, 15
	s_cbranch_scc1 .LBB32_317
; %bb.315:
	v_add_u32_e32 v79, 0x100, v1
	s_mov_b32 s2, 16
	v_mov_b32_e32 v78, 15
.LBB32_316:                             ; =>This Inner Loop Header: Depth=1
	s_waitcnt lgkmcnt(0)
	v_cmp_gt_f64_e32 vcc, 0, v[72:73]
	v_cmp_gt_f64_e64 s[0:1], 0, v[70:71]
	ds_read2_b64 v[84:87], v79 offset1:1
	v_xor_b32_e32 v89, 0x80000000, v71
	v_xor_b32_e32 v91, 0x80000000, v73
	v_mov_b32_e32 v88, v70
	v_mov_b32_e32 v90, v72
	s_waitcnt lgkmcnt(0)
	v_xor_b32_e32 v93, 0x80000000, v87
	v_cndmask_b32_e32 v91, v73, v91, vcc
	v_cndmask_b32_e64 v89, v71, v89, s[0:1]
	v_cmp_gt_f64_e32 vcc, 0, v[86:87]
	v_cmp_gt_f64_e64 s[0:1], 0, v[84:85]
	v_add_f64 v[88:89], v[88:89], v[90:91]
	v_xor_b32_e32 v91, 0x80000000, v85
	v_mov_b32_e32 v90, v84
	v_mov_b32_e32 v92, v86
	v_add_u32_e32 v79, 16, v79
	v_cndmask_b32_e32 v93, v87, v93, vcc
	v_cndmask_b32_e64 v91, v85, v91, s[0:1]
	v_add_f64 v[90:91], v[90:91], v[92:93]
	v_mov_b32_e32 v92, s2
	s_add_i32 s2, s2, 1
	s_cmp_lg_u32 s22, s2
	v_cmp_lt_f64_e32 vcc, v[88:89], v[90:91]
	v_cndmask_b32_e32 v71, v71, v85, vcc
	v_cndmask_b32_e32 v70, v70, v84, vcc
	;; [unrolled: 1-line block ×5, first 2 shown]
	s_cbranch_scc1 .LBB32_316
.LBB32_317:
	s_waitcnt lgkmcnt(0)
	v_cmp_eq_f64_e32 vcc, 0, v[70:71]
	v_cmp_eq_f64_e64 s[0:1], 0, v[72:73]
	s_and_b64 s[0:1], vcc, s[0:1]
	s_and_saveexec_b64 s[2:3], s[0:1]
	s_xor_b64 s[0:1], exec, s[2:3]
; %bb.318:
	v_cmp_ne_u32_e32 vcc, 0, v83
	v_cndmask_b32_e32 v83, 16, v83, vcc
; %bb.319:
	s_andn2_saveexec_b64 s[0:1], s[0:1]
	s_cbranch_execz .LBB32_325
; %bb.320:
	v_cmp_ngt_f64_e64 s[2:3], |v[70:71]|, |v[72:73]|
	s_and_saveexec_b64 s[4:5], s[2:3]
	s_xor_b64 s[2:3], exec, s[4:5]
	s_cbranch_execz .LBB32_322
; %bb.321:
	v_div_scale_f64 v[84:85], s[4:5], v[72:73], v[72:73], v[70:71]
	v_rcp_f64_e32 v[86:87], v[84:85]
	v_fma_f64 v[88:89], -v[84:85], v[86:87], 1.0
	v_fma_f64 v[86:87], v[86:87], v[88:89], v[86:87]
	v_div_scale_f64 v[88:89], vcc, v[70:71], v[72:73], v[70:71]
	v_fma_f64 v[90:91], -v[84:85], v[86:87], 1.0
	v_fma_f64 v[86:87], v[86:87], v[90:91], v[86:87]
	v_mul_f64 v[90:91], v[88:89], v[86:87]
	v_fma_f64 v[84:85], -v[84:85], v[90:91], v[88:89]
	v_div_fmas_f64 v[84:85], v[84:85], v[86:87], v[90:91]
	v_div_fixup_f64 v[84:85], v[84:85], v[72:73], v[70:71]
	v_fma_f64 v[70:71], v[70:71], v[84:85], v[72:73]
	v_div_scale_f64 v[72:73], s[4:5], v[70:71], v[70:71], 1.0
	v_div_scale_f64 v[90:91], vcc, 1.0, v[70:71], 1.0
	v_rcp_f64_e32 v[86:87], v[72:73]
	v_fma_f64 v[88:89], -v[72:73], v[86:87], 1.0
	v_fma_f64 v[86:87], v[86:87], v[88:89], v[86:87]
	v_fma_f64 v[88:89], -v[72:73], v[86:87], 1.0
	v_fma_f64 v[86:87], v[86:87], v[88:89], v[86:87]
	v_mul_f64 v[88:89], v[90:91], v[86:87]
	v_fma_f64 v[72:73], -v[72:73], v[88:89], v[90:91]
	v_div_fmas_f64 v[72:73], v[72:73], v[86:87], v[88:89]
	v_div_fixup_f64 v[72:73], v[72:73], v[70:71], 1.0
	v_mul_f64 v[70:71], v[84:85], v[72:73]
	v_xor_b32_e32 v73, 0x80000000, v73
.LBB32_322:
	s_andn2_saveexec_b64 s[2:3], s[2:3]
	s_cbranch_execz .LBB32_324
; %bb.323:
	v_div_scale_f64 v[84:85], s[4:5], v[70:71], v[70:71], v[72:73]
	v_rcp_f64_e32 v[86:87], v[84:85]
	v_fma_f64 v[88:89], -v[84:85], v[86:87], 1.0
	v_fma_f64 v[86:87], v[86:87], v[88:89], v[86:87]
	v_div_scale_f64 v[88:89], vcc, v[72:73], v[70:71], v[72:73]
	v_fma_f64 v[90:91], -v[84:85], v[86:87], 1.0
	v_fma_f64 v[86:87], v[86:87], v[90:91], v[86:87]
	v_mul_f64 v[90:91], v[88:89], v[86:87]
	v_fma_f64 v[84:85], -v[84:85], v[90:91], v[88:89]
	v_div_fmas_f64 v[84:85], v[84:85], v[86:87], v[90:91]
	v_div_fixup_f64 v[84:85], v[84:85], v[70:71], v[72:73]
	v_fma_f64 v[70:71], v[72:73], v[84:85], v[70:71]
	v_div_scale_f64 v[72:73], s[4:5], v[70:71], v[70:71], 1.0
	v_div_scale_f64 v[90:91], vcc, 1.0, v[70:71], 1.0
	v_rcp_f64_e32 v[86:87], v[72:73]
	v_fma_f64 v[88:89], -v[72:73], v[86:87], 1.0
	v_fma_f64 v[86:87], v[86:87], v[88:89], v[86:87]
	v_fma_f64 v[88:89], -v[72:73], v[86:87], 1.0
	v_fma_f64 v[86:87], v[86:87], v[88:89], v[86:87]
	v_mul_f64 v[88:89], v[90:91], v[86:87]
	v_fma_f64 v[72:73], -v[72:73], v[88:89], v[90:91]
	v_div_fmas_f64 v[72:73], v[72:73], v[86:87], v[88:89]
	v_div_fixup_f64 v[70:71], v[72:73], v[70:71], 1.0
	v_mul_f64 v[72:73], v[84:85], -v[70:71]
.LBB32_324:
	s_or_b64 exec, exec, s[2:3]
.LBB32_325:
	s_or_b64 exec, exec, s[0:1]
	v_cmp_ne_u32_e32 vcc, v80, v78
	s_and_saveexec_b64 s[0:1], vcc
	s_xor_b64 s[0:1], exec, s[0:1]
	s_cbranch_execz .LBB32_331
; %bb.326:
	v_cmp_eq_u32_e32 vcc, 15, v80
	s_and_saveexec_b64 s[2:3], vcc
	s_cbranch_execz .LBB32_330
; %bb.327:
	v_cmp_ne_u32_e32 vcc, 15, v78
	s_xor_b64 s[4:5], s[18:19], -1
	s_and_b64 s[24:25], s[4:5], vcc
	s_and_saveexec_b64 s[4:5], s[24:25]
	s_cbranch_execz .LBB32_329
; %bb.328:
	v_ashrrev_i32_e32 v79, 31, v78
	v_lshlrev_b64 v[79:80], 2, v[78:79]
	v_add_co_u32_e32 v79, vcc, v76, v79
	v_addc_co_u32_e32 v80, vcc, v77, v80, vcc
	global_load_dword v0, v[79:80], off
	global_load_dword v84, v[76:77], off offset:60
	s_waitcnt vmcnt(1)
	global_store_dword v[76:77], v0, off offset:60
	s_waitcnt vmcnt(1)
	global_store_dword v[79:80], v84, off
.LBB32_329:
	s_or_b64 exec, exec, s[4:5]
	v_mov_b32_e32 v80, v78
	v_mov_b32_e32 v0, v78
.LBB32_330:
	s_or_b64 exec, exec, s[2:3]
.LBB32_331:
	s_andn2_saveexec_b64 s[0:1], s[0:1]
; %bb.332:
	v_mov_b32_e32 v80, 15
	ds_write2_b64 v1, v[66:67], v[68:69] offset0:32 offset1:33
; %bb.333:
	s_or_b64 exec, exec, s[0:1]
	v_cmp_lt_i32_e32 vcc, 15, v80
	s_waitcnt vmcnt(0) lgkmcnt(0)
	s_barrier
	s_and_saveexec_b64 s[0:1], vcc
	s_cbranch_execz .LBB32_335
; %bb.334:
	v_mul_f64 v[78:79], v[70:71], v[4:5]
	v_mul_f64 v[4:5], v[72:73], v[4:5]
	ds_read2_b64 v[84:87], v1 offset0:32 offset1:33
	v_fma_f64 v[72:73], v[72:73], v[2:3], v[78:79]
	v_fma_f64 v[2:3], v[70:71], v[2:3], -v[4:5]
	s_waitcnt lgkmcnt(0)
	v_mul_f64 v[4:5], v[86:87], v[72:73]
	v_mul_f64 v[70:71], v[84:85], v[72:73]
	v_fma_f64 v[4:5], v[84:85], v[2:3], -v[4:5]
	v_fma_f64 v[70:71], v[86:87], v[2:3], v[70:71]
	v_add_f64 v[66:67], v[66:67], -v[4:5]
	v_add_f64 v[68:69], v[68:69], -v[70:71]
	v_mov_b32_e32 v4, v72
	v_mov_b32_e32 v5, v73
.LBB32_335:
	s_or_b64 exec, exec, s[0:1]
	v_lshl_add_u32 v70, v80, 4, v1
	s_barrier
	ds_write2_b64 v70, v[66:67], v[68:69] offset1:1
	s_waitcnt lgkmcnt(0)
	s_barrier
	ds_read2_b64 v[70:73], v1 offset0:32 offset1:33
	s_cmp_lt_i32 s22, 18
	v_mov_b32_e32 v78, 16
	s_cbranch_scc1 .LBB32_338
; %bb.336:
	v_add_u32_e32 v1, 0x110, v1
	s_mov_b32 s2, 17
	v_mov_b32_e32 v78, 16
.LBB32_337:                             ; =>This Inner Loop Header: Depth=1
	s_waitcnt lgkmcnt(0)
	v_cmp_gt_f64_e32 vcc, 0, v[72:73]
	v_cmp_gt_f64_e64 s[0:1], 0, v[70:71]
	ds_read2_b64 v[84:87], v1 offset1:1
	v_xor_b32_e32 v79, 0x80000000, v71
	v_xor_b32_e32 v91, 0x80000000, v73
	v_mov_b32_e32 v88, v70
	v_mov_b32_e32 v90, v72
	s_waitcnt lgkmcnt(0)
	v_xor_b32_e32 v93, 0x80000000, v87
	v_cndmask_b32_e32 v91, v73, v91, vcc
	v_cndmask_b32_e64 v89, v71, v79, s[0:1]
	v_cmp_gt_f64_e32 vcc, 0, v[86:87]
	v_cmp_gt_f64_e64 s[0:1], 0, v[84:85]
	v_xor_b32_e32 v79, 0x80000000, v85
	v_add_f64 v[88:89], v[88:89], v[90:91]
	v_mov_b32_e32 v90, v84
	v_mov_b32_e32 v92, v86
	v_add_u32_e32 v1, 16, v1
	v_cndmask_b32_e32 v93, v87, v93, vcc
	v_cndmask_b32_e64 v91, v85, v79, s[0:1]
	v_add_f64 v[90:91], v[90:91], v[92:93]
	v_mov_b32_e32 v79, s2
	s_add_i32 s2, s2, 1
	s_cmp_lg_u32 s22, s2
	v_cmp_lt_f64_e32 vcc, v[88:89], v[90:91]
	v_cndmask_b32_e32 v71, v71, v85, vcc
	v_cndmask_b32_e32 v70, v70, v84, vcc
	;; [unrolled: 1-line block ×5, first 2 shown]
	s_cbranch_scc1 .LBB32_337
.LBB32_338:
	s_waitcnt lgkmcnt(0)
	v_cmp_eq_f64_e32 vcc, 0, v[70:71]
	v_cmp_eq_f64_e64 s[0:1], 0, v[72:73]
	s_and_b64 s[0:1], vcc, s[0:1]
	s_and_saveexec_b64 s[2:3], s[0:1]
	s_xor_b64 s[0:1], exec, s[2:3]
; %bb.339:
	v_cmp_ne_u32_e32 vcc, 0, v83
	v_cndmask_b32_e32 v83, 17, v83, vcc
; %bb.340:
	s_andn2_saveexec_b64 s[0:1], s[0:1]
	s_cbranch_execz .LBB32_346
; %bb.341:
	v_cmp_ngt_f64_e64 s[2:3], |v[70:71]|, |v[72:73]|
	s_and_saveexec_b64 s[4:5], s[2:3]
	s_xor_b64 s[2:3], exec, s[4:5]
	s_cbranch_execz .LBB32_343
; %bb.342:
	v_div_scale_f64 v[84:85], s[4:5], v[72:73], v[72:73], v[70:71]
	v_rcp_f64_e32 v[86:87], v[84:85]
	v_fma_f64 v[88:89], -v[84:85], v[86:87], 1.0
	v_fma_f64 v[86:87], v[86:87], v[88:89], v[86:87]
	v_div_scale_f64 v[88:89], vcc, v[70:71], v[72:73], v[70:71]
	v_fma_f64 v[90:91], -v[84:85], v[86:87], 1.0
	v_fma_f64 v[86:87], v[86:87], v[90:91], v[86:87]
	v_mul_f64 v[90:91], v[88:89], v[86:87]
	v_fma_f64 v[84:85], -v[84:85], v[90:91], v[88:89]
	v_div_fmas_f64 v[84:85], v[84:85], v[86:87], v[90:91]
	v_div_fixup_f64 v[84:85], v[84:85], v[72:73], v[70:71]
	v_fma_f64 v[70:71], v[70:71], v[84:85], v[72:73]
	v_div_scale_f64 v[72:73], s[4:5], v[70:71], v[70:71], 1.0
	v_div_scale_f64 v[90:91], vcc, 1.0, v[70:71], 1.0
	v_rcp_f64_e32 v[86:87], v[72:73]
	v_fma_f64 v[88:89], -v[72:73], v[86:87], 1.0
	v_fma_f64 v[86:87], v[86:87], v[88:89], v[86:87]
	v_fma_f64 v[88:89], -v[72:73], v[86:87], 1.0
	v_fma_f64 v[86:87], v[86:87], v[88:89], v[86:87]
	v_mul_f64 v[88:89], v[90:91], v[86:87]
	v_fma_f64 v[72:73], -v[72:73], v[88:89], v[90:91]
	v_div_fmas_f64 v[72:73], v[72:73], v[86:87], v[88:89]
	v_div_fixup_f64 v[72:73], v[72:73], v[70:71], 1.0
	v_mul_f64 v[70:71], v[84:85], v[72:73]
	v_xor_b32_e32 v73, 0x80000000, v73
.LBB32_343:
	s_andn2_saveexec_b64 s[2:3], s[2:3]
	s_cbranch_execz .LBB32_345
; %bb.344:
	v_div_scale_f64 v[84:85], s[4:5], v[70:71], v[70:71], v[72:73]
	v_rcp_f64_e32 v[86:87], v[84:85]
	v_fma_f64 v[88:89], -v[84:85], v[86:87], 1.0
	v_fma_f64 v[86:87], v[86:87], v[88:89], v[86:87]
	v_div_scale_f64 v[88:89], vcc, v[72:73], v[70:71], v[72:73]
	v_fma_f64 v[90:91], -v[84:85], v[86:87], 1.0
	v_fma_f64 v[86:87], v[86:87], v[90:91], v[86:87]
	v_mul_f64 v[90:91], v[88:89], v[86:87]
	v_fma_f64 v[84:85], -v[84:85], v[90:91], v[88:89]
	v_div_fmas_f64 v[84:85], v[84:85], v[86:87], v[90:91]
	v_div_fixup_f64 v[84:85], v[84:85], v[70:71], v[72:73]
	v_fma_f64 v[70:71], v[72:73], v[84:85], v[70:71]
	v_div_scale_f64 v[72:73], s[4:5], v[70:71], v[70:71], 1.0
	v_div_scale_f64 v[90:91], vcc, 1.0, v[70:71], 1.0
	v_rcp_f64_e32 v[86:87], v[72:73]
	v_fma_f64 v[88:89], -v[72:73], v[86:87], 1.0
	v_fma_f64 v[86:87], v[86:87], v[88:89], v[86:87]
	v_fma_f64 v[88:89], -v[72:73], v[86:87], 1.0
	v_fma_f64 v[86:87], v[86:87], v[88:89], v[86:87]
	v_mul_f64 v[88:89], v[90:91], v[86:87]
	v_fma_f64 v[72:73], -v[72:73], v[88:89], v[90:91]
	v_div_fmas_f64 v[72:73], v[72:73], v[86:87], v[88:89]
	v_div_fixup_f64 v[70:71], v[72:73], v[70:71], 1.0
	v_mul_f64 v[72:73], v[84:85], -v[70:71]
.LBB32_345:
	s_or_b64 exec, exec, s[2:3]
.LBB32_346:
	s_or_b64 exec, exec, s[0:1]
	v_cmp_ne_u32_e32 vcc, v80, v78
	v_mov_b32_e32 v79, 16
	s_and_saveexec_b64 s[0:1], vcc
	s_cbranch_execz .LBB32_352
; %bb.347:
	v_cmp_eq_u32_e32 vcc, 16, v80
	s_and_saveexec_b64 s[2:3], vcc
	s_cbranch_execz .LBB32_351
; %bb.348:
	v_cmp_ne_u32_e32 vcc, 16, v78
	s_xor_b64 s[4:5], s[18:19], -1
	s_and_b64 s[18:19], s[4:5], vcc
	s_and_saveexec_b64 s[4:5], s[18:19]
	s_cbranch_execz .LBB32_350
; %bb.349:
	v_ashrrev_i32_e32 v79, 31, v78
	v_lshlrev_b64 v[0:1], 2, v[78:79]
	v_add_co_u32_e32 v0, vcc, v76, v0
	v_addc_co_u32_e32 v1, vcc, v77, v1, vcc
	global_load_dword v79, v[0:1], off
	global_load_dword v80, v[76:77], off offset:64
	s_waitcnt vmcnt(1)
	global_store_dword v[76:77], v79, off offset:64
	s_waitcnt vmcnt(1)
	global_store_dword v[0:1], v80, off
.LBB32_350:
	s_or_b64 exec, exec, s[4:5]
	v_mov_b32_e32 v80, v78
	v_mov_b32_e32 v0, v78
.LBB32_351:
	s_or_b64 exec, exec, s[2:3]
	v_mov_b32_e32 v79, v80
.LBB32_352:
	s_or_b64 exec, exec, s[0:1]
	v_cmp_gt_i32_e32 vcc, 17, v79
	v_ashrrev_i32_e32 v80, 31, v79
	s_waitcnt vmcnt(0)
	s_barrier
	s_barrier
	s_and_saveexec_b64 s[0:1], vcc
	s_cbranch_execz .LBB32_354
; %bb.353:
	v_mul_lo_u32 v1, s15, v74
	v_mul_lo_u32 v78, s14, v75
	v_mad_u64_u32 v[76:77], s[2:3], s14, v74, 0
	s_lshl_b64 s[2:3], s[12:13], 2
	v_add3_u32 v0, v0, s17, 1
	v_add3_u32 v77, v77, v78, v1
	v_lshlrev_b64 v[76:77], 2, v[76:77]
	v_mov_b32_e32 v1, s11
	v_add_co_u32_e32 v76, vcc, s10, v76
	v_addc_co_u32_e32 v1, vcc, v1, v77, vcc
	v_mov_b32_e32 v77, s3
	v_add_co_u32_e32 v78, vcc, s2, v76
	v_addc_co_u32_e32 v1, vcc, v1, v77, vcc
	v_lshlrev_b64 v[76:77], 2, v[79:80]
	v_add_co_u32_e32 v76, vcc, v78, v76
	v_addc_co_u32_e32 v77, vcc, v1, v77, vcc
	global_store_dword v[76:77], v0, off
.LBB32_354:
	s_or_b64 exec, exec, s[0:1]
	v_cmp_eq_u32_e32 vcc, 0, v79
	s_and_saveexec_b64 s[2:3], vcc
	s_cbranch_execz .LBB32_357
; %bb.355:
	v_lshlrev_b64 v[0:1], 2, v[74:75]
	v_mov_b32_e32 v74, s21
	v_add_co_u32_e32 v0, vcc, s20, v0
	v_addc_co_u32_e32 v1, vcc, v74, v1, vcc
	global_load_dword v74, v[0:1], off
	v_cmp_ne_u32_e64 s[0:1], 0, v83
	s_waitcnt vmcnt(0)
	v_cmp_eq_u32_e32 vcc, 0, v74
	s_and_b64 s[0:1], vcc, s[0:1]
	s_and_b64 exec, exec, s[0:1]
	s_cbranch_execz .LBB32_357
; %bb.356:
	v_add_u32_e32 v74, s17, v83
	global_store_dword v[0:1], v74, off
.LBB32_357:
	s_or_b64 exec, exec, s[2:3]
	v_mul_f64 v[0:1], v[70:71], v[68:69]
	v_mul_f64 v[74:75], v[72:73], v[68:69]
	v_lshlrev_b64 v[76:77], 4, v[79:80]
	v_mov_b32_e32 v78, s9
	v_fma_f64 v[0:1], v[72:73], v[66:67], v[0:1]
	v_fma_f64 v[70:71], v[70:71], v[66:67], -v[74:75]
	v_add_co_u32_e32 v72, vcc, v81, v76
	v_addc_co_u32_e32 v73, vcc, v82, v77, vcc
	v_cmp_lt_i32_e32 vcc, 16, v79
	global_store_dwordx4 v[72:73], v[62:65], off
	s_nop 0
	v_cndmask_b32_e32 v65, v69, v1, vcc
	v_cndmask_b32_e32 v64, v68, v0, vcc
	;; [unrolled: 1-line block ×4, first 2 shown]
	v_add_co_u32_e32 v0, vcc, s8, v72
	v_addc_co_u32_e32 v1, vcc, v73, v78, vcc
	global_store_dwordx4 v[0:1], v[58:61], off
	v_add_u32_e32 v0, s16, v79
	v_ashrrev_i32_e32 v1, 31, v0
	v_lshlrev_b64 v[58:59], 4, v[0:1]
	v_add_u32_e32 v0, s6, v0
	v_add_co_u32_e32 v58, vcc, v81, v58
	v_addc_co_u32_e32 v59, vcc, v82, v59, vcc
	v_ashrrev_i32_e32 v1, 31, v0
	global_store_dwordx4 v[58:59], v[54:57], off
	s_nop 0
	v_lshlrev_b64 v[54:55], 4, v[0:1]
	v_add_u32_e32 v0, s6, v0
	v_add_co_u32_e32 v54, vcc, v81, v54
	v_addc_co_u32_e32 v55, vcc, v82, v55, vcc
	v_ashrrev_i32_e32 v1, 31, v0
	global_store_dwordx4 v[54:55], v[50:53], off
	s_nop 0
	;; [unrolled: 7-line block ×13, first 2 shown]
	v_lshlrev_b64 v[6:7], 4, v[0:1]
	v_add_u32_e32 v0, s6, v0
	v_ashrrev_i32_e32 v1, 31, v0
	v_add_co_u32_e32 v6, vcc, v81, v6
	v_lshlrev_b64 v[0:1], 4, v[0:1]
	v_addc_co_u32_e32 v7, vcc, v82, v7, vcc
	v_add_co_u32_e32 v0, vcc, v81, v0
	v_addc_co_u32_e32 v1, vcc, v82, v1, vcc
	global_store_dwordx4 v[6:7], v[2:5], off
	global_store_dwordx4 v[0:1], v[62:65], off
.LBB32_358:
	s_endpgm
	.section	.rodata,"a",@progbits
	.p2align	6, 0x0
	.amdhsa_kernel _ZN9rocsolver6v33100L18getf2_small_kernelILi17E19rocblas_complex_numIdEiiPS3_EEvT1_T3_lS5_lPS5_llPT2_S5_S5_S7_l
		.amdhsa_group_segment_fixed_size 0
		.amdhsa_private_segment_fixed_size 0
		.amdhsa_kernarg_size 352
		.amdhsa_user_sgpr_count 6
		.amdhsa_user_sgpr_private_segment_buffer 1
		.amdhsa_user_sgpr_dispatch_ptr 0
		.amdhsa_user_sgpr_queue_ptr 0
		.amdhsa_user_sgpr_kernarg_segment_ptr 1
		.amdhsa_user_sgpr_dispatch_id 0
		.amdhsa_user_sgpr_flat_scratch_init 0
		.amdhsa_user_sgpr_private_segment_size 0
		.amdhsa_uses_dynamic_stack 0
		.amdhsa_system_sgpr_private_segment_wavefront_offset 0
		.amdhsa_system_sgpr_workgroup_id_x 1
		.amdhsa_system_sgpr_workgroup_id_y 1
		.amdhsa_system_sgpr_workgroup_id_z 0
		.amdhsa_system_sgpr_workgroup_info 0
		.amdhsa_system_vgpr_workitem_id 1
		.amdhsa_next_free_vgpr 125
		.amdhsa_next_free_sgpr 26
		.amdhsa_reserve_vcc 1
		.amdhsa_reserve_flat_scratch 0
		.amdhsa_float_round_mode_32 0
		.amdhsa_float_round_mode_16_64 0
		.amdhsa_float_denorm_mode_32 3
		.amdhsa_float_denorm_mode_16_64 3
		.amdhsa_dx10_clamp 1
		.amdhsa_ieee_mode 1
		.amdhsa_fp16_overflow 0
		.amdhsa_exception_fp_ieee_invalid_op 0
		.amdhsa_exception_fp_denorm_src 0
		.amdhsa_exception_fp_ieee_div_zero 0
		.amdhsa_exception_fp_ieee_overflow 0
		.amdhsa_exception_fp_ieee_underflow 0
		.amdhsa_exception_fp_ieee_inexact 0
		.amdhsa_exception_int_div_zero 0
	.end_amdhsa_kernel
	.section	.text._ZN9rocsolver6v33100L18getf2_small_kernelILi17E19rocblas_complex_numIdEiiPS3_EEvT1_T3_lS5_lPS5_llPT2_S5_S5_S7_l,"axG",@progbits,_ZN9rocsolver6v33100L18getf2_small_kernelILi17E19rocblas_complex_numIdEiiPS3_EEvT1_T3_lS5_lPS5_llPT2_S5_S5_S7_l,comdat
.Lfunc_end32:
	.size	_ZN9rocsolver6v33100L18getf2_small_kernelILi17E19rocblas_complex_numIdEiiPS3_EEvT1_T3_lS5_lPS5_llPT2_S5_S5_S7_l, .Lfunc_end32-_ZN9rocsolver6v33100L18getf2_small_kernelILi17E19rocblas_complex_numIdEiiPS3_EEvT1_T3_lS5_lPS5_llPT2_S5_S5_S7_l
                                        ; -- End function
	.set _ZN9rocsolver6v33100L18getf2_small_kernelILi17E19rocblas_complex_numIdEiiPS3_EEvT1_T3_lS5_lPS5_llPT2_S5_S5_S7_l.num_vgpr, 125
	.set _ZN9rocsolver6v33100L18getf2_small_kernelILi17E19rocblas_complex_numIdEiiPS3_EEvT1_T3_lS5_lPS5_llPT2_S5_S5_S7_l.num_agpr, 0
	.set _ZN9rocsolver6v33100L18getf2_small_kernelILi17E19rocblas_complex_numIdEiiPS3_EEvT1_T3_lS5_lPS5_llPT2_S5_S5_S7_l.numbered_sgpr, 26
	.set _ZN9rocsolver6v33100L18getf2_small_kernelILi17E19rocblas_complex_numIdEiiPS3_EEvT1_T3_lS5_lPS5_llPT2_S5_S5_S7_l.num_named_barrier, 0
	.set _ZN9rocsolver6v33100L18getf2_small_kernelILi17E19rocblas_complex_numIdEiiPS3_EEvT1_T3_lS5_lPS5_llPT2_S5_S5_S7_l.private_seg_size, 0
	.set _ZN9rocsolver6v33100L18getf2_small_kernelILi17E19rocblas_complex_numIdEiiPS3_EEvT1_T3_lS5_lPS5_llPT2_S5_S5_S7_l.uses_vcc, 1
	.set _ZN9rocsolver6v33100L18getf2_small_kernelILi17E19rocblas_complex_numIdEiiPS3_EEvT1_T3_lS5_lPS5_llPT2_S5_S5_S7_l.uses_flat_scratch, 0
	.set _ZN9rocsolver6v33100L18getf2_small_kernelILi17E19rocblas_complex_numIdEiiPS3_EEvT1_T3_lS5_lPS5_llPT2_S5_S5_S7_l.has_dyn_sized_stack, 0
	.set _ZN9rocsolver6v33100L18getf2_small_kernelILi17E19rocblas_complex_numIdEiiPS3_EEvT1_T3_lS5_lPS5_llPT2_S5_S5_S7_l.has_recursion, 0
	.set _ZN9rocsolver6v33100L18getf2_small_kernelILi17E19rocblas_complex_numIdEiiPS3_EEvT1_T3_lS5_lPS5_llPT2_S5_S5_S7_l.has_indirect_call, 0
	.section	.AMDGPU.csdata,"",@progbits
; Kernel info:
; codeLenInByte = 26024
; TotalNumSgprs: 30
; NumVgprs: 125
; ScratchSize: 0
; MemoryBound: 0
; FloatMode: 240
; IeeeMode: 1
; LDSByteSize: 0 bytes/workgroup (compile time only)
; SGPRBlocks: 3
; VGPRBlocks: 31
; NumSGPRsForWavesPerEU: 30
; NumVGPRsForWavesPerEU: 125
; Occupancy: 2
; WaveLimiterHint : 0
; COMPUTE_PGM_RSRC2:SCRATCH_EN: 0
; COMPUTE_PGM_RSRC2:USER_SGPR: 6
; COMPUTE_PGM_RSRC2:TRAP_HANDLER: 0
; COMPUTE_PGM_RSRC2:TGID_X_EN: 1
; COMPUTE_PGM_RSRC2:TGID_Y_EN: 1
; COMPUTE_PGM_RSRC2:TGID_Z_EN: 0
; COMPUTE_PGM_RSRC2:TIDIG_COMP_CNT: 1
	.section	.text._ZN9rocsolver6v33100L23getf2_npvt_small_kernelILi17E19rocblas_complex_numIdEiiPS3_EEvT1_T3_lS5_lPT2_S5_S5_,"axG",@progbits,_ZN9rocsolver6v33100L23getf2_npvt_small_kernelILi17E19rocblas_complex_numIdEiiPS3_EEvT1_T3_lS5_lPT2_S5_S5_,comdat
	.globl	_ZN9rocsolver6v33100L23getf2_npvt_small_kernelILi17E19rocblas_complex_numIdEiiPS3_EEvT1_T3_lS5_lPT2_S5_S5_ ; -- Begin function _ZN9rocsolver6v33100L23getf2_npvt_small_kernelILi17E19rocblas_complex_numIdEiiPS3_EEvT1_T3_lS5_lPT2_S5_S5_
	.p2align	8
	.type	_ZN9rocsolver6v33100L23getf2_npvt_small_kernelILi17E19rocblas_complex_numIdEiiPS3_EEvT1_T3_lS5_lPT2_S5_S5_,@function
_ZN9rocsolver6v33100L23getf2_npvt_small_kernelILi17E19rocblas_complex_numIdEiiPS3_EEvT1_T3_lS5_lPT2_S5_S5_: ; @_ZN9rocsolver6v33100L23getf2_npvt_small_kernelILi17E19rocblas_complex_numIdEiiPS3_EEvT1_T3_lS5_lPT2_S5_S5_
; %bb.0:
	s_mov_b64 s[22:23], s[2:3]
	s_mov_b64 s[20:21], s[0:1]
	s_load_dword s0, s[4:5], 0x44
	s_load_dwordx2 s[12:13], s[4:5], 0x30
	s_add_u32 s20, s20, s8
	s_addc_u32 s21, s21, 0
	s_waitcnt lgkmcnt(0)
	s_lshr_b32 s2, s0, 16
	s_mul_i32 s7, s7, s2
	v_add_u32_e32 v87, s7, v1
	v_cmp_gt_i32_e32 vcc, s12, v87
	s_and_saveexec_b64 s[0:1], vcc
	s_cbranch_execz .LBB33_156
; %bb.1:
	s_load_dwordx4 s[8:11], s[4:5], 0x20
	s_load_dwordx4 s[16:19], s[4:5], 0x8
	v_ashrrev_i32_e32 v88, 31, v87
	s_mulk_i32 s2, 0x110
	s_waitcnt lgkmcnt(0)
	v_mul_lo_u32 v4, s9, v87
	v_mul_lo_u32 v5, s8, v88
	v_mad_u64_u32 v[2:3], s[0:1], s8, v87, 0
	s_load_dword s0, s[4:5], 0x18
	v_mov_b32_e32 v6, s17
	v_add3_u32 v3, v3, v5, v4
	v_lshlrev_b64 v[2:3], 4, v[2:3]
	s_lshl_b64 s[4:5], s[18:19], 4
	v_add_co_u32_e32 v2, vcc, s16, v2
	v_addc_co_u32_e32 v3, vcc, v6, v3, vcc
	v_mov_b32_e32 v4, s5
	v_add_co_u32_e32 v2, vcc, s4, v2
	s_waitcnt lgkmcnt(0)
	s_add_i32 s1, s0, s0
	v_addc_co_u32_e32 v3, vcc, v3, v4, vcc
	v_add_u32_e32 v4, s1, v0
	v_ashrrev_i32_e32 v5, 31, v4
	v_lshlrev_b64 v[5:6], 4, v[4:5]
	v_add_u32_e32 v4, s0, v4
	v_add_co_u32_e32 v7, vcc, v2, v5
	v_ashrrev_i32_e32 v5, 31, v4
	v_addc_co_u32_e32 v8, vcc, v3, v6, vcc
	v_lshlrev_b64 v[5:6], 4, v[4:5]
	v_add_u32_e32 v4, s0, v4
	v_add_co_u32_e32 v9, vcc, v2, v5
	v_ashrrev_i32_e32 v5, 31, v4
	v_addc_co_u32_e32 v10, vcc, v3, v6, vcc
	;; [unrolled: 5-line block ×13, first 2 shown]
	v_lshlrev_b64 v[5:6], 4, v[4:5]
	v_add_u32_e32 v4, s0, v4
	v_add_co_u32_e32 v109, vcc, v2, v5
	v_ashrrev_i32_e32 v5, 31, v4
	v_lshlrev_b64 v[4:5], 4, v[4:5]
	v_addc_co_u32_e32 v110, vcc, v3, v6, vcc
	v_add_co_u32_e32 v66, vcc, v2, v4
	v_addc_co_u32_e32 v67, vcc, v3, v5, vcc
	v_lshlrev_b32_e32 v4, 4, v0
	v_add_co_u32_e32 v62, vcc, v2, v4
	s_ashr_i32 s1, s0, 31
	v_addc_co_u32_e32 v63, vcc, 0, v3, vcc
	s_lshl_b64 s[0:1], s[0:1], 4
	v_mov_b32_e32 v2, s1
	v_add_co_u32_e32 v68, vcc, s0, v62
	v_addc_co_u32_e32 v69, vcc, v63, v2, vcc
	global_load_dwordx4 v[113:116], v[62:63], off
	global_load_dwordx4 v[89:92], v[68:69], off
	s_nop 0
	buffer_store_dword v7, off, s[20:23], 0 ; 4-byte Folded Spill
	s_nop 0
	buffer_store_dword v8, off, s[20:23], 0 offset:4 ; 4-byte Folded Spill
	s_movk_i32 s0, 0x110
	s_add_i32 s1, s2, 0
	v_mad_u32_u24 v84, v1, s0, 0
	v_lshl_add_u32 v95, v1, 4, s1
	v_cmp_ne_u32_e64 s[2:3], 0, v0
	v_cmp_eq_u32_e64 s[0:1], 0, v0
	global_load_dwordx4 v[58:61], v[7:8], off
	s_nop 0
	buffer_store_dword v9, off, s[20:23], 0 offset:8 ; 4-byte Folded Spill
	s_nop 0
	buffer_store_dword v10, off, s[20:23], 0 offset:12 ; 4-byte Folded Spill
	global_load_dwordx4 v[54:57], v[9:10], off
	s_nop 0
	buffer_store_dword v11, off, s[20:23], 0 offset:16 ; 4-byte Folded Spill
	s_nop 0
	buffer_store_dword v12, off, s[20:23], 0 offset:20 ; 4-byte Folded Spill
	;; [unrolled: 5-line block ×3, first 2 shown]
	global_load_dwordx4 v[46:49], v[13:14], off
	global_load_dwordx4 v[42:45], v[82:83], off
	global_load_dwordx4 v[34:37], v[126:127], off
	global_load_dwordx4 v[117:120], v[99:100], off
	global_load_dwordx4 v[26:29], v[97:98], off
	global_load_dwordx4 v[22:25], v[103:104], off
	global_load_dwordx4 v[18:21], v[101:102], off
	global_load_dwordx4 v[14:17], v[107:108], off
	global_load_dwordx4 v[10:13], v[105:106], off
	global_load_dwordx4 v[6:9], v[111:112], off
	global_load_dwordx4 v[30:33], v[109:110], off
	global_load_dwordx4 v[38:41], v[66:67], off
	s_and_saveexec_b64 s[6:7], s[0:1]
	s_cbranch_execz .LBB33_8
; %bb.2:
	s_waitcnt vmcnt(24)
	ds_write2_b64 v95, v[113:114], v[115:116] offset1:1
	s_waitcnt vmcnt(23)
	ds_write2_b64 v84, v[89:90], v[91:92] offset0:2 offset1:3
	s_waitcnt vmcnt(20)
	ds_write2_b64 v84, v[58:59], v[60:61] offset0:4 offset1:5
	;; [unrolled: 2-line block ×16, first 2 shown]
	ds_read2_b64 v[70:73], v95 offset1:1
	s_waitcnt lgkmcnt(0)
	v_cmp_neq_f64_e32 vcc, 0, v[70:71]
	v_cmp_neq_f64_e64 s[4:5], 0, v[72:73]
	s_or_b64 s[4:5], vcc, s[4:5]
	s_and_b64 exec, exec, s[4:5]
	s_cbranch_execz .LBB33_8
; %bb.3:
	v_cmp_ngt_f64_e64 s[4:5], |v[70:71]|, |v[72:73]|
                                        ; implicit-def: $vgpr74_vgpr75
	s_and_saveexec_b64 s[8:9], s[4:5]
	s_xor_b64 s[4:5], exec, s[8:9]
                                        ; implicit-def: $vgpr76_vgpr77
	s_cbranch_execz .LBB33_5
; %bb.4:
	v_div_scale_f64 v[74:75], s[8:9], v[72:73], v[72:73], v[70:71]
	v_rcp_f64_e32 v[76:77], v[74:75]
	v_fma_f64 v[78:79], -v[74:75], v[76:77], 1.0
	v_fma_f64 v[76:77], v[76:77], v[78:79], v[76:77]
	v_div_scale_f64 v[78:79], vcc, v[70:71], v[72:73], v[70:71]
	v_fma_f64 v[80:81], -v[74:75], v[76:77], 1.0
	v_fma_f64 v[76:77], v[76:77], v[80:81], v[76:77]
	v_mul_f64 v[80:81], v[78:79], v[76:77]
	v_fma_f64 v[74:75], -v[74:75], v[80:81], v[78:79]
	v_div_fmas_f64 v[74:75], v[74:75], v[76:77], v[80:81]
	v_div_fixup_f64 v[74:75], v[74:75], v[72:73], v[70:71]
	v_fma_f64 v[70:71], v[70:71], v[74:75], v[72:73]
	v_div_scale_f64 v[72:73], s[8:9], v[70:71], v[70:71], 1.0
	v_div_scale_f64 v[80:81], vcc, 1.0, v[70:71], 1.0
	v_rcp_f64_e32 v[76:77], v[72:73]
	v_fma_f64 v[78:79], -v[72:73], v[76:77], 1.0
	v_fma_f64 v[76:77], v[76:77], v[78:79], v[76:77]
	v_fma_f64 v[78:79], -v[72:73], v[76:77], 1.0
	v_fma_f64 v[76:77], v[76:77], v[78:79], v[76:77]
	v_mul_f64 v[78:79], v[80:81], v[76:77]
	v_fma_f64 v[72:73], -v[72:73], v[78:79], v[80:81]
	v_div_fmas_f64 v[72:73], v[72:73], v[76:77], v[78:79]
	v_div_fixup_f64 v[76:77], v[72:73], v[70:71], 1.0
                                        ; implicit-def: $vgpr70_vgpr71
	v_mul_f64 v[74:75], v[74:75], v[76:77]
	v_xor_b32_e32 v77, 0x80000000, v77
.LBB33_5:
	s_andn2_saveexec_b64 s[4:5], s[4:5]
	s_cbranch_execz .LBB33_7
; %bb.6:
	v_div_scale_f64 v[74:75], s[8:9], v[70:71], v[70:71], v[72:73]
	v_rcp_f64_e32 v[76:77], v[74:75]
	v_fma_f64 v[78:79], -v[74:75], v[76:77], 1.0
	v_fma_f64 v[76:77], v[76:77], v[78:79], v[76:77]
	v_div_scale_f64 v[78:79], vcc, v[72:73], v[70:71], v[72:73]
	v_fma_f64 v[80:81], -v[74:75], v[76:77], 1.0
	v_fma_f64 v[76:77], v[76:77], v[80:81], v[76:77]
	v_mul_f64 v[80:81], v[78:79], v[76:77]
	v_fma_f64 v[74:75], -v[74:75], v[80:81], v[78:79]
	v_div_fmas_f64 v[74:75], v[74:75], v[76:77], v[80:81]
	v_div_fixup_f64 v[76:77], v[74:75], v[70:71], v[72:73]
	v_fma_f64 v[70:71], v[72:73], v[76:77], v[70:71]
	v_div_scale_f64 v[72:73], s[8:9], v[70:71], v[70:71], 1.0
	v_div_scale_f64 v[80:81], vcc, 1.0, v[70:71], 1.0
	v_rcp_f64_e32 v[74:75], v[72:73]
	v_fma_f64 v[78:79], -v[72:73], v[74:75], 1.0
	v_fma_f64 v[74:75], v[74:75], v[78:79], v[74:75]
	v_fma_f64 v[78:79], -v[72:73], v[74:75], 1.0
	v_fma_f64 v[74:75], v[74:75], v[78:79], v[74:75]
	v_mul_f64 v[78:79], v[80:81], v[74:75]
	v_fma_f64 v[72:73], -v[72:73], v[78:79], v[80:81]
	v_div_fmas_f64 v[72:73], v[72:73], v[74:75], v[78:79]
	v_div_fixup_f64 v[74:75], v[72:73], v[70:71], 1.0
	v_mul_f64 v[76:77], v[76:77], -v[74:75]
.LBB33_7:
	s_or_b64 exec, exec, s[4:5]
	ds_write2_b64 v95, v[74:75], v[76:77] offset1:1
.LBB33_8:
	s_or_b64 exec, exec, s[6:7]
	s_waitcnt vmcnt(0) lgkmcnt(0)
	s_barrier
	ds_read2_b64 v[1:4], v95 offset1:1
	s_waitcnt lgkmcnt(0)
	buffer_store_dword v1, off, s[20:23], 0 offset:32 ; 4-byte Folded Spill
	s_nop 0
	buffer_store_dword v2, off, s[20:23], 0 offset:36 ; 4-byte Folded Spill
	buffer_store_dword v3, off, s[20:23], 0 offset:40 ; 4-byte Folded Spill
	buffer_store_dword v4, off, s[20:23], 0 offset:44 ; 4-byte Folded Spill
	s_and_saveexec_b64 s[4:5], s[2:3]
	s_cbranch_execz .LBB33_10
; %bb.9:
	buffer_load_dword v1, off, s[20:23], 0 offset:32 ; 4-byte Folded Reload
	buffer_load_dword v2, off, s[20:23], 0 offset:36 ; 4-byte Folded Reload
	;; [unrolled: 1-line block ×4, first 2 shown]
	v_mov_b32_e32 v64, v68
	v_mov_b32_e32 v65, v69
	ds_read2_b64 v[72:75], v84 offset0:2 offset1:3
	s_waitcnt vmcnt(2)
	v_mul_f64 v[70:71], v[1:2], v[115:116]
	s_waitcnt vmcnt(0)
	v_mul_f64 v[68:69], v[3:4], v[115:116]
	v_fma_f64 v[70:71], v[3:4], v[113:114], v[70:71]
	v_fma_f64 v[113:114], v[1:2], v[113:114], -v[68:69]
	s_waitcnt lgkmcnt(0)
	v_mul_f64 v[68:69], v[74:75], v[70:71]
	v_mov_b32_e32 v116, v71
	v_mov_b32_e32 v115, v70
	v_fma_f64 v[68:69], v[72:73], v[113:114], -v[68:69]
	v_mul_f64 v[72:73], v[72:73], v[70:71]
	v_add_f64 v[89:90], v[89:90], -v[68:69]
	v_fma_f64 v[72:73], v[74:75], v[113:114], v[72:73]
	v_add_f64 v[91:92], v[91:92], -v[72:73]
	ds_read2_b64 v[72:75], v84 offset0:4 offset1:5
	s_waitcnt lgkmcnt(0)
	v_mul_f64 v[68:69], v[74:75], v[70:71]
	v_fma_f64 v[68:69], v[72:73], v[113:114], -v[68:69]
	v_mul_f64 v[72:73], v[72:73], v[70:71]
	v_add_f64 v[58:59], v[58:59], -v[68:69]
	v_fma_f64 v[72:73], v[74:75], v[113:114], v[72:73]
	v_add_f64 v[60:61], v[60:61], -v[72:73]
	ds_read2_b64 v[72:75], v84 offset0:6 offset1:7
	s_waitcnt lgkmcnt(0)
	v_mul_f64 v[68:69], v[74:75], v[70:71]
	;; [unrolled: 8-line block ×15, first 2 shown]
	v_fma_f64 v[68:69], v[72:73], v[113:114], -v[68:69]
	v_mul_f64 v[72:73], v[72:73], v[70:71]
	v_add_f64 v[38:39], v[38:39], -v[68:69]
	v_fma_f64 v[72:73], v[74:75], v[113:114], v[72:73]
	v_mov_b32_e32 v69, v65
	v_mov_b32_e32 v68, v64
	v_add_f64 v[40:41], v[40:41], -v[72:73]
.LBB33_10:
	s_or_b64 exec, exec, s[4:5]
	v_cmp_eq_u32_e32 vcc, 1, v0
	s_waitcnt vmcnt(0)
	s_barrier
	s_and_saveexec_b64 s[4:5], vcc
	s_cbranch_execz .LBB33_17
; %bb.11:
	ds_write2_b64 v95, v[89:90], v[91:92] offset1:1
	ds_write2_b64 v84, v[58:59], v[60:61] offset0:4 offset1:5
	ds_write2_b64 v84, v[54:55], v[56:57] offset0:6 offset1:7
	;; [unrolled: 1-line block ×15, first 2 shown]
	ds_read2_b64 v[70:73], v95 offset1:1
	s_waitcnt lgkmcnt(0)
	v_cmp_neq_f64_e32 vcc, 0, v[70:71]
	v_cmp_neq_f64_e64 s[2:3], 0, v[72:73]
	s_or_b64 s[2:3], vcc, s[2:3]
	s_and_b64 exec, exec, s[2:3]
	s_cbranch_execz .LBB33_17
; %bb.12:
	v_cmp_ngt_f64_e64 s[2:3], |v[70:71]|, |v[72:73]|
                                        ; implicit-def: $vgpr74_vgpr75
	s_and_saveexec_b64 s[6:7], s[2:3]
	s_xor_b64 s[2:3], exec, s[6:7]
                                        ; implicit-def: $vgpr76_vgpr77
	s_cbranch_execz .LBB33_14
; %bb.13:
	v_div_scale_f64 v[74:75], s[6:7], v[72:73], v[72:73], v[70:71]
	v_rcp_f64_e32 v[76:77], v[74:75]
	v_fma_f64 v[78:79], -v[74:75], v[76:77], 1.0
	v_fma_f64 v[76:77], v[76:77], v[78:79], v[76:77]
	v_div_scale_f64 v[78:79], vcc, v[70:71], v[72:73], v[70:71]
	v_fma_f64 v[80:81], -v[74:75], v[76:77], 1.0
	v_fma_f64 v[76:77], v[76:77], v[80:81], v[76:77]
	v_mul_f64 v[80:81], v[78:79], v[76:77]
	v_fma_f64 v[74:75], -v[74:75], v[80:81], v[78:79]
	v_div_fmas_f64 v[74:75], v[74:75], v[76:77], v[80:81]
	v_div_fixup_f64 v[74:75], v[74:75], v[72:73], v[70:71]
	v_fma_f64 v[70:71], v[70:71], v[74:75], v[72:73]
	v_div_scale_f64 v[72:73], s[6:7], v[70:71], v[70:71], 1.0
	v_div_scale_f64 v[80:81], vcc, 1.0, v[70:71], 1.0
	v_rcp_f64_e32 v[76:77], v[72:73]
	v_fma_f64 v[78:79], -v[72:73], v[76:77], 1.0
	v_fma_f64 v[76:77], v[76:77], v[78:79], v[76:77]
	v_fma_f64 v[78:79], -v[72:73], v[76:77], 1.0
	v_fma_f64 v[76:77], v[76:77], v[78:79], v[76:77]
	v_mul_f64 v[78:79], v[80:81], v[76:77]
	v_fma_f64 v[72:73], -v[72:73], v[78:79], v[80:81]
	v_div_fmas_f64 v[72:73], v[72:73], v[76:77], v[78:79]
	v_div_fixup_f64 v[76:77], v[72:73], v[70:71], 1.0
                                        ; implicit-def: $vgpr70_vgpr71
	v_mul_f64 v[74:75], v[74:75], v[76:77]
	v_xor_b32_e32 v77, 0x80000000, v77
.LBB33_14:
	s_andn2_saveexec_b64 s[2:3], s[2:3]
	s_cbranch_execz .LBB33_16
; %bb.15:
	v_div_scale_f64 v[74:75], s[6:7], v[70:71], v[70:71], v[72:73]
	v_rcp_f64_e32 v[76:77], v[74:75]
	v_fma_f64 v[78:79], -v[74:75], v[76:77], 1.0
	v_fma_f64 v[76:77], v[76:77], v[78:79], v[76:77]
	v_div_scale_f64 v[78:79], vcc, v[72:73], v[70:71], v[72:73]
	v_fma_f64 v[80:81], -v[74:75], v[76:77], 1.0
	v_fma_f64 v[76:77], v[76:77], v[80:81], v[76:77]
	v_mul_f64 v[80:81], v[78:79], v[76:77]
	v_fma_f64 v[74:75], -v[74:75], v[80:81], v[78:79]
	v_div_fmas_f64 v[74:75], v[74:75], v[76:77], v[80:81]
	v_div_fixup_f64 v[76:77], v[74:75], v[70:71], v[72:73]
	v_fma_f64 v[70:71], v[72:73], v[76:77], v[70:71]
	v_div_scale_f64 v[72:73], s[6:7], v[70:71], v[70:71], 1.0
	v_div_scale_f64 v[80:81], vcc, 1.0, v[70:71], 1.0
	v_rcp_f64_e32 v[74:75], v[72:73]
	v_fma_f64 v[78:79], -v[72:73], v[74:75], 1.0
	v_fma_f64 v[74:75], v[74:75], v[78:79], v[74:75]
	v_fma_f64 v[78:79], -v[72:73], v[74:75], 1.0
	v_fma_f64 v[74:75], v[74:75], v[78:79], v[74:75]
	v_mul_f64 v[78:79], v[80:81], v[74:75]
	v_fma_f64 v[72:73], -v[72:73], v[78:79], v[80:81]
	v_div_fmas_f64 v[72:73], v[72:73], v[74:75], v[78:79]
	v_div_fixup_f64 v[74:75], v[72:73], v[70:71], 1.0
	v_mul_f64 v[76:77], v[76:77], -v[74:75]
.LBB33_16:
	s_or_b64 exec, exec, s[2:3]
	ds_write2_b64 v95, v[74:75], v[76:77] offset1:1
.LBB33_17:
	s_or_b64 exec, exec, s[4:5]
	s_waitcnt lgkmcnt(0)
	s_barrier
	ds_read2_b64 v[1:4], v95 offset1:1
	v_cmp_lt_u32_e32 vcc, 1, v0
	s_waitcnt lgkmcnt(0)
	buffer_store_dword v1, off, s[20:23], 0 offset:48 ; 4-byte Folded Spill
	s_nop 0
	buffer_store_dword v2, off, s[20:23], 0 offset:52 ; 4-byte Folded Spill
	buffer_store_dword v3, off, s[20:23], 0 offset:56 ; 4-byte Folded Spill
	;; [unrolled: 1-line block ×3, first 2 shown]
	s_and_saveexec_b64 s[2:3], vcc
	s_cbranch_execz .LBB33_19
; %bb.18:
	buffer_load_dword v1, off, s[20:23], 0 offset:48 ; 4-byte Folded Reload
	buffer_load_dword v2, off, s[20:23], 0 offset:52 ; 4-byte Folded Reload
	;; [unrolled: 1-line block ×4, first 2 shown]
	ds_read2_b64 v[72:75], v84 offset0:4 offset1:5
	s_waitcnt vmcnt(2)
	v_mul_f64 v[70:71], v[1:2], v[91:92]
	s_waitcnt vmcnt(0)
	v_mul_f64 v[64:65], v[3:4], v[91:92]
	v_fma_f64 v[70:71], v[3:4], v[89:90], v[70:71]
	v_fma_f64 v[89:90], v[1:2], v[89:90], -v[64:65]
	s_waitcnt lgkmcnt(0)
	v_mul_f64 v[64:65], v[74:75], v[70:71]
	v_mov_b32_e32 v92, v71
	v_mov_b32_e32 v91, v70
	v_fma_f64 v[64:65], v[72:73], v[89:90], -v[64:65]
	v_mul_f64 v[72:73], v[72:73], v[70:71]
	v_add_f64 v[58:59], v[58:59], -v[64:65]
	v_fma_f64 v[72:73], v[74:75], v[89:90], v[72:73]
	v_add_f64 v[60:61], v[60:61], -v[72:73]
	ds_read2_b64 v[72:75], v84 offset0:6 offset1:7
	s_waitcnt lgkmcnt(0)
	v_mul_f64 v[64:65], v[74:75], v[70:71]
	v_fma_f64 v[64:65], v[72:73], v[89:90], -v[64:65]
	v_mul_f64 v[72:73], v[72:73], v[70:71]
	v_add_f64 v[54:55], v[54:55], -v[64:65]
	v_fma_f64 v[72:73], v[74:75], v[89:90], v[72:73]
	v_add_f64 v[56:57], v[56:57], -v[72:73]
	ds_read2_b64 v[72:75], v84 offset0:8 offset1:9
	s_waitcnt lgkmcnt(0)
	v_mul_f64 v[64:65], v[74:75], v[70:71]
	;; [unrolled: 8-line block ×14, first 2 shown]
	v_fma_f64 v[64:65], v[72:73], v[89:90], -v[64:65]
	v_mul_f64 v[72:73], v[72:73], v[70:71]
	v_add_f64 v[38:39], v[38:39], -v[64:65]
	v_fma_f64 v[72:73], v[74:75], v[89:90], v[72:73]
	v_add_f64 v[40:41], v[40:41], -v[72:73]
.LBB33_19:
	s_or_b64 exec, exec, s[2:3]
	v_cmp_eq_u32_e32 vcc, 2, v0
	s_waitcnt vmcnt(0)
	s_barrier
	s_and_saveexec_b64 s[4:5], vcc
	s_cbranch_execz .LBB33_26
; %bb.20:
	ds_write2_b64 v95, v[58:59], v[60:61] offset1:1
	ds_write2_b64 v84, v[54:55], v[56:57] offset0:6 offset1:7
	ds_write2_b64 v84, v[50:51], v[52:53] offset0:8 offset1:9
	;; [unrolled: 1-line block ×14, first 2 shown]
	ds_read2_b64 v[70:73], v95 offset1:1
	s_waitcnt lgkmcnt(0)
	v_cmp_neq_f64_e32 vcc, 0, v[70:71]
	v_cmp_neq_f64_e64 s[2:3], 0, v[72:73]
	s_or_b64 s[2:3], vcc, s[2:3]
	s_and_b64 exec, exec, s[2:3]
	s_cbranch_execz .LBB33_26
; %bb.21:
	v_cmp_ngt_f64_e64 s[2:3], |v[70:71]|, |v[72:73]|
                                        ; implicit-def: $vgpr74_vgpr75
	s_and_saveexec_b64 s[6:7], s[2:3]
	s_xor_b64 s[2:3], exec, s[6:7]
                                        ; implicit-def: $vgpr76_vgpr77
	s_cbranch_execz .LBB33_23
; %bb.22:
	v_div_scale_f64 v[74:75], s[6:7], v[72:73], v[72:73], v[70:71]
	v_rcp_f64_e32 v[76:77], v[74:75]
	v_fma_f64 v[78:79], -v[74:75], v[76:77], 1.0
	v_fma_f64 v[76:77], v[76:77], v[78:79], v[76:77]
	v_div_scale_f64 v[78:79], vcc, v[70:71], v[72:73], v[70:71]
	v_fma_f64 v[80:81], -v[74:75], v[76:77], 1.0
	v_fma_f64 v[76:77], v[76:77], v[80:81], v[76:77]
	v_mul_f64 v[80:81], v[78:79], v[76:77]
	v_fma_f64 v[74:75], -v[74:75], v[80:81], v[78:79]
	v_div_fmas_f64 v[74:75], v[74:75], v[76:77], v[80:81]
	v_div_fixup_f64 v[74:75], v[74:75], v[72:73], v[70:71]
	v_fma_f64 v[70:71], v[70:71], v[74:75], v[72:73]
	v_div_scale_f64 v[72:73], s[6:7], v[70:71], v[70:71], 1.0
	v_div_scale_f64 v[80:81], vcc, 1.0, v[70:71], 1.0
	v_rcp_f64_e32 v[76:77], v[72:73]
	v_fma_f64 v[78:79], -v[72:73], v[76:77], 1.0
	v_fma_f64 v[76:77], v[76:77], v[78:79], v[76:77]
	v_fma_f64 v[78:79], -v[72:73], v[76:77], 1.0
	v_fma_f64 v[76:77], v[76:77], v[78:79], v[76:77]
	v_mul_f64 v[78:79], v[80:81], v[76:77]
	v_fma_f64 v[72:73], -v[72:73], v[78:79], v[80:81]
	v_div_fmas_f64 v[72:73], v[72:73], v[76:77], v[78:79]
	v_div_fixup_f64 v[76:77], v[72:73], v[70:71], 1.0
                                        ; implicit-def: $vgpr70_vgpr71
	v_mul_f64 v[74:75], v[74:75], v[76:77]
	v_xor_b32_e32 v77, 0x80000000, v77
.LBB33_23:
	s_andn2_saveexec_b64 s[2:3], s[2:3]
	s_cbranch_execz .LBB33_25
; %bb.24:
	v_div_scale_f64 v[74:75], s[6:7], v[70:71], v[70:71], v[72:73]
	v_rcp_f64_e32 v[76:77], v[74:75]
	v_fma_f64 v[78:79], -v[74:75], v[76:77], 1.0
	v_fma_f64 v[76:77], v[76:77], v[78:79], v[76:77]
	v_div_scale_f64 v[78:79], vcc, v[72:73], v[70:71], v[72:73]
	v_fma_f64 v[80:81], -v[74:75], v[76:77], 1.0
	v_fma_f64 v[76:77], v[76:77], v[80:81], v[76:77]
	v_mul_f64 v[80:81], v[78:79], v[76:77]
	v_fma_f64 v[74:75], -v[74:75], v[80:81], v[78:79]
	v_div_fmas_f64 v[74:75], v[74:75], v[76:77], v[80:81]
	v_div_fixup_f64 v[76:77], v[74:75], v[70:71], v[72:73]
	v_fma_f64 v[70:71], v[72:73], v[76:77], v[70:71]
	v_div_scale_f64 v[72:73], s[6:7], v[70:71], v[70:71], 1.0
	v_div_scale_f64 v[80:81], vcc, 1.0, v[70:71], 1.0
	v_rcp_f64_e32 v[74:75], v[72:73]
	v_fma_f64 v[78:79], -v[72:73], v[74:75], 1.0
	v_fma_f64 v[74:75], v[74:75], v[78:79], v[74:75]
	v_fma_f64 v[78:79], -v[72:73], v[74:75], 1.0
	v_fma_f64 v[74:75], v[74:75], v[78:79], v[74:75]
	v_mul_f64 v[78:79], v[80:81], v[74:75]
	v_fma_f64 v[72:73], -v[72:73], v[78:79], v[80:81]
	v_div_fmas_f64 v[72:73], v[72:73], v[74:75], v[78:79]
	v_div_fixup_f64 v[74:75], v[72:73], v[70:71], 1.0
	v_mul_f64 v[76:77], v[76:77], -v[74:75]
.LBB33_25:
	s_or_b64 exec, exec, s[2:3]
	ds_write2_b64 v95, v[74:75], v[76:77] offset1:1
.LBB33_26:
	s_or_b64 exec, exec, s[4:5]
	s_waitcnt lgkmcnt(0)
	s_barrier
	ds_read2_b64 v[1:4], v95 offset1:1
	v_cmp_lt_u32_e32 vcc, 2, v0
	s_waitcnt lgkmcnt(0)
	buffer_store_dword v1, off, s[20:23], 0 offset:64 ; 4-byte Folded Spill
	s_nop 0
	buffer_store_dword v2, off, s[20:23], 0 offset:68 ; 4-byte Folded Spill
	buffer_store_dword v3, off, s[20:23], 0 offset:72 ; 4-byte Folded Spill
	;; [unrolled: 1-line block ×3, first 2 shown]
	s_and_saveexec_b64 s[2:3], vcc
	s_cbranch_execz .LBB33_28
; %bb.27:
	buffer_load_dword v1, off, s[20:23], 0 offset:64 ; 4-byte Folded Reload
	buffer_load_dword v2, off, s[20:23], 0 offset:68 ; 4-byte Folded Reload
	;; [unrolled: 1-line block ×4, first 2 shown]
	ds_read2_b64 v[72:75], v84 offset0:6 offset1:7
	s_waitcnt vmcnt(2)
	v_mul_f64 v[70:71], v[1:2], v[60:61]
	s_waitcnt vmcnt(0)
	v_mul_f64 v[60:61], v[3:4], v[60:61]
	v_fma_f64 v[70:71], v[3:4], v[58:59], v[70:71]
	v_fma_f64 v[58:59], v[1:2], v[58:59], -v[60:61]
	s_waitcnt lgkmcnt(0)
	v_mul_f64 v[60:61], v[74:75], v[70:71]
	v_fma_f64 v[60:61], v[72:73], v[58:59], -v[60:61]
	v_mul_f64 v[72:73], v[72:73], v[70:71]
	v_add_f64 v[54:55], v[54:55], -v[60:61]
	v_fma_f64 v[72:73], v[74:75], v[58:59], v[72:73]
	v_add_f64 v[56:57], v[56:57], -v[72:73]
	ds_read2_b64 v[72:75], v84 offset0:8 offset1:9
	s_waitcnt lgkmcnt(0)
	v_mul_f64 v[60:61], v[74:75], v[70:71]
	v_fma_f64 v[60:61], v[72:73], v[58:59], -v[60:61]
	v_mul_f64 v[72:73], v[72:73], v[70:71]
	v_add_f64 v[50:51], v[50:51], -v[60:61]
	v_fma_f64 v[72:73], v[74:75], v[58:59], v[72:73]
	v_add_f64 v[52:53], v[52:53], -v[72:73]
	ds_read2_b64 v[72:75], v84 offset0:10 offset1:11
	;; [unrolled: 8-line block ×13, first 2 shown]
	s_waitcnt lgkmcnt(0)
	v_mul_f64 v[60:61], v[74:75], v[70:71]
	v_fma_f64 v[60:61], v[72:73], v[58:59], -v[60:61]
	v_mul_f64 v[72:73], v[72:73], v[70:71]
	v_add_f64 v[38:39], v[38:39], -v[60:61]
	v_fma_f64 v[72:73], v[74:75], v[58:59], v[72:73]
	v_mov_b32_e32 v60, v70
	v_mov_b32_e32 v61, v71
	v_add_f64 v[40:41], v[40:41], -v[72:73]
.LBB33_28:
	s_or_b64 exec, exec, s[2:3]
	v_cmp_eq_u32_e32 vcc, 3, v0
	s_waitcnt vmcnt(0)
	s_barrier
	s_and_saveexec_b64 s[4:5], vcc
	s_cbranch_execz .LBB33_35
; %bb.29:
	ds_write2_b64 v95, v[54:55], v[56:57] offset1:1
	ds_write2_b64 v84, v[50:51], v[52:53] offset0:8 offset1:9
	ds_write2_b64 v84, v[46:47], v[48:49] offset0:10 offset1:11
	;; [unrolled: 1-line block ×13, first 2 shown]
	ds_read2_b64 v[70:73], v95 offset1:1
	s_waitcnt lgkmcnt(0)
	v_cmp_neq_f64_e32 vcc, 0, v[70:71]
	v_cmp_neq_f64_e64 s[2:3], 0, v[72:73]
	s_or_b64 s[2:3], vcc, s[2:3]
	s_and_b64 exec, exec, s[2:3]
	s_cbranch_execz .LBB33_35
; %bb.30:
	v_cmp_ngt_f64_e64 s[2:3], |v[70:71]|, |v[72:73]|
                                        ; implicit-def: $vgpr74_vgpr75
	s_and_saveexec_b64 s[6:7], s[2:3]
	s_xor_b64 s[2:3], exec, s[6:7]
                                        ; implicit-def: $vgpr76_vgpr77
	s_cbranch_execz .LBB33_32
; %bb.31:
	v_div_scale_f64 v[74:75], s[6:7], v[72:73], v[72:73], v[70:71]
	v_rcp_f64_e32 v[76:77], v[74:75]
	v_fma_f64 v[78:79], -v[74:75], v[76:77], 1.0
	v_fma_f64 v[76:77], v[76:77], v[78:79], v[76:77]
	v_div_scale_f64 v[78:79], vcc, v[70:71], v[72:73], v[70:71]
	v_fma_f64 v[80:81], -v[74:75], v[76:77], 1.0
	v_fma_f64 v[76:77], v[76:77], v[80:81], v[76:77]
	v_mul_f64 v[80:81], v[78:79], v[76:77]
	v_fma_f64 v[74:75], -v[74:75], v[80:81], v[78:79]
	v_div_fmas_f64 v[74:75], v[74:75], v[76:77], v[80:81]
	v_div_fixup_f64 v[74:75], v[74:75], v[72:73], v[70:71]
	v_fma_f64 v[70:71], v[70:71], v[74:75], v[72:73]
	v_div_scale_f64 v[72:73], s[6:7], v[70:71], v[70:71], 1.0
	v_div_scale_f64 v[80:81], vcc, 1.0, v[70:71], 1.0
	v_rcp_f64_e32 v[76:77], v[72:73]
	v_fma_f64 v[78:79], -v[72:73], v[76:77], 1.0
	v_fma_f64 v[76:77], v[76:77], v[78:79], v[76:77]
	v_fma_f64 v[78:79], -v[72:73], v[76:77], 1.0
	v_fma_f64 v[76:77], v[76:77], v[78:79], v[76:77]
	v_mul_f64 v[78:79], v[80:81], v[76:77]
	v_fma_f64 v[72:73], -v[72:73], v[78:79], v[80:81]
	v_div_fmas_f64 v[72:73], v[72:73], v[76:77], v[78:79]
	v_div_fixup_f64 v[76:77], v[72:73], v[70:71], 1.0
                                        ; implicit-def: $vgpr70_vgpr71
	v_mul_f64 v[74:75], v[74:75], v[76:77]
	v_xor_b32_e32 v77, 0x80000000, v77
.LBB33_32:
	s_andn2_saveexec_b64 s[2:3], s[2:3]
	s_cbranch_execz .LBB33_34
; %bb.33:
	v_div_scale_f64 v[74:75], s[6:7], v[70:71], v[70:71], v[72:73]
	v_rcp_f64_e32 v[76:77], v[74:75]
	v_fma_f64 v[78:79], -v[74:75], v[76:77], 1.0
	v_fma_f64 v[76:77], v[76:77], v[78:79], v[76:77]
	v_div_scale_f64 v[78:79], vcc, v[72:73], v[70:71], v[72:73]
	v_fma_f64 v[80:81], -v[74:75], v[76:77], 1.0
	v_fma_f64 v[76:77], v[76:77], v[80:81], v[76:77]
	v_mul_f64 v[80:81], v[78:79], v[76:77]
	v_fma_f64 v[74:75], -v[74:75], v[80:81], v[78:79]
	v_div_fmas_f64 v[74:75], v[74:75], v[76:77], v[80:81]
	v_div_fixup_f64 v[76:77], v[74:75], v[70:71], v[72:73]
	v_fma_f64 v[70:71], v[72:73], v[76:77], v[70:71]
	v_div_scale_f64 v[72:73], s[6:7], v[70:71], v[70:71], 1.0
	v_div_scale_f64 v[80:81], vcc, 1.0, v[70:71], 1.0
	v_rcp_f64_e32 v[74:75], v[72:73]
	v_fma_f64 v[78:79], -v[72:73], v[74:75], 1.0
	v_fma_f64 v[74:75], v[74:75], v[78:79], v[74:75]
	v_fma_f64 v[78:79], -v[72:73], v[74:75], 1.0
	v_fma_f64 v[74:75], v[74:75], v[78:79], v[74:75]
	v_mul_f64 v[78:79], v[80:81], v[74:75]
	v_fma_f64 v[72:73], -v[72:73], v[78:79], v[80:81]
	v_div_fmas_f64 v[72:73], v[72:73], v[74:75], v[78:79]
	v_div_fixup_f64 v[74:75], v[72:73], v[70:71], 1.0
	v_mul_f64 v[76:77], v[76:77], -v[74:75]
.LBB33_34:
	s_or_b64 exec, exec, s[2:3]
	ds_write2_b64 v95, v[74:75], v[76:77] offset1:1
.LBB33_35:
	s_or_b64 exec, exec, s[4:5]
	s_waitcnt lgkmcnt(0)
	s_barrier
	ds_read2_b64 v[1:4], v95 offset1:1
	v_cmp_lt_u32_e32 vcc, 3, v0
	s_waitcnt lgkmcnt(0)
	buffer_store_dword v1, off, s[20:23], 0 offset:80 ; 4-byte Folded Spill
	s_nop 0
	buffer_store_dword v2, off, s[20:23], 0 offset:84 ; 4-byte Folded Spill
	buffer_store_dword v3, off, s[20:23], 0 offset:88 ; 4-byte Folded Spill
	buffer_store_dword v4, off, s[20:23], 0 offset:92 ; 4-byte Folded Spill
	s_and_saveexec_b64 s[2:3], vcc
	s_cbranch_execz .LBB33_37
; %bb.36:
	buffer_load_dword v1, off, s[20:23], 0 offset:80 ; 4-byte Folded Reload
	buffer_load_dword v2, off, s[20:23], 0 offset:84 ; 4-byte Folded Reload
	;; [unrolled: 1-line block ×4, first 2 shown]
	ds_read2_b64 v[72:75], v84 offset0:8 offset1:9
	s_waitcnt vmcnt(2)
	v_mul_f64 v[70:71], v[1:2], v[56:57]
	s_waitcnt vmcnt(0)
	v_mul_f64 v[56:57], v[3:4], v[56:57]
	v_fma_f64 v[70:71], v[3:4], v[54:55], v[70:71]
	v_fma_f64 v[54:55], v[1:2], v[54:55], -v[56:57]
	s_waitcnt lgkmcnt(0)
	v_mul_f64 v[56:57], v[74:75], v[70:71]
	v_fma_f64 v[56:57], v[72:73], v[54:55], -v[56:57]
	v_mul_f64 v[72:73], v[72:73], v[70:71]
	v_add_f64 v[50:51], v[50:51], -v[56:57]
	v_fma_f64 v[72:73], v[74:75], v[54:55], v[72:73]
	v_add_f64 v[52:53], v[52:53], -v[72:73]
	ds_read2_b64 v[72:75], v84 offset0:10 offset1:11
	s_waitcnt lgkmcnt(0)
	v_mul_f64 v[56:57], v[74:75], v[70:71]
	v_fma_f64 v[56:57], v[72:73], v[54:55], -v[56:57]
	v_mul_f64 v[72:73], v[72:73], v[70:71]
	v_add_f64 v[46:47], v[46:47], -v[56:57]
	v_fma_f64 v[72:73], v[74:75], v[54:55], v[72:73]
	v_add_f64 v[48:49], v[48:49], -v[72:73]
	ds_read2_b64 v[72:75], v84 offset0:12 offset1:13
	;; [unrolled: 8-line block ×12, first 2 shown]
	s_waitcnt lgkmcnt(0)
	v_mul_f64 v[56:57], v[74:75], v[70:71]
	v_fma_f64 v[56:57], v[72:73], v[54:55], -v[56:57]
	v_mul_f64 v[72:73], v[72:73], v[70:71]
	v_add_f64 v[38:39], v[38:39], -v[56:57]
	v_fma_f64 v[72:73], v[74:75], v[54:55], v[72:73]
	v_mov_b32_e32 v56, v70
	v_mov_b32_e32 v57, v71
	v_add_f64 v[40:41], v[40:41], -v[72:73]
.LBB33_37:
	s_or_b64 exec, exec, s[2:3]
	v_cmp_eq_u32_e32 vcc, 4, v0
	s_waitcnt vmcnt(0)
	s_barrier
	s_and_saveexec_b64 s[4:5], vcc
	s_cbranch_execz .LBB33_44
; %bb.38:
	ds_write2_b64 v95, v[50:51], v[52:53] offset1:1
	ds_write2_b64 v84, v[46:47], v[48:49] offset0:10 offset1:11
	ds_write2_b64 v84, v[42:43], v[44:45] offset0:12 offset1:13
	;; [unrolled: 1-line block ×12, first 2 shown]
	ds_read2_b64 v[70:73], v95 offset1:1
	s_waitcnt lgkmcnt(0)
	v_cmp_neq_f64_e32 vcc, 0, v[70:71]
	v_cmp_neq_f64_e64 s[2:3], 0, v[72:73]
	s_or_b64 s[2:3], vcc, s[2:3]
	s_and_b64 exec, exec, s[2:3]
	s_cbranch_execz .LBB33_44
; %bb.39:
	v_cmp_ngt_f64_e64 s[2:3], |v[70:71]|, |v[72:73]|
                                        ; implicit-def: $vgpr74_vgpr75
	s_and_saveexec_b64 s[6:7], s[2:3]
	s_xor_b64 s[2:3], exec, s[6:7]
                                        ; implicit-def: $vgpr76_vgpr77
	s_cbranch_execz .LBB33_41
; %bb.40:
	v_div_scale_f64 v[74:75], s[6:7], v[72:73], v[72:73], v[70:71]
	v_rcp_f64_e32 v[76:77], v[74:75]
	v_fma_f64 v[78:79], -v[74:75], v[76:77], 1.0
	v_fma_f64 v[76:77], v[76:77], v[78:79], v[76:77]
	v_div_scale_f64 v[78:79], vcc, v[70:71], v[72:73], v[70:71]
	v_fma_f64 v[80:81], -v[74:75], v[76:77], 1.0
	v_fma_f64 v[76:77], v[76:77], v[80:81], v[76:77]
	v_mul_f64 v[80:81], v[78:79], v[76:77]
	v_fma_f64 v[74:75], -v[74:75], v[80:81], v[78:79]
	v_div_fmas_f64 v[74:75], v[74:75], v[76:77], v[80:81]
	v_div_fixup_f64 v[74:75], v[74:75], v[72:73], v[70:71]
	v_fma_f64 v[70:71], v[70:71], v[74:75], v[72:73]
	v_div_scale_f64 v[72:73], s[6:7], v[70:71], v[70:71], 1.0
	v_div_scale_f64 v[80:81], vcc, 1.0, v[70:71], 1.0
	v_rcp_f64_e32 v[76:77], v[72:73]
	v_fma_f64 v[78:79], -v[72:73], v[76:77], 1.0
	v_fma_f64 v[76:77], v[76:77], v[78:79], v[76:77]
	v_fma_f64 v[78:79], -v[72:73], v[76:77], 1.0
	v_fma_f64 v[76:77], v[76:77], v[78:79], v[76:77]
	v_mul_f64 v[78:79], v[80:81], v[76:77]
	v_fma_f64 v[72:73], -v[72:73], v[78:79], v[80:81]
	v_div_fmas_f64 v[72:73], v[72:73], v[76:77], v[78:79]
	v_div_fixup_f64 v[76:77], v[72:73], v[70:71], 1.0
                                        ; implicit-def: $vgpr70_vgpr71
	v_mul_f64 v[74:75], v[74:75], v[76:77]
	v_xor_b32_e32 v77, 0x80000000, v77
.LBB33_41:
	s_andn2_saveexec_b64 s[2:3], s[2:3]
	s_cbranch_execz .LBB33_43
; %bb.42:
	v_div_scale_f64 v[74:75], s[6:7], v[70:71], v[70:71], v[72:73]
	v_rcp_f64_e32 v[76:77], v[74:75]
	v_fma_f64 v[78:79], -v[74:75], v[76:77], 1.0
	v_fma_f64 v[76:77], v[76:77], v[78:79], v[76:77]
	v_div_scale_f64 v[78:79], vcc, v[72:73], v[70:71], v[72:73]
	v_fma_f64 v[80:81], -v[74:75], v[76:77], 1.0
	v_fma_f64 v[76:77], v[76:77], v[80:81], v[76:77]
	v_mul_f64 v[80:81], v[78:79], v[76:77]
	v_fma_f64 v[74:75], -v[74:75], v[80:81], v[78:79]
	v_div_fmas_f64 v[74:75], v[74:75], v[76:77], v[80:81]
	v_div_fixup_f64 v[76:77], v[74:75], v[70:71], v[72:73]
	v_fma_f64 v[70:71], v[72:73], v[76:77], v[70:71]
	v_div_scale_f64 v[72:73], s[6:7], v[70:71], v[70:71], 1.0
	v_div_scale_f64 v[80:81], vcc, 1.0, v[70:71], 1.0
	v_rcp_f64_e32 v[74:75], v[72:73]
	v_fma_f64 v[78:79], -v[72:73], v[74:75], 1.0
	v_fma_f64 v[74:75], v[74:75], v[78:79], v[74:75]
	v_fma_f64 v[78:79], -v[72:73], v[74:75], 1.0
	v_fma_f64 v[74:75], v[74:75], v[78:79], v[74:75]
	v_mul_f64 v[78:79], v[80:81], v[74:75]
	v_fma_f64 v[72:73], -v[72:73], v[78:79], v[80:81]
	v_div_fmas_f64 v[72:73], v[72:73], v[74:75], v[78:79]
	v_div_fixup_f64 v[74:75], v[72:73], v[70:71], 1.0
	v_mul_f64 v[76:77], v[76:77], -v[74:75]
.LBB33_43:
	s_or_b64 exec, exec, s[2:3]
	ds_write2_b64 v95, v[74:75], v[76:77] offset1:1
.LBB33_44:
	s_or_b64 exec, exec, s[4:5]
	s_waitcnt lgkmcnt(0)
	s_barrier
	ds_read2_b64 v[1:4], v95 offset1:1
	v_cmp_lt_u32_e32 vcc, 4, v0
	s_waitcnt lgkmcnt(0)
	buffer_store_dword v1, off, s[20:23], 0 offset:96 ; 4-byte Folded Spill
	s_nop 0
	buffer_store_dword v2, off, s[20:23], 0 offset:100 ; 4-byte Folded Spill
	buffer_store_dword v3, off, s[20:23], 0 offset:104 ; 4-byte Folded Spill
	buffer_store_dword v4, off, s[20:23], 0 offset:108 ; 4-byte Folded Spill
	s_and_saveexec_b64 s[2:3], vcc
	s_cbranch_execz .LBB33_46
; %bb.45:
	buffer_load_dword v1, off, s[20:23], 0 offset:96 ; 4-byte Folded Reload
	buffer_load_dword v2, off, s[20:23], 0 offset:100 ; 4-byte Folded Reload
	;; [unrolled: 1-line block ×4, first 2 shown]
	ds_read2_b64 v[72:75], v84 offset0:10 offset1:11
	s_waitcnt vmcnt(2)
	v_mul_f64 v[70:71], v[1:2], v[52:53]
	s_waitcnt vmcnt(0)
	v_mul_f64 v[52:53], v[3:4], v[52:53]
	v_fma_f64 v[70:71], v[3:4], v[50:51], v[70:71]
	v_fma_f64 v[50:51], v[1:2], v[50:51], -v[52:53]
	s_waitcnt lgkmcnt(0)
	v_mul_f64 v[52:53], v[74:75], v[70:71]
	v_fma_f64 v[52:53], v[72:73], v[50:51], -v[52:53]
	v_mul_f64 v[72:73], v[72:73], v[70:71]
	v_add_f64 v[46:47], v[46:47], -v[52:53]
	v_fma_f64 v[72:73], v[74:75], v[50:51], v[72:73]
	v_add_f64 v[48:49], v[48:49], -v[72:73]
	ds_read2_b64 v[72:75], v84 offset0:12 offset1:13
	s_waitcnt lgkmcnt(0)
	v_mul_f64 v[52:53], v[74:75], v[70:71]
	v_fma_f64 v[52:53], v[72:73], v[50:51], -v[52:53]
	v_mul_f64 v[72:73], v[72:73], v[70:71]
	v_add_f64 v[42:43], v[42:43], -v[52:53]
	v_fma_f64 v[72:73], v[74:75], v[50:51], v[72:73]
	v_add_f64 v[44:45], v[44:45], -v[72:73]
	ds_read2_b64 v[72:75], v84 offset0:14 offset1:15
	;; [unrolled: 8-line block ×11, first 2 shown]
	s_waitcnt lgkmcnt(0)
	v_mul_f64 v[52:53], v[74:75], v[70:71]
	v_fma_f64 v[52:53], v[72:73], v[50:51], -v[52:53]
	v_mul_f64 v[72:73], v[72:73], v[70:71]
	v_add_f64 v[38:39], v[38:39], -v[52:53]
	v_fma_f64 v[72:73], v[74:75], v[50:51], v[72:73]
	v_mov_b32_e32 v52, v70
	v_mov_b32_e32 v53, v71
	v_add_f64 v[40:41], v[40:41], -v[72:73]
.LBB33_46:
	s_or_b64 exec, exec, s[2:3]
	v_cmp_eq_u32_e32 vcc, 5, v0
	s_waitcnt vmcnt(0)
	s_barrier
	s_and_saveexec_b64 s[4:5], vcc
	s_cbranch_execz .LBB33_53
; %bb.47:
	ds_write2_b64 v95, v[46:47], v[48:49] offset1:1
	ds_write2_b64 v84, v[42:43], v[44:45] offset0:12 offset1:13
	ds_write2_b64 v84, v[34:35], v[36:37] offset0:14 offset1:15
	;; [unrolled: 1-line block ×11, first 2 shown]
	ds_read2_b64 v[70:73], v95 offset1:1
	s_waitcnt lgkmcnt(0)
	v_cmp_neq_f64_e32 vcc, 0, v[70:71]
	v_cmp_neq_f64_e64 s[2:3], 0, v[72:73]
	s_or_b64 s[2:3], vcc, s[2:3]
	s_and_b64 exec, exec, s[2:3]
	s_cbranch_execz .LBB33_53
; %bb.48:
	v_cmp_ngt_f64_e64 s[2:3], |v[70:71]|, |v[72:73]|
                                        ; implicit-def: $vgpr74_vgpr75
	s_and_saveexec_b64 s[6:7], s[2:3]
	s_xor_b64 s[2:3], exec, s[6:7]
                                        ; implicit-def: $vgpr76_vgpr77
	s_cbranch_execz .LBB33_50
; %bb.49:
	v_div_scale_f64 v[74:75], s[6:7], v[72:73], v[72:73], v[70:71]
	v_rcp_f64_e32 v[76:77], v[74:75]
	v_fma_f64 v[78:79], -v[74:75], v[76:77], 1.0
	v_fma_f64 v[76:77], v[76:77], v[78:79], v[76:77]
	v_div_scale_f64 v[78:79], vcc, v[70:71], v[72:73], v[70:71]
	v_fma_f64 v[80:81], -v[74:75], v[76:77], 1.0
	v_fma_f64 v[76:77], v[76:77], v[80:81], v[76:77]
	v_mul_f64 v[80:81], v[78:79], v[76:77]
	v_fma_f64 v[74:75], -v[74:75], v[80:81], v[78:79]
	v_div_fmas_f64 v[74:75], v[74:75], v[76:77], v[80:81]
	v_div_fixup_f64 v[74:75], v[74:75], v[72:73], v[70:71]
	v_fma_f64 v[70:71], v[70:71], v[74:75], v[72:73]
	v_div_scale_f64 v[72:73], s[6:7], v[70:71], v[70:71], 1.0
	v_div_scale_f64 v[80:81], vcc, 1.0, v[70:71], 1.0
	v_rcp_f64_e32 v[76:77], v[72:73]
	v_fma_f64 v[78:79], -v[72:73], v[76:77], 1.0
	v_fma_f64 v[76:77], v[76:77], v[78:79], v[76:77]
	v_fma_f64 v[78:79], -v[72:73], v[76:77], 1.0
	v_fma_f64 v[76:77], v[76:77], v[78:79], v[76:77]
	v_mul_f64 v[78:79], v[80:81], v[76:77]
	v_fma_f64 v[72:73], -v[72:73], v[78:79], v[80:81]
	v_div_fmas_f64 v[72:73], v[72:73], v[76:77], v[78:79]
	v_div_fixup_f64 v[76:77], v[72:73], v[70:71], 1.0
                                        ; implicit-def: $vgpr70_vgpr71
	v_mul_f64 v[74:75], v[74:75], v[76:77]
	v_xor_b32_e32 v77, 0x80000000, v77
.LBB33_50:
	s_andn2_saveexec_b64 s[2:3], s[2:3]
	s_cbranch_execz .LBB33_52
; %bb.51:
	v_div_scale_f64 v[74:75], s[6:7], v[70:71], v[70:71], v[72:73]
	v_rcp_f64_e32 v[76:77], v[74:75]
	v_fma_f64 v[78:79], -v[74:75], v[76:77], 1.0
	v_fma_f64 v[76:77], v[76:77], v[78:79], v[76:77]
	v_div_scale_f64 v[78:79], vcc, v[72:73], v[70:71], v[72:73]
	v_fma_f64 v[80:81], -v[74:75], v[76:77], 1.0
	v_fma_f64 v[76:77], v[76:77], v[80:81], v[76:77]
	v_mul_f64 v[80:81], v[78:79], v[76:77]
	v_fma_f64 v[74:75], -v[74:75], v[80:81], v[78:79]
	v_div_fmas_f64 v[74:75], v[74:75], v[76:77], v[80:81]
	v_div_fixup_f64 v[76:77], v[74:75], v[70:71], v[72:73]
	v_fma_f64 v[70:71], v[72:73], v[76:77], v[70:71]
	v_div_scale_f64 v[72:73], s[6:7], v[70:71], v[70:71], 1.0
	v_div_scale_f64 v[80:81], vcc, 1.0, v[70:71], 1.0
	v_rcp_f64_e32 v[74:75], v[72:73]
	v_fma_f64 v[78:79], -v[72:73], v[74:75], 1.0
	v_fma_f64 v[74:75], v[74:75], v[78:79], v[74:75]
	v_fma_f64 v[78:79], -v[72:73], v[74:75], 1.0
	v_fma_f64 v[74:75], v[74:75], v[78:79], v[74:75]
	v_mul_f64 v[78:79], v[80:81], v[74:75]
	v_fma_f64 v[72:73], -v[72:73], v[78:79], v[80:81]
	v_div_fmas_f64 v[72:73], v[72:73], v[74:75], v[78:79]
	v_div_fixup_f64 v[74:75], v[72:73], v[70:71], 1.0
	v_mul_f64 v[76:77], v[76:77], -v[74:75]
.LBB33_52:
	s_or_b64 exec, exec, s[2:3]
	ds_write2_b64 v95, v[74:75], v[76:77] offset1:1
.LBB33_53:
	s_or_b64 exec, exec, s[4:5]
	s_waitcnt lgkmcnt(0)
	s_barrier
	ds_read2_b64 v[1:4], v95 offset1:1
	v_cmp_lt_u32_e32 vcc, 5, v0
	s_waitcnt lgkmcnt(0)
	buffer_store_dword v1, off, s[20:23], 0 offset:112 ; 4-byte Folded Spill
	s_nop 0
	buffer_store_dword v2, off, s[20:23], 0 offset:116 ; 4-byte Folded Spill
	buffer_store_dword v3, off, s[20:23], 0 offset:120 ; 4-byte Folded Spill
	;; [unrolled: 1-line block ×3, first 2 shown]
	s_and_saveexec_b64 s[2:3], vcc
	s_cbranch_execz .LBB33_55
; %bb.54:
	buffer_load_dword v1, off, s[20:23], 0 offset:112 ; 4-byte Folded Reload
	buffer_load_dword v2, off, s[20:23], 0 offset:116 ; 4-byte Folded Reload
	;; [unrolled: 1-line block ×4, first 2 shown]
	ds_read2_b64 v[72:75], v84 offset0:12 offset1:13
	s_waitcnt vmcnt(2)
	v_mul_f64 v[70:71], v[1:2], v[48:49]
	s_waitcnt vmcnt(0)
	v_mul_f64 v[48:49], v[3:4], v[48:49]
	v_fma_f64 v[70:71], v[3:4], v[46:47], v[70:71]
	v_fma_f64 v[46:47], v[1:2], v[46:47], -v[48:49]
	s_waitcnt lgkmcnt(0)
	v_mul_f64 v[48:49], v[74:75], v[70:71]
	v_fma_f64 v[48:49], v[72:73], v[46:47], -v[48:49]
	v_mul_f64 v[72:73], v[72:73], v[70:71]
	v_add_f64 v[42:43], v[42:43], -v[48:49]
	v_fma_f64 v[72:73], v[74:75], v[46:47], v[72:73]
	v_add_f64 v[44:45], v[44:45], -v[72:73]
	ds_read2_b64 v[72:75], v84 offset0:14 offset1:15
	s_waitcnt lgkmcnt(0)
	v_mul_f64 v[48:49], v[74:75], v[70:71]
	v_fma_f64 v[48:49], v[72:73], v[46:47], -v[48:49]
	v_mul_f64 v[72:73], v[72:73], v[70:71]
	v_add_f64 v[34:35], v[34:35], -v[48:49]
	v_fma_f64 v[72:73], v[74:75], v[46:47], v[72:73]
	v_add_f64 v[36:37], v[36:37], -v[72:73]
	ds_read2_b64 v[72:75], v84 offset0:16 offset1:17
	;; [unrolled: 8-line block ×10, first 2 shown]
	s_waitcnt lgkmcnt(0)
	v_mul_f64 v[48:49], v[74:75], v[70:71]
	v_fma_f64 v[48:49], v[72:73], v[46:47], -v[48:49]
	v_mul_f64 v[72:73], v[72:73], v[70:71]
	v_add_f64 v[38:39], v[38:39], -v[48:49]
	v_fma_f64 v[72:73], v[74:75], v[46:47], v[72:73]
	v_mov_b32_e32 v48, v70
	v_mov_b32_e32 v49, v71
	v_add_f64 v[40:41], v[40:41], -v[72:73]
.LBB33_55:
	s_or_b64 exec, exec, s[2:3]
	v_cmp_eq_u32_e32 vcc, 6, v0
	s_waitcnt vmcnt(0)
	s_barrier
	s_and_saveexec_b64 s[4:5], vcc
	s_cbranch_execz .LBB33_62
; %bb.56:
	ds_write2_b64 v95, v[42:43], v[44:45] offset1:1
	ds_write2_b64 v84, v[34:35], v[36:37] offset0:14 offset1:15
	ds_write2_b64 v84, v[117:118], v[119:120] offset0:16 offset1:17
	;; [unrolled: 1-line block ×10, first 2 shown]
	ds_read2_b64 v[70:73], v95 offset1:1
	s_waitcnt lgkmcnt(0)
	v_cmp_neq_f64_e32 vcc, 0, v[70:71]
	v_cmp_neq_f64_e64 s[2:3], 0, v[72:73]
	s_or_b64 s[2:3], vcc, s[2:3]
	s_and_b64 exec, exec, s[2:3]
	s_cbranch_execz .LBB33_62
; %bb.57:
	v_cmp_ngt_f64_e64 s[2:3], |v[70:71]|, |v[72:73]|
                                        ; implicit-def: $vgpr74_vgpr75
	s_and_saveexec_b64 s[6:7], s[2:3]
	s_xor_b64 s[2:3], exec, s[6:7]
                                        ; implicit-def: $vgpr76_vgpr77
	s_cbranch_execz .LBB33_59
; %bb.58:
	v_div_scale_f64 v[74:75], s[6:7], v[72:73], v[72:73], v[70:71]
	v_rcp_f64_e32 v[76:77], v[74:75]
	v_fma_f64 v[78:79], -v[74:75], v[76:77], 1.0
	v_fma_f64 v[76:77], v[76:77], v[78:79], v[76:77]
	v_div_scale_f64 v[78:79], vcc, v[70:71], v[72:73], v[70:71]
	v_fma_f64 v[80:81], -v[74:75], v[76:77], 1.0
	v_fma_f64 v[76:77], v[76:77], v[80:81], v[76:77]
	v_mul_f64 v[80:81], v[78:79], v[76:77]
	v_fma_f64 v[74:75], -v[74:75], v[80:81], v[78:79]
	v_div_fmas_f64 v[74:75], v[74:75], v[76:77], v[80:81]
	v_div_fixup_f64 v[74:75], v[74:75], v[72:73], v[70:71]
	v_fma_f64 v[70:71], v[70:71], v[74:75], v[72:73]
	v_div_scale_f64 v[72:73], s[6:7], v[70:71], v[70:71], 1.0
	v_div_scale_f64 v[80:81], vcc, 1.0, v[70:71], 1.0
	v_rcp_f64_e32 v[76:77], v[72:73]
	v_fma_f64 v[78:79], -v[72:73], v[76:77], 1.0
	v_fma_f64 v[76:77], v[76:77], v[78:79], v[76:77]
	v_fma_f64 v[78:79], -v[72:73], v[76:77], 1.0
	v_fma_f64 v[76:77], v[76:77], v[78:79], v[76:77]
	v_mul_f64 v[78:79], v[80:81], v[76:77]
	v_fma_f64 v[72:73], -v[72:73], v[78:79], v[80:81]
	v_div_fmas_f64 v[72:73], v[72:73], v[76:77], v[78:79]
	v_div_fixup_f64 v[76:77], v[72:73], v[70:71], 1.0
                                        ; implicit-def: $vgpr70_vgpr71
	v_mul_f64 v[74:75], v[74:75], v[76:77]
	v_xor_b32_e32 v77, 0x80000000, v77
.LBB33_59:
	s_andn2_saveexec_b64 s[2:3], s[2:3]
	s_cbranch_execz .LBB33_61
; %bb.60:
	v_div_scale_f64 v[74:75], s[6:7], v[70:71], v[70:71], v[72:73]
	v_rcp_f64_e32 v[76:77], v[74:75]
	v_fma_f64 v[78:79], -v[74:75], v[76:77], 1.0
	v_fma_f64 v[76:77], v[76:77], v[78:79], v[76:77]
	v_div_scale_f64 v[78:79], vcc, v[72:73], v[70:71], v[72:73]
	v_fma_f64 v[80:81], -v[74:75], v[76:77], 1.0
	v_fma_f64 v[76:77], v[76:77], v[80:81], v[76:77]
	v_mul_f64 v[80:81], v[78:79], v[76:77]
	v_fma_f64 v[74:75], -v[74:75], v[80:81], v[78:79]
	v_div_fmas_f64 v[74:75], v[74:75], v[76:77], v[80:81]
	v_div_fixup_f64 v[76:77], v[74:75], v[70:71], v[72:73]
	v_fma_f64 v[70:71], v[72:73], v[76:77], v[70:71]
	v_div_scale_f64 v[72:73], s[6:7], v[70:71], v[70:71], 1.0
	v_div_scale_f64 v[80:81], vcc, 1.0, v[70:71], 1.0
	v_rcp_f64_e32 v[74:75], v[72:73]
	v_fma_f64 v[78:79], -v[72:73], v[74:75], 1.0
	v_fma_f64 v[74:75], v[74:75], v[78:79], v[74:75]
	v_fma_f64 v[78:79], -v[72:73], v[74:75], 1.0
	v_fma_f64 v[74:75], v[74:75], v[78:79], v[74:75]
	v_mul_f64 v[78:79], v[80:81], v[74:75]
	v_fma_f64 v[72:73], -v[72:73], v[78:79], v[80:81]
	v_div_fmas_f64 v[72:73], v[72:73], v[74:75], v[78:79]
	v_div_fixup_f64 v[74:75], v[72:73], v[70:71], 1.0
	v_mul_f64 v[76:77], v[76:77], -v[74:75]
.LBB33_61:
	s_or_b64 exec, exec, s[2:3]
	ds_write2_b64 v95, v[74:75], v[76:77] offset1:1
.LBB33_62:
	s_or_b64 exec, exec, s[4:5]
	s_waitcnt lgkmcnt(0)
	s_barrier
	ds_read2_b64 v[1:4], v95 offset1:1
	v_cmp_lt_u32_e32 vcc, 6, v0
	s_waitcnt lgkmcnt(0)
	buffer_store_dword v1, off, s[20:23], 0 offset:128 ; 4-byte Folded Spill
	s_nop 0
	buffer_store_dword v2, off, s[20:23], 0 offset:132 ; 4-byte Folded Spill
	buffer_store_dword v3, off, s[20:23], 0 offset:136 ; 4-byte Folded Spill
	;; [unrolled: 1-line block ×3, first 2 shown]
	s_and_saveexec_b64 s[2:3], vcc
	s_cbranch_execz .LBB33_64
; %bb.63:
	buffer_load_dword v1, off, s[20:23], 0 offset:128 ; 4-byte Folded Reload
	buffer_load_dword v2, off, s[20:23], 0 offset:132 ; 4-byte Folded Reload
	;; [unrolled: 1-line block ×4, first 2 shown]
	ds_read2_b64 v[72:75], v84 offset0:14 offset1:15
	s_waitcnt vmcnt(2)
	v_mul_f64 v[70:71], v[1:2], v[44:45]
	s_waitcnt vmcnt(0)
	v_mul_f64 v[44:45], v[3:4], v[44:45]
	v_fma_f64 v[70:71], v[3:4], v[42:43], v[70:71]
	v_fma_f64 v[42:43], v[1:2], v[42:43], -v[44:45]
	s_waitcnt lgkmcnt(0)
	v_mul_f64 v[44:45], v[74:75], v[70:71]
	v_fma_f64 v[44:45], v[72:73], v[42:43], -v[44:45]
	v_mul_f64 v[72:73], v[72:73], v[70:71]
	v_add_f64 v[34:35], v[34:35], -v[44:45]
	v_fma_f64 v[72:73], v[74:75], v[42:43], v[72:73]
	v_add_f64 v[36:37], v[36:37], -v[72:73]
	ds_read2_b64 v[72:75], v84 offset0:16 offset1:17
	s_waitcnt lgkmcnt(0)
	v_mul_f64 v[44:45], v[74:75], v[70:71]
	v_fma_f64 v[44:45], v[72:73], v[42:43], -v[44:45]
	v_mul_f64 v[72:73], v[72:73], v[70:71]
	v_add_f64 v[117:118], v[117:118], -v[44:45]
	v_fma_f64 v[72:73], v[74:75], v[42:43], v[72:73]
	v_add_f64 v[119:120], v[119:120], -v[72:73]
	ds_read2_b64 v[72:75], v84 offset0:18 offset1:19
	;; [unrolled: 8-line block ×9, first 2 shown]
	s_waitcnt lgkmcnt(0)
	v_mul_f64 v[44:45], v[74:75], v[70:71]
	v_fma_f64 v[44:45], v[72:73], v[42:43], -v[44:45]
	v_mul_f64 v[72:73], v[72:73], v[70:71]
	v_add_f64 v[38:39], v[38:39], -v[44:45]
	v_fma_f64 v[72:73], v[74:75], v[42:43], v[72:73]
	v_mov_b32_e32 v44, v70
	v_mov_b32_e32 v45, v71
	v_add_f64 v[40:41], v[40:41], -v[72:73]
.LBB33_64:
	s_or_b64 exec, exec, s[2:3]
	v_cmp_eq_u32_e32 vcc, 7, v0
	s_waitcnt vmcnt(0)
	s_barrier
	s_and_saveexec_b64 s[4:5], vcc
	s_cbranch_execz .LBB33_71
; %bb.65:
	ds_write2_b64 v95, v[34:35], v[36:37] offset1:1
	ds_write2_b64 v84, v[117:118], v[119:120] offset0:16 offset1:17
	ds_write2_b64 v84, v[26:27], v[28:29] offset0:18 offset1:19
	;; [unrolled: 1-line block ×9, first 2 shown]
	ds_read2_b64 v[70:73], v95 offset1:1
	s_waitcnt lgkmcnt(0)
	v_cmp_neq_f64_e32 vcc, 0, v[70:71]
	v_cmp_neq_f64_e64 s[2:3], 0, v[72:73]
	s_or_b64 s[2:3], vcc, s[2:3]
	s_and_b64 exec, exec, s[2:3]
	s_cbranch_execz .LBB33_71
; %bb.66:
	v_cmp_ngt_f64_e64 s[2:3], |v[70:71]|, |v[72:73]|
                                        ; implicit-def: $vgpr74_vgpr75
	s_and_saveexec_b64 s[6:7], s[2:3]
	s_xor_b64 s[2:3], exec, s[6:7]
                                        ; implicit-def: $vgpr76_vgpr77
	s_cbranch_execz .LBB33_68
; %bb.67:
	v_div_scale_f64 v[74:75], s[6:7], v[72:73], v[72:73], v[70:71]
	v_rcp_f64_e32 v[76:77], v[74:75]
	v_fma_f64 v[78:79], -v[74:75], v[76:77], 1.0
	v_fma_f64 v[76:77], v[76:77], v[78:79], v[76:77]
	v_div_scale_f64 v[78:79], vcc, v[70:71], v[72:73], v[70:71]
	v_fma_f64 v[80:81], -v[74:75], v[76:77], 1.0
	v_fma_f64 v[76:77], v[76:77], v[80:81], v[76:77]
	v_mul_f64 v[80:81], v[78:79], v[76:77]
	v_fma_f64 v[74:75], -v[74:75], v[80:81], v[78:79]
	v_div_fmas_f64 v[74:75], v[74:75], v[76:77], v[80:81]
	v_div_fixup_f64 v[74:75], v[74:75], v[72:73], v[70:71]
	v_fma_f64 v[70:71], v[70:71], v[74:75], v[72:73]
	v_div_scale_f64 v[72:73], s[6:7], v[70:71], v[70:71], 1.0
	v_div_scale_f64 v[80:81], vcc, 1.0, v[70:71], 1.0
	v_rcp_f64_e32 v[76:77], v[72:73]
	v_fma_f64 v[78:79], -v[72:73], v[76:77], 1.0
	v_fma_f64 v[76:77], v[76:77], v[78:79], v[76:77]
	v_fma_f64 v[78:79], -v[72:73], v[76:77], 1.0
	v_fma_f64 v[76:77], v[76:77], v[78:79], v[76:77]
	v_mul_f64 v[78:79], v[80:81], v[76:77]
	v_fma_f64 v[72:73], -v[72:73], v[78:79], v[80:81]
	v_div_fmas_f64 v[72:73], v[72:73], v[76:77], v[78:79]
	v_div_fixup_f64 v[76:77], v[72:73], v[70:71], 1.0
                                        ; implicit-def: $vgpr70_vgpr71
	v_mul_f64 v[74:75], v[74:75], v[76:77]
	v_xor_b32_e32 v77, 0x80000000, v77
.LBB33_68:
	s_andn2_saveexec_b64 s[2:3], s[2:3]
	s_cbranch_execz .LBB33_70
; %bb.69:
	v_div_scale_f64 v[74:75], s[6:7], v[70:71], v[70:71], v[72:73]
	v_rcp_f64_e32 v[76:77], v[74:75]
	v_fma_f64 v[78:79], -v[74:75], v[76:77], 1.0
	v_fma_f64 v[76:77], v[76:77], v[78:79], v[76:77]
	v_div_scale_f64 v[78:79], vcc, v[72:73], v[70:71], v[72:73]
	v_fma_f64 v[80:81], -v[74:75], v[76:77], 1.0
	v_fma_f64 v[76:77], v[76:77], v[80:81], v[76:77]
	v_mul_f64 v[80:81], v[78:79], v[76:77]
	v_fma_f64 v[74:75], -v[74:75], v[80:81], v[78:79]
	v_div_fmas_f64 v[74:75], v[74:75], v[76:77], v[80:81]
	v_div_fixup_f64 v[76:77], v[74:75], v[70:71], v[72:73]
	v_fma_f64 v[70:71], v[72:73], v[76:77], v[70:71]
	v_div_scale_f64 v[72:73], s[6:7], v[70:71], v[70:71], 1.0
	v_div_scale_f64 v[80:81], vcc, 1.0, v[70:71], 1.0
	v_rcp_f64_e32 v[74:75], v[72:73]
	v_fma_f64 v[78:79], -v[72:73], v[74:75], 1.0
	v_fma_f64 v[74:75], v[74:75], v[78:79], v[74:75]
	v_fma_f64 v[78:79], -v[72:73], v[74:75], 1.0
	v_fma_f64 v[74:75], v[74:75], v[78:79], v[74:75]
	v_mul_f64 v[78:79], v[80:81], v[74:75]
	v_fma_f64 v[72:73], -v[72:73], v[78:79], v[80:81]
	v_div_fmas_f64 v[72:73], v[72:73], v[74:75], v[78:79]
	v_div_fixup_f64 v[74:75], v[72:73], v[70:71], 1.0
	v_mul_f64 v[76:77], v[76:77], -v[74:75]
.LBB33_70:
	s_or_b64 exec, exec, s[2:3]
	ds_write2_b64 v95, v[74:75], v[76:77] offset1:1
.LBB33_71:
	s_or_b64 exec, exec, s[4:5]
	s_waitcnt lgkmcnt(0)
	s_barrier
	ds_read2_b64 v[1:4], v95 offset1:1
	v_cmp_lt_u32_e32 vcc, 7, v0
	s_waitcnt lgkmcnt(0)
	buffer_store_dword v1, off, s[20:23], 0 offset:144 ; 4-byte Folded Spill
	s_nop 0
	buffer_store_dword v2, off, s[20:23], 0 offset:148 ; 4-byte Folded Spill
	buffer_store_dword v3, off, s[20:23], 0 offset:152 ; 4-byte Folded Spill
	;; [unrolled: 1-line block ×3, first 2 shown]
	s_and_saveexec_b64 s[2:3], vcc
	s_cbranch_execz .LBB33_73
; %bb.72:
	buffer_load_dword v1, off, s[20:23], 0 offset:144 ; 4-byte Folded Reload
	buffer_load_dword v2, off, s[20:23], 0 offset:148 ; 4-byte Folded Reload
	;; [unrolled: 1-line block ×4, first 2 shown]
	ds_read2_b64 v[72:75], v84 offset0:16 offset1:17
	s_waitcnt vmcnt(2)
	v_mul_f64 v[70:71], v[1:2], v[36:37]
	s_waitcnt vmcnt(0)
	v_mul_f64 v[36:37], v[3:4], v[36:37]
	v_fma_f64 v[70:71], v[3:4], v[34:35], v[70:71]
	v_fma_f64 v[34:35], v[1:2], v[34:35], -v[36:37]
	s_waitcnt lgkmcnt(0)
	v_mul_f64 v[36:37], v[74:75], v[70:71]
	v_fma_f64 v[36:37], v[72:73], v[34:35], -v[36:37]
	v_mul_f64 v[72:73], v[72:73], v[70:71]
	v_add_f64 v[117:118], v[117:118], -v[36:37]
	v_fma_f64 v[72:73], v[74:75], v[34:35], v[72:73]
	v_add_f64 v[119:120], v[119:120], -v[72:73]
	ds_read2_b64 v[72:75], v84 offset0:18 offset1:19
	s_waitcnt lgkmcnt(0)
	v_mul_f64 v[36:37], v[74:75], v[70:71]
	v_fma_f64 v[36:37], v[72:73], v[34:35], -v[36:37]
	v_mul_f64 v[72:73], v[72:73], v[70:71]
	v_add_f64 v[26:27], v[26:27], -v[36:37]
	v_fma_f64 v[72:73], v[74:75], v[34:35], v[72:73]
	v_add_f64 v[28:29], v[28:29], -v[72:73]
	ds_read2_b64 v[72:75], v84 offset0:20 offset1:21
	;; [unrolled: 8-line block ×8, first 2 shown]
	s_waitcnt lgkmcnt(0)
	v_mul_f64 v[36:37], v[74:75], v[70:71]
	v_fma_f64 v[36:37], v[72:73], v[34:35], -v[36:37]
	v_mul_f64 v[72:73], v[72:73], v[70:71]
	v_add_f64 v[38:39], v[38:39], -v[36:37]
	v_fma_f64 v[72:73], v[74:75], v[34:35], v[72:73]
	v_mov_b32_e32 v36, v70
	v_mov_b32_e32 v37, v71
	v_add_f64 v[40:41], v[40:41], -v[72:73]
.LBB33_73:
	s_or_b64 exec, exec, s[2:3]
	v_cmp_eq_u32_e32 vcc, 8, v0
	s_waitcnt vmcnt(0)
	s_barrier
	s_and_saveexec_b64 s[4:5], vcc
	s_cbranch_execz .LBB33_80
; %bb.74:
	ds_write2_b64 v95, v[117:118], v[119:120] offset1:1
	ds_write2_b64 v84, v[26:27], v[28:29] offset0:18 offset1:19
	ds_write2_b64 v84, v[22:23], v[24:25] offset0:20 offset1:21
	;; [unrolled: 1-line block ×8, first 2 shown]
	ds_read2_b64 v[70:73], v95 offset1:1
	s_waitcnt lgkmcnt(0)
	v_cmp_neq_f64_e32 vcc, 0, v[70:71]
	v_cmp_neq_f64_e64 s[2:3], 0, v[72:73]
	s_or_b64 s[2:3], vcc, s[2:3]
	s_and_b64 exec, exec, s[2:3]
	s_cbranch_execz .LBB33_80
; %bb.75:
	v_cmp_ngt_f64_e64 s[2:3], |v[70:71]|, |v[72:73]|
                                        ; implicit-def: $vgpr74_vgpr75
	s_and_saveexec_b64 s[6:7], s[2:3]
	s_xor_b64 s[2:3], exec, s[6:7]
                                        ; implicit-def: $vgpr76_vgpr77
	s_cbranch_execz .LBB33_77
; %bb.76:
	v_div_scale_f64 v[74:75], s[6:7], v[72:73], v[72:73], v[70:71]
	v_rcp_f64_e32 v[76:77], v[74:75]
	v_fma_f64 v[78:79], -v[74:75], v[76:77], 1.0
	v_fma_f64 v[76:77], v[76:77], v[78:79], v[76:77]
	v_div_scale_f64 v[78:79], vcc, v[70:71], v[72:73], v[70:71]
	v_fma_f64 v[80:81], -v[74:75], v[76:77], 1.0
	v_fma_f64 v[76:77], v[76:77], v[80:81], v[76:77]
	v_mul_f64 v[80:81], v[78:79], v[76:77]
	v_fma_f64 v[74:75], -v[74:75], v[80:81], v[78:79]
	v_div_fmas_f64 v[74:75], v[74:75], v[76:77], v[80:81]
	v_div_fixup_f64 v[74:75], v[74:75], v[72:73], v[70:71]
	v_fma_f64 v[70:71], v[70:71], v[74:75], v[72:73]
	v_div_scale_f64 v[72:73], s[6:7], v[70:71], v[70:71], 1.0
	v_div_scale_f64 v[80:81], vcc, 1.0, v[70:71], 1.0
	v_rcp_f64_e32 v[76:77], v[72:73]
	v_fma_f64 v[78:79], -v[72:73], v[76:77], 1.0
	v_fma_f64 v[76:77], v[76:77], v[78:79], v[76:77]
	v_fma_f64 v[78:79], -v[72:73], v[76:77], 1.0
	v_fma_f64 v[76:77], v[76:77], v[78:79], v[76:77]
	v_mul_f64 v[78:79], v[80:81], v[76:77]
	v_fma_f64 v[72:73], -v[72:73], v[78:79], v[80:81]
	v_div_fmas_f64 v[72:73], v[72:73], v[76:77], v[78:79]
	v_div_fixup_f64 v[76:77], v[72:73], v[70:71], 1.0
                                        ; implicit-def: $vgpr70_vgpr71
	v_mul_f64 v[74:75], v[74:75], v[76:77]
	v_xor_b32_e32 v77, 0x80000000, v77
.LBB33_77:
	s_andn2_saveexec_b64 s[2:3], s[2:3]
	s_cbranch_execz .LBB33_79
; %bb.78:
	v_div_scale_f64 v[74:75], s[6:7], v[70:71], v[70:71], v[72:73]
	v_rcp_f64_e32 v[76:77], v[74:75]
	v_fma_f64 v[78:79], -v[74:75], v[76:77], 1.0
	v_fma_f64 v[76:77], v[76:77], v[78:79], v[76:77]
	v_div_scale_f64 v[78:79], vcc, v[72:73], v[70:71], v[72:73]
	v_fma_f64 v[80:81], -v[74:75], v[76:77], 1.0
	v_fma_f64 v[76:77], v[76:77], v[80:81], v[76:77]
	v_mul_f64 v[80:81], v[78:79], v[76:77]
	v_fma_f64 v[74:75], -v[74:75], v[80:81], v[78:79]
	v_div_fmas_f64 v[74:75], v[74:75], v[76:77], v[80:81]
	v_div_fixup_f64 v[76:77], v[74:75], v[70:71], v[72:73]
	v_fma_f64 v[70:71], v[72:73], v[76:77], v[70:71]
	v_div_scale_f64 v[72:73], s[6:7], v[70:71], v[70:71], 1.0
	v_div_scale_f64 v[80:81], vcc, 1.0, v[70:71], 1.0
	v_rcp_f64_e32 v[74:75], v[72:73]
	v_fma_f64 v[78:79], -v[72:73], v[74:75], 1.0
	v_fma_f64 v[74:75], v[74:75], v[78:79], v[74:75]
	v_fma_f64 v[78:79], -v[72:73], v[74:75], 1.0
	v_fma_f64 v[74:75], v[74:75], v[78:79], v[74:75]
	v_mul_f64 v[78:79], v[80:81], v[74:75]
	v_fma_f64 v[72:73], -v[72:73], v[78:79], v[80:81]
	v_div_fmas_f64 v[72:73], v[72:73], v[74:75], v[78:79]
	v_div_fixup_f64 v[74:75], v[72:73], v[70:71], 1.0
	v_mul_f64 v[76:77], v[76:77], -v[74:75]
.LBB33_79:
	s_or_b64 exec, exec, s[2:3]
	ds_write2_b64 v95, v[74:75], v[76:77] offset1:1
.LBB33_80:
	s_or_b64 exec, exec, s[4:5]
	s_waitcnt lgkmcnt(0)
	s_barrier
	ds_read2_b64 v[1:4], v95 offset1:1
	v_cmp_lt_u32_e32 vcc, 8, v0
	s_waitcnt lgkmcnt(0)
	buffer_store_dword v1, off, s[20:23], 0 offset:160 ; 4-byte Folded Spill
	s_nop 0
	buffer_store_dword v2, off, s[20:23], 0 offset:164 ; 4-byte Folded Spill
	buffer_store_dword v3, off, s[20:23], 0 offset:168 ; 4-byte Folded Spill
	;; [unrolled: 1-line block ×3, first 2 shown]
	s_and_saveexec_b64 s[2:3], vcc
	s_cbranch_execz .LBB33_82
; %bb.81:
	buffer_load_dword v72, off, s[20:23], 0 offset:160 ; 4-byte Folded Reload
	buffer_load_dword v73, off, s[20:23], 0 offset:164 ; 4-byte Folded Reload
	;; [unrolled: 1-line block ×4, first 2 shown]
	v_mov_b32_e32 v1, v30
	v_mov_b32_e32 v2, v31
	;; [unrolled: 1-line block ×4, first 2 shown]
	s_waitcnt vmcnt(2)
	v_mul_f64 v[70:71], v[72:73], v[119:120]
	s_waitcnt vmcnt(0)
	v_mul_f64 v[32:33], v[74:75], v[119:120]
	v_fma_f64 v[70:71], v[74:75], v[117:118], v[70:71]
	v_fma_f64 v[117:118], v[72:73], v[117:118], -v[32:33]
	ds_read2_b64 v[72:75], v84 offset0:18 offset1:19
	s_waitcnt lgkmcnt(0)
	v_mul_f64 v[32:33], v[74:75], v[70:71]
	v_mov_b32_e32 v120, v71
	v_mov_b32_e32 v119, v70
	v_fma_f64 v[32:33], v[72:73], v[117:118], -v[32:33]
	v_mul_f64 v[72:73], v[72:73], v[70:71]
	v_add_f64 v[26:27], v[26:27], -v[32:33]
	v_fma_f64 v[72:73], v[74:75], v[117:118], v[72:73]
	v_add_f64 v[28:29], v[28:29], -v[72:73]
	ds_read2_b64 v[72:75], v84 offset0:20 offset1:21
	s_waitcnt lgkmcnt(0)
	v_mul_f64 v[32:33], v[74:75], v[70:71]
	v_fma_f64 v[32:33], v[72:73], v[117:118], -v[32:33]
	v_mul_f64 v[72:73], v[72:73], v[70:71]
	v_add_f64 v[22:23], v[22:23], -v[32:33]
	v_fma_f64 v[72:73], v[74:75], v[117:118], v[72:73]
	v_add_f64 v[24:25], v[24:25], -v[72:73]
	ds_read2_b64 v[72:75], v84 offset0:22 offset1:23
	s_waitcnt lgkmcnt(0)
	v_mul_f64 v[32:33], v[74:75], v[70:71]
	;; [unrolled: 8-line block ×7, first 2 shown]
	v_fma_f64 v[32:33], v[72:73], v[117:118], -v[32:33]
	v_mul_f64 v[72:73], v[72:73], v[70:71]
	v_add_f64 v[38:39], v[38:39], -v[32:33]
	v_fma_f64 v[72:73], v[74:75], v[117:118], v[72:73]
	v_mov_b32_e32 v33, v4
	v_mov_b32_e32 v32, v3
	;; [unrolled: 1-line block ×4, first 2 shown]
	v_add_f64 v[40:41], v[40:41], -v[72:73]
.LBB33_82:
	s_or_b64 exec, exec, s[2:3]
	v_cmp_eq_u32_e32 vcc, 9, v0
	s_waitcnt vmcnt(0)
	s_barrier
	s_and_saveexec_b64 s[4:5], vcc
	s_cbranch_execz .LBB33_89
; %bb.83:
	ds_write2_b64 v95, v[26:27], v[28:29] offset1:1
	ds_write2_b64 v84, v[22:23], v[24:25] offset0:20 offset1:21
	ds_write2_b64 v84, v[18:19], v[20:21] offset0:22 offset1:23
	;; [unrolled: 1-line block ×7, first 2 shown]
	ds_read2_b64 v[70:73], v95 offset1:1
	s_waitcnt lgkmcnt(0)
	v_cmp_neq_f64_e32 vcc, 0, v[70:71]
	v_cmp_neq_f64_e64 s[2:3], 0, v[72:73]
	s_or_b64 s[2:3], vcc, s[2:3]
	s_and_b64 exec, exec, s[2:3]
	s_cbranch_execz .LBB33_89
; %bb.84:
	v_cmp_ngt_f64_e64 s[2:3], |v[70:71]|, |v[72:73]|
                                        ; implicit-def: $vgpr74_vgpr75
	s_and_saveexec_b64 s[6:7], s[2:3]
	s_xor_b64 s[2:3], exec, s[6:7]
                                        ; implicit-def: $vgpr76_vgpr77
	s_cbranch_execz .LBB33_86
; %bb.85:
	v_div_scale_f64 v[74:75], s[6:7], v[72:73], v[72:73], v[70:71]
	v_rcp_f64_e32 v[76:77], v[74:75]
	v_fma_f64 v[78:79], -v[74:75], v[76:77], 1.0
	v_fma_f64 v[76:77], v[76:77], v[78:79], v[76:77]
	v_div_scale_f64 v[78:79], vcc, v[70:71], v[72:73], v[70:71]
	v_fma_f64 v[80:81], -v[74:75], v[76:77], 1.0
	v_fma_f64 v[76:77], v[76:77], v[80:81], v[76:77]
	v_mul_f64 v[80:81], v[78:79], v[76:77]
	v_fma_f64 v[74:75], -v[74:75], v[80:81], v[78:79]
	v_div_fmas_f64 v[74:75], v[74:75], v[76:77], v[80:81]
	v_div_fixup_f64 v[74:75], v[74:75], v[72:73], v[70:71]
	v_fma_f64 v[70:71], v[70:71], v[74:75], v[72:73]
	v_div_scale_f64 v[72:73], s[6:7], v[70:71], v[70:71], 1.0
	v_div_scale_f64 v[80:81], vcc, 1.0, v[70:71], 1.0
	v_rcp_f64_e32 v[76:77], v[72:73]
	v_fma_f64 v[78:79], -v[72:73], v[76:77], 1.0
	v_fma_f64 v[76:77], v[76:77], v[78:79], v[76:77]
	v_fma_f64 v[78:79], -v[72:73], v[76:77], 1.0
	v_fma_f64 v[76:77], v[76:77], v[78:79], v[76:77]
	v_mul_f64 v[78:79], v[80:81], v[76:77]
	v_fma_f64 v[72:73], -v[72:73], v[78:79], v[80:81]
	v_div_fmas_f64 v[72:73], v[72:73], v[76:77], v[78:79]
	v_div_fixup_f64 v[76:77], v[72:73], v[70:71], 1.0
                                        ; implicit-def: $vgpr70_vgpr71
	v_mul_f64 v[74:75], v[74:75], v[76:77]
	v_xor_b32_e32 v77, 0x80000000, v77
.LBB33_86:
	s_andn2_saveexec_b64 s[2:3], s[2:3]
	s_cbranch_execz .LBB33_88
; %bb.87:
	v_div_scale_f64 v[74:75], s[6:7], v[70:71], v[70:71], v[72:73]
	v_rcp_f64_e32 v[76:77], v[74:75]
	v_fma_f64 v[78:79], -v[74:75], v[76:77], 1.0
	v_fma_f64 v[76:77], v[76:77], v[78:79], v[76:77]
	v_div_scale_f64 v[78:79], vcc, v[72:73], v[70:71], v[72:73]
	v_fma_f64 v[80:81], -v[74:75], v[76:77], 1.0
	v_fma_f64 v[76:77], v[76:77], v[80:81], v[76:77]
	v_mul_f64 v[80:81], v[78:79], v[76:77]
	v_fma_f64 v[74:75], -v[74:75], v[80:81], v[78:79]
	v_div_fmas_f64 v[74:75], v[74:75], v[76:77], v[80:81]
	v_div_fixup_f64 v[76:77], v[74:75], v[70:71], v[72:73]
	v_fma_f64 v[70:71], v[72:73], v[76:77], v[70:71]
	v_div_scale_f64 v[72:73], s[6:7], v[70:71], v[70:71], 1.0
	v_div_scale_f64 v[80:81], vcc, 1.0, v[70:71], 1.0
	v_rcp_f64_e32 v[74:75], v[72:73]
	v_fma_f64 v[78:79], -v[72:73], v[74:75], 1.0
	v_fma_f64 v[74:75], v[74:75], v[78:79], v[74:75]
	v_fma_f64 v[78:79], -v[72:73], v[74:75], 1.0
	v_fma_f64 v[74:75], v[74:75], v[78:79], v[74:75]
	v_mul_f64 v[78:79], v[80:81], v[74:75]
	v_fma_f64 v[72:73], -v[72:73], v[78:79], v[80:81]
	v_div_fmas_f64 v[72:73], v[72:73], v[74:75], v[78:79]
	v_div_fixup_f64 v[74:75], v[72:73], v[70:71], 1.0
	v_mul_f64 v[76:77], v[76:77], -v[74:75]
.LBB33_88:
	s_or_b64 exec, exec, s[2:3]
	ds_write2_b64 v95, v[74:75], v[76:77] offset1:1
.LBB33_89:
	s_or_b64 exec, exec, s[4:5]
	s_waitcnt lgkmcnt(0)
	s_barrier
	ds_read2_b64 v[1:4], v95 offset1:1
	v_cmp_lt_u32_e32 vcc, 9, v0
	s_waitcnt lgkmcnt(0)
	buffer_store_dword v1, off, s[20:23], 0 offset:176 ; 4-byte Folded Spill
	s_nop 0
	buffer_store_dword v2, off, s[20:23], 0 offset:180 ; 4-byte Folded Spill
	buffer_store_dword v3, off, s[20:23], 0 offset:184 ; 4-byte Folded Spill
	;; [unrolled: 1-line block ×3, first 2 shown]
	s_and_saveexec_b64 s[2:3], vcc
	s_cbranch_execz .LBB33_91
; %bb.90:
	buffer_load_dword v1, off, s[20:23], 0 offset:176 ; 4-byte Folded Reload
	buffer_load_dword v2, off, s[20:23], 0 offset:180 ; 4-byte Folded Reload
	;; [unrolled: 1-line block ×4, first 2 shown]
	ds_read2_b64 v[72:75], v84 offset0:20 offset1:21
	s_waitcnt vmcnt(2)
	v_mul_f64 v[70:71], v[1:2], v[28:29]
	s_waitcnt vmcnt(0)
	v_mul_f64 v[28:29], v[3:4], v[28:29]
	v_fma_f64 v[70:71], v[3:4], v[26:27], v[70:71]
	v_fma_f64 v[26:27], v[1:2], v[26:27], -v[28:29]
	s_waitcnt lgkmcnt(0)
	v_mul_f64 v[28:29], v[74:75], v[70:71]
	v_fma_f64 v[28:29], v[72:73], v[26:27], -v[28:29]
	v_mul_f64 v[72:73], v[72:73], v[70:71]
	v_add_f64 v[22:23], v[22:23], -v[28:29]
	v_fma_f64 v[72:73], v[74:75], v[26:27], v[72:73]
	v_add_f64 v[24:25], v[24:25], -v[72:73]
	ds_read2_b64 v[72:75], v84 offset0:22 offset1:23
	s_waitcnt lgkmcnt(0)
	v_mul_f64 v[28:29], v[74:75], v[70:71]
	v_fma_f64 v[28:29], v[72:73], v[26:27], -v[28:29]
	v_mul_f64 v[72:73], v[72:73], v[70:71]
	v_add_f64 v[18:19], v[18:19], -v[28:29]
	v_fma_f64 v[72:73], v[74:75], v[26:27], v[72:73]
	v_add_f64 v[20:21], v[20:21], -v[72:73]
	ds_read2_b64 v[72:75], v84 offset0:24 offset1:25
	;; [unrolled: 8-line block ×6, first 2 shown]
	s_waitcnt lgkmcnt(0)
	v_mul_f64 v[28:29], v[74:75], v[70:71]
	v_fma_f64 v[28:29], v[72:73], v[26:27], -v[28:29]
	v_mul_f64 v[72:73], v[72:73], v[70:71]
	v_add_f64 v[38:39], v[38:39], -v[28:29]
	v_fma_f64 v[72:73], v[74:75], v[26:27], v[72:73]
	v_mov_b32_e32 v28, v70
	v_mov_b32_e32 v29, v71
	v_add_f64 v[40:41], v[40:41], -v[72:73]
.LBB33_91:
	s_or_b64 exec, exec, s[2:3]
	v_cmp_eq_u32_e32 vcc, 10, v0
	s_waitcnt vmcnt(0)
	s_barrier
	s_and_saveexec_b64 s[4:5], vcc
	s_cbranch_execz .LBB33_98
; %bb.92:
	ds_write2_b64 v95, v[22:23], v[24:25] offset1:1
	ds_write2_b64 v84, v[18:19], v[20:21] offset0:22 offset1:23
	ds_write2_b64 v84, v[14:15], v[16:17] offset0:24 offset1:25
	;; [unrolled: 1-line block ×6, first 2 shown]
	ds_read2_b64 v[70:73], v95 offset1:1
	s_waitcnt lgkmcnt(0)
	v_cmp_neq_f64_e32 vcc, 0, v[70:71]
	v_cmp_neq_f64_e64 s[2:3], 0, v[72:73]
	s_or_b64 s[2:3], vcc, s[2:3]
	s_and_b64 exec, exec, s[2:3]
	s_cbranch_execz .LBB33_98
; %bb.93:
	v_cmp_ngt_f64_e64 s[2:3], |v[70:71]|, |v[72:73]|
                                        ; implicit-def: $vgpr74_vgpr75
	s_and_saveexec_b64 s[6:7], s[2:3]
	s_xor_b64 s[2:3], exec, s[6:7]
                                        ; implicit-def: $vgpr76_vgpr77
	s_cbranch_execz .LBB33_95
; %bb.94:
	v_div_scale_f64 v[74:75], s[6:7], v[72:73], v[72:73], v[70:71]
	v_rcp_f64_e32 v[76:77], v[74:75]
	v_fma_f64 v[78:79], -v[74:75], v[76:77], 1.0
	v_fma_f64 v[76:77], v[76:77], v[78:79], v[76:77]
	v_div_scale_f64 v[78:79], vcc, v[70:71], v[72:73], v[70:71]
	v_fma_f64 v[80:81], -v[74:75], v[76:77], 1.0
	v_fma_f64 v[76:77], v[76:77], v[80:81], v[76:77]
	v_mul_f64 v[80:81], v[78:79], v[76:77]
	v_fma_f64 v[74:75], -v[74:75], v[80:81], v[78:79]
	v_div_fmas_f64 v[74:75], v[74:75], v[76:77], v[80:81]
	v_div_fixup_f64 v[74:75], v[74:75], v[72:73], v[70:71]
	v_fma_f64 v[70:71], v[70:71], v[74:75], v[72:73]
	v_div_scale_f64 v[72:73], s[6:7], v[70:71], v[70:71], 1.0
	v_div_scale_f64 v[80:81], vcc, 1.0, v[70:71], 1.0
	v_rcp_f64_e32 v[76:77], v[72:73]
	v_fma_f64 v[78:79], -v[72:73], v[76:77], 1.0
	v_fma_f64 v[76:77], v[76:77], v[78:79], v[76:77]
	v_fma_f64 v[78:79], -v[72:73], v[76:77], 1.0
	v_fma_f64 v[76:77], v[76:77], v[78:79], v[76:77]
	v_mul_f64 v[78:79], v[80:81], v[76:77]
	v_fma_f64 v[72:73], -v[72:73], v[78:79], v[80:81]
	v_div_fmas_f64 v[72:73], v[72:73], v[76:77], v[78:79]
	v_div_fixup_f64 v[76:77], v[72:73], v[70:71], 1.0
                                        ; implicit-def: $vgpr70_vgpr71
	v_mul_f64 v[74:75], v[74:75], v[76:77]
	v_xor_b32_e32 v77, 0x80000000, v77
.LBB33_95:
	s_andn2_saveexec_b64 s[2:3], s[2:3]
	s_cbranch_execz .LBB33_97
; %bb.96:
	v_div_scale_f64 v[74:75], s[6:7], v[70:71], v[70:71], v[72:73]
	v_rcp_f64_e32 v[76:77], v[74:75]
	v_fma_f64 v[78:79], -v[74:75], v[76:77], 1.0
	v_fma_f64 v[76:77], v[76:77], v[78:79], v[76:77]
	v_div_scale_f64 v[78:79], vcc, v[72:73], v[70:71], v[72:73]
	v_fma_f64 v[80:81], -v[74:75], v[76:77], 1.0
	v_fma_f64 v[76:77], v[76:77], v[80:81], v[76:77]
	v_mul_f64 v[80:81], v[78:79], v[76:77]
	v_fma_f64 v[74:75], -v[74:75], v[80:81], v[78:79]
	v_div_fmas_f64 v[74:75], v[74:75], v[76:77], v[80:81]
	v_div_fixup_f64 v[76:77], v[74:75], v[70:71], v[72:73]
	v_fma_f64 v[70:71], v[72:73], v[76:77], v[70:71]
	v_div_scale_f64 v[72:73], s[6:7], v[70:71], v[70:71], 1.0
	v_div_scale_f64 v[80:81], vcc, 1.0, v[70:71], 1.0
	v_rcp_f64_e32 v[74:75], v[72:73]
	v_fma_f64 v[78:79], -v[72:73], v[74:75], 1.0
	v_fma_f64 v[74:75], v[74:75], v[78:79], v[74:75]
	v_fma_f64 v[78:79], -v[72:73], v[74:75], 1.0
	v_fma_f64 v[74:75], v[74:75], v[78:79], v[74:75]
	v_mul_f64 v[78:79], v[80:81], v[74:75]
	v_fma_f64 v[72:73], -v[72:73], v[78:79], v[80:81]
	v_div_fmas_f64 v[72:73], v[72:73], v[74:75], v[78:79]
	v_div_fixup_f64 v[74:75], v[72:73], v[70:71], 1.0
	v_mul_f64 v[76:77], v[76:77], -v[74:75]
.LBB33_97:
	s_or_b64 exec, exec, s[2:3]
	ds_write2_b64 v95, v[74:75], v[76:77] offset1:1
.LBB33_98:
	s_or_b64 exec, exec, s[4:5]
	s_waitcnt lgkmcnt(0)
	s_barrier
	ds_read2_b64 v[1:4], v95 offset1:1
	v_cmp_lt_u32_e32 vcc, 10, v0
	s_waitcnt lgkmcnt(0)
	buffer_store_dword v1, off, s[20:23], 0 offset:192 ; 4-byte Folded Spill
	s_nop 0
	buffer_store_dword v2, off, s[20:23], 0 offset:196 ; 4-byte Folded Spill
	buffer_store_dword v3, off, s[20:23], 0 offset:200 ; 4-byte Folded Spill
	;; [unrolled: 1-line block ×3, first 2 shown]
	s_and_saveexec_b64 s[2:3], vcc
	s_cbranch_execz .LBB33_100
; %bb.99:
	buffer_load_dword v1, off, s[20:23], 0 offset:192 ; 4-byte Folded Reload
	buffer_load_dword v2, off, s[20:23], 0 offset:196 ; 4-byte Folded Reload
	;; [unrolled: 1-line block ×4, first 2 shown]
	ds_read2_b64 v[72:75], v84 offset0:22 offset1:23
	s_waitcnt vmcnt(2)
	v_mul_f64 v[70:71], v[1:2], v[24:25]
	s_waitcnt vmcnt(0)
	v_mul_f64 v[24:25], v[3:4], v[24:25]
	v_fma_f64 v[70:71], v[3:4], v[22:23], v[70:71]
	v_fma_f64 v[22:23], v[1:2], v[22:23], -v[24:25]
	s_waitcnt lgkmcnt(0)
	v_mul_f64 v[24:25], v[74:75], v[70:71]
	v_fma_f64 v[24:25], v[72:73], v[22:23], -v[24:25]
	v_mul_f64 v[72:73], v[72:73], v[70:71]
	v_add_f64 v[18:19], v[18:19], -v[24:25]
	v_fma_f64 v[72:73], v[74:75], v[22:23], v[72:73]
	v_add_f64 v[20:21], v[20:21], -v[72:73]
	ds_read2_b64 v[72:75], v84 offset0:24 offset1:25
	s_waitcnt lgkmcnt(0)
	v_mul_f64 v[24:25], v[74:75], v[70:71]
	v_fma_f64 v[24:25], v[72:73], v[22:23], -v[24:25]
	v_mul_f64 v[72:73], v[72:73], v[70:71]
	v_add_f64 v[14:15], v[14:15], -v[24:25]
	v_fma_f64 v[72:73], v[74:75], v[22:23], v[72:73]
	v_add_f64 v[16:17], v[16:17], -v[72:73]
	ds_read2_b64 v[72:75], v84 offset0:26 offset1:27
	;; [unrolled: 8-line block ×5, first 2 shown]
	s_waitcnt lgkmcnt(0)
	v_mul_f64 v[24:25], v[74:75], v[70:71]
	v_fma_f64 v[24:25], v[72:73], v[22:23], -v[24:25]
	v_mul_f64 v[72:73], v[72:73], v[70:71]
	v_add_f64 v[38:39], v[38:39], -v[24:25]
	v_fma_f64 v[72:73], v[74:75], v[22:23], v[72:73]
	v_mov_b32_e32 v24, v70
	v_mov_b32_e32 v25, v71
	v_add_f64 v[40:41], v[40:41], -v[72:73]
.LBB33_100:
	s_or_b64 exec, exec, s[2:3]
	v_cmp_eq_u32_e32 vcc, 11, v0
	s_waitcnt vmcnt(0)
	s_barrier
	s_and_saveexec_b64 s[4:5], vcc
	s_cbranch_execz .LBB33_107
; %bb.101:
	ds_write2_b64 v95, v[18:19], v[20:21] offset1:1
	ds_write2_b64 v84, v[14:15], v[16:17] offset0:24 offset1:25
	ds_write2_b64 v84, v[10:11], v[12:13] offset0:26 offset1:27
	;; [unrolled: 1-line block ×5, first 2 shown]
	ds_read2_b64 v[70:73], v95 offset1:1
	s_waitcnt lgkmcnt(0)
	v_cmp_neq_f64_e32 vcc, 0, v[70:71]
	v_cmp_neq_f64_e64 s[2:3], 0, v[72:73]
	s_or_b64 s[2:3], vcc, s[2:3]
	s_and_b64 exec, exec, s[2:3]
	s_cbranch_execz .LBB33_107
; %bb.102:
	v_cmp_ngt_f64_e64 s[2:3], |v[70:71]|, |v[72:73]|
                                        ; implicit-def: $vgpr74_vgpr75
	s_and_saveexec_b64 s[6:7], s[2:3]
	s_xor_b64 s[2:3], exec, s[6:7]
                                        ; implicit-def: $vgpr76_vgpr77
	s_cbranch_execz .LBB33_104
; %bb.103:
	v_div_scale_f64 v[74:75], s[6:7], v[72:73], v[72:73], v[70:71]
	v_rcp_f64_e32 v[76:77], v[74:75]
	v_fma_f64 v[78:79], -v[74:75], v[76:77], 1.0
	v_fma_f64 v[76:77], v[76:77], v[78:79], v[76:77]
	v_div_scale_f64 v[78:79], vcc, v[70:71], v[72:73], v[70:71]
	v_fma_f64 v[80:81], -v[74:75], v[76:77], 1.0
	v_fma_f64 v[76:77], v[76:77], v[80:81], v[76:77]
	v_mul_f64 v[80:81], v[78:79], v[76:77]
	v_fma_f64 v[74:75], -v[74:75], v[80:81], v[78:79]
	v_div_fmas_f64 v[74:75], v[74:75], v[76:77], v[80:81]
	v_div_fixup_f64 v[74:75], v[74:75], v[72:73], v[70:71]
	v_fma_f64 v[70:71], v[70:71], v[74:75], v[72:73]
	v_div_scale_f64 v[72:73], s[6:7], v[70:71], v[70:71], 1.0
	v_div_scale_f64 v[80:81], vcc, 1.0, v[70:71], 1.0
	v_rcp_f64_e32 v[76:77], v[72:73]
	v_fma_f64 v[78:79], -v[72:73], v[76:77], 1.0
	v_fma_f64 v[76:77], v[76:77], v[78:79], v[76:77]
	v_fma_f64 v[78:79], -v[72:73], v[76:77], 1.0
	v_fma_f64 v[76:77], v[76:77], v[78:79], v[76:77]
	v_mul_f64 v[78:79], v[80:81], v[76:77]
	v_fma_f64 v[72:73], -v[72:73], v[78:79], v[80:81]
	v_div_fmas_f64 v[72:73], v[72:73], v[76:77], v[78:79]
	v_div_fixup_f64 v[76:77], v[72:73], v[70:71], 1.0
                                        ; implicit-def: $vgpr70_vgpr71
	v_mul_f64 v[74:75], v[74:75], v[76:77]
	v_xor_b32_e32 v77, 0x80000000, v77
.LBB33_104:
	s_andn2_saveexec_b64 s[2:3], s[2:3]
	s_cbranch_execz .LBB33_106
; %bb.105:
	v_div_scale_f64 v[74:75], s[6:7], v[70:71], v[70:71], v[72:73]
	v_rcp_f64_e32 v[76:77], v[74:75]
	v_fma_f64 v[78:79], -v[74:75], v[76:77], 1.0
	v_fma_f64 v[76:77], v[76:77], v[78:79], v[76:77]
	v_div_scale_f64 v[78:79], vcc, v[72:73], v[70:71], v[72:73]
	v_fma_f64 v[80:81], -v[74:75], v[76:77], 1.0
	v_fma_f64 v[76:77], v[76:77], v[80:81], v[76:77]
	v_mul_f64 v[80:81], v[78:79], v[76:77]
	v_fma_f64 v[74:75], -v[74:75], v[80:81], v[78:79]
	v_div_fmas_f64 v[74:75], v[74:75], v[76:77], v[80:81]
	v_div_fixup_f64 v[76:77], v[74:75], v[70:71], v[72:73]
	v_fma_f64 v[70:71], v[72:73], v[76:77], v[70:71]
	v_div_scale_f64 v[72:73], s[6:7], v[70:71], v[70:71], 1.0
	v_div_scale_f64 v[80:81], vcc, 1.0, v[70:71], 1.0
	v_rcp_f64_e32 v[74:75], v[72:73]
	v_fma_f64 v[78:79], -v[72:73], v[74:75], 1.0
	v_fma_f64 v[74:75], v[74:75], v[78:79], v[74:75]
	v_fma_f64 v[78:79], -v[72:73], v[74:75], 1.0
	v_fma_f64 v[74:75], v[74:75], v[78:79], v[74:75]
	v_mul_f64 v[78:79], v[80:81], v[74:75]
	v_fma_f64 v[72:73], -v[72:73], v[78:79], v[80:81]
	v_div_fmas_f64 v[72:73], v[72:73], v[74:75], v[78:79]
	v_div_fixup_f64 v[74:75], v[72:73], v[70:71], 1.0
	v_mul_f64 v[76:77], v[76:77], -v[74:75]
.LBB33_106:
	s_or_b64 exec, exec, s[2:3]
	ds_write2_b64 v95, v[74:75], v[76:77] offset1:1
.LBB33_107:
	s_or_b64 exec, exec, s[4:5]
	s_waitcnt lgkmcnt(0)
	s_barrier
	ds_read2_b64 v[1:4], v95 offset1:1
	v_cmp_lt_u32_e32 vcc, 11, v0
	s_waitcnt lgkmcnt(0)
	buffer_store_dword v1, off, s[20:23], 0 offset:208 ; 4-byte Folded Spill
	s_nop 0
	buffer_store_dword v2, off, s[20:23], 0 offset:212 ; 4-byte Folded Spill
	buffer_store_dword v3, off, s[20:23], 0 offset:216 ; 4-byte Folded Spill
	;; [unrolled: 1-line block ×3, first 2 shown]
	s_and_saveexec_b64 s[2:3], vcc
	s_cbranch_execz .LBB33_109
; %bb.108:
	buffer_load_dword v1, off, s[20:23], 0 offset:208 ; 4-byte Folded Reload
	buffer_load_dword v2, off, s[20:23], 0 offset:212 ; 4-byte Folded Reload
	;; [unrolled: 1-line block ×4, first 2 shown]
	s_waitcnt vmcnt(2)
	v_mul_f64 v[70:71], v[1:2], v[20:21]
	s_waitcnt vmcnt(0)
	v_mul_f64 v[20:21], v[3:4], v[20:21]
	v_fma_f64 v[74:75], v[3:4], v[18:19], v[70:71]
	ds_read2_b64 v[70:73], v84 offset0:24 offset1:25
	v_fma_f64 v[18:19], v[1:2], v[18:19], -v[20:21]
	s_waitcnt lgkmcnt(0)
	v_mul_f64 v[20:21], v[72:73], v[74:75]
	v_fma_f64 v[20:21], v[70:71], v[18:19], -v[20:21]
	v_mul_f64 v[70:71], v[70:71], v[74:75]
	v_add_f64 v[14:15], v[14:15], -v[20:21]
	v_fma_f64 v[70:71], v[72:73], v[18:19], v[70:71]
	v_add_f64 v[16:17], v[16:17], -v[70:71]
	ds_read2_b64 v[70:73], v84 offset0:26 offset1:27
	s_waitcnt lgkmcnt(0)
	v_mul_f64 v[20:21], v[72:73], v[74:75]
	v_fma_f64 v[20:21], v[70:71], v[18:19], -v[20:21]
	v_mul_f64 v[70:71], v[70:71], v[74:75]
	v_add_f64 v[10:11], v[10:11], -v[20:21]
	v_fma_f64 v[70:71], v[72:73], v[18:19], v[70:71]
	v_add_f64 v[12:13], v[12:13], -v[70:71]
	ds_read2_b64 v[70:73], v84 offset0:28 offset1:29
	;; [unrolled: 8-line block ×4, first 2 shown]
	s_waitcnt lgkmcnt(0)
	v_mul_f64 v[20:21], v[72:73], v[74:75]
	v_fma_f64 v[20:21], v[70:71], v[18:19], -v[20:21]
	v_mul_f64 v[70:71], v[70:71], v[74:75]
	v_add_f64 v[38:39], v[38:39], -v[20:21]
	v_fma_f64 v[70:71], v[72:73], v[18:19], v[70:71]
	v_mov_b32_e32 v20, v74
	v_mov_b32_e32 v21, v75
	v_add_f64 v[40:41], v[40:41], -v[70:71]
.LBB33_109:
	s_or_b64 exec, exec, s[2:3]
	v_cmp_eq_u32_e32 vcc, 12, v0
	s_waitcnt vmcnt(0)
	s_barrier
	s_and_saveexec_b64 s[4:5], vcc
	s_cbranch_execz .LBB33_116
; %bb.110:
	ds_write2_b64 v95, v[14:15], v[16:17] offset1:1
	ds_write2_b64 v84, v[10:11], v[12:13] offset0:26 offset1:27
	ds_write2_b64 v84, v[6:7], v[8:9] offset0:28 offset1:29
	;; [unrolled: 1-line block ×4, first 2 shown]
	ds_read2_b64 v[70:73], v95 offset1:1
	s_waitcnt lgkmcnt(0)
	v_cmp_neq_f64_e32 vcc, 0, v[70:71]
	v_cmp_neq_f64_e64 s[2:3], 0, v[72:73]
	s_or_b64 s[2:3], vcc, s[2:3]
	s_and_b64 exec, exec, s[2:3]
	s_cbranch_execz .LBB33_116
; %bb.111:
	v_cmp_ngt_f64_e64 s[2:3], |v[70:71]|, |v[72:73]|
                                        ; implicit-def: $vgpr74_vgpr75
	s_and_saveexec_b64 s[6:7], s[2:3]
	s_xor_b64 s[2:3], exec, s[6:7]
                                        ; implicit-def: $vgpr76_vgpr77
	s_cbranch_execz .LBB33_113
; %bb.112:
	v_div_scale_f64 v[74:75], s[6:7], v[72:73], v[72:73], v[70:71]
	v_rcp_f64_e32 v[76:77], v[74:75]
	v_fma_f64 v[78:79], -v[74:75], v[76:77], 1.0
	v_fma_f64 v[76:77], v[76:77], v[78:79], v[76:77]
	v_div_scale_f64 v[78:79], vcc, v[70:71], v[72:73], v[70:71]
	v_fma_f64 v[80:81], -v[74:75], v[76:77], 1.0
	v_fma_f64 v[76:77], v[76:77], v[80:81], v[76:77]
	v_mul_f64 v[80:81], v[78:79], v[76:77]
	v_fma_f64 v[74:75], -v[74:75], v[80:81], v[78:79]
	v_div_fmas_f64 v[74:75], v[74:75], v[76:77], v[80:81]
	v_div_fixup_f64 v[74:75], v[74:75], v[72:73], v[70:71]
	v_fma_f64 v[70:71], v[70:71], v[74:75], v[72:73]
	v_div_scale_f64 v[72:73], s[6:7], v[70:71], v[70:71], 1.0
	v_div_scale_f64 v[80:81], vcc, 1.0, v[70:71], 1.0
	v_rcp_f64_e32 v[76:77], v[72:73]
	v_fma_f64 v[78:79], -v[72:73], v[76:77], 1.0
	v_fma_f64 v[76:77], v[76:77], v[78:79], v[76:77]
	v_fma_f64 v[78:79], -v[72:73], v[76:77], 1.0
	v_fma_f64 v[76:77], v[76:77], v[78:79], v[76:77]
	v_mul_f64 v[78:79], v[80:81], v[76:77]
	v_fma_f64 v[72:73], -v[72:73], v[78:79], v[80:81]
	v_div_fmas_f64 v[72:73], v[72:73], v[76:77], v[78:79]
	v_div_fixup_f64 v[76:77], v[72:73], v[70:71], 1.0
                                        ; implicit-def: $vgpr70_vgpr71
	v_mul_f64 v[74:75], v[74:75], v[76:77]
	v_xor_b32_e32 v77, 0x80000000, v77
.LBB33_113:
	s_andn2_saveexec_b64 s[2:3], s[2:3]
	s_cbranch_execz .LBB33_115
; %bb.114:
	v_div_scale_f64 v[74:75], s[6:7], v[70:71], v[70:71], v[72:73]
	v_rcp_f64_e32 v[76:77], v[74:75]
	v_fma_f64 v[78:79], -v[74:75], v[76:77], 1.0
	v_fma_f64 v[76:77], v[76:77], v[78:79], v[76:77]
	v_div_scale_f64 v[78:79], vcc, v[72:73], v[70:71], v[72:73]
	v_fma_f64 v[80:81], -v[74:75], v[76:77], 1.0
	v_fma_f64 v[76:77], v[76:77], v[80:81], v[76:77]
	v_mul_f64 v[80:81], v[78:79], v[76:77]
	v_fma_f64 v[74:75], -v[74:75], v[80:81], v[78:79]
	v_div_fmas_f64 v[74:75], v[74:75], v[76:77], v[80:81]
	v_div_fixup_f64 v[76:77], v[74:75], v[70:71], v[72:73]
	v_fma_f64 v[70:71], v[72:73], v[76:77], v[70:71]
	v_div_scale_f64 v[72:73], s[6:7], v[70:71], v[70:71], 1.0
	v_div_scale_f64 v[80:81], vcc, 1.0, v[70:71], 1.0
	v_rcp_f64_e32 v[74:75], v[72:73]
	v_fma_f64 v[78:79], -v[72:73], v[74:75], 1.0
	v_fma_f64 v[74:75], v[74:75], v[78:79], v[74:75]
	v_fma_f64 v[78:79], -v[72:73], v[74:75], 1.0
	v_fma_f64 v[74:75], v[74:75], v[78:79], v[74:75]
	v_mul_f64 v[78:79], v[80:81], v[74:75]
	v_fma_f64 v[72:73], -v[72:73], v[78:79], v[80:81]
	v_div_fmas_f64 v[72:73], v[72:73], v[74:75], v[78:79]
	v_div_fixup_f64 v[74:75], v[72:73], v[70:71], 1.0
	v_mul_f64 v[76:77], v[76:77], -v[74:75]
.LBB33_115:
	s_or_b64 exec, exec, s[2:3]
	ds_write2_b64 v95, v[74:75], v[76:77] offset1:1
.LBB33_116:
	s_or_b64 exec, exec, s[4:5]
	s_waitcnt lgkmcnt(0)
	s_barrier
	ds_read2_b64 v[1:4], v95 offset1:1
	v_cmp_lt_u32_e32 vcc, 12, v0
	s_waitcnt lgkmcnt(0)
	buffer_store_dword v1, off, s[20:23], 0 offset:224 ; 4-byte Folded Spill
	s_nop 0
	buffer_store_dword v2, off, s[20:23], 0 offset:228 ; 4-byte Folded Spill
	buffer_store_dword v3, off, s[20:23], 0 offset:232 ; 4-byte Folded Spill
	;; [unrolled: 1-line block ×3, first 2 shown]
	s_and_saveexec_b64 s[2:3], vcc
	s_cbranch_execz .LBB33_118
; %bb.117:
	buffer_load_dword v1, off, s[20:23], 0 offset:224 ; 4-byte Folded Reload
	buffer_load_dword v2, off, s[20:23], 0 offset:228 ; 4-byte Folded Reload
	;; [unrolled: 1-line block ×4, first 2 shown]
	s_waitcnt vmcnt(2)
	v_mul_f64 v[70:71], v[1:2], v[16:17]
	s_waitcnt vmcnt(0)
	v_mul_f64 v[16:17], v[3:4], v[16:17]
	v_fma_f64 v[74:75], v[3:4], v[14:15], v[70:71]
	ds_read2_b64 v[70:73], v84 offset0:26 offset1:27
	v_fma_f64 v[14:15], v[1:2], v[14:15], -v[16:17]
	s_waitcnt lgkmcnt(0)
	v_mul_f64 v[16:17], v[72:73], v[74:75]
	v_fma_f64 v[16:17], v[70:71], v[14:15], -v[16:17]
	v_mul_f64 v[70:71], v[70:71], v[74:75]
	v_add_f64 v[10:11], v[10:11], -v[16:17]
	v_fma_f64 v[70:71], v[72:73], v[14:15], v[70:71]
	v_add_f64 v[12:13], v[12:13], -v[70:71]
	ds_read2_b64 v[70:73], v84 offset0:28 offset1:29
	s_waitcnt lgkmcnt(0)
	v_mul_f64 v[16:17], v[72:73], v[74:75]
	v_fma_f64 v[16:17], v[70:71], v[14:15], -v[16:17]
	v_mul_f64 v[70:71], v[70:71], v[74:75]
	v_add_f64 v[6:7], v[6:7], -v[16:17]
	v_fma_f64 v[70:71], v[72:73], v[14:15], v[70:71]
	v_add_f64 v[8:9], v[8:9], -v[70:71]
	ds_read2_b64 v[70:73], v84 offset0:30 offset1:31
	;; [unrolled: 8-line block ×3, first 2 shown]
	s_waitcnt lgkmcnt(0)
	v_mul_f64 v[16:17], v[72:73], v[74:75]
	v_fma_f64 v[16:17], v[70:71], v[14:15], -v[16:17]
	v_mul_f64 v[70:71], v[70:71], v[74:75]
	v_add_f64 v[38:39], v[38:39], -v[16:17]
	v_fma_f64 v[70:71], v[72:73], v[14:15], v[70:71]
	v_mov_b32_e32 v16, v74
	v_mov_b32_e32 v17, v75
	v_add_f64 v[40:41], v[40:41], -v[70:71]
.LBB33_118:
	s_or_b64 exec, exec, s[2:3]
	v_cmp_eq_u32_e32 vcc, 13, v0
	s_waitcnt vmcnt(0)
	s_barrier
	s_and_saveexec_b64 s[4:5], vcc
	s_cbranch_execz .LBB33_125
; %bb.119:
	ds_write2_b64 v95, v[10:11], v[12:13] offset1:1
	ds_write2_b64 v84, v[6:7], v[8:9] offset0:28 offset1:29
	ds_write2_b64 v84, v[30:31], v[32:33] offset0:30 offset1:31
	;; [unrolled: 1-line block ×3, first 2 shown]
	ds_read2_b64 v[70:73], v95 offset1:1
	s_waitcnt lgkmcnt(0)
	v_cmp_neq_f64_e32 vcc, 0, v[70:71]
	v_cmp_neq_f64_e64 s[2:3], 0, v[72:73]
	s_or_b64 s[2:3], vcc, s[2:3]
	s_and_b64 exec, exec, s[2:3]
	s_cbranch_execz .LBB33_125
; %bb.120:
	v_cmp_ngt_f64_e64 s[2:3], |v[70:71]|, |v[72:73]|
                                        ; implicit-def: $vgpr74_vgpr75
	s_and_saveexec_b64 s[6:7], s[2:3]
	s_xor_b64 s[2:3], exec, s[6:7]
                                        ; implicit-def: $vgpr76_vgpr77
	s_cbranch_execz .LBB33_122
; %bb.121:
	v_div_scale_f64 v[74:75], s[6:7], v[72:73], v[72:73], v[70:71]
	v_rcp_f64_e32 v[76:77], v[74:75]
	v_fma_f64 v[78:79], -v[74:75], v[76:77], 1.0
	v_fma_f64 v[76:77], v[76:77], v[78:79], v[76:77]
	v_div_scale_f64 v[78:79], vcc, v[70:71], v[72:73], v[70:71]
	v_fma_f64 v[80:81], -v[74:75], v[76:77], 1.0
	v_fma_f64 v[76:77], v[76:77], v[80:81], v[76:77]
	v_mul_f64 v[80:81], v[78:79], v[76:77]
	v_fma_f64 v[74:75], -v[74:75], v[80:81], v[78:79]
	v_div_fmas_f64 v[74:75], v[74:75], v[76:77], v[80:81]
	v_div_fixup_f64 v[74:75], v[74:75], v[72:73], v[70:71]
	v_fma_f64 v[70:71], v[70:71], v[74:75], v[72:73]
	v_div_scale_f64 v[72:73], s[6:7], v[70:71], v[70:71], 1.0
	v_div_scale_f64 v[80:81], vcc, 1.0, v[70:71], 1.0
	v_rcp_f64_e32 v[76:77], v[72:73]
	v_fma_f64 v[78:79], -v[72:73], v[76:77], 1.0
	v_fma_f64 v[76:77], v[76:77], v[78:79], v[76:77]
	v_fma_f64 v[78:79], -v[72:73], v[76:77], 1.0
	v_fma_f64 v[76:77], v[76:77], v[78:79], v[76:77]
	v_mul_f64 v[78:79], v[80:81], v[76:77]
	v_fma_f64 v[72:73], -v[72:73], v[78:79], v[80:81]
	v_div_fmas_f64 v[72:73], v[72:73], v[76:77], v[78:79]
	v_div_fixup_f64 v[76:77], v[72:73], v[70:71], 1.0
                                        ; implicit-def: $vgpr70_vgpr71
	v_mul_f64 v[74:75], v[74:75], v[76:77]
	v_xor_b32_e32 v77, 0x80000000, v77
.LBB33_122:
	s_andn2_saveexec_b64 s[2:3], s[2:3]
	s_cbranch_execz .LBB33_124
; %bb.123:
	v_div_scale_f64 v[74:75], s[6:7], v[70:71], v[70:71], v[72:73]
	v_rcp_f64_e32 v[76:77], v[74:75]
	v_fma_f64 v[78:79], -v[74:75], v[76:77], 1.0
	v_fma_f64 v[76:77], v[76:77], v[78:79], v[76:77]
	v_div_scale_f64 v[78:79], vcc, v[72:73], v[70:71], v[72:73]
	v_fma_f64 v[80:81], -v[74:75], v[76:77], 1.0
	v_fma_f64 v[76:77], v[76:77], v[80:81], v[76:77]
	v_mul_f64 v[80:81], v[78:79], v[76:77]
	v_fma_f64 v[74:75], -v[74:75], v[80:81], v[78:79]
	v_div_fmas_f64 v[74:75], v[74:75], v[76:77], v[80:81]
	v_div_fixup_f64 v[76:77], v[74:75], v[70:71], v[72:73]
	v_fma_f64 v[70:71], v[72:73], v[76:77], v[70:71]
	v_div_scale_f64 v[72:73], s[6:7], v[70:71], v[70:71], 1.0
	v_div_scale_f64 v[80:81], vcc, 1.0, v[70:71], 1.0
	v_rcp_f64_e32 v[74:75], v[72:73]
	v_fma_f64 v[78:79], -v[72:73], v[74:75], 1.0
	v_fma_f64 v[74:75], v[74:75], v[78:79], v[74:75]
	v_fma_f64 v[78:79], -v[72:73], v[74:75], 1.0
	v_fma_f64 v[74:75], v[74:75], v[78:79], v[74:75]
	v_mul_f64 v[78:79], v[80:81], v[74:75]
	v_fma_f64 v[72:73], -v[72:73], v[78:79], v[80:81]
	v_div_fmas_f64 v[72:73], v[72:73], v[74:75], v[78:79]
	v_div_fixup_f64 v[74:75], v[72:73], v[70:71], 1.0
	v_mul_f64 v[76:77], v[76:77], -v[74:75]
.LBB33_124:
	s_or_b64 exec, exec, s[2:3]
	ds_write2_b64 v95, v[74:75], v[76:77] offset1:1
.LBB33_125:
	s_or_b64 exec, exec, s[4:5]
	s_waitcnt lgkmcnt(0)
	s_barrier
	ds_read2_b64 v[122:125], v95 offset1:1
	v_cmp_lt_u32_e32 vcc, 13, v0
	s_and_saveexec_b64 s[2:3], vcc
	s_cbranch_execz .LBB33_127
; %bb.126:
	s_waitcnt lgkmcnt(0)
	v_mul_f64 v[70:71], v[122:123], v[12:13]
	v_mul_f64 v[12:13], v[124:125], v[12:13]
	v_fma_f64 v[74:75], v[124:125], v[10:11], v[70:71]
	ds_read2_b64 v[70:73], v84 offset0:28 offset1:29
	v_fma_f64 v[10:11], v[122:123], v[10:11], -v[12:13]
	s_waitcnt lgkmcnt(0)
	v_mul_f64 v[12:13], v[72:73], v[74:75]
	v_fma_f64 v[12:13], v[70:71], v[10:11], -v[12:13]
	v_mul_f64 v[70:71], v[70:71], v[74:75]
	v_add_f64 v[6:7], v[6:7], -v[12:13]
	v_fma_f64 v[70:71], v[72:73], v[10:11], v[70:71]
	v_add_f64 v[8:9], v[8:9], -v[70:71]
	ds_read2_b64 v[70:73], v84 offset0:30 offset1:31
	s_waitcnt lgkmcnt(0)
	v_mul_f64 v[12:13], v[72:73], v[74:75]
	v_fma_f64 v[12:13], v[70:71], v[10:11], -v[12:13]
	v_mul_f64 v[70:71], v[70:71], v[74:75]
	v_add_f64 v[30:31], v[30:31], -v[12:13]
	v_fma_f64 v[70:71], v[72:73], v[10:11], v[70:71]
	v_add_f64 v[32:33], v[32:33], -v[70:71]
	ds_read2_b64 v[70:73], v84 offset0:32 offset1:33
	s_waitcnt lgkmcnt(0)
	v_mul_f64 v[12:13], v[72:73], v[74:75]
	v_fma_f64 v[12:13], v[70:71], v[10:11], -v[12:13]
	v_mul_f64 v[70:71], v[70:71], v[74:75]
	v_add_f64 v[38:39], v[38:39], -v[12:13]
	v_fma_f64 v[70:71], v[72:73], v[10:11], v[70:71]
	v_mov_b32_e32 v12, v74
	v_mov_b32_e32 v13, v75
	v_add_f64 v[40:41], v[40:41], -v[70:71]
.LBB33_127:
	s_or_b64 exec, exec, s[2:3]
	v_cmp_eq_u32_e32 vcc, 14, v0
	s_waitcnt lgkmcnt(0)
	s_barrier
	s_and_saveexec_b64 s[4:5], vcc
	s_cbranch_execz .LBB33_134
; %bb.128:
	ds_write2_b64 v95, v[6:7], v[8:9] offset1:1
	ds_write2_b64 v84, v[30:31], v[32:33] offset0:30 offset1:31
	ds_write2_b64 v84, v[38:39], v[40:41] offset0:32 offset1:33
	ds_read2_b64 v[70:73], v95 offset1:1
	s_waitcnt lgkmcnt(0)
	v_cmp_neq_f64_e32 vcc, 0, v[70:71]
	v_cmp_neq_f64_e64 s[2:3], 0, v[72:73]
	s_or_b64 s[2:3], vcc, s[2:3]
	s_and_b64 exec, exec, s[2:3]
	s_cbranch_execz .LBB33_134
; %bb.129:
	v_cmp_ngt_f64_e64 s[2:3], |v[70:71]|, |v[72:73]|
                                        ; implicit-def: $vgpr74_vgpr75
	s_and_saveexec_b64 s[6:7], s[2:3]
	s_xor_b64 s[2:3], exec, s[6:7]
                                        ; implicit-def: $vgpr76_vgpr77
	s_cbranch_execz .LBB33_131
; %bb.130:
	v_div_scale_f64 v[74:75], s[6:7], v[72:73], v[72:73], v[70:71]
	v_rcp_f64_e32 v[76:77], v[74:75]
	v_fma_f64 v[78:79], -v[74:75], v[76:77], 1.0
	v_fma_f64 v[76:77], v[76:77], v[78:79], v[76:77]
	v_div_scale_f64 v[78:79], vcc, v[70:71], v[72:73], v[70:71]
	v_fma_f64 v[80:81], -v[74:75], v[76:77], 1.0
	v_fma_f64 v[76:77], v[76:77], v[80:81], v[76:77]
	v_mul_f64 v[80:81], v[78:79], v[76:77]
	v_fma_f64 v[74:75], -v[74:75], v[80:81], v[78:79]
	v_div_fmas_f64 v[74:75], v[74:75], v[76:77], v[80:81]
	v_div_fixup_f64 v[74:75], v[74:75], v[72:73], v[70:71]
	v_fma_f64 v[70:71], v[70:71], v[74:75], v[72:73]
	v_div_scale_f64 v[72:73], s[6:7], v[70:71], v[70:71], 1.0
	v_div_scale_f64 v[80:81], vcc, 1.0, v[70:71], 1.0
	v_rcp_f64_e32 v[76:77], v[72:73]
	v_fma_f64 v[78:79], -v[72:73], v[76:77], 1.0
	v_fma_f64 v[76:77], v[76:77], v[78:79], v[76:77]
	v_fma_f64 v[78:79], -v[72:73], v[76:77], 1.0
	v_fma_f64 v[76:77], v[76:77], v[78:79], v[76:77]
	v_mul_f64 v[78:79], v[80:81], v[76:77]
	v_fma_f64 v[72:73], -v[72:73], v[78:79], v[80:81]
	v_div_fmas_f64 v[72:73], v[72:73], v[76:77], v[78:79]
	v_div_fixup_f64 v[76:77], v[72:73], v[70:71], 1.0
                                        ; implicit-def: $vgpr70_vgpr71
	v_mul_f64 v[74:75], v[74:75], v[76:77]
	v_xor_b32_e32 v77, 0x80000000, v77
.LBB33_131:
	s_andn2_saveexec_b64 s[2:3], s[2:3]
	s_cbranch_execz .LBB33_133
; %bb.132:
	v_div_scale_f64 v[74:75], s[6:7], v[70:71], v[70:71], v[72:73]
	v_rcp_f64_e32 v[76:77], v[74:75]
	v_fma_f64 v[78:79], -v[74:75], v[76:77], 1.0
	v_fma_f64 v[76:77], v[76:77], v[78:79], v[76:77]
	v_div_scale_f64 v[78:79], vcc, v[72:73], v[70:71], v[72:73]
	v_fma_f64 v[80:81], -v[74:75], v[76:77], 1.0
	v_fma_f64 v[76:77], v[76:77], v[80:81], v[76:77]
	v_mul_f64 v[80:81], v[78:79], v[76:77]
	v_fma_f64 v[74:75], -v[74:75], v[80:81], v[78:79]
	v_div_fmas_f64 v[74:75], v[74:75], v[76:77], v[80:81]
	v_div_fixup_f64 v[76:77], v[74:75], v[70:71], v[72:73]
	v_fma_f64 v[70:71], v[72:73], v[76:77], v[70:71]
	v_div_scale_f64 v[72:73], s[6:7], v[70:71], v[70:71], 1.0
	v_div_scale_f64 v[80:81], vcc, 1.0, v[70:71], 1.0
	v_rcp_f64_e32 v[74:75], v[72:73]
	v_fma_f64 v[78:79], -v[72:73], v[74:75], 1.0
	v_fma_f64 v[74:75], v[74:75], v[78:79], v[74:75]
	v_fma_f64 v[78:79], -v[72:73], v[74:75], 1.0
	v_fma_f64 v[74:75], v[74:75], v[78:79], v[74:75]
	v_mul_f64 v[78:79], v[80:81], v[74:75]
	v_fma_f64 v[72:73], -v[72:73], v[78:79], v[80:81]
	v_div_fmas_f64 v[72:73], v[72:73], v[74:75], v[78:79]
	v_div_fixup_f64 v[74:75], v[72:73], v[70:71], 1.0
	v_mul_f64 v[76:77], v[76:77], -v[74:75]
.LBB33_133:
	s_or_b64 exec, exec, s[2:3]
	ds_write2_b64 v95, v[74:75], v[76:77] offset1:1
.LBB33_134:
	s_or_b64 exec, exec, s[4:5]
	s_waitcnt lgkmcnt(0)
	s_barrier
	ds_read2_b64 v[74:77], v95 offset1:1
	v_cmp_lt_u32_e32 vcc, 14, v0
	s_and_saveexec_b64 s[2:3], vcc
	s_cbranch_execz .LBB33_136
; %bb.135:
	s_waitcnt lgkmcnt(0)
	v_mul_f64 v[70:71], v[74:75], v[8:9]
	v_mul_f64 v[8:9], v[76:77], v[8:9]
	v_fma_f64 v[78:79], v[76:77], v[6:7], v[70:71]
	ds_read2_b64 v[70:73], v84 offset0:30 offset1:31
	v_fma_f64 v[6:7], v[74:75], v[6:7], -v[8:9]
	s_waitcnt lgkmcnt(0)
	v_mul_f64 v[8:9], v[72:73], v[78:79]
	v_fma_f64 v[8:9], v[70:71], v[6:7], -v[8:9]
	v_mul_f64 v[70:71], v[70:71], v[78:79]
	v_add_f64 v[30:31], v[30:31], -v[8:9]
	v_fma_f64 v[70:71], v[72:73], v[6:7], v[70:71]
	v_add_f64 v[32:33], v[32:33], -v[70:71]
	ds_read2_b64 v[70:73], v84 offset0:32 offset1:33
	s_waitcnt lgkmcnt(0)
	v_mul_f64 v[8:9], v[72:73], v[78:79]
	v_fma_f64 v[8:9], v[70:71], v[6:7], -v[8:9]
	v_mul_f64 v[70:71], v[70:71], v[78:79]
	v_add_f64 v[38:39], v[38:39], -v[8:9]
	v_fma_f64 v[70:71], v[72:73], v[6:7], v[70:71]
	v_mov_b32_e32 v8, v78
	v_mov_b32_e32 v9, v79
	v_add_f64 v[40:41], v[40:41], -v[70:71]
.LBB33_136:
	s_or_b64 exec, exec, s[2:3]
	v_cmp_eq_u32_e32 vcc, 15, v0
	s_waitcnt lgkmcnt(0)
	s_barrier
	s_and_saveexec_b64 s[4:5], vcc
	s_cbranch_execz .LBB33_143
; %bb.137:
	ds_write2_b64 v95, v[30:31], v[32:33] offset1:1
	ds_write2_b64 v84, v[38:39], v[40:41] offset0:32 offset1:33
	ds_read2_b64 v[70:73], v95 offset1:1
	s_waitcnt lgkmcnt(0)
	v_cmp_neq_f64_e32 vcc, 0, v[70:71]
	v_cmp_neq_f64_e64 s[2:3], 0, v[72:73]
	s_or_b64 s[2:3], vcc, s[2:3]
	s_and_b64 exec, exec, s[2:3]
	s_cbranch_execz .LBB33_143
; %bb.138:
	v_cmp_ngt_f64_e64 s[2:3], |v[70:71]|, |v[72:73]|
                                        ; implicit-def: $vgpr78_vgpr79
	s_and_saveexec_b64 s[6:7], s[2:3]
	s_xor_b64 s[2:3], exec, s[6:7]
                                        ; implicit-def: $vgpr80_vgpr81
	s_cbranch_execz .LBB33_140
; %bb.139:
	v_div_scale_f64 v[78:79], s[6:7], v[72:73], v[72:73], v[70:71]
	v_mov_b32_e32 v65, v63
	v_mov_b32_e32 v64, v62
	;; [unrolled: 1-line block ×4, first 2 shown]
	v_rcp_f64_e32 v[80:81], v[78:79]
	v_fma_f64 v[85:86], -v[78:79], v[80:81], 1.0
	v_fma_f64 v[80:81], v[80:81], v[85:86], v[80:81]
	v_div_scale_f64 v[85:86], vcc, v[70:71], v[72:73], v[70:71]
	v_fma_f64 v[87:88], -v[78:79], v[80:81], 1.0
	v_fma_f64 v[80:81], v[80:81], v[87:88], v[80:81]
	v_mul_f64 v[87:88], v[85:86], v[80:81]
	v_fma_f64 v[78:79], -v[78:79], v[87:88], v[85:86]
	v_div_fmas_f64 v[78:79], v[78:79], v[80:81], v[87:88]
	v_div_fixup_f64 v[78:79], v[78:79], v[72:73], v[70:71]
	v_fma_f64 v[70:71], v[70:71], v[78:79], v[72:73]
	v_div_scale_f64 v[72:73], s[6:7], v[70:71], v[70:71], 1.0
	v_div_scale_f64 v[87:88], vcc, 1.0, v[70:71], 1.0
	v_rcp_f64_e32 v[80:81], v[72:73]
	v_fma_f64 v[85:86], -v[72:73], v[80:81], 1.0
	v_fma_f64 v[80:81], v[80:81], v[85:86], v[80:81]
	v_fma_f64 v[85:86], -v[72:73], v[80:81], 1.0
	v_fma_f64 v[80:81], v[80:81], v[85:86], v[80:81]
	v_mul_f64 v[85:86], v[87:88], v[80:81]
	v_fma_f64 v[72:73], -v[72:73], v[85:86], v[87:88]
	v_mov_b32_e32 v88, v63
	v_mov_b32_e32 v87, v62
	;; [unrolled: 1-line block ×4, first 2 shown]
	v_div_fmas_f64 v[72:73], v[72:73], v[80:81], v[85:86]
	v_div_fixup_f64 v[80:81], v[72:73], v[70:71], 1.0
                                        ; implicit-def: $vgpr70_vgpr71
	v_mul_f64 v[78:79], v[78:79], v[80:81]
	v_xor_b32_e32 v81, 0x80000000, v81
.LBB33_140:
	s_andn2_saveexec_b64 s[2:3], s[2:3]
	s_cbranch_execz .LBB33_142
; %bb.141:
	v_div_scale_f64 v[78:79], s[6:7], v[70:71], v[70:71], v[72:73]
	v_mov_b32_e32 v65, v63
	v_mov_b32_e32 v64, v62
	;; [unrolled: 1-line block ×4, first 2 shown]
	v_rcp_f64_e32 v[80:81], v[78:79]
	v_fma_f64 v[85:86], -v[78:79], v[80:81], 1.0
	v_fma_f64 v[80:81], v[80:81], v[85:86], v[80:81]
	v_div_scale_f64 v[85:86], vcc, v[72:73], v[70:71], v[72:73]
	v_fma_f64 v[87:88], -v[78:79], v[80:81], 1.0
	v_fma_f64 v[80:81], v[80:81], v[87:88], v[80:81]
	v_mul_f64 v[87:88], v[85:86], v[80:81]
	v_fma_f64 v[78:79], -v[78:79], v[87:88], v[85:86]
	v_div_fmas_f64 v[78:79], v[78:79], v[80:81], v[87:88]
	v_div_fixup_f64 v[80:81], v[78:79], v[70:71], v[72:73]
	v_fma_f64 v[70:71], v[72:73], v[80:81], v[70:71]
	v_div_scale_f64 v[72:73], s[6:7], v[70:71], v[70:71], 1.0
	v_div_scale_f64 v[87:88], vcc, 1.0, v[70:71], 1.0
	v_rcp_f64_e32 v[78:79], v[72:73]
	v_fma_f64 v[85:86], -v[72:73], v[78:79], 1.0
	v_fma_f64 v[78:79], v[78:79], v[85:86], v[78:79]
	v_fma_f64 v[85:86], -v[72:73], v[78:79], 1.0
	v_fma_f64 v[78:79], v[78:79], v[85:86], v[78:79]
	v_mul_f64 v[85:86], v[87:88], v[78:79]
	v_fma_f64 v[72:73], -v[72:73], v[85:86], v[87:88]
	v_mov_b32_e32 v88, v63
	v_mov_b32_e32 v87, v62
	;; [unrolled: 1-line block ×4, first 2 shown]
	v_div_fmas_f64 v[72:73], v[72:73], v[78:79], v[85:86]
	v_div_fixup_f64 v[78:79], v[72:73], v[70:71], 1.0
	v_mul_f64 v[80:81], v[80:81], -v[78:79]
.LBB33_142:
	s_or_b64 exec, exec, s[2:3]
	ds_write2_b64 v95, v[78:79], v[80:81] offset1:1
.LBB33_143:
	s_or_b64 exec, exec, s[4:5]
	s_waitcnt lgkmcnt(0)
	s_barrier
	ds_read2_b64 v[78:81], v95 offset1:1
	v_cmp_lt_u32_e32 vcc, 15, v0
	s_and_saveexec_b64 s[2:3], vcc
	s_cbranch_execz .LBB33_145
; %bb.144:
	s_waitcnt lgkmcnt(0)
	v_mul_f64 v[70:71], v[78:79], v[32:33]
	v_mul_f64 v[4:5], v[80:81], v[32:33]
	v_fma_f64 v[85:86], v[80:81], v[30:31], v[70:71]
	ds_read2_b64 v[70:73], v84 offset0:32 offset1:33
	v_fma_f64 v[30:31], v[78:79], v[30:31], -v[4:5]
	s_waitcnt lgkmcnt(0)
	v_mul_f64 v[4:5], v[72:73], v[85:86]
	v_mov_b32_e32 v32, v85
	v_mov_b32_e32 v33, v86
	v_fma_f64 v[4:5], v[70:71], v[30:31], -v[4:5]
	v_mul_f64 v[70:71], v[70:71], v[85:86]
	v_add_f64 v[38:39], v[38:39], -v[4:5]
	v_fma_f64 v[70:71], v[72:73], v[30:31], v[70:71]
	v_add_f64 v[40:41], v[40:41], -v[70:71]
.LBB33_145:
	s_or_b64 exec, exec, s[2:3]
	v_cmp_eq_u32_e32 vcc, 16, v0
	s_waitcnt lgkmcnt(0)
	s_barrier
	s_and_saveexec_b64 s[4:5], vcc
	s_cbranch_execz .LBB33_152
; %bb.146:
	v_cmp_neq_f64_e32 vcc, 0, v[38:39]
	v_cmp_neq_f64_e64 s[2:3], 0, v[40:41]
	ds_write2_b64 v95, v[38:39], v[40:41] offset1:1
	s_or_b64 s[2:3], vcc, s[2:3]
	s_and_b64 exec, exec, s[2:3]
	s_cbranch_execz .LBB33_152
; %bb.147:
	v_cmp_ngt_f64_e64 s[2:3], |v[38:39]|, |v[40:41]|
                                        ; implicit-def: $vgpr70_vgpr71
	s_and_saveexec_b64 s[6:7], s[2:3]
	s_xor_b64 s[2:3], exec, s[6:7]
                                        ; implicit-def: $vgpr72_vgpr73
	s_cbranch_execz .LBB33_149
; %bb.148:
	v_div_scale_f64 v[70:71], s[6:7], v[40:41], v[40:41], v[38:39]
	v_mov_b32_e32 v65, v63
	v_mov_b32_e32 v64, v62
	;; [unrolled: 1-line block ×14, first 2 shown]
	v_rcp_f64_e32 v[72:73], v[70:71]
	v_mov_b32_e32 v12, v16
	v_mov_b32_e32 v13, v17
	;; [unrolled: 1-line block ×15, first 2 shown]
	v_fma_f64 v[84:85], -v[70:71], v[72:73], 1.0
	v_mov_b32_e32 v27, v118
	v_mov_b32_e32 v28, v119
	;; [unrolled: 1-line block ×7, first 2 shown]
	v_fma_f64 v[72:73], v[72:73], v[84:85], v[72:73]
	v_div_scale_f64 v[84:85], vcc, v[38:39], v[40:41], v[38:39]
	v_mov_b32_e32 v34, v42
	v_mov_b32_e32 v35, v43
	;; [unrolled: 1-line block ×5, first 2 shown]
	v_fma_f64 v[86:87], -v[70:71], v[72:73], 1.0
	v_mov_b32_e32 v43, v47
	v_mov_b32_e32 v44, v48
	;; [unrolled: 1-line block ×7, first 2 shown]
	v_fma_f64 v[72:73], v[72:73], v[86:87], v[72:73]
	v_mov_b32_e32 v50, v54
	v_mov_b32_e32 v51, v55
	;; [unrolled: 1-line block ×7, first 2 shown]
	v_mul_f64 v[86:87], v[84:85], v[72:73]
	v_mov_b32_e32 v57, v92
	v_mov_b32_e32 v93, v33
	;; [unrolled: 1-line block ×7, first 2 shown]
	v_fma_f64 v[70:71], -v[70:71], v[86:87], v[84:85]
	v_mov_b32_e32 v32, v115
	v_mov_b32_e32 v33, v116
	;; [unrolled: 1-line block ×7, first 2 shown]
	v_div_fmas_f64 v[70:71], v[70:71], v[72:73], v[86:87]
	v_mov_b32_e32 v59, v69
	v_mov_b32_e32 v69, v67
	;; [unrolled: 1-line block ×15, first 2 shown]
	v_div_fixup_f64 v[70:71], v[70:71], v[40:41], v[38:39]
	v_mov_b32_e32 v103, v100
	v_mov_b32_e32 v102, v99
	;; [unrolled: 1-line block ×6, first 2 shown]
	v_fma_f64 v[72:73], v[38:39], v[70:71], v[40:41]
	v_div_scale_f64 v[84:85], s[6:7], v[72:73], v[72:73], 1.0
	v_div_scale_f64 v[82:83], vcc, 1.0, v[72:73], 1.0
	v_rcp_f64_e32 v[86:87], v[84:85]
	v_fma_f64 v[88:89], -v[84:85], v[86:87], 1.0
	v_fma_f64 v[86:87], v[86:87], v[88:89], v[86:87]
	v_fma_f64 v[88:89], -v[84:85], v[86:87], 1.0
	v_fma_f64 v[86:87], v[86:87], v[88:89], v[86:87]
	v_mul_f64 v[88:89], v[82:83], v[86:87]
	v_fma_f64 v[82:83], -v[84:85], v[88:89], v[82:83]
	v_div_fmas_f64 v[82:83], v[82:83], v[86:87], v[88:89]
	v_mov_b32_e32 v88, v63
	v_mov_b32_e32 v87, v62
	v_mov_b32_e32 v62, v64
	v_mov_b32_e32 v63, v65
	v_div_fixup_f64 v[72:73], v[82:83], v[72:73], 1.0
	v_mov_b32_e32 v82, v96
	v_mov_b32_e32 v83, v97
	v_mov_b32_e32 v97, v100
	v_mov_b32_e32 v98, v101
	v_mov_b32_e32 v99, v102
	v_mov_b32_e32 v100, v103
	v_mov_b32_e32 v101, v104
	v_mov_b32_e32 v102, v105
	v_mov_b32_e32 v103, v106
	v_mov_b32_e32 v104, v107
	v_mov_b32_e32 v105, v108
	v_mov_b32_e32 v106, v109
	v_mov_b32_e32 v107, v110
	v_mov_b32_e32 v108, v111
	v_mov_b32_e32 v109, v112
	v_mov_b32_e32 v110, v113
	v_mov_b32_e32 v112, v67
	v_mov_b32_e32 v111, v66
	v_mov_b32_e32 v66, v68
	v_mov_b32_e32 v67, v69
	v_mov_b32_e32 v69, v59
	v_mov_b32_e32 v68, v58
	v_mov_b32_e32 v58, v114
	v_mov_b32_e32 v59, v115
	v_mov_b32_e32 v60, v116
	v_mov_b32_e32 v61, v117
	v_mov_b32_e32 v116, v33
	v_mov_b32_e32 v115, v32
	v_mov_b32_e32 v114, v31
	v_mov_b32_e32 v113, v30
	v_mov_b32_e32 v30, v90
	v_mov_b32_e32 v31, v91
	v_mov_b32_e32 v32, v92
	v_mov_b32_e32 v33, v93
	v_mov_b32_e32 v92, v57
	v_mov_b32_e32 v91, v56
	v_mov_b32_e32 v90, v55
	v_mov_b32_e32 v89, v54
	v_mov_b32_e32 v57, v53
	v_mov_b32_e32 v56, v52
	v_mov_b32_e32 v55, v51
	v_mov_b32_e32 v54, v50
	v_mov_b32_e32 v53, v49
	v_mov_b32_e32 v52, v48
	v_mov_b32_e32 v51, v47
	v_mov_b32_e32 v50, v46
	v_mov_b32_e32 v49, v45
	v_mov_b32_e32 v48, v44
	v_mov_b32_e32 v47, v43
	v_mov_b32_e32 v46, v42
	v_mov_b32_e32 v45, v37
	v_mov_b32_e32 v44, v36
	v_mov_b32_e32 v43, v35
	v_mov_b32_e32 v42, v34
	v_mov_b32_e32 v34, v118
	v_mov_b32_e32 v35, v119
	v_mov_b32_e32 v36, v120
	v_mov_b32_e32 v37, v121
	v_mov_b32_e32 v120, v29
	v_mul_f64 v[70:71], v[70:71], v[72:73]
	v_mov_b32_e32 v119, v28
	v_mov_b32_e32 v118, v27
	;; [unrolled: 1-line block ×27, first 2 shown]
	v_xor_b32_e32 v73, 0x80000000, v73
.LBB33_149:
	s_andn2_saveexec_b64 s[2:3], s[2:3]
	s_cbranch_execz .LBB33_151
; %bb.150:
	v_div_scale_f64 v[70:71], s[6:7], v[38:39], v[38:39], v[40:41]
	v_mov_b32_e32 v1, v30
	v_mov_b32_e32 v2, v31
	;; [unrolled: 1-line block ×14, first 2 shown]
	v_rcp_f64_e32 v[72:73], v[70:71]
	v_mov_b32_e32 v111, v108
	v_mov_b32_e32 v110, v107
	;; [unrolled: 1-line block ×15, first 2 shown]
	v_fma_f64 v[82:83], -v[70:71], v[72:73], 1.0
	v_mov_b32_e32 v64, v62
	v_mov_b32_e32 v62, v87
	;; [unrolled: 1-line block ×3, first 2 shown]
	buffer_store_dword v10, off, s[20:23], 0 offset:240 ; 4-byte Folded Spill
	s_nop 0
	buffer_store_dword v11, off, s[20:23], 0 offset:244 ; 4-byte Folded Spill
	buffer_store_dword v12, off, s[20:23], 0 offset:248 ; 4-byte Folded Spill
	;; [unrolled: 1-line block ×3, first 2 shown]
	v_mov_b32_e32 v10, v14
	v_mov_b32_e32 v11, v15
	;; [unrolled: 1-line block ×3, first 2 shown]
	v_fma_f64 v[72:73], v[72:73], v[82:83], v[72:73]
	v_div_scale_f64 v[82:83], vcc, v[40:41], v[38:39], v[40:41]
	v_mov_b32_e32 v13, v17
	v_mov_b32_e32 v14, v18
	;; [unrolled: 1-line block ×5, first 2 shown]
	v_fma_f64 v[84:85], -v[70:71], v[72:73], 1.0
	v_mov_b32_e32 v18, v22
	v_mov_b32_e32 v19, v23
	v_mov_b32_e32 v20, v24
	v_mov_b32_e32 v21, v25
	v_mov_b32_e32 v22, v26
	v_mov_b32_e32 v23, v27
	v_mov_b32_e32 v24, v28
	v_fma_f64 v[72:73], v[72:73], v[84:85], v[72:73]
	v_mov_b32_e32 v25, v29
	v_mov_b32_e32 v26, v117
	;; [unrolled: 1-line block ×7, first 2 shown]
	v_mul_f64 v[84:85], v[82:83], v[72:73]
	v_mov_b32_e32 v117, v35
	v_mov_b32_e32 v116, v34
	;; [unrolled: 1-line block ×7, first 2 shown]
	v_fma_f64 v[70:71], -v[70:71], v[84:85], v[82:83]
	v_mov_b32_e32 v43, v47
	v_mov_b32_e32 v44, v48
	;; [unrolled: 1-line block ×7, first 2 shown]
	v_div_fmas_f64 v[70:71], v[70:71], v[72:73], v[84:85]
	v_mov_b32_e32 v50, v54
	v_mov_b32_e32 v51, v55
	;; [unrolled: 1-line block ×8, first 2 shown]
	v_div_fixup_f64 v[72:73], v[70:71], v[38:39], v[40:41]
	v_fma_f64 v[70:71], v[40:41], v[72:73], v[38:39]
	v_div_scale_f64 v[82:83], s[6:7], v[70:71], v[70:71], 1.0
	v_div_scale_f64 v[88:89], vcc, 1.0, v[70:71], 1.0
	v_rcp_f64_e32 v[84:85], v[82:83]
	v_fma_f64 v[86:87], -v[82:83], v[84:85], 1.0
	v_fma_f64 v[84:85], v[84:85], v[86:87], v[84:85]
	v_fma_f64 v[86:87], -v[82:83], v[84:85], 1.0
	v_fma_f64 v[84:85], v[84:85], v[86:87], v[84:85]
	v_mul_f64 v[86:87], v[88:89], v[84:85]
	v_fma_f64 v[82:83], -v[82:83], v[86:87], v[88:89]
	v_mov_b32_e32 v92, v57
	v_mov_b32_e32 v91, v56
	;; [unrolled: 1-line block ×44, first 2 shown]
	buffer_load_dword v10, off, s[20:23], 0 offset:240 ; 4-byte Folded Reload
	buffer_load_dword v11, off, s[20:23], 0 offset:244 ; 4-byte Folded Reload
	;; [unrolled: 1-line block ×4, first 2 shown]
	v_div_fmas_f64 v[82:83], v[82:83], v[84:85], v[86:87]
	v_mov_b32_e32 v88, v63
	v_mov_b32_e32 v87, v62
	;; [unrolled: 1-line block ×4, first 2 shown]
	v_div_fixup_f64 v[70:71], v[82:83], v[70:71], 1.0
	v_mov_b32_e32 v82, v96
	v_mov_b32_e32 v83, v97
	v_mov_b32_e32 v97, v100
	v_mov_b32_e32 v98, v101
	v_mov_b32_e32 v99, v102
	v_mov_b32_e32 v100, v103
	v_mov_b32_e32 v101, v104
	v_mov_b32_e32 v102, v105
	v_mov_b32_e32 v103, v106
	v_mov_b32_e32 v104, v107
	v_mov_b32_e32 v105, v108
	v_mul_f64 v[72:73], v[72:73], -v[70:71]
	v_mov_b32_e32 v106, v109
	v_mov_b32_e32 v107, v110
	;; [unrolled: 1-line block ×17, first 2 shown]
.LBB33_151:
	s_or_b64 exec, exec, s[2:3]
	ds_write2_b64 v95, v[70:71], v[72:73] offset1:1
.LBB33_152:
	s_or_b64 exec, exec, s[4:5]
	s_waitcnt vmcnt(0) lgkmcnt(0)
	s_barrier
	ds_read2_b64 v[70:73], v95 offset1:1
	s_waitcnt lgkmcnt(0)
	s_barrier
	s_and_saveexec_b64 s[2:3], s[0:1]
	s_cbranch_execz .LBB33_155
; %bb.153:
	buffer_load_dword v1, off, s[20:23], 0 offset:32 ; 4-byte Folded Reload
	buffer_load_dword v2, off, s[20:23], 0 offset:36 ; 4-byte Folded Reload
	;; [unrolled: 1-line block ×4, first 2 shown]
	s_waitcnt vmcnt(2)
	v_cmp_eq_f64_e32 vcc, 0, v[1:2]
	s_waitcnt vmcnt(0)
	v_cmp_eq_f64_e64 s[0:1], 0, v[3:4]
	buffer_load_dword v2, off, s[20:23], 0 offset:48 ; 4-byte Folded Reload
	buffer_load_dword v3, off, s[20:23], 0 offset:52 ; 4-byte Folded Reload
	buffer_load_dword v4, off, s[20:23], 0 offset:56 ; 4-byte Folded Reload
	buffer_load_dword v5, off, s[20:23], 0 offset:60 ; 4-byte Folded Reload
	s_and_b64 s[4:5], vcc, s[0:1]
	v_cndmask_b32_e64 v1, 0, 1, s[4:5]
	s_waitcnt vmcnt(2)
	v_cmp_neq_f64_e32 vcc, 0, v[2:3]
	s_waitcnt vmcnt(0)
	v_cmp_neq_f64_e64 s[0:1], 0, v[4:5]
	buffer_load_dword v2, off, s[20:23], 0 offset:64 ; 4-byte Folded Reload
	buffer_load_dword v3, off, s[20:23], 0 offset:68 ; 4-byte Folded Reload
	;; [unrolled: 1-line block ×4, first 2 shown]
	s_or_b64 s[0:1], vcc, s[0:1]
	s_or_b64 vcc, s[0:1], s[4:5]
	v_cndmask_b32_e32 v1, 2, v1, vcc
	s_waitcnt vmcnt(2)
	v_cmp_eq_f64_e32 vcc, 0, v[2:3]
	s_waitcnt vmcnt(0)
	v_cmp_eq_f64_e64 s[0:1], 0, v[4:5]
	buffer_load_dword v2, off, s[20:23], 0 offset:80 ; 4-byte Folded Reload
	buffer_load_dword v3, off, s[20:23], 0 offset:84 ; 4-byte Folded Reload
	buffer_load_dword v4, off, s[20:23], 0 offset:88 ; 4-byte Folded Reload
	buffer_load_dword v5, off, s[20:23], 0 offset:92 ; 4-byte Folded Reload
	s_and_b64 s[0:1], vcc, s[0:1]
	v_cmp_eq_u32_e32 vcc, 0, v1
	s_and_b64 s[0:1], s[0:1], vcc
	v_cndmask_b32_e64 v1, v1, 3, s[0:1]
	s_waitcnt vmcnt(2)
	v_cmp_eq_f64_e32 vcc, 0, v[2:3]
	s_waitcnt vmcnt(0)
	v_cmp_eq_f64_e64 s[0:1], 0, v[4:5]
	buffer_load_dword v2, off, s[20:23], 0 offset:96 ; 4-byte Folded Reload
	buffer_load_dword v3, off, s[20:23], 0 offset:100 ; 4-byte Folded Reload
	buffer_load_dword v4, off, s[20:23], 0 offset:104 ; 4-byte Folded Reload
	buffer_load_dword v5, off, s[20:23], 0 offset:108 ; 4-byte Folded Reload
	s_and_b64 s[0:1], vcc, s[0:1]
	v_cmp_eq_u32_e32 vcc, 0, v1
	s_and_b64 s[0:1], s[0:1], vcc
	v_cndmask_b32_e64 v1, v1, 4, s[0:1]
	;; [unrolled: 12-line block ×10, first 2 shown]
	s_waitcnt vmcnt(2)
	v_cmp_eq_f64_e32 vcc, 0, v[2:3]
	s_waitcnt vmcnt(0)
	v_cmp_eq_f64_e64 s[0:1], 0, v[4:5]
	s_and_b64 s[0:1], vcc, s[0:1]
	v_cmp_eq_u32_e32 vcc, 0, v1
	s_and_b64 s[0:1], s[0:1], vcc
	v_cndmask_b32_e64 v1, v1, 13, s[0:1]
	v_cmp_eq_f64_e32 vcc, 0, v[122:123]
	v_cmp_eq_f64_e64 s[0:1], 0, v[124:125]
	s_and_b64 s[0:1], vcc, s[0:1]
	v_cmp_eq_u32_e32 vcc, 0, v1
	s_and_b64 s[0:1], s[0:1], vcc
	v_cndmask_b32_e64 v1, v1, 14, s[0:1]
	v_cmp_eq_f64_e32 vcc, 0, v[74:75]
	v_cmp_eq_f64_e64 s[0:1], 0, v[76:77]
	v_lshlrev_b64 v[74:75], 2, v[87:88]
	v_mov_b32_e32 v76, s11
	s_and_b64 s[0:1], vcc, s[0:1]
	v_cmp_eq_u32_e32 vcc, 0, v1
	s_and_b64 s[0:1], s[0:1], vcc
	v_cndmask_b32_e64 v1, v1, 15, s[0:1]
	v_cmp_eq_f64_e32 vcc, 0, v[78:79]
	v_cmp_eq_f64_e64 s[0:1], 0, v[80:81]
	s_and_b64 s[0:1], vcc, s[0:1]
	v_cmp_eq_u32_e32 vcc, 0, v1
	s_and_b64 s[0:1], s[0:1], vcc
	v_cndmask_b32_e64 v1, v1, 16, s[0:1]
	v_cmp_eq_f64_e32 vcc, 0, v[70:71]
	v_cmp_eq_f64_e64 s[0:1], 0, v[72:73]
	s_and_b64 s[0:1], vcc, s[0:1]
	v_cmp_eq_u32_e32 vcc, 0, v1
	s_and_b64 s[0:1], s[0:1], vcc
	v_add_co_u32_e32 v74, vcc, s10, v74
	v_addc_co_u32_e32 v75, vcc, v76, v75, vcc
	global_load_dword v76, v[74:75], off
	v_cndmask_b32_e64 v1, v1, 17, s[0:1]
	v_cmp_ne_u32_e64 s[0:1], 0, v1
	s_waitcnt vmcnt(0)
	v_cmp_eq_u32_e32 vcc, 0, v76
	s_and_b64 s[0:1], vcc, s[0:1]
	s_and_b64 exec, exec, s[0:1]
	s_cbranch_execz .LBB33_155
; %bb.154:
	v_add_u32_e32 v1, s13, v1
	global_store_dword v[74:75], v1, off
.LBB33_155:
	s_or_b64 exec, exec, s[2:3]
	global_store_dwordx4 v[62:63], v[113:116], off
	global_store_dwordx4 v[68:69], v[89:92], off
	buffer_load_dword v62, off, s[20:23], 0 ; 4-byte Folded Reload
	s_nop 0
	buffer_load_dword v63, off, s[20:23], 0 offset:4 ; 4-byte Folded Reload
	v_mul_f64 v[74:75], v[70:71], v[40:41]
	v_mul_f64 v[76:77], v[72:73], v[40:41]
	v_cmp_lt_u32_e32 vcc, 16, v0
	s_waitcnt vmcnt(0)
	global_store_dwordx4 v[62:63], v[58:61], off
	buffer_load_dword v60, off, s[20:23], 0 offset:8 ; 4-byte Folded Reload
	s_nop 0
	buffer_load_dword v61, off, s[20:23], 0 offset:12 ; 4-byte Folded Reload
	v_fma_f64 v[58:59], v[72:73], v[38:39], v[74:75]
	s_waitcnt vmcnt(0)
	global_store_dwordx4 v[60:61], v[54:57], off
	buffer_load_dword v1, off, s[20:23], 0 offset:16 ; 4-byte Folded Reload
	buffer_load_dword v2, off, s[20:23], 0 offset:20 ; 4-byte Folded Reload
	v_fma_f64 v[54:55], v[70:71], v[38:39], -v[76:77]
	s_waitcnt vmcnt(0)
	global_store_dwordx4 v[1:2], v[50:53], off
	buffer_load_dword v1, off, s[20:23], 0 offset:24 ; 4-byte Folded Reload
	s_nop 0
	buffer_load_dword v2, off, s[20:23], 0 offset:28 ; 4-byte Folded Reload
	s_waitcnt vmcnt(0)
	global_store_dwordx4 v[1:2], v[46:49], off
	global_store_dwordx4 v[82:83], v[42:45], off
	;; [unrolled: 1-line block ×3, first 2 shown]
	s_nop 0
	v_cndmask_b32_e32 v37, v41, v59, vcc
	v_cndmask_b32_e32 v36, v40, v58, vcc
	;; [unrolled: 1-line block ×4, first 2 shown]
	global_store_dwordx4 v[99:100], v[117:120], off
	global_store_dwordx4 v[97:98], v[26:29], off
	;; [unrolled: 1-line block ×9, first 2 shown]
.LBB33_156:
	s_endpgm
	.section	.rodata,"a",@progbits
	.p2align	6, 0x0
	.amdhsa_kernel _ZN9rocsolver6v33100L23getf2_npvt_small_kernelILi17E19rocblas_complex_numIdEiiPS3_EEvT1_T3_lS5_lPT2_S5_S5_
		.amdhsa_group_segment_fixed_size 0
		.amdhsa_private_segment_fixed_size 260
		.amdhsa_kernarg_size 312
		.amdhsa_user_sgpr_count 6
		.amdhsa_user_sgpr_private_segment_buffer 1
		.amdhsa_user_sgpr_dispatch_ptr 0
		.amdhsa_user_sgpr_queue_ptr 0
		.amdhsa_user_sgpr_kernarg_segment_ptr 1
		.amdhsa_user_sgpr_dispatch_id 0
		.amdhsa_user_sgpr_flat_scratch_init 0
		.amdhsa_user_sgpr_private_segment_size 0
		.amdhsa_uses_dynamic_stack 0
		.amdhsa_system_sgpr_private_segment_wavefront_offset 1
		.amdhsa_system_sgpr_workgroup_id_x 1
		.amdhsa_system_sgpr_workgroup_id_y 1
		.amdhsa_system_sgpr_workgroup_id_z 0
		.amdhsa_system_sgpr_workgroup_info 0
		.amdhsa_system_vgpr_workitem_id 1
		.amdhsa_next_free_vgpr 128
		.amdhsa_next_free_sgpr 24
		.amdhsa_reserve_vcc 1
		.amdhsa_reserve_flat_scratch 0
		.amdhsa_float_round_mode_32 0
		.amdhsa_float_round_mode_16_64 0
		.amdhsa_float_denorm_mode_32 3
		.amdhsa_float_denorm_mode_16_64 3
		.amdhsa_dx10_clamp 1
		.amdhsa_ieee_mode 1
		.amdhsa_fp16_overflow 0
		.amdhsa_exception_fp_ieee_invalid_op 0
		.amdhsa_exception_fp_denorm_src 0
		.amdhsa_exception_fp_ieee_div_zero 0
		.amdhsa_exception_fp_ieee_overflow 0
		.amdhsa_exception_fp_ieee_underflow 0
		.amdhsa_exception_fp_ieee_inexact 0
		.amdhsa_exception_int_div_zero 0
	.end_amdhsa_kernel
	.section	.text._ZN9rocsolver6v33100L23getf2_npvt_small_kernelILi17E19rocblas_complex_numIdEiiPS3_EEvT1_T3_lS5_lPT2_S5_S5_,"axG",@progbits,_ZN9rocsolver6v33100L23getf2_npvt_small_kernelILi17E19rocblas_complex_numIdEiiPS3_EEvT1_T3_lS5_lPT2_S5_S5_,comdat
.Lfunc_end33:
	.size	_ZN9rocsolver6v33100L23getf2_npvt_small_kernelILi17E19rocblas_complex_numIdEiiPS3_EEvT1_T3_lS5_lPT2_S5_S5_, .Lfunc_end33-_ZN9rocsolver6v33100L23getf2_npvt_small_kernelILi17E19rocblas_complex_numIdEiiPS3_EEvT1_T3_lS5_lPT2_S5_S5_
                                        ; -- End function
	.set _ZN9rocsolver6v33100L23getf2_npvt_small_kernelILi17E19rocblas_complex_numIdEiiPS3_EEvT1_T3_lS5_lPT2_S5_S5_.num_vgpr, 128
	.set _ZN9rocsolver6v33100L23getf2_npvt_small_kernelILi17E19rocblas_complex_numIdEiiPS3_EEvT1_T3_lS5_lPT2_S5_S5_.num_agpr, 0
	.set _ZN9rocsolver6v33100L23getf2_npvt_small_kernelILi17E19rocblas_complex_numIdEiiPS3_EEvT1_T3_lS5_lPT2_S5_S5_.numbered_sgpr, 24
	.set _ZN9rocsolver6v33100L23getf2_npvt_small_kernelILi17E19rocblas_complex_numIdEiiPS3_EEvT1_T3_lS5_lPT2_S5_S5_.num_named_barrier, 0
	.set _ZN9rocsolver6v33100L23getf2_npvt_small_kernelILi17E19rocblas_complex_numIdEiiPS3_EEvT1_T3_lS5_lPT2_S5_S5_.private_seg_size, 260
	.set _ZN9rocsolver6v33100L23getf2_npvt_small_kernelILi17E19rocblas_complex_numIdEiiPS3_EEvT1_T3_lS5_lPT2_S5_S5_.uses_vcc, 1
	.set _ZN9rocsolver6v33100L23getf2_npvt_small_kernelILi17E19rocblas_complex_numIdEiiPS3_EEvT1_T3_lS5_lPT2_S5_S5_.uses_flat_scratch, 0
	.set _ZN9rocsolver6v33100L23getf2_npvt_small_kernelILi17E19rocblas_complex_numIdEiiPS3_EEvT1_T3_lS5_lPT2_S5_S5_.has_dyn_sized_stack, 0
	.set _ZN9rocsolver6v33100L23getf2_npvt_small_kernelILi17E19rocblas_complex_numIdEiiPS3_EEvT1_T3_lS5_lPT2_S5_S5_.has_recursion, 0
	.set _ZN9rocsolver6v33100L23getf2_npvt_small_kernelILi17E19rocblas_complex_numIdEiiPS3_EEvT1_T3_lS5_lPT2_S5_S5_.has_indirect_call, 0
	.section	.AMDGPU.csdata,"",@progbits
; Kernel info:
; codeLenInByte = 23504
; TotalNumSgprs: 28
; NumVgprs: 128
; ScratchSize: 260
; MemoryBound: 1
; FloatMode: 240
; IeeeMode: 1
; LDSByteSize: 0 bytes/workgroup (compile time only)
; SGPRBlocks: 3
; VGPRBlocks: 31
; NumSGPRsForWavesPerEU: 28
; NumVGPRsForWavesPerEU: 128
; Occupancy: 2
; WaveLimiterHint : 0
; COMPUTE_PGM_RSRC2:SCRATCH_EN: 1
; COMPUTE_PGM_RSRC2:USER_SGPR: 6
; COMPUTE_PGM_RSRC2:TRAP_HANDLER: 0
; COMPUTE_PGM_RSRC2:TGID_X_EN: 1
; COMPUTE_PGM_RSRC2:TGID_Y_EN: 1
; COMPUTE_PGM_RSRC2:TGID_Z_EN: 0
; COMPUTE_PGM_RSRC2:TIDIG_COMP_CNT: 1
	.section	.text._ZN9rocsolver6v33100L18getf2_small_kernelILi18E19rocblas_complex_numIdEiiPS3_EEvT1_T3_lS5_lPS5_llPT2_S5_S5_S7_l,"axG",@progbits,_ZN9rocsolver6v33100L18getf2_small_kernelILi18E19rocblas_complex_numIdEiiPS3_EEvT1_T3_lS5_lPS5_llPT2_S5_S5_S7_l,comdat
	.globl	_ZN9rocsolver6v33100L18getf2_small_kernelILi18E19rocblas_complex_numIdEiiPS3_EEvT1_T3_lS5_lPS5_llPT2_S5_S5_S7_l ; -- Begin function _ZN9rocsolver6v33100L18getf2_small_kernelILi18E19rocblas_complex_numIdEiiPS3_EEvT1_T3_lS5_lPS5_llPT2_S5_S5_S7_l
	.p2align	8
	.type	_ZN9rocsolver6v33100L18getf2_small_kernelILi18E19rocblas_complex_numIdEiiPS3_EEvT1_T3_lS5_lPS5_llPT2_S5_S5_S7_l,@function
_ZN9rocsolver6v33100L18getf2_small_kernelILi18E19rocblas_complex_numIdEiiPS3_EEvT1_T3_lS5_lPS5_llPT2_S5_S5_S7_l: ; @_ZN9rocsolver6v33100L18getf2_small_kernelILi18E19rocblas_complex_numIdEiiPS3_EEvT1_T3_lS5_lPS5_llPT2_S5_S5_S7_l
; %bb.0:
	s_load_dword s0, s[4:5], 0x6c
	s_load_dwordx2 s[16:17], s[4:5], 0x48
	s_waitcnt lgkmcnt(0)
	s_lshr_b32 s0, s0, 16
	s_mul_i32 s7, s7, s0
	v_add_u32_e32 v78, s7, v1
	v_cmp_gt_i32_e32 vcc, s16, v78
	s_and_saveexec_b64 s[0:1], vcc
	s_cbranch_execz .LBB34_379
; %bb.1:
	s_load_dwordx4 s[0:3], s[4:5], 0x50
	v_mov_b32_e32 v80, 0
	v_ashrrev_i32_e32 v79, 31, v78
	v_mov_b32_e32 v81, 0
	s_waitcnt lgkmcnt(0)
	s_cmp_eq_u64 s[0:1], 0
	s_cselect_b64 s[18:19], -1, 0
	s_and_b64 vcc, exec, s[18:19]
	s_cbranch_vccnz .LBB34_3
; %bb.2:
	v_mul_lo_u32 v4, s3, v78
	v_mul_lo_u32 v5, s2, v79
	v_mad_u64_u32 v[2:3], s[2:3], s2, v78, 0
	v_add3_u32 v3, v3, v5, v4
	v_lshlrev_b64 v[2:3], 2, v[2:3]
	v_mov_b32_e32 v4, s1
	v_add_co_u32_e32 v80, vcc, s0, v2
	v_addc_co_u32_e32 v81, vcc, v4, v3, vcc
.LBB34_3:
	s_load_dwordx8 s[8:15], s[4:5], 0x20
	s_load_dwordx4 s[0:3], s[4:5], 0x8
	v_lshlrev_b32_e32 v84, 4, v0
	s_waitcnt lgkmcnt(0)
	v_mul_lo_u32 v4, s9, v78
	v_mul_lo_u32 v5, s8, v79
	v_mad_u64_u32 v[2:3], s[6:7], s8, v78, 0
	s_load_dword s6, s[4:5], 0x18
	s_load_dword s22, s[4:5], 0x0
	v_mov_b32_e32 v6, s1
	v_add3_u32 v3, v3, v5, v4
	v_lshlrev_b64 v[2:3], 4, v[2:3]
	s_waitcnt lgkmcnt(0)
	s_add_i32 s16, s6, s6
	v_add_co_u32_e32 v2, vcc, s0, v2
	v_addc_co_u32_e32 v3, vcc, v6, v3, vcc
	s_lshl_b64 s[0:1], s[2:3], 4
	v_mov_b32_e32 v4, s1
	v_add_co_u32_e32 v85, vcc, s0, v2
	v_add_u32_e32 v2, s16, v0
	v_addc_co_u32_e32 v86, vcc, v3, v4, vcc
	v_ashrrev_i32_e32 v3, 31, v2
	v_lshlrev_b64 v[3:4], 4, v[2:3]
	v_add_u32_e32 v5, s6, v2
	v_ashrrev_i32_e32 v6, 31, v5
	v_add_co_u32_e32 v3, vcc, v85, v3
	v_lshlrev_b64 v[6:7], 4, v[5:6]
	v_add_u32_e32 v8, s6, v5
	v_addc_co_u32_e32 v4, vcc, v86, v4, vcc
	v_ashrrev_i32_e32 v9, 31, v8
	v_add_co_u32_e32 v6, vcc, v85, v6
	v_lshlrev_b64 v[9:10], 4, v[8:9]
	v_add_u32_e32 v11, s6, v8
	v_addc_co_u32_e32 v7, vcc, v86, v7, vcc
	;; [unrolled: 5-line block ×4, first 2 shown]
	v_ashrrev_i32_e32 v18, 31, v17
	v_add_co_u32_e32 v15, vcc, v85, v15
	v_lshlrev_b64 v[18:19], 4, v[17:18]
	v_addc_co_u32_e32 v16, vcc, v86, v16, vcc
	v_add_co_u32_e32 v18, vcc, v85, v18
	v_add_u32_e32 v20, s6, v17
	v_addc_co_u32_e32 v19, vcc, v86, v19, vcc
	v_ashrrev_i32_e32 v21, 31, v20
	v_lshlrev_b64 v[21:22], 4, v[20:21]
	v_add_co_u32_e32 v23, vcc, v85, v84
	v_add_u32_e32 v25, s6, v20
	v_addc_co_u32_e32 v24, vcc, 0, v86, vcc
	v_ashrrev_i32_e32 v26, 31, v25
	v_add_co_u32_e32 v21, vcc, v85, v21
	v_lshlrev_b64 v[26:27], 4, v[25:26]
	v_add_u32_e32 v28, s6, v25
	v_addc_co_u32_e32 v22, vcc, v86, v22, vcc
	v_ashrrev_i32_e32 v29, 31, v28
	v_add_co_u32_e32 v26, vcc, v85, v26
	v_lshlrev_b64 v[29:30], 4, v[28:29]
	v_addc_co_u32_e32 v27, vcc, v86, v27, vcc
	v_add_u32_e32 v28, s6, v28
	v_add_co_u32_e32 v70, vcc, v85, v29
	v_ashrrev_i32_e32 v29, 31, v28
	v_addc_co_u32_e32 v71, vcc, v86, v30, vcc
	v_lshlrev_b64 v[29:30], 4, v[28:29]
	v_add_u32_e32 v28, s6, v28
	v_add_co_u32_e32 v72, vcc, v85, v29
	v_ashrrev_i32_e32 v29, 31, v28
	v_addc_co_u32_e32 v73, vcc, v86, v30, vcc
	v_lshlrev_b64 v[29:30], 4, v[28:29]
	;; [unrolled: 5-line block ×6, first 2 shown]
	v_add_u32_e32 v28, s6, v28
	v_add_co_u32_e32 v89, vcc, v85, v29
	v_ashrrev_i32_e32 v29, 31, v28
	v_lshlrev_b64 v[28:29], 4, v[28:29]
	v_addc_co_u32_e32 v90, vcc, v86, v30, vcc
	v_add_co_u32_e32 v91, vcc, v85, v28
	s_ashr_i32 s7, s6, 31
	v_addc_co_u32_e32 v92, vcc, v86, v29, vcc
	s_lshl_b64 s[2:3], s[6:7], 4
	v_mov_b32_e32 v2, s3
	v_add_co_u32_e32 v28, vcc, s2, v23
	v_addc_co_u32_e32 v29, vcc, v24, v2, vcc
	global_load_dwordx4 v[66:69], v[23:24], off
	global_load_dwordx4 v[62:65], v[28:29], off
	;; [unrolled: 1-line block ×4, first 2 shown]
                                        ; kill: killed $vgpr23 killed $vgpr24
                                        ; kill: killed $vgpr3 killed $vgpr4
                                        ; kill: killed $vgpr28 killed $vgpr29
                                        ; kill: killed $vgpr6 killed $vgpr7
	global_load_dwordx4 v[50:53], v[9:10], off
	global_load_dwordx4 v[46:49], v[12:13], off
                                        ; kill: killed $vgpr9 killed $vgpr10
                                        ; kill: killed $vgpr12 killed $vgpr13
	global_load_dwordx4 v[42:45], v[15:16], off
	global_load_dwordx4 v[38:41], v[18:19], off
	;; [unrolled: 1-line block ×4, first 2 shown]
	s_nop 0
	global_load_dwordx4 v[26:29], v[70:71], off
	global_load_dwordx4 v[22:25], v[72:73], off
	;; [unrolled: 1-line block ×8, first 2 shown]
	s_max_i32 s0, s22, 18
	v_mul_lo_u32 v82, s0, v1
	s_load_dwordx2 s[4:5], s[4:5], 0x40
	s_cmp_lt_i32 s22, 2
	v_lshl_add_u32 v1, v82, 4, 0
	v_add_u32_e32 v74, v1, v84
	v_lshlrev_b32_e32 v88, 4, v82
	v_mov_b32_e32 v82, 0
	s_waitcnt vmcnt(17)
	ds_write2_b64 v74, v[66:67], v[68:69] offset1:1
	s_waitcnt vmcnt(0) lgkmcnt(0)
	s_barrier
	ds_read2_b64 v[74:77], v1 offset1:1
	s_cbranch_scc1 .LBB34_6
; %bb.4:
	v_add3_u32 v83, v88, 0, 16
	s_mov_b32 s7, 1
	v_mov_b32_e32 v82, 0
.LBB34_5:                               ; =>This Inner Loop Header: Depth=1
	s_waitcnt lgkmcnt(0)
	v_cmp_gt_f64_e32 vcc, 0, v[76:77]
	v_cmp_gt_f64_e64 s[0:1], 0, v[74:75]
	ds_read2_b64 v[89:92], v83 offset1:1
	v_xor_b32_e32 v84, 0x80000000, v75
	v_xor_b32_e32 v87, 0x80000000, v77
	v_mov_b32_e32 v93, v74
	v_mov_b32_e32 v95, v76
	s_waitcnt lgkmcnt(0)
	v_mov_b32_e32 v97, v91
	v_cndmask_b32_e32 v96, v77, v87, vcc
	v_cndmask_b32_e64 v94, v75, v84, s[0:1]
	v_cmp_gt_f64_e32 vcc, 0, v[91:92]
	v_cmp_gt_f64_e64 s[0:1], 0, v[89:90]
	v_xor_b32_e32 v84, 0x80000000, v90
	v_xor_b32_e32 v87, 0x80000000, v92
	v_add_f64 v[93:94], v[93:94], v[95:96]
	v_mov_b32_e32 v95, v89
	v_add_u32_e32 v83, 16, v83
	v_cndmask_b32_e32 v98, v92, v87, vcc
	v_cndmask_b32_e64 v96, v90, v84, s[0:1]
	v_add_f64 v[95:96], v[95:96], v[97:98]
	v_mov_b32_e32 v84, s7
	s_add_i32 s7, s7, 1
	s_cmp_eq_u32 s22, s7
	v_cmp_lt_f64_e32 vcc, v[93:94], v[95:96]
	v_cndmask_b32_e32 v75, v75, v90, vcc
	v_cndmask_b32_e32 v74, v74, v89, vcc
	;; [unrolled: 1-line block ×5, first 2 shown]
	s_cbranch_scc0 .LBB34_5
.LBB34_6:
	s_waitcnt lgkmcnt(0)
	v_cmp_neq_f64_e32 vcc, 0, v[74:75]
	v_cmp_neq_f64_e64 s[0:1], 0, v[76:77]
	v_mov_b32_e32 v87, 1
	v_mov_b32_e32 v89, 1
	s_or_b64 s[8:9], vcc, s[0:1]
	s_and_saveexec_b64 s[0:1], s[8:9]
	s_cbranch_execz .LBB34_12
; %bb.7:
	v_cmp_ngt_f64_e64 s[8:9], |v[74:75]|, |v[76:77]|
	s_and_saveexec_b64 s[20:21], s[8:9]
	s_xor_b64 s[8:9], exec, s[20:21]
	s_cbranch_execz .LBB34_9
; %bb.8:
	v_div_scale_f64 v[83:84], s[20:21], v[76:77], v[76:77], v[74:75]
	v_rcp_f64_e32 v[89:90], v[83:84]
	v_fma_f64 v[91:92], -v[83:84], v[89:90], 1.0
	v_fma_f64 v[89:90], v[89:90], v[91:92], v[89:90]
	v_div_scale_f64 v[91:92], vcc, v[74:75], v[76:77], v[74:75]
	v_fma_f64 v[93:94], -v[83:84], v[89:90], 1.0
	v_fma_f64 v[89:90], v[89:90], v[93:94], v[89:90]
	v_mul_f64 v[93:94], v[91:92], v[89:90]
	v_fma_f64 v[83:84], -v[83:84], v[93:94], v[91:92]
	v_div_fmas_f64 v[83:84], v[83:84], v[89:90], v[93:94]
	v_div_fixup_f64 v[83:84], v[83:84], v[76:77], v[74:75]
	v_fma_f64 v[74:75], v[74:75], v[83:84], v[76:77]
	v_div_scale_f64 v[76:77], s[20:21], v[74:75], v[74:75], 1.0
	v_div_scale_f64 v[93:94], vcc, 1.0, v[74:75], 1.0
	v_rcp_f64_e32 v[89:90], v[76:77]
	v_fma_f64 v[91:92], -v[76:77], v[89:90], 1.0
	v_fma_f64 v[89:90], v[89:90], v[91:92], v[89:90]
	v_fma_f64 v[91:92], -v[76:77], v[89:90], 1.0
	v_fma_f64 v[89:90], v[89:90], v[91:92], v[89:90]
	v_mul_f64 v[91:92], v[93:94], v[89:90]
	v_fma_f64 v[76:77], -v[76:77], v[91:92], v[93:94]
	v_div_fmas_f64 v[76:77], v[76:77], v[89:90], v[91:92]
	v_div_fixup_f64 v[76:77], v[76:77], v[74:75], 1.0
	v_mul_f64 v[74:75], v[83:84], v[76:77]
	v_xor_b32_e32 v77, 0x80000000, v77
.LBB34_9:
	s_andn2_saveexec_b64 s[8:9], s[8:9]
	s_cbranch_execz .LBB34_11
; %bb.10:
	v_div_scale_f64 v[83:84], s[20:21], v[74:75], v[74:75], v[76:77]
	v_rcp_f64_e32 v[89:90], v[83:84]
	v_fma_f64 v[91:92], -v[83:84], v[89:90], 1.0
	v_fma_f64 v[89:90], v[89:90], v[91:92], v[89:90]
	v_div_scale_f64 v[91:92], vcc, v[76:77], v[74:75], v[76:77]
	v_fma_f64 v[93:94], -v[83:84], v[89:90], 1.0
	v_fma_f64 v[89:90], v[89:90], v[93:94], v[89:90]
	v_mul_f64 v[93:94], v[91:92], v[89:90]
	v_fma_f64 v[83:84], -v[83:84], v[93:94], v[91:92]
	v_div_fmas_f64 v[83:84], v[83:84], v[89:90], v[93:94]
	v_div_fixup_f64 v[83:84], v[83:84], v[74:75], v[76:77]
	v_fma_f64 v[74:75], v[76:77], v[83:84], v[74:75]
	v_div_scale_f64 v[76:77], s[20:21], v[74:75], v[74:75], 1.0
	v_div_scale_f64 v[93:94], vcc, 1.0, v[74:75], 1.0
	v_rcp_f64_e32 v[89:90], v[76:77]
	v_fma_f64 v[91:92], -v[76:77], v[89:90], 1.0
	v_fma_f64 v[89:90], v[89:90], v[91:92], v[89:90]
	v_fma_f64 v[91:92], -v[76:77], v[89:90], 1.0
	v_fma_f64 v[89:90], v[89:90], v[91:92], v[89:90]
	v_mul_f64 v[91:92], v[93:94], v[89:90]
	v_fma_f64 v[76:77], -v[76:77], v[91:92], v[93:94]
	v_div_fmas_f64 v[76:77], v[76:77], v[89:90], v[91:92]
	v_div_fixup_f64 v[74:75], v[76:77], v[74:75], 1.0
	v_mul_f64 v[76:77], v[83:84], -v[74:75]
.LBB34_11:
	s_or_b64 exec, exec, s[8:9]
	v_mov_b32_e32 v89, 0
	v_mov_b32_e32 v87, 2
.LBB34_12:
	s_or_b64 exec, exec, s[0:1]
	v_cmp_ne_u32_e32 vcc, v0, v82
	s_and_saveexec_b64 s[0:1], vcc
	s_xor_b64 s[0:1], exec, s[0:1]
	s_cbranch_execz .LBB34_18
; %bb.13:
	v_cmp_eq_u32_e32 vcc, 0, v0
	s_and_saveexec_b64 s[8:9], vcc
	s_cbranch_execz .LBB34_17
; %bb.14:
	v_cmp_ne_u32_e32 vcc, 0, v82
	s_xor_b64 s[20:21], s[18:19], -1
	s_and_b64 s[24:25], s[20:21], vcc
	s_and_saveexec_b64 s[20:21], s[24:25]
	s_cbranch_execz .LBB34_16
; %bb.15:
	v_ashrrev_i32_e32 v83, 31, v82
	v_lshlrev_b64 v[83:84], 2, v[82:83]
	v_add_co_u32_e32 v83, vcc, v80, v83
	v_addc_co_u32_e32 v84, vcc, v81, v84, vcc
	global_load_dword v0, v[83:84], off
	global_load_dword v90, v[80:81], off
	s_waitcnt vmcnt(1)
	global_store_dword v[80:81], v0, off
	s_waitcnt vmcnt(1)
	global_store_dword v[83:84], v90, off
.LBB34_16:
	s_or_b64 exec, exec, s[20:21]
	v_mov_b32_e32 v0, v82
.LBB34_17:
	s_or_b64 exec, exec, s[8:9]
.LBB34_18:
	s_or_saveexec_b64 s[0:1], s[0:1]
	v_mov_b32_e32 v84, v0
	s_xor_b64 exec, exec, s[0:1]
	s_cbranch_execz .LBB34_20
; %bb.19:
	v_mov_b32_e32 v84, 0
	ds_write2_b64 v1, v[62:63], v[64:65] offset0:2 offset1:3
	ds_write2_b64 v1, v[58:59], v[60:61] offset0:4 offset1:5
	;; [unrolled: 1-line block ×17, first 2 shown]
.LBB34_20:
	s_or_b64 exec, exec, s[0:1]
	v_cmp_lt_i32_e32 vcc, 0, v84
	s_waitcnt vmcnt(0) lgkmcnt(0)
	s_barrier
	s_and_saveexec_b64 s[0:1], vcc
	s_cbranch_execz .LBB34_22
; %bb.21:
	v_mul_f64 v[82:83], v[76:77], v[68:69]
	v_mul_f64 v[68:69], v[74:75], v[68:69]
	v_fma_f64 v[82:83], v[74:75], v[66:67], -v[82:83]
	v_fma_f64 v[68:69], v[76:77], v[66:67], v[68:69]
	ds_read2_b64 v[74:77], v1 offset0:2 offset1:3
	s_waitcnt lgkmcnt(0)
	v_mul_f64 v[66:67], v[76:77], v[68:69]
	v_fma_f64 v[66:67], v[74:75], v[82:83], -v[66:67]
	v_mul_f64 v[74:75], v[74:75], v[68:69]
	v_add_f64 v[62:63], v[62:63], -v[66:67]
	v_fma_f64 v[74:75], v[76:77], v[82:83], v[74:75]
	v_add_f64 v[64:65], v[64:65], -v[74:75]
	ds_read2_b64 v[74:77], v1 offset0:4 offset1:5
	s_waitcnt lgkmcnt(0)
	v_mul_f64 v[66:67], v[76:77], v[68:69]
	v_fma_f64 v[66:67], v[74:75], v[82:83], -v[66:67]
	v_mul_f64 v[74:75], v[74:75], v[68:69]
	v_add_f64 v[58:59], v[58:59], -v[66:67]
	v_fma_f64 v[74:75], v[76:77], v[82:83], v[74:75]
	v_add_f64 v[60:61], v[60:61], -v[74:75]
	;; [unrolled: 8-line block ×16, first 2 shown]
	ds_read2_b64 v[74:77], v1 offset0:34 offset1:35
	s_waitcnt lgkmcnt(0)
	v_mul_f64 v[66:67], v[76:77], v[68:69]
	v_fma_f64 v[66:67], v[74:75], v[82:83], -v[66:67]
	v_mul_f64 v[74:75], v[74:75], v[68:69]
	v_add_f64 v[70:71], v[70:71], -v[66:67]
	v_fma_f64 v[74:75], v[76:77], v[82:83], v[74:75]
	v_mov_b32_e32 v66, v82
	v_mov_b32_e32 v67, v83
	v_add_f64 v[72:73], v[72:73], -v[74:75]
.LBB34_22:
	s_or_b64 exec, exec, s[0:1]
	v_lshl_add_u32 v74, v84, 4, v1
	s_barrier
	ds_write2_b64 v74, v[62:63], v[64:65] offset1:1
	s_waitcnt lgkmcnt(0)
	s_barrier
	ds_read2_b64 v[74:77], v1 offset0:2 offset1:3
	s_cmp_lt_i32 s22, 3
	v_mov_b32_e32 v82, 1
	s_cbranch_scc1 .LBB34_25
; %bb.23:
	v_add3_u32 v83, v88, 0, 32
	s_mov_b32 s7, 2
	v_mov_b32_e32 v82, 1
.LBB34_24:                              ; =>This Inner Loop Header: Depth=1
	s_waitcnt lgkmcnt(0)
	v_cmp_gt_f64_e32 vcc, 0, v[76:77]
	v_cmp_gt_f64_e64 s[0:1], 0, v[74:75]
	ds_read2_b64 v[90:93], v83 offset1:1
	v_xor_b32_e32 v95, 0x80000000, v75
	v_xor_b32_e32 v97, 0x80000000, v77
	v_mov_b32_e32 v94, v74
	v_mov_b32_e32 v96, v76
	s_waitcnt lgkmcnt(0)
	v_xor_b32_e32 v99, 0x80000000, v93
	v_cndmask_b32_e32 v97, v77, v97, vcc
	v_cndmask_b32_e64 v95, v75, v95, s[0:1]
	v_cmp_gt_f64_e32 vcc, 0, v[92:93]
	v_cmp_gt_f64_e64 s[0:1], 0, v[90:91]
	v_add_f64 v[94:95], v[94:95], v[96:97]
	v_xor_b32_e32 v97, 0x80000000, v91
	v_mov_b32_e32 v96, v90
	v_mov_b32_e32 v98, v92
	v_add_u32_e32 v83, 16, v83
	v_cndmask_b32_e32 v99, v93, v99, vcc
	v_cndmask_b32_e64 v97, v91, v97, s[0:1]
	v_add_f64 v[96:97], v[96:97], v[98:99]
	v_mov_b32_e32 v98, s7
	s_add_i32 s7, s7, 1
	s_cmp_lg_u32 s22, s7
	v_cmp_lt_f64_e32 vcc, v[94:95], v[96:97]
	v_cndmask_b32_e32 v75, v75, v91, vcc
	v_cndmask_b32_e32 v74, v74, v90, vcc
	;; [unrolled: 1-line block ×5, first 2 shown]
	s_cbranch_scc1 .LBB34_24
.LBB34_25:
	s_waitcnt lgkmcnt(0)
	v_cmp_neq_f64_e32 vcc, 0, v[74:75]
	v_cmp_neq_f64_e64 s[0:1], 0, v[76:77]
	s_or_b64 s[8:9], vcc, s[0:1]
	s_and_saveexec_b64 s[0:1], s[8:9]
	s_cbranch_execz .LBB34_31
; %bb.26:
	v_cmp_ngt_f64_e64 s[8:9], |v[74:75]|, |v[76:77]|
	s_and_saveexec_b64 s[20:21], s[8:9]
	s_xor_b64 s[8:9], exec, s[20:21]
	s_cbranch_execz .LBB34_28
; %bb.27:
	v_div_scale_f64 v[90:91], s[20:21], v[76:77], v[76:77], v[74:75]
	v_rcp_f64_e32 v[92:93], v[90:91]
	v_fma_f64 v[94:95], -v[90:91], v[92:93], 1.0
	v_fma_f64 v[92:93], v[92:93], v[94:95], v[92:93]
	v_div_scale_f64 v[94:95], vcc, v[74:75], v[76:77], v[74:75]
	v_fma_f64 v[96:97], -v[90:91], v[92:93], 1.0
	v_fma_f64 v[92:93], v[92:93], v[96:97], v[92:93]
	v_mul_f64 v[96:97], v[94:95], v[92:93]
	v_fma_f64 v[90:91], -v[90:91], v[96:97], v[94:95]
	v_div_fmas_f64 v[90:91], v[90:91], v[92:93], v[96:97]
	v_div_fixup_f64 v[90:91], v[90:91], v[76:77], v[74:75]
	v_fma_f64 v[74:75], v[74:75], v[90:91], v[76:77]
	v_div_scale_f64 v[76:77], s[20:21], v[74:75], v[74:75], 1.0
	v_div_scale_f64 v[96:97], vcc, 1.0, v[74:75], 1.0
	v_rcp_f64_e32 v[92:93], v[76:77]
	v_fma_f64 v[94:95], -v[76:77], v[92:93], 1.0
	v_fma_f64 v[92:93], v[92:93], v[94:95], v[92:93]
	v_fma_f64 v[94:95], -v[76:77], v[92:93], 1.0
	v_fma_f64 v[92:93], v[92:93], v[94:95], v[92:93]
	v_mul_f64 v[94:95], v[96:97], v[92:93]
	v_fma_f64 v[76:77], -v[76:77], v[94:95], v[96:97]
	v_div_fmas_f64 v[76:77], v[76:77], v[92:93], v[94:95]
	v_div_fixup_f64 v[76:77], v[76:77], v[74:75], 1.0
	v_mul_f64 v[74:75], v[90:91], v[76:77]
	v_xor_b32_e32 v77, 0x80000000, v77
.LBB34_28:
	s_andn2_saveexec_b64 s[8:9], s[8:9]
	s_cbranch_execz .LBB34_30
; %bb.29:
	v_div_scale_f64 v[90:91], s[20:21], v[74:75], v[74:75], v[76:77]
	v_rcp_f64_e32 v[92:93], v[90:91]
	v_fma_f64 v[94:95], -v[90:91], v[92:93], 1.0
	v_fma_f64 v[92:93], v[92:93], v[94:95], v[92:93]
	v_div_scale_f64 v[94:95], vcc, v[76:77], v[74:75], v[76:77]
	v_fma_f64 v[96:97], -v[90:91], v[92:93], 1.0
	v_fma_f64 v[92:93], v[92:93], v[96:97], v[92:93]
	v_mul_f64 v[96:97], v[94:95], v[92:93]
	v_fma_f64 v[90:91], -v[90:91], v[96:97], v[94:95]
	v_div_fmas_f64 v[90:91], v[90:91], v[92:93], v[96:97]
	v_div_fixup_f64 v[90:91], v[90:91], v[74:75], v[76:77]
	v_fma_f64 v[74:75], v[76:77], v[90:91], v[74:75]
	v_div_scale_f64 v[76:77], s[20:21], v[74:75], v[74:75], 1.0
	v_div_scale_f64 v[96:97], vcc, 1.0, v[74:75], 1.0
	v_rcp_f64_e32 v[92:93], v[76:77]
	v_fma_f64 v[94:95], -v[76:77], v[92:93], 1.0
	v_fma_f64 v[92:93], v[92:93], v[94:95], v[92:93]
	v_fma_f64 v[94:95], -v[76:77], v[92:93], 1.0
	v_fma_f64 v[92:93], v[92:93], v[94:95], v[92:93]
	v_mul_f64 v[94:95], v[96:97], v[92:93]
	v_fma_f64 v[76:77], -v[76:77], v[94:95], v[96:97]
	v_div_fmas_f64 v[76:77], v[76:77], v[92:93], v[94:95]
	v_div_fixup_f64 v[74:75], v[76:77], v[74:75], 1.0
	v_mul_f64 v[76:77], v[90:91], -v[74:75]
.LBB34_30:
	s_or_b64 exec, exec, s[8:9]
	v_mov_b32_e32 v87, v89
.LBB34_31:
	s_or_b64 exec, exec, s[0:1]
	v_cmp_ne_u32_e32 vcc, v84, v82
	s_and_saveexec_b64 s[0:1], vcc
	s_xor_b64 s[0:1], exec, s[0:1]
	s_cbranch_execz .LBB34_37
; %bb.32:
	v_cmp_eq_u32_e32 vcc, 1, v84
	s_and_saveexec_b64 s[8:9], vcc
	s_cbranch_execz .LBB34_36
; %bb.33:
	v_cmp_ne_u32_e32 vcc, 1, v82
	s_xor_b64 s[20:21], s[18:19], -1
	s_and_b64 s[24:25], s[20:21], vcc
	s_and_saveexec_b64 s[20:21], s[24:25]
	s_cbranch_execz .LBB34_35
; %bb.34:
	v_ashrrev_i32_e32 v83, 31, v82
	v_lshlrev_b64 v[83:84], 2, v[82:83]
	v_add_co_u32_e32 v83, vcc, v80, v83
	v_addc_co_u32_e32 v84, vcc, v81, v84, vcc
	global_load_dword v0, v[83:84], off
	global_load_dword v89, v[80:81], off offset:4
	s_waitcnt vmcnt(1)
	global_store_dword v[80:81], v0, off offset:4
	s_waitcnt vmcnt(1)
	global_store_dword v[83:84], v89, off
.LBB34_35:
	s_or_b64 exec, exec, s[20:21]
	v_mov_b32_e32 v84, v82
	v_mov_b32_e32 v0, v82
.LBB34_36:
	s_or_b64 exec, exec, s[8:9]
.LBB34_37:
	s_andn2_saveexec_b64 s[0:1], s[0:1]
	s_cbranch_execz .LBB34_39
; %bb.38:
	v_mov_b32_e32 v84, 1
	ds_write2_b64 v1, v[58:59], v[60:61] offset0:4 offset1:5
	ds_write2_b64 v1, v[54:55], v[56:57] offset0:6 offset1:7
	;; [unrolled: 1-line block ×16, first 2 shown]
.LBB34_39:
	s_or_b64 exec, exec, s[0:1]
	v_cmp_lt_i32_e32 vcc, 1, v84
	s_waitcnt vmcnt(0) lgkmcnt(0)
	s_barrier
	s_and_saveexec_b64 s[0:1], vcc
	s_cbranch_execz .LBB34_41
; %bb.40:
	v_mul_f64 v[82:83], v[74:75], v[64:65]
	v_mul_f64 v[113:114], v[76:77], v[64:65]
	ds_read2_b64 v[89:92], v1 offset0:4 offset1:5
	ds_read2_b64 v[93:96], v1 offset0:6 offset1:7
	;; [unrolled: 1-line block ×6, first 2 shown]
	v_fma_f64 v[64:65], v[76:77], v[62:63], v[82:83]
	v_fma_f64 v[62:63], v[74:75], v[62:63], -v[113:114]
	s_waitcnt lgkmcnt(5)
	v_mul_f64 v[74:75], v[91:92], v[64:65]
	v_mul_f64 v[76:77], v[89:90], v[64:65]
	s_waitcnt lgkmcnt(4)
	v_mul_f64 v[113:114], v[93:94], v[64:65]
	s_waitcnt lgkmcnt(3)
	v_mul_f64 v[115:116], v[99:100], v[64:65]
	v_mul_f64 v[82:83], v[95:96], v[64:65]
	;; [unrolled: 1-line block ×3, first 2 shown]
	s_waitcnt lgkmcnt(2)
	v_mul_f64 v[119:120], v[103:104], v[64:65]
	v_mul_f64 v[121:122], v[101:102], v[64:65]
	v_fma_f64 v[74:75], v[89:90], v[62:63], -v[74:75]
	v_fma_f64 v[76:77], v[91:92], v[62:63], v[76:77]
	v_fma_f64 v[89:90], v[95:96], v[62:63], v[113:114]
	v_fma_f64 v[91:92], v[97:98], v[62:63], -v[115:116]
	v_fma_f64 v[82:83], v[93:94], v[62:63], -v[82:83]
	s_waitcnt lgkmcnt(1)
	v_mul_f64 v[123:124], v[107:108], v[64:65]
	v_fma_f64 v[93:94], v[99:100], v[62:63], v[117:118]
	v_fma_f64 v[95:96], v[101:102], v[62:63], -v[119:120]
	v_fma_f64 v[97:98], v[103:104], v[62:63], v[121:122]
	v_add_f64 v[58:59], v[58:59], -v[74:75]
	v_add_f64 v[60:61], v[60:61], -v[76:77]
	;; [unrolled: 1-line block ×4, first 2 shown]
	ds_read2_b64 v[74:77], v1 offset0:16 offset1:17
	ds_read2_b64 v[89:92], v1 offset0:18 offset1:19
	v_add_f64 v[54:55], v[54:55], -v[82:83]
	v_mul_f64 v[82:83], v[105:106], v[64:65]
	v_add_f64 v[52:53], v[52:53], -v[93:94]
	v_add_f64 v[46:47], v[46:47], -v[95:96]
	s_waitcnt lgkmcnt(0)
	v_mul_f64 v[103:104], v[91:92], v[64:65]
	v_add_f64 v[48:49], v[48:49], -v[97:98]
	v_mul_f64 v[93:94], v[111:112], v[64:65]
	v_mul_f64 v[95:96], v[109:110], v[64:65]
	v_fma_f64 v[97:98], v[105:106], v[62:63], -v[123:124]
	v_mul_f64 v[99:100], v[76:77], v[64:65]
	v_mul_f64 v[101:102], v[74:75], v[64:65]
	v_fma_f64 v[82:83], v[107:108], v[62:63], v[82:83]
	v_mul_f64 v[105:106], v[89:90], v[64:65]
	v_fma_f64 v[89:90], v[89:90], v[62:63], -v[103:104]
	v_fma_f64 v[93:94], v[109:110], v[62:63], -v[93:94]
	v_fma_f64 v[95:96], v[111:112], v[62:63], v[95:96]
	v_add_f64 v[42:43], v[42:43], -v[97:98]
	v_fma_f64 v[97:98], v[74:75], v[62:63], -v[99:100]
	v_fma_f64 v[99:100], v[76:77], v[62:63], v[101:102]
	ds_read2_b64 v[74:77], v1 offset0:20 offset1:21
	v_add_f64 v[44:45], v[44:45], -v[82:83]
	v_fma_f64 v[82:83], v[91:92], v[62:63], v[105:106]
	v_add_f64 v[30:31], v[30:31], -v[89:90]
	ds_read2_b64 v[89:92], v1 offset0:22 offset1:23
	s_waitcnt lgkmcnt(1)
	v_mul_f64 v[101:102], v[76:77], v[64:65]
	v_add_f64 v[38:39], v[38:39], -v[93:94]
	v_add_f64 v[40:41], v[40:41], -v[95:96]
	;; [unrolled: 1-line block ×4, first 2 shown]
	ds_read2_b64 v[93:96], v1 offset0:24 offset1:25
	ds_read2_b64 v[97:100], v1 offset0:26 offset1:27
	v_add_f64 v[32:33], v[32:33], -v[82:83]
	v_mul_f64 v[82:83], v[74:75], v[64:65]
	s_waitcnt lgkmcnt(2)
	v_mul_f64 v[103:104], v[91:92], v[64:65]
	v_mul_f64 v[105:106], v[89:90], v[64:65]
	s_waitcnt lgkmcnt(1)
	v_mul_f64 v[107:108], v[95:96], v[64:65]
	v_fma_f64 v[74:75], v[74:75], v[62:63], -v[101:102]
	v_mul_f64 v[101:102], v[93:94], v[64:65]
	s_waitcnt lgkmcnt(0)
	v_mul_f64 v[109:110], v[99:100], v[64:65]
	v_mul_f64 v[111:112], v[97:98], v[64:65]
	v_fma_f64 v[76:77], v[76:77], v[62:63], v[82:83]
	v_fma_f64 v[82:83], v[89:90], v[62:63], -v[103:104]
	v_fma_f64 v[89:90], v[91:92], v[62:63], v[105:106]
	v_fma_f64 v[91:92], v[93:94], v[62:63], -v[107:108]
	v_add_f64 v[26:27], v[26:27], -v[74:75]
	v_fma_f64 v[93:94], v[95:96], v[62:63], v[101:102]
	v_fma_f64 v[95:96], v[97:98], v[62:63], -v[109:110]
	v_fma_f64 v[97:98], v[99:100], v[62:63], v[111:112]
	v_add_f64 v[28:29], v[28:29], -v[76:77]
	ds_read2_b64 v[74:77], v1 offset0:28 offset1:29
	v_add_f64 v[24:25], v[24:25], -v[89:90]
	v_add_f64 v[18:19], v[18:19], -v[91:92]
	ds_read2_b64 v[89:92], v1 offset0:30 offset1:31
	v_add_f64 v[20:21], v[20:21], -v[93:94]
	v_add_f64 v[14:15], v[14:15], -v[95:96]
	;; [unrolled: 1-line block ×3, first 2 shown]
	ds_read2_b64 v[93:96], v1 offset0:32 offset1:33
	ds_read2_b64 v[97:100], v1 offset0:34 offset1:35
	v_add_f64 v[22:23], v[22:23], -v[82:83]
	s_waitcnt lgkmcnt(3)
	v_mul_f64 v[82:83], v[76:77], v[64:65]
	v_mul_f64 v[101:102], v[74:75], v[64:65]
	s_waitcnt lgkmcnt(2)
	v_mul_f64 v[103:104], v[91:92], v[64:65]
	v_mul_f64 v[105:106], v[89:90], v[64:65]
	s_waitcnt lgkmcnt(1)
	v_mul_f64 v[107:108], v[95:96], v[64:65]
	v_mul_f64 v[109:110], v[93:94], v[64:65]
	s_waitcnt lgkmcnt(0)
	v_mul_f64 v[111:112], v[99:100], v[64:65]
	v_mul_f64 v[113:114], v[97:98], v[64:65]
	v_fma_f64 v[74:75], v[74:75], v[62:63], -v[82:83]
	v_fma_f64 v[76:77], v[76:77], v[62:63], v[101:102]
	v_fma_f64 v[82:83], v[89:90], v[62:63], -v[103:104]
	v_fma_f64 v[89:90], v[91:92], v[62:63], v[105:106]
	;; [unrolled: 2-line block ×4, first 2 shown]
	v_add_f64 v[10:11], v[10:11], -v[74:75]
	v_add_f64 v[12:13], v[12:13], -v[76:77]
	;; [unrolled: 1-line block ×8, first 2 shown]
.LBB34_41:
	s_or_b64 exec, exec, s[0:1]
	v_lshl_add_u32 v74, v84, 4, v1
	s_barrier
	ds_write2_b64 v74, v[58:59], v[60:61] offset1:1
	s_waitcnt lgkmcnt(0)
	s_barrier
	ds_read2_b64 v[74:77], v1 offset0:4 offset1:5
	s_cmp_lt_i32 s22, 4
	v_mov_b32_e32 v82, 2
	s_cbranch_scc1 .LBB34_44
; %bb.42:
	v_add3_u32 v83, v88, 0, 48
	s_mov_b32 s7, 3
	v_mov_b32_e32 v82, 2
.LBB34_43:                              ; =>This Inner Loop Header: Depth=1
	s_waitcnt lgkmcnt(0)
	v_cmp_gt_f64_e32 vcc, 0, v[76:77]
	v_cmp_gt_f64_e64 s[0:1], 0, v[74:75]
	ds_read2_b64 v[89:92], v83 offset1:1
	v_xor_b32_e32 v94, 0x80000000, v75
	v_xor_b32_e32 v96, 0x80000000, v77
	v_mov_b32_e32 v93, v74
	v_mov_b32_e32 v95, v76
	s_waitcnt lgkmcnt(0)
	v_xor_b32_e32 v98, 0x80000000, v92
	v_cndmask_b32_e32 v96, v77, v96, vcc
	v_cndmask_b32_e64 v94, v75, v94, s[0:1]
	v_cmp_gt_f64_e32 vcc, 0, v[91:92]
	v_cmp_gt_f64_e64 s[0:1], 0, v[89:90]
	v_add_f64 v[93:94], v[93:94], v[95:96]
	v_xor_b32_e32 v96, 0x80000000, v90
	v_mov_b32_e32 v95, v89
	v_mov_b32_e32 v97, v91
	v_add_u32_e32 v83, 16, v83
	v_cndmask_b32_e32 v98, v92, v98, vcc
	v_cndmask_b32_e64 v96, v90, v96, s[0:1]
	v_add_f64 v[95:96], v[95:96], v[97:98]
	v_mov_b32_e32 v97, s7
	s_add_i32 s7, s7, 1
	s_cmp_lg_u32 s22, s7
	v_cmp_lt_f64_e32 vcc, v[93:94], v[95:96]
	v_cndmask_b32_e32 v75, v75, v90, vcc
	v_cndmask_b32_e32 v74, v74, v89, vcc
	;; [unrolled: 1-line block ×5, first 2 shown]
	s_cbranch_scc1 .LBB34_43
.LBB34_44:
	s_waitcnt lgkmcnt(0)
	v_cmp_eq_f64_e32 vcc, 0, v[74:75]
	v_cmp_eq_f64_e64 s[0:1], 0, v[76:77]
	s_and_b64 s[0:1], vcc, s[0:1]
	s_and_saveexec_b64 s[8:9], s[0:1]
	s_xor_b64 s[0:1], exec, s[8:9]
; %bb.45:
	v_cmp_ne_u32_e32 vcc, 0, v87
	v_cndmask_b32_e32 v87, 3, v87, vcc
; %bb.46:
	s_andn2_saveexec_b64 s[0:1], s[0:1]
	s_cbranch_execz .LBB34_52
; %bb.47:
	v_cmp_ngt_f64_e64 s[8:9], |v[74:75]|, |v[76:77]|
	s_and_saveexec_b64 s[20:21], s[8:9]
	s_xor_b64 s[8:9], exec, s[20:21]
	s_cbranch_execz .LBB34_49
; %bb.48:
	v_div_scale_f64 v[89:90], s[20:21], v[76:77], v[76:77], v[74:75]
	v_rcp_f64_e32 v[91:92], v[89:90]
	v_fma_f64 v[93:94], -v[89:90], v[91:92], 1.0
	v_fma_f64 v[91:92], v[91:92], v[93:94], v[91:92]
	v_div_scale_f64 v[93:94], vcc, v[74:75], v[76:77], v[74:75]
	v_fma_f64 v[95:96], -v[89:90], v[91:92], 1.0
	v_fma_f64 v[91:92], v[91:92], v[95:96], v[91:92]
	v_mul_f64 v[95:96], v[93:94], v[91:92]
	v_fma_f64 v[89:90], -v[89:90], v[95:96], v[93:94]
	v_div_fmas_f64 v[89:90], v[89:90], v[91:92], v[95:96]
	v_div_fixup_f64 v[89:90], v[89:90], v[76:77], v[74:75]
	v_fma_f64 v[74:75], v[74:75], v[89:90], v[76:77]
	v_div_scale_f64 v[76:77], s[20:21], v[74:75], v[74:75], 1.0
	v_div_scale_f64 v[95:96], vcc, 1.0, v[74:75], 1.0
	v_rcp_f64_e32 v[91:92], v[76:77]
	v_fma_f64 v[93:94], -v[76:77], v[91:92], 1.0
	v_fma_f64 v[91:92], v[91:92], v[93:94], v[91:92]
	v_fma_f64 v[93:94], -v[76:77], v[91:92], 1.0
	v_fma_f64 v[91:92], v[91:92], v[93:94], v[91:92]
	v_mul_f64 v[93:94], v[95:96], v[91:92]
	v_fma_f64 v[76:77], -v[76:77], v[93:94], v[95:96]
	v_div_fmas_f64 v[76:77], v[76:77], v[91:92], v[93:94]
	v_div_fixup_f64 v[76:77], v[76:77], v[74:75], 1.0
	v_mul_f64 v[74:75], v[89:90], v[76:77]
	v_xor_b32_e32 v77, 0x80000000, v77
.LBB34_49:
	s_andn2_saveexec_b64 s[8:9], s[8:9]
	s_cbranch_execz .LBB34_51
; %bb.50:
	v_div_scale_f64 v[89:90], s[20:21], v[74:75], v[74:75], v[76:77]
	v_rcp_f64_e32 v[91:92], v[89:90]
	v_fma_f64 v[93:94], -v[89:90], v[91:92], 1.0
	v_fma_f64 v[91:92], v[91:92], v[93:94], v[91:92]
	v_div_scale_f64 v[93:94], vcc, v[76:77], v[74:75], v[76:77]
	v_fma_f64 v[95:96], -v[89:90], v[91:92], 1.0
	v_fma_f64 v[91:92], v[91:92], v[95:96], v[91:92]
	v_mul_f64 v[95:96], v[93:94], v[91:92]
	v_fma_f64 v[89:90], -v[89:90], v[95:96], v[93:94]
	v_div_fmas_f64 v[89:90], v[89:90], v[91:92], v[95:96]
	v_div_fixup_f64 v[89:90], v[89:90], v[74:75], v[76:77]
	v_fma_f64 v[74:75], v[76:77], v[89:90], v[74:75]
	v_div_scale_f64 v[76:77], s[20:21], v[74:75], v[74:75], 1.0
	v_div_scale_f64 v[95:96], vcc, 1.0, v[74:75], 1.0
	v_rcp_f64_e32 v[91:92], v[76:77]
	v_fma_f64 v[93:94], -v[76:77], v[91:92], 1.0
	v_fma_f64 v[91:92], v[91:92], v[93:94], v[91:92]
	v_fma_f64 v[93:94], -v[76:77], v[91:92], 1.0
	v_fma_f64 v[91:92], v[91:92], v[93:94], v[91:92]
	v_mul_f64 v[93:94], v[95:96], v[91:92]
	v_fma_f64 v[76:77], -v[76:77], v[93:94], v[95:96]
	v_div_fmas_f64 v[76:77], v[76:77], v[91:92], v[93:94]
	v_div_fixup_f64 v[74:75], v[76:77], v[74:75], 1.0
	v_mul_f64 v[76:77], v[89:90], -v[74:75]
.LBB34_51:
	s_or_b64 exec, exec, s[8:9]
.LBB34_52:
	s_or_b64 exec, exec, s[0:1]
	v_cmp_ne_u32_e32 vcc, v84, v82
	s_and_saveexec_b64 s[0:1], vcc
	s_xor_b64 s[0:1], exec, s[0:1]
	s_cbranch_execz .LBB34_58
; %bb.53:
	v_cmp_eq_u32_e32 vcc, 2, v84
	s_and_saveexec_b64 s[8:9], vcc
	s_cbranch_execz .LBB34_57
; %bb.54:
	v_cmp_ne_u32_e32 vcc, 2, v82
	s_xor_b64 s[20:21], s[18:19], -1
	s_and_b64 s[24:25], s[20:21], vcc
	s_and_saveexec_b64 s[20:21], s[24:25]
	s_cbranch_execz .LBB34_56
; %bb.55:
	v_ashrrev_i32_e32 v83, 31, v82
	v_lshlrev_b64 v[83:84], 2, v[82:83]
	v_add_co_u32_e32 v83, vcc, v80, v83
	v_addc_co_u32_e32 v84, vcc, v81, v84, vcc
	global_load_dword v0, v[83:84], off
	global_load_dword v89, v[80:81], off offset:8
	s_waitcnt vmcnt(1)
	global_store_dword v[80:81], v0, off offset:8
	s_waitcnt vmcnt(1)
	global_store_dword v[83:84], v89, off
.LBB34_56:
	s_or_b64 exec, exec, s[20:21]
	v_mov_b32_e32 v84, v82
	v_mov_b32_e32 v0, v82
.LBB34_57:
	s_or_b64 exec, exec, s[8:9]
.LBB34_58:
	s_andn2_saveexec_b64 s[0:1], s[0:1]
	s_cbranch_execz .LBB34_60
; %bb.59:
	v_mov_b32_e32 v84, 2
	ds_write2_b64 v1, v[54:55], v[56:57] offset0:6 offset1:7
	ds_write2_b64 v1, v[50:51], v[52:53] offset0:8 offset1:9
	;; [unrolled: 1-line block ×15, first 2 shown]
.LBB34_60:
	s_or_b64 exec, exec, s[0:1]
	v_cmp_lt_i32_e32 vcc, 2, v84
	s_waitcnt vmcnt(0) lgkmcnt(0)
	s_barrier
	s_and_saveexec_b64 s[0:1], vcc
	s_cbranch_execz .LBB34_62
; %bb.61:
	v_mul_f64 v[82:83], v[74:75], v[60:61]
	v_mul_f64 v[60:61], v[76:77], v[60:61]
	v_fma_f64 v[82:83], v[76:77], v[58:59], v[82:83]
	v_fma_f64 v[58:59], v[74:75], v[58:59], -v[60:61]
	ds_read2_b64 v[74:77], v1 offset0:6 offset1:7
	s_waitcnt lgkmcnt(0)
	v_mul_f64 v[60:61], v[76:77], v[82:83]
	v_fma_f64 v[60:61], v[74:75], v[58:59], -v[60:61]
	v_mul_f64 v[74:75], v[74:75], v[82:83]
	v_add_f64 v[54:55], v[54:55], -v[60:61]
	v_fma_f64 v[74:75], v[76:77], v[58:59], v[74:75]
	v_add_f64 v[56:57], v[56:57], -v[74:75]
	ds_read2_b64 v[74:77], v1 offset0:8 offset1:9
	s_waitcnt lgkmcnt(0)
	v_mul_f64 v[60:61], v[76:77], v[82:83]
	v_fma_f64 v[60:61], v[74:75], v[58:59], -v[60:61]
	v_mul_f64 v[74:75], v[74:75], v[82:83]
	v_add_f64 v[50:51], v[50:51], -v[60:61]
	v_fma_f64 v[74:75], v[76:77], v[58:59], v[74:75]
	v_add_f64 v[52:53], v[52:53], -v[74:75]
	;; [unrolled: 8-line block ×14, first 2 shown]
	ds_read2_b64 v[74:77], v1 offset0:34 offset1:35
	s_waitcnt lgkmcnt(0)
	v_mul_f64 v[60:61], v[76:77], v[82:83]
	v_fma_f64 v[60:61], v[74:75], v[58:59], -v[60:61]
	v_mul_f64 v[74:75], v[74:75], v[82:83]
	v_add_f64 v[70:71], v[70:71], -v[60:61]
	v_fma_f64 v[74:75], v[76:77], v[58:59], v[74:75]
	v_mov_b32_e32 v60, v82
	v_mov_b32_e32 v61, v83
	v_add_f64 v[72:73], v[72:73], -v[74:75]
.LBB34_62:
	s_or_b64 exec, exec, s[0:1]
	v_lshl_add_u32 v74, v84, 4, v1
	s_barrier
	ds_write2_b64 v74, v[54:55], v[56:57] offset1:1
	s_waitcnt lgkmcnt(0)
	s_barrier
	ds_read2_b64 v[74:77], v1 offset0:6 offset1:7
	s_mov_b32 s7, 4
	s_cmp_lt_i32 s22, 5
	v_mov_b32_e32 v82, 3
	s_cbranch_scc1 .LBB34_65
; %bb.63:
	v_add3_u32 v83, v88, 0, 64
	v_mov_b32_e32 v82, 3
.LBB34_64:                              ; =>This Inner Loop Header: Depth=1
	s_waitcnt lgkmcnt(0)
	v_cmp_gt_f64_e32 vcc, 0, v[76:77]
	v_cmp_gt_f64_e64 s[0:1], 0, v[74:75]
	ds_read2_b64 v[88:91], v83 offset1:1
	v_xor_b32_e32 v93, 0x80000000, v75
	v_xor_b32_e32 v95, 0x80000000, v77
	v_mov_b32_e32 v92, v74
	v_mov_b32_e32 v94, v76
	s_waitcnt lgkmcnt(0)
	v_xor_b32_e32 v97, 0x80000000, v91
	v_cndmask_b32_e32 v95, v77, v95, vcc
	v_cndmask_b32_e64 v93, v75, v93, s[0:1]
	v_cmp_gt_f64_e32 vcc, 0, v[90:91]
	v_cmp_gt_f64_e64 s[0:1], 0, v[88:89]
	v_add_f64 v[92:93], v[92:93], v[94:95]
	v_xor_b32_e32 v95, 0x80000000, v89
	v_mov_b32_e32 v94, v88
	v_mov_b32_e32 v96, v90
	v_add_u32_e32 v83, 16, v83
	v_cndmask_b32_e32 v97, v91, v97, vcc
	v_cndmask_b32_e64 v95, v89, v95, s[0:1]
	v_add_f64 v[94:95], v[94:95], v[96:97]
	v_mov_b32_e32 v96, s7
	s_add_i32 s7, s7, 1
	s_cmp_lg_u32 s22, s7
	v_cmp_lt_f64_e32 vcc, v[92:93], v[94:95]
	v_cndmask_b32_e32 v75, v75, v89, vcc
	v_cndmask_b32_e32 v74, v74, v88, vcc
	;; [unrolled: 1-line block ×5, first 2 shown]
	s_cbranch_scc1 .LBB34_64
.LBB34_65:
	s_waitcnt lgkmcnt(0)
	v_cmp_eq_f64_e32 vcc, 0, v[74:75]
	v_cmp_eq_f64_e64 s[0:1], 0, v[76:77]
	s_and_b64 s[0:1], vcc, s[0:1]
	s_and_saveexec_b64 s[8:9], s[0:1]
	s_xor_b64 s[0:1], exec, s[8:9]
; %bb.66:
	v_cmp_ne_u32_e32 vcc, 0, v87
	v_cndmask_b32_e32 v87, 4, v87, vcc
; %bb.67:
	s_andn2_saveexec_b64 s[0:1], s[0:1]
	s_cbranch_execz .LBB34_73
; %bb.68:
	v_cmp_ngt_f64_e64 s[8:9], |v[74:75]|, |v[76:77]|
	s_and_saveexec_b64 s[20:21], s[8:9]
	s_xor_b64 s[8:9], exec, s[20:21]
	s_cbranch_execz .LBB34_70
; %bb.69:
	v_div_scale_f64 v[88:89], s[20:21], v[76:77], v[76:77], v[74:75]
	v_rcp_f64_e32 v[90:91], v[88:89]
	v_fma_f64 v[92:93], -v[88:89], v[90:91], 1.0
	v_fma_f64 v[90:91], v[90:91], v[92:93], v[90:91]
	v_div_scale_f64 v[92:93], vcc, v[74:75], v[76:77], v[74:75]
	v_fma_f64 v[94:95], -v[88:89], v[90:91], 1.0
	v_fma_f64 v[90:91], v[90:91], v[94:95], v[90:91]
	v_mul_f64 v[94:95], v[92:93], v[90:91]
	v_fma_f64 v[88:89], -v[88:89], v[94:95], v[92:93]
	v_div_fmas_f64 v[88:89], v[88:89], v[90:91], v[94:95]
	v_div_fixup_f64 v[88:89], v[88:89], v[76:77], v[74:75]
	v_fma_f64 v[74:75], v[74:75], v[88:89], v[76:77]
	v_div_scale_f64 v[76:77], s[20:21], v[74:75], v[74:75], 1.0
	v_div_scale_f64 v[94:95], vcc, 1.0, v[74:75], 1.0
	v_rcp_f64_e32 v[90:91], v[76:77]
	v_fma_f64 v[92:93], -v[76:77], v[90:91], 1.0
	v_fma_f64 v[90:91], v[90:91], v[92:93], v[90:91]
	v_fma_f64 v[92:93], -v[76:77], v[90:91], 1.0
	v_fma_f64 v[90:91], v[90:91], v[92:93], v[90:91]
	v_mul_f64 v[92:93], v[94:95], v[90:91]
	v_fma_f64 v[76:77], -v[76:77], v[92:93], v[94:95]
	v_div_fmas_f64 v[76:77], v[76:77], v[90:91], v[92:93]
	v_div_fixup_f64 v[76:77], v[76:77], v[74:75], 1.0
	v_mul_f64 v[74:75], v[88:89], v[76:77]
	v_xor_b32_e32 v77, 0x80000000, v77
.LBB34_70:
	s_andn2_saveexec_b64 s[8:9], s[8:9]
	s_cbranch_execz .LBB34_72
; %bb.71:
	v_div_scale_f64 v[88:89], s[20:21], v[74:75], v[74:75], v[76:77]
	v_rcp_f64_e32 v[90:91], v[88:89]
	v_fma_f64 v[92:93], -v[88:89], v[90:91], 1.0
	v_fma_f64 v[90:91], v[90:91], v[92:93], v[90:91]
	v_div_scale_f64 v[92:93], vcc, v[76:77], v[74:75], v[76:77]
	v_fma_f64 v[94:95], -v[88:89], v[90:91], 1.0
	v_fma_f64 v[90:91], v[90:91], v[94:95], v[90:91]
	v_mul_f64 v[94:95], v[92:93], v[90:91]
	v_fma_f64 v[88:89], -v[88:89], v[94:95], v[92:93]
	v_div_fmas_f64 v[88:89], v[88:89], v[90:91], v[94:95]
	v_div_fixup_f64 v[88:89], v[88:89], v[74:75], v[76:77]
	v_fma_f64 v[74:75], v[76:77], v[88:89], v[74:75]
	v_div_scale_f64 v[76:77], s[20:21], v[74:75], v[74:75], 1.0
	v_div_scale_f64 v[94:95], vcc, 1.0, v[74:75], 1.0
	v_rcp_f64_e32 v[90:91], v[76:77]
	v_fma_f64 v[92:93], -v[76:77], v[90:91], 1.0
	v_fma_f64 v[90:91], v[90:91], v[92:93], v[90:91]
	v_fma_f64 v[92:93], -v[76:77], v[90:91], 1.0
	v_fma_f64 v[90:91], v[90:91], v[92:93], v[90:91]
	v_mul_f64 v[92:93], v[94:95], v[90:91]
	v_fma_f64 v[76:77], -v[76:77], v[92:93], v[94:95]
	v_div_fmas_f64 v[76:77], v[76:77], v[90:91], v[92:93]
	v_div_fixup_f64 v[74:75], v[76:77], v[74:75], 1.0
	v_mul_f64 v[76:77], v[88:89], -v[74:75]
.LBB34_72:
	s_or_b64 exec, exec, s[8:9]
.LBB34_73:
	s_or_b64 exec, exec, s[0:1]
	v_cmp_ne_u32_e32 vcc, v84, v82
	s_and_saveexec_b64 s[0:1], vcc
	s_xor_b64 s[0:1], exec, s[0:1]
	s_cbranch_execz .LBB34_79
; %bb.74:
	v_cmp_eq_u32_e32 vcc, 3, v84
	s_and_saveexec_b64 s[8:9], vcc
	s_cbranch_execz .LBB34_78
; %bb.75:
	v_cmp_ne_u32_e32 vcc, 3, v82
	s_xor_b64 s[20:21], s[18:19], -1
	s_and_b64 s[24:25], s[20:21], vcc
	s_and_saveexec_b64 s[20:21], s[24:25]
	s_cbranch_execz .LBB34_77
; %bb.76:
	v_ashrrev_i32_e32 v83, 31, v82
	v_lshlrev_b64 v[83:84], 2, v[82:83]
	v_add_co_u32_e32 v83, vcc, v80, v83
	v_addc_co_u32_e32 v84, vcc, v81, v84, vcc
	global_load_dword v0, v[83:84], off
	global_load_dword v88, v[80:81], off offset:12
	s_waitcnt vmcnt(1)
	global_store_dword v[80:81], v0, off offset:12
	s_waitcnt vmcnt(1)
	global_store_dword v[83:84], v88, off
.LBB34_77:
	s_or_b64 exec, exec, s[20:21]
	v_mov_b32_e32 v84, v82
	v_mov_b32_e32 v0, v82
.LBB34_78:
	s_or_b64 exec, exec, s[8:9]
.LBB34_79:
	s_andn2_saveexec_b64 s[0:1], s[0:1]
	s_cbranch_execz .LBB34_81
; %bb.80:
	v_mov_b32_e32 v84, 3
	ds_write2_b64 v1, v[50:51], v[52:53] offset0:8 offset1:9
	ds_write2_b64 v1, v[46:47], v[48:49] offset0:10 offset1:11
	;; [unrolled: 1-line block ×14, first 2 shown]
.LBB34_81:
	s_or_b64 exec, exec, s[0:1]
	v_cmp_lt_i32_e32 vcc, 3, v84
	s_waitcnt vmcnt(0) lgkmcnt(0)
	s_barrier
	s_and_saveexec_b64 s[0:1], vcc
	s_cbranch_execz .LBB34_83
; %bb.82:
	v_mul_f64 v[82:83], v[74:75], v[56:57]
	v_mul_f64 v[56:57], v[76:77], v[56:57]
	v_fma_f64 v[82:83], v[76:77], v[54:55], v[82:83]
	v_fma_f64 v[54:55], v[74:75], v[54:55], -v[56:57]
	ds_read2_b64 v[74:77], v1 offset0:8 offset1:9
	s_waitcnt lgkmcnt(0)
	v_mul_f64 v[56:57], v[76:77], v[82:83]
	v_fma_f64 v[56:57], v[74:75], v[54:55], -v[56:57]
	v_mul_f64 v[74:75], v[74:75], v[82:83]
	v_add_f64 v[50:51], v[50:51], -v[56:57]
	v_fma_f64 v[74:75], v[76:77], v[54:55], v[74:75]
	v_add_f64 v[52:53], v[52:53], -v[74:75]
	ds_read2_b64 v[74:77], v1 offset0:10 offset1:11
	s_waitcnt lgkmcnt(0)
	v_mul_f64 v[56:57], v[76:77], v[82:83]
	v_fma_f64 v[56:57], v[74:75], v[54:55], -v[56:57]
	v_mul_f64 v[74:75], v[74:75], v[82:83]
	v_add_f64 v[46:47], v[46:47], -v[56:57]
	v_fma_f64 v[74:75], v[76:77], v[54:55], v[74:75]
	v_add_f64 v[48:49], v[48:49], -v[74:75]
	;; [unrolled: 8-line block ×13, first 2 shown]
	ds_read2_b64 v[74:77], v1 offset0:34 offset1:35
	s_waitcnt lgkmcnt(0)
	v_mul_f64 v[56:57], v[76:77], v[82:83]
	v_fma_f64 v[56:57], v[74:75], v[54:55], -v[56:57]
	v_mul_f64 v[74:75], v[74:75], v[82:83]
	v_add_f64 v[70:71], v[70:71], -v[56:57]
	v_fma_f64 v[74:75], v[76:77], v[54:55], v[74:75]
	v_mov_b32_e32 v56, v82
	v_mov_b32_e32 v57, v83
	v_add_f64 v[72:73], v[72:73], -v[74:75]
.LBB34_83:
	s_or_b64 exec, exec, s[0:1]
	v_lshl_add_u32 v74, v84, 4, v1
	s_barrier
	ds_write2_b64 v74, v[50:51], v[52:53] offset1:1
	s_waitcnt lgkmcnt(0)
	s_barrier
	ds_read2_b64 v[74:77], v1 offset0:8 offset1:9
	s_cmp_lt_i32 s22, 6
	v_mov_b32_e32 v82, 4
	s_cbranch_scc1 .LBB34_86
; %bb.84:
	v_mov_b32_e32 v82, 4
	v_add_u32_e32 v83, 0x50, v1
	s_mov_b32 s7, 5
.LBB34_85:                              ; =>This Inner Loop Header: Depth=1
	s_waitcnt lgkmcnt(0)
	v_cmp_gt_f64_e32 vcc, 0, v[76:77]
	v_cmp_gt_f64_e64 s[0:1], 0, v[74:75]
	ds_read2_b64 v[88:91], v83 offset1:1
	v_xor_b32_e32 v93, 0x80000000, v75
	v_xor_b32_e32 v95, 0x80000000, v77
	v_mov_b32_e32 v92, v74
	v_mov_b32_e32 v94, v76
	s_waitcnt lgkmcnt(0)
	v_xor_b32_e32 v97, 0x80000000, v91
	v_cndmask_b32_e32 v95, v77, v95, vcc
	v_cndmask_b32_e64 v93, v75, v93, s[0:1]
	v_cmp_gt_f64_e32 vcc, 0, v[90:91]
	v_cmp_gt_f64_e64 s[0:1], 0, v[88:89]
	v_add_f64 v[92:93], v[92:93], v[94:95]
	v_xor_b32_e32 v95, 0x80000000, v89
	v_mov_b32_e32 v94, v88
	v_mov_b32_e32 v96, v90
	v_add_u32_e32 v83, 16, v83
	v_cndmask_b32_e32 v97, v91, v97, vcc
	v_cndmask_b32_e64 v95, v89, v95, s[0:1]
	v_add_f64 v[94:95], v[94:95], v[96:97]
	v_mov_b32_e32 v96, s7
	s_add_i32 s7, s7, 1
	s_cmp_lg_u32 s22, s7
	v_cmp_lt_f64_e32 vcc, v[92:93], v[94:95]
	v_cndmask_b32_e32 v75, v75, v89, vcc
	v_cndmask_b32_e32 v74, v74, v88, vcc
	;; [unrolled: 1-line block ×5, first 2 shown]
	s_cbranch_scc1 .LBB34_85
.LBB34_86:
	s_waitcnt lgkmcnt(0)
	v_cmp_eq_f64_e32 vcc, 0, v[74:75]
	v_cmp_eq_f64_e64 s[0:1], 0, v[76:77]
	s_and_b64 s[0:1], vcc, s[0:1]
	s_and_saveexec_b64 s[8:9], s[0:1]
	s_xor_b64 s[0:1], exec, s[8:9]
; %bb.87:
	v_cmp_ne_u32_e32 vcc, 0, v87
	v_cndmask_b32_e32 v87, 5, v87, vcc
; %bb.88:
	s_andn2_saveexec_b64 s[0:1], s[0:1]
	s_cbranch_execz .LBB34_94
; %bb.89:
	v_cmp_ngt_f64_e64 s[8:9], |v[74:75]|, |v[76:77]|
	s_and_saveexec_b64 s[20:21], s[8:9]
	s_xor_b64 s[8:9], exec, s[20:21]
	s_cbranch_execz .LBB34_91
; %bb.90:
	v_div_scale_f64 v[88:89], s[20:21], v[76:77], v[76:77], v[74:75]
	v_rcp_f64_e32 v[90:91], v[88:89]
	v_fma_f64 v[92:93], -v[88:89], v[90:91], 1.0
	v_fma_f64 v[90:91], v[90:91], v[92:93], v[90:91]
	v_div_scale_f64 v[92:93], vcc, v[74:75], v[76:77], v[74:75]
	v_fma_f64 v[94:95], -v[88:89], v[90:91], 1.0
	v_fma_f64 v[90:91], v[90:91], v[94:95], v[90:91]
	v_mul_f64 v[94:95], v[92:93], v[90:91]
	v_fma_f64 v[88:89], -v[88:89], v[94:95], v[92:93]
	v_div_fmas_f64 v[88:89], v[88:89], v[90:91], v[94:95]
	v_div_fixup_f64 v[88:89], v[88:89], v[76:77], v[74:75]
	v_fma_f64 v[74:75], v[74:75], v[88:89], v[76:77]
	v_div_scale_f64 v[76:77], s[20:21], v[74:75], v[74:75], 1.0
	v_div_scale_f64 v[94:95], vcc, 1.0, v[74:75], 1.0
	v_rcp_f64_e32 v[90:91], v[76:77]
	v_fma_f64 v[92:93], -v[76:77], v[90:91], 1.0
	v_fma_f64 v[90:91], v[90:91], v[92:93], v[90:91]
	v_fma_f64 v[92:93], -v[76:77], v[90:91], 1.0
	v_fma_f64 v[90:91], v[90:91], v[92:93], v[90:91]
	v_mul_f64 v[92:93], v[94:95], v[90:91]
	v_fma_f64 v[76:77], -v[76:77], v[92:93], v[94:95]
	v_div_fmas_f64 v[76:77], v[76:77], v[90:91], v[92:93]
	v_div_fixup_f64 v[76:77], v[76:77], v[74:75], 1.0
	v_mul_f64 v[74:75], v[88:89], v[76:77]
	v_xor_b32_e32 v77, 0x80000000, v77
.LBB34_91:
	s_andn2_saveexec_b64 s[8:9], s[8:9]
	s_cbranch_execz .LBB34_93
; %bb.92:
	v_div_scale_f64 v[88:89], s[20:21], v[74:75], v[74:75], v[76:77]
	v_rcp_f64_e32 v[90:91], v[88:89]
	v_fma_f64 v[92:93], -v[88:89], v[90:91], 1.0
	v_fma_f64 v[90:91], v[90:91], v[92:93], v[90:91]
	v_div_scale_f64 v[92:93], vcc, v[76:77], v[74:75], v[76:77]
	v_fma_f64 v[94:95], -v[88:89], v[90:91], 1.0
	v_fma_f64 v[90:91], v[90:91], v[94:95], v[90:91]
	v_mul_f64 v[94:95], v[92:93], v[90:91]
	v_fma_f64 v[88:89], -v[88:89], v[94:95], v[92:93]
	v_div_fmas_f64 v[88:89], v[88:89], v[90:91], v[94:95]
	v_div_fixup_f64 v[88:89], v[88:89], v[74:75], v[76:77]
	v_fma_f64 v[74:75], v[76:77], v[88:89], v[74:75]
	v_div_scale_f64 v[76:77], s[20:21], v[74:75], v[74:75], 1.0
	v_div_scale_f64 v[94:95], vcc, 1.0, v[74:75], 1.0
	v_rcp_f64_e32 v[90:91], v[76:77]
	v_fma_f64 v[92:93], -v[76:77], v[90:91], 1.0
	v_fma_f64 v[90:91], v[90:91], v[92:93], v[90:91]
	v_fma_f64 v[92:93], -v[76:77], v[90:91], 1.0
	v_fma_f64 v[90:91], v[90:91], v[92:93], v[90:91]
	v_mul_f64 v[92:93], v[94:95], v[90:91]
	v_fma_f64 v[76:77], -v[76:77], v[92:93], v[94:95]
	v_div_fmas_f64 v[76:77], v[76:77], v[90:91], v[92:93]
	v_div_fixup_f64 v[74:75], v[76:77], v[74:75], 1.0
	v_mul_f64 v[76:77], v[88:89], -v[74:75]
.LBB34_93:
	s_or_b64 exec, exec, s[8:9]
.LBB34_94:
	s_or_b64 exec, exec, s[0:1]
	v_cmp_ne_u32_e32 vcc, v84, v82
	s_and_saveexec_b64 s[0:1], vcc
	s_xor_b64 s[0:1], exec, s[0:1]
	s_cbranch_execz .LBB34_100
; %bb.95:
	v_cmp_eq_u32_e32 vcc, 4, v84
	s_and_saveexec_b64 s[8:9], vcc
	s_cbranch_execz .LBB34_99
; %bb.96:
	v_cmp_ne_u32_e32 vcc, 4, v82
	s_xor_b64 s[20:21], s[18:19], -1
	s_and_b64 s[24:25], s[20:21], vcc
	s_and_saveexec_b64 s[20:21], s[24:25]
	s_cbranch_execz .LBB34_98
; %bb.97:
	v_ashrrev_i32_e32 v83, 31, v82
	v_lshlrev_b64 v[83:84], 2, v[82:83]
	v_add_co_u32_e32 v83, vcc, v80, v83
	v_addc_co_u32_e32 v84, vcc, v81, v84, vcc
	global_load_dword v0, v[83:84], off
	global_load_dword v88, v[80:81], off offset:16
	s_waitcnt vmcnt(1)
	global_store_dword v[80:81], v0, off offset:16
	s_waitcnt vmcnt(1)
	global_store_dword v[83:84], v88, off
.LBB34_98:
	s_or_b64 exec, exec, s[20:21]
	v_mov_b32_e32 v84, v82
	v_mov_b32_e32 v0, v82
.LBB34_99:
	s_or_b64 exec, exec, s[8:9]
.LBB34_100:
	s_andn2_saveexec_b64 s[0:1], s[0:1]
	s_cbranch_execz .LBB34_102
; %bb.101:
	v_mov_b32_e32 v84, 4
	ds_write2_b64 v1, v[46:47], v[48:49] offset0:10 offset1:11
	ds_write2_b64 v1, v[42:43], v[44:45] offset0:12 offset1:13
	;; [unrolled: 1-line block ×13, first 2 shown]
.LBB34_102:
	s_or_b64 exec, exec, s[0:1]
	v_cmp_lt_i32_e32 vcc, 4, v84
	s_waitcnt vmcnt(0) lgkmcnt(0)
	s_barrier
	s_and_saveexec_b64 s[0:1], vcc
	s_cbranch_execz .LBB34_104
; %bb.103:
	v_mul_f64 v[82:83], v[74:75], v[52:53]
	v_mul_f64 v[52:53], v[76:77], v[52:53]
	ds_read2_b64 v[88:91], v1 offset0:10 offset1:11
	ds_read2_b64 v[92:95], v1 offset0:12 offset1:13
	;; [unrolled: 1-line block ×6, first 2 shown]
	v_fma_f64 v[82:83], v[76:77], v[50:51], v[82:83]
	v_fma_f64 v[50:51], v[74:75], v[50:51], -v[52:53]
	s_waitcnt lgkmcnt(5)
	v_mul_f64 v[52:53], v[90:91], v[82:83]
	v_mul_f64 v[74:75], v[88:89], v[82:83]
	s_waitcnt lgkmcnt(4)
	v_mul_f64 v[76:77], v[94:95], v[82:83]
	v_mul_f64 v[112:113], v[92:93], v[82:83]
	;; [unrolled: 3-line block ×4, first 2 shown]
	s_waitcnt lgkmcnt(1)
	v_mul_f64 v[122:123], v[106:107], v[82:83]
	v_fma_f64 v[52:53], v[88:89], v[50:51], -v[52:53]
	v_fma_f64 v[74:75], v[90:91], v[50:51], v[74:75]
	v_fma_f64 v[76:77], v[92:93], v[50:51], -v[76:77]
	v_fma_f64 v[88:89], v[94:95], v[50:51], v[112:113]
	v_fma_f64 v[90:91], v[96:97], v[50:51], -v[114:115]
	v_fma_f64 v[92:93], v[98:99], v[50:51], v[116:117]
	v_fma_f64 v[94:95], v[100:101], v[50:51], -v[118:119]
	v_mul_f64 v[124:125], v[104:105], v[82:83]
	v_fma_f64 v[96:97], v[102:103], v[50:51], v[120:121]
	v_fma_f64 v[98:99], v[104:105], v[50:51], -v[122:123]
	v_add_f64 v[48:49], v[48:49], -v[74:75]
	v_add_f64 v[42:43], v[42:43], -v[76:77]
	;; [unrolled: 1-line block ×6, first 2 shown]
	ds_read2_b64 v[74:77], v1 offset0:22 offset1:23
	ds_read2_b64 v[88:91], v1 offset0:24 offset1:25
	;; [unrolled: 1-line block ×3, first 2 shown]
	v_fma_f64 v[100:101], v[106:107], v[50:51], v[124:125]
	v_add_f64 v[36:37], v[36:37], -v[96:97]
	v_add_f64 v[30:31], v[30:31], -v[98:99]
	s_waitcnt lgkmcnt(2)
	v_mul_f64 v[102:103], v[76:77], v[82:83]
	v_mul_f64 v[104:105], v[74:75], v[82:83]
	s_waitcnt lgkmcnt(1)
	v_mul_f64 v[106:107], v[90:91], v[82:83]
	v_mul_f64 v[112:113], v[88:89], v[82:83]
	ds_read2_b64 v[96:99], v1 offset0:28 offset1:29
	s_waitcnt lgkmcnt(1)
	v_mul_f64 v[114:115], v[94:95], v[82:83]
	v_mul_f64 v[116:117], v[92:93], v[82:83]
	v_add_f64 v[46:47], v[46:47], -v[52:53]
	v_add_f64 v[32:33], v[32:33], -v[100:101]
	v_mul_f64 v[52:53], v[110:111], v[82:83]
	v_mul_f64 v[100:101], v[108:109], v[82:83]
	v_fma_f64 v[74:75], v[74:75], v[50:51], -v[102:103]
	v_fma_f64 v[76:77], v[76:77], v[50:51], v[104:105]
	v_fma_f64 v[88:89], v[88:89], v[50:51], -v[106:107]
	v_fma_f64 v[90:91], v[90:91], v[50:51], v[112:113]
	;; [unrolled: 2-line block ×4, first 2 shown]
	v_add_f64 v[22:23], v[22:23], -v[74:75]
	v_add_f64 v[24:25], v[24:25], -v[76:77]
	;; [unrolled: 1-line block ×6, first 2 shown]
	ds_read2_b64 v[74:77], v1 offset0:30 offset1:31
	ds_read2_b64 v[88:91], v1 offset0:32 offset1:33
	;; [unrolled: 1-line block ×3, first 2 shown]
	v_add_f64 v[26:27], v[26:27], -v[52:53]
	v_add_f64 v[28:29], v[28:29], -v[100:101]
	s_waitcnt lgkmcnt(3)
	v_mul_f64 v[52:53], v[98:99], v[82:83]
	v_mul_f64 v[100:101], v[96:97], v[82:83]
	s_waitcnt lgkmcnt(2)
	v_mul_f64 v[102:103], v[76:77], v[82:83]
	v_mul_f64 v[104:105], v[74:75], v[82:83]
	s_waitcnt lgkmcnt(1)
	v_mul_f64 v[106:107], v[90:91], v[82:83]
	v_mul_f64 v[108:109], v[88:89], v[82:83]
	s_waitcnt lgkmcnt(0)
	v_mul_f64 v[110:111], v[94:95], v[82:83]
	v_mul_f64 v[112:113], v[92:93], v[82:83]
	v_fma_f64 v[52:53], v[96:97], v[50:51], -v[52:53]
	v_fma_f64 v[96:97], v[98:99], v[50:51], v[100:101]
	v_fma_f64 v[74:75], v[74:75], v[50:51], -v[102:103]
	v_fma_f64 v[76:77], v[76:77], v[50:51], v[104:105]
	;; [unrolled: 2-line block ×4, first 2 shown]
	v_add_f64 v[10:11], v[10:11], -v[52:53]
	v_add_f64 v[12:13], v[12:13], -v[96:97]
	;; [unrolled: 1-line block ×8, first 2 shown]
	v_mov_b32_e32 v52, v82
	v_mov_b32_e32 v53, v83
.LBB34_104:
	s_or_b64 exec, exec, s[0:1]
	v_lshl_add_u32 v74, v84, 4, v1
	s_barrier
	ds_write2_b64 v74, v[46:47], v[48:49] offset1:1
	s_waitcnt lgkmcnt(0)
	s_barrier
	ds_read2_b64 v[74:77], v1 offset0:10 offset1:11
	s_cmp_lt_i32 s22, 7
	v_mov_b32_e32 v82, 5
	s_cbranch_scc1 .LBB34_107
; %bb.105:
	v_add_u32_e32 v83, 0x60, v1
	s_mov_b32 s7, 6
	v_mov_b32_e32 v82, 5
.LBB34_106:                             ; =>This Inner Loop Header: Depth=1
	s_waitcnt lgkmcnt(0)
	v_cmp_gt_f64_e32 vcc, 0, v[76:77]
	v_cmp_gt_f64_e64 s[0:1], 0, v[74:75]
	ds_read2_b64 v[88:91], v83 offset1:1
	v_xor_b32_e32 v93, 0x80000000, v75
	v_xor_b32_e32 v95, 0x80000000, v77
	v_mov_b32_e32 v92, v74
	v_mov_b32_e32 v94, v76
	s_waitcnt lgkmcnt(0)
	v_xor_b32_e32 v97, 0x80000000, v91
	v_cndmask_b32_e32 v95, v77, v95, vcc
	v_cndmask_b32_e64 v93, v75, v93, s[0:1]
	v_cmp_gt_f64_e32 vcc, 0, v[90:91]
	v_cmp_gt_f64_e64 s[0:1], 0, v[88:89]
	v_add_f64 v[92:93], v[92:93], v[94:95]
	v_xor_b32_e32 v95, 0x80000000, v89
	v_mov_b32_e32 v94, v88
	v_mov_b32_e32 v96, v90
	v_add_u32_e32 v83, 16, v83
	v_cndmask_b32_e32 v97, v91, v97, vcc
	v_cndmask_b32_e64 v95, v89, v95, s[0:1]
	v_add_f64 v[94:95], v[94:95], v[96:97]
	v_mov_b32_e32 v96, s7
	s_add_i32 s7, s7, 1
	s_cmp_lg_u32 s22, s7
	v_cmp_lt_f64_e32 vcc, v[92:93], v[94:95]
	v_cndmask_b32_e32 v75, v75, v89, vcc
	v_cndmask_b32_e32 v74, v74, v88, vcc
	;; [unrolled: 1-line block ×5, first 2 shown]
	s_cbranch_scc1 .LBB34_106
.LBB34_107:
	s_waitcnt lgkmcnt(0)
	v_cmp_eq_f64_e32 vcc, 0, v[74:75]
	v_cmp_eq_f64_e64 s[0:1], 0, v[76:77]
	s_and_b64 s[0:1], vcc, s[0:1]
	s_and_saveexec_b64 s[8:9], s[0:1]
	s_xor_b64 s[0:1], exec, s[8:9]
; %bb.108:
	v_cmp_ne_u32_e32 vcc, 0, v87
	v_cndmask_b32_e32 v87, 6, v87, vcc
; %bb.109:
	s_andn2_saveexec_b64 s[0:1], s[0:1]
	s_cbranch_execz .LBB34_115
; %bb.110:
	v_cmp_ngt_f64_e64 s[8:9], |v[74:75]|, |v[76:77]|
	s_and_saveexec_b64 s[20:21], s[8:9]
	s_xor_b64 s[8:9], exec, s[20:21]
	s_cbranch_execz .LBB34_112
; %bb.111:
	v_div_scale_f64 v[88:89], s[20:21], v[76:77], v[76:77], v[74:75]
	v_rcp_f64_e32 v[90:91], v[88:89]
	v_fma_f64 v[92:93], -v[88:89], v[90:91], 1.0
	v_fma_f64 v[90:91], v[90:91], v[92:93], v[90:91]
	v_div_scale_f64 v[92:93], vcc, v[74:75], v[76:77], v[74:75]
	v_fma_f64 v[94:95], -v[88:89], v[90:91], 1.0
	v_fma_f64 v[90:91], v[90:91], v[94:95], v[90:91]
	v_mul_f64 v[94:95], v[92:93], v[90:91]
	v_fma_f64 v[88:89], -v[88:89], v[94:95], v[92:93]
	v_div_fmas_f64 v[88:89], v[88:89], v[90:91], v[94:95]
	v_div_fixup_f64 v[88:89], v[88:89], v[76:77], v[74:75]
	v_fma_f64 v[74:75], v[74:75], v[88:89], v[76:77]
	v_div_scale_f64 v[76:77], s[20:21], v[74:75], v[74:75], 1.0
	v_div_scale_f64 v[94:95], vcc, 1.0, v[74:75], 1.0
	v_rcp_f64_e32 v[90:91], v[76:77]
	v_fma_f64 v[92:93], -v[76:77], v[90:91], 1.0
	v_fma_f64 v[90:91], v[90:91], v[92:93], v[90:91]
	v_fma_f64 v[92:93], -v[76:77], v[90:91], 1.0
	v_fma_f64 v[90:91], v[90:91], v[92:93], v[90:91]
	v_mul_f64 v[92:93], v[94:95], v[90:91]
	v_fma_f64 v[76:77], -v[76:77], v[92:93], v[94:95]
	v_div_fmas_f64 v[76:77], v[76:77], v[90:91], v[92:93]
	v_div_fixup_f64 v[76:77], v[76:77], v[74:75], 1.0
	v_mul_f64 v[74:75], v[88:89], v[76:77]
	v_xor_b32_e32 v77, 0x80000000, v77
.LBB34_112:
	s_andn2_saveexec_b64 s[8:9], s[8:9]
	s_cbranch_execz .LBB34_114
; %bb.113:
	v_div_scale_f64 v[88:89], s[20:21], v[74:75], v[74:75], v[76:77]
	v_rcp_f64_e32 v[90:91], v[88:89]
	v_fma_f64 v[92:93], -v[88:89], v[90:91], 1.0
	v_fma_f64 v[90:91], v[90:91], v[92:93], v[90:91]
	v_div_scale_f64 v[92:93], vcc, v[76:77], v[74:75], v[76:77]
	v_fma_f64 v[94:95], -v[88:89], v[90:91], 1.0
	v_fma_f64 v[90:91], v[90:91], v[94:95], v[90:91]
	v_mul_f64 v[94:95], v[92:93], v[90:91]
	v_fma_f64 v[88:89], -v[88:89], v[94:95], v[92:93]
	v_div_fmas_f64 v[88:89], v[88:89], v[90:91], v[94:95]
	v_div_fixup_f64 v[88:89], v[88:89], v[74:75], v[76:77]
	v_fma_f64 v[74:75], v[76:77], v[88:89], v[74:75]
	v_div_scale_f64 v[76:77], s[20:21], v[74:75], v[74:75], 1.0
	v_div_scale_f64 v[94:95], vcc, 1.0, v[74:75], 1.0
	v_rcp_f64_e32 v[90:91], v[76:77]
	v_fma_f64 v[92:93], -v[76:77], v[90:91], 1.0
	v_fma_f64 v[90:91], v[90:91], v[92:93], v[90:91]
	v_fma_f64 v[92:93], -v[76:77], v[90:91], 1.0
	v_fma_f64 v[90:91], v[90:91], v[92:93], v[90:91]
	v_mul_f64 v[92:93], v[94:95], v[90:91]
	v_fma_f64 v[76:77], -v[76:77], v[92:93], v[94:95]
	v_div_fmas_f64 v[76:77], v[76:77], v[90:91], v[92:93]
	v_div_fixup_f64 v[74:75], v[76:77], v[74:75], 1.0
	v_mul_f64 v[76:77], v[88:89], -v[74:75]
.LBB34_114:
	s_or_b64 exec, exec, s[8:9]
.LBB34_115:
	s_or_b64 exec, exec, s[0:1]
	v_cmp_ne_u32_e32 vcc, v84, v82
	s_and_saveexec_b64 s[0:1], vcc
	s_xor_b64 s[0:1], exec, s[0:1]
	s_cbranch_execz .LBB34_121
; %bb.116:
	v_cmp_eq_u32_e32 vcc, 5, v84
	s_and_saveexec_b64 s[8:9], vcc
	s_cbranch_execz .LBB34_120
; %bb.117:
	v_cmp_ne_u32_e32 vcc, 5, v82
	s_xor_b64 s[20:21], s[18:19], -1
	s_and_b64 s[24:25], s[20:21], vcc
	s_and_saveexec_b64 s[20:21], s[24:25]
	s_cbranch_execz .LBB34_119
; %bb.118:
	v_ashrrev_i32_e32 v83, 31, v82
	v_lshlrev_b64 v[83:84], 2, v[82:83]
	v_add_co_u32_e32 v83, vcc, v80, v83
	v_addc_co_u32_e32 v84, vcc, v81, v84, vcc
	global_load_dword v0, v[83:84], off
	global_load_dword v88, v[80:81], off offset:20
	s_waitcnt vmcnt(1)
	global_store_dword v[80:81], v0, off offset:20
	s_waitcnt vmcnt(1)
	global_store_dword v[83:84], v88, off
.LBB34_119:
	s_or_b64 exec, exec, s[20:21]
	v_mov_b32_e32 v84, v82
	v_mov_b32_e32 v0, v82
.LBB34_120:
	s_or_b64 exec, exec, s[8:9]
.LBB34_121:
	s_andn2_saveexec_b64 s[0:1], s[0:1]
	s_cbranch_execz .LBB34_123
; %bb.122:
	v_mov_b32_e32 v84, 5
	ds_write2_b64 v1, v[42:43], v[44:45] offset0:12 offset1:13
	ds_write2_b64 v1, v[38:39], v[40:41] offset0:14 offset1:15
	;; [unrolled: 1-line block ×12, first 2 shown]
.LBB34_123:
	s_or_b64 exec, exec, s[0:1]
	v_cmp_lt_i32_e32 vcc, 5, v84
	s_waitcnt vmcnt(0) lgkmcnt(0)
	s_barrier
	s_and_saveexec_b64 s[0:1], vcc
	s_cbranch_execz .LBB34_125
; %bb.124:
	v_mul_f64 v[82:83], v[74:75], v[48:49]
	v_mul_f64 v[48:49], v[76:77], v[48:49]
	ds_read2_b64 v[88:91], v1 offset0:12 offset1:13
	ds_read2_b64 v[92:95], v1 offset0:14 offset1:15
	;; [unrolled: 1-line block ×6, first 2 shown]
	v_fma_f64 v[82:83], v[76:77], v[46:47], v[82:83]
	v_fma_f64 v[46:47], v[74:75], v[46:47], -v[48:49]
	s_waitcnt lgkmcnt(5)
	v_mul_f64 v[48:49], v[90:91], v[82:83]
	v_mul_f64 v[74:75], v[88:89], v[82:83]
	s_waitcnt lgkmcnt(4)
	v_mul_f64 v[76:77], v[94:95], v[82:83]
	v_mul_f64 v[112:113], v[92:93], v[82:83]
	;; [unrolled: 3-line block ×4, first 2 shown]
	v_fma_f64 v[48:49], v[88:89], v[46:47], -v[48:49]
	v_fma_f64 v[74:75], v[90:91], v[46:47], v[74:75]
	v_fma_f64 v[76:77], v[92:93], v[46:47], -v[76:77]
	v_fma_f64 v[88:89], v[94:95], v[46:47], v[112:113]
	;; [unrolled: 2-line block ×4, first 2 shown]
	v_add_f64 v[42:43], v[42:43], -v[48:49]
	s_waitcnt lgkmcnt(1)
	v_mul_f64 v[48:49], v[106:107], v[82:83]
	v_add_f64 v[44:45], v[44:45], -v[74:75]
	v_add_f64 v[38:39], v[38:39], -v[76:77]
	;; [unrolled: 1-line block ×4, first 2 shown]
	ds_read2_b64 v[74:77], v1 offset0:24 offset1:25
	ds_read2_b64 v[88:91], v1 offset0:26 offset1:27
	v_add_f64 v[36:37], v[36:37], -v[92:93]
	v_add_f64 v[30:31], v[30:31], -v[94:95]
	;; [unrolled: 1-line block ×3, first 2 shown]
	v_mul_f64 v[92:93], v[104:105], v[82:83]
	s_waitcnt lgkmcnt(2)
	v_mul_f64 v[94:95], v[110:111], v[82:83]
	v_mul_f64 v[96:97], v[108:109], v[82:83]
	s_waitcnt lgkmcnt(1)
	v_mul_f64 v[98:99], v[76:77], v[82:83]
	v_fma_f64 v[48:49], v[104:105], v[46:47], -v[48:49]
	s_waitcnt lgkmcnt(0)
	v_mul_f64 v[102:103], v[90:91], v[82:83]
	v_mul_f64 v[104:105], v[88:89], v[82:83]
	;; [unrolled: 1-line block ×3, first 2 shown]
	v_fma_f64 v[92:93], v[106:107], v[46:47], v[92:93]
	v_fma_f64 v[94:95], v[108:109], v[46:47], -v[94:95]
	v_fma_f64 v[96:97], v[110:111], v[46:47], v[96:97]
	v_fma_f64 v[74:75], v[74:75], v[46:47], -v[98:99]
	v_add_f64 v[26:27], v[26:27], -v[48:49]
	v_fma_f64 v[88:89], v[88:89], v[46:47], -v[102:103]
	v_fma_f64 v[90:91], v[90:91], v[46:47], v[104:105]
	v_fma_f64 v[48:49], v[76:77], v[46:47], v[100:101]
	v_add_f64 v[28:29], v[28:29], -v[92:93]
	v_add_f64 v[22:23], v[22:23], -v[94:95]
	v_add_f64 v[24:25], v[24:25], -v[96:97]
	v_add_f64 v[18:19], v[18:19], -v[74:75]
	ds_read2_b64 v[74:77], v1 offset0:28 offset1:29
	v_add_f64 v[14:15], v[14:15], -v[88:89]
	v_add_f64 v[16:17], v[16:17], -v[90:91]
	ds_read2_b64 v[88:91], v1 offset0:30 offset1:31
	ds_read2_b64 v[92:95], v1 offset0:32 offset1:33
	;; [unrolled: 1-line block ×3, first 2 shown]
	v_add_f64 v[20:21], v[20:21], -v[48:49]
	s_waitcnt lgkmcnt(3)
	v_mul_f64 v[48:49], v[76:77], v[82:83]
	v_mul_f64 v[100:101], v[74:75], v[82:83]
	s_waitcnt lgkmcnt(2)
	v_mul_f64 v[102:103], v[90:91], v[82:83]
	v_mul_f64 v[104:105], v[88:89], v[82:83]
	;; [unrolled: 3-line block ×4, first 2 shown]
	v_fma_f64 v[48:49], v[74:75], v[46:47], -v[48:49]
	v_fma_f64 v[74:75], v[76:77], v[46:47], v[100:101]
	v_fma_f64 v[76:77], v[88:89], v[46:47], -v[102:103]
	v_fma_f64 v[88:89], v[90:91], v[46:47], v[104:105]
	;; [unrolled: 2-line block ×4, first 2 shown]
	v_add_f64 v[10:11], v[10:11], -v[48:49]
	v_add_f64 v[12:13], v[12:13], -v[74:75]
	;; [unrolled: 1-line block ×8, first 2 shown]
	v_mov_b32_e32 v48, v82
	v_mov_b32_e32 v49, v83
.LBB34_125:
	s_or_b64 exec, exec, s[0:1]
	v_lshl_add_u32 v74, v84, 4, v1
	s_barrier
	ds_write2_b64 v74, v[42:43], v[44:45] offset1:1
	s_waitcnt lgkmcnt(0)
	s_barrier
	ds_read2_b64 v[74:77], v1 offset0:12 offset1:13
	s_cmp_lt_i32 s22, 8
	v_mov_b32_e32 v82, 6
	s_cbranch_scc1 .LBB34_128
; %bb.126:
	v_add_u32_e32 v83, 0x70, v1
	s_mov_b32 s7, 7
	v_mov_b32_e32 v82, 6
.LBB34_127:                             ; =>This Inner Loop Header: Depth=1
	s_waitcnt lgkmcnt(0)
	v_cmp_gt_f64_e32 vcc, 0, v[76:77]
	v_cmp_gt_f64_e64 s[0:1], 0, v[74:75]
	ds_read2_b64 v[88:91], v83 offset1:1
	v_xor_b32_e32 v93, 0x80000000, v75
	v_xor_b32_e32 v95, 0x80000000, v77
	v_mov_b32_e32 v92, v74
	v_mov_b32_e32 v94, v76
	s_waitcnt lgkmcnt(0)
	v_xor_b32_e32 v97, 0x80000000, v91
	v_cndmask_b32_e32 v95, v77, v95, vcc
	v_cndmask_b32_e64 v93, v75, v93, s[0:1]
	v_cmp_gt_f64_e32 vcc, 0, v[90:91]
	v_cmp_gt_f64_e64 s[0:1], 0, v[88:89]
	v_add_f64 v[92:93], v[92:93], v[94:95]
	v_xor_b32_e32 v95, 0x80000000, v89
	v_mov_b32_e32 v94, v88
	v_mov_b32_e32 v96, v90
	v_add_u32_e32 v83, 16, v83
	v_cndmask_b32_e32 v97, v91, v97, vcc
	v_cndmask_b32_e64 v95, v89, v95, s[0:1]
	v_add_f64 v[94:95], v[94:95], v[96:97]
	v_mov_b32_e32 v96, s7
	s_add_i32 s7, s7, 1
	s_cmp_lg_u32 s22, s7
	v_cmp_lt_f64_e32 vcc, v[92:93], v[94:95]
	v_cndmask_b32_e32 v75, v75, v89, vcc
	v_cndmask_b32_e32 v74, v74, v88, vcc
	;; [unrolled: 1-line block ×5, first 2 shown]
	s_cbranch_scc1 .LBB34_127
.LBB34_128:
	s_waitcnt lgkmcnt(0)
	v_cmp_eq_f64_e32 vcc, 0, v[74:75]
	v_cmp_eq_f64_e64 s[0:1], 0, v[76:77]
	s_and_b64 s[0:1], vcc, s[0:1]
	s_and_saveexec_b64 s[8:9], s[0:1]
	s_xor_b64 s[0:1], exec, s[8:9]
; %bb.129:
	v_cmp_ne_u32_e32 vcc, 0, v87
	v_cndmask_b32_e32 v87, 7, v87, vcc
; %bb.130:
	s_andn2_saveexec_b64 s[0:1], s[0:1]
	s_cbranch_execz .LBB34_136
; %bb.131:
	v_cmp_ngt_f64_e64 s[8:9], |v[74:75]|, |v[76:77]|
	s_and_saveexec_b64 s[20:21], s[8:9]
	s_xor_b64 s[8:9], exec, s[20:21]
	s_cbranch_execz .LBB34_133
; %bb.132:
	v_div_scale_f64 v[88:89], s[20:21], v[76:77], v[76:77], v[74:75]
	v_rcp_f64_e32 v[90:91], v[88:89]
	v_fma_f64 v[92:93], -v[88:89], v[90:91], 1.0
	v_fma_f64 v[90:91], v[90:91], v[92:93], v[90:91]
	v_div_scale_f64 v[92:93], vcc, v[74:75], v[76:77], v[74:75]
	v_fma_f64 v[94:95], -v[88:89], v[90:91], 1.0
	v_fma_f64 v[90:91], v[90:91], v[94:95], v[90:91]
	v_mul_f64 v[94:95], v[92:93], v[90:91]
	v_fma_f64 v[88:89], -v[88:89], v[94:95], v[92:93]
	v_div_fmas_f64 v[88:89], v[88:89], v[90:91], v[94:95]
	v_div_fixup_f64 v[88:89], v[88:89], v[76:77], v[74:75]
	v_fma_f64 v[74:75], v[74:75], v[88:89], v[76:77]
	v_div_scale_f64 v[76:77], s[20:21], v[74:75], v[74:75], 1.0
	v_div_scale_f64 v[94:95], vcc, 1.0, v[74:75], 1.0
	v_rcp_f64_e32 v[90:91], v[76:77]
	v_fma_f64 v[92:93], -v[76:77], v[90:91], 1.0
	v_fma_f64 v[90:91], v[90:91], v[92:93], v[90:91]
	v_fma_f64 v[92:93], -v[76:77], v[90:91], 1.0
	v_fma_f64 v[90:91], v[90:91], v[92:93], v[90:91]
	v_mul_f64 v[92:93], v[94:95], v[90:91]
	v_fma_f64 v[76:77], -v[76:77], v[92:93], v[94:95]
	v_div_fmas_f64 v[76:77], v[76:77], v[90:91], v[92:93]
	v_div_fixup_f64 v[76:77], v[76:77], v[74:75], 1.0
	v_mul_f64 v[74:75], v[88:89], v[76:77]
	v_xor_b32_e32 v77, 0x80000000, v77
.LBB34_133:
	s_andn2_saveexec_b64 s[8:9], s[8:9]
	s_cbranch_execz .LBB34_135
; %bb.134:
	v_div_scale_f64 v[88:89], s[20:21], v[74:75], v[74:75], v[76:77]
	v_rcp_f64_e32 v[90:91], v[88:89]
	v_fma_f64 v[92:93], -v[88:89], v[90:91], 1.0
	v_fma_f64 v[90:91], v[90:91], v[92:93], v[90:91]
	v_div_scale_f64 v[92:93], vcc, v[76:77], v[74:75], v[76:77]
	v_fma_f64 v[94:95], -v[88:89], v[90:91], 1.0
	v_fma_f64 v[90:91], v[90:91], v[94:95], v[90:91]
	v_mul_f64 v[94:95], v[92:93], v[90:91]
	v_fma_f64 v[88:89], -v[88:89], v[94:95], v[92:93]
	v_div_fmas_f64 v[88:89], v[88:89], v[90:91], v[94:95]
	v_div_fixup_f64 v[88:89], v[88:89], v[74:75], v[76:77]
	v_fma_f64 v[74:75], v[76:77], v[88:89], v[74:75]
	v_div_scale_f64 v[76:77], s[20:21], v[74:75], v[74:75], 1.0
	v_div_scale_f64 v[94:95], vcc, 1.0, v[74:75], 1.0
	v_rcp_f64_e32 v[90:91], v[76:77]
	v_fma_f64 v[92:93], -v[76:77], v[90:91], 1.0
	v_fma_f64 v[90:91], v[90:91], v[92:93], v[90:91]
	v_fma_f64 v[92:93], -v[76:77], v[90:91], 1.0
	v_fma_f64 v[90:91], v[90:91], v[92:93], v[90:91]
	v_mul_f64 v[92:93], v[94:95], v[90:91]
	v_fma_f64 v[76:77], -v[76:77], v[92:93], v[94:95]
	v_div_fmas_f64 v[76:77], v[76:77], v[90:91], v[92:93]
	v_div_fixup_f64 v[74:75], v[76:77], v[74:75], 1.0
	v_mul_f64 v[76:77], v[88:89], -v[74:75]
.LBB34_135:
	s_or_b64 exec, exec, s[8:9]
.LBB34_136:
	s_or_b64 exec, exec, s[0:1]
	v_cmp_ne_u32_e32 vcc, v84, v82
	s_and_saveexec_b64 s[0:1], vcc
	s_xor_b64 s[0:1], exec, s[0:1]
	s_cbranch_execz .LBB34_142
; %bb.137:
	v_cmp_eq_u32_e32 vcc, 6, v84
	s_and_saveexec_b64 s[8:9], vcc
	s_cbranch_execz .LBB34_141
; %bb.138:
	v_cmp_ne_u32_e32 vcc, 6, v82
	s_xor_b64 s[20:21], s[18:19], -1
	s_and_b64 s[24:25], s[20:21], vcc
	s_and_saveexec_b64 s[20:21], s[24:25]
	s_cbranch_execz .LBB34_140
; %bb.139:
	v_ashrrev_i32_e32 v83, 31, v82
	v_lshlrev_b64 v[83:84], 2, v[82:83]
	v_add_co_u32_e32 v83, vcc, v80, v83
	v_addc_co_u32_e32 v84, vcc, v81, v84, vcc
	global_load_dword v0, v[83:84], off
	global_load_dword v88, v[80:81], off offset:24
	s_waitcnt vmcnt(1)
	global_store_dword v[80:81], v0, off offset:24
	s_waitcnt vmcnt(1)
	global_store_dword v[83:84], v88, off
.LBB34_140:
	s_or_b64 exec, exec, s[20:21]
	v_mov_b32_e32 v84, v82
	v_mov_b32_e32 v0, v82
.LBB34_141:
	s_or_b64 exec, exec, s[8:9]
.LBB34_142:
	s_andn2_saveexec_b64 s[0:1], s[0:1]
	s_cbranch_execz .LBB34_144
; %bb.143:
	v_mov_b32_e32 v84, 6
	ds_write2_b64 v1, v[38:39], v[40:41] offset0:14 offset1:15
	ds_write2_b64 v1, v[34:35], v[36:37] offset0:16 offset1:17
	;; [unrolled: 1-line block ×11, first 2 shown]
.LBB34_144:
	s_or_b64 exec, exec, s[0:1]
	v_cmp_lt_i32_e32 vcc, 6, v84
	s_waitcnt vmcnt(0) lgkmcnt(0)
	s_barrier
	s_and_saveexec_b64 s[0:1], vcc
	s_cbranch_execz .LBB34_146
; %bb.145:
	v_mul_f64 v[82:83], v[74:75], v[44:45]
	v_mul_f64 v[44:45], v[76:77], v[44:45]
	ds_read2_b64 v[88:91], v1 offset0:14 offset1:15
	ds_read2_b64 v[92:95], v1 offset0:16 offset1:17
	ds_read2_b64 v[96:99], v1 offset0:18 offset1:19
	ds_read2_b64 v[100:103], v1 offset0:20 offset1:21
	ds_read2_b64 v[104:107], v1 offset0:22 offset1:23
	ds_read2_b64 v[108:111], v1 offset0:24 offset1:25
	ds_read2_b64 v[112:115], v1 offset0:26 offset1:27
	v_fma_f64 v[82:83], v[76:77], v[42:43], v[82:83]
	v_fma_f64 v[42:43], v[74:75], v[42:43], -v[44:45]
	s_waitcnt lgkmcnt(6)
	v_mul_f64 v[44:45], v[90:91], v[82:83]
	v_mul_f64 v[74:75], v[88:89], v[82:83]
	s_waitcnt lgkmcnt(5)
	v_mul_f64 v[76:77], v[94:95], v[82:83]
	v_mul_f64 v[116:117], v[92:93], v[82:83]
	;; [unrolled: 3-line block ×4, first 2 shown]
	v_fma_f64 v[44:45], v[88:89], v[42:43], -v[44:45]
	v_fma_f64 v[74:75], v[90:91], v[42:43], v[74:75]
	v_fma_f64 v[76:77], v[92:93], v[42:43], -v[76:77]
	v_fma_f64 v[88:89], v[94:95], v[42:43], v[116:117]
	;; [unrolled: 2-line block ×3, first 2 shown]
	s_waitcnt lgkmcnt(2)
	v_mul_f64 v[94:95], v[106:107], v[82:83]
	v_mul_f64 v[96:97], v[104:105], v[82:83]
	v_add_f64 v[38:39], v[38:39], -v[44:45]
	s_waitcnt lgkmcnt(1)
	v_mul_f64 v[44:45], v[110:111], v[82:83]
	v_fma_f64 v[98:99], v[100:101], v[42:43], -v[122:123]
	v_add_f64 v[36:37], v[36:37], -v[88:89]
	v_add_f64 v[30:31], v[30:31], -v[90:91]
	;; [unrolled: 1-line block ×3, first 2 shown]
	v_mul_f64 v[88:89], v[108:109], v[82:83]
	s_waitcnt lgkmcnt(0)
	v_mul_f64 v[90:91], v[114:115], v[82:83]
	v_mul_f64 v[92:93], v[112:113], v[82:83]
	v_fma_f64 v[94:95], v[104:105], v[42:43], -v[94:95]
	v_fma_f64 v[96:97], v[106:107], v[42:43], v[96:97]
	v_fma_f64 v[100:101], v[102:103], v[42:43], v[124:125]
	v_fma_f64 v[44:45], v[108:109], v[42:43], -v[44:45]
	v_add_f64 v[40:41], v[40:41], -v[74:75]
	v_fma_f64 v[88:89], v[110:111], v[42:43], v[88:89]
	v_fma_f64 v[90:91], v[112:113], v[42:43], -v[90:91]
	v_fma_f64 v[92:93], v[114:115], v[42:43], v[92:93]
	v_add_f64 v[34:35], v[34:35], -v[76:77]
	ds_read2_b64 v[74:77], v1 offset0:28 offset1:29
	v_add_f64 v[26:27], v[26:27], -v[98:99]
	v_add_f64 v[22:23], v[22:23], -v[94:95]
	;; [unrolled: 1-line block ×6, first 2 shown]
	ds_read2_b64 v[88:91], v1 offset0:30 offset1:31
	ds_read2_b64 v[92:95], v1 offset0:32 offset1:33
	;; [unrolled: 1-line block ×3, first 2 shown]
	v_add_f64 v[28:29], v[28:29], -v[100:101]
	v_add_f64 v[18:19], v[18:19], -v[44:45]
	s_waitcnt lgkmcnt(3)
	v_mul_f64 v[44:45], v[76:77], v[82:83]
	v_mul_f64 v[100:101], v[74:75], v[82:83]
	s_waitcnt lgkmcnt(2)
	v_mul_f64 v[102:103], v[90:91], v[82:83]
	v_mul_f64 v[104:105], v[88:89], v[82:83]
	;; [unrolled: 3-line block ×4, first 2 shown]
	v_fma_f64 v[44:45], v[74:75], v[42:43], -v[44:45]
	v_fma_f64 v[74:75], v[76:77], v[42:43], v[100:101]
	v_fma_f64 v[76:77], v[88:89], v[42:43], -v[102:103]
	v_fma_f64 v[88:89], v[90:91], v[42:43], v[104:105]
	;; [unrolled: 2-line block ×4, first 2 shown]
	v_add_f64 v[10:11], v[10:11], -v[44:45]
	v_add_f64 v[12:13], v[12:13], -v[74:75]
	;; [unrolled: 1-line block ×8, first 2 shown]
	v_mov_b32_e32 v44, v82
	v_mov_b32_e32 v45, v83
.LBB34_146:
	s_or_b64 exec, exec, s[0:1]
	v_lshl_add_u32 v74, v84, 4, v1
	s_barrier
	ds_write2_b64 v74, v[38:39], v[40:41] offset1:1
	s_waitcnt lgkmcnt(0)
	s_barrier
	ds_read2_b64 v[74:77], v1 offset0:14 offset1:15
	s_cmp_lt_i32 s22, 9
	v_mov_b32_e32 v82, 7
	s_cbranch_scc1 .LBB34_149
; %bb.147:
	v_add_u32_e32 v83, 0x80, v1
	s_mov_b32 s7, 8
	v_mov_b32_e32 v82, 7
.LBB34_148:                             ; =>This Inner Loop Header: Depth=1
	s_waitcnt lgkmcnt(0)
	v_cmp_gt_f64_e32 vcc, 0, v[76:77]
	v_cmp_gt_f64_e64 s[0:1], 0, v[74:75]
	ds_read2_b64 v[88:91], v83 offset1:1
	v_xor_b32_e32 v93, 0x80000000, v75
	v_xor_b32_e32 v95, 0x80000000, v77
	v_mov_b32_e32 v92, v74
	v_mov_b32_e32 v94, v76
	s_waitcnt lgkmcnt(0)
	v_xor_b32_e32 v97, 0x80000000, v91
	v_cndmask_b32_e32 v95, v77, v95, vcc
	v_cndmask_b32_e64 v93, v75, v93, s[0:1]
	v_cmp_gt_f64_e32 vcc, 0, v[90:91]
	v_cmp_gt_f64_e64 s[0:1], 0, v[88:89]
	v_add_f64 v[92:93], v[92:93], v[94:95]
	v_xor_b32_e32 v95, 0x80000000, v89
	v_mov_b32_e32 v94, v88
	v_mov_b32_e32 v96, v90
	v_add_u32_e32 v83, 16, v83
	v_cndmask_b32_e32 v97, v91, v97, vcc
	v_cndmask_b32_e64 v95, v89, v95, s[0:1]
	v_add_f64 v[94:95], v[94:95], v[96:97]
	v_mov_b32_e32 v96, s7
	s_add_i32 s7, s7, 1
	s_cmp_lg_u32 s22, s7
	v_cmp_lt_f64_e32 vcc, v[92:93], v[94:95]
	v_cndmask_b32_e32 v75, v75, v89, vcc
	v_cndmask_b32_e32 v74, v74, v88, vcc
	;; [unrolled: 1-line block ×5, first 2 shown]
	s_cbranch_scc1 .LBB34_148
.LBB34_149:
	s_waitcnt lgkmcnt(0)
	v_cmp_eq_f64_e32 vcc, 0, v[74:75]
	v_cmp_eq_f64_e64 s[0:1], 0, v[76:77]
	s_and_b64 s[0:1], vcc, s[0:1]
	s_and_saveexec_b64 s[8:9], s[0:1]
	s_xor_b64 s[0:1], exec, s[8:9]
; %bb.150:
	v_cmp_ne_u32_e32 vcc, 0, v87
	v_cndmask_b32_e32 v87, 8, v87, vcc
; %bb.151:
	s_andn2_saveexec_b64 s[0:1], s[0:1]
	s_cbranch_execz .LBB34_157
; %bb.152:
	v_cmp_ngt_f64_e64 s[8:9], |v[74:75]|, |v[76:77]|
	s_and_saveexec_b64 s[20:21], s[8:9]
	s_xor_b64 s[8:9], exec, s[20:21]
	s_cbranch_execz .LBB34_154
; %bb.153:
	v_div_scale_f64 v[88:89], s[20:21], v[76:77], v[76:77], v[74:75]
	v_rcp_f64_e32 v[90:91], v[88:89]
	v_fma_f64 v[92:93], -v[88:89], v[90:91], 1.0
	v_fma_f64 v[90:91], v[90:91], v[92:93], v[90:91]
	v_div_scale_f64 v[92:93], vcc, v[74:75], v[76:77], v[74:75]
	v_fma_f64 v[94:95], -v[88:89], v[90:91], 1.0
	v_fma_f64 v[90:91], v[90:91], v[94:95], v[90:91]
	v_mul_f64 v[94:95], v[92:93], v[90:91]
	v_fma_f64 v[88:89], -v[88:89], v[94:95], v[92:93]
	v_div_fmas_f64 v[88:89], v[88:89], v[90:91], v[94:95]
	v_div_fixup_f64 v[88:89], v[88:89], v[76:77], v[74:75]
	v_fma_f64 v[74:75], v[74:75], v[88:89], v[76:77]
	v_div_scale_f64 v[76:77], s[20:21], v[74:75], v[74:75], 1.0
	v_div_scale_f64 v[94:95], vcc, 1.0, v[74:75], 1.0
	v_rcp_f64_e32 v[90:91], v[76:77]
	v_fma_f64 v[92:93], -v[76:77], v[90:91], 1.0
	v_fma_f64 v[90:91], v[90:91], v[92:93], v[90:91]
	v_fma_f64 v[92:93], -v[76:77], v[90:91], 1.0
	v_fma_f64 v[90:91], v[90:91], v[92:93], v[90:91]
	v_mul_f64 v[92:93], v[94:95], v[90:91]
	v_fma_f64 v[76:77], -v[76:77], v[92:93], v[94:95]
	v_div_fmas_f64 v[76:77], v[76:77], v[90:91], v[92:93]
	v_div_fixup_f64 v[76:77], v[76:77], v[74:75], 1.0
	v_mul_f64 v[74:75], v[88:89], v[76:77]
	v_xor_b32_e32 v77, 0x80000000, v77
.LBB34_154:
	s_andn2_saveexec_b64 s[8:9], s[8:9]
	s_cbranch_execz .LBB34_156
; %bb.155:
	v_div_scale_f64 v[88:89], s[20:21], v[74:75], v[74:75], v[76:77]
	v_rcp_f64_e32 v[90:91], v[88:89]
	v_fma_f64 v[92:93], -v[88:89], v[90:91], 1.0
	v_fma_f64 v[90:91], v[90:91], v[92:93], v[90:91]
	v_div_scale_f64 v[92:93], vcc, v[76:77], v[74:75], v[76:77]
	v_fma_f64 v[94:95], -v[88:89], v[90:91], 1.0
	v_fma_f64 v[90:91], v[90:91], v[94:95], v[90:91]
	v_mul_f64 v[94:95], v[92:93], v[90:91]
	v_fma_f64 v[88:89], -v[88:89], v[94:95], v[92:93]
	v_div_fmas_f64 v[88:89], v[88:89], v[90:91], v[94:95]
	v_div_fixup_f64 v[88:89], v[88:89], v[74:75], v[76:77]
	v_fma_f64 v[74:75], v[76:77], v[88:89], v[74:75]
	v_div_scale_f64 v[76:77], s[20:21], v[74:75], v[74:75], 1.0
	v_div_scale_f64 v[94:95], vcc, 1.0, v[74:75], 1.0
	v_rcp_f64_e32 v[90:91], v[76:77]
	v_fma_f64 v[92:93], -v[76:77], v[90:91], 1.0
	v_fma_f64 v[90:91], v[90:91], v[92:93], v[90:91]
	v_fma_f64 v[92:93], -v[76:77], v[90:91], 1.0
	v_fma_f64 v[90:91], v[90:91], v[92:93], v[90:91]
	v_mul_f64 v[92:93], v[94:95], v[90:91]
	v_fma_f64 v[76:77], -v[76:77], v[92:93], v[94:95]
	v_div_fmas_f64 v[76:77], v[76:77], v[90:91], v[92:93]
	v_div_fixup_f64 v[74:75], v[76:77], v[74:75], 1.0
	v_mul_f64 v[76:77], v[88:89], -v[74:75]
.LBB34_156:
	s_or_b64 exec, exec, s[8:9]
.LBB34_157:
	s_or_b64 exec, exec, s[0:1]
	v_cmp_ne_u32_e32 vcc, v84, v82
	s_and_saveexec_b64 s[0:1], vcc
	s_xor_b64 s[0:1], exec, s[0:1]
	s_cbranch_execz .LBB34_163
; %bb.158:
	v_cmp_eq_u32_e32 vcc, 7, v84
	s_and_saveexec_b64 s[8:9], vcc
	s_cbranch_execz .LBB34_162
; %bb.159:
	v_cmp_ne_u32_e32 vcc, 7, v82
	s_xor_b64 s[20:21], s[18:19], -1
	s_and_b64 s[24:25], s[20:21], vcc
	s_and_saveexec_b64 s[20:21], s[24:25]
	s_cbranch_execz .LBB34_161
; %bb.160:
	v_ashrrev_i32_e32 v83, 31, v82
	v_lshlrev_b64 v[83:84], 2, v[82:83]
	v_add_co_u32_e32 v83, vcc, v80, v83
	v_addc_co_u32_e32 v84, vcc, v81, v84, vcc
	global_load_dword v0, v[83:84], off
	global_load_dword v88, v[80:81], off offset:28
	s_waitcnt vmcnt(1)
	global_store_dword v[80:81], v0, off offset:28
	s_waitcnt vmcnt(1)
	global_store_dword v[83:84], v88, off
.LBB34_161:
	s_or_b64 exec, exec, s[20:21]
	v_mov_b32_e32 v84, v82
	v_mov_b32_e32 v0, v82
.LBB34_162:
	s_or_b64 exec, exec, s[8:9]
.LBB34_163:
	s_andn2_saveexec_b64 s[0:1], s[0:1]
	s_cbranch_execz .LBB34_165
; %bb.164:
	v_mov_b32_e32 v84, 7
	ds_write2_b64 v1, v[34:35], v[36:37] offset0:16 offset1:17
	ds_write2_b64 v1, v[30:31], v[32:33] offset0:18 offset1:19
	;; [unrolled: 1-line block ×10, first 2 shown]
.LBB34_165:
	s_or_b64 exec, exec, s[0:1]
	v_cmp_lt_i32_e32 vcc, 7, v84
	s_waitcnt vmcnt(0) lgkmcnt(0)
	s_barrier
	s_and_saveexec_b64 s[0:1], vcc
	s_cbranch_execz .LBB34_167
; %bb.166:
	v_mul_f64 v[82:83], v[74:75], v[40:41]
	v_mul_f64 v[40:41], v[76:77], v[40:41]
	v_fma_f64 v[82:83], v[76:77], v[38:39], v[82:83]
	v_fma_f64 v[38:39], v[74:75], v[38:39], -v[40:41]
	ds_read2_b64 v[74:77], v1 offset0:16 offset1:17
	s_waitcnt lgkmcnt(0)
	v_mul_f64 v[40:41], v[76:77], v[82:83]
	v_fma_f64 v[40:41], v[74:75], v[38:39], -v[40:41]
	v_mul_f64 v[74:75], v[74:75], v[82:83]
	v_add_f64 v[34:35], v[34:35], -v[40:41]
	v_fma_f64 v[74:75], v[76:77], v[38:39], v[74:75]
	v_add_f64 v[36:37], v[36:37], -v[74:75]
	ds_read2_b64 v[74:77], v1 offset0:18 offset1:19
	s_waitcnt lgkmcnt(0)
	v_mul_f64 v[40:41], v[76:77], v[82:83]
	v_fma_f64 v[40:41], v[74:75], v[38:39], -v[40:41]
	v_mul_f64 v[74:75], v[74:75], v[82:83]
	v_add_f64 v[30:31], v[30:31], -v[40:41]
	v_fma_f64 v[74:75], v[76:77], v[38:39], v[74:75]
	v_add_f64 v[32:33], v[32:33], -v[74:75]
	;; [unrolled: 8-line block ×9, first 2 shown]
	ds_read2_b64 v[74:77], v1 offset0:34 offset1:35
	s_waitcnt lgkmcnt(0)
	v_mul_f64 v[40:41], v[76:77], v[82:83]
	v_fma_f64 v[40:41], v[74:75], v[38:39], -v[40:41]
	v_mul_f64 v[74:75], v[74:75], v[82:83]
	v_add_f64 v[70:71], v[70:71], -v[40:41]
	v_fma_f64 v[74:75], v[76:77], v[38:39], v[74:75]
	v_mov_b32_e32 v40, v82
	v_mov_b32_e32 v41, v83
	v_add_f64 v[72:73], v[72:73], -v[74:75]
.LBB34_167:
	s_or_b64 exec, exec, s[0:1]
	v_lshl_add_u32 v74, v84, 4, v1
	s_barrier
	ds_write2_b64 v74, v[34:35], v[36:37] offset1:1
	s_waitcnt lgkmcnt(0)
	s_barrier
	ds_read2_b64 v[74:77], v1 offset0:16 offset1:17
	s_cmp_lt_i32 s22, 10
	v_mov_b32_e32 v82, 8
	s_cbranch_scc1 .LBB34_170
; %bb.168:
	v_add_u32_e32 v83, 0x90, v1
	s_mov_b32 s7, 9
	v_mov_b32_e32 v82, 8
.LBB34_169:                             ; =>This Inner Loop Header: Depth=1
	s_waitcnt lgkmcnt(0)
	v_cmp_gt_f64_e32 vcc, 0, v[76:77]
	v_cmp_gt_f64_e64 s[0:1], 0, v[74:75]
	ds_read2_b64 v[88:91], v83 offset1:1
	v_xor_b32_e32 v93, 0x80000000, v75
	v_xor_b32_e32 v95, 0x80000000, v77
	v_mov_b32_e32 v92, v74
	v_mov_b32_e32 v94, v76
	s_waitcnt lgkmcnt(0)
	v_xor_b32_e32 v97, 0x80000000, v91
	v_cndmask_b32_e32 v95, v77, v95, vcc
	v_cndmask_b32_e64 v93, v75, v93, s[0:1]
	v_cmp_gt_f64_e32 vcc, 0, v[90:91]
	v_cmp_gt_f64_e64 s[0:1], 0, v[88:89]
	v_add_f64 v[92:93], v[92:93], v[94:95]
	v_xor_b32_e32 v95, 0x80000000, v89
	v_mov_b32_e32 v94, v88
	v_mov_b32_e32 v96, v90
	v_add_u32_e32 v83, 16, v83
	v_cndmask_b32_e32 v97, v91, v97, vcc
	v_cndmask_b32_e64 v95, v89, v95, s[0:1]
	v_add_f64 v[94:95], v[94:95], v[96:97]
	v_mov_b32_e32 v96, s7
	s_add_i32 s7, s7, 1
	s_cmp_lg_u32 s22, s7
	v_cmp_lt_f64_e32 vcc, v[92:93], v[94:95]
	v_cndmask_b32_e32 v75, v75, v89, vcc
	v_cndmask_b32_e32 v74, v74, v88, vcc
	;; [unrolled: 1-line block ×5, first 2 shown]
	s_cbranch_scc1 .LBB34_169
.LBB34_170:
	s_waitcnt lgkmcnt(0)
	v_cmp_eq_f64_e32 vcc, 0, v[74:75]
	v_cmp_eq_f64_e64 s[0:1], 0, v[76:77]
	s_and_b64 s[0:1], vcc, s[0:1]
	s_and_saveexec_b64 s[8:9], s[0:1]
	s_xor_b64 s[0:1], exec, s[8:9]
; %bb.171:
	v_cmp_ne_u32_e32 vcc, 0, v87
	v_cndmask_b32_e32 v87, 9, v87, vcc
; %bb.172:
	s_andn2_saveexec_b64 s[0:1], s[0:1]
	s_cbranch_execz .LBB34_178
; %bb.173:
	v_cmp_ngt_f64_e64 s[8:9], |v[74:75]|, |v[76:77]|
	s_and_saveexec_b64 s[20:21], s[8:9]
	s_xor_b64 s[8:9], exec, s[20:21]
	s_cbranch_execz .LBB34_175
; %bb.174:
	v_div_scale_f64 v[88:89], s[20:21], v[76:77], v[76:77], v[74:75]
	v_rcp_f64_e32 v[90:91], v[88:89]
	v_fma_f64 v[92:93], -v[88:89], v[90:91], 1.0
	v_fma_f64 v[90:91], v[90:91], v[92:93], v[90:91]
	v_div_scale_f64 v[92:93], vcc, v[74:75], v[76:77], v[74:75]
	v_fma_f64 v[94:95], -v[88:89], v[90:91], 1.0
	v_fma_f64 v[90:91], v[90:91], v[94:95], v[90:91]
	v_mul_f64 v[94:95], v[92:93], v[90:91]
	v_fma_f64 v[88:89], -v[88:89], v[94:95], v[92:93]
	v_div_fmas_f64 v[88:89], v[88:89], v[90:91], v[94:95]
	v_div_fixup_f64 v[88:89], v[88:89], v[76:77], v[74:75]
	v_fma_f64 v[74:75], v[74:75], v[88:89], v[76:77]
	v_div_scale_f64 v[76:77], s[20:21], v[74:75], v[74:75], 1.0
	v_div_scale_f64 v[94:95], vcc, 1.0, v[74:75], 1.0
	v_rcp_f64_e32 v[90:91], v[76:77]
	v_fma_f64 v[92:93], -v[76:77], v[90:91], 1.0
	v_fma_f64 v[90:91], v[90:91], v[92:93], v[90:91]
	v_fma_f64 v[92:93], -v[76:77], v[90:91], 1.0
	v_fma_f64 v[90:91], v[90:91], v[92:93], v[90:91]
	v_mul_f64 v[92:93], v[94:95], v[90:91]
	v_fma_f64 v[76:77], -v[76:77], v[92:93], v[94:95]
	v_div_fmas_f64 v[76:77], v[76:77], v[90:91], v[92:93]
	v_div_fixup_f64 v[76:77], v[76:77], v[74:75], 1.0
	v_mul_f64 v[74:75], v[88:89], v[76:77]
	v_xor_b32_e32 v77, 0x80000000, v77
.LBB34_175:
	s_andn2_saveexec_b64 s[8:9], s[8:9]
	s_cbranch_execz .LBB34_177
; %bb.176:
	v_div_scale_f64 v[88:89], s[20:21], v[74:75], v[74:75], v[76:77]
	v_rcp_f64_e32 v[90:91], v[88:89]
	v_fma_f64 v[92:93], -v[88:89], v[90:91], 1.0
	v_fma_f64 v[90:91], v[90:91], v[92:93], v[90:91]
	v_div_scale_f64 v[92:93], vcc, v[76:77], v[74:75], v[76:77]
	v_fma_f64 v[94:95], -v[88:89], v[90:91], 1.0
	v_fma_f64 v[90:91], v[90:91], v[94:95], v[90:91]
	v_mul_f64 v[94:95], v[92:93], v[90:91]
	v_fma_f64 v[88:89], -v[88:89], v[94:95], v[92:93]
	v_div_fmas_f64 v[88:89], v[88:89], v[90:91], v[94:95]
	v_div_fixup_f64 v[88:89], v[88:89], v[74:75], v[76:77]
	v_fma_f64 v[74:75], v[76:77], v[88:89], v[74:75]
	v_div_scale_f64 v[76:77], s[20:21], v[74:75], v[74:75], 1.0
	v_div_scale_f64 v[94:95], vcc, 1.0, v[74:75], 1.0
	v_rcp_f64_e32 v[90:91], v[76:77]
	v_fma_f64 v[92:93], -v[76:77], v[90:91], 1.0
	v_fma_f64 v[90:91], v[90:91], v[92:93], v[90:91]
	v_fma_f64 v[92:93], -v[76:77], v[90:91], 1.0
	v_fma_f64 v[90:91], v[90:91], v[92:93], v[90:91]
	v_mul_f64 v[92:93], v[94:95], v[90:91]
	v_fma_f64 v[76:77], -v[76:77], v[92:93], v[94:95]
	v_div_fmas_f64 v[76:77], v[76:77], v[90:91], v[92:93]
	v_div_fixup_f64 v[74:75], v[76:77], v[74:75], 1.0
	v_mul_f64 v[76:77], v[88:89], -v[74:75]
.LBB34_177:
	s_or_b64 exec, exec, s[8:9]
.LBB34_178:
	s_or_b64 exec, exec, s[0:1]
	v_cmp_ne_u32_e32 vcc, v84, v82
	s_and_saveexec_b64 s[0:1], vcc
	s_xor_b64 s[0:1], exec, s[0:1]
	s_cbranch_execz .LBB34_184
; %bb.179:
	v_cmp_eq_u32_e32 vcc, 8, v84
	s_and_saveexec_b64 s[8:9], vcc
	s_cbranch_execz .LBB34_183
; %bb.180:
	v_cmp_ne_u32_e32 vcc, 8, v82
	s_xor_b64 s[20:21], s[18:19], -1
	s_and_b64 s[24:25], s[20:21], vcc
	s_and_saveexec_b64 s[20:21], s[24:25]
	s_cbranch_execz .LBB34_182
; %bb.181:
	v_ashrrev_i32_e32 v83, 31, v82
	v_lshlrev_b64 v[83:84], 2, v[82:83]
	v_add_co_u32_e32 v83, vcc, v80, v83
	v_addc_co_u32_e32 v84, vcc, v81, v84, vcc
	global_load_dword v0, v[83:84], off
	global_load_dword v88, v[80:81], off offset:32
	s_waitcnt vmcnt(1)
	global_store_dword v[80:81], v0, off offset:32
	s_waitcnt vmcnt(1)
	global_store_dword v[83:84], v88, off
.LBB34_182:
	s_or_b64 exec, exec, s[20:21]
	v_mov_b32_e32 v84, v82
	v_mov_b32_e32 v0, v82
.LBB34_183:
	s_or_b64 exec, exec, s[8:9]
.LBB34_184:
	s_andn2_saveexec_b64 s[0:1], s[0:1]
	s_cbranch_execz .LBB34_186
; %bb.185:
	v_mov_b32_e32 v84, 8
	ds_write2_b64 v1, v[30:31], v[32:33] offset0:18 offset1:19
	ds_write2_b64 v1, v[26:27], v[28:29] offset0:20 offset1:21
	;; [unrolled: 1-line block ×9, first 2 shown]
.LBB34_186:
	s_or_b64 exec, exec, s[0:1]
	v_cmp_lt_i32_e32 vcc, 8, v84
	s_waitcnt vmcnt(0) lgkmcnt(0)
	s_barrier
	s_and_saveexec_b64 s[0:1], vcc
	s_cbranch_execz .LBB34_188
; %bb.187:
	v_mul_f64 v[82:83], v[74:75], v[36:37]
	v_mul_f64 v[36:37], v[76:77], v[36:37]
	ds_read2_b64 v[88:91], v1 offset0:18 offset1:19
	ds_read2_b64 v[92:95], v1 offset0:20 offset1:21
	;; [unrolled: 1-line block ×6, first 2 shown]
	v_fma_f64 v[82:83], v[76:77], v[34:35], v[82:83]
	v_fma_f64 v[34:35], v[74:75], v[34:35], -v[36:37]
	s_waitcnt lgkmcnt(5)
	v_mul_f64 v[36:37], v[90:91], v[82:83]
	v_mul_f64 v[74:75], v[88:89], v[82:83]
	s_waitcnt lgkmcnt(4)
	v_mul_f64 v[76:77], v[94:95], v[82:83]
	v_mul_f64 v[112:113], v[92:93], v[82:83]
	;; [unrolled: 3-line block ×5, first 2 shown]
	v_fma_f64 v[36:37], v[88:89], v[34:35], -v[36:37]
	v_fma_f64 v[74:75], v[90:91], v[34:35], v[74:75]
	v_fma_f64 v[76:77], v[92:93], v[34:35], -v[76:77]
	v_fma_f64 v[88:89], v[94:95], v[34:35], v[112:113]
	;; [unrolled: 2-line block ×5, first 2 shown]
	v_add_f64 v[32:33], v[32:33], -v[74:75]
	v_add_f64 v[26:27], v[26:27], -v[76:77]
	;; [unrolled: 1-line block ×6, first 2 shown]
	ds_read2_b64 v[74:77], v1 offset0:30 offset1:31
	ds_read2_b64 v[88:91], v1 offset0:32 offset1:33
	;; [unrolled: 1-line block ×3, first 2 shown]
	v_add_f64 v[30:31], v[30:31], -v[36:37]
	v_add_f64 v[20:21], v[20:21], -v[96:97]
	;; [unrolled: 1-line block ×4, first 2 shown]
	s_waitcnt lgkmcnt(3)
	v_mul_f64 v[36:37], v[110:111], v[82:83]
	v_mul_f64 v[96:97], v[108:109], v[82:83]
	s_waitcnt lgkmcnt(2)
	v_mul_f64 v[98:99], v[76:77], v[82:83]
	v_mul_f64 v[100:101], v[74:75], v[82:83]
	;; [unrolled: 3-line block ×4, first 2 shown]
	v_fma_f64 v[36:37], v[108:109], v[34:35], -v[36:37]
	v_fma_f64 v[96:97], v[110:111], v[34:35], v[96:97]
	v_fma_f64 v[74:75], v[74:75], v[34:35], -v[98:99]
	v_fma_f64 v[76:77], v[76:77], v[34:35], v[100:101]
	v_fma_f64 v[88:89], v[88:89], v[34:35], -v[102:103]
	v_fma_f64 v[90:91], v[90:91], v[34:35], v[104:105]
	v_fma_f64 v[92:93], v[92:93], v[34:35], -v[106:107]
	v_fma_f64 v[94:95], v[94:95], v[34:35], v[112:113]
	v_add_f64 v[10:11], v[10:11], -v[36:37]
	v_add_f64 v[12:13], v[12:13], -v[96:97]
	;; [unrolled: 1-line block ×8, first 2 shown]
	v_mov_b32_e32 v36, v82
	v_mov_b32_e32 v37, v83
.LBB34_188:
	s_or_b64 exec, exec, s[0:1]
	v_lshl_add_u32 v74, v84, 4, v1
	s_barrier
	ds_write2_b64 v74, v[30:31], v[32:33] offset1:1
	s_waitcnt lgkmcnt(0)
	s_barrier
	ds_read2_b64 v[74:77], v1 offset0:18 offset1:19
	s_cmp_lt_i32 s22, 11
	v_mov_b32_e32 v82, 9
	s_cbranch_scc1 .LBB34_191
; %bb.189:
	v_add_u32_e32 v83, 0xa0, v1
	s_mov_b32 s7, 10
	v_mov_b32_e32 v82, 9
.LBB34_190:                             ; =>This Inner Loop Header: Depth=1
	s_waitcnt lgkmcnt(0)
	v_cmp_gt_f64_e32 vcc, 0, v[76:77]
	v_cmp_gt_f64_e64 s[0:1], 0, v[74:75]
	ds_read2_b64 v[88:91], v83 offset1:1
	v_xor_b32_e32 v93, 0x80000000, v75
	v_xor_b32_e32 v95, 0x80000000, v77
	v_mov_b32_e32 v92, v74
	v_mov_b32_e32 v94, v76
	s_waitcnt lgkmcnt(0)
	v_xor_b32_e32 v97, 0x80000000, v91
	v_cndmask_b32_e32 v95, v77, v95, vcc
	v_cndmask_b32_e64 v93, v75, v93, s[0:1]
	v_cmp_gt_f64_e32 vcc, 0, v[90:91]
	v_cmp_gt_f64_e64 s[0:1], 0, v[88:89]
	v_add_f64 v[92:93], v[92:93], v[94:95]
	v_xor_b32_e32 v95, 0x80000000, v89
	v_mov_b32_e32 v94, v88
	v_mov_b32_e32 v96, v90
	v_add_u32_e32 v83, 16, v83
	v_cndmask_b32_e32 v97, v91, v97, vcc
	v_cndmask_b32_e64 v95, v89, v95, s[0:1]
	v_add_f64 v[94:95], v[94:95], v[96:97]
	v_mov_b32_e32 v96, s7
	s_add_i32 s7, s7, 1
	s_cmp_lg_u32 s22, s7
	v_cmp_lt_f64_e32 vcc, v[92:93], v[94:95]
	v_cndmask_b32_e32 v75, v75, v89, vcc
	v_cndmask_b32_e32 v74, v74, v88, vcc
	;; [unrolled: 1-line block ×5, first 2 shown]
	s_cbranch_scc1 .LBB34_190
.LBB34_191:
	s_waitcnt lgkmcnt(0)
	v_cmp_eq_f64_e32 vcc, 0, v[74:75]
	v_cmp_eq_f64_e64 s[0:1], 0, v[76:77]
	s_and_b64 s[0:1], vcc, s[0:1]
	s_and_saveexec_b64 s[8:9], s[0:1]
	s_xor_b64 s[0:1], exec, s[8:9]
; %bb.192:
	v_cmp_ne_u32_e32 vcc, 0, v87
	v_cndmask_b32_e32 v87, 10, v87, vcc
; %bb.193:
	s_andn2_saveexec_b64 s[0:1], s[0:1]
	s_cbranch_execz .LBB34_199
; %bb.194:
	v_cmp_ngt_f64_e64 s[8:9], |v[74:75]|, |v[76:77]|
	s_and_saveexec_b64 s[20:21], s[8:9]
	s_xor_b64 s[8:9], exec, s[20:21]
	s_cbranch_execz .LBB34_196
; %bb.195:
	v_div_scale_f64 v[88:89], s[20:21], v[76:77], v[76:77], v[74:75]
	v_rcp_f64_e32 v[90:91], v[88:89]
	v_fma_f64 v[92:93], -v[88:89], v[90:91], 1.0
	v_fma_f64 v[90:91], v[90:91], v[92:93], v[90:91]
	v_div_scale_f64 v[92:93], vcc, v[74:75], v[76:77], v[74:75]
	v_fma_f64 v[94:95], -v[88:89], v[90:91], 1.0
	v_fma_f64 v[90:91], v[90:91], v[94:95], v[90:91]
	v_mul_f64 v[94:95], v[92:93], v[90:91]
	v_fma_f64 v[88:89], -v[88:89], v[94:95], v[92:93]
	v_div_fmas_f64 v[88:89], v[88:89], v[90:91], v[94:95]
	v_div_fixup_f64 v[88:89], v[88:89], v[76:77], v[74:75]
	v_fma_f64 v[74:75], v[74:75], v[88:89], v[76:77]
	v_div_scale_f64 v[76:77], s[20:21], v[74:75], v[74:75], 1.0
	v_div_scale_f64 v[94:95], vcc, 1.0, v[74:75], 1.0
	v_rcp_f64_e32 v[90:91], v[76:77]
	v_fma_f64 v[92:93], -v[76:77], v[90:91], 1.0
	v_fma_f64 v[90:91], v[90:91], v[92:93], v[90:91]
	v_fma_f64 v[92:93], -v[76:77], v[90:91], 1.0
	v_fma_f64 v[90:91], v[90:91], v[92:93], v[90:91]
	v_mul_f64 v[92:93], v[94:95], v[90:91]
	v_fma_f64 v[76:77], -v[76:77], v[92:93], v[94:95]
	v_div_fmas_f64 v[76:77], v[76:77], v[90:91], v[92:93]
	v_div_fixup_f64 v[76:77], v[76:77], v[74:75], 1.0
	v_mul_f64 v[74:75], v[88:89], v[76:77]
	v_xor_b32_e32 v77, 0x80000000, v77
.LBB34_196:
	s_andn2_saveexec_b64 s[8:9], s[8:9]
	s_cbranch_execz .LBB34_198
; %bb.197:
	v_div_scale_f64 v[88:89], s[20:21], v[74:75], v[74:75], v[76:77]
	v_rcp_f64_e32 v[90:91], v[88:89]
	v_fma_f64 v[92:93], -v[88:89], v[90:91], 1.0
	v_fma_f64 v[90:91], v[90:91], v[92:93], v[90:91]
	v_div_scale_f64 v[92:93], vcc, v[76:77], v[74:75], v[76:77]
	v_fma_f64 v[94:95], -v[88:89], v[90:91], 1.0
	v_fma_f64 v[90:91], v[90:91], v[94:95], v[90:91]
	v_mul_f64 v[94:95], v[92:93], v[90:91]
	v_fma_f64 v[88:89], -v[88:89], v[94:95], v[92:93]
	v_div_fmas_f64 v[88:89], v[88:89], v[90:91], v[94:95]
	v_div_fixup_f64 v[88:89], v[88:89], v[74:75], v[76:77]
	v_fma_f64 v[74:75], v[76:77], v[88:89], v[74:75]
	v_div_scale_f64 v[76:77], s[20:21], v[74:75], v[74:75], 1.0
	v_div_scale_f64 v[94:95], vcc, 1.0, v[74:75], 1.0
	v_rcp_f64_e32 v[90:91], v[76:77]
	v_fma_f64 v[92:93], -v[76:77], v[90:91], 1.0
	v_fma_f64 v[90:91], v[90:91], v[92:93], v[90:91]
	v_fma_f64 v[92:93], -v[76:77], v[90:91], 1.0
	v_fma_f64 v[90:91], v[90:91], v[92:93], v[90:91]
	v_mul_f64 v[92:93], v[94:95], v[90:91]
	v_fma_f64 v[76:77], -v[76:77], v[92:93], v[94:95]
	v_div_fmas_f64 v[76:77], v[76:77], v[90:91], v[92:93]
	v_div_fixup_f64 v[74:75], v[76:77], v[74:75], 1.0
	v_mul_f64 v[76:77], v[88:89], -v[74:75]
.LBB34_198:
	s_or_b64 exec, exec, s[8:9]
.LBB34_199:
	s_or_b64 exec, exec, s[0:1]
	v_cmp_ne_u32_e32 vcc, v84, v82
	s_and_saveexec_b64 s[0:1], vcc
	s_xor_b64 s[0:1], exec, s[0:1]
	s_cbranch_execz .LBB34_205
; %bb.200:
	v_cmp_eq_u32_e32 vcc, 9, v84
	s_and_saveexec_b64 s[8:9], vcc
	s_cbranch_execz .LBB34_204
; %bb.201:
	v_cmp_ne_u32_e32 vcc, 9, v82
	s_xor_b64 s[20:21], s[18:19], -1
	s_and_b64 s[24:25], s[20:21], vcc
	s_and_saveexec_b64 s[20:21], s[24:25]
	s_cbranch_execz .LBB34_203
; %bb.202:
	v_ashrrev_i32_e32 v83, 31, v82
	v_lshlrev_b64 v[83:84], 2, v[82:83]
	v_add_co_u32_e32 v83, vcc, v80, v83
	v_addc_co_u32_e32 v84, vcc, v81, v84, vcc
	global_load_dword v0, v[83:84], off
	global_load_dword v88, v[80:81], off offset:36
	s_waitcnt vmcnt(1)
	global_store_dword v[80:81], v0, off offset:36
	s_waitcnt vmcnt(1)
	global_store_dword v[83:84], v88, off
.LBB34_203:
	s_or_b64 exec, exec, s[20:21]
	v_mov_b32_e32 v84, v82
	v_mov_b32_e32 v0, v82
.LBB34_204:
	s_or_b64 exec, exec, s[8:9]
.LBB34_205:
	s_andn2_saveexec_b64 s[0:1], s[0:1]
	s_cbranch_execz .LBB34_207
; %bb.206:
	v_mov_b32_e32 v84, 9
	ds_write2_b64 v1, v[26:27], v[28:29] offset0:20 offset1:21
	ds_write2_b64 v1, v[22:23], v[24:25] offset0:22 offset1:23
	;; [unrolled: 1-line block ×8, first 2 shown]
.LBB34_207:
	s_or_b64 exec, exec, s[0:1]
	v_cmp_lt_i32_e32 vcc, 9, v84
	s_waitcnt vmcnt(0) lgkmcnt(0)
	s_barrier
	s_and_saveexec_b64 s[0:1], vcc
	s_cbranch_execz .LBB34_209
; %bb.208:
	v_mul_f64 v[82:83], v[74:75], v[32:33]
	v_mul_f64 v[32:33], v[76:77], v[32:33]
	ds_read2_b64 v[88:91], v1 offset0:20 offset1:21
	ds_read2_b64 v[92:95], v1 offset0:22 offset1:23
	;; [unrolled: 1-line block ×5, first 2 shown]
	v_fma_f64 v[82:83], v[76:77], v[30:31], v[82:83]
	v_fma_f64 v[30:31], v[74:75], v[30:31], -v[32:33]
	s_waitcnt lgkmcnt(4)
	v_mul_f64 v[32:33], v[90:91], v[82:83]
	v_mul_f64 v[74:75], v[88:89], v[82:83]
	s_waitcnt lgkmcnt(3)
	v_mul_f64 v[76:77], v[94:95], v[82:83]
	v_mul_f64 v[108:109], v[92:93], v[82:83]
	;; [unrolled: 3-line block ×4, first 2 shown]
	v_fma_f64 v[32:33], v[88:89], v[30:31], -v[32:33]
	v_fma_f64 v[74:75], v[90:91], v[30:31], v[74:75]
	v_fma_f64 v[76:77], v[92:93], v[30:31], -v[76:77]
	v_fma_f64 v[88:89], v[94:95], v[30:31], v[108:109]
	;; [unrolled: 2-line block ×4, first 2 shown]
	v_add_f64 v[26:27], v[26:27], -v[32:33]
	v_add_f64 v[28:29], v[28:29], -v[74:75]
	;; [unrolled: 1-line block ×7, first 2 shown]
	ds_read2_b64 v[74:77], v1 offset0:30 offset1:31
	ds_read2_b64 v[88:91], v1 offset0:32 offset1:33
	;; [unrolled: 1-line block ×3, first 2 shown]
	v_add_f64 v[16:17], v[16:17], -v[96:97]
	s_waitcnt lgkmcnt(3)
	v_mul_f64 v[32:33], v[106:107], v[82:83]
	v_mul_f64 v[96:97], v[104:105], v[82:83]
	s_waitcnt lgkmcnt(2)
	v_mul_f64 v[98:99], v[76:77], v[82:83]
	v_mul_f64 v[100:101], v[74:75], v[82:83]
	;; [unrolled: 3-line block ×4, first 2 shown]
	v_fma_f64 v[32:33], v[104:105], v[30:31], -v[32:33]
	v_fma_f64 v[96:97], v[106:107], v[30:31], v[96:97]
	v_fma_f64 v[74:75], v[74:75], v[30:31], -v[98:99]
	v_fma_f64 v[76:77], v[76:77], v[30:31], v[100:101]
	;; [unrolled: 2-line block ×4, first 2 shown]
	v_add_f64 v[10:11], v[10:11], -v[32:33]
	v_add_f64 v[12:13], v[12:13], -v[96:97]
	;; [unrolled: 1-line block ×8, first 2 shown]
	v_mov_b32_e32 v32, v82
	v_mov_b32_e32 v33, v83
.LBB34_209:
	s_or_b64 exec, exec, s[0:1]
	v_lshl_add_u32 v74, v84, 4, v1
	s_barrier
	ds_write2_b64 v74, v[26:27], v[28:29] offset1:1
	s_waitcnt lgkmcnt(0)
	s_barrier
	ds_read2_b64 v[74:77], v1 offset0:20 offset1:21
	s_cmp_lt_i32 s22, 12
	v_mov_b32_e32 v82, 10
	s_cbranch_scc1 .LBB34_212
; %bb.210:
	v_add_u32_e32 v83, 0xb0, v1
	s_mov_b32 s7, 11
	v_mov_b32_e32 v82, 10
.LBB34_211:                             ; =>This Inner Loop Header: Depth=1
	s_waitcnt lgkmcnt(0)
	v_cmp_gt_f64_e32 vcc, 0, v[76:77]
	v_cmp_gt_f64_e64 s[0:1], 0, v[74:75]
	ds_read2_b64 v[88:91], v83 offset1:1
	v_xor_b32_e32 v93, 0x80000000, v75
	v_xor_b32_e32 v95, 0x80000000, v77
	v_mov_b32_e32 v92, v74
	v_mov_b32_e32 v94, v76
	s_waitcnt lgkmcnt(0)
	v_xor_b32_e32 v97, 0x80000000, v91
	v_cndmask_b32_e32 v95, v77, v95, vcc
	v_cndmask_b32_e64 v93, v75, v93, s[0:1]
	v_cmp_gt_f64_e32 vcc, 0, v[90:91]
	v_cmp_gt_f64_e64 s[0:1], 0, v[88:89]
	v_add_f64 v[92:93], v[92:93], v[94:95]
	v_xor_b32_e32 v95, 0x80000000, v89
	v_mov_b32_e32 v94, v88
	v_mov_b32_e32 v96, v90
	v_add_u32_e32 v83, 16, v83
	v_cndmask_b32_e32 v97, v91, v97, vcc
	v_cndmask_b32_e64 v95, v89, v95, s[0:1]
	v_add_f64 v[94:95], v[94:95], v[96:97]
	v_mov_b32_e32 v96, s7
	s_add_i32 s7, s7, 1
	s_cmp_lg_u32 s22, s7
	v_cmp_lt_f64_e32 vcc, v[92:93], v[94:95]
	v_cndmask_b32_e32 v75, v75, v89, vcc
	v_cndmask_b32_e32 v74, v74, v88, vcc
	;; [unrolled: 1-line block ×5, first 2 shown]
	s_cbranch_scc1 .LBB34_211
.LBB34_212:
	s_waitcnt lgkmcnt(0)
	v_cmp_eq_f64_e32 vcc, 0, v[74:75]
	v_cmp_eq_f64_e64 s[0:1], 0, v[76:77]
	s_and_b64 s[0:1], vcc, s[0:1]
	s_and_saveexec_b64 s[8:9], s[0:1]
	s_xor_b64 s[0:1], exec, s[8:9]
; %bb.213:
	v_cmp_ne_u32_e32 vcc, 0, v87
	v_cndmask_b32_e32 v87, 11, v87, vcc
; %bb.214:
	s_andn2_saveexec_b64 s[0:1], s[0:1]
	s_cbranch_execz .LBB34_220
; %bb.215:
	v_cmp_ngt_f64_e64 s[8:9], |v[74:75]|, |v[76:77]|
	s_and_saveexec_b64 s[20:21], s[8:9]
	s_xor_b64 s[8:9], exec, s[20:21]
	s_cbranch_execz .LBB34_217
; %bb.216:
	v_div_scale_f64 v[88:89], s[20:21], v[76:77], v[76:77], v[74:75]
	v_rcp_f64_e32 v[90:91], v[88:89]
	v_fma_f64 v[92:93], -v[88:89], v[90:91], 1.0
	v_fma_f64 v[90:91], v[90:91], v[92:93], v[90:91]
	v_div_scale_f64 v[92:93], vcc, v[74:75], v[76:77], v[74:75]
	v_fma_f64 v[94:95], -v[88:89], v[90:91], 1.0
	v_fma_f64 v[90:91], v[90:91], v[94:95], v[90:91]
	v_mul_f64 v[94:95], v[92:93], v[90:91]
	v_fma_f64 v[88:89], -v[88:89], v[94:95], v[92:93]
	v_div_fmas_f64 v[88:89], v[88:89], v[90:91], v[94:95]
	v_div_fixup_f64 v[88:89], v[88:89], v[76:77], v[74:75]
	v_fma_f64 v[74:75], v[74:75], v[88:89], v[76:77]
	v_div_scale_f64 v[76:77], s[20:21], v[74:75], v[74:75], 1.0
	v_div_scale_f64 v[94:95], vcc, 1.0, v[74:75], 1.0
	v_rcp_f64_e32 v[90:91], v[76:77]
	v_fma_f64 v[92:93], -v[76:77], v[90:91], 1.0
	v_fma_f64 v[90:91], v[90:91], v[92:93], v[90:91]
	v_fma_f64 v[92:93], -v[76:77], v[90:91], 1.0
	v_fma_f64 v[90:91], v[90:91], v[92:93], v[90:91]
	v_mul_f64 v[92:93], v[94:95], v[90:91]
	v_fma_f64 v[76:77], -v[76:77], v[92:93], v[94:95]
	v_div_fmas_f64 v[76:77], v[76:77], v[90:91], v[92:93]
	v_div_fixup_f64 v[76:77], v[76:77], v[74:75], 1.0
	v_mul_f64 v[74:75], v[88:89], v[76:77]
	v_xor_b32_e32 v77, 0x80000000, v77
.LBB34_217:
	s_andn2_saveexec_b64 s[8:9], s[8:9]
	s_cbranch_execz .LBB34_219
; %bb.218:
	v_div_scale_f64 v[88:89], s[20:21], v[74:75], v[74:75], v[76:77]
	v_rcp_f64_e32 v[90:91], v[88:89]
	v_fma_f64 v[92:93], -v[88:89], v[90:91], 1.0
	v_fma_f64 v[90:91], v[90:91], v[92:93], v[90:91]
	v_div_scale_f64 v[92:93], vcc, v[76:77], v[74:75], v[76:77]
	v_fma_f64 v[94:95], -v[88:89], v[90:91], 1.0
	v_fma_f64 v[90:91], v[90:91], v[94:95], v[90:91]
	v_mul_f64 v[94:95], v[92:93], v[90:91]
	v_fma_f64 v[88:89], -v[88:89], v[94:95], v[92:93]
	v_div_fmas_f64 v[88:89], v[88:89], v[90:91], v[94:95]
	v_div_fixup_f64 v[88:89], v[88:89], v[74:75], v[76:77]
	v_fma_f64 v[74:75], v[76:77], v[88:89], v[74:75]
	v_div_scale_f64 v[76:77], s[20:21], v[74:75], v[74:75], 1.0
	v_div_scale_f64 v[94:95], vcc, 1.0, v[74:75], 1.0
	v_rcp_f64_e32 v[90:91], v[76:77]
	v_fma_f64 v[92:93], -v[76:77], v[90:91], 1.0
	v_fma_f64 v[90:91], v[90:91], v[92:93], v[90:91]
	v_fma_f64 v[92:93], -v[76:77], v[90:91], 1.0
	v_fma_f64 v[90:91], v[90:91], v[92:93], v[90:91]
	v_mul_f64 v[92:93], v[94:95], v[90:91]
	v_fma_f64 v[76:77], -v[76:77], v[92:93], v[94:95]
	v_div_fmas_f64 v[76:77], v[76:77], v[90:91], v[92:93]
	v_div_fixup_f64 v[74:75], v[76:77], v[74:75], 1.0
	v_mul_f64 v[76:77], v[88:89], -v[74:75]
.LBB34_219:
	s_or_b64 exec, exec, s[8:9]
.LBB34_220:
	s_or_b64 exec, exec, s[0:1]
	v_cmp_ne_u32_e32 vcc, v84, v82
	s_and_saveexec_b64 s[0:1], vcc
	s_xor_b64 s[0:1], exec, s[0:1]
	s_cbranch_execz .LBB34_226
; %bb.221:
	v_cmp_eq_u32_e32 vcc, 10, v84
	s_and_saveexec_b64 s[8:9], vcc
	s_cbranch_execz .LBB34_225
; %bb.222:
	v_cmp_ne_u32_e32 vcc, 10, v82
	s_xor_b64 s[20:21], s[18:19], -1
	s_and_b64 s[24:25], s[20:21], vcc
	s_and_saveexec_b64 s[20:21], s[24:25]
	s_cbranch_execz .LBB34_224
; %bb.223:
	v_ashrrev_i32_e32 v83, 31, v82
	v_lshlrev_b64 v[83:84], 2, v[82:83]
	v_add_co_u32_e32 v83, vcc, v80, v83
	v_addc_co_u32_e32 v84, vcc, v81, v84, vcc
	global_load_dword v0, v[83:84], off
	global_load_dword v88, v[80:81], off offset:40
	s_waitcnt vmcnt(1)
	global_store_dword v[80:81], v0, off offset:40
	s_waitcnt vmcnt(1)
	global_store_dword v[83:84], v88, off
.LBB34_224:
	s_or_b64 exec, exec, s[20:21]
	v_mov_b32_e32 v84, v82
	v_mov_b32_e32 v0, v82
.LBB34_225:
	s_or_b64 exec, exec, s[8:9]
.LBB34_226:
	s_andn2_saveexec_b64 s[0:1], s[0:1]
	s_cbranch_execz .LBB34_228
; %bb.227:
	v_mov_b32_e32 v84, 10
	ds_write2_b64 v1, v[22:23], v[24:25] offset0:22 offset1:23
	ds_write2_b64 v1, v[18:19], v[20:21] offset0:24 offset1:25
	;; [unrolled: 1-line block ×7, first 2 shown]
.LBB34_228:
	s_or_b64 exec, exec, s[0:1]
	v_cmp_lt_i32_e32 vcc, 10, v84
	s_waitcnt vmcnt(0) lgkmcnt(0)
	s_barrier
	s_and_saveexec_b64 s[0:1], vcc
	s_cbranch_execz .LBB34_230
; %bb.229:
	v_mul_f64 v[82:83], v[74:75], v[28:29]
	v_mul_f64 v[28:29], v[76:77], v[28:29]
	ds_read2_b64 v[88:91], v1 offset0:22 offset1:23
	ds_read2_b64 v[92:95], v1 offset0:24 offset1:25
	;; [unrolled: 1-line block ×7, first 2 shown]
	v_fma_f64 v[76:77], v[76:77], v[26:27], v[82:83]
	v_fma_f64 v[26:27], v[74:75], v[26:27], -v[28:29]
	s_waitcnt lgkmcnt(6)
	v_mul_f64 v[28:29], v[90:91], v[76:77]
	v_mul_f64 v[74:75], v[88:89], v[76:77]
	s_waitcnt lgkmcnt(5)
	v_mul_f64 v[82:83], v[94:95], v[76:77]
	v_mul_f64 v[116:117], v[92:93], v[76:77]
	;; [unrolled: 3-line block ×4, first 2 shown]
	v_fma_f64 v[28:29], v[88:89], v[26:27], -v[28:29]
	v_fma_f64 v[74:75], v[90:91], v[26:27], v[74:75]
	v_fma_f64 v[82:83], v[92:93], v[26:27], -v[82:83]
	v_fma_f64 v[88:89], v[94:95], v[26:27], v[116:117]
	;; [unrolled: 2-line block ×3, first 2 shown]
	s_waitcnt lgkmcnt(2)
	v_mul_f64 v[94:95], v[106:107], v[76:77]
	v_mul_f64 v[96:97], v[104:105], v[76:77]
	v_add_f64 v[22:23], v[22:23], -v[28:29]
	v_add_f64 v[24:25], v[24:25], -v[74:75]
	;; [unrolled: 1-line block ×4, first 2 shown]
	s_waitcnt lgkmcnt(1)
	v_mul_f64 v[28:29], v[110:111], v[76:77]
	v_mul_f64 v[74:75], v[108:109], v[76:77]
	s_waitcnt lgkmcnt(0)
	v_mul_f64 v[82:83], v[114:115], v[76:77]
	v_mul_f64 v[88:89], v[112:113], v[76:77]
	v_add_f64 v[14:15], v[14:15], -v[90:91]
	v_add_f64 v[16:17], v[16:17], -v[92:93]
	v_fma_f64 v[90:91], v[100:101], v[26:27], -v[122:123]
	v_fma_f64 v[92:93], v[102:103], v[26:27], v[124:125]
	v_fma_f64 v[94:95], v[104:105], v[26:27], -v[94:95]
	v_fma_f64 v[96:97], v[106:107], v[26:27], v[96:97]
	;; [unrolled: 2-line block ×4, first 2 shown]
	v_add_f64 v[10:11], v[10:11], -v[90:91]
	v_add_f64 v[12:13], v[12:13], -v[92:93]
	;; [unrolled: 1-line block ×8, first 2 shown]
	v_mov_b32_e32 v28, v76
	v_mov_b32_e32 v29, v77
.LBB34_230:
	s_or_b64 exec, exec, s[0:1]
	v_lshl_add_u32 v74, v84, 4, v1
	s_barrier
	ds_write2_b64 v74, v[22:23], v[24:25] offset1:1
	s_waitcnt lgkmcnt(0)
	s_barrier
	ds_read2_b64 v[74:77], v1 offset0:22 offset1:23
	s_cmp_lt_i32 s22, 13
	v_mov_b32_e32 v82, 11
	s_cbranch_scc1 .LBB34_233
; %bb.231:
	v_add_u32_e32 v83, 0xc0, v1
	s_mov_b32 s7, 12
	v_mov_b32_e32 v82, 11
.LBB34_232:                             ; =>This Inner Loop Header: Depth=1
	s_waitcnt lgkmcnt(0)
	v_cmp_gt_f64_e32 vcc, 0, v[76:77]
	v_cmp_gt_f64_e64 s[0:1], 0, v[74:75]
	ds_read2_b64 v[88:91], v83 offset1:1
	v_xor_b32_e32 v93, 0x80000000, v75
	v_xor_b32_e32 v95, 0x80000000, v77
	v_mov_b32_e32 v92, v74
	v_mov_b32_e32 v94, v76
	s_waitcnt lgkmcnt(0)
	v_xor_b32_e32 v97, 0x80000000, v91
	v_cndmask_b32_e32 v95, v77, v95, vcc
	v_cndmask_b32_e64 v93, v75, v93, s[0:1]
	v_cmp_gt_f64_e32 vcc, 0, v[90:91]
	v_cmp_gt_f64_e64 s[0:1], 0, v[88:89]
	v_add_f64 v[92:93], v[92:93], v[94:95]
	v_xor_b32_e32 v95, 0x80000000, v89
	v_mov_b32_e32 v94, v88
	v_mov_b32_e32 v96, v90
	v_add_u32_e32 v83, 16, v83
	v_cndmask_b32_e32 v97, v91, v97, vcc
	v_cndmask_b32_e64 v95, v89, v95, s[0:1]
	v_add_f64 v[94:95], v[94:95], v[96:97]
	v_mov_b32_e32 v96, s7
	s_add_i32 s7, s7, 1
	s_cmp_lg_u32 s22, s7
	v_cmp_lt_f64_e32 vcc, v[92:93], v[94:95]
	v_cndmask_b32_e32 v75, v75, v89, vcc
	v_cndmask_b32_e32 v74, v74, v88, vcc
	;; [unrolled: 1-line block ×5, first 2 shown]
	s_cbranch_scc1 .LBB34_232
.LBB34_233:
	s_waitcnt lgkmcnt(0)
	v_cmp_eq_f64_e32 vcc, 0, v[74:75]
	v_cmp_eq_f64_e64 s[0:1], 0, v[76:77]
	s_and_b64 s[0:1], vcc, s[0:1]
	s_and_saveexec_b64 s[8:9], s[0:1]
	s_xor_b64 s[0:1], exec, s[8:9]
; %bb.234:
	v_cmp_ne_u32_e32 vcc, 0, v87
	v_cndmask_b32_e32 v87, 12, v87, vcc
; %bb.235:
	s_andn2_saveexec_b64 s[0:1], s[0:1]
	s_cbranch_execz .LBB34_241
; %bb.236:
	v_cmp_ngt_f64_e64 s[8:9], |v[74:75]|, |v[76:77]|
	s_and_saveexec_b64 s[20:21], s[8:9]
	s_xor_b64 s[8:9], exec, s[20:21]
	s_cbranch_execz .LBB34_238
; %bb.237:
	v_div_scale_f64 v[88:89], s[20:21], v[76:77], v[76:77], v[74:75]
	v_rcp_f64_e32 v[90:91], v[88:89]
	v_fma_f64 v[92:93], -v[88:89], v[90:91], 1.0
	v_fma_f64 v[90:91], v[90:91], v[92:93], v[90:91]
	v_div_scale_f64 v[92:93], vcc, v[74:75], v[76:77], v[74:75]
	v_fma_f64 v[94:95], -v[88:89], v[90:91], 1.0
	v_fma_f64 v[90:91], v[90:91], v[94:95], v[90:91]
	v_mul_f64 v[94:95], v[92:93], v[90:91]
	v_fma_f64 v[88:89], -v[88:89], v[94:95], v[92:93]
	v_div_fmas_f64 v[88:89], v[88:89], v[90:91], v[94:95]
	v_div_fixup_f64 v[88:89], v[88:89], v[76:77], v[74:75]
	v_fma_f64 v[74:75], v[74:75], v[88:89], v[76:77]
	v_div_scale_f64 v[76:77], s[20:21], v[74:75], v[74:75], 1.0
	v_div_scale_f64 v[94:95], vcc, 1.0, v[74:75], 1.0
	v_rcp_f64_e32 v[90:91], v[76:77]
	v_fma_f64 v[92:93], -v[76:77], v[90:91], 1.0
	v_fma_f64 v[90:91], v[90:91], v[92:93], v[90:91]
	v_fma_f64 v[92:93], -v[76:77], v[90:91], 1.0
	v_fma_f64 v[90:91], v[90:91], v[92:93], v[90:91]
	v_mul_f64 v[92:93], v[94:95], v[90:91]
	v_fma_f64 v[76:77], -v[76:77], v[92:93], v[94:95]
	v_div_fmas_f64 v[76:77], v[76:77], v[90:91], v[92:93]
	v_div_fixup_f64 v[76:77], v[76:77], v[74:75], 1.0
	v_mul_f64 v[74:75], v[88:89], v[76:77]
	v_xor_b32_e32 v77, 0x80000000, v77
.LBB34_238:
	s_andn2_saveexec_b64 s[8:9], s[8:9]
	s_cbranch_execz .LBB34_240
; %bb.239:
	v_div_scale_f64 v[88:89], s[20:21], v[74:75], v[74:75], v[76:77]
	v_rcp_f64_e32 v[90:91], v[88:89]
	v_fma_f64 v[92:93], -v[88:89], v[90:91], 1.0
	v_fma_f64 v[90:91], v[90:91], v[92:93], v[90:91]
	v_div_scale_f64 v[92:93], vcc, v[76:77], v[74:75], v[76:77]
	v_fma_f64 v[94:95], -v[88:89], v[90:91], 1.0
	v_fma_f64 v[90:91], v[90:91], v[94:95], v[90:91]
	v_mul_f64 v[94:95], v[92:93], v[90:91]
	v_fma_f64 v[88:89], -v[88:89], v[94:95], v[92:93]
	v_div_fmas_f64 v[88:89], v[88:89], v[90:91], v[94:95]
	v_div_fixup_f64 v[88:89], v[88:89], v[74:75], v[76:77]
	v_fma_f64 v[74:75], v[76:77], v[88:89], v[74:75]
	v_div_scale_f64 v[76:77], s[20:21], v[74:75], v[74:75], 1.0
	v_div_scale_f64 v[94:95], vcc, 1.0, v[74:75], 1.0
	v_rcp_f64_e32 v[90:91], v[76:77]
	v_fma_f64 v[92:93], -v[76:77], v[90:91], 1.0
	v_fma_f64 v[90:91], v[90:91], v[92:93], v[90:91]
	v_fma_f64 v[92:93], -v[76:77], v[90:91], 1.0
	v_fma_f64 v[90:91], v[90:91], v[92:93], v[90:91]
	v_mul_f64 v[92:93], v[94:95], v[90:91]
	v_fma_f64 v[76:77], -v[76:77], v[92:93], v[94:95]
	v_div_fmas_f64 v[76:77], v[76:77], v[90:91], v[92:93]
	v_div_fixup_f64 v[74:75], v[76:77], v[74:75], 1.0
	v_mul_f64 v[76:77], v[88:89], -v[74:75]
.LBB34_240:
	s_or_b64 exec, exec, s[8:9]
.LBB34_241:
	s_or_b64 exec, exec, s[0:1]
	v_cmp_ne_u32_e32 vcc, v84, v82
	s_and_saveexec_b64 s[0:1], vcc
	s_xor_b64 s[0:1], exec, s[0:1]
	s_cbranch_execz .LBB34_247
; %bb.242:
	v_cmp_eq_u32_e32 vcc, 11, v84
	s_and_saveexec_b64 s[8:9], vcc
	s_cbranch_execz .LBB34_246
; %bb.243:
	v_cmp_ne_u32_e32 vcc, 11, v82
	s_xor_b64 s[20:21], s[18:19], -1
	s_and_b64 s[24:25], s[20:21], vcc
	s_and_saveexec_b64 s[20:21], s[24:25]
	s_cbranch_execz .LBB34_245
; %bb.244:
	v_ashrrev_i32_e32 v83, 31, v82
	v_lshlrev_b64 v[83:84], 2, v[82:83]
	v_add_co_u32_e32 v83, vcc, v80, v83
	v_addc_co_u32_e32 v84, vcc, v81, v84, vcc
	global_load_dword v0, v[83:84], off
	global_load_dword v88, v[80:81], off offset:44
	s_waitcnt vmcnt(1)
	global_store_dword v[80:81], v0, off offset:44
	s_waitcnt vmcnt(1)
	global_store_dword v[83:84], v88, off
.LBB34_245:
	s_or_b64 exec, exec, s[20:21]
	v_mov_b32_e32 v84, v82
	v_mov_b32_e32 v0, v82
.LBB34_246:
	s_or_b64 exec, exec, s[8:9]
.LBB34_247:
	s_andn2_saveexec_b64 s[0:1], s[0:1]
	s_cbranch_execz .LBB34_249
; %bb.248:
	v_mov_b32_e32 v84, 11
	ds_write2_b64 v1, v[18:19], v[20:21] offset0:24 offset1:25
	ds_write2_b64 v1, v[14:15], v[16:17] offset0:26 offset1:27
	ds_write2_b64 v1, v[10:11], v[12:13] offset0:28 offset1:29
	ds_write2_b64 v1, v[6:7], v[8:9] offset0:30 offset1:31
	ds_write2_b64 v1, v[2:3], v[4:5] offset0:32 offset1:33
	ds_write2_b64 v1, v[70:71], v[72:73] offset0:34 offset1:35
.LBB34_249:
	s_or_b64 exec, exec, s[0:1]
	v_cmp_lt_i32_e32 vcc, 11, v84
	s_waitcnt vmcnt(0) lgkmcnt(0)
	s_barrier
	s_and_saveexec_b64 s[0:1], vcc
	s_cbranch_execz .LBB34_251
; %bb.250:
	v_mul_f64 v[82:83], v[74:75], v[24:25]
	v_mul_f64 v[24:25], v[76:77], v[24:25]
	v_fma_f64 v[82:83], v[76:77], v[22:23], v[82:83]
	v_fma_f64 v[22:23], v[74:75], v[22:23], -v[24:25]
	ds_read2_b64 v[74:77], v1 offset0:24 offset1:25
	s_waitcnt lgkmcnt(0)
	v_mul_f64 v[24:25], v[76:77], v[82:83]
	v_fma_f64 v[24:25], v[74:75], v[22:23], -v[24:25]
	v_mul_f64 v[74:75], v[74:75], v[82:83]
	v_add_f64 v[18:19], v[18:19], -v[24:25]
	v_fma_f64 v[74:75], v[76:77], v[22:23], v[74:75]
	v_add_f64 v[20:21], v[20:21], -v[74:75]
	ds_read2_b64 v[74:77], v1 offset0:26 offset1:27
	s_waitcnt lgkmcnt(0)
	v_mul_f64 v[24:25], v[76:77], v[82:83]
	v_fma_f64 v[24:25], v[74:75], v[22:23], -v[24:25]
	v_mul_f64 v[74:75], v[74:75], v[82:83]
	v_add_f64 v[14:15], v[14:15], -v[24:25]
	v_fma_f64 v[74:75], v[76:77], v[22:23], v[74:75]
	v_add_f64 v[16:17], v[16:17], -v[74:75]
	;; [unrolled: 8-line block ×5, first 2 shown]
	ds_read2_b64 v[74:77], v1 offset0:34 offset1:35
	s_waitcnt lgkmcnt(0)
	v_mul_f64 v[24:25], v[76:77], v[82:83]
	v_fma_f64 v[24:25], v[74:75], v[22:23], -v[24:25]
	v_mul_f64 v[74:75], v[74:75], v[82:83]
	v_add_f64 v[70:71], v[70:71], -v[24:25]
	v_fma_f64 v[74:75], v[76:77], v[22:23], v[74:75]
	v_mov_b32_e32 v24, v82
	v_mov_b32_e32 v25, v83
	v_add_f64 v[72:73], v[72:73], -v[74:75]
.LBB34_251:
	s_or_b64 exec, exec, s[0:1]
	v_lshl_add_u32 v74, v84, 4, v1
	s_barrier
	ds_write2_b64 v74, v[18:19], v[20:21] offset1:1
	s_waitcnt lgkmcnt(0)
	s_barrier
	ds_read2_b64 v[74:77], v1 offset0:24 offset1:25
	s_cmp_lt_i32 s22, 14
	v_mov_b32_e32 v82, 12
	s_cbranch_scc1 .LBB34_254
; %bb.252:
	v_add_u32_e32 v83, 0xd0, v1
	s_mov_b32 s7, 13
	v_mov_b32_e32 v82, 12
.LBB34_253:                             ; =>This Inner Loop Header: Depth=1
	s_waitcnt lgkmcnt(0)
	v_cmp_gt_f64_e32 vcc, 0, v[76:77]
	v_cmp_gt_f64_e64 s[0:1], 0, v[74:75]
	ds_read2_b64 v[88:91], v83 offset1:1
	v_xor_b32_e32 v93, 0x80000000, v75
	v_xor_b32_e32 v95, 0x80000000, v77
	v_mov_b32_e32 v92, v74
	v_mov_b32_e32 v94, v76
	s_waitcnt lgkmcnt(0)
	v_xor_b32_e32 v97, 0x80000000, v91
	v_cndmask_b32_e32 v95, v77, v95, vcc
	v_cndmask_b32_e64 v93, v75, v93, s[0:1]
	v_cmp_gt_f64_e32 vcc, 0, v[90:91]
	v_cmp_gt_f64_e64 s[0:1], 0, v[88:89]
	v_add_f64 v[92:93], v[92:93], v[94:95]
	v_xor_b32_e32 v95, 0x80000000, v89
	v_mov_b32_e32 v94, v88
	v_mov_b32_e32 v96, v90
	v_add_u32_e32 v83, 16, v83
	v_cndmask_b32_e32 v97, v91, v97, vcc
	v_cndmask_b32_e64 v95, v89, v95, s[0:1]
	v_add_f64 v[94:95], v[94:95], v[96:97]
	v_mov_b32_e32 v96, s7
	s_add_i32 s7, s7, 1
	s_cmp_lg_u32 s22, s7
	v_cmp_lt_f64_e32 vcc, v[92:93], v[94:95]
	v_cndmask_b32_e32 v75, v75, v89, vcc
	v_cndmask_b32_e32 v74, v74, v88, vcc
	;; [unrolled: 1-line block ×5, first 2 shown]
	s_cbranch_scc1 .LBB34_253
.LBB34_254:
	s_waitcnt lgkmcnt(0)
	v_cmp_eq_f64_e32 vcc, 0, v[74:75]
	v_cmp_eq_f64_e64 s[0:1], 0, v[76:77]
	s_and_b64 s[0:1], vcc, s[0:1]
	s_and_saveexec_b64 s[8:9], s[0:1]
	s_xor_b64 s[0:1], exec, s[8:9]
; %bb.255:
	v_cmp_ne_u32_e32 vcc, 0, v87
	v_cndmask_b32_e32 v87, 13, v87, vcc
; %bb.256:
	s_andn2_saveexec_b64 s[0:1], s[0:1]
	s_cbranch_execz .LBB34_262
; %bb.257:
	v_cmp_ngt_f64_e64 s[8:9], |v[74:75]|, |v[76:77]|
	s_and_saveexec_b64 s[20:21], s[8:9]
	s_xor_b64 s[8:9], exec, s[20:21]
	s_cbranch_execz .LBB34_259
; %bb.258:
	v_div_scale_f64 v[88:89], s[20:21], v[76:77], v[76:77], v[74:75]
	v_rcp_f64_e32 v[90:91], v[88:89]
	v_fma_f64 v[92:93], -v[88:89], v[90:91], 1.0
	v_fma_f64 v[90:91], v[90:91], v[92:93], v[90:91]
	v_div_scale_f64 v[92:93], vcc, v[74:75], v[76:77], v[74:75]
	v_fma_f64 v[94:95], -v[88:89], v[90:91], 1.0
	v_fma_f64 v[90:91], v[90:91], v[94:95], v[90:91]
	v_mul_f64 v[94:95], v[92:93], v[90:91]
	v_fma_f64 v[88:89], -v[88:89], v[94:95], v[92:93]
	v_div_fmas_f64 v[88:89], v[88:89], v[90:91], v[94:95]
	v_div_fixup_f64 v[88:89], v[88:89], v[76:77], v[74:75]
	v_fma_f64 v[74:75], v[74:75], v[88:89], v[76:77]
	v_div_scale_f64 v[76:77], s[20:21], v[74:75], v[74:75], 1.0
	v_div_scale_f64 v[94:95], vcc, 1.0, v[74:75], 1.0
	v_rcp_f64_e32 v[90:91], v[76:77]
	v_fma_f64 v[92:93], -v[76:77], v[90:91], 1.0
	v_fma_f64 v[90:91], v[90:91], v[92:93], v[90:91]
	v_fma_f64 v[92:93], -v[76:77], v[90:91], 1.0
	v_fma_f64 v[90:91], v[90:91], v[92:93], v[90:91]
	v_mul_f64 v[92:93], v[94:95], v[90:91]
	v_fma_f64 v[76:77], -v[76:77], v[92:93], v[94:95]
	v_div_fmas_f64 v[76:77], v[76:77], v[90:91], v[92:93]
	v_div_fixup_f64 v[76:77], v[76:77], v[74:75], 1.0
	v_mul_f64 v[74:75], v[88:89], v[76:77]
	v_xor_b32_e32 v77, 0x80000000, v77
.LBB34_259:
	s_andn2_saveexec_b64 s[8:9], s[8:9]
	s_cbranch_execz .LBB34_261
; %bb.260:
	v_div_scale_f64 v[88:89], s[20:21], v[74:75], v[74:75], v[76:77]
	v_rcp_f64_e32 v[90:91], v[88:89]
	v_fma_f64 v[92:93], -v[88:89], v[90:91], 1.0
	v_fma_f64 v[90:91], v[90:91], v[92:93], v[90:91]
	v_div_scale_f64 v[92:93], vcc, v[76:77], v[74:75], v[76:77]
	v_fma_f64 v[94:95], -v[88:89], v[90:91], 1.0
	v_fma_f64 v[90:91], v[90:91], v[94:95], v[90:91]
	v_mul_f64 v[94:95], v[92:93], v[90:91]
	v_fma_f64 v[88:89], -v[88:89], v[94:95], v[92:93]
	v_div_fmas_f64 v[88:89], v[88:89], v[90:91], v[94:95]
	v_div_fixup_f64 v[88:89], v[88:89], v[74:75], v[76:77]
	v_fma_f64 v[74:75], v[76:77], v[88:89], v[74:75]
	v_div_scale_f64 v[76:77], s[20:21], v[74:75], v[74:75], 1.0
	v_div_scale_f64 v[94:95], vcc, 1.0, v[74:75], 1.0
	v_rcp_f64_e32 v[90:91], v[76:77]
	v_fma_f64 v[92:93], -v[76:77], v[90:91], 1.0
	v_fma_f64 v[90:91], v[90:91], v[92:93], v[90:91]
	v_fma_f64 v[92:93], -v[76:77], v[90:91], 1.0
	v_fma_f64 v[90:91], v[90:91], v[92:93], v[90:91]
	v_mul_f64 v[92:93], v[94:95], v[90:91]
	v_fma_f64 v[76:77], -v[76:77], v[92:93], v[94:95]
	v_div_fmas_f64 v[76:77], v[76:77], v[90:91], v[92:93]
	v_div_fixup_f64 v[74:75], v[76:77], v[74:75], 1.0
	v_mul_f64 v[76:77], v[88:89], -v[74:75]
.LBB34_261:
	s_or_b64 exec, exec, s[8:9]
.LBB34_262:
	s_or_b64 exec, exec, s[0:1]
	v_cmp_ne_u32_e32 vcc, v84, v82
	s_and_saveexec_b64 s[0:1], vcc
	s_xor_b64 s[0:1], exec, s[0:1]
	s_cbranch_execz .LBB34_268
; %bb.263:
	v_cmp_eq_u32_e32 vcc, 12, v84
	s_and_saveexec_b64 s[8:9], vcc
	s_cbranch_execz .LBB34_267
; %bb.264:
	v_cmp_ne_u32_e32 vcc, 12, v82
	s_xor_b64 s[20:21], s[18:19], -1
	s_and_b64 s[24:25], s[20:21], vcc
	s_and_saveexec_b64 s[20:21], s[24:25]
	s_cbranch_execz .LBB34_266
; %bb.265:
	v_ashrrev_i32_e32 v83, 31, v82
	v_lshlrev_b64 v[83:84], 2, v[82:83]
	v_add_co_u32_e32 v83, vcc, v80, v83
	v_addc_co_u32_e32 v84, vcc, v81, v84, vcc
	global_load_dword v0, v[83:84], off
	global_load_dword v88, v[80:81], off offset:48
	s_waitcnt vmcnt(1)
	global_store_dword v[80:81], v0, off offset:48
	s_waitcnt vmcnt(1)
	global_store_dword v[83:84], v88, off
.LBB34_266:
	s_or_b64 exec, exec, s[20:21]
	v_mov_b32_e32 v84, v82
	v_mov_b32_e32 v0, v82
.LBB34_267:
	s_or_b64 exec, exec, s[8:9]
.LBB34_268:
	s_andn2_saveexec_b64 s[0:1], s[0:1]
	s_cbranch_execz .LBB34_270
; %bb.269:
	v_mov_b32_e32 v84, 12
	ds_write2_b64 v1, v[14:15], v[16:17] offset0:26 offset1:27
	ds_write2_b64 v1, v[10:11], v[12:13] offset0:28 offset1:29
	;; [unrolled: 1-line block ×5, first 2 shown]
.LBB34_270:
	s_or_b64 exec, exec, s[0:1]
	v_cmp_lt_i32_e32 vcc, 12, v84
	s_waitcnt vmcnt(0) lgkmcnt(0)
	s_barrier
	s_and_saveexec_b64 s[0:1], vcc
	s_cbranch_execz .LBB34_272
; %bb.271:
	v_mul_f64 v[82:83], v[74:75], v[20:21]
	v_mul_f64 v[20:21], v[76:77], v[20:21]
	ds_read2_b64 v[88:91], v1 offset0:26 offset1:27
	ds_read2_b64 v[92:95], v1 offset0:28 offset1:29
	;; [unrolled: 1-line block ×5, first 2 shown]
	v_fma_f64 v[76:77], v[76:77], v[18:19], v[82:83]
	v_fma_f64 v[18:19], v[74:75], v[18:19], -v[20:21]
	s_waitcnt lgkmcnt(4)
	v_mul_f64 v[20:21], v[90:91], v[76:77]
	v_mul_f64 v[74:75], v[88:89], v[76:77]
	s_waitcnt lgkmcnt(3)
	v_mul_f64 v[82:83], v[94:95], v[76:77]
	v_mul_f64 v[108:109], v[92:93], v[76:77]
	;; [unrolled: 3-line block ×5, first 2 shown]
	v_fma_f64 v[20:21], v[88:89], v[18:19], -v[20:21]
	v_fma_f64 v[74:75], v[90:91], v[18:19], v[74:75]
	v_fma_f64 v[82:83], v[92:93], v[18:19], -v[82:83]
	v_fma_f64 v[88:89], v[94:95], v[18:19], v[108:109]
	;; [unrolled: 2-line block ×5, first 2 shown]
	v_add_f64 v[14:15], v[14:15], -v[20:21]
	v_add_f64 v[16:17], v[16:17], -v[74:75]
	;; [unrolled: 1-line block ×10, first 2 shown]
	v_mov_b32_e32 v20, v76
	v_mov_b32_e32 v21, v77
.LBB34_272:
	s_or_b64 exec, exec, s[0:1]
	v_lshl_add_u32 v74, v84, 4, v1
	s_barrier
	ds_write2_b64 v74, v[14:15], v[16:17] offset1:1
	s_waitcnt lgkmcnt(0)
	s_barrier
	ds_read2_b64 v[74:77], v1 offset0:26 offset1:27
	s_cmp_lt_i32 s22, 15
	v_mov_b32_e32 v82, 13
	s_cbranch_scc1 .LBB34_275
; %bb.273:
	v_add_u32_e32 v83, 0xe0, v1
	s_mov_b32 s7, 14
	v_mov_b32_e32 v82, 13
.LBB34_274:                             ; =>This Inner Loop Header: Depth=1
	s_waitcnt lgkmcnt(0)
	v_cmp_gt_f64_e32 vcc, 0, v[76:77]
	v_cmp_gt_f64_e64 s[0:1], 0, v[74:75]
	ds_read2_b64 v[88:91], v83 offset1:1
	v_xor_b32_e32 v93, 0x80000000, v75
	v_xor_b32_e32 v95, 0x80000000, v77
	v_mov_b32_e32 v92, v74
	v_mov_b32_e32 v94, v76
	s_waitcnt lgkmcnt(0)
	v_xor_b32_e32 v97, 0x80000000, v91
	v_cndmask_b32_e32 v95, v77, v95, vcc
	v_cndmask_b32_e64 v93, v75, v93, s[0:1]
	v_cmp_gt_f64_e32 vcc, 0, v[90:91]
	v_cmp_gt_f64_e64 s[0:1], 0, v[88:89]
	v_add_f64 v[92:93], v[92:93], v[94:95]
	v_xor_b32_e32 v95, 0x80000000, v89
	v_mov_b32_e32 v94, v88
	v_mov_b32_e32 v96, v90
	v_add_u32_e32 v83, 16, v83
	v_cndmask_b32_e32 v97, v91, v97, vcc
	v_cndmask_b32_e64 v95, v89, v95, s[0:1]
	v_add_f64 v[94:95], v[94:95], v[96:97]
	v_mov_b32_e32 v96, s7
	s_add_i32 s7, s7, 1
	s_cmp_lg_u32 s22, s7
	v_cmp_lt_f64_e32 vcc, v[92:93], v[94:95]
	v_cndmask_b32_e32 v75, v75, v89, vcc
	v_cndmask_b32_e32 v74, v74, v88, vcc
	;; [unrolled: 1-line block ×5, first 2 shown]
	s_cbranch_scc1 .LBB34_274
.LBB34_275:
	s_waitcnt lgkmcnt(0)
	v_cmp_eq_f64_e32 vcc, 0, v[74:75]
	v_cmp_eq_f64_e64 s[0:1], 0, v[76:77]
	s_and_b64 s[0:1], vcc, s[0:1]
	s_and_saveexec_b64 s[8:9], s[0:1]
	s_xor_b64 s[0:1], exec, s[8:9]
; %bb.276:
	v_cmp_ne_u32_e32 vcc, 0, v87
	v_cndmask_b32_e32 v87, 14, v87, vcc
; %bb.277:
	s_andn2_saveexec_b64 s[0:1], s[0:1]
	s_cbranch_execz .LBB34_283
; %bb.278:
	v_cmp_ngt_f64_e64 s[8:9], |v[74:75]|, |v[76:77]|
	s_and_saveexec_b64 s[20:21], s[8:9]
	s_xor_b64 s[8:9], exec, s[20:21]
	s_cbranch_execz .LBB34_280
; %bb.279:
	v_div_scale_f64 v[88:89], s[20:21], v[76:77], v[76:77], v[74:75]
	v_rcp_f64_e32 v[90:91], v[88:89]
	v_fma_f64 v[92:93], -v[88:89], v[90:91], 1.0
	v_fma_f64 v[90:91], v[90:91], v[92:93], v[90:91]
	v_div_scale_f64 v[92:93], vcc, v[74:75], v[76:77], v[74:75]
	v_fma_f64 v[94:95], -v[88:89], v[90:91], 1.0
	v_fma_f64 v[90:91], v[90:91], v[94:95], v[90:91]
	v_mul_f64 v[94:95], v[92:93], v[90:91]
	v_fma_f64 v[88:89], -v[88:89], v[94:95], v[92:93]
	v_div_fmas_f64 v[88:89], v[88:89], v[90:91], v[94:95]
	v_div_fixup_f64 v[88:89], v[88:89], v[76:77], v[74:75]
	v_fma_f64 v[74:75], v[74:75], v[88:89], v[76:77]
	v_div_scale_f64 v[76:77], s[20:21], v[74:75], v[74:75], 1.0
	v_div_scale_f64 v[94:95], vcc, 1.0, v[74:75], 1.0
	v_rcp_f64_e32 v[90:91], v[76:77]
	v_fma_f64 v[92:93], -v[76:77], v[90:91], 1.0
	v_fma_f64 v[90:91], v[90:91], v[92:93], v[90:91]
	v_fma_f64 v[92:93], -v[76:77], v[90:91], 1.0
	v_fma_f64 v[90:91], v[90:91], v[92:93], v[90:91]
	v_mul_f64 v[92:93], v[94:95], v[90:91]
	v_fma_f64 v[76:77], -v[76:77], v[92:93], v[94:95]
	v_div_fmas_f64 v[76:77], v[76:77], v[90:91], v[92:93]
	v_div_fixup_f64 v[76:77], v[76:77], v[74:75], 1.0
	v_mul_f64 v[74:75], v[88:89], v[76:77]
	v_xor_b32_e32 v77, 0x80000000, v77
.LBB34_280:
	s_andn2_saveexec_b64 s[8:9], s[8:9]
	s_cbranch_execz .LBB34_282
; %bb.281:
	v_div_scale_f64 v[88:89], s[20:21], v[74:75], v[74:75], v[76:77]
	v_rcp_f64_e32 v[90:91], v[88:89]
	v_fma_f64 v[92:93], -v[88:89], v[90:91], 1.0
	v_fma_f64 v[90:91], v[90:91], v[92:93], v[90:91]
	v_div_scale_f64 v[92:93], vcc, v[76:77], v[74:75], v[76:77]
	v_fma_f64 v[94:95], -v[88:89], v[90:91], 1.0
	v_fma_f64 v[90:91], v[90:91], v[94:95], v[90:91]
	v_mul_f64 v[94:95], v[92:93], v[90:91]
	v_fma_f64 v[88:89], -v[88:89], v[94:95], v[92:93]
	v_div_fmas_f64 v[88:89], v[88:89], v[90:91], v[94:95]
	v_div_fixup_f64 v[88:89], v[88:89], v[74:75], v[76:77]
	v_fma_f64 v[74:75], v[76:77], v[88:89], v[74:75]
	v_div_scale_f64 v[76:77], s[20:21], v[74:75], v[74:75], 1.0
	v_div_scale_f64 v[94:95], vcc, 1.0, v[74:75], 1.0
	v_rcp_f64_e32 v[90:91], v[76:77]
	v_fma_f64 v[92:93], -v[76:77], v[90:91], 1.0
	v_fma_f64 v[90:91], v[90:91], v[92:93], v[90:91]
	v_fma_f64 v[92:93], -v[76:77], v[90:91], 1.0
	v_fma_f64 v[90:91], v[90:91], v[92:93], v[90:91]
	v_mul_f64 v[92:93], v[94:95], v[90:91]
	v_fma_f64 v[76:77], -v[76:77], v[92:93], v[94:95]
	v_div_fmas_f64 v[76:77], v[76:77], v[90:91], v[92:93]
	v_div_fixup_f64 v[74:75], v[76:77], v[74:75], 1.0
	v_mul_f64 v[76:77], v[88:89], -v[74:75]
.LBB34_282:
	s_or_b64 exec, exec, s[8:9]
.LBB34_283:
	s_or_b64 exec, exec, s[0:1]
	v_cmp_ne_u32_e32 vcc, v84, v82
	s_and_saveexec_b64 s[0:1], vcc
	s_xor_b64 s[0:1], exec, s[0:1]
	s_cbranch_execz .LBB34_289
; %bb.284:
	v_cmp_eq_u32_e32 vcc, 13, v84
	s_and_saveexec_b64 s[8:9], vcc
	s_cbranch_execz .LBB34_288
; %bb.285:
	v_cmp_ne_u32_e32 vcc, 13, v82
	s_xor_b64 s[20:21], s[18:19], -1
	s_and_b64 s[24:25], s[20:21], vcc
	s_and_saveexec_b64 s[20:21], s[24:25]
	s_cbranch_execz .LBB34_287
; %bb.286:
	v_ashrrev_i32_e32 v83, 31, v82
	v_lshlrev_b64 v[83:84], 2, v[82:83]
	v_add_co_u32_e32 v83, vcc, v80, v83
	v_addc_co_u32_e32 v84, vcc, v81, v84, vcc
	global_load_dword v0, v[83:84], off
	global_load_dword v88, v[80:81], off offset:52
	s_waitcnt vmcnt(1)
	global_store_dword v[80:81], v0, off offset:52
	s_waitcnt vmcnt(1)
	global_store_dword v[83:84], v88, off
.LBB34_287:
	s_or_b64 exec, exec, s[20:21]
	v_mov_b32_e32 v84, v82
	v_mov_b32_e32 v0, v82
.LBB34_288:
	s_or_b64 exec, exec, s[8:9]
.LBB34_289:
	s_andn2_saveexec_b64 s[0:1], s[0:1]
	s_cbranch_execz .LBB34_291
; %bb.290:
	v_mov_b32_e32 v84, 13
	ds_write2_b64 v1, v[10:11], v[12:13] offset0:28 offset1:29
	ds_write2_b64 v1, v[6:7], v[8:9] offset0:30 offset1:31
	;; [unrolled: 1-line block ×4, first 2 shown]
.LBB34_291:
	s_or_b64 exec, exec, s[0:1]
	v_cmp_lt_i32_e32 vcc, 13, v84
	s_waitcnt vmcnt(0) lgkmcnt(0)
	s_barrier
	s_and_saveexec_b64 s[0:1], vcc
	s_cbranch_execz .LBB34_293
; %bb.292:
	v_mul_f64 v[82:83], v[74:75], v[16:17]
	v_mul_f64 v[16:17], v[76:77], v[16:17]
	ds_read2_b64 v[88:91], v1 offset0:28 offset1:29
	ds_read2_b64 v[92:95], v1 offset0:30 offset1:31
	;; [unrolled: 1-line block ×4, first 2 shown]
	v_fma_f64 v[76:77], v[76:77], v[14:15], v[82:83]
	v_fma_f64 v[14:15], v[74:75], v[14:15], -v[16:17]
	s_waitcnt lgkmcnt(3)
	v_mul_f64 v[16:17], v[90:91], v[76:77]
	v_mul_f64 v[74:75], v[88:89], v[76:77]
	s_waitcnt lgkmcnt(2)
	v_mul_f64 v[82:83], v[94:95], v[76:77]
	v_mul_f64 v[104:105], v[92:93], v[76:77]
	;; [unrolled: 3-line block ×4, first 2 shown]
	v_fma_f64 v[16:17], v[88:89], v[14:15], -v[16:17]
	v_fma_f64 v[74:75], v[90:91], v[14:15], v[74:75]
	v_fma_f64 v[82:83], v[92:93], v[14:15], -v[82:83]
	v_fma_f64 v[88:89], v[94:95], v[14:15], v[104:105]
	;; [unrolled: 2-line block ×4, first 2 shown]
	v_add_f64 v[10:11], v[10:11], -v[16:17]
	v_add_f64 v[12:13], v[12:13], -v[74:75]
	;; [unrolled: 1-line block ×8, first 2 shown]
	v_mov_b32_e32 v16, v76
	v_mov_b32_e32 v17, v77
.LBB34_293:
	s_or_b64 exec, exec, s[0:1]
	v_lshl_add_u32 v74, v84, 4, v1
	s_barrier
	ds_write2_b64 v74, v[10:11], v[12:13] offset1:1
	s_waitcnt lgkmcnt(0)
	s_barrier
	ds_read2_b64 v[74:77], v1 offset0:28 offset1:29
	s_cmp_lt_i32 s22, 16
	v_mov_b32_e32 v82, 14
	s_cbranch_scc1 .LBB34_296
; %bb.294:
	v_add_u32_e32 v83, 0xf0, v1
	s_mov_b32 s7, 15
	v_mov_b32_e32 v82, 14
.LBB34_295:                             ; =>This Inner Loop Header: Depth=1
	s_waitcnt lgkmcnt(0)
	v_cmp_gt_f64_e32 vcc, 0, v[76:77]
	v_cmp_gt_f64_e64 s[0:1], 0, v[74:75]
	ds_read2_b64 v[88:91], v83 offset1:1
	v_xor_b32_e32 v93, 0x80000000, v75
	v_xor_b32_e32 v95, 0x80000000, v77
	v_mov_b32_e32 v92, v74
	v_mov_b32_e32 v94, v76
	s_waitcnt lgkmcnt(0)
	v_xor_b32_e32 v97, 0x80000000, v91
	v_cndmask_b32_e32 v95, v77, v95, vcc
	v_cndmask_b32_e64 v93, v75, v93, s[0:1]
	v_cmp_gt_f64_e32 vcc, 0, v[90:91]
	v_cmp_gt_f64_e64 s[0:1], 0, v[88:89]
	v_add_f64 v[92:93], v[92:93], v[94:95]
	v_xor_b32_e32 v95, 0x80000000, v89
	v_mov_b32_e32 v94, v88
	v_mov_b32_e32 v96, v90
	v_add_u32_e32 v83, 16, v83
	v_cndmask_b32_e32 v97, v91, v97, vcc
	v_cndmask_b32_e64 v95, v89, v95, s[0:1]
	v_add_f64 v[94:95], v[94:95], v[96:97]
	v_mov_b32_e32 v96, s7
	s_add_i32 s7, s7, 1
	s_cmp_lg_u32 s22, s7
	v_cmp_lt_f64_e32 vcc, v[92:93], v[94:95]
	v_cndmask_b32_e32 v75, v75, v89, vcc
	v_cndmask_b32_e32 v74, v74, v88, vcc
	;; [unrolled: 1-line block ×5, first 2 shown]
	s_cbranch_scc1 .LBB34_295
.LBB34_296:
	s_waitcnt lgkmcnt(0)
	v_cmp_eq_f64_e32 vcc, 0, v[74:75]
	v_cmp_eq_f64_e64 s[0:1], 0, v[76:77]
	s_and_b64 s[0:1], vcc, s[0:1]
	s_and_saveexec_b64 s[8:9], s[0:1]
	s_xor_b64 s[0:1], exec, s[8:9]
; %bb.297:
	v_cmp_ne_u32_e32 vcc, 0, v87
	v_cndmask_b32_e32 v87, 15, v87, vcc
; %bb.298:
	s_andn2_saveexec_b64 s[0:1], s[0:1]
	s_cbranch_execz .LBB34_304
; %bb.299:
	v_cmp_ngt_f64_e64 s[8:9], |v[74:75]|, |v[76:77]|
	s_and_saveexec_b64 s[20:21], s[8:9]
	s_xor_b64 s[8:9], exec, s[20:21]
	s_cbranch_execz .LBB34_301
; %bb.300:
	v_div_scale_f64 v[88:89], s[20:21], v[76:77], v[76:77], v[74:75]
	v_rcp_f64_e32 v[90:91], v[88:89]
	v_fma_f64 v[92:93], -v[88:89], v[90:91], 1.0
	v_fma_f64 v[90:91], v[90:91], v[92:93], v[90:91]
	v_div_scale_f64 v[92:93], vcc, v[74:75], v[76:77], v[74:75]
	v_fma_f64 v[94:95], -v[88:89], v[90:91], 1.0
	v_fma_f64 v[90:91], v[90:91], v[94:95], v[90:91]
	v_mul_f64 v[94:95], v[92:93], v[90:91]
	v_fma_f64 v[88:89], -v[88:89], v[94:95], v[92:93]
	v_div_fmas_f64 v[88:89], v[88:89], v[90:91], v[94:95]
	v_div_fixup_f64 v[88:89], v[88:89], v[76:77], v[74:75]
	v_fma_f64 v[74:75], v[74:75], v[88:89], v[76:77]
	v_div_scale_f64 v[76:77], s[20:21], v[74:75], v[74:75], 1.0
	v_div_scale_f64 v[94:95], vcc, 1.0, v[74:75], 1.0
	v_rcp_f64_e32 v[90:91], v[76:77]
	v_fma_f64 v[92:93], -v[76:77], v[90:91], 1.0
	v_fma_f64 v[90:91], v[90:91], v[92:93], v[90:91]
	v_fma_f64 v[92:93], -v[76:77], v[90:91], 1.0
	v_fma_f64 v[90:91], v[90:91], v[92:93], v[90:91]
	v_mul_f64 v[92:93], v[94:95], v[90:91]
	v_fma_f64 v[76:77], -v[76:77], v[92:93], v[94:95]
	v_div_fmas_f64 v[76:77], v[76:77], v[90:91], v[92:93]
	v_div_fixup_f64 v[76:77], v[76:77], v[74:75], 1.0
	v_mul_f64 v[74:75], v[88:89], v[76:77]
	v_xor_b32_e32 v77, 0x80000000, v77
.LBB34_301:
	s_andn2_saveexec_b64 s[8:9], s[8:9]
	s_cbranch_execz .LBB34_303
; %bb.302:
	v_div_scale_f64 v[88:89], s[20:21], v[74:75], v[74:75], v[76:77]
	v_rcp_f64_e32 v[90:91], v[88:89]
	v_fma_f64 v[92:93], -v[88:89], v[90:91], 1.0
	v_fma_f64 v[90:91], v[90:91], v[92:93], v[90:91]
	v_div_scale_f64 v[92:93], vcc, v[76:77], v[74:75], v[76:77]
	v_fma_f64 v[94:95], -v[88:89], v[90:91], 1.0
	v_fma_f64 v[90:91], v[90:91], v[94:95], v[90:91]
	v_mul_f64 v[94:95], v[92:93], v[90:91]
	v_fma_f64 v[88:89], -v[88:89], v[94:95], v[92:93]
	v_div_fmas_f64 v[88:89], v[88:89], v[90:91], v[94:95]
	v_div_fixup_f64 v[88:89], v[88:89], v[74:75], v[76:77]
	v_fma_f64 v[74:75], v[76:77], v[88:89], v[74:75]
	v_div_scale_f64 v[76:77], s[20:21], v[74:75], v[74:75], 1.0
	v_div_scale_f64 v[94:95], vcc, 1.0, v[74:75], 1.0
	v_rcp_f64_e32 v[90:91], v[76:77]
	v_fma_f64 v[92:93], -v[76:77], v[90:91], 1.0
	v_fma_f64 v[90:91], v[90:91], v[92:93], v[90:91]
	v_fma_f64 v[92:93], -v[76:77], v[90:91], 1.0
	v_fma_f64 v[90:91], v[90:91], v[92:93], v[90:91]
	v_mul_f64 v[92:93], v[94:95], v[90:91]
	v_fma_f64 v[76:77], -v[76:77], v[92:93], v[94:95]
	v_div_fmas_f64 v[76:77], v[76:77], v[90:91], v[92:93]
	v_div_fixup_f64 v[74:75], v[76:77], v[74:75], 1.0
	v_mul_f64 v[76:77], v[88:89], -v[74:75]
.LBB34_303:
	s_or_b64 exec, exec, s[8:9]
.LBB34_304:
	s_or_b64 exec, exec, s[0:1]
	v_cmp_ne_u32_e32 vcc, v84, v82
	s_and_saveexec_b64 s[0:1], vcc
	s_xor_b64 s[0:1], exec, s[0:1]
	s_cbranch_execz .LBB34_310
; %bb.305:
	v_cmp_eq_u32_e32 vcc, 14, v84
	s_and_saveexec_b64 s[8:9], vcc
	s_cbranch_execz .LBB34_309
; %bb.306:
	v_cmp_ne_u32_e32 vcc, 14, v82
	s_xor_b64 s[20:21], s[18:19], -1
	s_and_b64 s[24:25], s[20:21], vcc
	s_and_saveexec_b64 s[20:21], s[24:25]
	s_cbranch_execz .LBB34_308
; %bb.307:
	v_ashrrev_i32_e32 v83, 31, v82
	v_lshlrev_b64 v[83:84], 2, v[82:83]
	v_add_co_u32_e32 v83, vcc, v80, v83
	v_addc_co_u32_e32 v84, vcc, v81, v84, vcc
	global_load_dword v0, v[83:84], off
	global_load_dword v88, v[80:81], off offset:56
	s_waitcnt vmcnt(1)
	global_store_dword v[80:81], v0, off offset:56
	s_waitcnt vmcnt(1)
	global_store_dword v[83:84], v88, off
.LBB34_308:
	s_or_b64 exec, exec, s[20:21]
	v_mov_b32_e32 v84, v82
	v_mov_b32_e32 v0, v82
.LBB34_309:
	s_or_b64 exec, exec, s[8:9]
.LBB34_310:
	s_andn2_saveexec_b64 s[0:1], s[0:1]
	s_cbranch_execz .LBB34_312
; %bb.311:
	v_mov_b32_e32 v84, 14
	ds_write2_b64 v1, v[6:7], v[8:9] offset0:30 offset1:31
	ds_write2_b64 v1, v[2:3], v[4:5] offset0:32 offset1:33
	;; [unrolled: 1-line block ×3, first 2 shown]
.LBB34_312:
	s_or_b64 exec, exec, s[0:1]
	v_cmp_lt_i32_e32 vcc, 14, v84
	s_waitcnt vmcnt(0) lgkmcnt(0)
	s_barrier
	s_and_saveexec_b64 s[0:1], vcc
	s_cbranch_execz .LBB34_314
; %bb.313:
	v_mul_f64 v[82:83], v[74:75], v[12:13]
	v_mul_f64 v[12:13], v[76:77], v[12:13]
	ds_read2_b64 v[88:91], v1 offset0:30 offset1:31
	ds_read2_b64 v[92:95], v1 offset0:32 offset1:33
	;; [unrolled: 1-line block ×3, first 2 shown]
	v_fma_f64 v[76:77], v[76:77], v[10:11], v[82:83]
	v_fma_f64 v[10:11], v[74:75], v[10:11], -v[12:13]
	s_waitcnt lgkmcnt(2)
	v_mul_f64 v[12:13], v[90:91], v[76:77]
	v_mul_f64 v[74:75], v[88:89], v[76:77]
	s_waitcnt lgkmcnt(1)
	v_mul_f64 v[82:83], v[94:95], v[76:77]
	v_mul_f64 v[100:101], v[92:93], v[76:77]
	;; [unrolled: 3-line block ×3, first 2 shown]
	v_fma_f64 v[12:13], v[88:89], v[10:11], -v[12:13]
	v_fma_f64 v[74:75], v[90:91], v[10:11], v[74:75]
	v_fma_f64 v[82:83], v[92:93], v[10:11], -v[82:83]
	v_fma_f64 v[88:89], v[94:95], v[10:11], v[100:101]
	;; [unrolled: 2-line block ×3, first 2 shown]
	v_add_f64 v[6:7], v[6:7], -v[12:13]
	v_add_f64 v[8:9], v[8:9], -v[74:75]
	;; [unrolled: 1-line block ×6, first 2 shown]
	v_mov_b32_e32 v12, v76
	v_mov_b32_e32 v13, v77
.LBB34_314:
	s_or_b64 exec, exec, s[0:1]
	v_lshl_add_u32 v74, v84, 4, v1
	s_barrier
	ds_write2_b64 v74, v[6:7], v[8:9] offset1:1
	s_waitcnt lgkmcnt(0)
	s_barrier
	ds_read2_b64 v[74:77], v1 offset0:30 offset1:31
	s_cmp_lt_i32 s22, 17
	v_mov_b32_e32 v82, 15
	s_cbranch_scc1 .LBB34_317
; %bb.315:
	v_add_u32_e32 v83, 0x100, v1
	s_mov_b32 s7, 16
	v_mov_b32_e32 v82, 15
.LBB34_316:                             ; =>This Inner Loop Header: Depth=1
	s_waitcnt lgkmcnt(0)
	v_cmp_gt_f64_e32 vcc, 0, v[76:77]
	v_cmp_gt_f64_e64 s[0:1], 0, v[74:75]
	ds_read2_b64 v[88:91], v83 offset1:1
	v_xor_b32_e32 v93, 0x80000000, v75
	v_xor_b32_e32 v95, 0x80000000, v77
	v_mov_b32_e32 v92, v74
	v_mov_b32_e32 v94, v76
	s_waitcnt lgkmcnt(0)
	v_xor_b32_e32 v97, 0x80000000, v91
	v_cndmask_b32_e32 v95, v77, v95, vcc
	v_cndmask_b32_e64 v93, v75, v93, s[0:1]
	v_cmp_gt_f64_e32 vcc, 0, v[90:91]
	v_cmp_gt_f64_e64 s[0:1], 0, v[88:89]
	v_add_f64 v[92:93], v[92:93], v[94:95]
	v_xor_b32_e32 v95, 0x80000000, v89
	v_mov_b32_e32 v94, v88
	v_mov_b32_e32 v96, v90
	v_add_u32_e32 v83, 16, v83
	v_cndmask_b32_e32 v97, v91, v97, vcc
	v_cndmask_b32_e64 v95, v89, v95, s[0:1]
	v_add_f64 v[94:95], v[94:95], v[96:97]
	v_mov_b32_e32 v96, s7
	s_add_i32 s7, s7, 1
	s_cmp_lg_u32 s22, s7
	v_cmp_lt_f64_e32 vcc, v[92:93], v[94:95]
	v_cndmask_b32_e32 v75, v75, v89, vcc
	v_cndmask_b32_e32 v74, v74, v88, vcc
	;; [unrolled: 1-line block ×5, first 2 shown]
	s_cbranch_scc1 .LBB34_316
.LBB34_317:
	s_waitcnt lgkmcnt(0)
	v_cmp_eq_f64_e32 vcc, 0, v[74:75]
	v_cmp_eq_f64_e64 s[0:1], 0, v[76:77]
	s_and_b64 s[0:1], vcc, s[0:1]
	s_and_saveexec_b64 s[8:9], s[0:1]
	s_xor_b64 s[0:1], exec, s[8:9]
; %bb.318:
	v_cmp_ne_u32_e32 vcc, 0, v87
	v_cndmask_b32_e32 v87, 16, v87, vcc
; %bb.319:
	s_andn2_saveexec_b64 s[0:1], s[0:1]
	s_cbranch_execz .LBB34_325
; %bb.320:
	v_cmp_ngt_f64_e64 s[8:9], |v[74:75]|, |v[76:77]|
	s_and_saveexec_b64 s[20:21], s[8:9]
	s_xor_b64 s[8:9], exec, s[20:21]
	s_cbranch_execz .LBB34_322
; %bb.321:
	v_div_scale_f64 v[88:89], s[20:21], v[76:77], v[76:77], v[74:75]
	v_rcp_f64_e32 v[90:91], v[88:89]
	v_fma_f64 v[92:93], -v[88:89], v[90:91], 1.0
	v_fma_f64 v[90:91], v[90:91], v[92:93], v[90:91]
	v_div_scale_f64 v[92:93], vcc, v[74:75], v[76:77], v[74:75]
	v_fma_f64 v[94:95], -v[88:89], v[90:91], 1.0
	v_fma_f64 v[90:91], v[90:91], v[94:95], v[90:91]
	v_mul_f64 v[94:95], v[92:93], v[90:91]
	v_fma_f64 v[88:89], -v[88:89], v[94:95], v[92:93]
	v_div_fmas_f64 v[88:89], v[88:89], v[90:91], v[94:95]
	v_div_fixup_f64 v[88:89], v[88:89], v[76:77], v[74:75]
	v_fma_f64 v[74:75], v[74:75], v[88:89], v[76:77]
	v_div_scale_f64 v[76:77], s[20:21], v[74:75], v[74:75], 1.0
	v_div_scale_f64 v[94:95], vcc, 1.0, v[74:75], 1.0
	v_rcp_f64_e32 v[90:91], v[76:77]
	v_fma_f64 v[92:93], -v[76:77], v[90:91], 1.0
	v_fma_f64 v[90:91], v[90:91], v[92:93], v[90:91]
	v_fma_f64 v[92:93], -v[76:77], v[90:91], 1.0
	v_fma_f64 v[90:91], v[90:91], v[92:93], v[90:91]
	v_mul_f64 v[92:93], v[94:95], v[90:91]
	v_fma_f64 v[76:77], -v[76:77], v[92:93], v[94:95]
	v_div_fmas_f64 v[76:77], v[76:77], v[90:91], v[92:93]
	v_div_fixup_f64 v[76:77], v[76:77], v[74:75], 1.0
	v_mul_f64 v[74:75], v[88:89], v[76:77]
	v_xor_b32_e32 v77, 0x80000000, v77
.LBB34_322:
	s_andn2_saveexec_b64 s[8:9], s[8:9]
	s_cbranch_execz .LBB34_324
; %bb.323:
	v_div_scale_f64 v[88:89], s[20:21], v[74:75], v[74:75], v[76:77]
	v_rcp_f64_e32 v[90:91], v[88:89]
	v_fma_f64 v[92:93], -v[88:89], v[90:91], 1.0
	v_fma_f64 v[90:91], v[90:91], v[92:93], v[90:91]
	v_div_scale_f64 v[92:93], vcc, v[76:77], v[74:75], v[76:77]
	v_fma_f64 v[94:95], -v[88:89], v[90:91], 1.0
	v_fma_f64 v[90:91], v[90:91], v[94:95], v[90:91]
	v_mul_f64 v[94:95], v[92:93], v[90:91]
	v_fma_f64 v[88:89], -v[88:89], v[94:95], v[92:93]
	v_div_fmas_f64 v[88:89], v[88:89], v[90:91], v[94:95]
	v_div_fixup_f64 v[88:89], v[88:89], v[74:75], v[76:77]
	v_fma_f64 v[74:75], v[76:77], v[88:89], v[74:75]
	v_div_scale_f64 v[76:77], s[20:21], v[74:75], v[74:75], 1.0
	v_div_scale_f64 v[94:95], vcc, 1.0, v[74:75], 1.0
	v_rcp_f64_e32 v[90:91], v[76:77]
	v_fma_f64 v[92:93], -v[76:77], v[90:91], 1.0
	v_fma_f64 v[90:91], v[90:91], v[92:93], v[90:91]
	v_fma_f64 v[92:93], -v[76:77], v[90:91], 1.0
	v_fma_f64 v[90:91], v[90:91], v[92:93], v[90:91]
	v_mul_f64 v[92:93], v[94:95], v[90:91]
	v_fma_f64 v[76:77], -v[76:77], v[92:93], v[94:95]
	v_div_fmas_f64 v[76:77], v[76:77], v[90:91], v[92:93]
	v_div_fixup_f64 v[74:75], v[76:77], v[74:75], 1.0
	v_mul_f64 v[76:77], v[88:89], -v[74:75]
.LBB34_324:
	s_or_b64 exec, exec, s[8:9]
.LBB34_325:
	s_or_b64 exec, exec, s[0:1]
	v_cmp_ne_u32_e32 vcc, v84, v82
	s_and_saveexec_b64 s[0:1], vcc
	s_xor_b64 s[0:1], exec, s[0:1]
	s_cbranch_execz .LBB34_331
; %bb.326:
	v_cmp_eq_u32_e32 vcc, 15, v84
	s_and_saveexec_b64 s[8:9], vcc
	s_cbranch_execz .LBB34_330
; %bb.327:
	v_cmp_ne_u32_e32 vcc, 15, v82
	s_xor_b64 s[20:21], s[18:19], -1
	s_and_b64 s[24:25], s[20:21], vcc
	s_and_saveexec_b64 s[20:21], s[24:25]
	s_cbranch_execz .LBB34_329
; %bb.328:
	v_ashrrev_i32_e32 v83, 31, v82
	v_lshlrev_b64 v[83:84], 2, v[82:83]
	v_add_co_u32_e32 v83, vcc, v80, v83
	v_addc_co_u32_e32 v84, vcc, v81, v84, vcc
	global_load_dword v0, v[83:84], off
	global_load_dword v88, v[80:81], off offset:60
	s_waitcnt vmcnt(1)
	global_store_dword v[80:81], v0, off offset:60
	s_waitcnt vmcnt(1)
	global_store_dword v[83:84], v88, off
.LBB34_329:
	s_or_b64 exec, exec, s[20:21]
	v_mov_b32_e32 v84, v82
	v_mov_b32_e32 v0, v82
.LBB34_330:
	s_or_b64 exec, exec, s[8:9]
.LBB34_331:
	s_andn2_saveexec_b64 s[0:1], s[0:1]
	s_cbranch_execz .LBB34_333
; %bb.332:
	v_mov_b32_e32 v84, 15
	ds_write2_b64 v1, v[2:3], v[4:5] offset0:32 offset1:33
	ds_write2_b64 v1, v[70:71], v[72:73] offset0:34 offset1:35
.LBB34_333:
	s_or_b64 exec, exec, s[0:1]
	v_cmp_lt_i32_e32 vcc, 15, v84
	s_waitcnt vmcnt(0) lgkmcnt(0)
	s_barrier
	s_and_saveexec_b64 s[0:1], vcc
	s_cbranch_execz .LBB34_335
; %bb.334:
	v_mul_f64 v[82:83], v[74:75], v[8:9]
	v_mul_f64 v[8:9], v[76:77], v[8:9]
	ds_read2_b64 v[88:91], v1 offset0:32 offset1:33
	ds_read2_b64 v[92:95], v1 offset0:34 offset1:35
	v_fma_f64 v[76:77], v[76:77], v[6:7], v[82:83]
	v_fma_f64 v[6:7], v[74:75], v[6:7], -v[8:9]
	s_waitcnt lgkmcnt(1)
	v_mul_f64 v[8:9], v[90:91], v[76:77]
	v_mul_f64 v[74:75], v[88:89], v[76:77]
	s_waitcnt lgkmcnt(0)
	v_mul_f64 v[82:83], v[94:95], v[76:77]
	v_mul_f64 v[96:97], v[92:93], v[76:77]
	v_fma_f64 v[8:9], v[88:89], v[6:7], -v[8:9]
	v_fma_f64 v[74:75], v[90:91], v[6:7], v[74:75]
	v_fma_f64 v[82:83], v[92:93], v[6:7], -v[82:83]
	v_fma_f64 v[88:89], v[94:95], v[6:7], v[96:97]
	v_add_f64 v[2:3], v[2:3], -v[8:9]
	v_add_f64 v[4:5], v[4:5], -v[74:75]
	;; [unrolled: 1-line block ×4, first 2 shown]
	v_mov_b32_e32 v8, v76
	v_mov_b32_e32 v9, v77
.LBB34_335:
	s_or_b64 exec, exec, s[0:1]
	v_lshl_add_u32 v74, v84, 4, v1
	s_barrier
	ds_write2_b64 v74, v[2:3], v[4:5] offset1:1
	s_waitcnt lgkmcnt(0)
	s_barrier
	ds_read2_b64 v[74:77], v1 offset0:32 offset1:33
	s_cmp_lt_i32 s22, 18
	v_mov_b32_e32 v82, 16
	s_cbranch_scc1 .LBB34_338
; %bb.336:
	v_add_u32_e32 v83, 0x110, v1
	s_mov_b32 s7, 17
	v_mov_b32_e32 v82, 16
.LBB34_337:                             ; =>This Inner Loop Header: Depth=1
	s_waitcnt lgkmcnt(0)
	v_cmp_gt_f64_e32 vcc, 0, v[76:77]
	v_cmp_gt_f64_e64 s[0:1], 0, v[74:75]
	ds_read2_b64 v[88:91], v83 offset1:1
	v_xor_b32_e32 v93, 0x80000000, v75
	v_xor_b32_e32 v95, 0x80000000, v77
	v_mov_b32_e32 v92, v74
	v_mov_b32_e32 v94, v76
	s_waitcnt lgkmcnt(0)
	v_xor_b32_e32 v97, 0x80000000, v91
	v_cndmask_b32_e32 v95, v77, v95, vcc
	v_cndmask_b32_e64 v93, v75, v93, s[0:1]
	v_cmp_gt_f64_e32 vcc, 0, v[90:91]
	v_cmp_gt_f64_e64 s[0:1], 0, v[88:89]
	v_add_f64 v[92:93], v[92:93], v[94:95]
	v_xor_b32_e32 v95, 0x80000000, v89
	v_mov_b32_e32 v94, v88
	v_mov_b32_e32 v96, v90
	v_add_u32_e32 v83, 16, v83
	v_cndmask_b32_e32 v97, v91, v97, vcc
	v_cndmask_b32_e64 v95, v89, v95, s[0:1]
	v_add_f64 v[94:95], v[94:95], v[96:97]
	v_mov_b32_e32 v96, s7
	s_add_i32 s7, s7, 1
	s_cmp_lg_u32 s22, s7
	v_cmp_lt_f64_e32 vcc, v[92:93], v[94:95]
	v_cndmask_b32_e32 v75, v75, v89, vcc
	v_cndmask_b32_e32 v74, v74, v88, vcc
	;; [unrolled: 1-line block ×5, first 2 shown]
	s_cbranch_scc1 .LBB34_337
.LBB34_338:
	s_waitcnt lgkmcnt(0)
	v_cmp_eq_f64_e32 vcc, 0, v[74:75]
	v_cmp_eq_f64_e64 s[0:1], 0, v[76:77]
	s_and_b64 s[0:1], vcc, s[0:1]
	s_and_saveexec_b64 s[8:9], s[0:1]
	s_xor_b64 s[0:1], exec, s[8:9]
; %bb.339:
	v_cmp_ne_u32_e32 vcc, 0, v87
	v_cndmask_b32_e32 v87, 17, v87, vcc
; %bb.340:
	s_andn2_saveexec_b64 s[0:1], s[0:1]
	s_cbranch_execz .LBB34_346
; %bb.341:
	v_cmp_ngt_f64_e64 s[8:9], |v[74:75]|, |v[76:77]|
	s_and_saveexec_b64 s[20:21], s[8:9]
	s_xor_b64 s[8:9], exec, s[20:21]
	s_cbranch_execz .LBB34_343
; %bb.342:
	v_div_scale_f64 v[88:89], s[20:21], v[76:77], v[76:77], v[74:75]
	v_rcp_f64_e32 v[90:91], v[88:89]
	v_fma_f64 v[92:93], -v[88:89], v[90:91], 1.0
	v_fma_f64 v[90:91], v[90:91], v[92:93], v[90:91]
	v_div_scale_f64 v[92:93], vcc, v[74:75], v[76:77], v[74:75]
	v_fma_f64 v[94:95], -v[88:89], v[90:91], 1.0
	v_fma_f64 v[90:91], v[90:91], v[94:95], v[90:91]
	v_mul_f64 v[94:95], v[92:93], v[90:91]
	v_fma_f64 v[88:89], -v[88:89], v[94:95], v[92:93]
	v_div_fmas_f64 v[88:89], v[88:89], v[90:91], v[94:95]
	v_div_fixup_f64 v[88:89], v[88:89], v[76:77], v[74:75]
	v_fma_f64 v[74:75], v[74:75], v[88:89], v[76:77]
	v_div_scale_f64 v[76:77], s[20:21], v[74:75], v[74:75], 1.0
	v_div_scale_f64 v[94:95], vcc, 1.0, v[74:75], 1.0
	v_rcp_f64_e32 v[90:91], v[76:77]
	v_fma_f64 v[92:93], -v[76:77], v[90:91], 1.0
	v_fma_f64 v[90:91], v[90:91], v[92:93], v[90:91]
	v_fma_f64 v[92:93], -v[76:77], v[90:91], 1.0
	v_fma_f64 v[90:91], v[90:91], v[92:93], v[90:91]
	v_mul_f64 v[92:93], v[94:95], v[90:91]
	v_fma_f64 v[76:77], -v[76:77], v[92:93], v[94:95]
	v_div_fmas_f64 v[76:77], v[76:77], v[90:91], v[92:93]
	v_div_fixup_f64 v[76:77], v[76:77], v[74:75], 1.0
	v_mul_f64 v[74:75], v[88:89], v[76:77]
	v_xor_b32_e32 v77, 0x80000000, v77
.LBB34_343:
	s_andn2_saveexec_b64 s[8:9], s[8:9]
	s_cbranch_execz .LBB34_345
; %bb.344:
	v_div_scale_f64 v[88:89], s[20:21], v[74:75], v[74:75], v[76:77]
	v_rcp_f64_e32 v[90:91], v[88:89]
	v_fma_f64 v[92:93], -v[88:89], v[90:91], 1.0
	v_fma_f64 v[90:91], v[90:91], v[92:93], v[90:91]
	v_div_scale_f64 v[92:93], vcc, v[76:77], v[74:75], v[76:77]
	v_fma_f64 v[94:95], -v[88:89], v[90:91], 1.0
	v_fma_f64 v[90:91], v[90:91], v[94:95], v[90:91]
	v_mul_f64 v[94:95], v[92:93], v[90:91]
	v_fma_f64 v[88:89], -v[88:89], v[94:95], v[92:93]
	v_div_fmas_f64 v[88:89], v[88:89], v[90:91], v[94:95]
	v_div_fixup_f64 v[88:89], v[88:89], v[74:75], v[76:77]
	v_fma_f64 v[74:75], v[76:77], v[88:89], v[74:75]
	v_div_scale_f64 v[76:77], s[20:21], v[74:75], v[74:75], 1.0
	v_div_scale_f64 v[94:95], vcc, 1.0, v[74:75], 1.0
	v_rcp_f64_e32 v[90:91], v[76:77]
	v_fma_f64 v[92:93], -v[76:77], v[90:91], 1.0
	v_fma_f64 v[90:91], v[90:91], v[92:93], v[90:91]
	v_fma_f64 v[92:93], -v[76:77], v[90:91], 1.0
	v_fma_f64 v[90:91], v[90:91], v[92:93], v[90:91]
	v_mul_f64 v[92:93], v[94:95], v[90:91]
	v_fma_f64 v[76:77], -v[76:77], v[92:93], v[94:95]
	v_div_fmas_f64 v[76:77], v[76:77], v[90:91], v[92:93]
	v_div_fixup_f64 v[74:75], v[76:77], v[74:75], 1.0
	v_mul_f64 v[76:77], v[88:89], -v[74:75]
.LBB34_345:
	s_or_b64 exec, exec, s[8:9]
.LBB34_346:
	s_or_b64 exec, exec, s[0:1]
	v_cmp_ne_u32_e32 vcc, v84, v82
	s_and_saveexec_b64 s[0:1], vcc
	s_xor_b64 s[0:1], exec, s[0:1]
	s_cbranch_execz .LBB34_352
; %bb.347:
	v_cmp_eq_u32_e32 vcc, 16, v84
	s_and_saveexec_b64 s[8:9], vcc
	s_cbranch_execz .LBB34_351
; %bb.348:
	v_cmp_ne_u32_e32 vcc, 16, v82
	s_xor_b64 s[20:21], s[18:19], -1
	s_and_b64 s[24:25], s[20:21], vcc
	s_and_saveexec_b64 s[20:21], s[24:25]
	s_cbranch_execz .LBB34_350
; %bb.349:
	v_ashrrev_i32_e32 v83, 31, v82
	v_lshlrev_b64 v[83:84], 2, v[82:83]
	v_add_co_u32_e32 v83, vcc, v80, v83
	v_addc_co_u32_e32 v84, vcc, v81, v84, vcc
	global_load_dword v0, v[83:84], off
	global_load_dword v88, v[80:81], off offset:64
	s_waitcnt vmcnt(1)
	global_store_dword v[80:81], v0, off offset:64
	s_waitcnt vmcnt(1)
	global_store_dword v[83:84], v88, off
.LBB34_350:
	s_or_b64 exec, exec, s[20:21]
	v_mov_b32_e32 v84, v82
	v_mov_b32_e32 v0, v82
.LBB34_351:
	s_or_b64 exec, exec, s[8:9]
.LBB34_352:
	s_andn2_saveexec_b64 s[0:1], s[0:1]
; %bb.353:
	v_mov_b32_e32 v84, 16
	ds_write2_b64 v1, v[70:71], v[72:73] offset0:34 offset1:35
; %bb.354:
	s_or_b64 exec, exec, s[0:1]
	v_cmp_lt_i32_e32 vcc, 16, v84
	s_waitcnt vmcnt(0) lgkmcnt(0)
	s_barrier
	s_and_saveexec_b64 s[0:1], vcc
	s_cbranch_execz .LBB34_356
; %bb.355:
	v_mul_f64 v[82:83], v[74:75], v[4:5]
	v_mul_f64 v[4:5], v[76:77], v[4:5]
	ds_read2_b64 v[88:91], v1 offset0:34 offset1:35
	v_fma_f64 v[76:77], v[76:77], v[2:3], v[82:83]
	v_fma_f64 v[2:3], v[74:75], v[2:3], -v[4:5]
	s_waitcnt lgkmcnt(0)
	v_mul_f64 v[4:5], v[90:91], v[76:77]
	v_mul_f64 v[74:75], v[88:89], v[76:77]
	v_fma_f64 v[4:5], v[88:89], v[2:3], -v[4:5]
	v_fma_f64 v[74:75], v[90:91], v[2:3], v[74:75]
	v_add_f64 v[70:71], v[70:71], -v[4:5]
	v_add_f64 v[72:73], v[72:73], -v[74:75]
	v_mov_b32_e32 v4, v76
	v_mov_b32_e32 v5, v77
.LBB34_356:
	s_or_b64 exec, exec, s[0:1]
	v_lshl_add_u32 v74, v84, 4, v1
	s_barrier
	ds_write2_b64 v74, v[70:71], v[72:73] offset1:1
	s_waitcnt lgkmcnt(0)
	s_barrier
	ds_read2_b64 v[74:77], v1 offset0:34 offset1:35
	s_cmp_lt_i32 s22, 19
	v_mov_b32_e32 v82, 17
	s_cbranch_scc1 .LBB34_359
; %bb.357:
	v_add_u32_e32 v1, 0x120, v1
	s_mov_b32 s7, 18
	v_mov_b32_e32 v82, 17
.LBB34_358:                             ; =>This Inner Loop Header: Depth=1
	s_waitcnt lgkmcnt(0)
	v_cmp_gt_f64_e32 vcc, 0, v[76:77]
	v_cmp_gt_f64_e64 s[0:1], 0, v[74:75]
	ds_read2_b64 v[88:91], v1 offset1:1
	v_xor_b32_e32 v83, 0x80000000, v75
	v_xor_b32_e32 v95, 0x80000000, v77
	v_mov_b32_e32 v92, v74
	v_mov_b32_e32 v94, v76
	s_waitcnt lgkmcnt(0)
	v_xor_b32_e32 v97, 0x80000000, v91
	v_cndmask_b32_e32 v95, v77, v95, vcc
	v_cndmask_b32_e64 v93, v75, v83, s[0:1]
	v_cmp_gt_f64_e32 vcc, 0, v[90:91]
	v_cmp_gt_f64_e64 s[0:1], 0, v[88:89]
	v_xor_b32_e32 v83, 0x80000000, v89
	v_add_f64 v[92:93], v[92:93], v[94:95]
	v_mov_b32_e32 v94, v88
	v_mov_b32_e32 v96, v90
	v_add_u32_e32 v1, 16, v1
	v_cndmask_b32_e32 v97, v91, v97, vcc
	v_cndmask_b32_e64 v95, v89, v83, s[0:1]
	v_add_f64 v[94:95], v[94:95], v[96:97]
	v_mov_b32_e32 v83, s7
	s_add_i32 s7, s7, 1
	s_cmp_lg_u32 s22, s7
	v_cmp_lt_f64_e32 vcc, v[92:93], v[94:95]
	v_cndmask_b32_e32 v75, v75, v89, vcc
	v_cndmask_b32_e32 v74, v74, v88, vcc
	;; [unrolled: 1-line block ×5, first 2 shown]
	s_cbranch_scc1 .LBB34_358
.LBB34_359:
	s_waitcnt lgkmcnt(0)
	v_cmp_eq_f64_e32 vcc, 0, v[74:75]
	v_cmp_eq_f64_e64 s[0:1], 0, v[76:77]
	s_and_b64 s[0:1], vcc, s[0:1]
	s_and_saveexec_b64 s[8:9], s[0:1]
	s_xor_b64 s[0:1], exec, s[8:9]
; %bb.360:
	v_cmp_ne_u32_e32 vcc, 0, v87
	v_cndmask_b32_e32 v87, 18, v87, vcc
; %bb.361:
	s_andn2_saveexec_b64 s[0:1], s[0:1]
	s_cbranch_execz .LBB34_367
; %bb.362:
	v_cmp_ngt_f64_e64 s[8:9], |v[74:75]|, |v[76:77]|
	s_and_saveexec_b64 s[20:21], s[8:9]
	s_xor_b64 s[8:9], exec, s[20:21]
	s_cbranch_execz .LBB34_364
; %bb.363:
	v_div_scale_f64 v[88:89], s[20:21], v[76:77], v[76:77], v[74:75]
	v_rcp_f64_e32 v[90:91], v[88:89]
	v_fma_f64 v[92:93], -v[88:89], v[90:91], 1.0
	v_fma_f64 v[90:91], v[90:91], v[92:93], v[90:91]
	v_div_scale_f64 v[92:93], vcc, v[74:75], v[76:77], v[74:75]
	v_fma_f64 v[94:95], -v[88:89], v[90:91], 1.0
	v_fma_f64 v[90:91], v[90:91], v[94:95], v[90:91]
	v_mul_f64 v[94:95], v[92:93], v[90:91]
	v_fma_f64 v[88:89], -v[88:89], v[94:95], v[92:93]
	v_div_fmas_f64 v[88:89], v[88:89], v[90:91], v[94:95]
	v_div_fixup_f64 v[88:89], v[88:89], v[76:77], v[74:75]
	v_fma_f64 v[74:75], v[74:75], v[88:89], v[76:77]
	v_div_scale_f64 v[76:77], s[20:21], v[74:75], v[74:75], 1.0
	v_div_scale_f64 v[94:95], vcc, 1.0, v[74:75], 1.0
	v_rcp_f64_e32 v[90:91], v[76:77]
	v_fma_f64 v[92:93], -v[76:77], v[90:91], 1.0
	v_fma_f64 v[90:91], v[90:91], v[92:93], v[90:91]
	v_fma_f64 v[92:93], -v[76:77], v[90:91], 1.0
	v_fma_f64 v[90:91], v[90:91], v[92:93], v[90:91]
	v_mul_f64 v[92:93], v[94:95], v[90:91]
	v_fma_f64 v[76:77], -v[76:77], v[92:93], v[94:95]
	v_div_fmas_f64 v[76:77], v[76:77], v[90:91], v[92:93]
	v_div_fixup_f64 v[76:77], v[76:77], v[74:75], 1.0
	v_mul_f64 v[74:75], v[88:89], v[76:77]
	v_xor_b32_e32 v77, 0x80000000, v77
.LBB34_364:
	s_andn2_saveexec_b64 s[8:9], s[8:9]
	s_cbranch_execz .LBB34_366
; %bb.365:
	v_div_scale_f64 v[88:89], s[20:21], v[74:75], v[74:75], v[76:77]
	v_rcp_f64_e32 v[90:91], v[88:89]
	v_fma_f64 v[92:93], -v[88:89], v[90:91], 1.0
	v_fma_f64 v[90:91], v[90:91], v[92:93], v[90:91]
	v_div_scale_f64 v[92:93], vcc, v[76:77], v[74:75], v[76:77]
	v_fma_f64 v[94:95], -v[88:89], v[90:91], 1.0
	v_fma_f64 v[90:91], v[90:91], v[94:95], v[90:91]
	v_mul_f64 v[94:95], v[92:93], v[90:91]
	v_fma_f64 v[88:89], -v[88:89], v[94:95], v[92:93]
	v_div_fmas_f64 v[88:89], v[88:89], v[90:91], v[94:95]
	v_div_fixup_f64 v[88:89], v[88:89], v[74:75], v[76:77]
	v_fma_f64 v[74:75], v[76:77], v[88:89], v[74:75]
	v_div_scale_f64 v[76:77], s[20:21], v[74:75], v[74:75], 1.0
	v_div_scale_f64 v[94:95], vcc, 1.0, v[74:75], 1.0
	v_rcp_f64_e32 v[90:91], v[76:77]
	v_fma_f64 v[92:93], -v[76:77], v[90:91], 1.0
	v_fma_f64 v[90:91], v[90:91], v[92:93], v[90:91]
	v_fma_f64 v[92:93], -v[76:77], v[90:91], 1.0
	v_fma_f64 v[90:91], v[90:91], v[92:93], v[90:91]
	v_mul_f64 v[92:93], v[94:95], v[90:91]
	v_fma_f64 v[76:77], -v[76:77], v[92:93], v[94:95]
	v_div_fmas_f64 v[76:77], v[76:77], v[90:91], v[92:93]
	v_div_fixup_f64 v[74:75], v[76:77], v[74:75], 1.0
	v_mul_f64 v[76:77], v[88:89], -v[74:75]
.LBB34_366:
	s_or_b64 exec, exec, s[8:9]
.LBB34_367:
	s_or_b64 exec, exec, s[0:1]
	v_cmp_ne_u32_e32 vcc, v84, v82
	v_mov_b32_e32 v83, 17
	s_and_saveexec_b64 s[0:1], vcc
	s_cbranch_execz .LBB34_373
; %bb.368:
	v_cmp_eq_u32_e32 vcc, 17, v84
	s_and_saveexec_b64 s[8:9], vcc
	s_cbranch_execz .LBB34_372
; %bb.369:
	v_cmp_ne_u32_e32 vcc, 17, v82
	s_xor_b64 s[18:19], s[18:19], -1
	s_and_b64 s[20:21], s[18:19], vcc
	s_and_saveexec_b64 s[18:19], s[20:21]
	s_cbranch_execz .LBB34_371
; %bb.370:
	v_ashrrev_i32_e32 v83, 31, v82
	v_lshlrev_b64 v[0:1], 2, v[82:83]
	v_add_co_u32_e32 v0, vcc, v80, v0
	v_addc_co_u32_e32 v1, vcc, v81, v1, vcc
	global_load_dword v83, v[0:1], off
	global_load_dword v84, v[80:81], off offset:68
	s_waitcnt vmcnt(1)
	global_store_dword v[80:81], v83, off offset:68
	s_waitcnt vmcnt(1)
	global_store_dword v[0:1], v84, off
.LBB34_371:
	s_or_b64 exec, exec, s[18:19]
	v_mov_b32_e32 v84, v82
	v_mov_b32_e32 v0, v82
.LBB34_372:
	s_or_b64 exec, exec, s[8:9]
	v_mov_b32_e32 v83, v84
.LBB34_373:
	s_or_b64 exec, exec, s[0:1]
	v_cmp_gt_i32_e32 vcc, 18, v83
	v_ashrrev_i32_e32 v84, 31, v83
	s_waitcnt vmcnt(0)
	s_barrier
	s_barrier
	s_and_saveexec_b64 s[0:1], vcc
	s_cbranch_execz .LBB34_375
; %bb.374:
	v_mul_lo_u32 v1, s15, v78
	v_mul_lo_u32 v82, s14, v79
	v_mad_u64_u32 v[80:81], s[8:9], s14, v78, 0
	s_lshl_b64 s[8:9], s[12:13], 2
	v_add3_u32 v0, v0, s17, 1
	v_add3_u32 v81, v81, v82, v1
	v_lshlrev_b64 v[80:81], 2, v[80:81]
	v_mov_b32_e32 v1, s11
	v_add_co_u32_e32 v80, vcc, s10, v80
	v_addc_co_u32_e32 v1, vcc, v1, v81, vcc
	v_mov_b32_e32 v81, s9
	v_add_co_u32_e32 v82, vcc, s8, v80
	v_addc_co_u32_e32 v1, vcc, v1, v81, vcc
	v_lshlrev_b64 v[80:81], 2, v[83:84]
	v_add_co_u32_e32 v80, vcc, v82, v80
	v_addc_co_u32_e32 v81, vcc, v1, v81, vcc
	global_store_dword v[80:81], v0, off
.LBB34_375:
	s_or_b64 exec, exec, s[0:1]
	v_cmp_eq_u32_e32 vcc, 0, v83
	s_and_saveexec_b64 s[8:9], vcc
	s_cbranch_execz .LBB34_378
; %bb.376:
	v_lshlrev_b64 v[0:1], 2, v[78:79]
	v_mov_b32_e32 v78, s5
	v_add_co_u32_e32 v0, vcc, s4, v0
	v_addc_co_u32_e32 v1, vcc, v78, v1, vcc
	global_load_dword v78, v[0:1], off
	v_cmp_ne_u32_e64 s[0:1], 0, v87
	s_waitcnt vmcnt(0)
	v_cmp_eq_u32_e32 vcc, 0, v78
	s_and_b64 s[0:1], vcc, s[0:1]
	s_and_b64 exec, exec, s[0:1]
	s_cbranch_execz .LBB34_378
; %bb.377:
	v_add_u32_e32 v78, s17, v87
	global_store_dword v[0:1], v78, off
.LBB34_378:
	s_or_b64 exec, exec, s[8:9]
	v_mul_f64 v[0:1], v[74:75], v[72:73]
	v_mul_f64 v[78:79], v[76:77], v[72:73]
	v_lshlrev_b64 v[80:81], 4, v[83:84]
	v_mov_b32_e32 v82, s3
	v_fma_f64 v[0:1], v[76:77], v[70:71], v[0:1]
	v_fma_f64 v[74:75], v[74:75], v[70:71], -v[78:79]
	v_add_co_u32_e32 v76, vcc, v85, v80
	v_addc_co_u32_e32 v77, vcc, v86, v81, vcc
	v_cmp_lt_i32_e32 vcc, 17, v83
	global_store_dwordx4 v[76:77], v[66:69], off
	s_nop 0
	v_cndmask_b32_e32 v69, v73, v1, vcc
	v_cndmask_b32_e32 v68, v72, v0, vcc
	;; [unrolled: 1-line block ×4, first 2 shown]
	v_add_co_u32_e32 v0, vcc, s2, v76
	v_addc_co_u32_e32 v1, vcc, v77, v82, vcc
	global_store_dwordx4 v[0:1], v[62:65], off
	v_add_u32_e32 v0, s16, v83
	v_ashrrev_i32_e32 v1, 31, v0
	v_lshlrev_b64 v[62:63], 4, v[0:1]
	v_add_u32_e32 v0, s6, v0
	v_add_co_u32_e32 v62, vcc, v85, v62
	v_addc_co_u32_e32 v63, vcc, v86, v63, vcc
	v_ashrrev_i32_e32 v1, 31, v0
	global_store_dwordx4 v[62:63], v[58:61], off
	s_nop 0
	v_lshlrev_b64 v[58:59], 4, v[0:1]
	v_add_u32_e32 v0, s6, v0
	v_add_co_u32_e32 v58, vcc, v85, v58
	v_addc_co_u32_e32 v59, vcc, v86, v59, vcc
	v_ashrrev_i32_e32 v1, 31, v0
	global_store_dwordx4 v[58:59], v[54:57], off
	s_nop 0
	;; [unrolled: 7-line block ×14, first 2 shown]
	v_lshlrev_b64 v[6:7], 4, v[0:1]
	v_add_u32_e32 v0, s6, v0
	v_ashrrev_i32_e32 v1, 31, v0
	v_add_co_u32_e32 v6, vcc, v85, v6
	v_lshlrev_b64 v[0:1], 4, v[0:1]
	v_addc_co_u32_e32 v7, vcc, v86, v7, vcc
	v_add_co_u32_e32 v0, vcc, v85, v0
	v_addc_co_u32_e32 v1, vcc, v86, v1, vcc
	global_store_dwordx4 v[6:7], v[2:5], off
	global_store_dwordx4 v[0:1], v[66:69], off
.LBB34_379:
	s_endpgm
	.section	.rodata,"a",@progbits
	.p2align	6, 0x0
	.amdhsa_kernel _ZN9rocsolver6v33100L18getf2_small_kernelILi18E19rocblas_complex_numIdEiiPS3_EEvT1_T3_lS5_lPS5_llPT2_S5_S5_S7_l
		.amdhsa_group_segment_fixed_size 0
		.amdhsa_private_segment_fixed_size 0
		.amdhsa_kernarg_size 352
		.amdhsa_user_sgpr_count 6
		.amdhsa_user_sgpr_private_segment_buffer 1
		.amdhsa_user_sgpr_dispatch_ptr 0
		.amdhsa_user_sgpr_queue_ptr 0
		.amdhsa_user_sgpr_kernarg_segment_ptr 1
		.amdhsa_user_sgpr_dispatch_id 0
		.amdhsa_user_sgpr_flat_scratch_init 0
		.amdhsa_user_sgpr_private_segment_size 0
		.amdhsa_uses_dynamic_stack 0
		.amdhsa_system_sgpr_private_segment_wavefront_offset 0
		.amdhsa_system_sgpr_workgroup_id_x 1
		.amdhsa_system_sgpr_workgroup_id_y 1
		.amdhsa_system_sgpr_workgroup_id_z 0
		.amdhsa_system_sgpr_workgroup_info 0
		.amdhsa_system_vgpr_workitem_id 1
		.amdhsa_next_free_vgpr 126
		.amdhsa_next_free_sgpr 26
		.amdhsa_reserve_vcc 1
		.amdhsa_reserve_flat_scratch 0
		.amdhsa_float_round_mode_32 0
		.amdhsa_float_round_mode_16_64 0
		.amdhsa_float_denorm_mode_32 3
		.amdhsa_float_denorm_mode_16_64 3
		.amdhsa_dx10_clamp 1
		.amdhsa_ieee_mode 1
		.amdhsa_fp16_overflow 0
		.amdhsa_exception_fp_ieee_invalid_op 0
		.amdhsa_exception_fp_denorm_src 0
		.amdhsa_exception_fp_ieee_div_zero 0
		.amdhsa_exception_fp_ieee_overflow 0
		.amdhsa_exception_fp_ieee_underflow 0
		.amdhsa_exception_fp_ieee_inexact 0
		.amdhsa_exception_int_div_zero 0
	.end_amdhsa_kernel
	.section	.text._ZN9rocsolver6v33100L18getf2_small_kernelILi18E19rocblas_complex_numIdEiiPS3_EEvT1_T3_lS5_lPS5_llPT2_S5_S5_S7_l,"axG",@progbits,_ZN9rocsolver6v33100L18getf2_small_kernelILi18E19rocblas_complex_numIdEiiPS3_EEvT1_T3_lS5_lPS5_llPT2_S5_S5_S7_l,comdat
.Lfunc_end34:
	.size	_ZN9rocsolver6v33100L18getf2_small_kernelILi18E19rocblas_complex_numIdEiiPS3_EEvT1_T3_lS5_lPS5_llPT2_S5_S5_S7_l, .Lfunc_end34-_ZN9rocsolver6v33100L18getf2_small_kernelILi18E19rocblas_complex_numIdEiiPS3_EEvT1_T3_lS5_lPS5_llPT2_S5_S5_S7_l
                                        ; -- End function
	.set _ZN9rocsolver6v33100L18getf2_small_kernelILi18E19rocblas_complex_numIdEiiPS3_EEvT1_T3_lS5_lPS5_llPT2_S5_S5_S7_l.num_vgpr, 126
	.set _ZN9rocsolver6v33100L18getf2_small_kernelILi18E19rocblas_complex_numIdEiiPS3_EEvT1_T3_lS5_lPS5_llPT2_S5_S5_S7_l.num_agpr, 0
	.set _ZN9rocsolver6v33100L18getf2_small_kernelILi18E19rocblas_complex_numIdEiiPS3_EEvT1_T3_lS5_lPS5_llPT2_S5_S5_S7_l.numbered_sgpr, 26
	.set _ZN9rocsolver6v33100L18getf2_small_kernelILi18E19rocblas_complex_numIdEiiPS3_EEvT1_T3_lS5_lPS5_llPT2_S5_S5_S7_l.num_named_barrier, 0
	.set _ZN9rocsolver6v33100L18getf2_small_kernelILi18E19rocblas_complex_numIdEiiPS3_EEvT1_T3_lS5_lPS5_llPT2_S5_S5_S7_l.private_seg_size, 0
	.set _ZN9rocsolver6v33100L18getf2_small_kernelILi18E19rocblas_complex_numIdEiiPS3_EEvT1_T3_lS5_lPS5_llPT2_S5_S5_S7_l.uses_vcc, 1
	.set _ZN9rocsolver6v33100L18getf2_small_kernelILi18E19rocblas_complex_numIdEiiPS3_EEvT1_T3_lS5_lPS5_llPT2_S5_S5_S7_l.uses_flat_scratch, 0
	.set _ZN9rocsolver6v33100L18getf2_small_kernelILi18E19rocblas_complex_numIdEiiPS3_EEvT1_T3_lS5_lPS5_llPT2_S5_S5_S7_l.has_dyn_sized_stack, 0
	.set _ZN9rocsolver6v33100L18getf2_small_kernelILi18E19rocblas_complex_numIdEiiPS3_EEvT1_T3_lS5_lPS5_llPT2_S5_S5_S7_l.has_recursion, 0
	.set _ZN9rocsolver6v33100L18getf2_small_kernelILi18E19rocblas_complex_numIdEiiPS3_EEvT1_T3_lS5_lPS5_llPT2_S5_S5_S7_l.has_indirect_call, 0
	.section	.AMDGPU.csdata,"",@progbits
; Kernel info:
; codeLenInByte = 28156
; TotalNumSgprs: 30
; NumVgprs: 126
; ScratchSize: 0
; MemoryBound: 0
; FloatMode: 240
; IeeeMode: 1
; LDSByteSize: 0 bytes/workgroup (compile time only)
; SGPRBlocks: 3
; VGPRBlocks: 31
; NumSGPRsForWavesPerEU: 30
; NumVGPRsForWavesPerEU: 126
; Occupancy: 2
; WaveLimiterHint : 0
; COMPUTE_PGM_RSRC2:SCRATCH_EN: 0
; COMPUTE_PGM_RSRC2:USER_SGPR: 6
; COMPUTE_PGM_RSRC2:TRAP_HANDLER: 0
; COMPUTE_PGM_RSRC2:TGID_X_EN: 1
; COMPUTE_PGM_RSRC2:TGID_Y_EN: 1
; COMPUTE_PGM_RSRC2:TGID_Z_EN: 0
; COMPUTE_PGM_RSRC2:TIDIG_COMP_CNT: 1
	.section	.text._ZN9rocsolver6v33100L23getf2_npvt_small_kernelILi18E19rocblas_complex_numIdEiiPS3_EEvT1_T3_lS5_lPT2_S5_S5_,"axG",@progbits,_ZN9rocsolver6v33100L23getf2_npvt_small_kernelILi18E19rocblas_complex_numIdEiiPS3_EEvT1_T3_lS5_lPT2_S5_S5_,comdat
	.globl	_ZN9rocsolver6v33100L23getf2_npvt_small_kernelILi18E19rocblas_complex_numIdEiiPS3_EEvT1_T3_lS5_lPT2_S5_S5_ ; -- Begin function _ZN9rocsolver6v33100L23getf2_npvt_small_kernelILi18E19rocblas_complex_numIdEiiPS3_EEvT1_T3_lS5_lPT2_S5_S5_
	.p2align	8
	.type	_ZN9rocsolver6v33100L23getf2_npvt_small_kernelILi18E19rocblas_complex_numIdEiiPS3_EEvT1_T3_lS5_lPT2_S5_S5_,@function
_ZN9rocsolver6v33100L23getf2_npvt_small_kernelILi18E19rocblas_complex_numIdEiiPS3_EEvT1_T3_lS5_lPT2_S5_S5_: ; @_ZN9rocsolver6v33100L23getf2_npvt_small_kernelILi18E19rocblas_complex_numIdEiiPS3_EEvT1_T3_lS5_lPT2_S5_S5_
; %bb.0:
	s_mov_b64 s[22:23], s[2:3]
	s_mov_b64 s[20:21], s[0:1]
	s_load_dword s0, s[4:5], 0x44
	s_load_dwordx2 s[12:13], s[4:5], 0x30
	s_add_u32 s20, s20, s8
	s_addc_u32 s21, s21, 0
	s_waitcnt lgkmcnt(0)
	s_lshr_b32 s2, s0, 16
	s_mul_i32 s7, s7, s2
	v_add_u32_e32 v2, s7, v1
	v_cmp_gt_i32_e32 vcc, s12, v2
	s_and_saveexec_b64 s[0:1], vcc
	s_cbranch_execz .LBB35_165
; %bb.1:
	s_load_dwordx4 s[8:11], s[4:5], 0x20
	s_load_dwordx4 s[16:19], s[4:5], 0x8
	v_ashrrev_i32_e32 v3, 31, v2
	s_mulk_i32 s2, 0x120
	s_waitcnt lgkmcnt(0)
	v_mul_lo_u32 v4, s9, v2
	v_mul_lo_u32 v5, s8, v3
	buffer_store_dword v2, off, s[20:23], 0 offset:304 ; 4-byte Folded Spill
	s_nop 0
	buffer_store_dword v3, off, s[20:23], 0 offset:308 ; 4-byte Folded Spill
	v_mov_b32_e32 v6, s17
	v_mad_u64_u32 v[2:3], s[0:1], s8, v2, 0
	s_load_dword s0, s[4:5], 0x18
	s_lshl_b64 s[4:5], s[18:19], 4
	v_add3_u32 v3, v3, v5, v4
	v_lshlrev_b64 v[2:3], 4, v[2:3]
	v_mov_b32_e32 v4, s5
	v_add_co_u32_e32 v2, vcc, s16, v2
	v_addc_co_u32_e32 v3, vcc, v6, v3, vcc
	v_add_co_u32_e32 v2, vcc, s4, v2
	s_waitcnt lgkmcnt(0)
	s_add_i32 s1, s0, s0
	v_addc_co_u32_e32 v3, vcc, v3, v4, vcc
	v_add_u32_e32 v4, s1, v0
	v_ashrrev_i32_e32 v5, 31, v4
	v_lshlrev_b64 v[5:6], 4, v[4:5]
	v_add_u32_e32 v4, s0, v4
	v_add_co_u32_e32 v11, vcc, v2, v5
	v_ashrrev_i32_e32 v5, 31, v4
	v_addc_co_u32_e32 v12, vcc, v3, v6, vcc
	v_lshlrev_b64 v[5:6], 4, v[4:5]
	v_add_u32_e32 v4, s0, v4
	v_add_co_u32_e32 v13, vcc, v2, v5
	v_ashrrev_i32_e32 v5, 31, v4
	v_addc_co_u32_e32 v14, vcc, v3, v6, vcc
	;; [unrolled: 5-line block ×14, first 2 shown]
	v_lshlrev_b64 v[5:6], 4, v[4:5]
	v_add_u32_e32 v4, s0, v4
	v_add_co_u32_e32 v125, vcc, v2, v5
	v_ashrrev_i32_e32 v5, 31, v4
	v_lshlrev_b64 v[4:5], 4, v[4:5]
	v_addc_co_u32_e32 v126, vcc, v3, v6, vcc
	v_add_co_u32_e32 v52, vcc, v2, v4
	v_addc_co_u32_e32 v53, vcc, v3, v5, vcc
	v_lshlrev_b32_e32 v4, 4, v0
	v_add_co_u32_e32 v4, vcc, v2, v4
	s_ashr_i32 s1, s0, 31
	v_addc_co_u32_e32 v5, vcc, 0, v3, vcc
	s_lshl_b64 s[0:1], s[0:1], 4
	v_mov_b32_e32 v2, s1
	v_add_co_u32_e32 v9, vcc, s0, v4
	v_addc_co_u32_e32 v10, vcc, v5, v2, vcc
	buffer_store_dword v4, off, s[20:23], 0 offset:88 ; 4-byte Folded Spill
	s_nop 0
	buffer_store_dword v5, off, s[20:23], 0 offset:92 ; 4-byte Folded Spill
	s_movk_i32 s0, 0x120
	s_add_i32 s1, s2, 0
	v_mad_u32_u24 v94, v1, s0, 0
	v_lshl_add_u32 v118, v1, 4, s1
	v_cmp_ne_u32_e64 s[2:3], 0, v0
	v_cmp_eq_u32_e64 s[0:1], 0, v0
	global_load_dwordx4 v[2:5], v[4:5], off
	s_waitcnt vmcnt(0)
	buffer_store_dword v2, off, s[20:23], 0 offset:64 ; 4-byte Folded Spill
	s_nop 0
	buffer_store_dword v3, off, s[20:23], 0 offset:68 ; 4-byte Folded Spill
	buffer_store_dword v4, off, s[20:23], 0 offset:72 ; 4-byte Folded Spill
	;; [unrolled: 1-line block ×4, first 2 shown]
	s_nop 0
	buffer_store_dword v10, off, s[20:23], 0 offset:100 ; 4-byte Folded Spill
	global_load_dwordx4 v[2:5], v[9:10], off
	s_waitcnt vmcnt(0)
	buffer_store_dword v2, off, s[20:23], 0 offset:48 ; 4-byte Folded Spill
	s_nop 0
	buffer_store_dword v3, off, s[20:23], 0 offset:52 ; 4-byte Folded Spill
	buffer_store_dword v4, off, s[20:23], 0 offset:56 ; 4-byte Folded Spill
	;; [unrolled: 1-line block ×4, first 2 shown]
	s_nop 0
	buffer_store_dword v12, off, s[20:23], 0 offset:132 ; 4-byte Folded Spill
	global_load_dwordx4 v[62:65], v[11:12], off
	s_nop 0
	buffer_store_dword v13, off, s[20:23], 0 offset:120 ; 4-byte Folded Spill
	s_nop 0
	buffer_store_dword v14, off, s[20:23], 0 offset:124 ; 4-byte Folded Spill
	global_load_dwordx4 v[58:61], v[13:14], off
	s_nop 0
	buffer_store_dword v15, off, s[20:23], 0 offset:144 ; 4-byte Folded Spill
	;; [unrolled: 5-line block ×3, first 2 shown]
	s_nop 0
	buffer_store_dword v18, off, s[20:23], 0 offset:140 ; 4-byte Folded Spill
	global_load_dwordx4 v[2:5], v[17:18], off
	s_waitcnt vmcnt(0)
	buffer_store_dword v2, off, s[20:23], 0 offset:32 ; 4-byte Folded Spill
	s_nop 0
	buffer_store_dword v3, off, s[20:23], 0 offset:36 ; 4-byte Folded Spill
	buffer_store_dword v4, off, s[20:23], 0 offset:40 ; 4-byte Folded Spill
	;; [unrolled: 1-line block ×4, first 2 shown]
	s_nop 0
	buffer_store_dword v20, off, s[20:23], 0 offset:196 ; 4-byte Folded Spill
	global_load_dwordx4 v[114:117], v[19:20], off
	s_nop 0
	buffer_store_dword v21, off, s[20:23], 0 offset:184 ; 4-byte Folded Spill
	s_nop 0
	buffer_store_dword v22, off, s[20:23], 0 offset:188 ; 4-byte Folded Spill
	global_load_dwordx4 v[97:100], v[21:22], off
	s_nop 0
	buffer_store_dword v23, off, s[20:23], 0 offset:224 ; 4-byte Folded Spill
	;; [unrolled: 5-line block ×6, first 2 shown]
	s_nop 0
	buffer_store_dword v49, off, s[20:23], 0 offset:252 ; 4-byte Folded Spill
	global_load_dwordx4 v[18:21], v[48:49], off
	global_load_dwordx4 v[14:17], v[119:120], off
	s_nop 0
	buffer_store_dword v7, off, s[20:23], 0 offset:80 ; 4-byte Folded Spill
	s_nop 0
	buffer_store_dword v8, off, s[20:23], 0 offset:84 ; 4-byte Folded Spill
	global_load_dwordx4 v[10:13], v[7:8], off
	s_nop 0
	buffer_store_dword v50, off, s[20:23], 0 offset:256 ; 4-byte Folded Spill
	s_nop 0
	buffer_store_dword v51, off, s[20:23], 0 offset:260 ; 4-byte Folded Spill
	global_load_dwordx4 v[2:5], v[50:51], off
	s_waitcnt vmcnt(0)
	buffer_store_dword v2, off, s[20:23], 0 offset:16 ; 4-byte Folded Spill
	s_nop 0
	buffer_store_dword v3, off, s[20:23], 0 offset:20 ; 4-byte Folded Spill
	buffer_store_dword v4, off, s[20:23], 0 offset:24 ; 4-byte Folded Spill
	;; [unrolled: 1-line block ×3, first 2 shown]
	global_load_dwordx4 v[2:5], v[125:126], off
	s_waitcnt vmcnt(0)
	buffer_store_dword v2, off, s[20:23], 0 ; 4-byte Folded Spill
	s_nop 0
	buffer_store_dword v3, off, s[20:23], 0 offset:4 ; 4-byte Folded Spill
	buffer_store_dword v4, off, s[20:23], 0 offset:8 ; 4-byte Folded Spill
	;; [unrolled: 1-line block ×4, first 2 shown]
	s_nop 0
	buffer_store_dword v53, off, s[20:23], 0 offset:284 ; 4-byte Folded Spill
	global_load_dwordx4 v[46:49], v[52:53], off
	s_and_saveexec_b64 s[6:7], s[0:1]
	s_cbranch_execz .LBB35_8
; %bb.2:
	buffer_load_dword v74, off, s[20:23], 0 offset:64 ; 4-byte Folded Reload
	buffer_load_dword v75, off, s[20:23], 0 offset:68 ; 4-byte Folded Reload
	;; [unrolled: 1-line block ×4, first 2 shown]
	s_waitcnt vmcnt(0)
	ds_write2_b64 v118, v[74:75], v[76:77] offset1:1
	buffer_load_dword v74, off, s[20:23], 0 offset:48 ; 4-byte Folded Reload
	buffer_load_dword v75, off, s[20:23], 0 offset:52 ; 4-byte Folded Reload
	;; [unrolled: 1-line block ×4, first 2 shown]
	s_waitcnt vmcnt(0)
	ds_write2_b64 v94, v[74:75], v[76:77] offset0:2 offset1:3
	ds_write2_b64 v94, v[62:63], v[64:65] offset0:4 offset1:5
	;; [unrolled: 1-line block ×4, first 2 shown]
	buffer_load_dword v50, off, s[20:23], 0 offset:32 ; 4-byte Folded Reload
	buffer_load_dword v51, off, s[20:23], 0 offset:36 ; 4-byte Folded Reload
	;; [unrolled: 1-line block ×4, first 2 shown]
	s_waitcnt vmcnt(0)
	ds_write2_b64 v94, v[50:51], v[52:53] offset0:10 offset1:11
	ds_write2_b64 v94, v[114:115], v[116:117] offset0:12 offset1:13
	;; [unrolled: 1-line block ×10, first 2 shown]
	buffer_load_dword v1, off, s[20:23], 0 offset:16 ; 4-byte Folded Reload
	buffer_load_dword v2, off, s[20:23], 0 offset:20 ; 4-byte Folded Reload
	;; [unrolled: 1-line block ×4, first 2 shown]
	s_waitcnt vmcnt(0)
	ds_write2_b64 v94, v[1:2], v[3:4] offset0:30 offset1:31
	buffer_load_dword v1, off, s[20:23], 0  ; 4-byte Folded Reload
	buffer_load_dword v2, off, s[20:23], 0 offset:4 ; 4-byte Folded Reload
	buffer_load_dword v3, off, s[20:23], 0 offset:8 ; 4-byte Folded Reload
	;; [unrolled: 1-line block ×3, first 2 shown]
	s_waitcnt vmcnt(0)
	ds_write2_b64 v94, v[1:2], v[3:4] offset0:32 offset1:33
	ds_write2_b64 v94, v[46:47], v[48:49] offset0:34 offset1:35
	ds_read2_b64 v[74:77], v118 offset1:1
	s_waitcnt lgkmcnt(0)
	v_cmp_neq_f64_e32 vcc, 0, v[74:75]
	v_cmp_neq_f64_e64 s[4:5], 0, v[76:77]
	s_or_b64 s[4:5], vcc, s[4:5]
	s_and_b64 exec, exec, s[4:5]
	s_cbranch_execz .LBB35_8
; %bb.3:
	v_cmp_ngt_f64_e64 s[4:5], |v[74:75]|, |v[76:77]|
                                        ; implicit-def: $vgpr78_vgpr79
	s_and_saveexec_b64 s[8:9], s[4:5]
	s_xor_b64 s[4:5], exec, s[8:9]
                                        ; implicit-def: $vgpr80_vgpr81
	s_cbranch_execz .LBB35_5
; %bb.4:
	v_div_scale_f64 v[78:79], s[8:9], v[76:77], v[76:77], v[74:75]
	v_rcp_f64_e32 v[80:81], v[78:79]
	v_fma_f64 v[82:83], -v[78:79], v[80:81], 1.0
	v_fma_f64 v[80:81], v[80:81], v[82:83], v[80:81]
	v_div_scale_f64 v[82:83], vcc, v[74:75], v[76:77], v[74:75]
	v_fma_f64 v[84:85], -v[78:79], v[80:81], 1.0
	v_fma_f64 v[80:81], v[80:81], v[84:85], v[80:81]
	v_mul_f64 v[84:85], v[82:83], v[80:81]
	v_fma_f64 v[78:79], -v[78:79], v[84:85], v[82:83]
	v_div_fmas_f64 v[78:79], v[78:79], v[80:81], v[84:85]
	v_div_fixup_f64 v[78:79], v[78:79], v[76:77], v[74:75]
	v_fma_f64 v[74:75], v[74:75], v[78:79], v[76:77]
	v_div_scale_f64 v[76:77], s[8:9], v[74:75], v[74:75], 1.0
	v_div_scale_f64 v[84:85], vcc, 1.0, v[74:75], 1.0
	v_rcp_f64_e32 v[80:81], v[76:77]
	v_fma_f64 v[82:83], -v[76:77], v[80:81], 1.0
	v_fma_f64 v[80:81], v[80:81], v[82:83], v[80:81]
	v_fma_f64 v[82:83], -v[76:77], v[80:81], 1.0
	v_fma_f64 v[80:81], v[80:81], v[82:83], v[80:81]
	v_mul_f64 v[82:83], v[84:85], v[80:81]
	v_fma_f64 v[76:77], -v[76:77], v[82:83], v[84:85]
	v_div_fmas_f64 v[76:77], v[76:77], v[80:81], v[82:83]
	v_div_fixup_f64 v[80:81], v[76:77], v[74:75], 1.0
                                        ; implicit-def: $vgpr74_vgpr75
	v_mul_f64 v[78:79], v[78:79], v[80:81]
	v_xor_b32_e32 v81, 0x80000000, v81
.LBB35_5:
	s_andn2_saveexec_b64 s[4:5], s[4:5]
	s_cbranch_execz .LBB35_7
; %bb.6:
	v_div_scale_f64 v[78:79], s[8:9], v[74:75], v[74:75], v[76:77]
	v_rcp_f64_e32 v[80:81], v[78:79]
	v_fma_f64 v[82:83], -v[78:79], v[80:81], 1.0
	v_fma_f64 v[80:81], v[80:81], v[82:83], v[80:81]
	v_div_scale_f64 v[82:83], vcc, v[76:77], v[74:75], v[76:77]
	v_fma_f64 v[84:85], -v[78:79], v[80:81], 1.0
	v_fma_f64 v[80:81], v[80:81], v[84:85], v[80:81]
	v_mul_f64 v[84:85], v[82:83], v[80:81]
	v_fma_f64 v[78:79], -v[78:79], v[84:85], v[82:83]
	v_div_fmas_f64 v[78:79], v[78:79], v[80:81], v[84:85]
	v_div_fixup_f64 v[80:81], v[78:79], v[74:75], v[76:77]
	v_fma_f64 v[74:75], v[76:77], v[80:81], v[74:75]
	v_div_scale_f64 v[76:77], s[8:9], v[74:75], v[74:75], 1.0
	v_div_scale_f64 v[84:85], vcc, 1.0, v[74:75], 1.0
	v_rcp_f64_e32 v[78:79], v[76:77]
	v_fma_f64 v[82:83], -v[76:77], v[78:79], 1.0
	v_fma_f64 v[78:79], v[78:79], v[82:83], v[78:79]
	v_fma_f64 v[82:83], -v[76:77], v[78:79], 1.0
	v_fma_f64 v[78:79], v[78:79], v[82:83], v[78:79]
	v_mul_f64 v[82:83], v[84:85], v[78:79]
	v_fma_f64 v[76:77], -v[76:77], v[82:83], v[84:85]
	v_div_fmas_f64 v[76:77], v[76:77], v[78:79], v[82:83]
	v_div_fixup_f64 v[78:79], v[76:77], v[74:75], 1.0
	v_mul_f64 v[80:81], v[80:81], -v[78:79]
.LBB35_7:
	s_or_b64 exec, exec, s[4:5]
	ds_write2_b64 v118, v[78:79], v[80:81] offset1:1
.LBB35_8:
	s_or_b64 exec, exec, s[6:7]
	s_waitcnt vmcnt(0) lgkmcnt(0)
	s_barrier
	ds_read2_b64 v[74:77], v118 offset1:1
	s_waitcnt lgkmcnt(0)
	buffer_store_dword v74, off, s[20:23], 0 offset:104 ; 4-byte Folded Spill
	s_nop 0
	buffer_store_dword v75, off, s[20:23], 0 offset:108 ; 4-byte Folded Spill
	buffer_store_dword v76, off, s[20:23], 0 offset:112 ; 4-byte Folded Spill
	;; [unrolled: 1-line block ×3, first 2 shown]
	s_and_saveexec_b64 s[4:5], s[2:3]
	s_cbranch_execz .LBB35_10
; %bb.9:
	buffer_load_dword v80, off, s[20:23], 0 offset:64 ; 4-byte Folded Reload
	buffer_load_dword v81, off, s[20:23], 0 offset:68 ; 4-byte Folded Reload
	;; [unrolled: 1-line block ×8, first 2 shown]
	s_waitcnt vmcnt(2)
	v_mul_f64 v[72:73], v[76:77], v[82:83]
	s_waitcnt vmcnt(0)
	v_mul_f64 v[74:75], v[78:79], v[82:83]
	v_fma_f64 v[82:83], v[78:79], v[80:81], v[72:73]
	v_fma_f64 v[74:75], v[76:77], v[80:81], -v[74:75]
	ds_read2_b64 v[76:79], v94 offset0:2 offset1:3
	s_waitcnt lgkmcnt(0)
	v_mul_f64 v[70:71], v[78:79], v[82:83]
	v_fma_f64 v[70:71], v[76:77], v[74:75], -v[70:71]
	v_mul_f64 v[76:77], v[76:77], v[82:83]
	v_fma_f64 v[76:77], v[78:79], v[74:75], v[76:77]
	buffer_load_dword v78, off, s[20:23], 0 offset:48 ; 4-byte Folded Reload
	buffer_load_dword v79, off, s[20:23], 0 offset:52 ; 4-byte Folded Reload
	;; [unrolled: 1-line block ×4, first 2 shown]
	s_waitcnt vmcnt(2)
	v_add_f64 v[78:79], v[78:79], -v[70:71]
	s_waitcnt vmcnt(0)
	v_add_f64 v[80:81], v[80:81], -v[76:77]
	buffer_store_dword v78, off, s[20:23], 0 offset:48 ; 4-byte Folded Spill
	s_nop 0
	buffer_store_dword v79, off, s[20:23], 0 offset:52 ; 4-byte Folded Spill
	buffer_store_dword v80, off, s[20:23], 0 offset:56 ; 4-byte Folded Spill
	;; [unrolled: 1-line block ×3, first 2 shown]
	ds_read2_b64 v[76:79], v94 offset0:4 offset1:5
	v_mov_b32_e32 v81, v75
	v_mov_b32_e32 v80, v74
	s_waitcnt lgkmcnt(0)
	v_mul_f64 v[70:71], v[78:79], v[82:83]
	v_fma_f64 v[70:71], v[76:77], v[74:75], -v[70:71]
	v_mul_f64 v[76:77], v[76:77], v[82:83]
	v_add_f64 v[62:63], v[62:63], -v[70:71]
	v_fma_f64 v[76:77], v[78:79], v[74:75], v[76:77]
	v_add_f64 v[64:65], v[64:65], -v[76:77]
	ds_read2_b64 v[76:79], v94 offset0:6 offset1:7
	s_waitcnt lgkmcnt(0)
	v_mul_f64 v[70:71], v[78:79], v[82:83]
	v_fma_f64 v[70:71], v[76:77], v[74:75], -v[70:71]
	v_mul_f64 v[76:77], v[76:77], v[82:83]
	v_add_f64 v[58:59], v[58:59], -v[70:71]
	v_fma_f64 v[76:77], v[78:79], v[74:75], v[76:77]
	v_add_f64 v[60:61], v[60:61], -v[76:77]
	ds_read2_b64 v[76:79], v94 offset0:8 offset1:9
	;; [unrolled: 8-line block ×3, first 2 shown]
	buffer_load_dword v50, off, s[20:23], 0 offset:32 ; 4-byte Folded Reload
	buffer_load_dword v51, off, s[20:23], 0 offset:36 ; 4-byte Folded Reload
	;; [unrolled: 1-line block ×4, first 2 shown]
	s_waitcnt lgkmcnt(0)
	v_mul_f64 v[70:71], v[78:79], v[82:83]
	v_fma_f64 v[70:71], v[76:77], v[74:75], -v[70:71]
	v_mul_f64 v[76:77], v[76:77], v[82:83]
	v_fma_f64 v[76:77], v[78:79], v[74:75], v[76:77]
	s_waitcnt vmcnt(2)
	v_add_f64 v[50:51], v[50:51], -v[70:71]
	s_waitcnt vmcnt(0)
	v_add_f64 v[52:53], v[52:53], -v[76:77]
	buffer_store_dword v50, off, s[20:23], 0 offset:32 ; 4-byte Folded Spill
	s_nop 0
	buffer_store_dword v51, off, s[20:23], 0 offset:36 ; 4-byte Folded Spill
	buffer_store_dword v52, off, s[20:23], 0 offset:40 ; 4-byte Folded Spill
	;; [unrolled: 1-line block ×3, first 2 shown]
	ds_read2_b64 v[76:79], v94 offset0:12 offset1:13
	s_waitcnt lgkmcnt(0)
	v_mul_f64 v[70:71], v[78:79], v[82:83]
	v_fma_f64 v[70:71], v[76:77], v[74:75], -v[70:71]
	v_mul_f64 v[76:77], v[76:77], v[82:83]
	v_add_f64 v[114:115], v[114:115], -v[70:71]
	v_fma_f64 v[76:77], v[78:79], v[74:75], v[76:77]
	v_add_f64 v[116:117], v[116:117], -v[76:77]
	ds_read2_b64 v[76:79], v94 offset0:14 offset1:15
	s_waitcnt lgkmcnt(0)
	v_mul_f64 v[70:71], v[78:79], v[82:83]
	v_fma_f64 v[70:71], v[76:77], v[74:75], -v[70:71]
	v_mul_f64 v[76:77], v[76:77], v[82:83]
	v_add_f64 v[97:98], v[97:98], -v[70:71]
	v_fma_f64 v[76:77], v[78:79], v[74:75], v[76:77]
	v_add_f64 v[99:100], v[99:100], -v[76:77]
	;; [unrolled: 8-line block ×9, first 2 shown]
	ds_read2_b64 v[76:79], v94 offset0:30 offset1:31
	buffer_load_dword v1, off, s[20:23], 0 offset:16 ; 4-byte Folded Reload
	buffer_load_dword v2, off, s[20:23], 0 offset:20 ; 4-byte Folded Reload
	;; [unrolled: 1-line block ×4, first 2 shown]
	s_waitcnt lgkmcnt(0)
	v_mul_f64 v[70:71], v[78:79], v[82:83]
	v_fma_f64 v[70:71], v[76:77], v[74:75], -v[70:71]
	v_mul_f64 v[76:77], v[76:77], v[82:83]
	v_fma_f64 v[76:77], v[78:79], v[74:75], v[76:77]
	s_waitcnt vmcnt(2)
	v_add_f64 v[1:2], v[1:2], -v[70:71]
	s_waitcnt vmcnt(0)
	v_add_f64 v[3:4], v[3:4], -v[76:77]
	buffer_store_dword v1, off, s[20:23], 0 offset:16 ; 4-byte Folded Spill
	s_nop 0
	buffer_store_dword v2, off, s[20:23], 0 offset:20 ; 4-byte Folded Spill
	buffer_store_dword v3, off, s[20:23], 0 offset:24 ; 4-byte Folded Spill
	;; [unrolled: 1-line block ×3, first 2 shown]
	ds_read2_b64 v[76:79], v94 offset0:32 offset1:33
	buffer_load_dword v1, off, s[20:23], 0  ; 4-byte Folded Reload
	buffer_load_dword v2, off, s[20:23], 0 offset:4 ; 4-byte Folded Reload
	buffer_load_dword v3, off, s[20:23], 0 offset:8 ; 4-byte Folded Reload
	;; [unrolled: 1-line block ×3, first 2 shown]
	s_waitcnt lgkmcnt(0)
	v_mul_f64 v[70:71], v[78:79], v[82:83]
	v_fma_f64 v[70:71], v[76:77], v[74:75], -v[70:71]
	v_mul_f64 v[76:77], v[76:77], v[82:83]
	v_fma_f64 v[76:77], v[78:79], v[74:75], v[76:77]
	s_waitcnt vmcnt(2)
	v_add_f64 v[1:2], v[1:2], -v[70:71]
	s_waitcnt vmcnt(0)
	v_add_f64 v[3:4], v[3:4], -v[76:77]
	buffer_store_dword v1, off, s[20:23], 0 ; 4-byte Folded Spill
	s_nop 0
	buffer_store_dword v2, off, s[20:23], 0 offset:4 ; 4-byte Folded Spill
	buffer_store_dword v3, off, s[20:23], 0 offset:8 ; 4-byte Folded Spill
	;; [unrolled: 1-line block ×3, first 2 shown]
	ds_read2_b64 v[76:79], v94 offset0:34 offset1:35
	s_waitcnt lgkmcnt(0)
	v_mul_f64 v[70:71], v[78:79], v[82:83]
	v_fma_f64 v[70:71], v[76:77], v[74:75], -v[70:71]
	v_mul_f64 v[76:77], v[76:77], v[82:83]
	buffer_store_dword v80, off, s[20:23], 0 offset:64 ; 4-byte Folded Spill
	s_nop 0
	buffer_store_dword v81, off, s[20:23], 0 offset:68 ; 4-byte Folded Spill
	buffer_store_dword v82, off, s[20:23], 0 offset:72 ; 4-byte Folded Spill
	;; [unrolled: 1-line block ×3, first 2 shown]
	v_add_f64 v[46:47], v[46:47], -v[70:71]
	v_fma_f64 v[76:77], v[78:79], v[74:75], v[76:77]
	v_add_f64 v[48:49], v[48:49], -v[76:77]
.LBB35_10:
	s_or_b64 exec, exec, s[4:5]
	v_cmp_eq_u32_e32 vcc, 1, v0
	s_waitcnt vmcnt(0)
	s_barrier
	s_and_saveexec_b64 s[4:5], vcc
	s_cbranch_execz .LBB35_17
; %bb.11:
	buffer_load_dword v74, off, s[20:23], 0 offset:48 ; 4-byte Folded Reload
	buffer_load_dword v75, off, s[20:23], 0 offset:52 ; 4-byte Folded Reload
	;; [unrolled: 1-line block ×4, first 2 shown]
	s_waitcnt vmcnt(0)
	ds_write2_b64 v118, v[74:75], v[76:77] offset1:1
	ds_write2_b64 v94, v[62:63], v[64:65] offset0:4 offset1:5
	ds_write2_b64 v94, v[58:59], v[60:61] offset0:6 offset1:7
	;; [unrolled: 1-line block ×3, first 2 shown]
	buffer_load_dword v50, off, s[20:23], 0 offset:32 ; 4-byte Folded Reload
	buffer_load_dword v51, off, s[20:23], 0 offset:36 ; 4-byte Folded Reload
	;; [unrolled: 1-line block ×4, first 2 shown]
	s_waitcnt vmcnt(0)
	ds_write2_b64 v94, v[50:51], v[52:53] offset0:10 offset1:11
	ds_write2_b64 v94, v[114:115], v[116:117] offset0:12 offset1:13
	;; [unrolled: 1-line block ×10, first 2 shown]
	buffer_load_dword v1, off, s[20:23], 0 offset:16 ; 4-byte Folded Reload
	buffer_load_dword v2, off, s[20:23], 0 offset:20 ; 4-byte Folded Reload
	;; [unrolled: 1-line block ×4, first 2 shown]
	s_waitcnt vmcnt(0)
	ds_write2_b64 v94, v[1:2], v[3:4] offset0:30 offset1:31
	buffer_load_dword v1, off, s[20:23], 0  ; 4-byte Folded Reload
	buffer_load_dword v2, off, s[20:23], 0 offset:4 ; 4-byte Folded Reload
	buffer_load_dword v3, off, s[20:23], 0 offset:8 ; 4-byte Folded Reload
	buffer_load_dword v4, off, s[20:23], 0 offset:12 ; 4-byte Folded Reload
	s_waitcnt vmcnt(0)
	ds_write2_b64 v94, v[1:2], v[3:4] offset0:32 offset1:33
	ds_write2_b64 v94, v[46:47], v[48:49] offset0:34 offset1:35
	ds_read2_b64 v[74:77], v118 offset1:1
	s_waitcnt lgkmcnt(0)
	v_cmp_neq_f64_e32 vcc, 0, v[74:75]
	v_cmp_neq_f64_e64 s[2:3], 0, v[76:77]
	s_or_b64 s[2:3], vcc, s[2:3]
	s_and_b64 exec, exec, s[2:3]
	s_cbranch_execz .LBB35_17
; %bb.12:
	v_cmp_ngt_f64_e64 s[2:3], |v[74:75]|, |v[76:77]|
                                        ; implicit-def: $vgpr78_vgpr79
	s_and_saveexec_b64 s[6:7], s[2:3]
	s_xor_b64 s[2:3], exec, s[6:7]
                                        ; implicit-def: $vgpr80_vgpr81
	s_cbranch_execz .LBB35_14
; %bb.13:
	v_div_scale_f64 v[78:79], s[6:7], v[76:77], v[76:77], v[74:75]
	v_rcp_f64_e32 v[80:81], v[78:79]
	v_fma_f64 v[82:83], -v[78:79], v[80:81], 1.0
	v_fma_f64 v[80:81], v[80:81], v[82:83], v[80:81]
	v_div_scale_f64 v[82:83], vcc, v[74:75], v[76:77], v[74:75]
	v_fma_f64 v[84:85], -v[78:79], v[80:81], 1.0
	v_fma_f64 v[80:81], v[80:81], v[84:85], v[80:81]
	v_mul_f64 v[84:85], v[82:83], v[80:81]
	v_fma_f64 v[78:79], -v[78:79], v[84:85], v[82:83]
	v_div_fmas_f64 v[78:79], v[78:79], v[80:81], v[84:85]
	v_div_fixup_f64 v[78:79], v[78:79], v[76:77], v[74:75]
	v_fma_f64 v[74:75], v[74:75], v[78:79], v[76:77]
	v_div_scale_f64 v[76:77], s[6:7], v[74:75], v[74:75], 1.0
	v_div_scale_f64 v[84:85], vcc, 1.0, v[74:75], 1.0
	v_rcp_f64_e32 v[80:81], v[76:77]
	v_fma_f64 v[82:83], -v[76:77], v[80:81], 1.0
	v_fma_f64 v[80:81], v[80:81], v[82:83], v[80:81]
	v_fma_f64 v[82:83], -v[76:77], v[80:81], 1.0
	v_fma_f64 v[80:81], v[80:81], v[82:83], v[80:81]
	v_mul_f64 v[82:83], v[84:85], v[80:81]
	v_fma_f64 v[76:77], -v[76:77], v[82:83], v[84:85]
	v_div_fmas_f64 v[76:77], v[76:77], v[80:81], v[82:83]
	v_div_fixup_f64 v[80:81], v[76:77], v[74:75], 1.0
                                        ; implicit-def: $vgpr74_vgpr75
	v_mul_f64 v[78:79], v[78:79], v[80:81]
	v_xor_b32_e32 v81, 0x80000000, v81
.LBB35_14:
	s_andn2_saveexec_b64 s[2:3], s[2:3]
	s_cbranch_execz .LBB35_16
; %bb.15:
	v_div_scale_f64 v[78:79], s[6:7], v[74:75], v[74:75], v[76:77]
	v_rcp_f64_e32 v[80:81], v[78:79]
	v_fma_f64 v[82:83], -v[78:79], v[80:81], 1.0
	v_fma_f64 v[80:81], v[80:81], v[82:83], v[80:81]
	v_div_scale_f64 v[82:83], vcc, v[76:77], v[74:75], v[76:77]
	v_fma_f64 v[84:85], -v[78:79], v[80:81], 1.0
	v_fma_f64 v[80:81], v[80:81], v[84:85], v[80:81]
	v_mul_f64 v[84:85], v[82:83], v[80:81]
	v_fma_f64 v[78:79], -v[78:79], v[84:85], v[82:83]
	v_div_fmas_f64 v[78:79], v[78:79], v[80:81], v[84:85]
	v_div_fixup_f64 v[80:81], v[78:79], v[74:75], v[76:77]
	v_fma_f64 v[74:75], v[76:77], v[80:81], v[74:75]
	v_div_scale_f64 v[76:77], s[6:7], v[74:75], v[74:75], 1.0
	v_div_scale_f64 v[84:85], vcc, 1.0, v[74:75], 1.0
	v_rcp_f64_e32 v[78:79], v[76:77]
	v_fma_f64 v[82:83], -v[76:77], v[78:79], 1.0
	v_fma_f64 v[78:79], v[78:79], v[82:83], v[78:79]
	v_fma_f64 v[82:83], -v[76:77], v[78:79], 1.0
	v_fma_f64 v[78:79], v[78:79], v[82:83], v[78:79]
	v_mul_f64 v[82:83], v[84:85], v[78:79]
	v_fma_f64 v[76:77], -v[76:77], v[82:83], v[84:85]
	v_div_fmas_f64 v[76:77], v[76:77], v[78:79], v[82:83]
	v_div_fixup_f64 v[78:79], v[76:77], v[74:75], 1.0
	v_mul_f64 v[80:81], v[80:81], -v[78:79]
.LBB35_16:
	s_or_b64 exec, exec, s[2:3]
	ds_write2_b64 v118, v[78:79], v[80:81] offset1:1
.LBB35_17:
	s_or_b64 exec, exec, s[4:5]
	s_waitcnt lgkmcnt(0)
	s_barrier
	ds_read2_b64 v[74:77], v118 offset1:1
	v_cmp_lt_u32_e32 vcc, 1, v0
	s_waitcnt lgkmcnt(0)
	buffer_store_dword v74, off, s[20:23], 0 offset:152 ; 4-byte Folded Spill
	s_nop 0
	buffer_store_dword v75, off, s[20:23], 0 offset:156 ; 4-byte Folded Spill
	buffer_store_dword v76, off, s[20:23], 0 offset:160 ; 4-byte Folded Spill
	;; [unrolled: 1-line block ×3, first 2 shown]
	s_and_saveexec_b64 s[2:3], vcc
	s_cbranch_execz .LBB35_19
; %bb.18:
	buffer_load_dword v80, off, s[20:23], 0 offset:48 ; 4-byte Folded Reload
	buffer_load_dword v81, off, s[20:23], 0 offset:52 ; 4-byte Folded Reload
	;; [unrolled: 1-line block ×8, first 2 shown]
	s_waitcnt vmcnt(2)
	v_mul_f64 v[74:75], v[76:77], v[82:83]
	s_waitcnt vmcnt(0)
	v_mul_f64 v[68:69], v[78:79], v[82:83]
	v_fma_f64 v[74:75], v[78:79], v[80:81], v[74:75]
	v_fma_f64 v[80:81], v[76:77], v[80:81], -v[68:69]
	ds_read2_b64 v[76:79], v94 offset0:4 offset1:5
	s_waitcnt lgkmcnt(0)
	v_mul_f64 v[68:69], v[78:79], v[74:75]
	v_mov_b32_e32 v83, v75
	v_mov_b32_e32 v82, v74
	v_fma_f64 v[68:69], v[76:77], v[80:81], -v[68:69]
	v_mul_f64 v[76:77], v[76:77], v[74:75]
	v_add_f64 v[62:63], v[62:63], -v[68:69]
	v_fma_f64 v[76:77], v[78:79], v[80:81], v[76:77]
	v_add_f64 v[64:65], v[64:65], -v[76:77]
	ds_read2_b64 v[76:79], v94 offset0:6 offset1:7
	s_waitcnt lgkmcnt(0)
	v_mul_f64 v[68:69], v[78:79], v[74:75]
	v_fma_f64 v[68:69], v[76:77], v[80:81], -v[68:69]
	v_mul_f64 v[76:77], v[76:77], v[74:75]
	v_add_f64 v[58:59], v[58:59], -v[68:69]
	v_fma_f64 v[76:77], v[78:79], v[80:81], v[76:77]
	v_add_f64 v[60:61], v[60:61], -v[76:77]
	ds_read2_b64 v[76:79], v94 offset0:8 offset1:9
	s_waitcnt lgkmcnt(0)
	v_mul_f64 v[68:69], v[78:79], v[74:75]
	v_fma_f64 v[68:69], v[76:77], v[80:81], -v[68:69]
	v_mul_f64 v[76:77], v[76:77], v[74:75]
	v_add_f64 v[121:122], v[121:122], -v[68:69]
	v_fma_f64 v[76:77], v[78:79], v[80:81], v[76:77]
	v_add_f64 v[123:124], v[123:124], -v[76:77]
	ds_read2_b64 v[76:79], v94 offset0:10 offset1:11
	buffer_load_dword v50, off, s[20:23], 0 offset:32 ; 4-byte Folded Reload
	buffer_load_dword v51, off, s[20:23], 0 offset:36 ; 4-byte Folded Reload
	;; [unrolled: 1-line block ×4, first 2 shown]
	s_waitcnt lgkmcnt(0)
	v_mul_f64 v[68:69], v[78:79], v[74:75]
	v_fma_f64 v[68:69], v[76:77], v[80:81], -v[68:69]
	v_mul_f64 v[76:77], v[76:77], v[74:75]
	v_fma_f64 v[76:77], v[78:79], v[80:81], v[76:77]
	s_waitcnt vmcnt(2)
	v_add_f64 v[50:51], v[50:51], -v[68:69]
	s_waitcnt vmcnt(0)
	v_add_f64 v[52:53], v[52:53], -v[76:77]
	buffer_store_dword v50, off, s[20:23], 0 offset:32 ; 4-byte Folded Spill
	s_nop 0
	buffer_store_dword v51, off, s[20:23], 0 offset:36 ; 4-byte Folded Spill
	buffer_store_dword v52, off, s[20:23], 0 offset:40 ; 4-byte Folded Spill
	;; [unrolled: 1-line block ×3, first 2 shown]
	ds_read2_b64 v[76:79], v94 offset0:12 offset1:13
	s_waitcnt lgkmcnt(0)
	v_mul_f64 v[68:69], v[78:79], v[74:75]
	v_fma_f64 v[68:69], v[76:77], v[80:81], -v[68:69]
	v_mul_f64 v[76:77], v[76:77], v[74:75]
	v_add_f64 v[114:115], v[114:115], -v[68:69]
	v_fma_f64 v[76:77], v[78:79], v[80:81], v[76:77]
	v_add_f64 v[116:117], v[116:117], -v[76:77]
	ds_read2_b64 v[76:79], v94 offset0:14 offset1:15
	s_waitcnt lgkmcnt(0)
	v_mul_f64 v[68:69], v[78:79], v[74:75]
	v_fma_f64 v[68:69], v[76:77], v[80:81], -v[68:69]
	v_mul_f64 v[76:77], v[76:77], v[74:75]
	v_add_f64 v[97:98], v[97:98], -v[68:69]
	v_fma_f64 v[76:77], v[78:79], v[80:81], v[76:77]
	v_add_f64 v[99:100], v[99:100], -v[76:77]
	;; [unrolled: 8-line block ×9, first 2 shown]
	ds_read2_b64 v[76:79], v94 offset0:30 offset1:31
	buffer_load_dword v1, off, s[20:23], 0 offset:16 ; 4-byte Folded Reload
	buffer_load_dword v2, off, s[20:23], 0 offset:20 ; 4-byte Folded Reload
	buffer_load_dword v3, off, s[20:23], 0 offset:24 ; 4-byte Folded Reload
	buffer_load_dword v4, off, s[20:23], 0 offset:28 ; 4-byte Folded Reload
	s_waitcnt lgkmcnt(0)
	v_mul_f64 v[68:69], v[78:79], v[74:75]
	v_fma_f64 v[68:69], v[76:77], v[80:81], -v[68:69]
	v_mul_f64 v[76:77], v[76:77], v[74:75]
	v_fma_f64 v[76:77], v[78:79], v[80:81], v[76:77]
	s_waitcnt vmcnt(2)
	v_add_f64 v[1:2], v[1:2], -v[68:69]
	s_waitcnt vmcnt(0)
	v_add_f64 v[3:4], v[3:4], -v[76:77]
	buffer_store_dword v1, off, s[20:23], 0 offset:16 ; 4-byte Folded Spill
	s_nop 0
	buffer_store_dword v2, off, s[20:23], 0 offset:20 ; 4-byte Folded Spill
	buffer_store_dword v3, off, s[20:23], 0 offset:24 ; 4-byte Folded Spill
	;; [unrolled: 1-line block ×3, first 2 shown]
	ds_read2_b64 v[76:79], v94 offset0:32 offset1:33
	buffer_load_dword v1, off, s[20:23], 0  ; 4-byte Folded Reload
	buffer_load_dword v2, off, s[20:23], 0 offset:4 ; 4-byte Folded Reload
	buffer_load_dword v3, off, s[20:23], 0 offset:8 ; 4-byte Folded Reload
	;; [unrolled: 1-line block ×3, first 2 shown]
	s_waitcnt lgkmcnt(0)
	v_mul_f64 v[68:69], v[78:79], v[74:75]
	v_fma_f64 v[68:69], v[76:77], v[80:81], -v[68:69]
	v_mul_f64 v[76:77], v[76:77], v[74:75]
	v_fma_f64 v[76:77], v[78:79], v[80:81], v[76:77]
	s_waitcnt vmcnt(2)
	v_add_f64 v[1:2], v[1:2], -v[68:69]
	s_waitcnt vmcnt(0)
	v_add_f64 v[3:4], v[3:4], -v[76:77]
	buffer_store_dword v1, off, s[20:23], 0 ; 4-byte Folded Spill
	s_nop 0
	buffer_store_dword v2, off, s[20:23], 0 offset:4 ; 4-byte Folded Spill
	buffer_store_dword v3, off, s[20:23], 0 offset:8 ; 4-byte Folded Spill
	;; [unrolled: 1-line block ×3, first 2 shown]
	ds_read2_b64 v[76:79], v94 offset0:34 offset1:35
	s_waitcnt lgkmcnt(0)
	v_mul_f64 v[68:69], v[78:79], v[74:75]
	v_fma_f64 v[68:69], v[76:77], v[80:81], -v[68:69]
	v_mul_f64 v[76:77], v[76:77], v[74:75]
	v_add_f64 v[46:47], v[46:47], -v[68:69]
	v_fma_f64 v[76:77], v[78:79], v[80:81], v[76:77]
	buffer_store_dword v80, off, s[20:23], 0 offset:48 ; 4-byte Folded Spill
	s_nop 0
	buffer_store_dword v81, off, s[20:23], 0 offset:52 ; 4-byte Folded Spill
	buffer_store_dword v82, off, s[20:23], 0 offset:56 ; 4-byte Folded Spill
	;; [unrolled: 1-line block ×3, first 2 shown]
	v_add_f64 v[48:49], v[48:49], -v[76:77]
.LBB35_19:
	s_or_b64 exec, exec, s[2:3]
	v_cmp_eq_u32_e32 vcc, 2, v0
	s_waitcnt vmcnt(0)
	s_barrier
	s_and_saveexec_b64 s[4:5], vcc
	s_cbranch_execz .LBB35_26
; %bb.20:
	ds_write2_b64 v118, v[62:63], v[64:65] offset1:1
	ds_write2_b64 v94, v[58:59], v[60:61] offset0:6 offset1:7
	ds_write2_b64 v94, v[121:122], v[123:124] offset0:8 offset1:9
	buffer_load_dword v50, off, s[20:23], 0 offset:32 ; 4-byte Folded Reload
	buffer_load_dword v51, off, s[20:23], 0 offset:36 ; 4-byte Folded Reload
	;; [unrolled: 1-line block ×4, first 2 shown]
	s_waitcnt vmcnt(0)
	ds_write2_b64 v94, v[50:51], v[52:53] offset0:10 offset1:11
	ds_write2_b64 v94, v[114:115], v[116:117] offset0:12 offset1:13
	;; [unrolled: 1-line block ×10, first 2 shown]
	buffer_load_dword v1, off, s[20:23], 0 offset:16 ; 4-byte Folded Reload
	buffer_load_dword v2, off, s[20:23], 0 offset:20 ; 4-byte Folded Reload
	;; [unrolled: 1-line block ×4, first 2 shown]
	s_waitcnt vmcnt(0)
	ds_write2_b64 v94, v[1:2], v[3:4] offset0:30 offset1:31
	buffer_load_dword v1, off, s[20:23], 0  ; 4-byte Folded Reload
	buffer_load_dword v2, off, s[20:23], 0 offset:4 ; 4-byte Folded Reload
	buffer_load_dword v3, off, s[20:23], 0 offset:8 ; 4-byte Folded Reload
	;; [unrolled: 1-line block ×3, first 2 shown]
	s_waitcnt vmcnt(0)
	ds_write2_b64 v94, v[1:2], v[3:4] offset0:32 offset1:33
	ds_write2_b64 v94, v[46:47], v[48:49] offset0:34 offset1:35
	ds_read2_b64 v[74:77], v118 offset1:1
	s_waitcnt lgkmcnt(0)
	v_cmp_neq_f64_e32 vcc, 0, v[74:75]
	v_cmp_neq_f64_e64 s[2:3], 0, v[76:77]
	s_or_b64 s[2:3], vcc, s[2:3]
	s_and_b64 exec, exec, s[2:3]
	s_cbranch_execz .LBB35_26
; %bb.21:
	v_cmp_ngt_f64_e64 s[2:3], |v[74:75]|, |v[76:77]|
                                        ; implicit-def: $vgpr78_vgpr79
	s_and_saveexec_b64 s[6:7], s[2:3]
	s_xor_b64 s[2:3], exec, s[6:7]
                                        ; implicit-def: $vgpr80_vgpr81
	s_cbranch_execz .LBB35_23
; %bb.22:
	v_div_scale_f64 v[78:79], s[6:7], v[76:77], v[76:77], v[74:75]
	v_rcp_f64_e32 v[80:81], v[78:79]
	v_fma_f64 v[82:83], -v[78:79], v[80:81], 1.0
	v_fma_f64 v[80:81], v[80:81], v[82:83], v[80:81]
	v_div_scale_f64 v[82:83], vcc, v[74:75], v[76:77], v[74:75]
	v_fma_f64 v[84:85], -v[78:79], v[80:81], 1.0
	v_fma_f64 v[80:81], v[80:81], v[84:85], v[80:81]
	v_mul_f64 v[84:85], v[82:83], v[80:81]
	v_fma_f64 v[78:79], -v[78:79], v[84:85], v[82:83]
	v_div_fmas_f64 v[78:79], v[78:79], v[80:81], v[84:85]
	v_div_fixup_f64 v[78:79], v[78:79], v[76:77], v[74:75]
	v_fma_f64 v[74:75], v[74:75], v[78:79], v[76:77]
	v_div_scale_f64 v[76:77], s[6:7], v[74:75], v[74:75], 1.0
	v_div_scale_f64 v[84:85], vcc, 1.0, v[74:75], 1.0
	v_rcp_f64_e32 v[80:81], v[76:77]
	v_fma_f64 v[82:83], -v[76:77], v[80:81], 1.0
	v_fma_f64 v[80:81], v[80:81], v[82:83], v[80:81]
	v_fma_f64 v[82:83], -v[76:77], v[80:81], 1.0
	v_fma_f64 v[80:81], v[80:81], v[82:83], v[80:81]
	v_mul_f64 v[82:83], v[84:85], v[80:81]
	v_fma_f64 v[76:77], -v[76:77], v[82:83], v[84:85]
	v_div_fmas_f64 v[76:77], v[76:77], v[80:81], v[82:83]
	v_div_fixup_f64 v[80:81], v[76:77], v[74:75], 1.0
                                        ; implicit-def: $vgpr74_vgpr75
	v_mul_f64 v[78:79], v[78:79], v[80:81]
	v_xor_b32_e32 v81, 0x80000000, v81
.LBB35_23:
	s_andn2_saveexec_b64 s[2:3], s[2:3]
	s_cbranch_execz .LBB35_25
; %bb.24:
	v_div_scale_f64 v[78:79], s[6:7], v[74:75], v[74:75], v[76:77]
	v_rcp_f64_e32 v[80:81], v[78:79]
	v_fma_f64 v[82:83], -v[78:79], v[80:81], 1.0
	v_fma_f64 v[80:81], v[80:81], v[82:83], v[80:81]
	v_div_scale_f64 v[82:83], vcc, v[76:77], v[74:75], v[76:77]
	v_fma_f64 v[84:85], -v[78:79], v[80:81], 1.0
	v_fma_f64 v[80:81], v[80:81], v[84:85], v[80:81]
	v_mul_f64 v[84:85], v[82:83], v[80:81]
	v_fma_f64 v[78:79], -v[78:79], v[84:85], v[82:83]
	v_div_fmas_f64 v[78:79], v[78:79], v[80:81], v[84:85]
	v_div_fixup_f64 v[80:81], v[78:79], v[74:75], v[76:77]
	v_fma_f64 v[74:75], v[76:77], v[80:81], v[74:75]
	v_div_scale_f64 v[76:77], s[6:7], v[74:75], v[74:75], 1.0
	v_div_scale_f64 v[84:85], vcc, 1.0, v[74:75], 1.0
	v_rcp_f64_e32 v[78:79], v[76:77]
	v_fma_f64 v[82:83], -v[76:77], v[78:79], 1.0
	v_fma_f64 v[78:79], v[78:79], v[82:83], v[78:79]
	v_fma_f64 v[82:83], -v[76:77], v[78:79], 1.0
	v_fma_f64 v[78:79], v[78:79], v[82:83], v[78:79]
	v_mul_f64 v[82:83], v[84:85], v[78:79]
	v_fma_f64 v[76:77], -v[76:77], v[82:83], v[84:85]
	v_div_fmas_f64 v[76:77], v[76:77], v[78:79], v[82:83]
	v_div_fixup_f64 v[78:79], v[76:77], v[74:75], 1.0
	v_mul_f64 v[80:81], v[80:81], -v[78:79]
.LBB35_25:
	s_or_b64 exec, exec, s[2:3]
	ds_write2_b64 v118, v[78:79], v[80:81] offset1:1
.LBB35_26:
	s_or_b64 exec, exec, s[4:5]
	s_waitcnt lgkmcnt(0)
	s_barrier
	ds_read2_b64 v[74:77], v118 offset1:1
	v_cmp_lt_u32_e32 vcc, 2, v0
	s_waitcnt lgkmcnt(0)
	buffer_store_dword v74, off, s[20:23], 0 offset:168 ; 4-byte Folded Spill
	s_nop 0
	buffer_store_dword v75, off, s[20:23], 0 offset:172 ; 4-byte Folded Spill
	buffer_store_dword v76, off, s[20:23], 0 offset:176 ; 4-byte Folded Spill
	;; [unrolled: 1-line block ×3, first 2 shown]
	s_and_saveexec_b64 s[2:3], vcc
	s_cbranch_execz .LBB35_28
; %bb.27:
	buffer_load_dword v76, off, s[20:23], 0 offset:168 ; 4-byte Folded Reload
	buffer_load_dword v77, off, s[20:23], 0 offset:172 ; 4-byte Folded Reload
	;; [unrolled: 1-line block ×4, first 2 shown]
	s_waitcnt vmcnt(2)
	v_mul_f64 v[74:75], v[76:77], v[64:65]
	s_waitcnt vmcnt(0)
	v_mul_f64 v[64:65], v[78:79], v[64:65]
	v_fma_f64 v[74:75], v[78:79], v[62:63], v[74:75]
	v_fma_f64 v[62:63], v[76:77], v[62:63], -v[64:65]
	ds_read2_b64 v[76:79], v94 offset0:6 offset1:7
	s_waitcnt lgkmcnt(0)
	v_mul_f64 v[64:65], v[78:79], v[74:75]
	v_fma_f64 v[64:65], v[76:77], v[62:63], -v[64:65]
	v_mul_f64 v[76:77], v[76:77], v[74:75]
	v_add_f64 v[58:59], v[58:59], -v[64:65]
	v_fma_f64 v[76:77], v[78:79], v[62:63], v[76:77]
	v_add_f64 v[60:61], v[60:61], -v[76:77]
	ds_read2_b64 v[76:79], v94 offset0:8 offset1:9
	s_waitcnt lgkmcnt(0)
	v_mul_f64 v[64:65], v[78:79], v[74:75]
	v_fma_f64 v[64:65], v[76:77], v[62:63], -v[64:65]
	v_mul_f64 v[76:77], v[76:77], v[74:75]
	v_add_f64 v[121:122], v[121:122], -v[64:65]
	v_fma_f64 v[76:77], v[78:79], v[62:63], v[76:77]
	v_add_f64 v[123:124], v[123:124], -v[76:77]
	ds_read2_b64 v[76:79], v94 offset0:10 offset1:11
	buffer_load_dword v50, off, s[20:23], 0 offset:32 ; 4-byte Folded Reload
	buffer_load_dword v51, off, s[20:23], 0 offset:36 ; 4-byte Folded Reload
	;; [unrolled: 1-line block ×4, first 2 shown]
	s_waitcnt lgkmcnt(0)
	v_mul_f64 v[64:65], v[78:79], v[74:75]
	v_fma_f64 v[64:65], v[76:77], v[62:63], -v[64:65]
	v_mul_f64 v[76:77], v[76:77], v[74:75]
	v_fma_f64 v[76:77], v[78:79], v[62:63], v[76:77]
	s_waitcnt vmcnt(2)
	v_add_f64 v[50:51], v[50:51], -v[64:65]
	s_waitcnt vmcnt(0)
	v_add_f64 v[52:53], v[52:53], -v[76:77]
	buffer_store_dword v50, off, s[20:23], 0 offset:32 ; 4-byte Folded Spill
	s_nop 0
	buffer_store_dword v51, off, s[20:23], 0 offset:36 ; 4-byte Folded Spill
	buffer_store_dword v52, off, s[20:23], 0 offset:40 ; 4-byte Folded Spill
	;; [unrolled: 1-line block ×3, first 2 shown]
	ds_read2_b64 v[76:79], v94 offset0:12 offset1:13
	s_waitcnt lgkmcnt(0)
	v_mul_f64 v[64:65], v[78:79], v[74:75]
	v_fma_f64 v[64:65], v[76:77], v[62:63], -v[64:65]
	v_mul_f64 v[76:77], v[76:77], v[74:75]
	v_add_f64 v[114:115], v[114:115], -v[64:65]
	v_fma_f64 v[76:77], v[78:79], v[62:63], v[76:77]
	v_add_f64 v[116:117], v[116:117], -v[76:77]
	ds_read2_b64 v[76:79], v94 offset0:14 offset1:15
	s_waitcnt lgkmcnt(0)
	v_mul_f64 v[64:65], v[78:79], v[74:75]
	v_fma_f64 v[64:65], v[76:77], v[62:63], -v[64:65]
	v_mul_f64 v[76:77], v[76:77], v[74:75]
	v_add_f64 v[97:98], v[97:98], -v[64:65]
	v_fma_f64 v[76:77], v[78:79], v[62:63], v[76:77]
	v_add_f64 v[99:100], v[99:100], -v[76:77]
	;; [unrolled: 8-line block ×9, first 2 shown]
	ds_read2_b64 v[76:79], v94 offset0:30 offset1:31
	buffer_load_dword v1, off, s[20:23], 0 offset:16 ; 4-byte Folded Reload
	buffer_load_dword v2, off, s[20:23], 0 offset:20 ; 4-byte Folded Reload
	;; [unrolled: 1-line block ×4, first 2 shown]
	s_waitcnt lgkmcnt(0)
	v_mul_f64 v[64:65], v[78:79], v[74:75]
	v_fma_f64 v[64:65], v[76:77], v[62:63], -v[64:65]
	v_mul_f64 v[76:77], v[76:77], v[74:75]
	v_fma_f64 v[76:77], v[78:79], v[62:63], v[76:77]
	s_waitcnt vmcnt(2)
	v_add_f64 v[1:2], v[1:2], -v[64:65]
	s_waitcnt vmcnt(0)
	v_add_f64 v[3:4], v[3:4], -v[76:77]
	buffer_store_dword v1, off, s[20:23], 0 offset:16 ; 4-byte Folded Spill
	s_nop 0
	buffer_store_dword v2, off, s[20:23], 0 offset:20 ; 4-byte Folded Spill
	buffer_store_dword v3, off, s[20:23], 0 offset:24 ; 4-byte Folded Spill
	;; [unrolled: 1-line block ×3, first 2 shown]
	ds_read2_b64 v[76:79], v94 offset0:32 offset1:33
	buffer_load_dword v1, off, s[20:23], 0  ; 4-byte Folded Reload
	buffer_load_dword v2, off, s[20:23], 0 offset:4 ; 4-byte Folded Reload
	buffer_load_dword v3, off, s[20:23], 0 offset:8 ; 4-byte Folded Reload
	buffer_load_dword v4, off, s[20:23], 0 offset:12 ; 4-byte Folded Reload
	s_waitcnt lgkmcnt(0)
	v_mul_f64 v[64:65], v[78:79], v[74:75]
	v_fma_f64 v[64:65], v[76:77], v[62:63], -v[64:65]
	v_mul_f64 v[76:77], v[76:77], v[74:75]
	v_fma_f64 v[76:77], v[78:79], v[62:63], v[76:77]
	s_waitcnt vmcnt(2)
	v_add_f64 v[1:2], v[1:2], -v[64:65]
	s_waitcnt vmcnt(0)
	v_add_f64 v[3:4], v[3:4], -v[76:77]
	buffer_store_dword v1, off, s[20:23], 0 ; 4-byte Folded Spill
	s_nop 0
	buffer_store_dword v2, off, s[20:23], 0 offset:4 ; 4-byte Folded Spill
	buffer_store_dword v3, off, s[20:23], 0 offset:8 ; 4-byte Folded Spill
	buffer_store_dword v4, off, s[20:23], 0 offset:12 ; 4-byte Folded Spill
	ds_read2_b64 v[76:79], v94 offset0:34 offset1:35
	s_waitcnt lgkmcnt(0)
	v_mul_f64 v[64:65], v[78:79], v[74:75]
	v_fma_f64 v[64:65], v[76:77], v[62:63], -v[64:65]
	v_mul_f64 v[76:77], v[76:77], v[74:75]
	v_add_f64 v[46:47], v[46:47], -v[64:65]
	v_fma_f64 v[76:77], v[78:79], v[62:63], v[76:77]
	v_mov_b32_e32 v64, v74
	v_mov_b32_e32 v65, v75
	v_add_f64 v[48:49], v[48:49], -v[76:77]
.LBB35_28:
	s_or_b64 exec, exec, s[2:3]
	v_cmp_eq_u32_e32 vcc, 3, v0
	s_waitcnt vmcnt(0)
	s_barrier
	s_and_saveexec_b64 s[4:5], vcc
	s_cbranch_execz .LBB35_35
; %bb.29:
	ds_write2_b64 v118, v[58:59], v[60:61] offset1:1
	ds_write2_b64 v94, v[121:122], v[123:124] offset0:8 offset1:9
	buffer_load_dword v50, off, s[20:23], 0 offset:32 ; 4-byte Folded Reload
	buffer_load_dword v51, off, s[20:23], 0 offset:36 ; 4-byte Folded Reload
	;; [unrolled: 1-line block ×4, first 2 shown]
	s_waitcnt vmcnt(0)
	ds_write2_b64 v94, v[50:51], v[52:53] offset0:10 offset1:11
	ds_write2_b64 v94, v[114:115], v[116:117] offset0:12 offset1:13
	;; [unrolled: 1-line block ×10, first 2 shown]
	buffer_load_dword v1, off, s[20:23], 0 offset:16 ; 4-byte Folded Reload
	buffer_load_dword v2, off, s[20:23], 0 offset:20 ; 4-byte Folded Reload
	;; [unrolled: 1-line block ×4, first 2 shown]
	s_waitcnt vmcnt(0)
	ds_write2_b64 v94, v[1:2], v[3:4] offset0:30 offset1:31
	buffer_load_dword v1, off, s[20:23], 0  ; 4-byte Folded Reload
	buffer_load_dword v2, off, s[20:23], 0 offset:4 ; 4-byte Folded Reload
	buffer_load_dword v3, off, s[20:23], 0 offset:8 ; 4-byte Folded Reload
	;; [unrolled: 1-line block ×3, first 2 shown]
	s_waitcnt vmcnt(0)
	ds_write2_b64 v94, v[1:2], v[3:4] offset0:32 offset1:33
	ds_write2_b64 v94, v[46:47], v[48:49] offset0:34 offset1:35
	ds_read2_b64 v[74:77], v118 offset1:1
	s_waitcnt lgkmcnt(0)
	v_cmp_neq_f64_e32 vcc, 0, v[74:75]
	v_cmp_neq_f64_e64 s[2:3], 0, v[76:77]
	s_or_b64 s[2:3], vcc, s[2:3]
	s_and_b64 exec, exec, s[2:3]
	s_cbranch_execz .LBB35_35
; %bb.30:
	v_cmp_ngt_f64_e64 s[2:3], |v[74:75]|, |v[76:77]|
                                        ; implicit-def: $vgpr78_vgpr79
	s_and_saveexec_b64 s[6:7], s[2:3]
	s_xor_b64 s[2:3], exec, s[6:7]
                                        ; implicit-def: $vgpr80_vgpr81
	s_cbranch_execz .LBB35_32
; %bb.31:
	v_div_scale_f64 v[78:79], s[6:7], v[76:77], v[76:77], v[74:75]
	v_rcp_f64_e32 v[80:81], v[78:79]
	v_fma_f64 v[82:83], -v[78:79], v[80:81], 1.0
	v_fma_f64 v[80:81], v[80:81], v[82:83], v[80:81]
	v_div_scale_f64 v[82:83], vcc, v[74:75], v[76:77], v[74:75]
	v_fma_f64 v[84:85], -v[78:79], v[80:81], 1.0
	v_fma_f64 v[80:81], v[80:81], v[84:85], v[80:81]
	v_mul_f64 v[84:85], v[82:83], v[80:81]
	v_fma_f64 v[78:79], -v[78:79], v[84:85], v[82:83]
	v_div_fmas_f64 v[78:79], v[78:79], v[80:81], v[84:85]
	v_div_fixup_f64 v[78:79], v[78:79], v[76:77], v[74:75]
	v_fma_f64 v[74:75], v[74:75], v[78:79], v[76:77]
	v_div_scale_f64 v[76:77], s[6:7], v[74:75], v[74:75], 1.0
	v_div_scale_f64 v[84:85], vcc, 1.0, v[74:75], 1.0
	v_rcp_f64_e32 v[80:81], v[76:77]
	v_fma_f64 v[82:83], -v[76:77], v[80:81], 1.0
	v_fma_f64 v[80:81], v[80:81], v[82:83], v[80:81]
	v_fma_f64 v[82:83], -v[76:77], v[80:81], 1.0
	v_fma_f64 v[80:81], v[80:81], v[82:83], v[80:81]
	v_mul_f64 v[82:83], v[84:85], v[80:81]
	v_fma_f64 v[76:77], -v[76:77], v[82:83], v[84:85]
	v_div_fmas_f64 v[76:77], v[76:77], v[80:81], v[82:83]
	v_div_fixup_f64 v[80:81], v[76:77], v[74:75], 1.0
                                        ; implicit-def: $vgpr74_vgpr75
	v_mul_f64 v[78:79], v[78:79], v[80:81]
	v_xor_b32_e32 v81, 0x80000000, v81
.LBB35_32:
	s_andn2_saveexec_b64 s[2:3], s[2:3]
	s_cbranch_execz .LBB35_34
; %bb.33:
	v_div_scale_f64 v[78:79], s[6:7], v[74:75], v[74:75], v[76:77]
	v_rcp_f64_e32 v[80:81], v[78:79]
	v_fma_f64 v[82:83], -v[78:79], v[80:81], 1.0
	v_fma_f64 v[80:81], v[80:81], v[82:83], v[80:81]
	v_div_scale_f64 v[82:83], vcc, v[76:77], v[74:75], v[76:77]
	v_fma_f64 v[84:85], -v[78:79], v[80:81], 1.0
	v_fma_f64 v[80:81], v[80:81], v[84:85], v[80:81]
	v_mul_f64 v[84:85], v[82:83], v[80:81]
	v_fma_f64 v[78:79], -v[78:79], v[84:85], v[82:83]
	v_div_fmas_f64 v[78:79], v[78:79], v[80:81], v[84:85]
	v_div_fixup_f64 v[80:81], v[78:79], v[74:75], v[76:77]
	v_fma_f64 v[74:75], v[76:77], v[80:81], v[74:75]
	v_div_scale_f64 v[76:77], s[6:7], v[74:75], v[74:75], 1.0
	v_div_scale_f64 v[84:85], vcc, 1.0, v[74:75], 1.0
	v_rcp_f64_e32 v[78:79], v[76:77]
	v_fma_f64 v[82:83], -v[76:77], v[78:79], 1.0
	v_fma_f64 v[78:79], v[78:79], v[82:83], v[78:79]
	v_fma_f64 v[82:83], -v[76:77], v[78:79], 1.0
	v_fma_f64 v[78:79], v[78:79], v[82:83], v[78:79]
	v_mul_f64 v[82:83], v[84:85], v[78:79]
	v_fma_f64 v[76:77], -v[76:77], v[82:83], v[84:85]
	v_div_fmas_f64 v[76:77], v[76:77], v[78:79], v[82:83]
	v_div_fixup_f64 v[78:79], v[76:77], v[74:75], 1.0
	v_mul_f64 v[80:81], v[80:81], -v[78:79]
.LBB35_34:
	s_or_b64 exec, exec, s[2:3]
	ds_write2_b64 v118, v[78:79], v[80:81] offset1:1
.LBB35_35:
	s_or_b64 exec, exec, s[4:5]
	s_waitcnt lgkmcnt(0)
	s_barrier
	ds_read2_b64 v[102:105], v118 offset1:1
	v_cmp_lt_u32_e32 vcc, 3, v0
	s_and_saveexec_b64 s[2:3], vcc
	s_cbranch_execz .LBB35_37
; %bb.36:
	s_waitcnt lgkmcnt(0)
	v_mul_f64 v[74:75], v[102:103], v[60:61]
	v_mul_f64 v[60:61], v[104:105], v[60:61]
	ds_read2_b64 v[76:79], v94 offset0:8 offset1:9
	v_fma_f64 v[74:75], v[104:105], v[58:59], v[74:75]
	v_fma_f64 v[58:59], v[102:103], v[58:59], -v[60:61]
	s_waitcnt lgkmcnt(0)
	v_mul_f64 v[60:61], v[78:79], v[74:75]
	v_fma_f64 v[60:61], v[76:77], v[58:59], -v[60:61]
	v_mul_f64 v[76:77], v[76:77], v[74:75]
	v_add_f64 v[121:122], v[121:122], -v[60:61]
	v_fma_f64 v[76:77], v[78:79], v[58:59], v[76:77]
	v_add_f64 v[123:124], v[123:124], -v[76:77]
	ds_read2_b64 v[76:79], v94 offset0:10 offset1:11
	buffer_load_dword v50, off, s[20:23], 0 offset:32 ; 4-byte Folded Reload
	buffer_load_dword v51, off, s[20:23], 0 offset:36 ; 4-byte Folded Reload
	buffer_load_dword v52, off, s[20:23], 0 offset:40 ; 4-byte Folded Reload
	buffer_load_dword v53, off, s[20:23], 0 offset:44 ; 4-byte Folded Reload
	s_waitcnt lgkmcnt(0)
	v_mul_f64 v[60:61], v[78:79], v[74:75]
	v_fma_f64 v[60:61], v[76:77], v[58:59], -v[60:61]
	v_mul_f64 v[76:77], v[76:77], v[74:75]
	v_fma_f64 v[76:77], v[78:79], v[58:59], v[76:77]
	s_waitcnt vmcnt(2)
	v_add_f64 v[50:51], v[50:51], -v[60:61]
	s_waitcnt vmcnt(0)
	v_add_f64 v[52:53], v[52:53], -v[76:77]
	buffer_store_dword v50, off, s[20:23], 0 offset:32 ; 4-byte Folded Spill
	s_nop 0
	buffer_store_dword v51, off, s[20:23], 0 offset:36 ; 4-byte Folded Spill
	buffer_store_dword v52, off, s[20:23], 0 offset:40 ; 4-byte Folded Spill
	;; [unrolled: 1-line block ×3, first 2 shown]
	ds_read2_b64 v[76:79], v94 offset0:12 offset1:13
	s_waitcnt lgkmcnt(0)
	v_mul_f64 v[60:61], v[78:79], v[74:75]
	v_fma_f64 v[60:61], v[76:77], v[58:59], -v[60:61]
	v_mul_f64 v[76:77], v[76:77], v[74:75]
	v_add_f64 v[114:115], v[114:115], -v[60:61]
	v_fma_f64 v[76:77], v[78:79], v[58:59], v[76:77]
	v_add_f64 v[116:117], v[116:117], -v[76:77]
	ds_read2_b64 v[76:79], v94 offset0:14 offset1:15
	s_waitcnt lgkmcnt(0)
	v_mul_f64 v[60:61], v[78:79], v[74:75]
	v_fma_f64 v[60:61], v[76:77], v[58:59], -v[60:61]
	v_mul_f64 v[76:77], v[76:77], v[74:75]
	v_add_f64 v[97:98], v[97:98], -v[60:61]
	v_fma_f64 v[76:77], v[78:79], v[58:59], v[76:77]
	v_add_f64 v[99:100], v[99:100], -v[76:77]
	;; [unrolled: 8-line block ×9, first 2 shown]
	ds_read2_b64 v[76:79], v94 offset0:30 offset1:31
	buffer_load_dword v1, off, s[20:23], 0 offset:16 ; 4-byte Folded Reload
	buffer_load_dword v2, off, s[20:23], 0 offset:20 ; 4-byte Folded Reload
	;; [unrolled: 1-line block ×4, first 2 shown]
	s_waitcnt lgkmcnt(0)
	v_mul_f64 v[60:61], v[78:79], v[74:75]
	v_fma_f64 v[60:61], v[76:77], v[58:59], -v[60:61]
	v_mul_f64 v[76:77], v[76:77], v[74:75]
	v_fma_f64 v[76:77], v[78:79], v[58:59], v[76:77]
	s_waitcnt vmcnt(2)
	v_add_f64 v[1:2], v[1:2], -v[60:61]
	s_waitcnt vmcnt(0)
	v_add_f64 v[3:4], v[3:4], -v[76:77]
	buffer_store_dword v1, off, s[20:23], 0 offset:16 ; 4-byte Folded Spill
	s_nop 0
	buffer_store_dword v2, off, s[20:23], 0 offset:20 ; 4-byte Folded Spill
	buffer_store_dword v3, off, s[20:23], 0 offset:24 ; 4-byte Folded Spill
	buffer_store_dword v4, off, s[20:23], 0 offset:28 ; 4-byte Folded Spill
	ds_read2_b64 v[76:79], v94 offset0:32 offset1:33
	buffer_load_dword v1, off, s[20:23], 0  ; 4-byte Folded Reload
	buffer_load_dword v2, off, s[20:23], 0 offset:4 ; 4-byte Folded Reload
	buffer_load_dword v3, off, s[20:23], 0 offset:8 ; 4-byte Folded Reload
	;; [unrolled: 1-line block ×3, first 2 shown]
	s_waitcnt lgkmcnt(0)
	v_mul_f64 v[60:61], v[78:79], v[74:75]
	v_fma_f64 v[60:61], v[76:77], v[58:59], -v[60:61]
	v_mul_f64 v[76:77], v[76:77], v[74:75]
	v_fma_f64 v[76:77], v[78:79], v[58:59], v[76:77]
	s_waitcnt vmcnt(2)
	v_add_f64 v[1:2], v[1:2], -v[60:61]
	s_waitcnt vmcnt(0)
	v_add_f64 v[3:4], v[3:4], -v[76:77]
	buffer_store_dword v1, off, s[20:23], 0 ; 4-byte Folded Spill
	s_nop 0
	buffer_store_dword v2, off, s[20:23], 0 offset:4 ; 4-byte Folded Spill
	buffer_store_dword v3, off, s[20:23], 0 offset:8 ; 4-byte Folded Spill
	buffer_store_dword v4, off, s[20:23], 0 offset:12 ; 4-byte Folded Spill
	ds_read2_b64 v[76:79], v94 offset0:34 offset1:35
	s_waitcnt lgkmcnt(0)
	v_mul_f64 v[60:61], v[78:79], v[74:75]
	v_fma_f64 v[60:61], v[76:77], v[58:59], -v[60:61]
	v_mul_f64 v[76:77], v[76:77], v[74:75]
	v_add_f64 v[46:47], v[46:47], -v[60:61]
	v_fma_f64 v[76:77], v[78:79], v[58:59], v[76:77]
	v_mov_b32_e32 v60, v74
	v_mov_b32_e32 v61, v75
	v_add_f64 v[48:49], v[48:49], -v[76:77]
.LBB35_37:
	s_or_b64 exec, exec, s[2:3]
	v_cmp_eq_u32_e32 vcc, 4, v0
	s_waitcnt vmcnt(0) lgkmcnt(0)
	s_barrier
	s_and_saveexec_b64 s[4:5], vcc
	s_cbranch_execz .LBB35_44
; %bb.38:
	ds_write2_b64 v118, v[121:122], v[123:124] offset1:1
	buffer_load_dword v50, off, s[20:23], 0 offset:32 ; 4-byte Folded Reload
	buffer_load_dword v51, off, s[20:23], 0 offset:36 ; 4-byte Folded Reload
	;; [unrolled: 1-line block ×4, first 2 shown]
	s_waitcnt vmcnt(0)
	ds_write2_b64 v94, v[50:51], v[52:53] offset0:10 offset1:11
	ds_write2_b64 v94, v[114:115], v[116:117] offset0:12 offset1:13
	;; [unrolled: 1-line block ×10, first 2 shown]
	buffer_load_dword v1, off, s[20:23], 0 offset:16 ; 4-byte Folded Reload
	buffer_load_dword v2, off, s[20:23], 0 offset:20 ; 4-byte Folded Reload
	;; [unrolled: 1-line block ×4, first 2 shown]
	s_waitcnt vmcnt(0)
	ds_write2_b64 v94, v[1:2], v[3:4] offset0:30 offset1:31
	buffer_load_dword v1, off, s[20:23], 0  ; 4-byte Folded Reload
	buffer_load_dword v2, off, s[20:23], 0 offset:4 ; 4-byte Folded Reload
	buffer_load_dword v3, off, s[20:23], 0 offset:8 ; 4-byte Folded Reload
	;; [unrolled: 1-line block ×3, first 2 shown]
	s_waitcnt vmcnt(0)
	ds_write2_b64 v94, v[1:2], v[3:4] offset0:32 offset1:33
	ds_write2_b64 v94, v[46:47], v[48:49] offset0:34 offset1:35
	ds_read2_b64 v[74:77], v118 offset1:1
	s_waitcnt lgkmcnt(0)
	v_cmp_neq_f64_e32 vcc, 0, v[74:75]
	v_cmp_neq_f64_e64 s[2:3], 0, v[76:77]
	s_or_b64 s[2:3], vcc, s[2:3]
	s_and_b64 exec, exec, s[2:3]
	s_cbranch_execz .LBB35_44
; %bb.39:
	v_cmp_ngt_f64_e64 s[2:3], |v[74:75]|, |v[76:77]|
                                        ; implicit-def: $vgpr78_vgpr79
	s_and_saveexec_b64 s[6:7], s[2:3]
	s_xor_b64 s[2:3], exec, s[6:7]
                                        ; implicit-def: $vgpr80_vgpr81
	s_cbranch_execz .LBB35_41
; %bb.40:
	v_div_scale_f64 v[78:79], s[6:7], v[76:77], v[76:77], v[74:75]
	v_rcp_f64_e32 v[80:81], v[78:79]
	v_fma_f64 v[82:83], -v[78:79], v[80:81], 1.0
	v_fma_f64 v[80:81], v[80:81], v[82:83], v[80:81]
	v_div_scale_f64 v[82:83], vcc, v[74:75], v[76:77], v[74:75]
	v_fma_f64 v[84:85], -v[78:79], v[80:81], 1.0
	v_fma_f64 v[80:81], v[80:81], v[84:85], v[80:81]
	v_mul_f64 v[84:85], v[82:83], v[80:81]
	v_fma_f64 v[78:79], -v[78:79], v[84:85], v[82:83]
	v_div_fmas_f64 v[78:79], v[78:79], v[80:81], v[84:85]
	v_div_fixup_f64 v[78:79], v[78:79], v[76:77], v[74:75]
	v_fma_f64 v[74:75], v[74:75], v[78:79], v[76:77]
	v_div_scale_f64 v[76:77], s[6:7], v[74:75], v[74:75], 1.0
	v_div_scale_f64 v[84:85], vcc, 1.0, v[74:75], 1.0
	v_rcp_f64_e32 v[80:81], v[76:77]
	v_fma_f64 v[82:83], -v[76:77], v[80:81], 1.0
	v_fma_f64 v[80:81], v[80:81], v[82:83], v[80:81]
	v_fma_f64 v[82:83], -v[76:77], v[80:81], 1.0
	v_fma_f64 v[80:81], v[80:81], v[82:83], v[80:81]
	v_mul_f64 v[82:83], v[84:85], v[80:81]
	v_fma_f64 v[76:77], -v[76:77], v[82:83], v[84:85]
	v_div_fmas_f64 v[76:77], v[76:77], v[80:81], v[82:83]
	v_div_fixup_f64 v[80:81], v[76:77], v[74:75], 1.0
                                        ; implicit-def: $vgpr74_vgpr75
	v_mul_f64 v[78:79], v[78:79], v[80:81]
	v_xor_b32_e32 v81, 0x80000000, v81
.LBB35_41:
	s_andn2_saveexec_b64 s[2:3], s[2:3]
	s_cbranch_execz .LBB35_43
; %bb.42:
	v_div_scale_f64 v[78:79], s[6:7], v[74:75], v[74:75], v[76:77]
	v_rcp_f64_e32 v[80:81], v[78:79]
	v_fma_f64 v[82:83], -v[78:79], v[80:81], 1.0
	v_fma_f64 v[80:81], v[80:81], v[82:83], v[80:81]
	v_div_scale_f64 v[82:83], vcc, v[76:77], v[74:75], v[76:77]
	v_fma_f64 v[84:85], -v[78:79], v[80:81], 1.0
	v_fma_f64 v[80:81], v[80:81], v[84:85], v[80:81]
	v_mul_f64 v[84:85], v[82:83], v[80:81]
	v_fma_f64 v[78:79], -v[78:79], v[84:85], v[82:83]
	v_div_fmas_f64 v[78:79], v[78:79], v[80:81], v[84:85]
	v_div_fixup_f64 v[80:81], v[78:79], v[74:75], v[76:77]
	v_fma_f64 v[74:75], v[76:77], v[80:81], v[74:75]
	v_div_scale_f64 v[76:77], s[6:7], v[74:75], v[74:75], 1.0
	v_div_scale_f64 v[84:85], vcc, 1.0, v[74:75], 1.0
	v_rcp_f64_e32 v[78:79], v[76:77]
	v_fma_f64 v[82:83], -v[76:77], v[78:79], 1.0
	v_fma_f64 v[78:79], v[78:79], v[82:83], v[78:79]
	v_fma_f64 v[82:83], -v[76:77], v[78:79], 1.0
	v_fma_f64 v[78:79], v[78:79], v[82:83], v[78:79]
	v_mul_f64 v[82:83], v[84:85], v[78:79]
	v_fma_f64 v[76:77], -v[76:77], v[82:83], v[84:85]
	v_div_fmas_f64 v[76:77], v[76:77], v[78:79], v[82:83]
	v_div_fixup_f64 v[78:79], v[76:77], v[74:75], 1.0
	v_mul_f64 v[80:81], v[80:81], -v[78:79]
.LBB35_43:
	s_or_b64 exec, exec, s[2:3]
	ds_write2_b64 v118, v[78:79], v[80:81] offset1:1
.LBB35_44:
	s_or_b64 exec, exec, s[4:5]
	s_waitcnt lgkmcnt(0)
	s_barrier
	ds_read2_b64 v[50:53], v118 offset1:1
	v_cmp_lt_u32_e32 vcc, 4, v0
	s_waitcnt lgkmcnt(0)
	buffer_store_dword v50, off, s[20:23], 0 offset:200 ; 4-byte Folded Spill
	s_nop 0
	buffer_store_dword v51, off, s[20:23], 0 offset:204 ; 4-byte Folded Spill
	buffer_store_dword v52, off, s[20:23], 0 offset:208 ; 4-byte Folded Spill
	buffer_store_dword v53, off, s[20:23], 0 offset:212 ; 4-byte Folded Spill
	s_and_saveexec_b64 s[2:3], vcc
	s_cbranch_execz .LBB35_46
; %bb.45:
	buffer_load_dword v50, off, s[20:23], 0 offset:200 ; 4-byte Folded Reload
	buffer_load_dword v51, off, s[20:23], 0 offset:204 ; 4-byte Folded Reload
	;; [unrolled: 1-line block ×4, first 2 shown]
	ds_read2_b64 v[76:79], v94 offset0:10 offset1:11
	s_waitcnt vmcnt(2)
	v_mul_f64 v[74:75], v[50:51], v[123:124]
	s_waitcnt vmcnt(0)
	v_mul_f64 v[56:57], v[52:53], v[123:124]
	v_fma_f64 v[74:75], v[52:53], v[121:122], v[74:75]
	v_fma_f64 v[121:122], v[50:51], v[121:122], -v[56:57]
	buffer_load_dword v50, off, s[20:23], 0 offset:32 ; 4-byte Folded Reload
	buffer_load_dword v51, off, s[20:23], 0 offset:36 ; 4-byte Folded Reload
	;; [unrolled: 1-line block ×4, first 2 shown]
	s_waitcnt lgkmcnt(0)
	v_mul_f64 v[56:57], v[78:79], v[74:75]
	v_mov_b32_e32 v124, v75
	v_mov_b32_e32 v123, v74
	v_fma_f64 v[56:57], v[76:77], v[121:122], -v[56:57]
	v_mul_f64 v[76:77], v[76:77], v[74:75]
	v_fma_f64 v[76:77], v[78:79], v[121:122], v[76:77]
	s_waitcnt vmcnt(2)
	v_add_f64 v[50:51], v[50:51], -v[56:57]
	s_waitcnt vmcnt(0)
	v_add_f64 v[52:53], v[52:53], -v[76:77]
	buffer_store_dword v50, off, s[20:23], 0 offset:32 ; 4-byte Folded Spill
	s_nop 0
	buffer_store_dword v51, off, s[20:23], 0 offset:36 ; 4-byte Folded Spill
	buffer_store_dword v52, off, s[20:23], 0 offset:40 ; 4-byte Folded Spill
	;; [unrolled: 1-line block ×3, first 2 shown]
	ds_read2_b64 v[76:79], v94 offset0:12 offset1:13
	s_waitcnt lgkmcnt(0)
	v_mul_f64 v[56:57], v[78:79], v[74:75]
	v_fma_f64 v[56:57], v[76:77], v[121:122], -v[56:57]
	v_mul_f64 v[76:77], v[76:77], v[74:75]
	v_add_f64 v[114:115], v[114:115], -v[56:57]
	v_fma_f64 v[76:77], v[78:79], v[121:122], v[76:77]
	v_add_f64 v[116:117], v[116:117], -v[76:77]
	ds_read2_b64 v[76:79], v94 offset0:14 offset1:15
	s_waitcnt lgkmcnt(0)
	v_mul_f64 v[56:57], v[78:79], v[74:75]
	v_fma_f64 v[56:57], v[76:77], v[121:122], -v[56:57]
	v_mul_f64 v[76:77], v[76:77], v[74:75]
	v_add_f64 v[97:98], v[97:98], -v[56:57]
	v_fma_f64 v[76:77], v[78:79], v[121:122], v[76:77]
	v_add_f64 v[99:100], v[99:100], -v[76:77]
	;; [unrolled: 8-line block ×9, first 2 shown]
	ds_read2_b64 v[76:79], v94 offset0:30 offset1:31
	buffer_load_dword v1, off, s[20:23], 0 offset:16 ; 4-byte Folded Reload
	buffer_load_dword v2, off, s[20:23], 0 offset:20 ; 4-byte Folded Reload
	;; [unrolled: 1-line block ×4, first 2 shown]
	s_waitcnt lgkmcnt(0)
	v_mul_f64 v[56:57], v[78:79], v[74:75]
	v_fma_f64 v[56:57], v[76:77], v[121:122], -v[56:57]
	v_mul_f64 v[76:77], v[76:77], v[74:75]
	v_fma_f64 v[76:77], v[78:79], v[121:122], v[76:77]
	s_waitcnt vmcnt(2)
	v_add_f64 v[1:2], v[1:2], -v[56:57]
	s_waitcnt vmcnt(0)
	v_add_f64 v[3:4], v[3:4], -v[76:77]
	buffer_store_dword v1, off, s[20:23], 0 offset:16 ; 4-byte Folded Spill
	s_nop 0
	buffer_store_dword v2, off, s[20:23], 0 offset:20 ; 4-byte Folded Spill
	buffer_store_dword v3, off, s[20:23], 0 offset:24 ; 4-byte Folded Spill
	;; [unrolled: 1-line block ×3, first 2 shown]
	ds_read2_b64 v[76:79], v94 offset0:32 offset1:33
	buffer_load_dword v1, off, s[20:23], 0  ; 4-byte Folded Reload
	buffer_load_dword v2, off, s[20:23], 0 offset:4 ; 4-byte Folded Reload
	buffer_load_dword v3, off, s[20:23], 0 offset:8 ; 4-byte Folded Reload
	;; [unrolled: 1-line block ×3, first 2 shown]
	s_waitcnt lgkmcnt(0)
	v_mul_f64 v[56:57], v[78:79], v[74:75]
	v_fma_f64 v[56:57], v[76:77], v[121:122], -v[56:57]
	v_mul_f64 v[76:77], v[76:77], v[74:75]
	v_fma_f64 v[76:77], v[78:79], v[121:122], v[76:77]
	s_waitcnt vmcnt(2)
	v_add_f64 v[1:2], v[1:2], -v[56:57]
	s_waitcnt vmcnt(0)
	v_add_f64 v[3:4], v[3:4], -v[76:77]
	buffer_store_dword v1, off, s[20:23], 0 ; 4-byte Folded Spill
	s_nop 0
	buffer_store_dword v2, off, s[20:23], 0 offset:4 ; 4-byte Folded Spill
	buffer_store_dword v3, off, s[20:23], 0 offset:8 ; 4-byte Folded Spill
	;; [unrolled: 1-line block ×3, first 2 shown]
	ds_read2_b64 v[76:79], v94 offset0:34 offset1:35
	s_waitcnt lgkmcnt(0)
	v_mul_f64 v[56:57], v[78:79], v[74:75]
	v_fma_f64 v[56:57], v[76:77], v[121:122], -v[56:57]
	v_mul_f64 v[76:77], v[76:77], v[74:75]
	v_add_f64 v[46:47], v[46:47], -v[56:57]
	v_fma_f64 v[76:77], v[78:79], v[121:122], v[76:77]
	v_add_f64 v[48:49], v[48:49], -v[76:77]
.LBB35_46:
	s_or_b64 exec, exec, s[2:3]
	v_cmp_eq_u32_e32 vcc, 5, v0
	s_waitcnt vmcnt(0)
	s_barrier
	s_and_saveexec_b64 s[4:5], vcc
	s_cbranch_execz .LBB35_53
; %bb.47:
	buffer_load_dword v50, off, s[20:23], 0 offset:32 ; 4-byte Folded Reload
	buffer_load_dword v51, off, s[20:23], 0 offset:36 ; 4-byte Folded Reload
	;; [unrolled: 1-line block ×4, first 2 shown]
	s_waitcnt vmcnt(0)
	ds_write2_b64 v118, v[50:51], v[52:53] offset1:1
	ds_write2_b64 v94, v[114:115], v[116:117] offset0:12 offset1:13
	ds_write2_b64 v94, v[97:98], v[99:100] offset0:14 offset1:15
	;; [unrolled: 1-line block ×9, first 2 shown]
	buffer_load_dword v1, off, s[20:23], 0 offset:16 ; 4-byte Folded Reload
	buffer_load_dword v2, off, s[20:23], 0 offset:20 ; 4-byte Folded Reload
	;; [unrolled: 1-line block ×4, first 2 shown]
	s_waitcnt vmcnt(0)
	ds_write2_b64 v94, v[1:2], v[3:4] offset0:30 offset1:31
	buffer_load_dword v1, off, s[20:23], 0  ; 4-byte Folded Reload
	buffer_load_dword v2, off, s[20:23], 0 offset:4 ; 4-byte Folded Reload
	buffer_load_dword v3, off, s[20:23], 0 offset:8 ; 4-byte Folded Reload
	;; [unrolled: 1-line block ×3, first 2 shown]
	s_waitcnt vmcnt(0)
	ds_write2_b64 v94, v[1:2], v[3:4] offset0:32 offset1:33
	ds_write2_b64 v94, v[46:47], v[48:49] offset0:34 offset1:35
	ds_read2_b64 v[74:77], v118 offset1:1
	s_waitcnt lgkmcnt(0)
	v_cmp_neq_f64_e32 vcc, 0, v[74:75]
	v_cmp_neq_f64_e64 s[2:3], 0, v[76:77]
	s_or_b64 s[2:3], vcc, s[2:3]
	s_and_b64 exec, exec, s[2:3]
	s_cbranch_execz .LBB35_53
; %bb.48:
	v_cmp_ngt_f64_e64 s[2:3], |v[74:75]|, |v[76:77]|
                                        ; implicit-def: $vgpr78_vgpr79
	s_and_saveexec_b64 s[6:7], s[2:3]
	s_xor_b64 s[2:3], exec, s[6:7]
                                        ; implicit-def: $vgpr80_vgpr81
	s_cbranch_execz .LBB35_50
; %bb.49:
	v_div_scale_f64 v[78:79], s[6:7], v[76:77], v[76:77], v[74:75]
	v_rcp_f64_e32 v[80:81], v[78:79]
	v_fma_f64 v[82:83], -v[78:79], v[80:81], 1.0
	v_fma_f64 v[80:81], v[80:81], v[82:83], v[80:81]
	v_div_scale_f64 v[82:83], vcc, v[74:75], v[76:77], v[74:75]
	v_fma_f64 v[84:85], -v[78:79], v[80:81], 1.0
	v_fma_f64 v[80:81], v[80:81], v[84:85], v[80:81]
	v_mul_f64 v[84:85], v[82:83], v[80:81]
	v_fma_f64 v[78:79], -v[78:79], v[84:85], v[82:83]
	v_div_fmas_f64 v[78:79], v[78:79], v[80:81], v[84:85]
	v_div_fixup_f64 v[78:79], v[78:79], v[76:77], v[74:75]
	v_fma_f64 v[74:75], v[74:75], v[78:79], v[76:77]
	v_div_scale_f64 v[76:77], s[6:7], v[74:75], v[74:75], 1.0
	v_div_scale_f64 v[84:85], vcc, 1.0, v[74:75], 1.0
	v_rcp_f64_e32 v[80:81], v[76:77]
	v_fma_f64 v[82:83], -v[76:77], v[80:81], 1.0
	v_fma_f64 v[80:81], v[80:81], v[82:83], v[80:81]
	v_fma_f64 v[82:83], -v[76:77], v[80:81], 1.0
	v_fma_f64 v[80:81], v[80:81], v[82:83], v[80:81]
	v_mul_f64 v[82:83], v[84:85], v[80:81]
	v_fma_f64 v[76:77], -v[76:77], v[82:83], v[84:85]
	v_div_fmas_f64 v[76:77], v[76:77], v[80:81], v[82:83]
	v_div_fixup_f64 v[80:81], v[76:77], v[74:75], 1.0
                                        ; implicit-def: $vgpr74_vgpr75
	v_mul_f64 v[78:79], v[78:79], v[80:81]
	v_xor_b32_e32 v81, 0x80000000, v81
.LBB35_50:
	s_andn2_saveexec_b64 s[2:3], s[2:3]
	s_cbranch_execz .LBB35_52
; %bb.51:
	v_div_scale_f64 v[78:79], s[6:7], v[74:75], v[74:75], v[76:77]
	v_rcp_f64_e32 v[80:81], v[78:79]
	v_fma_f64 v[82:83], -v[78:79], v[80:81], 1.0
	v_fma_f64 v[80:81], v[80:81], v[82:83], v[80:81]
	v_div_scale_f64 v[82:83], vcc, v[76:77], v[74:75], v[76:77]
	v_fma_f64 v[84:85], -v[78:79], v[80:81], 1.0
	v_fma_f64 v[80:81], v[80:81], v[84:85], v[80:81]
	v_mul_f64 v[84:85], v[82:83], v[80:81]
	v_fma_f64 v[78:79], -v[78:79], v[84:85], v[82:83]
	v_div_fmas_f64 v[78:79], v[78:79], v[80:81], v[84:85]
	v_div_fixup_f64 v[80:81], v[78:79], v[74:75], v[76:77]
	v_fma_f64 v[74:75], v[76:77], v[80:81], v[74:75]
	v_div_scale_f64 v[76:77], s[6:7], v[74:75], v[74:75], 1.0
	v_div_scale_f64 v[84:85], vcc, 1.0, v[74:75], 1.0
	v_rcp_f64_e32 v[78:79], v[76:77]
	v_fma_f64 v[82:83], -v[76:77], v[78:79], 1.0
	v_fma_f64 v[78:79], v[78:79], v[82:83], v[78:79]
	v_fma_f64 v[82:83], -v[76:77], v[78:79], 1.0
	v_fma_f64 v[78:79], v[78:79], v[82:83], v[78:79]
	v_mul_f64 v[82:83], v[84:85], v[78:79]
	v_fma_f64 v[76:77], -v[76:77], v[82:83], v[84:85]
	v_div_fmas_f64 v[76:77], v[76:77], v[78:79], v[82:83]
	v_div_fixup_f64 v[78:79], v[76:77], v[74:75], 1.0
	v_mul_f64 v[80:81], v[80:81], -v[78:79]
.LBB35_52:
	s_or_b64 exec, exec, s[2:3]
	ds_write2_b64 v118, v[78:79], v[80:81] offset1:1
.LBB35_53:
	s_or_b64 exec, exec, s[4:5]
	s_waitcnt lgkmcnt(0)
	s_barrier
	ds_read2_b64 v[54:57], v118 offset1:1
	v_cmp_lt_u32_e32 vcc, 5, v0
	s_and_saveexec_b64 s[2:3], vcc
	s_cbranch_execz .LBB35_55
; %bb.54:
	buffer_load_dword v50, off, s[20:23], 0 offset:32 ; 4-byte Folded Reload
	buffer_load_dword v51, off, s[20:23], 0 offset:36 ; 4-byte Folded Reload
	;; [unrolled: 1-line block ×4, first 2 shown]
	ds_read2_b64 v[76:79], v94 offset0:12 offset1:13
	s_waitcnt vmcnt(0) lgkmcnt(1)
	v_mul_f64 v[74:75], v[54:55], v[52:53]
	v_mul_f64 v[52:53], v[56:57], v[52:53]
	v_fma_f64 v[74:75], v[56:57], v[50:51], v[74:75]
	v_fma_f64 v[50:51], v[54:55], v[50:51], -v[52:53]
	s_waitcnt lgkmcnt(0)
	v_mul_f64 v[52:53], v[78:79], v[74:75]
	v_fma_f64 v[52:53], v[76:77], v[50:51], -v[52:53]
	v_mul_f64 v[76:77], v[76:77], v[74:75]
	v_add_f64 v[114:115], v[114:115], -v[52:53]
	v_fma_f64 v[76:77], v[78:79], v[50:51], v[76:77]
	v_add_f64 v[116:117], v[116:117], -v[76:77]
	ds_read2_b64 v[76:79], v94 offset0:14 offset1:15
	s_waitcnt lgkmcnt(0)
	v_mul_f64 v[52:53], v[78:79], v[74:75]
	v_fma_f64 v[52:53], v[76:77], v[50:51], -v[52:53]
	v_mul_f64 v[76:77], v[76:77], v[74:75]
	v_add_f64 v[97:98], v[97:98], -v[52:53]
	v_fma_f64 v[76:77], v[78:79], v[50:51], v[76:77]
	v_add_f64 v[99:100], v[99:100], -v[76:77]
	ds_read2_b64 v[76:79], v94 offset0:16 offset1:17
	;; [unrolled: 8-line block ×9, first 2 shown]
	buffer_load_dword v1, off, s[20:23], 0 offset:16 ; 4-byte Folded Reload
	buffer_load_dword v2, off, s[20:23], 0 offset:20 ; 4-byte Folded Reload
	;; [unrolled: 1-line block ×4, first 2 shown]
	s_waitcnt lgkmcnt(0)
	v_mul_f64 v[52:53], v[78:79], v[74:75]
	v_fma_f64 v[52:53], v[76:77], v[50:51], -v[52:53]
	v_mul_f64 v[76:77], v[76:77], v[74:75]
	v_fma_f64 v[76:77], v[78:79], v[50:51], v[76:77]
	s_waitcnt vmcnt(2)
	v_add_f64 v[1:2], v[1:2], -v[52:53]
	s_waitcnt vmcnt(0)
	v_add_f64 v[3:4], v[3:4], -v[76:77]
	buffer_store_dword v1, off, s[20:23], 0 offset:16 ; 4-byte Folded Spill
	s_nop 0
	buffer_store_dword v2, off, s[20:23], 0 offset:20 ; 4-byte Folded Spill
	buffer_store_dword v3, off, s[20:23], 0 offset:24 ; 4-byte Folded Spill
	;; [unrolled: 1-line block ×3, first 2 shown]
	ds_read2_b64 v[76:79], v94 offset0:32 offset1:33
	buffer_load_dword v1, off, s[20:23], 0  ; 4-byte Folded Reload
	buffer_load_dword v2, off, s[20:23], 0 offset:4 ; 4-byte Folded Reload
	buffer_load_dword v3, off, s[20:23], 0 offset:8 ; 4-byte Folded Reload
	;; [unrolled: 1-line block ×3, first 2 shown]
	s_waitcnt lgkmcnt(0)
	v_mul_f64 v[52:53], v[78:79], v[74:75]
	v_fma_f64 v[52:53], v[76:77], v[50:51], -v[52:53]
	v_mul_f64 v[76:77], v[76:77], v[74:75]
	v_fma_f64 v[76:77], v[78:79], v[50:51], v[76:77]
	s_waitcnt vmcnt(2)
	v_add_f64 v[1:2], v[1:2], -v[52:53]
	s_waitcnt vmcnt(0)
	v_add_f64 v[3:4], v[3:4], -v[76:77]
	buffer_store_dword v1, off, s[20:23], 0 ; 4-byte Folded Spill
	s_nop 0
	buffer_store_dword v2, off, s[20:23], 0 offset:4 ; 4-byte Folded Spill
	buffer_store_dword v3, off, s[20:23], 0 offset:8 ; 4-byte Folded Spill
	;; [unrolled: 1-line block ×3, first 2 shown]
	ds_read2_b64 v[76:79], v94 offset0:34 offset1:35
	s_waitcnt lgkmcnt(0)
	v_mul_f64 v[52:53], v[78:79], v[74:75]
	v_fma_f64 v[52:53], v[76:77], v[50:51], -v[52:53]
	v_mul_f64 v[76:77], v[76:77], v[74:75]
	v_add_f64 v[46:47], v[46:47], -v[52:53]
	v_fma_f64 v[76:77], v[78:79], v[50:51], v[76:77]
	v_mov_b32_e32 v52, v74
	v_mov_b32_e32 v53, v75
	buffer_store_dword v50, off, s[20:23], 0 offset:32 ; 4-byte Folded Spill
	s_nop 0
	buffer_store_dword v51, off, s[20:23], 0 offset:36 ; 4-byte Folded Spill
	buffer_store_dword v52, off, s[20:23], 0 offset:40 ; 4-byte Folded Spill
	buffer_store_dword v53, off, s[20:23], 0 offset:44 ; 4-byte Folded Spill
	v_add_f64 v[48:49], v[48:49], -v[76:77]
.LBB35_55:
	s_or_b64 exec, exec, s[2:3]
	v_cmp_eq_u32_e32 vcc, 6, v0
	s_waitcnt vmcnt(0) lgkmcnt(0)
	s_barrier
	s_and_saveexec_b64 s[4:5], vcc
	s_cbranch_execz .LBB35_62
; %bb.56:
	ds_write2_b64 v118, v[114:115], v[116:117] offset1:1
	ds_write2_b64 v94, v[97:98], v[99:100] offset0:14 offset1:15
	ds_write2_b64 v94, v[34:35], v[36:37] offset0:16 offset1:17
	;; [unrolled: 1-line block ×8, first 2 shown]
	buffer_load_dword v1, off, s[20:23], 0 offset:16 ; 4-byte Folded Reload
	buffer_load_dword v2, off, s[20:23], 0 offset:20 ; 4-byte Folded Reload
	;; [unrolled: 1-line block ×4, first 2 shown]
	s_waitcnt vmcnt(0)
	ds_write2_b64 v94, v[1:2], v[3:4] offset0:30 offset1:31
	buffer_load_dword v1, off, s[20:23], 0  ; 4-byte Folded Reload
	buffer_load_dword v2, off, s[20:23], 0 offset:4 ; 4-byte Folded Reload
	buffer_load_dword v3, off, s[20:23], 0 offset:8 ; 4-byte Folded Reload
	;; [unrolled: 1-line block ×3, first 2 shown]
	s_waitcnt vmcnt(0)
	ds_write2_b64 v94, v[1:2], v[3:4] offset0:32 offset1:33
	ds_write2_b64 v94, v[46:47], v[48:49] offset0:34 offset1:35
	ds_read2_b64 v[74:77], v118 offset1:1
	s_waitcnt lgkmcnt(0)
	v_cmp_neq_f64_e32 vcc, 0, v[74:75]
	v_cmp_neq_f64_e64 s[2:3], 0, v[76:77]
	s_or_b64 s[2:3], vcc, s[2:3]
	s_and_b64 exec, exec, s[2:3]
	s_cbranch_execz .LBB35_62
; %bb.57:
	v_cmp_ngt_f64_e64 s[2:3], |v[74:75]|, |v[76:77]|
                                        ; implicit-def: $vgpr78_vgpr79
	s_and_saveexec_b64 s[6:7], s[2:3]
	s_xor_b64 s[2:3], exec, s[6:7]
                                        ; implicit-def: $vgpr80_vgpr81
	s_cbranch_execz .LBB35_59
; %bb.58:
	v_div_scale_f64 v[78:79], s[6:7], v[76:77], v[76:77], v[74:75]
	v_rcp_f64_e32 v[80:81], v[78:79]
	v_fma_f64 v[82:83], -v[78:79], v[80:81], 1.0
	v_fma_f64 v[80:81], v[80:81], v[82:83], v[80:81]
	v_div_scale_f64 v[82:83], vcc, v[74:75], v[76:77], v[74:75]
	v_fma_f64 v[84:85], -v[78:79], v[80:81], 1.0
	v_fma_f64 v[80:81], v[80:81], v[84:85], v[80:81]
	v_mul_f64 v[84:85], v[82:83], v[80:81]
	v_fma_f64 v[78:79], -v[78:79], v[84:85], v[82:83]
	v_div_fmas_f64 v[78:79], v[78:79], v[80:81], v[84:85]
	v_div_fixup_f64 v[78:79], v[78:79], v[76:77], v[74:75]
	v_fma_f64 v[74:75], v[74:75], v[78:79], v[76:77]
	v_div_scale_f64 v[76:77], s[6:7], v[74:75], v[74:75], 1.0
	v_div_scale_f64 v[84:85], vcc, 1.0, v[74:75], 1.0
	v_rcp_f64_e32 v[80:81], v[76:77]
	v_fma_f64 v[82:83], -v[76:77], v[80:81], 1.0
	v_fma_f64 v[80:81], v[80:81], v[82:83], v[80:81]
	v_fma_f64 v[82:83], -v[76:77], v[80:81], 1.0
	v_fma_f64 v[80:81], v[80:81], v[82:83], v[80:81]
	v_mul_f64 v[82:83], v[84:85], v[80:81]
	v_fma_f64 v[76:77], -v[76:77], v[82:83], v[84:85]
	v_div_fmas_f64 v[76:77], v[76:77], v[80:81], v[82:83]
	v_div_fixup_f64 v[80:81], v[76:77], v[74:75], 1.0
                                        ; implicit-def: $vgpr74_vgpr75
	v_mul_f64 v[78:79], v[78:79], v[80:81]
	v_xor_b32_e32 v81, 0x80000000, v81
.LBB35_59:
	s_andn2_saveexec_b64 s[2:3], s[2:3]
	s_cbranch_execz .LBB35_61
; %bb.60:
	v_div_scale_f64 v[78:79], s[6:7], v[74:75], v[74:75], v[76:77]
	v_rcp_f64_e32 v[80:81], v[78:79]
	v_fma_f64 v[82:83], -v[78:79], v[80:81], 1.0
	v_fma_f64 v[80:81], v[80:81], v[82:83], v[80:81]
	v_div_scale_f64 v[82:83], vcc, v[76:77], v[74:75], v[76:77]
	v_fma_f64 v[84:85], -v[78:79], v[80:81], 1.0
	v_fma_f64 v[80:81], v[80:81], v[84:85], v[80:81]
	v_mul_f64 v[84:85], v[82:83], v[80:81]
	v_fma_f64 v[78:79], -v[78:79], v[84:85], v[82:83]
	v_div_fmas_f64 v[78:79], v[78:79], v[80:81], v[84:85]
	v_div_fixup_f64 v[80:81], v[78:79], v[74:75], v[76:77]
	v_fma_f64 v[74:75], v[76:77], v[80:81], v[74:75]
	v_div_scale_f64 v[76:77], s[6:7], v[74:75], v[74:75], 1.0
	v_div_scale_f64 v[84:85], vcc, 1.0, v[74:75], 1.0
	v_rcp_f64_e32 v[78:79], v[76:77]
	v_fma_f64 v[82:83], -v[76:77], v[78:79], 1.0
	v_fma_f64 v[78:79], v[78:79], v[82:83], v[78:79]
	v_fma_f64 v[82:83], -v[76:77], v[78:79], 1.0
	v_fma_f64 v[78:79], v[78:79], v[82:83], v[78:79]
	v_mul_f64 v[82:83], v[84:85], v[78:79]
	v_fma_f64 v[76:77], -v[76:77], v[82:83], v[84:85]
	v_div_fmas_f64 v[76:77], v[76:77], v[78:79], v[82:83]
	v_div_fixup_f64 v[78:79], v[76:77], v[74:75], 1.0
	v_mul_f64 v[80:81], v[80:81], -v[78:79]
.LBB35_61:
	s_or_b64 exec, exec, s[2:3]
	ds_write2_b64 v118, v[78:79], v[80:81] offset1:1
.LBB35_62:
	s_or_b64 exec, exec, s[4:5]
	s_waitcnt lgkmcnt(0)
	s_barrier
	ds_read2_b64 v[50:53], v118 offset1:1
	v_cmp_lt_u32_e32 vcc, 6, v0
	s_waitcnt lgkmcnt(0)
	buffer_store_dword v50, off, s[20:23], 0 offset:264 ; 4-byte Folded Spill
	s_nop 0
	buffer_store_dword v51, off, s[20:23], 0 offset:268 ; 4-byte Folded Spill
	buffer_store_dword v52, off, s[20:23], 0 offset:272 ; 4-byte Folded Spill
	;; [unrolled: 1-line block ×3, first 2 shown]
	s_and_saveexec_b64 s[2:3], vcc
	s_cbranch_execz .LBB35_64
; %bb.63:
	buffer_load_dword v50, off, s[20:23], 0 offset:264 ; 4-byte Folded Reload
	buffer_load_dword v51, off, s[20:23], 0 offset:268 ; 4-byte Folded Reload
	;; [unrolled: 1-line block ×4, first 2 shown]
	ds_read2_b64 v[76:79], v94 offset0:14 offset1:15
	s_waitcnt vmcnt(2)
	v_mul_f64 v[74:75], v[50:51], v[116:117]
	s_waitcnt vmcnt(0)
	v_mul_f64 v[44:45], v[52:53], v[116:117]
	v_fma_f64 v[74:75], v[52:53], v[114:115], v[74:75]
	v_fma_f64 v[114:115], v[50:51], v[114:115], -v[44:45]
	s_waitcnt lgkmcnt(0)
	v_mul_f64 v[44:45], v[78:79], v[74:75]
	v_mov_b32_e32 v117, v75
	v_mov_b32_e32 v116, v74
	v_fma_f64 v[44:45], v[76:77], v[114:115], -v[44:45]
	v_mul_f64 v[76:77], v[76:77], v[74:75]
	v_add_f64 v[97:98], v[97:98], -v[44:45]
	v_fma_f64 v[76:77], v[78:79], v[114:115], v[76:77]
	v_add_f64 v[99:100], v[99:100], -v[76:77]
	ds_read2_b64 v[76:79], v94 offset0:16 offset1:17
	s_waitcnt lgkmcnt(0)
	v_mul_f64 v[44:45], v[78:79], v[74:75]
	v_fma_f64 v[44:45], v[76:77], v[114:115], -v[44:45]
	v_mul_f64 v[76:77], v[76:77], v[74:75]
	v_add_f64 v[34:35], v[34:35], -v[44:45]
	v_fma_f64 v[76:77], v[78:79], v[114:115], v[76:77]
	v_add_f64 v[36:37], v[36:37], -v[76:77]
	ds_read2_b64 v[76:79], v94 offset0:18 offset1:19
	s_waitcnt lgkmcnt(0)
	v_mul_f64 v[44:45], v[78:79], v[74:75]
	;; [unrolled: 8-line block ×7, first 2 shown]
	v_fma_f64 v[44:45], v[76:77], v[114:115], -v[44:45]
	v_mul_f64 v[76:77], v[76:77], v[74:75]
	v_add_f64 v[10:11], v[10:11], -v[44:45]
	v_fma_f64 v[76:77], v[78:79], v[114:115], v[76:77]
	v_add_f64 v[12:13], v[12:13], -v[76:77]
	ds_read2_b64 v[76:79], v94 offset0:30 offset1:31
	buffer_load_dword v1, off, s[20:23], 0 offset:16 ; 4-byte Folded Reload
	buffer_load_dword v2, off, s[20:23], 0 offset:20 ; 4-byte Folded Reload
	;; [unrolled: 1-line block ×4, first 2 shown]
	s_waitcnt lgkmcnt(0)
	v_mul_f64 v[44:45], v[78:79], v[74:75]
	v_fma_f64 v[44:45], v[76:77], v[114:115], -v[44:45]
	v_mul_f64 v[76:77], v[76:77], v[74:75]
	v_fma_f64 v[76:77], v[78:79], v[114:115], v[76:77]
	s_waitcnt vmcnt(2)
	v_add_f64 v[1:2], v[1:2], -v[44:45]
	s_waitcnt vmcnt(0)
	v_add_f64 v[3:4], v[3:4], -v[76:77]
	buffer_store_dword v1, off, s[20:23], 0 offset:16 ; 4-byte Folded Spill
	s_nop 0
	buffer_store_dword v2, off, s[20:23], 0 offset:20 ; 4-byte Folded Spill
	buffer_store_dword v3, off, s[20:23], 0 offset:24 ; 4-byte Folded Spill
	;; [unrolled: 1-line block ×3, first 2 shown]
	ds_read2_b64 v[76:79], v94 offset0:32 offset1:33
	buffer_load_dword v1, off, s[20:23], 0  ; 4-byte Folded Reload
	buffer_load_dword v2, off, s[20:23], 0 offset:4 ; 4-byte Folded Reload
	buffer_load_dword v3, off, s[20:23], 0 offset:8 ; 4-byte Folded Reload
	;; [unrolled: 1-line block ×3, first 2 shown]
	s_waitcnt lgkmcnt(0)
	v_mul_f64 v[44:45], v[78:79], v[74:75]
	v_fma_f64 v[44:45], v[76:77], v[114:115], -v[44:45]
	v_mul_f64 v[76:77], v[76:77], v[74:75]
	v_fma_f64 v[76:77], v[78:79], v[114:115], v[76:77]
	s_waitcnt vmcnt(2)
	v_add_f64 v[1:2], v[1:2], -v[44:45]
	s_waitcnt vmcnt(0)
	v_add_f64 v[3:4], v[3:4], -v[76:77]
	buffer_store_dword v1, off, s[20:23], 0 ; 4-byte Folded Spill
	s_nop 0
	buffer_store_dword v2, off, s[20:23], 0 offset:4 ; 4-byte Folded Spill
	buffer_store_dword v3, off, s[20:23], 0 offset:8 ; 4-byte Folded Spill
	;; [unrolled: 1-line block ×3, first 2 shown]
	ds_read2_b64 v[76:79], v94 offset0:34 offset1:35
	s_waitcnt lgkmcnt(0)
	v_mul_f64 v[44:45], v[78:79], v[74:75]
	v_fma_f64 v[44:45], v[76:77], v[114:115], -v[44:45]
	v_mul_f64 v[76:77], v[76:77], v[74:75]
	v_add_f64 v[46:47], v[46:47], -v[44:45]
	v_fma_f64 v[76:77], v[78:79], v[114:115], v[76:77]
	v_add_f64 v[48:49], v[48:49], -v[76:77]
.LBB35_64:
	s_or_b64 exec, exec, s[2:3]
	v_cmp_eq_u32_e32 vcc, 7, v0
	s_waitcnt vmcnt(0)
	s_barrier
	s_and_saveexec_b64 s[4:5], vcc
	s_cbranch_execz .LBB35_71
; %bb.65:
	ds_write2_b64 v118, v[97:98], v[99:100] offset1:1
	ds_write2_b64 v94, v[34:35], v[36:37] offset0:16 offset1:17
	ds_write2_b64 v94, v[30:31], v[32:33] offset0:18 offset1:19
	;; [unrolled: 1-line block ×7, first 2 shown]
	buffer_load_dword v1, off, s[20:23], 0 offset:16 ; 4-byte Folded Reload
	buffer_load_dword v2, off, s[20:23], 0 offset:20 ; 4-byte Folded Reload
	;; [unrolled: 1-line block ×4, first 2 shown]
	s_waitcnt vmcnt(0)
	ds_write2_b64 v94, v[1:2], v[3:4] offset0:30 offset1:31
	buffer_load_dword v1, off, s[20:23], 0  ; 4-byte Folded Reload
	buffer_load_dword v2, off, s[20:23], 0 offset:4 ; 4-byte Folded Reload
	buffer_load_dword v3, off, s[20:23], 0 offset:8 ; 4-byte Folded Reload
	;; [unrolled: 1-line block ×3, first 2 shown]
	s_waitcnt vmcnt(0)
	ds_write2_b64 v94, v[1:2], v[3:4] offset0:32 offset1:33
	ds_write2_b64 v94, v[46:47], v[48:49] offset0:34 offset1:35
	ds_read2_b64 v[74:77], v118 offset1:1
	s_waitcnt lgkmcnt(0)
	v_cmp_neq_f64_e32 vcc, 0, v[74:75]
	v_cmp_neq_f64_e64 s[2:3], 0, v[76:77]
	s_or_b64 s[2:3], vcc, s[2:3]
	s_and_b64 exec, exec, s[2:3]
	s_cbranch_execz .LBB35_71
; %bb.66:
	v_cmp_ngt_f64_e64 s[2:3], |v[74:75]|, |v[76:77]|
                                        ; implicit-def: $vgpr78_vgpr79
	s_and_saveexec_b64 s[6:7], s[2:3]
	s_xor_b64 s[2:3], exec, s[6:7]
                                        ; implicit-def: $vgpr80_vgpr81
	s_cbranch_execz .LBB35_68
; %bb.67:
	v_div_scale_f64 v[78:79], s[6:7], v[76:77], v[76:77], v[74:75]
	v_rcp_f64_e32 v[80:81], v[78:79]
	v_fma_f64 v[82:83], -v[78:79], v[80:81], 1.0
	v_fma_f64 v[80:81], v[80:81], v[82:83], v[80:81]
	v_div_scale_f64 v[82:83], vcc, v[74:75], v[76:77], v[74:75]
	v_fma_f64 v[84:85], -v[78:79], v[80:81], 1.0
	v_fma_f64 v[80:81], v[80:81], v[84:85], v[80:81]
	v_mul_f64 v[84:85], v[82:83], v[80:81]
	v_fma_f64 v[78:79], -v[78:79], v[84:85], v[82:83]
	v_div_fmas_f64 v[78:79], v[78:79], v[80:81], v[84:85]
	v_div_fixup_f64 v[78:79], v[78:79], v[76:77], v[74:75]
	v_fma_f64 v[74:75], v[74:75], v[78:79], v[76:77]
	v_div_scale_f64 v[76:77], s[6:7], v[74:75], v[74:75], 1.0
	v_div_scale_f64 v[84:85], vcc, 1.0, v[74:75], 1.0
	v_rcp_f64_e32 v[80:81], v[76:77]
	v_fma_f64 v[82:83], -v[76:77], v[80:81], 1.0
	v_fma_f64 v[80:81], v[80:81], v[82:83], v[80:81]
	v_fma_f64 v[82:83], -v[76:77], v[80:81], 1.0
	v_fma_f64 v[80:81], v[80:81], v[82:83], v[80:81]
	v_mul_f64 v[82:83], v[84:85], v[80:81]
	v_fma_f64 v[76:77], -v[76:77], v[82:83], v[84:85]
	v_div_fmas_f64 v[76:77], v[76:77], v[80:81], v[82:83]
	v_div_fixup_f64 v[80:81], v[76:77], v[74:75], 1.0
                                        ; implicit-def: $vgpr74_vgpr75
	v_mul_f64 v[78:79], v[78:79], v[80:81]
	v_xor_b32_e32 v81, 0x80000000, v81
.LBB35_68:
	s_andn2_saveexec_b64 s[2:3], s[2:3]
	s_cbranch_execz .LBB35_70
; %bb.69:
	v_div_scale_f64 v[78:79], s[6:7], v[74:75], v[74:75], v[76:77]
	v_rcp_f64_e32 v[80:81], v[78:79]
	v_fma_f64 v[82:83], -v[78:79], v[80:81], 1.0
	v_fma_f64 v[80:81], v[80:81], v[82:83], v[80:81]
	v_div_scale_f64 v[82:83], vcc, v[76:77], v[74:75], v[76:77]
	v_fma_f64 v[84:85], -v[78:79], v[80:81], 1.0
	v_fma_f64 v[80:81], v[80:81], v[84:85], v[80:81]
	v_mul_f64 v[84:85], v[82:83], v[80:81]
	v_fma_f64 v[78:79], -v[78:79], v[84:85], v[82:83]
	v_div_fmas_f64 v[78:79], v[78:79], v[80:81], v[84:85]
	v_div_fixup_f64 v[80:81], v[78:79], v[74:75], v[76:77]
	v_fma_f64 v[74:75], v[76:77], v[80:81], v[74:75]
	v_div_scale_f64 v[76:77], s[6:7], v[74:75], v[74:75], 1.0
	v_div_scale_f64 v[84:85], vcc, 1.0, v[74:75], 1.0
	v_rcp_f64_e32 v[78:79], v[76:77]
	v_fma_f64 v[82:83], -v[76:77], v[78:79], 1.0
	v_fma_f64 v[78:79], v[78:79], v[82:83], v[78:79]
	v_fma_f64 v[82:83], -v[76:77], v[78:79], 1.0
	v_fma_f64 v[78:79], v[78:79], v[82:83], v[78:79]
	v_mul_f64 v[82:83], v[84:85], v[78:79]
	v_fma_f64 v[76:77], -v[76:77], v[82:83], v[84:85]
	v_div_fmas_f64 v[76:77], v[76:77], v[78:79], v[82:83]
	v_div_fixup_f64 v[78:79], v[76:77], v[74:75], 1.0
	v_mul_f64 v[80:81], v[80:81], -v[78:79]
.LBB35_70:
	s_or_b64 exec, exec, s[2:3]
	ds_write2_b64 v118, v[78:79], v[80:81] offset1:1
.LBB35_71:
	s_or_b64 exec, exec, s[4:5]
	s_waitcnt lgkmcnt(0)
	s_barrier
	ds_read2_b64 v[50:53], v118 offset1:1
	v_cmp_lt_u32_e32 vcc, 7, v0
	s_waitcnt lgkmcnt(0)
	buffer_store_dword v50, off, s[20:23], 0 offset:288 ; 4-byte Folded Spill
	s_nop 0
	buffer_store_dword v51, off, s[20:23], 0 offset:292 ; 4-byte Folded Spill
	buffer_store_dword v52, off, s[20:23], 0 offset:296 ; 4-byte Folded Spill
	;; [unrolled: 1-line block ×3, first 2 shown]
	s_and_saveexec_b64 s[2:3], vcc
	s_cbranch_execz .LBB35_73
; %bb.72:
	buffer_load_dword v50, off, s[20:23], 0 offset:288 ; 4-byte Folded Reload
	buffer_load_dword v51, off, s[20:23], 0 offset:292 ; 4-byte Folded Reload
	;; [unrolled: 1-line block ×4, first 2 shown]
	ds_read2_b64 v[76:79], v94 offset0:16 offset1:17
	s_waitcnt vmcnt(2)
	v_mul_f64 v[74:75], v[50:51], v[99:100]
	s_waitcnt vmcnt(0)
	v_mul_f64 v[40:41], v[52:53], v[99:100]
	v_fma_f64 v[74:75], v[52:53], v[97:98], v[74:75]
	v_fma_f64 v[97:98], v[50:51], v[97:98], -v[40:41]
	s_waitcnt lgkmcnt(0)
	v_mul_f64 v[40:41], v[78:79], v[74:75]
	v_mov_b32_e32 v100, v75
	v_mov_b32_e32 v99, v74
	v_fma_f64 v[40:41], v[76:77], v[97:98], -v[40:41]
	v_mul_f64 v[76:77], v[76:77], v[74:75]
	v_add_f64 v[34:35], v[34:35], -v[40:41]
	v_fma_f64 v[76:77], v[78:79], v[97:98], v[76:77]
	v_add_f64 v[36:37], v[36:37], -v[76:77]
	ds_read2_b64 v[76:79], v94 offset0:18 offset1:19
	s_waitcnt lgkmcnt(0)
	v_mul_f64 v[40:41], v[78:79], v[74:75]
	v_fma_f64 v[40:41], v[76:77], v[97:98], -v[40:41]
	v_mul_f64 v[76:77], v[76:77], v[74:75]
	v_add_f64 v[30:31], v[30:31], -v[40:41]
	v_fma_f64 v[76:77], v[78:79], v[97:98], v[76:77]
	v_add_f64 v[32:33], v[32:33], -v[76:77]
	ds_read2_b64 v[76:79], v94 offset0:20 offset1:21
	s_waitcnt lgkmcnt(0)
	v_mul_f64 v[40:41], v[78:79], v[74:75]
	;; [unrolled: 8-line block ×6, first 2 shown]
	v_fma_f64 v[40:41], v[76:77], v[97:98], -v[40:41]
	v_mul_f64 v[76:77], v[76:77], v[74:75]
	v_add_f64 v[10:11], v[10:11], -v[40:41]
	v_fma_f64 v[76:77], v[78:79], v[97:98], v[76:77]
	v_add_f64 v[12:13], v[12:13], -v[76:77]
	ds_read2_b64 v[76:79], v94 offset0:30 offset1:31
	buffer_load_dword v1, off, s[20:23], 0 offset:16 ; 4-byte Folded Reload
	buffer_load_dword v2, off, s[20:23], 0 offset:20 ; 4-byte Folded Reload
	;; [unrolled: 1-line block ×4, first 2 shown]
	s_waitcnt lgkmcnt(0)
	v_mul_f64 v[40:41], v[78:79], v[74:75]
	v_fma_f64 v[40:41], v[76:77], v[97:98], -v[40:41]
	v_mul_f64 v[76:77], v[76:77], v[74:75]
	v_fma_f64 v[76:77], v[78:79], v[97:98], v[76:77]
	s_waitcnt vmcnt(2)
	v_add_f64 v[1:2], v[1:2], -v[40:41]
	s_waitcnt vmcnt(0)
	v_add_f64 v[3:4], v[3:4], -v[76:77]
	buffer_store_dword v1, off, s[20:23], 0 offset:16 ; 4-byte Folded Spill
	s_nop 0
	buffer_store_dword v2, off, s[20:23], 0 offset:20 ; 4-byte Folded Spill
	buffer_store_dword v3, off, s[20:23], 0 offset:24 ; 4-byte Folded Spill
	;; [unrolled: 1-line block ×3, first 2 shown]
	ds_read2_b64 v[76:79], v94 offset0:32 offset1:33
	buffer_load_dword v1, off, s[20:23], 0  ; 4-byte Folded Reload
	buffer_load_dword v2, off, s[20:23], 0 offset:4 ; 4-byte Folded Reload
	buffer_load_dword v3, off, s[20:23], 0 offset:8 ; 4-byte Folded Reload
	;; [unrolled: 1-line block ×3, first 2 shown]
	s_waitcnt lgkmcnt(0)
	v_mul_f64 v[40:41], v[78:79], v[74:75]
	v_fma_f64 v[40:41], v[76:77], v[97:98], -v[40:41]
	v_mul_f64 v[76:77], v[76:77], v[74:75]
	v_fma_f64 v[76:77], v[78:79], v[97:98], v[76:77]
	s_waitcnt vmcnt(2)
	v_add_f64 v[1:2], v[1:2], -v[40:41]
	s_waitcnt vmcnt(0)
	v_add_f64 v[3:4], v[3:4], -v[76:77]
	buffer_store_dword v1, off, s[20:23], 0 ; 4-byte Folded Spill
	s_nop 0
	buffer_store_dword v2, off, s[20:23], 0 offset:4 ; 4-byte Folded Spill
	buffer_store_dword v3, off, s[20:23], 0 offset:8 ; 4-byte Folded Spill
	;; [unrolled: 1-line block ×3, first 2 shown]
	ds_read2_b64 v[76:79], v94 offset0:34 offset1:35
	s_waitcnt lgkmcnt(0)
	v_mul_f64 v[40:41], v[78:79], v[74:75]
	v_fma_f64 v[40:41], v[76:77], v[97:98], -v[40:41]
	v_mul_f64 v[76:77], v[76:77], v[74:75]
	v_add_f64 v[46:47], v[46:47], -v[40:41]
	v_fma_f64 v[76:77], v[78:79], v[97:98], v[76:77]
	v_add_f64 v[48:49], v[48:49], -v[76:77]
.LBB35_73:
	s_or_b64 exec, exec, s[2:3]
	v_cmp_eq_u32_e32 vcc, 8, v0
	s_waitcnt vmcnt(0)
	s_barrier
	s_and_saveexec_b64 s[4:5], vcc
	s_cbranch_execz .LBB35_80
; %bb.74:
	ds_write2_b64 v118, v[34:35], v[36:37] offset1:1
	ds_write2_b64 v94, v[30:31], v[32:33] offset0:18 offset1:19
	ds_write2_b64 v94, v[26:27], v[28:29] offset0:20 offset1:21
	;; [unrolled: 1-line block ×6, first 2 shown]
	buffer_load_dword v1, off, s[20:23], 0 offset:16 ; 4-byte Folded Reload
	buffer_load_dword v2, off, s[20:23], 0 offset:20 ; 4-byte Folded Reload
	;; [unrolled: 1-line block ×4, first 2 shown]
	s_waitcnt vmcnt(0)
	ds_write2_b64 v94, v[1:2], v[3:4] offset0:30 offset1:31
	buffer_load_dword v1, off, s[20:23], 0  ; 4-byte Folded Reload
	buffer_load_dword v2, off, s[20:23], 0 offset:4 ; 4-byte Folded Reload
	buffer_load_dword v3, off, s[20:23], 0 offset:8 ; 4-byte Folded Reload
	;; [unrolled: 1-line block ×3, first 2 shown]
	s_waitcnt vmcnt(0)
	ds_write2_b64 v94, v[1:2], v[3:4] offset0:32 offset1:33
	ds_write2_b64 v94, v[46:47], v[48:49] offset0:34 offset1:35
	ds_read2_b64 v[74:77], v118 offset1:1
	s_waitcnt lgkmcnt(0)
	v_cmp_neq_f64_e32 vcc, 0, v[74:75]
	v_cmp_neq_f64_e64 s[2:3], 0, v[76:77]
	s_or_b64 s[2:3], vcc, s[2:3]
	s_and_b64 exec, exec, s[2:3]
	s_cbranch_execz .LBB35_80
; %bb.75:
	v_cmp_ngt_f64_e64 s[2:3], |v[74:75]|, |v[76:77]|
                                        ; implicit-def: $vgpr78_vgpr79
	s_and_saveexec_b64 s[6:7], s[2:3]
	s_xor_b64 s[2:3], exec, s[6:7]
                                        ; implicit-def: $vgpr80_vgpr81
	s_cbranch_execz .LBB35_77
; %bb.76:
	v_div_scale_f64 v[78:79], s[6:7], v[76:77], v[76:77], v[74:75]
	v_rcp_f64_e32 v[80:81], v[78:79]
	v_fma_f64 v[82:83], -v[78:79], v[80:81], 1.0
	v_fma_f64 v[80:81], v[80:81], v[82:83], v[80:81]
	v_div_scale_f64 v[82:83], vcc, v[74:75], v[76:77], v[74:75]
	v_fma_f64 v[84:85], -v[78:79], v[80:81], 1.0
	v_fma_f64 v[80:81], v[80:81], v[84:85], v[80:81]
	v_mul_f64 v[84:85], v[82:83], v[80:81]
	v_fma_f64 v[78:79], -v[78:79], v[84:85], v[82:83]
	v_div_fmas_f64 v[78:79], v[78:79], v[80:81], v[84:85]
	v_div_fixup_f64 v[78:79], v[78:79], v[76:77], v[74:75]
	v_fma_f64 v[74:75], v[74:75], v[78:79], v[76:77]
	v_div_scale_f64 v[76:77], s[6:7], v[74:75], v[74:75], 1.0
	v_div_scale_f64 v[84:85], vcc, 1.0, v[74:75], 1.0
	v_rcp_f64_e32 v[80:81], v[76:77]
	v_fma_f64 v[82:83], -v[76:77], v[80:81], 1.0
	v_fma_f64 v[80:81], v[80:81], v[82:83], v[80:81]
	v_fma_f64 v[82:83], -v[76:77], v[80:81], 1.0
	v_fma_f64 v[80:81], v[80:81], v[82:83], v[80:81]
	v_mul_f64 v[82:83], v[84:85], v[80:81]
	v_fma_f64 v[76:77], -v[76:77], v[82:83], v[84:85]
	v_div_fmas_f64 v[76:77], v[76:77], v[80:81], v[82:83]
	v_div_fixup_f64 v[80:81], v[76:77], v[74:75], 1.0
                                        ; implicit-def: $vgpr74_vgpr75
	v_mul_f64 v[78:79], v[78:79], v[80:81]
	v_xor_b32_e32 v81, 0x80000000, v81
.LBB35_77:
	s_andn2_saveexec_b64 s[2:3], s[2:3]
	s_cbranch_execz .LBB35_79
; %bb.78:
	v_div_scale_f64 v[78:79], s[6:7], v[74:75], v[74:75], v[76:77]
	v_rcp_f64_e32 v[80:81], v[78:79]
	v_fma_f64 v[82:83], -v[78:79], v[80:81], 1.0
	v_fma_f64 v[80:81], v[80:81], v[82:83], v[80:81]
	v_div_scale_f64 v[82:83], vcc, v[76:77], v[74:75], v[76:77]
	v_fma_f64 v[84:85], -v[78:79], v[80:81], 1.0
	v_fma_f64 v[80:81], v[80:81], v[84:85], v[80:81]
	v_mul_f64 v[84:85], v[82:83], v[80:81]
	v_fma_f64 v[78:79], -v[78:79], v[84:85], v[82:83]
	v_div_fmas_f64 v[78:79], v[78:79], v[80:81], v[84:85]
	v_div_fixup_f64 v[80:81], v[78:79], v[74:75], v[76:77]
	v_fma_f64 v[74:75], v[76:77], v[80:81], v[74:75]
	v_div_scale_f64 v[76:77], s[6:7], v[74:75], v[74:75], 1.0
	v_div_scale_f64 v[84:85], vcc, 1.0, v[74:75], 1.0
	v_rcp_f64_e32 v[78:79], v[76:77]
	v_fma_f64 v[82:83], -v[76:77], v[78:79], 1.0
	v_fma_f64 v[78:79], v[78:79], v[82:83], v[78:79]
	v_fma_f64 v[82:83], -v[76:77], v[78:79], 1.0
	v_fma_f64 v[78:79], v[78:79], v[82:83], v[78:79]
	v_mul_f64 v[82:83], v[84:85], v[78:79]
	v_fma_f64 v[76:77], -v[76:77], v[82:83], v[84:85]
	v_div_fmas_f64 v[76:77], v[76:77], v[78:79], v[82:83]
	v_div_fixup_f64 v[78:79], v[76:77], v[74:75], 1.0
	v_mul_f64 v[80:81], v[80:81], -v[78:79]
.LBB35_79:
	s_or_b64 exec, exec, s[2:3]
	ds_write2_b64 v118, v[78:79], v[80:81] offset1:1
.LBB35_80:
	s_or_b64 exec, exec, s[4:5]
	s_waitcnt lgkmcnt(0)
	s_barrier
	ds_read2_b64 v[106:109], v118 offset1:1
	v_cmp_lt_u32_e32 vcc, 8, v0
	s_and_saveexec_b64 s[2:3], vcc
	s_cbranch_execz .LBB35_82
; %bb.81:
	s_waitcnt lgkmcnt(0)
	v_mul_f64 v[74:75], v[106:107], v[36:37]
	v_mul_f64 v[36:37], v[108:109], v[36:37]
	ds_read2_b64 v[76:79], v94 offset0:18 offset1:19
	v_fma_f64 v[74:75], v[108:109], v[34:35], v[74:75]
	v_fma_f64 v[34:35], v[106:107], v[34:35], -v[36:37]
	s_waitcnt lgkmcnt(0)
	v_mul_f64 v[36:37], v[78:79], v[74:75]
	v_fma_f64 v[36:37], v[76:77], v[34:35], -v[36:37]
	v_mul_f64 v[76:77], v[76:77], v[74:75]
	v_add_f64 v[30:31], v[30:31], -v[36:37]
	v_fma_f64 v[76:77], v[78:79], v[34:35], v[76:77]
	v_add_f64 v[32:33], v[32:33], -v[76:77]
	ds_read2_b64 v[76:79], v94 offset0:20 offset1:21
	s_waitcnt lgkmcnt(0)
	v_mul_f64 v[36:37], v[78:79], v[74:75]
	v_fma_f64 v[36:37], v[76:77], v[34:35], -v[36:37]
	v_mul_f64 v[76:77], v[76:77], v[74:75]
	v_add_f64 v[26:27], v[26:27], -v[36:37]
	v_fma_f64 v[76:77], v[78:79], v[34:35], v[76:77]
	v_add_f64 v[28:29], v[28:29], -v[76:77]
	ds_read2_b64 v[76:79], v94 offset0:22 offset1:23
	;; [unrolled: 8-line block ×6, first 2 shown]
	buffer_load_dword v1, off, s[20:23], 0 offset:16 ; 4-byte Folded Reload
	buffer_load_dword v2, off, s[20:23], 0 offset:20 ; 4-byte Folded Reload
	;; [unrolled: 1-line block ×4, first 2 shown]
	s_waitcnt lgkmcnt(0)
	v_mul_f64 v[36:37], v[78:79], v[74:75]
	v_fma_f64 v[36:37], v[76:77], v[34:35], -v[36:37]
	v_mul_f64 v[76:77], v[76:77], v[74:75]
	v_fma_f64 v[76:77], v[78:79], v[34:35], v[76:77]
	s_waitcnt vmcnt(2)
	v_add_f64 v[1:2], v[1:2], -v[36:37]
	s_waitcnt vmcnt(0)
	v_add_f64 v[3:4], v[3:4], -v[76:77]
	buffer_store_dword v1, off, s[20:23], 0 offset:16 ; 4-byte Folded Spill
	s_nop 0
	buffer_store_dword v2, off, s[20:23], 0 offset:20 ; 4-byte Folded Spill
	buffer_store_dword v3, off, s[20:23], 0 offset:24 ; 4-byte Folded Spill
	;; [unrolled: 1-line block ×3, first 2 shown]
	ds_read2_b64 v[76:79], v94 offset0:32 offset1:33
	buffer_load_dword v1, off, s[20:23], 0  ; 4-byte Folded Reload
	buffer_load_dword v2, off, s[20:23], 0 offset:4 ; 4-byte Folded Reload
	buffer_load_dword v3, off, s[20:23], 0 offset:8 ; 4-byte Folded Reload
	;; [unrolled: 1-line block ×3, first 2 shown]
	s_waitcnt lgkmcnt(0)
	v_mul_f64 v[36:37], v[78:79], v[74:75]
	v_fma_f64 v[36:37], v[76:77], v[34:35], -v[36:37]
	v_mul_f64 v[76:77], v[76:77], v[74:75]
	v_fma_f64 v[76:77], v[78:79], v[34:35], v[76:77]
	s_waitcnt vmcnt(2)
	v_add_f64 v[1:2], v[1:2], -v[36:37]
	s_waitcnt vmcnt(0)
	v_add_f64 v[3:4], v[3:4], -v[76:77]
	buffer_store_dword v1, off, s[20:23], 0 ; 4-byte Folded Spill
	s_nop 0
	buffer_store_dword v2, off, s[20:23], 0 offset:4 ; 4-byte Folded Spill
	buffer_store_dword v3, off, s[20:23], 0 offset:8 ; 4-byte Folded Spill
	;; [unrolled: 1-line block ×3, first 2 shown]
	ds_read2_b64 v[76:79], v94 offset0:34 offset1:35
	s_waitcnt lgkmcnt(0)
	v_mul_f64 v[36:37], v[78:79], v[74:75]
	v_fma_f64 v[36:37], v[76:77], v[34:35], -v[36:37]
	v_mul_f64 v[76:77], v[76:77], v[74:75]
	v_add_f64 v[46:47], v[46:47], -v[36:37]
	v_fma_f64 v[76:77], v[78:79], v[34:35], v[76:77]
	v_mov_b32_e32 v36, v74
	v_mov_b32_e32 v37, v75
	v_add_f64 v[48:49], v[48:49], -v[76:77]
.LBB35_82:
	s_or_b64 exec, exec, s[2:3]
	v_cmp_eq_u32_e32 vcc, 9, v0
	s_waitcnt vmcnt(0) lgkmcnt(0)
	s_barrier
	s_and_saveexec_b64 s[4:5], vcc
	s_cbranch_execz .LBB35_89
; %bb.83:
	ds_write2_b64 v118, v[30:31], v[32:33] offset1:1
	ds_write2_b64 v94, v[26:27], v[28:29] offset0:20 offset1:21
	ds_write2_b64 v94, v[22:23], v[24:25] offset0:22 offset1:23
	;; [unrolled: 1-line block ×5, first 2 shown]
	buffer_load_dword v1, off, s[20:23], 0 offset:16 ; 4-byte Folded Reload
	buffer_load_dword v2, off, s[20:23], 0 offset:20 ; 4-byte Folded Reload
	;; [unrolled: 1-line block ×4, first 2 shown]
	s_waitcnt vmcnt(0)
	ds_write2_b64 v94, v[1:2], v[3:4] offset0:30 offset1:31
	buffer_load_dword v1, off, s[20:23], 0  ; 4-byte Folded Reload
	buffer_load_dword v2, off, s[20:23], 0 offset:4 ; 4-byte Folded Reload
	buffer_load_dword v3, off, s[20:23], 0 offset:8 ; 4-byte Folded Reload
	;; [unrolled: 1-line block ×3, first 2 shown]
	s_waitcnt vmcnt(0)
	ds_write2_b64 v94, v[1:2], v[3:4] offset0:32 offset1:33
	ds_write2_b64 v94, v[46:47], v[48:49] offset0:34 offset1:35
	ds_read2_b64 v[74:77], v118 offset1:1
	s_waitcnt lgkmcnt(0)
	v_cmp_neq_f64_e32 vcc, 0, v[74:75]
	v_cmp_neq_f64_e64 s[2:3], 0, v[76:77]
	s_or_b64 s[2:3], vcc, s[2:3]
	s_and_b64 exec, exec, s[2:3]
	s_cbranch_execz .LBB35_89
; %bb.84:
	v_cmp_ngt_f64_e64 s[2:3], |v[74:75]|, |v[76:77]|
                                        ; implicit-def: $vgpr78_vgpr79
	s_and_saveexec_b64 s[6:7], s[2:3]
	s_xor_b64 s[2:3], exec, s[6:7]
                                        ; implicit-def: $vgpr80_vgpr81
	s_cbranch_execz .LBB35_86
; %bb.85:
	v_div_scale_f64 v[78:79], s[6:7], v[76:77], v[76:77], v[74:75]
	v_rcp_f64_e32 v[80:81], v[78:79]
	v_fma_f64 v[82:83], -v[78:79], v[80:81], 1.0
	v_fma_f64 v[80:81], v[80:81], v[82:83], v[80:81]
	v_div_scale_f64 v[82:83], vcc, v[74:75], v[76:77], v[74:75]
	v_fma_f64 v[84:85], -v[78:79], v[80:81], 1.0
	v_fma_f64 v[80:81], v[80:81], v[84:85], v[80:81]
	v_mul_f64 v[84:85], v[82:83], v[80:81]
	v_fma_f64 v[78:79], -v[78:79], v[84:85], v[82:83]
	v_div_fmas_f64 v[78:79], v[78:79], v[80:81], v[84:85]
	v_div_fixup_f64 v[78:79], v[78:79], v[76:77], v[74:75]
	v_fma_f64 v[74:75], v[74:75], v[78:79], v[76:77]
	v_div_scale_f64 v[76:77], s[6:7], v[74:75], v[74:75], 1.0
	v_div_scale_f64 v[84:85], vcc, 1.0, v[74:75], 1.0
	v_rcp_f64_e32 v[80:81], v[76:77]
	v_fma_f64 v[82:83], -v[76:77], v[80:81], 1.0
	v_fma_f64 v[80:81], v[80:81], v[82:83], v[80:81]
	v_fma_f64 v[82:83], -v[76:77], v[80:81], 1.0
	v_fma_f64 v[80:81], v[80:81], v[82:83], v[80:81]
	v_mul_f64 v[82:83], v[84:85], v[80:81]
	v_fma_f64 v[76:77], -v[76:77], v[82:83], v[84:85]
	v_div_fmas_f64 v[76:77], v[76:77], v[80:81], v[82:83]
	v_div_fixup_f64 v[80:81], v[76:77], v[74:75], 1.0
                                        ; implicit-def: $vgpr74_vgpr75
	v_mul_f64 v[78:79], v[78:79], v[80:81]
	v_xor_b32_e32 v81, 0x80000000, v81
.LBB35_86:
	s_andn2_saveexec_b64 s[2:3], s[2:3]
	s_cbranch_execz .LBB35_88
; %bb.87:
	v_div_scale_f64 v[78:79], s[6:7], v[74:75], v[74:75], v[76:77]
	v_rcp_f64_e32 v[80:81], v[78:79]
	v_fma_f64 v[82:83], -v[78:79], v[80:81], 1.0
	v_fma_f64 v[80:81], v[80:81], v[82:83], v[80:81]
	v_div_scale_f64 v[82:83], vcc, v[76:77], v[74:75], v[76:77]
	v_fma_f64 v[84:85], -v[78:79], v[80:81], 1.0
	v_fma_f64 v[80:81], v[80:81], v[84:85], v[80:81]
	v_mul_f64 v[84:85], v[82:83], v[80:81]
	v_fma_f64 v[78:79], -v[78:79], v[84:85], v[82:83]
	v_div_fmas_f64 v[78:79], v[78:79], v[80:81], v[84:85]
	v_div_fixup_f64 v[80:81], v[78:79], v[74:75], v[76:77]
	v_fma_f64 v[74:75], v[76:77], v[80:81], v[74:75]
	v_div_scale_f64 v[76:77], s[6:7], v[74:75], v[74:75], 1.0
	v_div_scale_f64 v[84:85], vcc, 1.0, v[74:75], 1.0
	v_rcp_f64_e32 v[78:79], v[76:77]
	v_fma_f64 v[82:83], -v[76:77], v[78:79], 1.0
	v_fma_f64 v[78:79], v[78:79], v[82:83], v[78:79]
	v_fma_f64 v[82:83], -v[76:77], v[78:79], 1.0
	v_fma_f64 v[78:79], v[78:79], v[82:83], v[78:79]
	v_mul_f64 v[82:83], v[84:85], v[78:79]
	v_fma_f64 v[76:77], -v[76:77], v[82:83], v[84:85]
	v_div_fmas_f64 v[76:77], v[76:77], v[78:79], v[82:83]
	v_div_fixup_f64 v[78:79], v[76:77], v[74:75], 1.0
	v_mul_f64 v[80:81], v[80:81], -v[78:79]
.LBB35_88:
	s_or_b64 exec, exec, s[2:3]
	ds_write2_b64 v118, v[78:79], v[80:81] offset1:1
.LBB35_89:
	s_or_b64 exec, exec, s[4:5]
	s_waitcnt lgkmcnt(0)
	s_barrier
	ds_read2_b64 v[68:71], v118 offset1:1
	v_cmp_lt_u32_e32 vcc, 9, v0
	s_and_saveexec_b64 s[2:3], vcc
	s_cbranch_execz .LBB35_91
; %bb.90:
	s_waitcnt lgkmcnt(0)
	v_mul_f64 v[74:75], v[68:69], v[32:33]
	v_mul_f64 v[32:33], v[70:71], v[32:33]
	ds_read2_b64 v[76:79], v94 offset0:20 offset1:21
	v_fma_f64 v[74:75], v[70:71], v[30:31], v[74:75]
	v_fma_f64 v[30:31], v[68:69], v[30:31], -v[32:33]
	s_waitcnt lgkmcnt(0)
	v_mul_f64 v[32:33], v[78:79], v[74:75]
	v_fma_f64 v[32:33], v[76:77], v[30:31], -v[32:33]
	v_mul_f64 v[76:77], v[76:77], v[74:75]
	v_add_f64 v[26:27], v[26:27], -v[32:33]
	v_fma_f64 v[76:77], v[78:79], v[30:31], v[76:77]
	v_add_f64 v[28:29], v[28:29], -v[76:77]
	ds_read2_b64 v[76:79], v94 offset0:22 offset1:23
	s_waitcnt lgkmcnt(0)
	v_mul_f64 v[32:33], v[78:79], v[74:75]
	v_fma_f64 v[32:33], v[76:77], v[30:31], -v[32:33]
	v_mul_f64 v[76:77], v[76:77], v[74:75]
	v_add_f64 v[22:23], v[22:23], -v[32:33]
	v_fma_f64 v[76:77], v[78:79], v[30:31], v[76:77]
	v_add_f64 v[24:25], v[24:25], -v[76:77]
	ds_read2_b64 v[76:79], v94 offset0:24 offset1:25
	;; [unrolled: 8-line block ×5, first 2 shown]
	buffer_load_dword v1, off, s[20:23], 0 offset:16 ; 4-byte Folded Reload
	buffer_load_dword v2, off, s[20:23], 0 offset:20 ; 4-byte Folded Reload
	;; [unrolled: 1-line block ×4, first 2 shown]
	s_waitcnt lgkmcnt(0)
	v_mul_f64 v[32:33], v[78:79], v[74:75]
	v_fma_f64 v[32:33], v[76:77], v[30:31], -v[32:33]
	v_mul_f64 v[76:77], v[76:77], v[74:75]
	v_fma_f64 v[76:77], v[78:79], v[30:31], v[76:77]
	s_waitcnt vmcnt(2)
	v_add_f64 v[1:2], v[1:2], -v[32:33]
	s_waitcnt vmcnt(0)
	v_add_f64 v[3:4], v[3:4], -v[76:77]
	buffer_store_dword v1, off, s[20:23], 0 offset:16 ; 4-byte Folded Spill
	s_nop 0
	buffer_store_dword v2, off, s[20:23], 0 offset:20 ; 4-byte Folded Spill
	buffer_store_dword v3, off, s[20:23], 0 offset:24 ; 4-byte Folded Spill
	;; [unrolled: 1-line block ×3, first 2 shown]
	ds_read2_b64 v[76:79], v94 offset0:32 offset1:33
	buffer_load_dword v1, off, s[20:23], 0  ; 4-byte Folded Reload
	buffer_load_dword v2, off, s[20:23], 0 offset:4 ; 4-byte Folded Reload
	buffer_load_dword v3, off, s[20:23], 0 offset:8 ; 4-byte Folded Reload
	;; [unrolled: 1-line block ×3, first 2 shown]
	s_waitcnt lgkmcnt(0)
	v_mul_f64 v[32:33], v[78:79], v[74:75]
	v_fma_f64 v[32:33], v[76:77], v[30:31], -v[32:33]
	v_mul_f64 v[76:77], v[76:77], v[74:75]
	v_fma_f64 v[76:77], v[78:79], v[30:31], v[76:77]
	s_waitcnt vmcnt(2)
	v_add_f64 v[1:2], v[1:2], -v[32:33]
	s_waitcnt vmcnt(0)
	v_add_f64 v[3:4], v[3:4], -v[76:77]
	buffer_store_dword v1, off, s[20:23], 0 ; 4-byte Folded Spill
	s_nop 0
	buffer_store_dword v2, off, s[20:23], 0 offset:4 ; 4-byte Folded Spill
	buffer_store_dword v3, off, s[20:23], 0 offset:8 ; 4-byte Folded Spill
	;; [unrolled: 1-line block ×3, first 2 shown]
	ds_read2_b64 v[76:79], v94 offset0:34 offset1:35
	s_waitcnt lgkmcnt(0)
	v_mul_f64 v[32:33], v[78:79], v[74:75]
	v_fma_f64 v[32:33], v[76:77], v[30:31], -v[32:33]
	v_mul_f64 v[76:77], v[76:77], v[74:75]
	v_add_f64 v[46:47], v[46:47], -v[32:33]
	v_fma_f64 v[76:77], v[78:79], v[30:31], v[76:77]
	v_mov_b32_e32 v32, v74
	v_mov_b32_e32 v33, v75
	v_add_f64 v[48:49], v[48:49], -v[76:77]
.LBB35_91:
	s_or_b64 exec, exec, s[2:3]
	v_cmp_eq_u32_e32 vcc, 10, v0
	s_waitcnt vmcnt(0) lgkmcnt(0)
	s_barrier
	s_and_saveexec_b64 s[4:5], vcc
	s_cbranch_execz .LBB35_98
; %bb.92:
	ds_write2_b64 v118, v[26:27], v[28:29] offset1:1
	ds_write2_b64 v94, v[22:23], v[24:25] offset0:22 offset1:23
	ds_write2_b64 v94, v[18:19], v[20:21] offset0:24 offset1:25
	;; [unrolled: 1-line block ×4, first 2 shown]
	buffer_load_dword v1, off, s[20:23], 0 offset:16 ; 4-byte Folded Reload
	buffer_load_dword v2, off, s[20:23], 0 offset:20 ; 4-byte Folded Reload
	;; [unrolled: 1-line block ×4, first 2 shown]
	s_waitcnt vmcnt(0)
	ds_write2_b64 v94, v[1:2], v[3:4] offset0:30 offset1:31
	buffer_load_dword v1, off, s[20:23], 0  ; 4-byte Folded Reload
	buffer_load_dword v2, off, s[20:23], 0 offset:4 ; 4-byte Folded Reload
	buffer_load_dword v3, off, s[20:23], 0 offset:8 ; 4-byte Folded Reload
	;; [unrolled: 1-line block ×3, first 2 shown]
	s_waitcnt vmcnt(0)
	ds_write2_b64 v94, v[1:2], v[3:4] offset0:32 offset1:33
	ds_write2_b64 v94, v[46:47], v[48:49] offset0:34 offset1:35
	ds_read2_b64 v[74:77], v118 offset1:1
	s_waitcnt lgkmcnt(0)
	v_cmp_neq_f64_e32 vcc, 0, v[74:75]
	v_cmp_neq_f64_e64 s[2:3], 0, v[76:77]
	s_or_b64 s[2:3], vcc, s[2:3]
	s_and_b64 exec, exec, s[2:3]
	s_cbranch_execz .LBB35_98
; %bb.93:
	v_cmp_ngt_f64_e64 s[2:3], |v[74:75]|, |v[76:77]|
                                        ; implicit-def: $vgpr78_vgpr79
	s_and_saveexec_b64 s[6:7], s[2:3]
	s_xor_b64 s[2:3], exec, s[6:7]
                                        ; implicit-def: $vgpr80_vgpr81
	s_cbranch_execz .LBB35_95
; %bb.94:
	v_div_scale_f64 v[78:79], s[6:7], v[76:77], v[76:77], v[74:75]
	v_rcp_f64_e32 v[80:81], v[78:79]
	v_fma_f64 v[82:83], -v[78:79], v[80:81], 1.0
	v_fma_f64 v[80:81], v[80:81], v[82:83], v[80:81]
	v_div_scale_f64 v[82:83], vcc, v[74:75], v[76:77], v[74:75]
	v_fma_f64 v[84:85], -v[78:79], v[80:81], 1.0
	v_fma_f64 v[80:81], v[80:81], v[84:85], v[80:81]
	v_mul_f64 v[84:85], v[82:83], v[80:81]
	v_fma_f64 v[78:79], -v[78:79], v[84:85], v[82:83]
	v_div_fmas_f64 v[78:79], v[78:79], v[80:81], v[84:85]
	v_div_fixup_f64 v[78:79], v[78:79], v[76:77], v[74:75]
	v_fma_f64 v[74:75], v[74:75], v[78:79], v[76:77]
	v_div_scale_f64 v[76:77], s[6:7], v[74:75], v[74:75], 1.0
	v_div_scale_f64 v[84:85], vcc, 1.0, v[74:75], 1.0
	v_rcp_f64_e32 v[80:81], v[76:77]
	v_fma_f64 v[82:83], -v[76:77], v[80:81], 1.0
	v_fma_f64 v[80:81], v[80:81], v[82:83], v[80:81]
	v_fma_f64 v[82:83], -v[76:77], v[80:81], 1.0
	v_fma_f64 v[80:81], v[80:81], v[82:83], v[80:81]
	v_mul_f64 v[82:83], v[84:85], v[80:81]
	v_fma_f64 v[76:77], -v[76:77], v[82:83], v[84:85]
	v_div_fmas_f64 v[76:77], v[76:77], v[80:81], v[82:83]
	v_div_fixup_f64 v[80:81], v[76:77], v[74:75], 1.0
                                        ; implicit-def: $vgpr74_vgpr75
	v_mul_f64 v[78:79], v[78:79], v[80:81]
	v_xor_b32_e32 v81, 0x80000000, v81
.LBB35_95:
	s_andn2_saveexec_b64 s[2:3], s[2:3]
	s_cbranch_execz .LBB35_97
; %bb.96:
	v_div_scale_f64 v[78:79], s[6:7], v[74:75], v[74:75], v[76:77]
	v_rcp_f64_e32 v[80:81], v[78:79]
	v_fma_f64 v[82:83], -v[78:79], v[80:81], 1.0
	v_fma_f64 v[80:81], v[80:81], v[82:83], v[80:81]
	v_div_scale_f64 v[82:83], vcc, v[76:77], v[74:75], v[76:77]
	v_fma_f64 v[84:85], -v[78:79], v[80:81], 1.0
	v_fma_f64 v[80:81], v[80:81], v[84:85], v[80:81]
	v_mul_f64 v[84:85], v[82:83], v[80:81]
	v_fma_f64 v[78:79], -v[78:79], v[84:85], v[82:83]
	v_div_fmas_f64 v[78:79], v[78:79], v[80:81], v[84:85]
	v_div_fixup_f64 v[80:81], v[78:79], v[74:75], v[76:77]
	v_fma_f64 v[74:75], v[76:77], v[80:81], v[74:75]
	v_div_scale_f64 v[76:77], s[6:7], v[74:75], v[74:75], 1.0
	v_div_scale_f64 v[84:85], vcc, 1.0, v[74:75], 1.0
	v_rcp_f64_e32 v[78:79], v[76:77]
	v_fma_f64 v[82:83], -v[76:77], v[78:79], 1.0
	v_fma_f64 v[78:79], v[78:79], v[82:83], v[78:79]
	v_fma_f64 v[82:83], -v[76:77], v[78:79], 1.0
	v_fma_f64 v[78:79], v[78:79], v[82:83], v[78:79]
	v_mul_f64 v[82:83], v[84:85], v[78:79]
	v_fma_f64 v[76:77], -v[76:77], v[82:83], v[84:85]
	v_div_fmas_f64 v[76:77], v[76:77], v[78:79], v[82:83]
	v_div_fixup_f64 v[78:79], v[76:77], v[74:75], 1.0
	v_mul_f64 v[80:81], v[80:81], -v[78:79]
.LBB35_97:
	s_or_b64 exec, exec, s[2:3]
	ds_write2_b64 v118, v[78:79], v[80:81] offset1:1
.LBB35_98:
	s_or_b64 exec, exec, s[4:5]
	s_waitcnt lgkmcnt(0)
	s_barrier
	ds_read2_b64 v[110:113], v118 offset1:1
	v_cmp_lt_u32_e32 vcc, 10, v0
	s_and_saveexec_b64 s[2:3], vcc
	s_cbranch_execz .LBB35_100
; %bb.99:
	s_waitcnt lgkmcnt(0)
	v_mul_f64 v[74:75], v[110:111], v[28:29]
	v_mul_f64 v[28:29], v[112:113], v[28:29]
	ds_read2_b64 v[76:79], v94 offset0:22 offset1:23
	v_fma_f64 v[74:75], v[112:113], v[26:27], v[74:75]
	v_fma_f64 v[26:27], v[110:111], v[26:27], -v[28:29]
	s_waitcnt lgkmcnt(0)
	v_mul_f64 v[28:29], v[78:79], v[74:75]
	v_fma_f64 v[28:29], v[76:77], v[26:27], -v[28:29]
	v_mul_f64 v[76:77], v[76:77], v[74:75]
	v_add_f64 v[22:23], v[22:23], -v[28:29]
	v_fma_f64 v[76:77], v[78:79], v[26:27], v[76:77]
	v_add_f64 v[24:25], v[24:25], -v[76:77]
	ds_read2_b64 v[76:79], v94 offset0:24 offset1:25
	s_waitcnt lgkmcnt(0)
	v_mul_f64 v[28:29], v[78:79], v[74:75]
	v_fma_f64 v[28:29], v[76:77], v[26:27], -v[28:29]
	v_mul_f64 v[76:77], v[76:77], v[74:75]
	v_add_f64 v[18:19], v[18:19], -v[28:29]
	v_fma_f64 v[76:77], v[78:79], v[26:27], v[76:77]
	v_add_f64 v[20:21], v[20:21], -v[76:77]
	ds_read2_b64 v[76:79], v94 offset0:26 offset1:27
	;; [unrolled: 8-line block ×4, first 2 shown]
	buffer_load_dword v1, off, s[20:23], 0 offset:16 ; 4-byte Folded Reload
	buffer_load_dword v2, off, s[20:23], 0 offset:20 ; 4-byte Folded Reload
	;; [unrolled: 1-line block ×4, first 2 shown]
	s_waitcnt lgkmcnt(0)
	v_mul_f64 v[28:29], v[78:79], v[74:75]
	v_fma_f64 v[28:29], v[76:77], v[26:27], -v[28:29]
	v_mul_f64 v[76:77], v[76:77], v[74:75]
	v_fma_f64 v[76:77], v[78:79], v[26:27], v[76:77]
	s_waitcnt vmcnt(2)
	v_add_f64 v[1:2], v[1:2], -v[28:29]
	s_waitcnt vmcnt(0)
	v_add_f64 v[3:4], v[3:4], -v[76:77]
	buffer_store_dword v1, off, s[20:23], 0 offset:16 ; 4-byte Folded Spill
	s_nop 0
	buffer_store_dword v2, off, s[20:23], 0 offset:20 ; 4-byte Folded Spill
	buffer_store_dword v3, off, s[20:23], 0 offset:24 ; 4-byte Folded Spill
	;; [unrolled: 1-line block ×3, first 2 shown]
	ds_read2_b64 v[76:79], v94 offset0:32 offset1:33
	buffer_load_dword v1, off, s[20:23], 0  ; 4-byte Folded Reload
	buffer_load_dword v2, off, s[20:23], 0 offset:4 ; 4-byte Folded Reload
	buffer_load_dword v3, off, s[20:23], 0 offset:8 ; 4-byte Folded Reload
	;; [unrolled: 1-line block ×3, first 2 shown]
	s_waitcnt lgkmcnt(0)
	v_mul_f64 v[28:29], v[78:79], v[74:75]
	v_fma_f64 v[28:29], v[76:77], v[26:27], -v[28:29]
	v_mul_f64 v[76:77], v[76:77], v[74:75]
	v_fma_f64 v[76:77], v[78:79], v[26:27], v[76:77]
	s_waitcnt vmcnt(2)
	v_add_f64 v[1:2], v[1:2], -v[28:29]
	s_waitcnt vmcnt(0)
	v_add_f64 v[3:4], v[3:4], -v[76:77]
	buffer_store_dword v1, off, s[20:23], 0 ; 4-byte Folded Spill
	s_nop 0
	buffer_store_dword v2, off, s[20:23], 0 offset:4 ; 4-byte Folded Spill
	buffer_store_dword v3, off, s[20:23], 0 offset:8 ; 4-byte Folded Spill
	;; [unrolled: 1-line block ×3, first 2 shown]
	ds_read2_b64 v[76:79], v94 offset0:34 offset1:35
	s_waitcnt lgkmcnt(0)
	v_mul_f64 v[28:29], v[78:79], v[74:75]
	v_fma_f64 v[28:29], v[76:77], v[26:27], -v[28:29]
	v_mul_f64 v[76:77], v[76:77], v[74:75]
	v_add_f64 v[46:47], v[46:47], -v[28:29]
	v_fma_f64 v[76:77], v[78:79], v[26:27], v[76:77]
	v_mov_b32_e32 v28, v74
	v_mov_b32_e32 v29, v75
	v_add_f64 v[48:49], v[48:49], -v[76:77]
.LBB35_100:
	s_or_b64 exec, exec, s[2:3]
	v_cmp_eq_u32_e32 vcc, 11, v0
	s_waitcnt vmcnt(0) lgkmcnt(0)
	s_barrier
	s_and_saveexec_b64 s[4:5], vcc
	s_cbranch_execz .LBB35_107
; %bb.101:
	ds_write2_b64 v118, v[22:23], v[24:25] offset1:1
	ds_write2_b64 v94, v[18:19], v[20:21] offset0:24 offset1:25
	ds_write2_b64 v94, v[14:15], v[16:17] offset0:26 offset1:27
	ds_write2_b64 v94, v[10:11], v[12:13] offset0:28 offset1:29
	buffer_load_dword v1, off, s[20:23], 0 offset:16 ; 4-byte Folded Reload
	buffer_load_dword v2, off, s[20:23], 0 offset:20 ; 4-byte Folded Reload
	;; [unrolled: 1-line block ×4, first 2 shown]
	s_waitcnt vmcnt(0)
	ds_write2_b64 v94, v[1:2], v[3:4] offset0:30 offset1:31
	buffer_load_dword v1, off, s[20:23], 0  ; 4-byte Folded Reload
	buffer_load_dword v2, off, s[20:23], 0 offset:4 ; 4-byte Folded Reload
	buffer_load_dword v3, off, s[20:23], 0 offset:8 ; 4-byte Folded Reload
	;; [unrolled: 1-line block ×3, first 2 shown]
	s_waitcnt vmcnt(0)
	ds_write2_b64 v94, v[1:2], v[3:4] offset0:32 offset1:33
	ds_write2_b64 v94, v[46:47], v[48:49] offset0:34 offset1:35
	ds_read2_b64 v[74:77], v118 offset1:1
	s_waitcnt lgkmcnt(0)
	v_cmp_neq_f64_e32 vcc, 0, v[74:75]
	v_cmp_neq_f64_e64 s[2:3], 0, v[76:77]
	s_or_b64 s[2:3], vcc, s[2:3]
	s_and_b64 exec, exec, s[2:3]
	s_cbranch_execz .LBB35_107
; %bb.102:
	v_cmp_ngt_f64_e64 s[2:3], |v[74:75]|, |v[76:77]|
                                        ; implicit-def: $vgpr78_vgpr79
	s_and_saveexec_b64 s[6:7], s[2:3]
	s_xor_b64 s[2:3], exec, s[6:7]
                                        ; implicit-def: $vgpr80_vgpr81
	s_cbranch_execz .LBB35_104
; %bb.103:
	v_div_scale_f64 v[78:79], s[6:7], v[76:77], v[76:77], v[74:75]
	v_rcp_f64_e32 v[80:81], v[78:79]
	v_fma_f64 v[82:83], -v[78:79], v[80:81], 1.0
	v_fma_f64 v[80:81], v[80:81], v[82:83], v[80:81]
	v_div_scale_f64 v[82:83], vcc, v[74:75], v[76:77], v[74:75]
	v_fma_f64 v[84:85], -v[78:79], v[80:81], 1.0
	v_fma_f64 v[80:81], v[80:81], v[84:85], v[80:81]
	v_mul_f64 v[84:85], v[82:83], v[80:81]
	v_fma_f64 v[78:79], -v[78:79], v[84:85], v[82:83]
	v_div_fmas_f64 v[78:79], v[78:79], v[80:81], v[84:85]
	v_div_fixup_f64 v[78:79], v[78:79], v[76:77], v[74:75]
	v_fma_f64 v[74:75], v[74:75], v[78:79], v[76:77]
	v_div_scale_f64 v[76:77], s[6:7], v[74:75], v[74:75], 1.0
	v_div_scale_f64 v[84:85], vcc, 1.0, v[74:75], 1.0
	v_rcp_f64_e32 v[80:81], v[76:77]
	v_fma_f64 v[82:83], -v[76:77], v[80:81], 1.0
	v_fma_f64 v[80:81], v[80:81], v[82:83], v[80:81]
	v_fma_f64 v[82:83], -v[76:77], v[80:81], 1.0
	v_fma_f64 v[80:81], v[80:81], v[82:83], v[80:81]
	v_mul_f64 v[82:83], v[84:85], v[80:81]
	v_fma_f64 v[76:77], -v[76:77], v[82:83], v[84:85]
	v_div_fmas_f64 v[76:77], v[76:77], v[80:81], v[82:83]
	v_div_fixup_f64 v[80:81], v[76:77], v[74:75], 1.0
                                        ; implicit-def: $vgpr74_vgpr75
	v_mul_f64 v[78:79], v[78:79], v[80:81]
	v_xor_b32_e32 v81, 0x80000000, v81
.LBB35_104:
	s_andn2_saveexec_b64 s[2:3], s[2:3]
	s_cbranch_execz .LBB35_106
; %bb.105:
	v_div_scale_f64 v[78:79], s[6:7], v[74:75], v[74:75], v[76:77]
	v_rcp_f64_e32 v[80:81], v[78:79]
	v_fma_f64 v[82:83], -v[78:79], v[80:81], 1.0
	v_fma_f64 v[80:81], v[80:81], v[82:83], v[80:81]
	v_div_scale_f64 v[82:83], vcc, v[76:77], v[74:75], v[76:77]
	v_fma_f64 v[84:85], -v[78:79], v[80:81], 1.0
	v_fma_f64 v[80:81], v[80:81], v[84:85], v[80:81]
	v_mul_f64 v[84:85], v[82:83], v[80:81]
	v_fma_f64 v[78:79], -v[78:79], v[84:85], v[82:83]
	v_div_fmas_f64 v[78:79], v[78:79], v[80:81], v[84:85]
	v_div_fixup_f64 v[80:81], v[78:79], v[74:75], v[76:77]
	v_fma_f64 v[74:75], v[76:77], v[80:81], v[74:75]
	v_div_scale_f64 v[76:77], s[6:7], v[74:75], v[74:75], 1.0
	v_div_scale_f64 v[84:85], vcc, 1.0, v[74:75], 1.0
	v_rcp_f64_e32 v[78:79], v[76:77]
	v_fma_f64 v[82:83], -v[76:77], v[78:79], 1.0
	v_fma_f64 v[78:79], v[78:79], v[82:83], v[78:79]
	v_fma_f64 v[82:83], -v[76:77], v[78:79], 1.0
	v_fma_f64 v[78:79], v[78:79], v[82:83], v[78:79]
	v_mul_f64 v[82:83], v[84:85], v[78:79]
	v_fma_f64 v[76:77], -v[76:77], v[82:83], v[84:85]
	v_div_fmas_f64 v[76:77], v[76:77], v[78:79], v[82:83]
	v_div_fixup_f64 v[78:79], v[76:77], v[74:75], 1.0
	v_mul_f64 v[80:81], v[80:81], -v[78:79]
.LBB35_106:
	s_or_b64 exec, exec, s[2:3]
	ds_write2_b64 v118, v[78:79], v[80:81] offset1:1
.LBB35_107:
	s_or_b64 exec, exec, s[4:5]
	s_waitcnt lgkmcnt(0)
	s_barrier
	ds_read2_b64 v[42:45], v118 offset1:1
	v_cmp_lt_u32_e32 vcc, 11, v0
	s_and_saveexec_b64 s[2:3], vcc
	s_cbranch_execz .LBB35_109
; %bb.108:
	s_waitcnt lgkmcnt(0)
	v_mul_f64 v[74:75], v[42:43], v[24:25]
	v_mul_f64 v[24:25], v[44:45], v[24:25]
	ds_read2_b64 v[76:79], v94 offset0:24 offset1:25
	v_fma_f64 v[74:75], v[44:45], v[22:23], v[74:75]
	v_fma_f64 v[22:23], v[42:43], v[22:23], -v[24:25]
	s_waitcnt lgkmcnt(0)
	v_mul_f64 v[24:25], v[78:79], v[74:75]
	v_fma_f64 v[24:25], v[76:77], v[22:23], -v[24:25]
	v_mul_f64 v[76:77], v[76:77], v[74:75]
	v_add_f64 v[18:19], v[18:19], -v[24:25]
	v_fma_f64 v[76:77], v[78:79], v[22:23], v[76:77]
	v_add_f64 v[20:21], v[20:21], -v[76:77]
	ds_read2_b64 v[76:79], v94 offset0:26 offset1:27
	s_waitcnt lgkmcnt(0)
	v_mul_f64 v[24:25], v[78:79], v[74:75]
	v_fma_f64 v[24:25], v[76:77], v[22:23], -v[24:25]
	v_mul_f64 v[76:77], v[76:77], v[74:75]
	v_add_f64 v[14:15], v[14:15], -v[24:25]
	v_fma_f64 v[76:77], v[78:79], v[22:23], v[76:77]
	v_add_f64 v[16:17], v[16:17], -v[76:77]
	ds_read2_b64 v[76:79], v94 offset0:28 offset1:29
	;; [unrolled: 8-line block ×3, first 2 shown]
	buffer_load_dword v1, off, s[20:23], 0 offset:16 ; 4-byte Folded Reload
	buffer_load_dword v2, off, s[20:23], 0 offset:20 ; 4-byte Folded Reload
	;; [unrolled: 1-line block ×4, first 2 shown]
	s_waitcnt lgkmcnt(0)
	v_mul_f64 v[24:25], v[78:79], v[74:75]
	v_fma_f64 v[24:25], v[76:77], v[22:23], -v[24:25]
	v_mul_f64 v[76:77], v[76:77], v[74:75]
	v_fma_f64 v[76:77], v[78:79], v[22:23], v[76:77]
	s_waitcnt vmcnt(2)
	v_add_f64 v[1:2], v[1:2], -v[24:25]
	s_waitcnt vmcnt(0)
	v_add_f64 v[3:4], v[3:4], -v[76:77]
	buffer_store_dword v1, off, s[20:23], 0 offset:16 ; 4-byte Folded Spill
	s_nop 0
	buffer_store_dword v2, off, s[20:23], 0 offset:20 ; 4-byte Folded Spill
	buffer_store_dword v3, off, s[20:23], 0 offset:24 ; 4-byte Folded Spill
	;; [unrolled: 1-line block ×3, first 2 shown]
	ds_read2_b64 v[76:79], v94 offset0:32 offset1:33
	buffer_load_dword v1, off, s[20:23], 0  ; 4-byte Folded Reload
	buffer_load_dword v2, off, s[20:23], 0 offset:4 ; 4-byte Folded Reload
	buffer_load_dword v3, off, s[20:23], 0 offset:8 ; 4-byte Folded Reload
	;; [unrolled: 1-line block ×3, first 2 shown]
	s_waitcnt lgkmcnt(0)
	v_mul_f64 v[24:25], v[78:79], v[74:75]
	v_fma_f64 v[24:25], v[76:77], v[22:23], -v[24:25]
	v_mul_f64 v[76:77], v[76:77], v[74:75]
	v_fma_f64 v[76:77], v[78:79], v[22:23], v[76:77]
	s_waitcnt vmcnt(2)
	v_add_f64 v[1:2], v[1:2], -v[24:25]
	s_waitcnt vmcnt(0)
	v_add_f64 v[3:4], v[3:4], -v[76:77]
	buffer_store_dword v1, off, s[20:23], 0 ; 4-byte Folded Spill
	s_nop 0
	buffer_store_dword v2, off, s[20:23], 0 offset:4 ; 4-byte Folded Spill
	buffer_store_dword v3, off, s[20:23], 0 offset:8 ; 4-byte Folded Spill
	buffer_store_dword v4, off, s[20:23], 0 offset:12 ; 4-byte Folded Spill
	ds_read2_b64 v[76:79], v94 offset0:34 offset1:35
	s_waitcnt lgkmcnt(0)
	v_mul_f64 v[24:25], v[78:79], v[74:75]
	v_fma_f64 v[24:25], v[76:77], v[22:23], -v[24:25]
	v_mul_f64 v[76:77], v[76:77], v[74:75]
	v_add_f64 v[46:47], v[46:47], -v[24:25]
	v_fma_f64 v[76:77], v[78:79], v[22:23], v[76:77]
	v_mov_b32_e32 v24, v74
	v_mov_b32_e32 v25, v75
	v_add_f64 v[48:49], v[48:49], -v[76:77]
.LBB35_109:
	s_or_b64 exec, exec, s[2:3]
	v_cmp_eq_u32_e32 vcc, 12, v0
	s_waitcnt vmcnt(0) lgkmcnt(0)
	s_barrier
	s_and_saveexec_b64 s[4:5], vcc
	s_cbranch_execz .LBB35_116
; %bb.110:
	ds_write2_b64 v118, v[18:19], v[20:21] offset1:1
	ds_write2_b64 v94, v[14:15], v[16:17] offset0:26 offset1:27
	ds_write2_b64 v94, v[10:11], v[12:13] offset0:28 offset1:29
	buffer_load_dword v1, off, s[20:23], 0 offset:16 ; 4-byte Folded Reload
	buffer_load_dword v2, off, s[20:23], 0 offset:20 ; 4-byte Folded Reload
	;; [unrolled: 1-line block ×4, first 2 shown]
	s_waitcnt vmcnt(0)
	ds_write2_b64 v94, v[1:2], v[3:4] offset0:30 offset1:31
	buffer_load_dword v1, off, s[20:23], 0  ; 4-byte Folded Reload
	buffer_load_dword v2, off, s[20:23], 0 offset:4 ; 4-byte Folded Reload
	buffer_load_dword v3, off, s[20:23], 0 offset:8 ; 4-byte Folded Reload
	;; [unrolled: 1-line block ×3, first 2 shown]
	s_waitcnt vmcnt(0)
	ds_write2_b64 v94, v[1:2], v[3:4] offset0:32 offset1:33
	ds_write2_b64 v94, v[46:47], v[48:49] offset0:34 offset1:35
	ds_read2_b64 v[74:77], v118 offset1:1
	s_waitcnt lgkmcnt(0)
	v_cmp_neq_f64_e32 vcc, 0, v[74:75]
	v_cmp_neq_f64_e64 s[2:3], 0, v[76:77]
	s_or_b64 s[2:3], vcc, s[2:3]
	s_and_b64 exec, exec, s[2:3]
	s_cbranch_execz .LBB35_116
; %bb.111:
	v_cmp_ngt_f64_e64 s[2:3], |v[74:75]|, |v[76:77]|
                                        ; implicit-def: $vgpr78_vgpr79
	s_and_saveexec_b64 s[6:7], s[2:3]
	s_xor_b64 s[2:3], exec, s[6:7]
                                        ; implicit-def: $vgpr80_vgpr81
	s_cbranch_execz .LBB35_113
; %bb.112:
	v_div_scale_f64 v[78:79], s[6:7], v[76:77], v[76:77], v[74:75]
	v_rcp_f64_e32 v[80:81], v[78:79]
	v_fma_f64 v[82:83], -v[78:79], v[80:81], 1.0
	v_fma_f64 v[80:81], v[80:81], v[82:83], v[80:81]
	v_div_scale_f64 v[82:83], vcc, v[74:75], v[76:77], v[74:75]
	v_fma_f64 v[84:85], -v[78:79], v[80:81], 1.0
	v_fma_f64 v[80:81], v[80:81], v[84:85], v[80:81]
	v_mul_f64 v[84:85], v[82:83], v[80:81]
	v_fma_f64 v[78:79], -v[78:79], v[84:85], v[82:83]
	v_div_fmas_f64 v[78:79], v[78:79], v[80:81], v[84:85]
	v_div_fixup_f64 v[78:79], v[78:79], v[76:77], v[74:75]
	v_fma_f64 v[74:75], v[74:75], v[78:79], v[76:77]
	v_div_scale_f64 v[76:77], s[6:7], v[74:75], v[74:75], 1.0
	v_div_scale_f64 v[84:85], vcc, 1.0, v[74:75], 1.0
	v_rcp_f64_e32 v[80:81], v[76:77]
	v_fma_f64 v[82:83], -v[76:77], v[80:81], 1.0
	v_fma_f64 v[80:81], v[80:81], v[82:83], v[80:81]
	v_fma_f64 v[82:83], -v[76:77], v[80:81], 1.0
	v_fma_f64 v[80:81], v[80:81], v[82:83], v[80:81]
	v_mul_f64 v[82:83], v[84:85], v[80:81]
	v_fma_f64 v[76:77], -v[76:77], v[82:83], v[84:85]
	v_div_fmas_f64 v[76:77], v[76:77], v[80:81], v[82:83]
	v_div_fixup_f64 v[80:81], v[76:77], v[74:75], 1.0
                                        ; implicit-def: $vgpr74_vgpr75
	v_mul_f64 v[78:79], v[78:79], v[80:81]
	v_xor_b32_e32 v81, 0x80000000, v81
.LBB35_113:
	s_andn2_saveexec_b64 s[2:3], s[2:3]
	s_cbranch_execz .LBB35_115
; %bb.114:
	v_div_scale_f64 v[78:79], s[6:7], v[74:75], v[74:75], v[76:77]
	v_rcp_f64_e32 v[80:81], v[78:79]
	v_fma_f64 v[82:83], -v[78:79], v[80:81], 1.0
	v_fma_f64 v[80:81], v[80:81], v[82:83], v[80:81]
	v_div_scale_f64 v[82:83], vcc, v[76:77], v[74:75], v[76:77]
	v_fma_f64 v[84:85], -v[78:79], v[80:81], 1.0
	v_fma_f64 v[80:81], v[80:81], v[84:85], v[80:81]
	v_mul_f64 v[84:85], v[82:83], v[80:81]
	v_fma_f64 v[78:79], -v[78:79], v[84:85], v[82:83]
	v_div_fmas_f64 v[78:79], v[78:79], v[80:81], v[84:85]
	v_div_fixup_f64 v[80:81], v[78:79], v[74:75], v[76:77]
	v_fma_f64 v[74:75], v[76:77], v[80:81], v[74:75]
	v_div_scale_f64 v[76:77], s[6:7], v[74:75], v[74:75], 1.0
	v_div_scale_f64 v[84:85], vcc, 1.0, v[74:75], 1.0
	v_rcp_f64_e32 v[78:79], v[76:77]
	v_fma_f64 v[82:83], -v[76:77], v[78:79], 1.0
	v_fma_f64 v[78:79], v[78:79], v[82:83], v[78:79]
	v_fma_f64 v[82:83], -v[76:77], v[78:79], 1.0
	v_fma_f64 v[78:79], v[78:79], v[82:83], v[78:79]
	v_mul_f64 v[82:83], v[84:85], v[78:79]
	v_fma_f64 v[76:77], -v[76:77], v[82:83], v[84:85]
	v_div_fmas_f64 v[76:77], v[76:77], v[78:79], v[82:83]
	v_div_fixup_f64 v[78:79], v[76:77], v[74:75], 1.0
	v_mul_f64 v[80:81], v[80:81], -v[78:79]
.LBB35_115:
	s_or_b64 exec, exec, s[2:3]
	ds_write2_b64 v118, v[78:79], v[80:81] offset1:1
.LBB35_116:
	s_or_b64 exec, exec, s[4:5]
	s_waitcnt lgkmcnt(0)
	s_barrier
	ds_read2_b64 v[50:53], v118 offset1:1
	v_cmp_lt_u32_e32 vcc, 12, v0
	s_and_saveexec_b64 s[2:3], vcc
	s_cbranch_execz .LBB35_118
; %bb.117:
	s_waitcnt lgkmcnt(0)
	v_mul_f64 v[74:75], v[50:51], v[20:21]
	v_mul_f64 v[20:21], v[52:53], v[20:21]
	v_fma_f64 v[78:79], v[52:53], v[18:19], v[74:75]
	ds_read2_b64 v[74:77], v94 offset0:26 offset1:27
	v_fma_f64 v[18:19], v[50:51], v[18:19], -v[20:21]
	s_waitcnt lgkmcnt(0)
	v_mul_f64 v[20:21], v[76:77], v[78:79]
	v_fma_f64 v[20:21], v[74:75], v[18:19], -v[20:21]
	v_mul_f64 v[74:75], v[74:75], v[78:79]
	v_add_f64 v[14:15], v[14:15], -v[20:21]
	v_fma_f64 v[74:75], v[76:77], v[18:19], v[74:75]
	v_add_f64 v[16:17], v[16:17], -v[74:75]
	ds_read2_b64 v[74:77], v94 offset0:28 offset1:29
	s_waitcnt lgkmcnt(0)
	v_mul_f64 v[20:21], v[76:77], v[78:79]
	v_fma_f64 v[20:21], v[74:75], v[18:19], -v[20:21]
	v_mul_f64 v[74:75], v[74:75], v[78:79]
	v_add_f64 v[10:11], v[10:11], -v[20:21]
	v_fma_f64 v[74:75], v[76:77], v[18:19], v[74:75]
	v_add_f64 v[12:13], v[12:13], -v[74:75]
	ds_read2_b64 v[74:77], v94 offset0:30 offset1:31
	buffer_load_dword v1, off, s[20:23], 0 offset:16 ; 4-byte Folded Reload
	buffer_load_dword v2, off, s[20:23], 0 offset:20 ; 4-byte Folded Reload
	buffer_load_dword v3, off, s[20:23], 0 offset:24 ; 4-byte Folded Reload
	buffer_load_dword v4, off, s[20:23], 0 offset:28 ; 4-byte Folded Reload
	s_waitcnt lgkmcnt(0)
	v_mul_f64 v[20:21], v[76:77], v[78:79]
	v_fma_f64 v[20:21], v[74:75], v[18:19], -v[20:21]
	v_mul_f64 v[74:75], v[74:75], v[78:79]
	v_fma_f64 v[74:75], v[76:77], v[18:19], v[74:75]
	s_waitcnt vmcnt(2)
	v_add_f64 v[1:2], v[1:2], -v[20:21]
	s_waitcnt vmcnt(0)
	v_add_f64 v[3:4], v[3:4], -v[74:75]
	buffer_store_dword v1, off, s[20:23], 0 offset:16 ; 4-byte Folded Spill
	s_nop 0
	buffer_store_dword v2, off, s[20:23], 0 offset:20 ; 4-byte Folded Spill
	buffer_store_dword v3, off, s[20:23], 0 offset:24 ; 4-byte Folded Spill
	;; [unrolled: 1-line block ×3, first 2 shown]
	ds_read2_b64 v[74:77], v94 offset0:32 offset1:33
	buffer_load_dword v1, off, s[20:23], 0  ; 4-byte Folded Reload
	buffer_load_dword v2, off, s[20:23], 0 offset:4 ; 4-byte Folded Reload
	buffer_load_dword v3, off, s[20:23], 0 offset:8 ; 4-byte Folded Reload
	;; [unrolled: 1-line block ×3, first 2 shown]
	s_waitcnt lgkmcnt(0)
	v_mul_f64 v[20:21], v[76:77], v[78:79]
	v_fma_f64 v[20:21], v[74:75], v[18:19], -v[20:21]
	v_mul_f64 v[74:75], v[74:75], v[78:79]
	v_fma_f64 v[74:75], v[76:77], v[18:19], v[74:75]
	s_waitcnt vmcnt(2)
	v_add_f64 v[1:2], v[1:2], -v[20:21]
	s_waitcnt vmcnt(0)
	v_add_f64 v[3:4], v[3:4], -v[74:75]
	buffer_store_dword v1, off, s[20:23], 0 ; 4-byte Folded Spill
	s_nop 0
	buffer_store_dword v2, off, s[20:23], 0 offset:4 ; 4-byte Folded Spill
	buffer_store_dword v3, off, s[20:23], 0 offset:8 ; 4-byte Folded Spill
	;; [unrolled: 1-line block ×3, first 2 shown]
	ds_read2_b64 v[74:77], v94 offset0:34 offset1:35
	s_waitcnt lgkmcnt(0)
	v_mul_f64 v[20:21], v[76:77], v[78:79]
	v_fma_f64 v[20:21], v[74:75], v[18:19], -v[20:21]
	v_mul_f64 v[74:75], v[74:75], v[78:79]
	v_add_f64 v[46:47], v[46:47], -v[20:21]
	v_fma_f64 v[74:75], v[76:77], v[18:19], v[74:75]
	v_mov_b32_e32 v20, v78
	v_mov_b32_e32 v21, v79
	v_add_f64 v[48:49], v[48:49], -v[74:75]
.LBB35_118:
	s_or_b64 exec, exec, s[2:3]
	v_cmp_eq_u32_e32 vcc, 13, v0
	s_waitcnt vmcnt(0) lgkmcnt(0)
	s_barrier
	s_and_saveexec_b64 s[4:5], vcc
	s_cbranch_execz .LBB35_125
; %bb.119:
	ds_write2_b64 v118, v[14:15], v[16:17] offset1:1
	ds_write2_b64 v94, v[10:11], v[12:13] offset0:28 offset1:29
	buffer_load_dword v1, off, s[20:23], 0 offset:16 ; 4-byte Folded Reload
	buffer_load_dword v2, off, s[20:23], 0 offset:20 ; 4-byte Folded Reload
	;; [unrolled: 1-line block ×4, first 2 shown]
	s_waitcnt vmcnt(0)
	ds_write2_b64 v94, v[1:2], v[3:4] offset0:30 offset1:31
	buffer_load_dword v1, off, s[20:23], 0  ; 4-byte Folded Reload
	buffer_load_dword v2, off, s[20:23], 0 offset:4 ; 4-byte Folded Reload
	buffer_load_dword v3, off, s[20:23], 0 offset:8 ; 4-byte Folded Reload
	;; [unrolled: 1-line block ×3, first 2 shown]
	s_waitcnt vmcnt(0)
	ds_write2_b64 v94, v[1:2], v[3:4] offset0:32 offset1:33
	ds_write2_b64 v94, v[46:47], v[48:49] offset0:34 offset1:35
	ds_read2_b64 v[74:77], v118 offset1:1
	s_waitcnt lgkmcnt(0)
	v_cmp_neq_f64_e32 vcc, 0, v[74:75]
	v_cmp_neq_f64_e64 s[2:3], 0, v[76:77]
	s_or_b64 s[2:3], vcc, s[2:3]
	s_and_b64 exec, exec, s[2:3]
	s_cbranch_execz .LBB35_125
; %bb.120:
	v_cmp_ngt_f64_e64 s[2:3], |v[74:75]|, |v[76:77]|
                                        ; implicit-def: $vgpr78_vgpr79
	s_and_saveexec_b64 s[6:7], s[2:3]
	s_xor_b64 s[2:3], exec, s[6:7]
                                        ; implicit-def: $vgpr80_vgpr81
	s_cbranch_execz .LBB35_122
; %bb.121:
	v_div_scale_f64 v[78:79], s[6:7], v[76:77], v[76:77], v[74:75]
	v_rcp_f64_e32 v[80:81], v[78:79]
	v_fma_f64 v[82:83], -v[78:79], v[80:81], 1.0
	v_fma_f64 v[80:81], v[80:81], v[82:83], v[80:81]
	v_div_scale_f64 v[82:83], vcc, v[74:75], v[76:77], v[74:75]
	v_fma_f64 v[84:85], -v[78:79], v[80:81], 1.0
	v_fma_f64 v[80:81], v[80:81], v[84:85], v[80:81]
	v_mul_f64 v[84:85], v[82:83], v[80:81]
	v_fma_f64 v[78:79], -v[78:79], v[84:85], v[82:83]
	v_div_fmas_f64 v[78:79], v[78:79], v[80:81], v[84:85]
	v_div_fixup_f64 v[78:79], v[78:79], v[76:77], v[74:75]
	v_fma_f64 v[74:75], v[74:75], v[78:79], v[76:77]
	v_div_scale_f64 v[76:77], s[6:7], v[74:75], v[74:75], 1.0
	v_div_scale_f64 v[84:85], vcc, 1.0, v[74:75], 1.0
	v_rcp_f64_e32 v[80:81], v[76:77]
	v_fma_f64 v[82:83], -v[76:77], v[80:81], 1.0
	v_fma_f64 v[80:81], v[80:81], v[82:83], v[80:81]
	v_fma_f64 v[82:83], -v[76:77], v[80:81], 1.0
	v_fma_f64 v[80:81], v[80:81], v[82:83], v[80:81]
	v_mul_f64 v[82:83], v[84:85], v[80:81]
	v_fma_f64 v[76:77], -v[76:77], v[82:83], v[84:85]
	v_div_fmas_f64 v[76:77], v[76:77], v[80:81], v[82:83]
	v_div_fixup_f64 v[80:81], v[76:77], v[74:75], 1.0
                                        ; implicit-def: $vgpr74_vgpr75
	v_mul_f64 v[78:79], v[78:79], v[80:81]
	v_xor_b32_e32 v81, 0x80000000, v81
.LBB35_122:
	s_andn2_saveexec_b64 s[2:3], s[2:3]
	s_cbranch_execz .LBB35_124
; %bb.123:
	v_div_scale_f64 v[78:79], s[6:7], v[74:75], v[74:75], v[76:77]
	v_rcp_f64_e32 v[80:81], v[78:79]
	v_fma_f64 v[82:83], -v[78:79], v[80:81], 1.0
	v_fma_f64 v[80:81], v[80:81], v[82:83], v[80:81]
	v_div_scale_f64 v[82:83], vcc, v[76:77], v[74:75], v[76:77]
	v_fma_f64 v[84:85], -v[78:79], v[80:81], 1.0
	v_fma_f64 v[80:81], v[80:81], v[84:85], v[80:81]
	v_mul_f64 v[84:85], v[82:83], v[80:81]
	v_fma_f64 v[78:79], -v[78:79], v[84:85], v[82:83]
	v_div_fmas_f64 v[78:79], v[78:79], v[80:81], v[84:85]
	v_div_fixup_f64 v[80:81], v[78:79], v[74:75], v[76:77]
	v_fma_f64 v[74:75], v[76:77], v[80:81], v[74:75]
	v_div_scale_f64 v[76:77], s[6:7], v[74:75], v[74:75], 1.0
	v_div_scale_f64 v[84:85], vcc, 1.0, v[74:75], 1.0
	v_rcp_f64_e32 v[78:79], v[76:77]
	v_fma_f64 v[82:83], -v[76:77], v[78:79], 1.0
	v_fma_f64 v[78:79], v[78:79], v[82:83], v[78:79]
	v_fma_f64 v[82:83], -v[76:77], v[78:79], 1.0
	v_fma_f64 v[78:79], v[78:79], v[82:83], v[78:79]
	v_mul_f64 v[82:83], v[84:85], v[78:79]
	v_fma_f64 v[76:77], -v[76:77], v[82:83], v[84:85]
	v_div_fmas_f64 v[76:77], v[76:77], v[78:79], v[82:83]
	v_div_fixup_f64 v[78:79], v[76:77], v[74:75], 1.0
	v_mul_f64 v[80:81], v[80:81], -v[78:79]
.LBB35_124:
	s_or_b64 exec, exec, s[2:3]
	ds_write2_b64 v118, v[78:79], v[80:81] offset1:1
.LBB35_125:
	s_or_b64 exec, exec, s[4:5]
	s_waitcnt lgkmcnt(0)
	s_barrier
	ds_read2_b64 v[72:75], v118 offset1:1
	v_cmp_lt_u32_e32 vcc, 13, v0
	s_and_saveexec_b64 s[2:3], vcc
	s_cbranch_execz .LBB35_127
; %bb.126:
	s_waitcnt lgkmcnt(0)
	v_mul_f64 v[78:79], v[72:73], v[16:17]
	v_mul_f64 v[16:17], v[74:75], v[16:17]
	v_fma_f64 v[82:83], v[74:75], v[14:15], v[78:79]
	ds_read2_b64 v[78:81], v94 offset0:28 offset1:29
	v_fma_f64 v[14:15], v[72:73], v[14:15], -v[16:17]
	s_waitcnt lgkmcnt(0)
	v_mul_f64 v[16:17], v[80:81], v[82:83]
	v_fma_f64 v[16:17], v[78:79], v[14:15], -v[16:17]
	v_mul_f64 v[78:79], v[78:79], v[82:83]
	v_add_f64 v[10:11], v[10:11], -v[16:17]
	v_fma_f64 v[78:79], v[80:81], v[14:15], v[78:79]
	v_add_f64 v[12:13], v[12:13], -v[78:79]
	ds_read2_b64 v[78:81], v94 offset0:30 offset1:31
	buffer_load_dword v1, off, s[20:23], 0 offset:16 ; 4-byte Folded Reload
	buffer_load_dword v2, off, s[20:23], 0 offset:20 ; 4-byte Folded Reload
	;; [unrolled: 1-line block ×4, first 2 shown]
	s_waitcnt lgkmcnt(0)
	v_mul_f64 v[16:17], v[80:81], v[82:83]
	v_fma_f64 v[16:17], v[78:79], v[14:15], -v[16:17]
	v_mul_f64 v[78:79], v[78:79], v[82:83]
	v_fma_f64 v[78:79], v[80:81], v[14:15], v[78:79]
	s_waitcnt vmcnt(2)
	v_add_f64 v[1:2], v[1:2], -v[16:17]
	s_waitcnt vmcnt(0)
	v_add_f64 v[3:4], v[3:4], -v[78:79]
	buffer_store_dword v1, off, s[20:23], 0 offset:16 ; 4-byte Folded Spill
	s_nop 0
	buffer_store_dword v2, off, s[20:23], 0 offset:20 ; 4-byte Folded Spill
	buffer_store_dword v3, off, s[20:23], 0 offset:24 ; 4-byte Folded Spill
	;; [unrolled: 1-line block ×3, first 2 shown]
	ds_read2_b64 v[78:81], v94 offset0:32 offset1:33
	buffer_load_dword v1, off, s[20:23], 0  ; 4-byte Folded Reload
	buffer_load_dword v2, off, s[20:23], 0 offset:4 ; 4-byte Folded Reload
	buffer_load_dword v3, off, s[20:23], 0 offset:8 ; 4-byte Folded Reload
	;; [unrolled: 1-line block ×3, first 2 shown]
	s_waitcnt lgkmcnt(0)
	v_mul_f64 v[16:17], v[80:81], v[82:83]
	v_fma_f64 v[16:17], v[78:79], v[14:15], -v[16:17]
	v_mul_f64 v[78:79], v[78:79], v[82:83]
	v_fma_f64 v[78:79], v[80:81], v[14:15], v[78:79]
	s_waitcnt vmcnt(2)
	v_add_f64 v[1:2], v[1:2], -v[16:17]
	s_waitcnt vmcnt(0)
	v_add_f64 v[3:4], v[3:4], -v[78:79]
	buffer_store_dword v1, off, s[20:23], 0 ; 4-byte Folded Spill
	s_nop 0
	buffer_store_dword v2, off, s[20:23], 0 offset:4 ; 4-byte Folded Spill
	buffer_store_dword v3, off, s[20:23], 0 offset:8 ; 4-byte Folded Spill
	;; [unrolled: 1-line block ×3, first 2 shown]
	ds_read2_b64 v[78:81], v94 offset0:34 offset1:35
	s_waitcnt lgkmcnt(0)
	v_mul_f64 v[16:17], v[80:81], v[82:83]
	v_fma_f64 v[16:17], v[78:79], v[14:15], -v[16:17]
	v_mul_f64 v[78:79], v[78:79], v[82:83]
	v_add_f64 v[46:47], v[46:47], -v[16:17]
	v_fma_f64 v[78:79], v[80:81], v[14:15], v[78:79]
	v_mov_b32_e32 v16, v82
	v_mov_b32_e32 v17, v83
	v_add_f64 v[48:49], v[48:49], -v[78:79]
.LBB35_127:
	s_or_b64 exec, exec, s[2:3]
	v_cmp_eq_u32_e32 vcc, 14, v0
	s_waitcnt vmcnt(0) lgkmcnt(0)
	s_barrier
	s_and_saveexec_b64 s[4:5], vcc
	s_cbranch_execz .LBB35_134
; %bb.128:
	ds_write2_b64 v118, v[10:11], v[12:13] offset1:1
	buffer_load_dword v1, off, s[20:23], 0 offset:16 ; 4-byte Folded Reload
	buffer_load_dword v2, off, s[20:23], 0 offset:20 ; 4-byte Folded Reload
	;; [unrolled: 1-line block ×4, first 2 shown]
	s_waitcnt vmcnt(0)
	ds_write2_b64 v94, v[1:2], v[3:4] offset0:30 offset1:31
	buffer_load_dword v1, off, s[20:23], 0  ; 4-byte Folded Reload
	buffer_load_dword v2, off, s[20:23], 0 offset:4 ; 4-byte Folded Reload
	buffer_load_dword v3, off, s[20:23], 0 offset:8 ; 4-byte Folded Reload
	;; [unrolled: 1-line block ×3, first 2 shown]
	s_waitcnt vmcnt(0)
	ds_write2_b64 v94, v[1:2], v[3:4] offset0:32 offset1:33
	ds_write2_b64 v94, v[46:47], v[48:49] offset0:34 offset1:35
	ds_read2_b64 v[78:81], v118 offset1:1
	s_waitcnt lgkmcnt(0)
	v_cmp_neq_f64_e32 vcc, 0, v[78:79]
	v_cmp_neq_f64_e64 s[2:3], 0, v[80:81]
	s_or_b64 s[2:3], vcc, s[2:3]
	s_and_b64 exec, exec, s[2:3]
	s_cbranch_execz .LBB35_134
; %bb.129:
	v_cmp_ngt_f64_e64 s[2:3], |v[78:79]|, |v[80:81]|
                                        ; implicit-def: $vgpr82_vgpr83
	s_and_saveexec_b64 s[6:7], s[2:3]
	s_xor_b64 s[2:3], exec, s[6:7]
                                        ; implicit-def: $vgpr84_vgpr85
	s_cbranch_execz .LBB35_131
; %bb.130:
	v_div_scale_f64 v[82:83], s[6:7], v[80:81], v[80:81], v[78:79]
	v_rcp_f64_e32 v[84:85], v[82:83]
	v_fma_f64 v[86:87], -v[82:83], v[84:85], 1.0
	v_fma_f64 v[84:85], v[84:85], v[86:87], v[84:85]
	v_div_scale_f64 v[86:87], vcc, v[78:79], v[80:81], v[78:79]
	v_fma_f64 v[88:89], -v[82:83], v[84:85], 1.0
	v_fma_f64 v[84:85], v[84:85], v[88:89], v[84:85]
	v_mul_f64 v[88:89], v[86:87], v[84:85]
	v_fma_f64 v[82:83], -v[82:83], v[88:89], v[86:87]
	v_div_fmas_f64 v[82:83], v[82:83], v[84:85], v[88:89]
	v_div_fixup_f64 v[82:83], v[82:83], v[80:81], v[78:79]
	v_fma_f64 v[78:79], v[78:79], v[82:83], v[80:81]
	v_div_scale_f64 v[80:81], s[6:7], v[78:79], v[78:79], 1.0
	v_div_scale_f64 v[88:89], vcc, 1.0, v[78:79], 1.0
	v_rcp_f64_e32 v[84:85], v[80:81]
	v_fma_f64 v[86:87], -v[80:81], v[84:85], 1.0
	v_fma_f64 v[84:85], v[84:85], v[86:87], v[84:85]
	v_fma_f64 v[86:87], -v[80:81], v[84:85], 1.0
	v_fma_f64 v[84:85], v[84:85], v[86:87], v[84:85]
	v_mul_f64 v[86:87], v[88:89], v[84:85]
	v_fma_f64 v[80:81], -v[80:81], v[86:87], v[88:89]
	v_div_fmas_f64 v[80:81], v[80:81], v[84:85], v[86:87]
	v_div_fixup_f64 v[84:85], v[80:81], v[78:79], 1.0
                                        ; implicit-def: $vgpr78_vgpr79
	v_mul_f64 v[82:83], v[82:83], v[84:85]
	v_xor_b32_e32 v85, 0x80000000, v85
.LBB35_131:
	s_andn2_saveexec_b64 s[2:3], s[2:3]
	s_cbranch_execz .LBB35_133
; %bb.132:
	v_div_scale_f64 v[82:83], s[6:7], v[78:79], v[78:79], v[80:81]
	v_rcp_f64_e32 v[84:85], v[82:83]
	v_fma_f64 v[86:87], -v[82:83], v[84:85], 1.0
	v_fma_f64 v[84:85], v[84:85], v[86:87], v[84:85]
	v_div_scale_f64 v[86:87], vcc, v[80:81], v[78:79], v[80:81]
	v_fma_f64 v[88:89], -v[82:83], v[84:85], 1.0
	v_fma_f64 v[84:85], v[84:85], v[88:89], v[84:85]
	v_mul_f64 v[88:89], v[86:87], v[84:85]
	v_fma_f64 v[82:83], -v[82:83], v[88:89], v[86:87]
	v_div_fmas_f64 v[82:83], v[82:83], v[84:85], v[88:89]
	v_div_fixup_f64 v[84:85], v[82:83], v[78:79], v[80:81]
	v_fma_f64 v[78:79], v[80:81], v[84:85], v[78:79]
	v_div_scale_f64 v[80:81], s[6:7], v[78:79], v[78:79], 1.0
	v_div_scale_f64 v[88:89], vcc, 1.0, v[78:79], 1.0
	v_rcp_f64_e32 v[82:83], v[80:81]
	v_fma_f64 v[86:87], -v[80:81], v[82:83], 1.0
	v_fma_f64 v[82:83], v[82:83], v[86:87], v[82:83]
	v_fma_f64 v[86:87], -v[80:81], v[82:83], 1.0
	v_fma_f64 v[82:83], v[82:83], v[86:87], v[82:83]
	v_mul_f64 v[86:87], v[88:89], v[82:83]
	v_fma_f64 v[80:81], -v[80:81], v[86:87], v[88:89]
	v_div_fmas_f64 v[80:81], v[80:81], v[82:83], v[86:87]
	v_div_fixup_f64 v[82:83], v[80:81], v[78:79], 1.0
	v_mul_f64 v[84:85], v[84:85], -v[82:83]
.LBB35_133:
	s_or_b64 exec, exec, s[2:3]
	ds_write2_b64 v118, v[82:83], v[84:85] offset1:1
.LBB35_134:
	s_or_b64 exec, exec, s[4:5]
	s_waitcnt lgkmcnt(0)
	s_barrier
	ds_read2_b64 v[78:81], v118 offset1:1
	v_cmp_lt_u32_e32 vcc, 14, v0
	s_and_saveexec_b64 s[2:3], vcc
	s_cbranch_execz .LBB35_136
; %bb.135:
	s_waitcnt lgkmcnt(0)
	v_mul_f64 v[82:83], v[78:79], v[12:13]
	v_mul_f64 v[12:13], v[80:81], v[12:13]
	v_fma_f64 v[86:87], v[80:81], v[10:11], v[82:83]
	ds_read2_b64 v[82:85], v94 offset0:30 offset1:31
	buffer_load_dword v1, off, s[20:23], 0 offset:16 ; 4-byte Folded Reload
	buffer_load_dword v2, off, s[20:23], 0 offset:20 ; 4-byte Folded Reload
	;; [unrolled: 1-line block ×4, first 2 shown]
	v_fma_f64 v[10:11], v[78:79], v[10:11], -v[12:13]
	s_waitcnt lgkmcnt(0)
	v_mul_f64 v[12:13], v[84:85], v[86:87]
	v_fma_f64 v[12:13], v[82:83], v[10:11], -v[12:13]
	v_mul_f64 v[82:83], v[82:83], v[86:87]
	v_fma_f64 v[82:83], v[84:85], v[10:11], v[82:83]
	s_waitcnt vmcnt(2)
	v_add_f64 v[1:2], v[1:2], -v[12:13]
	s_waitcnt vmcnt(0)
	v_add_f64 v[3:4], v[3:4], -v[82:83]
	buffer_store_dword v1, off, s[20:23], 0 offset:16 ; 4-byte Folded Spill
	s_nop 0
	buffer_store_dword v2, off, s[20:23], 0 offset:20 ; 4-byte Folded Spill
	buffer_store_dword v3, off, s[20:23], 0 offset:24 ; 4-byte Folded Spill
	;; [unrolled: 1-line block ×3, first 2 shown]
	ds_read2_b64 v[82:85], v94 offset0:32 offset1:33
	buffer_load_dword v1, off, s[20:23], 0  ; 4-byte Folded Reload
	buffer_load_dword v2, off, s[20:23], 0 offset:4 ; 4-byte Folded Reload
	buffer_load_dword v3, off, s[20:23], 0 offset:8 ; 4-byte Folded Reload
	;; [unrolled: 1-line block ×3, first 2 shown]
	s_waitcnt lgkmcnt(0)
	v_mul_f64 v[12:13], v[84:85], v[86:87]
	v_fma_f64 v[12:13], v[82:83], v[10:11], -v[12:13]
	v_mul_f64 v[82:83], v[82:83], v[86:87]
	v_fma_f64 v[82:83], v[84:85], v[10:11], v[82:83]
	s_waitcnt vmcnt(2)
	v_add_f64 v[1:2], v[1:2], -v[12:13]
	s_waitcnt vmcnt(0)
	v_add_f64 v[3:4], v[3:4], -v[82:83]
	buffer_store_dword v1, off, s[20:23], 0 ; 4-byte Folded Spill
	s_nop 0
	buffer_store_dword v2, off, s[20:23], 0 offset:4 ; 4-byte Folded Spill
	buffer_store_dword v3, off, s[20:23], 0 offset:8 ; 4-byte Folded Spill
	;; [unrolled: 1-line block ×3, first 2 shown]
	ds_read2_b64 v[82:85], v94 offset0:34 offset1:35
	s_waitcnt lgkmcnt(0)
	v_mul_f64 v[12:13], v[84:85], v[86:87]
	v_fma_f64 v[12:13], v[82:83], v[10:11], -v[12:13]
	v_mul_f64 v[82:83], v[82:83], v[86:87]
	v_add_f64 v[46:47], v[46:47], -v[12:13]
	v_fma_f64 v[82:83], v[84:85], v[10:11], v[82:83]
	v_mov_b32_e32 v12, v86
	v_mov_b32_e32 v13, v87
	v_add_f64 v[48:49], v[48:49], -v[82:83]
.LBB35_136:
	s_or_b64 exec, exec, s[2:3]
	v_cmp_eq_u32_e32 vcc, 15, v0
	s_waitcnt vmcnt(0) lgkmcnt(0)
	s_barrier
	s_and_saveexec_b64 s[4:5], vcc
	s_cbranch_execz .LBB35_143
; %bb.137:
	buffer_load_dword v1, off, s[20:23], 0 offset:16 ; 4-byte Folded Reload
	buffer_load_dword v2, off, s[20:23], 0 offset:20 ; 4-byte Folded Reload
	;; [unrolled: 1-line block ×4, first 2 shown]
	s_waitcnt vmcnt(0)
	ds_write2_b64 v118, v[1:2], v[3:4] offset1:1
	buffer_load_dword v1, off, s[20:23], 0  ; 4-byte Folded Reload
	buffer_load_dword v2, off, s[20:23], 0 offset:4 ; 4-byte Folded Reload
	buffer_load_dword v3, off, s[20:23], 0 offset:8 ; 4-byte Folded Reload
	buffer_load_dword v4, off, s[20:23], 0 offset:12 ; 4-byte Folded Reload
	s_waitcnt vmcnt(0)
	ds_write2_b64 v94, v[1:2], v[3:4] offset0:32 offset1:33
	ds_write2_b64 v94, v[46:47], v[48:49] offset0:34 offset1:35
	ds_read2_b64 v[82:85], v118 offset1:1
	s_waitcnt lgkmcnt(0)
	v_cmp_neq_f64_e32 vcc, 0, v[82:83]
	v_cmp_neq_f64_e64 s[2:3], 0, v[84:85]
	s_or_b64 s[2:3], vcc, s[2:3]
	s_and_b64 exec, exec, s[2:3]
	s_cbranch_execz .LBB35_143
; %bb.138:
	v_cmp_ngt_f64_e64 s[2:3], |v[82:83]|, |v[84:85]|
                                        ; implicit-def: $vgpr86_vgpr87
	s_and_saveexec_b64 s[6:7], s[2:3]
	s_xor_b64 s[2:3], exec, s[6:7]
                                        ; implicit-def: $vgpr88_vgpr89
	s_cbranch_execz .LBB35_140
; %bb.139:
	v_div_scale_f64 v[86:87], s[6:7], v[84:85], v[84:85], v[82:83]
	v_rcp_f64_e32 v[88:89], v[86:87]
	v_fma_f64 v[90:91], -v[86:87], v[88:89], 1.0
	v_fma_f64 v[88:89], v[88:89], v[90:91], v[88:89]
	v_div_scale_f64 v[90:91], vcc, v[82:83], v[84:85], v[82:83]
	v_fma_f64 v[92:93], -v[86:87], v[88:89], 1.0
	v_fma_f64 v[88:89], v[88:89], v[92:93], v[88:89]
	v_mul_f64 v[92:93], v[90:91], v[88:89]
	v_fma_f64 v[86:87], -v[86:87], v[92:93], v[90:91]
	v_div_fmas_f64 v[86:87], v[86:87], v[88:89], v[92:93]
	v_div_fixup_f64 v[86:87], v[86:87], v[84:85], v[82:83]
	v_fma_f64 v[82:83], v[82:83], v[86:87], v[84:85]
	v_div_scale_f64 v[84:85], s[6:7], v[82:83], v[82:83], 1.0
	v_div_scale_f64 v[92:93], vcc, 1.0, v[82:83], 1.0
	v_rcp_f64_e32 v[88:89], v[84:85]
	v_fma_f64 v[90:91], -v[84:85], v[88:89], 1.0
	v_fma_f64 v[88:89], v[88:89], v[90:91], v[88:89]
	v_fma_f64 v[90:91], -v[84:85], v[88:89], 1.0
	v_fma_f64 v[88:89], v[88:89], v[90:91], v[88:89]
	v_mul_f64 v[90:91], v[92:93], v[88:89]
	v_fma_f64 v[84:85], -v[84:85], v[90:91], v[92:93]
	v_div_fmas_f64 v[84:85], v[84:85], v[88:89], v[90:91]
	v_div_fixup_f64 v[88:89], v[84:85], v[82:83], 1.0
                                        ; implicit-def: $vgpr82_vgpr83
	v_mul_f64 v[86:87], v[86:87], v[88:89]
	v_xor_b32_e32 v89, 0x80000000, v89
.LBB35_140:
	s_andn2_saveexec_b64 s[2:3], s[2:3]
	s_cbranch_execz .LBB35_142
; %bb.141:
	v_div_scale_f64 v[86:87], s[6:7], v[82:83], v[82:83], v[84:85]
	v_rcp_f64_e32 v[88:89], v[86:87]
	v_fma_f64 v[90:91], -v[86:87], v[88:89], 1.0
	v_fma_f64 v[88:89], v[88:89], v[90:91], v[88:89]
	v_div_scale_f64 v[90:91], vcc, v[84:85], v[82:83], v[84:85]
	v_fma_f64 v[92:93], -v[86:87], v[88:89], 1.0
	v_fma_f64 v[88:89], v[88:89], v[92:93], v[88:89]
	v_mul_f64 v[92:93], v[90:91], v[88:89]
	v_fma_f64 v[86:87], -v[86:87], v[92:93], v[90:91]
	v_div_fmas_f64 v[86:87], v[86:87], v[88:89], v[92:93]
	v_div_fixup_f64 v[88:89], v[86:87], v[82:83], v[84:85]
	v_fma_f64 v[82:83], v[84:85], v[88:89], v[82:83]
	v_div_scale_f64 v[84:85], s[6:7], v[82:83], v[82:83], 1.0
	v_div_scale_f64 v[92:93], vcc, 1.0, v[82:83], 1.0
	v_rcp_f64_e32 v[86:87], v[84:85]
	v_fma_f64 v[90:91], -v[84:85], v[86:87], 1.0
	v_fma_f64 v[86:87], v[86:87], v[90:91], v[86:87]
	v_fma_f64 v[90:91], -v[84:85], v[86:87], 1.0
	v_fma_f64 v[86:87], v[86:87], v[90:91], v[86:87]
	v_mul_f64 v[90:91], v[92:93], v[86:87]
	v_fma_f64 v[84:85], -v[84:85], v[90:91], v[92:93]
	v_div_fmas_f64 v[84:85], v[84:85], v[86:87], v[90:91]
	v_div_fixup_f64 v[86:87], v[84:85], v[82:83], 1.0
	v_mul_f64 v[88:89], v[88:89], -v[86:87]
.LBB35_142:
	s_or_b64 exec, exec, s[2:3]
	ds_write2_b64 v118, v[86:87], v[88:89] offset1:1
.LBB35_143:
	s_or_b64 exec, exec, s[4:5]
	s_waitcnt lgkmcnt(0)
	s_barrier
	ds_read2_b64 v[86:89], v118 offset1:1
	v_cmp_lt_u32_e32 vcc, 15, v0
	s_and_saveexec_b64 s[2:3], vcc
	s_cbranch_execz .LBB35_145
; %bb.144:
	buffer_load_dword v6, off, s[20:23], 0 offset:16 ; 4-byte Folded Reload
	buffer_load_dword v7, off, s[20:23], 0 offset:20 ; 4-byte Folded Reload
	;; [unrolled: 1-line block ×4, first 2 shown]
	s_waitcnt vmcnt(0) lgkmcnt(0)
	v_mul_f64 v[82:83], v[86:87], v[8:9]
	v_mul_f64 v[8:9], v[88:89], v[8:9]
	v_fma_f64 v[90:91], v[88:89], v[6:7], v[82:83]
	ds_read2_b64 v[82:85], v94 offset0:32 offset1:33
	buffer_load_dword v1, off, s[20:23], 0  ; 4-byte Folded Reload
	buffer_load_dword v2, off, s[20:23], 0 offset:4 ; 4-byte Folded Reload
	buffer_load_dword v3, off, s[20:23], 0 offset:8 ; 4-byte Folded Reload
	buffer_load_dword v4, off, s[20:23], 0 offset:12 ; 4-byte Folded Reload
	v_fma_f64 v[6:7], v[86:87], v[6:7], -v[8:9]
	s_waitcnt lgkmcnt(0)
	v_mul_f64 v[8:9], v[84:85], v[90:91]
	v_fma_f64 v[8:9], v[82:83], v[6:7], -v[8:9]
	v_mul_f64 v[82:83], v[82:83], v[90:91]
	v_fma_f64 v[82:83], v[84:85], v[6:7], v[82:83]
	s_waitcnt vmcnt(2)
	v_add_f64 v[1:2], v[1:2], -v[8:9]
	s_waitcnt vmcnt(0)
	v_add_f64 v[3:4], v[3:4], -v[82:83]
	buffer_store_dword v1, off, s[20:23], 0 ; 4-byte Folded Spill
	s_nop 0
	buffer_store_dword v2, off, s[20:23], 0 offset:4 ; 4-byte Folded Spill
	buffer_store_dword v3, off, s[20:23], 0 offset:8 ; 4-byte Folded Spill
	buffer_store_dword v4, off, s[20:23], 0 offset:12 ; 4-byte Folded Spill
	ds_read2_b64 v[82:85], v94 offset0:34 offset1:35
	s_waitcnt lgkmcnt(0)
	v_mul_f64 v[8:9], v[84:85], v[90:91]
	v_fma_f64 v[8:9], v[82:83], v[6:7], -v[8:9]
	v_mul_f64 v[82:83], v[82:83], v[90:91]
	v_add_f64 v[46:47], v[46:47], -v[8:9]
	v_fma_f64 v[82:83], v[84:85], v[6:7], v[82:83]
	v_mov_b32_e32 v8, v90
	v_mov_b32_e32 v9, v91
	buffer_store_dword v6, off, s[20:23], 0 offset:16 ; 4-byte Folded Spill
	s_nop 0
	buffer_store_dword v7, off, s[20:23], 0 offset:20 ; 4-byte Folded Spill
	buffer_store_dword v8, off, s[20:23], 0 offset:24 ; 4-byte Folded Spill
	;; [unrolled: 1-line block ×3, first 2 shown]
	v_add_f64 v[48:49], v[48:49], -v[82:83]
.LBB35_145:
	s_or_b64 exec, exec, s[2:3]
	v_cmp_eq_u32_e32 vcc, 16, v0
	s_waitcnt vmcnt(0) lgkmcnt(0)
	s_barrier
	s_and_saveexec_b64 s[4:5], vcc
	s_cbranch_execz .LBB35_152
; %bb.146:
	buffer_load_dword v1, off, s[20:23], 0  ; 4-byte Folded Reload
	buffer_load_dword v2, off, s[20:23], 0 offset:4 ; 4-byte Folded Reload
	buffer_load_dword v3, off, s[20:23], 0 offset:8 ; 4-byte Folded Reload
	;; [unrolled: 1-line block ×3, first 2 shown]
	s_waitcnt vmcnt(0)
	ds_write2_b64 v118, v[1:2], v[3:4] offset1:1
	ds_write2_b64 v94, v[46:47], v[48:49] offset0:34 offset1:35
	ds_read2_b64 v[82:85], v118 offset1:1
	s_waitcnt lgkmcnt(0)
	v_cmp_neq_f64_e32 vcc, 0, v[82:83]
	v_cmp_neq_f64_e64 s[2:3], 0, v[84:85]
	s_or_b64 s[2:3], vcc, s[2:3]
	s_and_b64 exec, exec, s[2:3]
	s_cbranch_execz .LBB35_152
; %bb.147:
	v_cmp_ngt_f64_e64 s[2:3], |v[82:83]|, |v[84:85]|
                                        ; implicit-def: $vgpr90_vgpr91
	s_and_saveexec_b64 s[6:7], s[2:3]
	s_xor_b64 s[2:3], exec, s[6:7]
                                        ; implicit-def: $vgpr92_vgpr93
	s_cbranch_execz .LBB35_149
; %bb.148:
	v_div_scale_f64 v[90:91], s[6:7], v[84:85], v[84:85], v[82:83]
	v_mov_b32_e32 v41, v37
	v_mov_b32_e32 v40, v36
	;; [unrolled: 1-line block ×8, first 2 shown]
	v_rcp_f64_e32 v[92:93], v[90:91]
	v_fma_f64 v[95:96], -v[90:91], v[92:93], 1.0
	v_fma_f64 v[92:93], v[92:93], v[95:96], v[92:93]
	v_div_scale_f64 v[95:96], vcc, v[82:83], v[84:85], v[82:83]
	v_fma_f64 v[97:98], -v[90:91], v[92:93], 1.0
	v_fma_f64 v[92:93], v[92:93], v[97:98], v[92:93]
	v_mul_f64 v[97:98], v[95:96], v[92:93]
	v_fma_f64 v[90:91], -v[90:91], v[97:98], v[95:96]
	v_div_fmas_f64 v[90:91], v[90:91], v[92:93], v[97:98]
	v_div_fixup_f64 v[90:91], v[90:91], v[84:85], v[82:83]
	v_fma_f64 v[82:83], v[82:83], v[90:91], v[84:85]
	v_div_scale_f64 v[84:85], s[6:7], v[82:83], v[82:83], 1.0
	v_div_scale_f64 v[97:98], vcc, 1.0, v[82:83], 1.0
	v_rcp_f64_e32 v[92:93], v[84:85]
	v_fma_f64 v[95:96], -v[84:85], v[92:93], 1.0
	v_fma_f64 v[92:93], v[92:93], v[95:96], v[92:93]
	v_fma_f64 v[95:96], -v[84:85], v[92:93], 1.0
	v_fma_f64 v[92:93], v[92:93], v[95:96], v[92:93]
	v_mul_f64 v[95:96], v[97:98], v[92:93]
	v_fma_f64 v[84:85], -v[84:85], v[95:96], v[97:98]
	v_mov_b32_e32 v100, v37
	v_mov_b32_e32 v99, v36
	v_mov_b32_e32 v98, v35
	v_mov_b32_e32 v97, v34
	v_mov_b32_e32 v34, v38
	v_mov_b32_e32 v35, v39
	v_mov_b32_e32 v36, v40
	v_div_fmas_f64 v[84:85], v[84:85], v[92:93], v[95:96]
	v_mov_b32_e32 v37, v41
	v_div_fixup_f64 v[92:93], v[84:85], v[82:83], 1.0
                                        ; implicit-def: $vgpr82_vgpr83
	v_mul_f64 v[90:91], v[90:91], v[92:93]
	v_xor_b32_e32 v93, 0x80000000, v93
.LBB35_149:
	s_andn2_saveexec_b64 s[2:3], s[2:3]
	s_cbranch_execz .LBB35_151
; %bb.150:
	v_div_scale_f64 v[90:91], s[6:7], v[82:83], v[82:83], v[84:85]
	v_mov_b32_e32 v41, v37
	v_mov_b32_e32 v40, v36
	;; [unrolled: 1-line block ×8, first 2 shown]
	v_rcp_f64_e32 v[92:93], v[90:91]
	v_fma_f64 v[95:96], -v[90:91], v[92:93], 1.0
	v_fma_f64 v[92:93], v[92:93], v[95:96], v[92:93]
	v_div_scale_f64 v[95:96], vcc, v[84:85], v[82:83], v[84:85]
	v_fma_f64 v[97:98], -v[90:91], v[92:93], 1.0
	v_fma_f64 v[92:93], v[92:93], v[97:98], v[92:93]
	v_mul_f64 v[97:98], v[95:96], v[92:93]
	v_fma_f64 v[90:91], -v[90:91], v[97:98], v[95:96]
	v_div_fmas_f64 v[90:91], v[90:91], v[92:93], v[97:98]
	v_div_fixup_f64 v[92:93], v[90:91], v[82:83], v[84:85]
	v_fma_f64 v[82:83], v[84:85], v[92:93], v[82:83]
	v_div_scale_f64 v[84:85], s[6:7], v[82:83], v[82:83], 1.0
	v_div_scale_f64 v[97:98], vcc, 1.0, v[82:83], 1.0
	v_rcp_f64_e32 v[90:91], v[84:85]
	v_fma_f64 v[95:96], -v[84:85], v[90:91], 1.0
	v_fma_f64 v[90:91], v[90:91], v[95:96], v[90:91]
	v_fma_f64 v[95:96], -v[84:85], v[90:91], 1.0
	v_fma_f64 v[90:91], v[90:91], v[95:96], v[90:91]
	v_mul_f64 v[95:96], v[97:98], v[90:91]
	v_fma_f64 v[84:85], -v[84:85], v[95:96], v[97:98]
	v_mov_b32_e32 v100, v37
	v_mov_b32_e32 v99, v36
	;; [unrolled: 1-line block ×7, first 2 shown]
	v_div_fmas_f64 v[84:85], v[84:85], v[90:91], v[95:96]
	v_mov_b32_e32 v37, v41
	v_div_fixup_f64 v[90:91], v[84:85], v[82:83], 1.0
	v_mul_f64 v[92:93], v[92:93], -v[90:91]
.LBB35_151:
	s_or_b64 exec, exec, s[2:3]
	ds_write2_b64 v118, v[90:91], v[92:93] offset1:1
.LBB35_152:
	s_or_b64 exec, exec, s[4:5]
	s_waitcnt lgkmcnt(0)
	s_barrier
	ds_read2_b64 v[90:93], v118 offset1:1
	v_cmp_lt_u32_e32 vcc, 16, v0
	s_and_saveexec_b64 s[2:3], vcc
	s_cbranch_execz .LBB35_154
; %bb.153:
	buffer_load_dword v2, off, s[20:23], 0  ; 4-byte Folded Reload
	buffer_load_dword v3, off, s[20:23], 0 offset:4 ; 4-byte Folded Reload
	buffer_load_dword v4, off, s[20:23], 0 offset:8 ; 4-byte Folded Reload
	;; [unrolled: 1-line block ×3, first 2 shown]
	s_waitcnt vmcnt(0) lgkmcnt(0)
	v_mul_f64 v[82:83], v[90:91], v[4:5]
	v_mul_f64 v[4:5], v[92:93], v[4:5]
	v_fma_f64 v[95:96], v[92:93], v[2:3], v[82:83]
	ds_read2_b64 v[82:85], v94 offset0:34 offset1:35
	v_fma_f64 v[2:3], v[90:91], v[2:3], -v[4:5]
	s_waitcnt lgkmcnt(0)
	v_mul_f64 v[4:5], v[84:85], v[95:96]
	v_fma_f64 v[4:5], v[82:83], v[2:3], -v[4:5]
	v_mul_f64 v[82:83], v[82:83], v[95:96]
	v_add_f64 v[46:47], v[46:47], -v[4:5]
	v_fma_f64 v[82:83], v[84:85], v[2:3], v[82:83]
	v_mov_b32_e32 v4, v95
	v_mov_b32_e32 v5, v96
	buffer_store_dword v2, off, s[20:23], 0 ; 4-byte Folded Spill
	s_nop 0
	buffer_store_dword v3, off, s[20:23], 0 offset:4 ; 4-byte Folded Spill
	buffer_store_dword v4, off, s[20:23], 0 offset:8 ; 4-byte Folded Spill
	buffer_store_dword v5, off, s[20:23], 0 offset:12 ; 4-byte Folded Spill
	v_add_f64 v[48:49], v[48:49], -v[82:83]
.LBB35_154:
	s_or_b64 exec, exec, s[2:3]
	v_cmp_eq_u32_e32 vcc, 17, v0
	s_waitcnt vmcnt(0) lgkmcnt(0)
	s_barrier
	s_and_saveexec_b64 s[4:5], vcc
	s_cbranch_execz .LBB35_161
; %bb.155:
	v_cmp_neq_f64_e32 vcc, 0, v[46:47]
	v_cmp_neq_f64_e64 s[2:3], 0, v[48:49]
	ds_write2_b64 v118, v[46:47], v[48:49] offset1:1
	s_or_b64 s[2:3], vcc, s[2:3]
	s_and_b64 exec, exec, s[2:3]
	s_cbranch_execz .LBB35_161
; %bb.156:
	v_cmp_ngt_f64_e64 s[2:3], |v[46:47]|, |v[48:49]|
                                        ; implicit-def: $vgpr82_vgpr83
	s_and_saveexec_b64 s[6:7], s[2:3]
	s_xor_b64 s[2:3], exec, s[6:7]
                                        ; implicit-def: $vgpr84_vgpr85
	s_cbranch_execz .LBB35_158
; %bb.157:
	v_div_scale_f64 v[82:83], s[6:7], v[48:49], v[48:49], v[46:47]
	v_mov_b32_e32 v4, v0
	v_mov_b32_e32 v0, v72
	;; [unrolled: 1-line block ×14, first 2 shown]
	v_rcp_f64_e32 v[84:85], v[82:83]
	v_mov_b32_e32 v35, v98
	v_mov_b32_e32 v36, v99
	;; [unrolled: 1-line block ×15, first 2 shown]
	v_fma_f64 v[94:95], -v[82:83], v[84:85], 1.0
	v_mov_b32_e32 v8, v81
	v_mov_b32_e32 v79, v53
	;; [unrolled: 1-line block ×7, first 2 shown]
	v_fma_f64 v[84:85], v[84:85], v[94:95], v[84:85]
	v_div_scale_f64 v[94:95], vcc, v[46:47], v[48:49], v[46:47]
	v_mov_b32_e32 v77, v51
	v_mov_b32_e32 v76, v50
	;; [unrolled: 1-line block ×5, first 2 shown]
	v_fma_f64 v[96:97], -v[82:83], v[84:85], 1.0
	v_mov_b32_e32 v71, v109
	v_mov_b32_e32 v109, v57
	;; [unrolled: 1-line block ×7, first 2 shown]
	v_fma_f64 v[84:85], v[84:85], v[96:97], v[84:85]
	v_mov_b32_e32 v120, v119
	v_mov_b32_e32 v108, v56
	;; [unrolled: 1-line block ×7, first 2 shown]
	v_mul_f64 v[96:97], v[94:95], v[84:85]
	v_mov_b32_e32 v109, v71
	v_mov_b32_e32 v119, v120
	v_mov_b32_e32 v108, v70
	v_mov_b32_e32 v107, v69
	v_mov_b32_e32 v106, v68
	v_mov_b32_e32 v68, v110
	v_mov_b32_e32 v120, v121
	v_fma_f64 v[82:83], -v[82:83], v[96:97], v[94:95]
	v_mov_b32_e32 v124, v53
	v_mov_b32_e32 v69, v111
	;; [unrolled: 1-line block ×7, first 2 shown]
	v_div_fmas_f64 v[82:83], v[82:83], v[84:85], v[96:97]
	v_mov_b32_e32 v121, v50
	v_mov_b32_e32 v50, v76
	;; [unrolled: 1-line block ×15, first 2 shown]
	v_div_fixup_f64 v[82:83], v[82:83], v[48:49], v[46:47]
	v_mov_b32_e32 v78, v5
	v_fma_f64 v[84:85], v[46:47], v[82:83], v[48:49]
	v_div_scale_f64 v[94:95], s[6:7], v[84:85], v[84:85], 1.0
	v_div_scale_f64 v[100:101], vcc, 1.0, v[84:85], 1.0
	v_rcp_f64_e32 v[96:97], v[94:95]
	v_fma_f64 v[98:99], -v[94:95], v[96:97], 1.0
	v_fma_f64 v[96:97], v[96:97], v[98:99], v[96:97]
	v_fma_f64 v[98:99], -v[94:95], v[96:97], 1.0
	v_fma_f64 v[96:97], v[96:97], v[98:99], v[96:97]
	v_mul_f64 v[98:99], v[100:101], v[96:97]
	v_fma_f64 v[94:95], -v[94:95], v[98:99], v[100:101]
	v_div_fmas_f64 v[94:95], v[94:95], v[96:97], v[98:99]
	v_mov_b32_e32 v100, v37
	v_mov_b32_e32 v99, v36
	;; [unrolled: 1-line block ×15, first 2 shown]
	v_div_fixup_f64 v[84:85], v[94:95], v[84:85], 1.0
	v_mov_b32_e32 v72, v0
	v_mov_b32_e32 v0, v4
	v_mul_f64 v[82:83], v[82:83], v[84:85]
	v_xor_b32_e32 v85, 0x80000000, v85
.LBB35_158:
	s_andn2_saveexec_b64 s[2:3], s[2:3]
	s_cbranch_execz .LBB35_160
; %bb.159:
	v_div_scale_f64 v[82:83], s[6:7], v[46:47], v[46:47], v[48:49]
	v_mov_b32_e32 v41, v37
	v_mov_b32_e32 v40, v36
	;; [unrolled: 1-line block ×12, first 2 shown]
	v_rcp_f64_e32 v[84:85], v[82:83]
	v_fma_f64 v[94:95], -v[82:83], v[84:85], 1.0
	v_fma_f64 v[84:85], v[84:85], v[94:95], v[84:85]
	v_div_scale_f64 v[94:95], vcc, v[48:49], v[46:47], v[48:49]
	v_fma_f64 v[96:97], -v[82:83], v[84:85], 1.0
	v_fma_f64 v[84:85], v[84:85], v[96:97], v[84:85]
	v_mul_f64 v[96:97], v[94:95], v[84:85]
	v_fma_f64 v[82:83], -v[82:83], v[96:97], v[94:95]
	v_div_fmas_f64 v[82:83], v[82:83], v[84:85], v[96:97]
	v_div_fixup_f64 v[84:85], v[82:83], v[46:47], v[48:49]
	v_fma_f64 v[82:83], v[48:49], v[84:85], v[46:47]
	v_mov_b32_e32 v46, v72
	v_mov_b32_e32 v47, v73
	;; [unrolled: 1-line block ×7, first 2 shown]
	v_div_scale_f64 v[94:95], s[6:7], v[82:83], v[82:83], 1.0
	v_div_scale_f64 v[100:101], vcc, 1.0, v[82:83], 1.0
	v_mov_b32_e32 v72, v50
	v_mov_b32_e32 v50, v121
	;; [unrolled: 1-line block ×12, first 2 shown]
	v_rcp_f64_e32 v[96:97], v[94:95]
	v_mov_b32_e32 v121, v50
	v_mov_b32_e32 v50, v72
	;; [unrolled: 1-line block ×13, first 2 shown]
	v_fma_f64 v[98:99], -v[94:95], v[96:97], 1.0
	v_fma_f64 v[96:97], v[96:97], v[98:99], v[96:97]
	v_fma_f64 v[98:99], -v[94:95], v[96:97], 1.0
	v_fma_f64 v[96:97], v[96:97], v[98:99], v[96:97]
	v_mul_f64 v[98:99], v[100:101], v[96:97]
	v_fma_f64 v[94:95], -v[94:95], v[98:99], v[100:101]
	v_div_fmas_f64 v[94:95], v[94:95], v[96:97], v[98:99]
	v_mov_b32_e32 v100, v37
	v_mov_b32_e32 v99, v36
	;; [unrolled: 1-line block ×8, first 2 shown]
	v_div_fixup_f64 v[82:83], v[94:95], v[82:83], 1.0
	v_mul_f64 v[84:85], v[84:85], -v[82:83]
.LBB35_160:
	s_or_b64 exec, exec, s[2:3]
	ds_write2_b64 v118, v[82:83], v[84:85] offset1:1
.LBB35_161:
	s_or_b64 exec, exec, s[4:5]
	s_waitcnt lgkmcnt(0)
	s_barrier
	ds_read2_b64 v[82:85], v118 offset1:1
	s_waitcnt lgkmcnt(0)
	s_barrier
	s_and_saveexec_b64 s[2:3], s[0:1]
	s_cbranch_execz .LBB35_164
; %bb.162:
	v_mov_b32_e32 v6, v10
	v_mov_b32_e32 v7, v11
	;; [unrolled: 1-line block ×17, first 2 shown]
	buffer_store_dword v46, off, s[20:23], 0 offset:312 ; 4-byte Folded Spill
	s_nop 0
	buffer_store_dword v47, off, s[20:23], 0 offset:316 ; 4-byte Folded Spill
	buffer_store_dword v48, off, s[20:23], 0 offset:320 ; 4-byte Folded Spill
	;; [unrolled: 1-line block ×3, first 2 shown]
	v_mov_b32_e32 v23, v27
	v_mov_b32_e32 v24, v28
	;; [unrolled: 1-line block ×49, first 2 shown]
	buffer_load_dword v94, off, s[20:23], 0 offset:288 ; 4-byte Folded Reload
	buffer_load_dword v95, off, s[20:23], 0 offset:292 ; 4-byte Folded Reload
	;; [unrolled: 1-line block ×8, first 2 shown]
	v_mov_b32_e32 v123, v60
	v_mov_b32_e32 v122, v59
	;; [unrolled: 1-line block ×3, first 2 shown]
	buffer_load_dword v58, off, s[20:23], 0 offset:168 ; 4-byte Folded Reload
	buffer_load_dword v59, off, s[20:23], 0 offset:172 ; 4-byte Folded Reload
	;; [unrolled: 1-line block ×4, first 2 shown]
	v_mov_b32_e32 v105, v64
	v_mov_b32_e32 v104, v63
	;; [unrolled: 1-line block ×3, first 2 shown]
	buffer_load_dword v62, off, s[20:23], 0 offset:152 ; 4-byte Folded Reload
	buffer_load_dword v63, off, s[20:23], 0 offset:156 ; 4-byte Folded Reload
	;; [unrolled: 1-line block ×8, first 2 shown]
	s_waitcnt vmcnt(2)
	v_cmp_eq_f64_e32 vcc, 0, v[99:100]
	s_waitcnt vmcnt(0)
	v_cmp_eq_f64_e64 s[0:1], 0, v[101:102]
	s_and_b64 s[4:5], vcc, s[0:1]
	v_cmp_neq_f64_e32 vcc, 0, v[62:63]
	v_cmp_neq_f64_e64 s[0:1], 0, v[64:65]
	v_cndmask_b32_e64 v1, 0, 1, s[4:5]
	v_mov_b32_e32 v62, v103
	v_mov_b32_e32 v63, v104
	v_mov_b32_e32 v64, v105
	v_mov_b32_e32 v65, v106
	s_or_b64 s[0:1], vcc, s[0:1]
	s_or_b64 vcc, s[0:1], s[4:5]
	v_cndmask_b32_e32 v1, 2, v1, vcc
	v_cmp_eq_f64_e32 vcc, 0, v[58:59]
	v_cmp_eq_f64_e64 s[0:1], 0, v[60:61]
	v_mov_b32_e32 v58, v121
	v_mov_b32_e32 v59, v122
	;; [unrolled: 1-line block ×7, first 2 shown]
	s_and_b64 s[0:1], vcc, s[0:1]
	v_cmp_eq_u32_e32 vcc, 0, v1
	s_and_b64 s[0:1], s[0:1], vcc
	v_cndmask_b32_e64 v1, v1, 3, s[0:1]
	v_cmp_eq_f64_e32 vcc, 0, v[54:55]
	v_cmp_eq_f64_e64 s[0:1], 0, v[56:57]
	v_mov_b32_e32 v57, v53
	v_mov_b32_e32 v56, v52
	;; [unrolled: 1-line block ×4, first 2 shown]
	buffer_load_dword v50, off, s[20:23], 0 offset:200 ; 4-byte Folded Reload
	buffer_load_dword v51, off, s[20:23], 0 offset:204 ; 4-byte Folded Reload
	;; [unrolled: 1-line block ×4, first 2 shown]
	v_mov_b32_e32 v121, v107
	s_and_b64 s[0:1], vcc, s[0:1]
	v_cmp_eq_u32_e32 vcc, 0, v1
	s_and_b64 s[0:1], s[0:1], vcc
	v_cndmask_b32_e64 v1, v1, 4, s[0:1]
	s_waitcnt vmcnt(2)
	v_cmp_eq_f64_e32 vcc, 0, v[50:51]
	s_waitcnt vmcnt(0)
	v_cmp_eq_f64_e64 s[0:1], 0, v[52:53]
	s_and_b64 s[0:1], vcc, s[0:1]
	v_cmp_eq_u32_e32 vcc, 0, v1
	s_and_b64 s[0:1], s[0:1], vcc
	v_cndmask_b32_e64 v1, v1, 5, s[0:1]
	v_cmp_eq_f64_e32 vcc, 0, v[111:112]
	v_cmp_eq_f64_e64 s[0:1], 0, v[113:114]
	s_and_b64 s[0:1], vcc, s[0:1]
	v_cmp_eq_u32_e32 vcc, 0, v1
	s_and_b64 s[0:1], s[0:1], vcc
	v_cndmask_b32_e64 v1, v1, 6, s[0:1]
	v_cmp_eq_f64_e32 vcc, 0, v[115:116]
	v_cmp_eq_f64_e64 s[0:1], 0, v[117:118]
	v_mov_b32_e32 v117, v41
	v_mov_b32_e32 v116, v40
	;; [unrolled: 1-line block ×4, first 2 shown]
	s_and_b64 s[0:1], vcc, s[0:1]
	v_cmp_eq_u32_e32 vcc, 0, v1
	s_and_b64 s[0:1], s[0:1], vcc
	v_cndmask_b32_e64 v1, v1, 7, s[0:1]
	v_cmp_eq_f64_e32 vcc, 0, v[94:95]
	v_cmp_eq_f64_e64 s[0:1], 0, v[96:97]
	v_mov_b32_e32 v100, v77
	v_mov_b32_e32 v99, v76
	;; [unrolled: 1-line block ×5, first 2 shown]
	s_and_b64 s[0:1], vcc, s[0:1]
	v_cmp_eq_u32_e32 vcc, 0, v1
	s_and_b64 s[0:1], s[0:1], vcc
	v_cndmask_b32_e64 v1, v1, 8, s[0:1]
	v_cmp_eq_f64_e32 vcc, 0, v[66:67]
	v_cmp_eq_f64_e64 s[0:1], 0, v[68:69]
	s_and_b64 s[0:1], vcc, s[0:1]
	v_cmp_eq_u32_e32 vcc, 0, v1
	s_and_b64 s[0:1], s[0:1], vcc
	v_cndmask_b32_e64 v1, v1, 9, s[0:1]
	v_cmp_eq_f64_e32 vcc, 0, v[70:71]
	v_cmp_eq_f64_e64 s[0:1], 0, v[72:73]
	;; [unrolled: 6-line block ×4, first 2 shown]
	v_mov_b32_e32 v33, v29
	v_mov_b32_e32 v32, v28
	;; [unrolled: 1-line block ×7, first 2 shown]
	s_and_b64 s[0:1], vcc, s[0:1]
	v_cmp_eq_u32_e32 vcc, 0, v1
	s_and_b64 s[0:1], s[0:1], vcc
	v_cndmask_b32_e64 v1, v1, 12, s[0:1]
	v_cmp_eq_f64_e32 vcc, 0, v[54:55]
	v_cmp_eq_f64_e64 s[0:1], 0, v[56:57]
	v_mov_b32_e32 v26, v22
	v_mov_b32_e32 v25, v21
	;; [unrolled: 1-line block ×7, first 2 shown]
	s_and_b64 s[0:1], vcc, s[0:1]
	v_cmp_eq_u32_e32 vcc, 0, v1
	s_and_b64 s[0:1], s[0:1], vcc
	v_cndmask_b32_e64 v1, v1, 13, s[0:1]
	v_cmp_eq_f64_e32 vcc, 0, v[46:47]
	v_cmp_eq_f64_e64 s[0:1], 0, v[48:49]
	buffer_load_dword v46, off, s[20:23], 0 offset:312 ; 4-byte Folded Reload
	buffer_load_dword v47, off, s[20:23], 0 offset:316 ; 4-byte Folded Reload
	;; [unrolled: 1-line block ×6, first 2 shown]
	v_mov_b32_e32 v19, v15
	v_mov_b32_e32 v18, v14
	;; [unrolled: 1-line block ×5, first 2 shown]
	s_and_b64 s[0:1], vcc, s[0:1]
	v_cmp_eq_u32_e32 vcc, 0, v1
	s_and_b64 s[0:1], s[0:1], vcc
	v_cndmask_b32_e64 v1, v1, 14, s[0:1]
	v_cmp_eq_f64_e32 vcc, 0, v[78:79]
	v_cmp_eq_f64_e64 s[0:1], 0, v[80:81]
	v_mov_b32_e32 v14, v10
	v_mov_b32_e32 v13, v9
	;; [unrolled: 1-line block ×5, first 2 shown]
	s_and_b64 s[0:1], vcc, s[0:1]
	v_cmp_eq_u32_e32 vcc, 0, v1
	s_and_b64 s[0:1], s[0:1], vcc
	v_cndmask_b32_e64 v1, v1, 15, s[0:1]
	v_cmp_eq_f64_e32 vcc, 0, v[86:87]
	v_cmp_eq_f64_e64 s[0:1], 0, v[88:89]
	s_and_b64 s[0:1], vcc, s[0:1]
	v_cmp_eq_u32_e32 vcc, 0, v1
	s_and_b64 s[0:1], s[0:1], vcc
	v_cndmask_b32_e64 v1, v1, 16, s[0:1]
	v_cmp_eq_f64_e32 vcc, 0, v[90:91]
	v_cmp_eq_f64_e64 s[0:1], 0, v[92:93]
	;; [unrolled: 6-line block ×3, first 2 shown]
	s_and_b64 s[0:1], vcc, s[0:1]
	v_cmp_eq_u32_e32 vcc, 0, v1
	s_and_b64 s[0:1], s[0:1], vcc
	v_cndmask_b32_e64 v1, v1, 18, s[0:1]
	v_cmp_ne_u32_e64 s[0:1], 0, v1
	s_waitcnt vmcnt(0)
	v_lshlrev_b64 v[74:75], 2, v[66:67]
	v_add_co_u32_e32 v74, vcc, s10, v74
	v_addc_co_u32_e32 v75, vcc, v76, v75, vcc
	global_load_dword v76, v[74:75], off
	s_waitcnt vmcnt(0)
	v_cmp_eq_u32_e32 vcc, 0, v76
	s_and_b64 s[0:1], vcc, s[0:1]
	s_and_b64 exec, exec, s[0:1]
	s_cbranch_execz .LBB35_164
; %bb.163:
	v_add_u32_e32 v1, s13, v1
	global_store_dword v[74:75], v1, off
.LBB35_164:
	s_or_b64 exec, exec, s[2:3]
	buffer_load_dword v66, off, s[20:23], 0 offset:88 ; 4-byte Folded Reload
	buffer_load_dword v67, off, s[20:23], 0 offset:92 ; 4-byte Folded Reload
	;; [unrolled: 1-line block ×6, first 2 shown]
	v_cmp_lt_u32_e32 vcc, 17, v0
	v_mul_f64 v[74:75], v[82:83], v[48:49]
	v_mul_f64 v[76:77], v[84:85], v[48:49]
	s_waitcnt vmcnt(0)
	global_store_dwordx4 v[66:67], v[78:81], off
	buffer_load_dword v66, off, s[20:23], 0 offset:96 ; 4-byte Folded Reload
	s_nop 0
	buffer_load_dword v67, off, s[20:23], 0 offset:100 ; 4-byte Folded Reload
	buffer_load_dword v78, off, s[20:23], 0 offset:48 ; 4-byte Folded Reload
	;; [unrolled: 1-line block ×5, first 2 shown]
	s_waitcnt vmcnt(0)
	global_store_dwordx4 v[66:67], v[78:81], off
	buffer_load_dword v66, off, s[20:23], 0 offset:128 ; 4-byte Folded Reload
	s_nop 0
	buffer_load_dword v67, off, s[20:23], 0 offset:132 ; 4-byte Folded Reload
	s_waitcnt vmcnt(0)
	global_store_dwordx4 v[66:67], v[62:65], off
	buffer_load_dword v64, off, s[20:23], 0 offset:120 ; 4-byte Folded Reload
	s_nop 0
	buffer_load_dword v65, off, s[20:23], 0 offset:124 ; 4-byte Folded Reload
	v_fma_f64 v[62:63], v[84:85], v[46:47], v[74:75]
	v_cndmask_b32_e32 v41, v49, v63, vcc
	v_cndmask_b32_e32 v40, v48, v62, vcc
	s_waitcnt vmcnt(0)
	global_store_dwordx4 v[64:65], v[58:61], off
	buffer_load_dword v60, off, s[20:23], 0 offset:144 ; 4-byte Folded Reload
	s_nop 0
	buffer_load_dword v61, off, s[20:23], 0 offset:148 ; 4-byte Folded Reload
	v_fma_f64 v[58:59], v[82:83], v[46:47], -v[76:77]
	v_cndmask_b32_e32 v39, v47, v59, vcc
	v_cndmask_b32_e32 v38, v46, v58, vcc
	s_waitcnt vmcnt(0)
	global_store_dwordx4 v[60:61], v[121:124], off
	buffer_load_dword v54, off, s[20:23], 0 offset:136 ; 4-byte Folded Reload
	buffer_load_dword v55, off, s[20:23], 0 offset:140 ; 4-byte Folded Reload
	buffer_load_dword v50, off, s[20:23], 0 offset:32 ; 4-byte Folded Reload
	buffer_load_dword v51, off, s[20:23], 0 offset:36 ; 4-byte Folded Reload
	buffer_load_dword v52, off, s[20:23], 0 offset:40 ; 4-byte Folded Reload
	buffer_load_dword v53, off, s[20:23], 0 offset:44 ; 4-byte Folded Reload
	s_waitcnt vmcnt(0)
	global_store_dwordx4 v[54:55], v[50:53], off
	buffer_load_dword v50, off, s[20:23], 0 offset:192 ; 4-byte Folded Reload
	s_nop 0
	buffer_load_dword v51, off, s[20:23], 0 offset:196 ; 4-byte Folded Reload
	s_waitcnt vmcnt(0)
	global_store_dwordx4 v[50:51], v[114:117], off
	buffer_load_dword v42, off, s[20:23], 0 offset:184 ; 4-byte Folded Reload
	buffer_load_dword v43, off, s[20:23], 0 offset:188 ; 4-byte Folded Reload
	s_waitcnt vmcnt(0)
	global_store_dwordx4 v[42:43], v[97:100], off
	buffer_load_dword v0, off, s[20:23], 0 offset:224 ; 4-byte Folded Reload
	;; [unrolled: 4-line block ×3, first 2 shown]
	s_nop 0
	buffer_load_dword v1, off, s[20:23], 0 offset:220 ; 4-byte Folded Reload
	s_waitcnt vmcnt(0)
	global_store_dwordx4 v[0:1], v[30:33], off
	buffer_load_dword v0, off, s[20:23], 0 offset:240 ; 4-byte Folded Reload
	s_nop 0
	buffer_load_dword v1, off, s[20:23], 0 offset:244 ; 4-byte Folded Reload
	s_waitcnt vmcnt(0)
	global_store_dwordx4 v[0:1], v[26:29], off
	buffer_load_dword v0, off, s[20:23], 0 offset:232 ; 4-byte Folded Reload
	;; [unrolled: 5-line block ×3, first 2 shown]
	s_nop 0
	buffer_load_dword v1, off, s[20:23], 0 offset:252 ; 4-byte Folded Reload
	s_waitcnt vmcnt(0)
	global_store_dwordx4 v[0:1], v[18:21], off
	global_store_dwordx4 v[119:120], v[14:17], off
	buffer_load_dword v0, off, s[20:23], 0 offset:80 ; 4-byte Folded Reload
	s_nop 0
	buffer_load_dword v1, off, s[20:23], 0 offset:84 ; 4-byte Folded Reload
	s_waitcnt vmcnt(0)
	global_store_dwordx4 v[0:1], v[10:13], off
	buffer_load_dword v0, off, s[20:23], 0 offset:256 ; 4-byte Folded Reload
	s_nop 0
	buffer_load_dword v1, off, s[20:23], 0 offset:260 ; 4-byte Folded Reload
	buffer_load_dword v2, off, s[20:23], 0 offset:16 ; 4-byte Folded Reload
	;; [unrolled: 1-line block ×5, first 2 shown]
	s_waitcnt vmcnt(0)
	global_store_dwordx4 v[0:1], v[2:5], off
	buffer_load_dword v0, off, s[20:23], 0  ; 4-byte Folded Reload
	s_nop 0
	buffer_load_dword v1, off, s[20:23], 0 offset:4 ; 4-byte Folded Reload
	buffer_load_dword v2, off, s[20:23], 0 offset:8 ; 4-byte Folded Reload
	;; [unrolled: 1-line block ×3, first 2 shown]
	s_waitcnt vmcnt(0)
	global_store_dwordx4 v[125:126], v[0:3], off
	buffer_load_dword v0, off, s[20:23], 0 offset:280 ; 4-byte Folded Reload
	s_nop 0
	buffer_load_dword v1, off, s[20:23], 0 offset:284 ; 4-byte Folded Reload
	s_waitcnt vmcnt(0)
	global_store_dwordx4 v[0:1], v[38:41], off
.LBB35_165:
	s_endpgm
	.section	.rodata,"a",@progbits
	.p2align	6, 0x0
	.amdhsa_kernel _ZN9rocsolver6v33100L23getf2_npvt_small_kernelILi18E19rocblas_complex_numIdEiiPS3_EEvT1_T3_lS5_lPT2_S5_S5_
		.amdhsa_group_segment_fixed_size 0
		.amdhsa_private_segment_fixed_size 332
		.amdhsa_kernarg_size 312
		.amdhsa_user_sgpr_count 6
		.amdhsa_user_sgpr_private_segment_buffer 1
		.amdhsa_user_sgpr_dispatch_ptr 0
		.amdhsa_user_sgpr_queue_ptr 0
		.amdhsa_user_sgpr_kernarg_segment_ptr 1
		.amdhsa_user_sgpr_dispatch_id 0
		.amdhsa_user_sgpr_flat_scratch_init 0
		.amdhsa_user_sgpr_private_segment_size 0
		.amdhsa_uses_dynamic_stack 0
		.amdhsa_system_sgpr_private_segment_wavefront_offset 1
		.amdhsa_system_sgpr_workgroup_id_x 1
		.amdhsa_system_sgpr_workgroup_id_y 1
		.amdhsa_system_sgpr_workgroup_id_z 0
		.amdhsa_system_sgpr_workgroup_info 0
		.amdhsa_system_vgpr_workitem_id 1
		.amdhsa_next_free_vgpr 127
		.amdhsa_next_free_sgpr 24
		.amdhsa_reserve_vcc 1
		.amdhsa_reserve_flat_scratch 0
		.amdhsa_float_round_mode_32 0
		.amdhsa_float_round_mode_16_64 0
		.amdhsa_float_denorm_mode_32 3
		.amdhsa_float_denorm_mode_16_64 3
		.amdhsa_dx10_clamp 1
		.amdhsa_ieee_mode 1
		.amdhsa_fp16_overflow 0
		.amdhsa_exception_fp_ieee_invalid_op 0
		.amdhsa_exception_fp_denorm_src 0
		.amdhsa_exception_fp_ieee_div_zero 0
		.amdhsa_exception_fp_ieee_overflow 0
		.amdhsa_exception_fp_ieee_underflow 0
		.amdhsa_exception_fp_ieee_inexact 0
		.amdhsa_exception_int_div_zero 0
	.end_amdhsa_kernel
	.section	.text._ZN9rocsolver6v33100L23getf2_npvt_small_kernelILi18E19rocblas_complex_numIdEiiPS3_EEvT1_T3_lS5_lPT2_S5_S5_,"axG",@progbits,_ZN9rocsolver6v33100L23getf2_npvt_small_kernelILi18E19rocblas_complex_numIdEiiPS3_EEvT1_T3_lS5_lPT2_S5_S5_,comdat
.Lfunc_end35:
	.size	_ZN9rocsolver6v33100L23getf2_npvt_small_kernelILi18E19rocblas_complex_numIdEiiPS3_EEvT1_T3_lS5_lPT2_S5_S5_, .Lfunc_end35-_ZN9rocsolver6v33100L23getf2_npvt_small_kernelILi18E19rocblas_complex_numIdEiiPS3_EEvT1_T3_lS5_lPT2_S5_S5_
                                        ; -- End function
	.set _ZN9rocsolver6v33100L23getf2_npvt_small_kernelILi18E19rocblas_complex_numIdEiiPS3_EEvT1_T3_lS5_lPT2_S5_S5_.num_vgpr, 127
	.set _ZN9rocsolver6v33100L23getf2_npvt_small_kernelILi18E19rocblas_complex_numIdEiiPS3_EEvT1_T3_lS5_lPT2_S5_S5_.num_agpr, 0
	.set _ZN9rocsolver6v33100L23getf2_npvt_small_kernelILi18E19rocblas_complex_numIdEiiPS3_EEvT1_T3_lS5_lPT2_S5_S5_.numbered_sgpr, 24
	.set _ZN9rocsolver6v33100L23getf2_npvt_small_kernelILi18E19rocblas_complex_numIdEiiPS3_EEvT1_T3_lS5_lPT2_S5_S5_.num_named_barrier, 0
	.set _ZN9rocsolver6v33100L23getf2_npvt_small_kernelILi18E19rocblas_complex_numIdEiiPS3_EEvT1_T3_lS5_lPT2_S5_S5_.private_seg_size, 332
	.set _ZN9rocsolver6v33100L23getf2_npvt_small_kernelILi18E19rocblas_complex_numIdEiiPS3_EEvT1_T3_lS5_lPT2_S5_S5_.uses_vcc, 1
	.set _ZN9rocsolver6v33100L23getf2_npvt_small_kernelILi18E19rocblas_complex_numIdEiiPS3_EEvT1_T3_lS5_lPT2_S5_S5_.uses_flat_scratch, 0
	.set _ZN9rocsolver6v33100L23getf2_npvt_small_kernelILi18E19rocblas_complex_numIdEiiPS3_EEvT1_T3_lS5_lPT2_S5_S5_.has_dyn_sized_stack, 0
	.set _ZN9rocsolver6v33100L23getf2_npvt_small_kernelILi18E19rocblas_complex_numIdEiiPS3_EEvT1_T3_lS5_lPT2_S5_S5_.has_recursion, 0
	.set _ZN9rocsolver6v33100L23getf2_npvt_small_kernelILi18E19rocblas_complex_numIdEiiPS3_EEvT1_T3_lS5_lPT2_S5_S5_.has_indirect_call, 0
	.section	.AMDGPU.csdata,"",@progbits
; Kernel info:
; codeLenInByte = 29776
; TotalNumSgprs: 28
; NumVgprs: 127
; ScratchSize: 332
; MemoryBound: 1
; FloatMode: 240
; IeeeMode: 1
; LDSByteSize: 0 bytes/workgroup (compile time only)
; SGPRBlocks: 3
; VGPRBlocks: 31
; NumSGPRsForWavesPerEU: 28
; NumVGPRsForWavesPerEU: 127
; Occupancy: 2
; WaveLimiterHint : 0
; COMPUTE_PGM_RSRC2:SCRATCH_EN: 1
; COMPUTE_PGM_RSRC2:USER_SGPR: 6
; COMPUTE_PGM_RSRC2:TRAP_HANDLER: 0
; COMPUTE_PGM_RSRC2:TGID_X_EN: 1
; COMPUTE_PGM_RSRC2:TGID_Y_EN: 1
; COMPUTE_PGM_RSRC2:TGID_Z_EN: 0
; COMPUTE_PGM_RSRC2:TIDIG_COMP_CNT: 1
	.section	.text._ZN9rocsolver6v33100L18getf2_small_kernelILi19E19rocblas_complex_numIdEiiPS3_EEvT1_T3_lS5_lPS5_llPT2_S5_S5_S7_l,"axG",@progbits,_ZN9rocsolver6v33100L18getf2_small_kernelILi19E19rocblas_complex_numIdEiiPS3_EEvT1_T3_lS5_lPS5_llPT2_S5_S5_S7_l,comdat
	.globl	_ZN9rocsolver6v33100L18getf2_small_kernelILi19E19rocblas_complex_numIdEiiPS3_EEvT1_T3_lS5_lPS5_llPT2_S5_S5_S7_l ; -- Begin function _ZN9rocsolver6v33100L18getf2_small_kernelILi19E19rocblas_complex_numIdEiiPS3_EEvT1_T3_lS5_lPS5_llPT2_S5_S5_S7_l
	.p2align	8
	.type	_ZN9rocsolver6v33100L18getf2_small_kernelILi19E19rocblas_complex_numIdEiiPS3_EEvT1_T3_lS5_lPS5_llPT2_S5_S5_S7_l,@function
_ZN9rocsolver6v33100L18getf2_small_kernelILi19E19rocblas_complex_numIdEiiPS3_EEvT1_T3_lS5_lPS5_llPT2_S5_S5_S7_l: ; @_ZN9rocsolver6v33100L18getf2_small_kernelILi19E19rocblas_complex_numIdEiiPS3_EEvT1_T3_lS5_lPS5_llPT2_S5_S5_S7_l
; %bb.0:
	s_load_dword s0, s[4:5], 0x6c
	s_load_dwordx2 s[16:17], s[4:5], 0x48
	s_waitcnt lgkmcnt(0)
	s_lshr_b32 s0, s0, 16
	s_mul_i32 s7, s7, s0
	v_add_u32_e32 v82, s7, v1
	v_cmp_gt_i32_e32 vcc, s16, v82
	s_and_saveexec_b64 s[0:1], vcc
	s_cbranch_execz .LBB36_400
; %bb.1:
	s_load_dwordx4 s[0:3], s[4:5], 0x50
	v_mov_b32_e32 v84, 0
	v_ashrrev_i32_e32 v83, 31, v82
	v_mov_b32_e32 v85, 0
	s_waitcnt lgkmcnt(0)
	s_cmp_eq_u64 s[0:1], 0
	s_cselect_b64 s[18:19], -1, 0
	s_and_b64 vcc, exec, s[18:19]
	s_cbranch_vccnz .LBB36_3
; %bb.2:
	v_mul_lo_u32 v4, s3, v82
	v_mul_lo_u32 v5, s2, v83
	v_mad_u64_u32 v[2:3], s[2:3], s2, v82, 0
	v_add3_u32 v3, v3, v5, v4
	v_lshlrev_b64 v[2:3], 2, v[2:3]
	v_mov_b32_e32 v4, s1
	v_add_co_u32_e32 v84, vcc, s0, v2
	v_addc_co_u32_e32 v85, vcc, v4, v3, vcc
.LBB36_3:
	s_load_dwordx8 s[8:15], s[4:5], 0x20
	s_load_dwordx4 s[0:3], s[4:5], 0x8
	v_lshlrev_b32_e32 v88, 4, v0
	s_waitcnt lgkmcnt(0)
	v_mul_lo_u32 v4, s9, v82
	v_mul_lo_u32 v5, s8, v83
	v_mad_u64_u32 v[2:3], s[6:7], s8, v82, 0
	s_load_dword s6, s[4:5], 0x18
	s_load_dword s22, s[4:5], 0x0
	v_mov_b32_e32 v6, s1
	v_add3_u32 v3, v3, v5, v4
	v_lshlrev_b64 v[2:3], 4, v[2:3]
	s_waitcnt lgkmcnt(0)
	s_add_i32 s16, s6, s6
	v_add_co_u32_e32 v2, vcc, s0, v2
	v_addc_co_u32_e32 v3, vcc, v6, v3, vcc
	s_lshl_b64 s[0:1], s[2:3], 4
	v_mov_b32_e32 v4, s1
	v_add_co_u32_e32 v89, vcc, s0, v2
	v_add_u32_e32 v2, s16, v0
	v_addc_co_u32_e32 v90, vcc, v3, v4, vcc
	v_ashrrev_i32_e32 v3, 31, v2
	v_lshlrev_b64 v[3:4], 4, v[2:3]
	v_add_u32_e32 v5, s6, v2
	v_ashrrev_i32_e32 v6, 31, v5
	v_add_co_u32_e32 v3, vcc, v89, v3
	v_lshlrev_b64 v[6:7], 4, v[5:6]
	v_add_u32_e32 v8, s6, v5
	v_addc_co_u32_e32 v4, vcc, v90, v4, vcc
	v_ashrrev_i32_e32 v9, 31, v8
	v_add_co_u32_e32 v6, vcc, v89, v6
	v_lshlrev_b64 v[9:10], 4, v[8:9]
	v_add_u32_e32 v11, s6, v8
	v_addc_co_u32_e32 v7, vcc, v90, v7, vcc
	;; [unrolled: 5-line block ×5, first 2 shown]
	v_ashrrev_i32_e32 v21, 31, v20
	v_add_co_u32_e32 v18, vcc, v89, v18
	v_lshlrev_b64 v[21:22], 4, v[20:21]
	v_addc_co_u32_e32 v19, vcc, v90, v19, vcc
	v_add_co_u32_e32 v21, vcc, v89, v21
	v_add_u32_e32 v23, s6, v20
	v_addc_co_u32_e32 v22, vcc, v90, v22, vcc
	v_ashrrev_i32_e32 v24, 31, v23
	v_lshlrev_b64 v[24:25], 4, v[23:24]
	v_add_co_u32_e32 v26, vcc, v89, v88
	v_add_u32_e32 v28, s6, v23
	v_addc_co_u32_e32 v27, vcc, 0, v90, vcc
	v_ashrrev_i32_e32 v29, 31, v28
	v_add_co_u32_e32 v24, vcc, v89, v24
	v_lshlrev_b64 v[29:30], 4, v[28:29]
	v_add_u32_e32 v31, s6, v28
	v_addc_co_u32_e32 v25, vcc, v90, v25, vcc
	v_ashrrev_i32_e32 v32, 31, v31
	v_add_co_u32_e32 v29, vcc, v89, v29
	v_lshlrev_b64 v[32:33], 4, v[31:32]
	v_addc_co_u32_e32 v30, vcc, v90, v30, vcc
	v_add_u32_e32 v31, s6, v31
	v_add_co_u32_e32 v74, vcc, v89, v32
	v_ashrrev_i32_e32 v32, 31, v31
	v_addc_co_u32_e32 v75, vcc, v90, v33, vcc
	v_lshlrev_b64 v[32:33], 4, v[31:32]
	v_add_u32_e32 v31, s6, v31
	v_add_co_u32_e32 v76, vcc, v89, v32
	v_ashrrev_i32_e32 v32, 31, v31
	v_addc_co_u32_e32 v77, vcc, v90, v33, vcc
	v_lshlrev_b64 v[32:33], 4, v[31:32]
	;; [unrolled: 5-line block ×6, first 2 shown]
	v_add_u32_e32 v31, s6, v31
	v_add_co_u32_e32 v93, vcc, v89, v32
	v_ashrrev_i32_e32 v32, 31, v31
	v_lshlrev_b64 v[31:32], 4, v[31:32]
	v_addc_co_u32_e32 v94, vcc, v90, v33, vcc
	v_add_co_u32_e32 v95, vcc, v89, v31
	s_ashr_i32 s7, s6, 31
	v_addc_co_u32_e32 v96, vcc, v90, v32, vcc
	s_lshl_b64 s[2:3], s[6:7], 4
	v_mov_b32_e32 v2, s3
	v_add_co_u32_e32 v31, vcc, s2, v26
	v_addc_co_u32_e32 v32, vcc, v27, v2, vcc
	global_load_dwordx4 v[70:73], v[26:27], off
	global_load_dwordx4 v[66:69], v[31:32], off
	;; [unrolled: 1-line block ×4, first 2 shown]
                                        ; kill: killed $vgpr26 killed $vgpr27
                                        ; kill: killed $vgpr3 killed $vgpr4
                                        ; kill: killed $vgpr31 killed $vgpr32
                                        ; kill: killed $vgpr6 killed $vgpr7
	global_load_dwordx4 v[54:57], v[9:10], off
	global_load_dwordx4 v[50:53], v[12:13], off
                                        ; kill: killed $vgpr9 killed $vgpr10
                                        ; kill: killed $vgpr12 killed $vgpr13
	global_load_dwordx4 v[46:49], v[15:16], off
	global_load_dwordx4 v[42:45], v[18:19], off
	;; [unrolled: 1-line block ×4, first 2 shown]
	s_nop 0
	global_load_dwordx4 v[30:33], v[29:30], off
	s_nop 0
	global_load_dwordx4 v[26:29], v[74:75], off
	global_load_dwordx4 v[22:25], v[76:77], off
	;; [unrolled: 1-line block ×8, first 2 shown]
	s_max_i32 s0, s22, 19
	v_mul_lo_u32 v86, s0, v1
	s_load_dwordx2 s[4:5], s[4:5], 0x40
	s_cmp_lt_i32 s22, 2
	v_lshl_add_u32 v1, v86, 4, 0
	v_add_u32_e32 v78, v1, v88
	v_lshlrev_b32_e32 v92, 4, v86
	v_mov_b32_e32 v86, 0
	s_waitcnt vmcnt(18)
	ds_write2_b64 v78, v[70:71], v[72:73] offset1:1
	s_waitcnt vmcnt(0) lgkmcnt(0)
	s_barrier
	ds_read2_b64 v[78:81], v1 offset1:1
	s_cbranch_scc1 .LBB36_6
; %bb.4:
	v_add3_u32 v87, v92, 0, 16
	s_mov_b32 s7, 1
	v_mov_b32_e32 v86, 0
.LBB36_5:                               ; =>This Inner Loop Header: Depth=1
	s_waitcnt lgkmcnt(0)
	v_cmp_gt_f64_e32 vcc, 0, v[80:81]
	v_cmp_gt_f64_e64 s[0:1], 0, v[78:79]
	ds_read2_b64 v[93:96], v87 offset1:1
	v_xor_b32_e32 v88, 0x80000000, v79
	v_xor_b32_e32 v91, 0x80000000, v81
	v_mov_b32_e32 v97, v78
	v_mov_b32_e32 v99, v80
	s_waitcnt lgkmcnt(0)
	v_mov_b32_e32 v101, v95
	v_cndmask_b32_e32 v100, v81, v91, vcc
	v_cndmask_b32_e64 v98, v79, v88, s[0:1]
	v_cmp_gt_f64_e32 vcc, 0, v[95:96]
	v_cmp_gt_f64_e64 s[0:1], 0, v[93:94]
	v_xor_b32_e32 v88, 0x80000000, v94
	v_xor_b32_e32 v91, 0x80000000, v96
	v_add_f64 v[97:98], v[97:98], v[99:100]
	v_mov_b32_e32 v99, v93
	v_add_u32_e32 v87, 16, v87
	v_cndmask_b32_e32 v102, v96, v91, vcc
	v_cndmask_b32_e64 v100, v94, v88, s[0:1]
	v_add_f64 v[99:100], v[99:100], v[101:102]
	v_mov_b32_e32 v88, s7
	s_add_i32 s7, s7, 1
	s_cmp_eq_u32 s22, s7
	v_cmp_lt_f64_e32 vcc, v[97:98], v[99:100]
	v_cndmask_b32_e32 v79, v79, v94, vcc
	v_cndmask_b32_e32 v78, v78, v93, vcc
	;; [unrolled: 1-line block ×5, first 2 shown]
	s_cbranch_scc0 .LBB36_5
.LBB36_6:
	s_waitcnt lgkmcnt(0)
	v_cmp_neq_f64_e32 vcc, 0, v[78:79]
	v_cmp_neq_f64_e64 s[0:1], 0, v[80:81]
	v_mov_b32_e32 v91, 1
	v_mov_b32_e32 v93, 1
	s_or_b64 s[8:9], vcc, s[0:1]
	s_and_saveexec_b64 s[0:1], s[8:9]
	s_cbranch_execz .LBB36_12
; %bb.7:
	v_cmp_ngt_f64_e64 s[8:9], |v[78:79]|, |v[80:81]|
	s_and_saveexec_b64 s[20:21], s[8:9]
	s_xor_b64 s[8:9], exec, s[20:21]
	s_cbranch_execz .LBB36_9
; %bb.8:
	v_div_scale_f64 v[87:88], s[20:21], v[80:81], v[80:81], v[78:79]
	v_rcp_f64_e32 v[93:94], v[87:88]
	v_fma_f64 v[95:96], -v[87:88], v[93:94], 1.0
	v_fma_f64 v[93:94], v[93:94], v[95:96], v[93:94]
	v_div_scale_f64 v[95:96], vcc, v[78:79], v[80:81], v[78:79]
	v_fma_f64 v[97:98], -v[87:88], v[93:94], 1.0
	v_fma_f64 v[93:94], v[93:94], v[97:98], v[93:94]
	v_mul_f64 v[97:98], v[95:96], v[93:94]
	v_fma_f64 v[87:88], -v[87:88], v[97:98], v[95:96]
	v_div_fmas_f64 v[87:88], v[87:88], v[93:94], v[97:98]
	v_div_fixup_f64 v[87:88], v[87:88], v[80:81], v[78:79]
	v_fma_f64 v[78:79], v[78:79], v[87:88], v[80:81]
	v_div_scale_f64 v[80:81], s[20:21], v[78:79], v[78:79], 1.0
	v_div_scale_f64 v[97:98], vcc, 1.0, v[78:79], 1.0
	v_rcp_f64_e32 v[93:94], v[80:81]
	v_fma_f64 v[95:96], -v[80:81], v[93:94], 1.0
	v_fma_f64 v[93:94], v[93:94], v[95:96], v[93:94]
	v_fma_f64 v[95:96], -v[80:81], v[93:94], 1.0
	v_fma_f64 v[93:94], v[93:94], v[95:96], v[93:94]
	v_mul_f64 v[95:96], v[97:98], v[93:94]
	v_fma_f64 v[80:81], -v[80:81], v[95:96], v[97:98]
	v_div_fmas_f64 v[80:81], v[80:81], v[93:94], v[95:96]
	v_div_fixup_f64 v[80:81], v[80:81], v[78:79], 1.0
	v_mul_f64 v[78:79], v[87:88], v[80:81]
	v_xor_b32_e32 v81, 0x80000000, v81
.LBB36_9:
	s_andn2_saveexec_b64 s[8:9], s[8:9]
	s_cbranch_execz .LBB36_11
; %bb.10:
	v_div_scale_f64 v[87:88], s[20:21], v[78:79], v[78:79], v[80:81]
	v_rcp_f64_e32 v[93:94], v[87:88]
	v_fma_f64 v[95:96], -v[87:88], v[93:94], 1.0
	v_fma_f64 v[93:94], v[93:94], v[95:96], v[93:94]
	v_div_scale_f64 v[95:96], vcc, v[80:81], v[78:79], v[80:81]
	v_fma_f64 v[97:98], -v[87:88], v[93:94], 1.0
	v_fma_f64 v[93:94], v[93:94], v[97:98], v[93:94]
	v_mul_f64 v[97:98], v[95:96], v[93:94]
	v_fma_f64 v[87:88], -v[87:88], v[97:98], v[95:96]
	v_div_fmas_f64 v[87:88], v[87:88], v[93:94], v[97:98]
	v_div_fixup_f64 v[87:88], v[87:88], v[78:79], v[80:81]
	v_fma_f64 v[78:79], v[80:81], v[87:88], v[78:79]
	v_div_scale_f64 v[80:81], s[20:21], v[78:79], v[78:79], 1.0
	v_div_scale_f64 v[97:98], vcc, 1.0, v[78:79], 1.0
	v_rcp_f64_e32 v[93:94], v[80:81]
	v_fma_f64 v[95:96], -v[80:81], v[93:94], 1.0
	v_fma_f64 v[93:94], v[93:94], v[95:96], v[93:94]
	v_fma_f64 v[95:96], -v[80:81], v[93:94], 1.0
	v_fma_f64 v[93:94], v[93:94], v[95:96], v[93:94]
	v_mul_f64 v[95:96], v[97:98], v[93:94]
	v_fma_f64 v[80:81], -v[80:81], v[95:96], v[97:98]
	v_div_fmas_f64 v[80:81], v[80:81], v[93:94], v[95:96]
	v_div_fixup_f64 v[78:79], v[80:81], v[78:79], 1.0
	v_mul_f64 v[80:81], v[87:88], -v[78:79]
.LBB36_11:
	s_or_b64 exec, exec, s[8:9]
	v_mov_b32_e32 v93, 0
	v_mov_b32_e32 v91, 2
.LBB36_12:
	s_or_b64 exec, exec, s[0:1]
	v_cmp_ne_u32_e32 vcc, v0, v86
	s_and_saveexec_b64 s[0:1], vcc
	s_xor_b64 s[0:1], exec, s[0:1]
	s_cbranch_execz .LBB36_18
; %bb.13:
	v_cmp_eq_u32_e32 vcc, 0, v0
	s_and_saveexec_b64 s[8:9], vcc
	s_cbranch_execz .LBB36_17
; %bb.14:
	v_cmp_ne_u32_e32 vcc, 0, v86
	s_xor_b64 s[20:21], s[18:19], -1
	s_and_b64 s[24:25], s[20:21], vcc
	s_and_saveexec_b64 s[20:21], s[24:25]
	s_cbranch_execz .LBB36_16
; %bb.15:
	v_ashrrev_i32_e32 v87, 31, v86
	v_lshlrev_b64 v[87:88], 2, v[86:87]
	v_add_co_u32_e32 v87, vcc, v84, v87
	v_addc_co_u32_e32 v88, vcc, v85, v88, vcc
	global_load_dword v0, v[87:88], off
	global_load_dword v94, v[84:85], off
	s_waitcnt vmcnt(1)
	global_store_dword v[84:85], v0, off
	s_waitcnt vmcnt(1)
	global_store_dword v[87:88], v94, off
.LBB36_16:
	s_or_b64 exec, exec, s[20:21]
	v_mov_b32_e32 v0, v86
.LBB36_17:
	s_or_b64 exec, exec, s[8:9]
.LBB36_18:
	s_or_saveexec_b64 s[0:1], s[0:1]
	v_mov_b32_e32 v88, v0
	s_xor_b64 exec, exec, s[0:1]
	s_cbranch_execz .LBB36_20
; %bb.19:
	v_mov_b32_e32 v88, 0
	ds_write2_b64 v1, v[66:67], v[68:69] offset0:2 offset1:3
	ds_write2_b64 v1, v[62:63], v[64:65] offset0:4 offset1:5
	;; [unrolled: 1-line block ×18, first 2 shown]
.LBB36_20:
	s_or_b64 exec, exec, s[0:1]
	v_cmp_lt_i32_e32 vcc, 0, v88
	s_waitcnt vmcnt(0) lgkmcnt(0)
	s_barrier
	s_and_saveexec_b64 s[0:1], vcc
	s_cbranch_execz .LBB36_22
; %bb.21:
	v_mul_f64 v[86:87], v[80:81], v[72:73]
	v_mul_f64 v[72:73], v[78:79], v[72:73]
	v_fma_f64 v[86:87], v[78:79], v[70:71], -v[86:87]
	v_fma_f64 v[72:73], v[80:81], v[70:71], v[72:73]
	ds_read2_b64 v[78:81], v1 offset0:2 offset1:3
	s_waitcnt lgkmcnt(0)
	v_mul_f64 v[70:71], v[80:81], v[72:73]
	v_fma_f64 v[70:71], v[78:79], v[86:87], -v[70:71]
	v_mul_f64 v[78:79], v[78:79], v[72:73]
	v_add_f64 v[66:67], v[66:67], -v[70:71]
	v_fma_f64 v[78:79], v[80:81], v[86:87], v[78:79]
	v_add_f64 v[68:69], v[68:69], -v[78:79]
	ds_read2_b64 v[78:81], v1 offset0:4 offset1:5
	s_waitcnt lgkmcnt(0)
	v_mul_f64 v[70:71], v[80:81], v[72:73]
	v_fma_f64 v[70:71], v[78:79], v[86:87], -v[70:71]
	v_mul_f64 v[78:79], v[78:79], v[72:73]
	v_add_f64 v[62:63], v[62:63], -v[70:71]
	v_fma_f64 v[78:79], v[80:81], v[86:87], v[78:79]
	v_add_f64 v[64:65], v[64:65], -v[78:79]
	;; [unrolled: 8-line block ×17, first 2 shown]
	ds_read2_b64 v[78:81], v1 offset0:36 offset1:37
	s_waitcnt lgkmcnt(0)
	v_mul_f64 v[70:71], v[80:81], v[72:73]
	v_fma_f64 v[70:71], v[78:79], v[86:87], -v[70:71]
	v_mul_f64 v[78:79], v[78:79], v[72:73]
	v_add_f64 v[74:75], v[74:75], -v[70:71]
	v_fma_f64 v[78:79], v[80:81], v[86:87], v[78:79]
	v_mov_b32_e32 v70, v86
	v_mov_b32_e32 v71, v87
	v_add_f64 v[76:77], v[76:77], -v[78:79]
.LBB36_22:
	s_or_b64 exec, exec, s[0:1]
	v_lshl_add_u32 v78, v88, 4, v1
	s_barrier
	ds_write2_b64 v78, v[66:67], v[68:69] offset1:1
	s_waitcnt lgkmcnt(0)
	s_barrier
	ds_read2_b64 v[78:81], v1 offset0:2 offset1:3
	s_cmp_lt_i32 s22, 3
	v_mov_b32_e32 v86, 1
	s_cbranch_scc1 .LBB36_25
; %bb.23:
	v_add3_u32 v87, v92, 0, 32
	s_mov_b32 s7, 2
	v_mov_b32_e32 v86, 1
.LBB36_24:                              ; =>This Inner Loop Header: Depth=1
	s_waitcnt lgkmcnt(0)
	v_cmp_gt_f64_e32 vcc, 0, v[80:81]
	v_cmp_gt_f64_e64 s[0:1], 0, v[78:79]
	ds_read2_b64 v[94:97], v87 offset1:1
	v_xor_b32_e32 v99, 0x80000000, v79
	v_xor_b32_e32 v101, 0x80000000, v81
	v_mov_b32_e32 v98, v78
	v_mov_b32_e32 v100, v80
	s_waitcnt lgkmcnt(0)
	v_xor_b32_e32 v103, 0x80000000, v97
	v_cndmask_b32_e32 v101, v81, v101, vcc
	v_cndmask_b32_e64 v99, v79, v99, s[0:1]
	v_cmp_gt_f64_e32 vcc, 0, v[96:97]
	v_cmp_gt_f64_e64 s[0:1], 0, v[94:95]
	v_add_f64 v[98:99], v[98:99], v[100:101]
	v_xor_b32_e32 v101, 0x80000000, v95
	v_mov_b32_e32 v100, v94
	v_mov_b32_e32 v102, v96
	v_add_u32_e32 v87, 16, v87
	v_cndmask_b32_e32 v103, v97, v103, vcc
	v_cndmask_b32_e64 v101, v95, v101, s[0:1]
	v_add_f64 v[100:101], v[100:101], v[102:103]
	v_mov_b32_e32 v102, s7
	s_add_i32 s7, s7, 1
	s_cmp_lg_u32 s22, s7
	v_cmp_lt_f64_e32 vcc, v[98:99], v[100:101]
	v_cndmask_b32_e32 v79, v79, v95, vcc
	v_cndmask_b32_e32 v78, v78, v94, vcc
	;; [unrolled: 1-line block ×5, first 2 shown]
	s_cbranch_scc1 .LBB36_24
.LBB36_25:
	s_waitcnt lgkmcnt(0)
	v_cmp_neq_f64_e32 vcc, 0, v[78:79]
	v_cmp_neq_f64_e64 s[0:1], 0, v[80:81]
	s_or_b64 s[8:9], vcc, s[0:1]
	s_and_saveexec_b64 s[0:1], s[8:9]
	s_cbranch_execz .LBB36_31
; %bb.26:
	v_cmp_ngt_f64_e64 s[8:9], |v[78:79]|, |v[80:81]|
	s_and_saveexec_b64 s[20:21], s[8:9]
	s_xor_b64 s[8:9], exec, s[20:21]
	s_cbranch_execz .LBB36_28
; %bb.27:
	v_div_scale_f64 v[94:95], s[20:21], v[80:81], v[80:81], v[78:79]
	v_rcp_f64_e32 v[96:97], v[94:95]
	v_fma_f64 v[98:99], -v[94:95], v[96:97], 1.0
	v_fma_f64 v[96:97], v[96:97], v[98:99], v[96:97]
	v_div_scale_f64 v[98:99], vcc, v[78:79], v[80:81], v[78:79]
	v_fma_f64 v[100:101], -v[94:95], v[96:97], 1.0
	v_fma_f64 v[96:97], v[96:97], v[100:101], v[96:97]
	v_mul_f64 v[100:101], v[98:99], v[96:97]
	v_fma_f64 v[94:95], -v[94:95], v[100:101], v[98:99]
	v_div_fmas_f64 v[94:95], v[94:95], v[96:97], v[100:101]
	v_div_fixup_f64 v[94:95], v[94:95], v[80:81], v[78:79]
	v_fma_f64 v[78:79], v[78:79], v[94:95], v[80:81]
	v_div_scale_f64 v[80:81], s[20:21], v[78:79], v[78:79], 1.0
	v_div_scale_f64 v[100:101], vcc, 1.0, v[78:79], 1.0
	v_rcp_f64_e32 v[96:97], v[80:81]
	v_fma_f64 v[98:99], -v[80:81], v[96:97], 1.0
	v_fma_f64 v[96:97], v[96:97], v[98:99], v[96:97]
	v_fma_f64 v[98:99], -v[80:81], v[96:97], 1.0
	v_fma_f64 v[96:97], v[96:97], v[98:99], v[96:97]
	v_mul_f64 v[98:99], v[100:101], v[96:97]
	v_fma_f64 v[80:81], -v[80:81], v[98:99], v[100:101]
	v_div_fmas_f64 v[80:81], v[80:81], v[96:97], v[98:99]
	v_div_fixup_f64 v[80:81], v[80:81], v[78:79], 1.0
	v_mul_f64 v[78:79], v[94:95], v[80:81]
	v_xor_b32_e32 v81, 0x80000000, v81
.LBB36_28:
	s_andn2_saveexec_b64 s[8:9], s[8:9]
	s_cbranch_execz .LBB36_30
; %bb.29:
	v_div_scale_f64 v[94:95], s[20:21], v[78:79], v[78:79], v[80:81]
	v_rcp_f64_e32 v[96:97], v[94:95]
	v_fma_f64 v[98:99], -v[94:95], v[96:97], 1.0
	v_fma_f64 v[96:97], v[96:97], v[98:99], v[96:97]
	v_div_scale_f64 v[98:99], vcc, v[80:81], v[78:79], v[80:81]
	v_fma_f64 v[100:101], -v[94:95], v[96:97], 1.0
	v_fma_f64 v[96:97], v[96:97], v[100:101], v[96:97]
	v_mul_f64 v[100:101], v[98:99], v[96:97]
	v_fma_f64 v[94:95], -v[94:95], v[100:101], v[98:99]
	v_div_fmas_f64 v[94:95], v[94:95], v[96:97], v[100:101]
	v_div_fixup_f64 v[94:95], v[94:95], v[78:79], v[80:81]
	v_fma_f64 v[78:79], v[80:81], v[94:95], v[78:79]
	v_div_scale_f64 v[80:81], s[20:21], v[78:79], v[78:79], 1.0
	v_div_scale_f64 v[100:101], vcc, 1.0, v[78:79], 1.0
	v_rcp_f64_e32 v[96:97], v[80:81]
	v_fma_f64 v[98:99], -v[80:81], v[96:97], 1.0
	v_fma_f64 v[96:97], v[96:97], v[98:99], v[96:97]
	v_fma_f64 v[98:99], -v[80:81], v[96:97], 1.0
	v_fma_f64 v[96:97], v[96:97], v[98:99], v[96:97]
	v_mul_f64 v[98:99], v[100:101], v[96:97]
	v_fma_f64 v[80:81], -v[80:81], v[98:99], v[100:101]
	v_div_fmas_f64 v[80:81], v[80:81], v[96:97], v[98:99]
	v_div_fixup_f64 v[78:79], v[80:81], v[78:79], 1.0
	v_mul_f64 v[80:81], v[94:95], -v[78:79]
.LBB36_30:
	s_or_b64 exec, exec, s[8:9]
	v_mov_b32_e32 v91, v93
.LBB36_31:
	s_or_b64 exec, exec, s[0:1]
	v_cmp_ne_u32_e32 vcc, v88, v86
	s_and_saveexec_b64 s[0:1], vcc
	s_xor_b64 s[0:1], exec, s[0:1]
	s_cbranch_execz .LBB36_37
; %bb.32:
	v_cmp_eq_u32_e32 vcc, 1, v88
	s_and_saveexec_b64 s[8:9], vcc
	s_cbranch_execz .LBB36_36
; %bb.33:
	v_cmp_ne_u32_e32 vcc, 1, v86
	s_xor_b64 s[20:21], s[18:19], -1
	s_and_b64 s[24:25], s[20:21], vcc
	s_and_saveexec_b64 s[20:21], s[24:25]
	s_cbranch_execz .LBB36_35
; %bb.34:
	v_ashrrev_i32_e32 v87, 31, v86
	v_lshlrev_b64 v[87:88], 2, v[86:87]
	v_add_co_u32_e32 v87, vcc, v84, v87
	v_addc_co_u32_e32 v88, vcc, v85, v88, vcc
	global_load_dword v0, v[87:88], off
	global_load_dword v93, v[84:85], off offset:4
	s_waitcnt vmcnt(1)
	global_store_dword v[84:85], v0, off offset:4
	s_waitcnt vmcnt(1)
	global_store_dword v[87:88], v93, off
.LBB36_35:
	s_or_b64 exec, exec, s[20:21]
	v_mov_b32_e32 v88, v86
	v_mov_b32_e32 v0, v86
.LBB36_36:
	s_or_b64 exec, exec, s[8:9]
.LBB36_37:
	s_andn2_saveexec_b64 s[0:1], s[0:1]
	s_cbranch_execz .LBB36_39
; %bb.38:
	v_mov_b32_e32 v88, 1
	ds_write2_b64 v1, v[62:63], v[64:65] offset0:4 offset1:5
	ds_write2_b64 v1, v[58:59], v[60:61] offset0:6 offset1:7
	;; [unrolled: 1-line block ×17, first 2 shown]
.LBB36_39:
	s_or_b64 exec, exec, s[0:1]
	v_cmp_lt_i32_e32 vcc, 1, v88
	s_waitcnt vmcnt(0) lgkmcnt(0)
	s_barrier
	s_and_saveexec_b64 s[0:1], vcc
	s_cbranch_execz .LBB36_41
; %bb.40:
	v_mul_f64 v[86:87], v[80:81], v[68:69]
	v_mul_f64 v[68:69], v[78:79], v[68:69]
	v_fma_f64 v[86:87], v[78:79], v[66:67], -v[86:87]
	v_fma_f64 v[68:69], v[80:81], v[66:67], v[68:69]
	ds_read2_b64 v[78:81], v1 offset0:4 offset1:5
	s_waitcnt lgkmcnt(0)
	v_mul_f64 v[66:67], v[80:81], v[68:69]
	v_fma_f64 v[66:67], v[78:79], v[86:87], -v[66:67]
	v_mul_f64 v[78:79], v[78:79], v[68:69]
	v_add_f64 v[62:63], v[62:63], -v[66:67]
	v_fma_f64 v[78:79], v[80:81], v[86:87], v[78:79]
	v_add_f64 v[64:65], v[64:65], -v[78:79]
	ds_read2_b64 v[78:81], v1 offset0:6 offset1:7
	s_waitcnt lgkmcnt(0)
	v_mul_f64 v[66:67], v[80:81], v[68:69]
	v_fma_f64 v[66:67], v[78:79], v[86:87], -v[66:67]
	v_mul_f64 v[78:79], v[78:79], v[68:69]
	v_add_f64 v[58:59], v[58:59], -v[66:67]
	v_fma_f64 v[78:79], v[80:81], v[86:87], v[78:79]
	v_add_f64 v[60:61], v[60:61], -v[78:79]
	;; [unrolled: 8-line block ×16, first 2 shown]
	ds_read2_b64 v[78:81], v1 offset0:36 offset1:37
	s_waitcnt lgkmcnt(0)
	v_mul_f64 v[66:67], v[80:81], v[68:69]
	v_fma_f64 v[66:67], v[78:79], v[86:87], -v[66:67]
	v_mul_f64 v[78:79], v[78:79], v[68:69]
	v_add_f64 v[74:75], v[74:75], -v[66:67]
	v_fma_f64 v[78:79], v[80:81], v[86:87], v[78:79]
	v_mov_b32_e32 v66, v86
	v_mov_b32_e32 v67, v87
	v_add_f64 v[76:77], v[76:77], -v[78:79]
.LBB36_41:
	s_or_b64 exec, exec, s[0:1]
	v_lshl_add_u32 v78, v88, 4, v1
	s_barrier
	ds_write2_b64 v78, v[62:63], v[64:65] offset1:1
	s_waitcnt lgkmcnt(0)
	s_barrier
	ds_read2_b64 v[78:81], v1 offset0:4 offset1:5
	s_cmp_lt_i32 s22, 4
	v_mov_b32_e32 v86, 2
	s_cbranch_scc1 .LBB36_44
; %bb.42:
	v_add3_u32 v87, v92, 0, 48
	s_mov_b32 s7, 3
	v_mov_b32_e32 v86, 2
.LBB36_43:                              ; =>This Inner Loop Header: Depth=1
	s_waitcnt lgkmcnt(0)
	v_cmp_gt_f64_e32 vcc, 0, v[80:81]
	v_cmp_gt_f64_e64 s[0:1], 0, v[78:79]
	ds_read2_b64 v[93:96], v87 offset1:1
	v_xor_b32_e32 v98, 0x80000000, v79
	v_xor_b32_e32 v100, 0x80000000, v81
	v_mov_b32_e32 v97, v78
	v_mov_b32_e32 v99, v80
	s_waitcnt lgkmcnt(0)
	v_xor_b32_e32 v102, 0x80000000, v96
	v_cndmask_b32_e32 v100, v81, v100, vcc
	v_cndmask_b32_e64 v98, v79, v98, s[0:1]
	v_cmp_gt_f64_e32 vcc, 0, v[95:96]
	v_cmp_gt_f64_e64 s[0:1], 0, v[93:94]
	v_add_f64 v[97:98], v[97:98], v[99:100]
	v_xor_b32_e32 v100, 0x80000000, v94
	v_mov_b32_e32 v99, v93
	v_mov_b32_e32 v101, v95
	v_add_u32_e32 v87, 16, v87
	v_cndmask_b32_e32 v102, v96, v102, vcc
	v_cndmask_b32_e64 v100, v94, v100, s[0:1]
	v_add_f64 v[99:100], v[99:100], v[101:102]
	v_mov_b32_e32 v101, s7
	s_add_i32 s7, s7, 1
	s_cmp_lg_u32 s22, s7
	v_cmp_lt_f64_e32 vcc, v[97:98], v[99:100]
	v_cndmask_b32_e32 v79, v79, v94, vcc
	v_cndmask_b32_e32 v78, v78, v93, vcc
	;; [unrolled: 1-line block ×5, first 2 shown]
	s_cbranch_scc1 .LBB36_43
.LBB36_44:
	s_waitcnt lgkmcnt(0)
	v_cmp_eq_f64_e32 vcc, 0, v[78:79]
	v_cmp_eq_f64_e64 s[0:1], 0, v[80:81]
	s_and_b64 s[0:1], vcc, s[0:1]
	s_and_saveexec_b64 s[8:9], s[0:1]
	s_xor_b64 s[0:1], exec, s[8:9]
; %bb.45:
	v_cmp_ne_u32_e32 vcc, 0, v91
	v_cndmask_b32_e32 v91, 3, v91, vcc
; %bb.46:
	s_andn2_saveexec_b64 s[0:1], s[0:1]
	s_cbranch_execz .LBB36_52
; %bb.47:
	v_cmp_ngt_f64_e64 s[8:9], |v[78:79]|, |v[80:81]|
	s_and_saveexec_b64 s[20:21], s[8:9]
	s_xor_b64 s[8:9], exec, s[20:21]
	s_cbranch_execz .LBB36_49
; %bb.48:
	v_div_scale_f64 v[93:94], s[20:21], v[80:81], v[80:81], v[78:79]
	v_rcp_f64_e32 v[95:96], v[93:94]
	v_fma_f64 v[97:98], -v[93:94], v[95:96], 1.0
	v_fma_f64 v[95:96], v[95:96], v[97:98], v[95:96]
	v_div_scale_f64 v[97:98], vcc, v[78:79], v[80:81], v[78:79]
	v_fma_f64 v[99:100], -v[93:94], v[95:96], 1.0
	v_fma_f64 v[95:96], v[95:96], v[99:100], v[95:96]
	v_mul_f64 v[99:100], v[97:98], v[95:96]
	v_fma_f64 v[93:94], -v[93:94], v[99:100], v[97:98]
	v_div_fmas_f64 v[93:94], v[93:94], v[95:96], v[99:100]
	v_div_fixup_f64 v[93:94], v[93:94], v[80:81], v[78:79]
	v_fma_f64 v[78:79], v[78:79], v[93:94], v[80:81]
	v_div_scale_f64 v[80:81], s[20:21], v[78:79], v[78:79], 1.0
	v_div_scale_f64 v[99:100], vcc, 1.0, v[78:79], 1.0
	v_rcp_f64_e32 v[95:96], v[80:81]
	v_fma_f64 v[97:98], -v[80:81], v[95:96], 1.0
	v_fma_f64 v[95:96], v[95:96], v[97:98], v[95:96]
	v_fma_f64 v[97:98], -v[80:81], v[95:96], 1.0
	v_fma_f64 v[95:96], v[95:96], v[97:98], v[95:96]
	v_mul_f64 v[97:98], v[99:100], v[95:96]
	v_fma_f64 v[80:81], -v[80:81], v[97:98], v[99:100]
	v_div_fmas_f64 v[80:81], v[80:81], v[95:96], v[97:98]
	v_div_fixup_f64 v[80:81], v[80:81], v[78:79], 1.0
	v_mul_f64 v[78:79], v[93:94], v[80:81]
	v_xor_b32_e32 v81, 0x80000000, v81
.LBB36_49:
	s_andn2_saveexec_b64 s[8:9], s[8:9]
	s_cbranch_execz .LBB36_51
; %bb.50:
	v_div_scale_f64 v[93:94], s[20:21], v[78:79], v[78:79], v[80:81]
	v_rcp_f64_e32 v[95:96], v[93:94]
	v_fma_f64 v[97:98], -v[93:94], v[95:96], 1.0
	v_fma_f64 v[95:96], v[95:96], v[97:98], v[95:96]
	v_div_scale_f64 v[97:98], vcc, v[80:81], v[78:79], v[80:81]
	v_fma_f64 v[99:100], -v[93:94], v[95:96], 1.0
	v_fma_f64 v[95:96], v[95:96], v[99:100], v[95:96]
	v_mul_f64 v[99:100], v[97:98], v[95:96]
	v_fma_f64 v[93:94], -v[93:94], v[99:100], v[97:98]
	v_div_fmas_f64 v[93:94], v[93:94], v[95:96], v[99:100]
	v_div_fixup_f64 v[93:94], v[93:94], v[78:79], v[80:81]
	v_fma_f64 v[78:79], v[80:81], v[93:94], v[78:79]
	v_div_scale_f64 v[80:81], s[20:21], v[78:79], v[78:79], 1.0
	v_div_scale_f64 v[99:100], vcc, 1.0, v[78:79], 1.0
	v_rcp_f64_e32 v[95:96], v[80:81]
	v_fma_f64 v[97:98], -v[80:81], v[95:96], 1.0
	v_fma_f64 v[95:96], v[95:96], v[97:98], v[95:96]
	v_fma_f64 v[97:98], -v[80:81], v[95:96], 1.0
	v_fma_f64 v[95:96], v[95:96], v[97:98], v[95:96]
	v_mul_f64 v[97:98], v[99:100], v[95:96]
	v_fma_f64 v[80:81], -v[80:81], v[97:98], v[99:100]
	v_div_fmas_f64 v[80:81], v[80:81], v[95:96], v[97:98]
	v_div_fixup_f64 v[78:79], v[80:81], v[78:79], 1.0
	v_mul_f64 v[80:81], v[93:94], -v[78:79]
.LBB36_51:
	s_or_b64 exec, exec, s[8:9]
.LBB36_52:
	s_or_b64 exec, exec, s[0:1]
	v_cmp_ne_u32_e32 vcc, v88, v86
	s_and_saveexec_b64 s[0:1], vcc
	s_xor_b64 s[0:1], exec, s[0:1]
	s_cbranch_execz .LBB36_58
; %bb.53:
	v_cmp_eq_u32_e32 vcc, 2, v88
	s_and_saveexec_b64 s[8:9], vcc
	s_cbranch_execz .LBB36_57
; %bb.54:
	v_cmp_ne_u32_e32 vcc, 2, v86
	s_xor_b64 s[20:21], s[18:19], -1
	s_and_b64 s[24:25], s[20:21], vcc
	s_and_saveexec_b64 s[20:21], s[24:25]
	s_cbranch_execz .LBB36_56
; %bb.55:
	v_ashrrev_i32_e32 v87, 31, v86
	v_lshlrev_b64 v[87:88], 2, v[86:87]
	v_add_co_u32_e32 v87, vcc, v84, v87
	v_addc_co_u32_e32 v88, vcc, v85, v88, vcc
	global_load_dword v0, v[87:88], off
	global_load_dword v93, v[84:85], off offset:8
	s_waitcnt vmcnt(1)
	global_store_dword v[84:85], v0, off offset:8
	s_waitcnt vmcnt(1)
	global_store_dword v[87:88], v93, off
.LBB36_56:
	s_or_b64 exec, exec, s[20:21]
	v_mov_b32_e32 v88, v86
	v_mov_b32_e32 v0, v86
.LBB36_57:
	s_or_b64 exec, exec, s[8:9]
.LBB36_58:
	s_andn2_saveexec_b64 s[0:1], s[0:1]
	s_cbranch_execz .LBB36_60
; %bb.59:
	v_mov_b32_e32 v88, 2
	ds_write2_b64 v1, v[58:59], v[60:61] offset0:6 offset1:7
	ds_write2_b64 v1, v[54:55], v[56:57] offset0:8 offset1:9
	;; [unrolled: 1-line block ×16, first 2 shown]
.LBB36_60:
	s_or_b64 exec, exec, s[0:1]
	v_cmp_lt_i32_e32 vcc, 2, v88
	s_waitcnt vmcnt(0) lgkmcnt(0)
	s_barrier
	s_and_saveexec_b64 s[0:1], vcc
	s_cbranch_execz .LBB36_62
; %bb.61:
	v_mul_f64 v[86:87], v[78:79], v[64:65]
	v_mul_f64 v[64:65], v[80:81], v[64:65]
	v_fma_f64 v[86:87], v[80:81], v[62:63], v[86:87]
	v_fma_f64 v[62:63], v[78:79], v[62:63], -v[64:65]
	ds_read2_b64 v[78:81], v1 offset0:6 offset1:7
	s_waitcnt lgkmcnt(0)
	v_mul_f64 v[64:65], v[80:81], v[86:87]
	v_fma_f64 v[64:65], v[78:79], v[62:63], -v[64:65]
	v_mul_f64 v[78:79], v[78:79], v[86:87]
	v_add_f64 v[58:59], v[58:59], -v[64:65]
	v_fma_f64 v[78:79], v[80:81], v[62:63], v[78:79]
	v_add_f64 v[60:61], v[60:61], -v[78:79]
	ds_read2_b64 v[78:81], v1 offset0:8 offset1:9
	s_waitcnt lgkmcnt(0)
	v_mul_f64 v[64:65], v[80:81], v[86:87]
	v_fma_f64 v[64:65], v[78:79], v[62:63], -v[64:65]
	v_mul_f64 v[78:79], v[78:79], v[86:87]
	v_add_f64 v[54:55], v[54:55], -v[64:65]
	v_fma_f64 v[78:79], v[80:81], v[62:63], v[78:79]
	v_add_f64 v[56:57], v[56:57], -v[78:79]
	;; [unrolled: 8-line block ×15, first 2 shown]
	ds_read2_b64 v[78:81], v1 offset0:36 offset1:37
	s_waitcnt lgkmcnt(0)
	v_mul_f64 v[64:65], v[80:81], v[86:87]
	v_fma_f64 v[64:65], v[78:79], v[62:63], -v[64:65]
	v_mul_f64 v[78:79], v[78:79], v[86:87]
	v_add_f64 v[74:75], v[74:75], -v[64:65]
	v_fma_f64 v[78:79], v[80:81], v[62:63], v[78:79]
	v_mov_b32_e32 v64, v86
	v_mov_b32_e32 v65, v87
	v_add_f64 v[76:77], v[76:77], -v[78:79]
.LBB36_62:
	s_or_b64 exec, exec, s[0:1]
	v_lshl_add_u32 v78, v88, 4, v1
	s_barrier
	ds_write2_b64 v78, v[58:59], v[60:61] offset1:1
	s_waitcnt lgkmcnt(0)
	s_barrier
	ds_read2_b64 v[78:81], v1 offset0:6 offset1:7
	s_mov_b32 s7, 4
	s_cmp_lt_i32 s22, 5
	v_mov_b32_e32 v86, 3
	s_cbranch_scc1 .LBB36_65
; %bb.63:
	v_add3_u32 v87, v92, 0, 64
	v_mov_b32_e32 v86, 3
.LBB36_64:                              ; =>This Inner Loop Header: Depth=1
	s_waitcnt lgkmcnt(0)
	v_cmp_gt_f64_e32 vcc, 0, v[80:81]
	v_cmp_gt_f64_e64 s[0:1], 0, v[78:79]
	ds_read2_b64 v[92:95], v87 offset1:1
	v_xor_b32_e32 v97, 0x80000000, v79
	v_xor_b32_e32 v99, 0x80000000, v81
	v_mov_b32_e32 v96, v78
	v_mov_b32_e32 v98, v80
	s_waitcnt lgkmcnt(0)
	v_xor_b32_e32 v101, 0x80000000, v95
	v_cndmask_b32_e32 v99, v81, v99, vcc
	v_cndmask_b32_e64 v97, v79, v97, s[0:1]
	v_cmp_gt_f64_e32 vcc, 0, v[94:95]
	v_cmp_gt_f64_e64 s[0:1], 0, v[92:93]
	v_add_f64 v[96:97], v[96:97], v[98:99]
	v_xor_b32_e32 v99, 0x80000000, v93
	v_mov_b32_e32 v98, v92
	v_mov_b32_e32 v100, v94
	v_add_u32_e32 v87, 16, v87
	v_cndmask_b32_e32 v101, v95, v101, vcc
	v_cndmask_b32_e64 v99, v93, v99, s[0:1]
	v_add_f64 v[98:99], v[98:99], v[100:101]
	v_mov_b32_e32 v100, s7
	s_add_i32 s7, s7, 1
	s_cmp_lg_u32 s22, s7
	v_cmp_lt_f64_e32 vcc, v[96:97], v[98:99]
	v_cndmask_b32_e32 v79, v79, v93, vcc
	v_cndmask_b32_e32 v78, v78, v92, vcc
	;; [unrolled: 1-line block ×5, first 2 shown]
	s_cbranch_scc1 .LBB36_64
.LBB36_65:
	s_waitcnt lgkmcnt(0)
	v_cmp_eq_f64_e32 vcc, 0, v[78:79]
	v_cmp_eq_f64_e64 s[0:1], 0, v[80:81]
	s_and_b64 s[0:1], vcc, s[0:1]
	s_and_saveexec_b64 s[8:9], s[0:1]
	s_xor_b64 s[0:1], exec, s[8:9]
; %bb.66:
	v_cmp_ne_u32_e32 vcc, 0, v91
	v_cndmask_b32_e32 v91, 4, v91, vcc
; %bb.67:
	s_andn2_saveexec_b64 s[0:1], s[0:1]
	s_cbranch_execz .LBB36_73
; %bb.68:
	v_cmp_ngt_f64_e64 s[8:9], |v[78:79]|, |v[80:81]|
	s_and_saveexec_b64 s[20:21], s[8:9]
	s_xor_b64 s[8:9], exec, s[20:21]
	s_cbranch_execz .LBB36_70
; %bb.69:
	v_div_scale_f64 v[92:93], s[20:21], v[80:81], v[80:81], v[78:79]
	v_rcp_f64_e32 v[94:95], v[92:93]
	v_fma_f64 v[96:97], -v[92:93], v[94:95], 1.0
	v_fma_f64 v[94:95], v[94:95], v[96:97], v[94:95]
	v_div_scale_f64 v[96:97], vcc, v[78:79], v[80:81], v[78:79]
	v_fma_f64 v[98:99], -v[92:93], v[94:95], 1.0
	v_fma_f64 v[94:95], v[94:95], v[98:99], v[94:95]
	v_mul_f64 v[98:99], v[96:97], v[94:95]
	v_fma_f64 v[92:93], -v[92:93], v[98:99], v[96:97]
	v_div_fmas_f64 v[92:93], v[92:93], v[94:95], v[98:99]
	v_div_fixup_f64 v[92:93], v[92:93], v[80:81], v[78:79]
	v_fma_f64 v[78:79], v[78:79], v[92:93], v[80:81]
	v_div_scale_f64 v[80:81], s[20:21], v[78:79], v[78:79], 1.0
	v_div_scale_f64 v[98:99], vcc, 1.0, v[78:79], 1.0
	v_rcp_f64_e32 v[94:95], v[80:81]
	v_fma_f64 v[96:97], -v[80:81], v[94:95], 1.0
	v_fma_f64 v[94:95], v[94:95], v[96:97], v[94:95]
	v_fma_f64 v[96:97], -v[80:81], v[94:95], 1.0
	v_fma_f64 v[94:95], v[94:95], v[96:97], v[94:95]
	v_mul_f64 v[96:97], v[98:99], v[94:95]
	v_fma_f64 v[80:81], -v[80:81], v[96:97], v[98:99]
	v_div_fmas_f64 v[80:81], v[80:81], v[94:95], v[96:97]
	v_div_fixup_f64 v[80:81], v[80:81], v[78:79], 1.0
	v_mul_f64 v[78:79], v[92:93], v[80:81]
	v_xor_b32_e32 v81, 0x80000000, v81
.LBB36_70:
	s_andn2_saveexec_b64 s[8:9], s[8:9]
	s_cbranch_execz .LBB36_72
; %bb.71:
	v_div_scale_f64 v[92:93], s[20:21], v[78:79], v[78:79], v[80:81]
	v_rcp_f64_e32 v[94:95], v[92:93]
	v_fma_f64 v[96:97], -v[92:93], v[94:95], 1.0
	v_fma_f64 v[94:95], v[94:95], v[96:97], v[94:95]
	v_div_scale_f64 v[96:97], vcc, v[80:81], v[78:79], v[80:81]
	v_fma_f64 v[98:99], -v[92:93], v[94:95], 1.0
	v_fma_f64 v[94:95], v[94:95], v[98:99], v[94:95]
	v_mul_f64 v[98:99], v[96:97], v[94:95]
	v_fma_f64 v[92:93], -v[92:93], v[98:99], v[96:97]
	v_div_fmas_f64 v[92:93], v[92:93], v[94:95], v[98:99]
	v_div_fixup_f64 v[92:93], v[92:93], v[78:79], v[80:81]
	v_fma_f64 v[78:79], v[80:81], v[92:93], v[78:79]
	v_div_scale_f64 v[80:81], s[20:21], v[78:79], v[78:79], 1.0
	v_div_scale_f64 v[98:99], vcc, 1.0, v[78:79], 1.0
	v_rcp_f64_e32 v[94:95], v[80:81]
	v_fma_f64 v[96:97], -v[80:81], v[94:95], 1.0
	v_fma_f64 v[94:95], v[94:95], v[96:97], v[94:95]
	v_fma_f64 v[96:97], -v[80:81], v[94:95], 1.0
	v_fma_f64 v[94:95], v[94:95], v[96:97], v[94:95]
	v_mul_f64 v[96:97], v[98:99], v[94:95]
	v_fma_f64 v[80:81], -v[80:81], v[96:97], v[98:99]
	v_div_fmas_f64 v[80:81], v[80:81], v[94:95], v[96:97]
	v_div_fixup_f64 v[78:79], v[80:81], v[78:79], 1.0
	v_mul_f64 v[80:81], v[92:93], -v[78:79]
.LBB36_72:
	s_or_b64 exec, exec, s[8:9]
.LBB36_73:
	s_or_b64 exec, exec, s[0:1]
	v_cmp_ne_u32_e32 vcc, v88, v86
	s_and_saveexec_b64 s[0:1], vcc
	s_xor_b64 s[0:1], exec, s[0:1]
	s_cbranch_execz .LBB36_79
; %bb.74:
	v_cmp_eq_u32_e32 vcc, 3, v88
	s_and_saveexec_b64 s[8:9], vcc
	s_cbranch_execz .LBB36_78
; %bb.75:
	v_cmp_ne_u32_e32 vcc, 3, v86
	s_xor_b64 s[20:21], s[18:19], -1
	s_and_b64 s[24:25], s[20:21], vcc
	s_and_saveexec_b64 s[20:21], s[24:25]
	s_cbranch_execz .LBB36_77
; %bb.76:
	v_ashrrev_i32_e32 v87, 31, v86
	v_lshlrev_b64 v[87:88], 2, v[86:87]
	v_add_co_u32_e32 v87, vcc, v84, v87
	v_addc_co_u32_e32 v88, vcc, v85, v88, vcc
	global_load_dword v0, v[87:88], off
	global_load_dword v92, v[84:85], off offset:12
	s_waitcnt vmcnt(1)
	global_store_dword v[84:85], v0, off offset:12
	s_waitcnt vmcnt(1)
	global_store_dword v[87:88], v92, off
.LBB36_77:
	s_or_b64 exec, exec, s[20:21]
	v_mov_b32_e32 v88, v86
	v_mov_b32_e32 v0, v86
.LBB36_78:
	s_or_b64 exec, exec, s[8:9]
.LBB36_79:
	s_andn2_saveexec_b64 s[0:1], s[0:1]
	s_cbranch_execz .LBB36_81
; %bb.80:
	v_mov_b32_e32 v88, 3
	ds_write2_b64 v1, v[54:55], v[56:57] offset0:8 offset1:9
	ds_write2_b64 v1, v[50:51], v[52:53] offset0:10 offset1:11
	;; [unrolled: 1-line block ×15, first 2 shown]
.LBB36_81:
	s_or_b64 exec, exec, s[0:1]
	v_cmp_lt_i32_e32 vcc, 3, v88
	s_waitcnt vmcnt(0) lgkmcnt(0)
	s_barrier
	s_and_saveexec_b64 s[0:1], vcc
	s_cbranch_execz .LBB36_83
; %bb.82:
	v_mul_f64 v[86:87], v[78:79], v[60:61]
	v_mul_f64 v[60:61], v[80:81], v[60:61]
	v_fma_f64 v[86:87], v[80:81], v[58:59], v[86:87]
	v_fma_f64 v[58:59], v[78:79], v[58:59], -v[60:61]
	ds_read2_b64 v[78:81], v1 offset0:8 offset1:9
	s_waitcnt lgkmcnt(0)
	v_mul_f64 v[60:61], v[80:81], v[86:87]
	v_fma_f64 v[60:61], v[78:79], v[58:59], -v[60:61]
	v_mul_f64 v[78:79], v[78:79], v[86:87]
	v_add_f64 v[54:55], v[54:55], -v[60:61]
	v_fma_f64 v[78:79], v[80:81], v[58:59], v[78:79]
	v_add_f64 v[56:57], v[56:57], -v[78:79]
	ds_read2_b64 v[78:81], v1 offset0:10 offset1:11
	s_waitcnt lgkmcnt(0)
	v_mul_f64 v[60:61], v[80:81], v[86:87]
	v_fma_f64 v[60:61], v[78:79], v[58:59], -v[60:61]
	v_mul_f64 v[78:79], v[78:79], v[86:87]
	v_add_f64 v[50:51], v[50:51], -v[60:61]
	v_fma_f64 v[78:79], v[80:81], v[58:59], v[78:79]
	v_add_f64 v[52:53], v[52:53], -v[78:79]
	;; [unrolled: 8-line block ×14, first 2 shown]
	ds_read2_b64 v[78:81], v1 offset0:36 offset1:37
	s_waitcnt lgkmcnt(0)
	v_mul_f64 v[60:61], v[80:81], v[86:87]
	v_fma_f64 v[60:61], v[78:79], v[58:59], -v[60:61]
	v_mul_f64 v[78:79], v[78:79], v[86:87]
	v_add_f64 v[74:75], v[74:75], -v[60:61]
	v_fma_f64 v[78:79], v[80:81], v[58:59], v[78:79]
	v_mov_b32_e32 v60, v86
	v_mov_b32_e32 v61, v87
	v_add_f64 v[76:77], v[76:77], -v[78:79]
.LBB36_83:
	s_or_b64 exec, exec, s[0:1]
	v_lshl_add_u32 v78, v88, 4, v1
	s_barrier
	ds_write2_b64 v78, v[54:55], v[56:57] offset1:1
	s_waitcnt lgkmcnt(0)
	s_barrier
	ds_read2_b64 v[78:81], v1 offset0:8 offset1:9
	s_cmp_lt_i32 s22, 6
	v_mov_b32_e32 v86, 4
	s_cbranch_scc1 .LBB36_86
; %bb.84:
	v_mov_b32_e32 v86, 4
	v_add_u32_e32 v87, 0x50, v1
	s_mov_b32 s7, 5
.LBB36_85:                              ; =>This Inner Loop Header: Depth=1
	s_waitcnt lgkmcnt(0)
	v_cmp_gt_f64_e32 vcc, 0, v[80:81]
	v_cmp_gt_f64_e64 s[0:1], 0, v[78:79]
	ds_read2_b64 v[92:95], v87 offset1:1
	v_xor_b32_e32 v97, 0x80000000, v79
	v_xor_b32_e32 v99, 0x80000000, v81
	v_mov_b32_e32 v96, v78
	v_mov_b32_e32 v98, v80
	s_waitcnt lgkmcnt(0)
	v_xor_b32_e32 v101, 0x80000000, v95
	v_cndmask_b32_e32 v99, v81, v99, vcc
	v_cndmask_b32_e64 v97, v79, v97, s[0:1]
	v_cmp_gt_f64_e32 vcc, 0, v[94:95]
	v_cmp_gt_f64_e64 s[0:1], 0, v[92:93]
	v_add_f64 v[96:97], v[96:97], v[98:99]
	v_xor_b32_e32 v99, 0x80000000, v93
	v_mov_b32_e32 v98, v92
	v_mov_b32_e32 v100, v94
	v_add_u32_e32 v87, 16, v87
	v_cndmask_b32_e32 v101, v95, v101, vcc
	v_cndmask_b32_e64 v99, v93, v99, s[0:1]
	v_add_f64 v[98:99], v[98:99], v[100:101]
	v_mov_b32_e32 v100, s7
	s_add_i32 s7, s7, 1
	s_cmp_lg_u32 s22, s7
	v_cmp_lt_f64_e32 vcc, v[96:97], v[98:99]
	v_cndmask_b32_e32 v79, v79, v93, vcc
	v_cndmask_b32_e32 v78, v78, v92, vcc
	;; [unrolled: 1-line block ×5, first 2 shown]
	s_cbranch_scc1 .LBB36_85
.LBB36_86:
	s_waitcnt lgkmcnt(0)
	v_cmp_eq_f64_e32 vcc, 0, v[78:79]
	v_cmp_eq_f64_e64 s[0:1], 0, v[80:81]
	s_and_b64 s[0:1], vcc, s[0:1]
	s_and_saveexec_b64 s[8:9], s[0:1]
	s_xor_b64 s[0:1], exec, s[8:9]
; %bb.87:
	v_cmp_ne_u32_e32 vcc, 0, v91
	v_cndmask_b32_e32 v91, 5, v91, vcc
; %bb.88:
	s_andn2_saveexec_b64 s[0:1], s[0:1]
	s_cbranch_execz .LBB36_94
; %bb.89:
	v_cmp_ngt_f64_e64 s[8:9], |v[78:79]|, |v[80:81]|
	s_and_saveexec_b64 s[20:21], s[8:9]
	s_xor_b64 s[8:9], exec, s[20:21]
	s_cbranch_execz .LBB36_91
; %bb.90:
	v_div_scale_f64 v[92:93], s[20:21], v[80:81], v[80:81], v[78:79]
	v_rcp_f64_e32 v[94:95], v[92:93]
	v_fma_f64 v[96:97], -v[92:93], v[94:95], 1.0
	v_fma_f64 v[94:95], v[94:95], v[96:97], v[94:95]
	v_div_scale_f64 v[96:97], vcc, v[78:79], v[80:81], v[78:79]
	v_fma_f64 v[98:99], -v[92:93], v[94:95], 1.0
	v_fma_f64 v[94:95], v[94:95], v[98:99], v[94:95]
	v_mul_f64 v[98:99], v[96:97], v[94:95]
	v_fma_f64 v[92:93], -v[92:93], v[98:99], v[96:97]
	v_div_fmas_f64 v[92:93], v[92:93], v[94:95], v[98:99]
	v_div_fixup_f64 v[92:93], v[92:93], v[80:81], v[78:79]
	v_fma_f64 v[78:79], v[78:79], v[92:93], v[80:81]
	v_div_scale_f64 v[80:81], s[20:21], v[78:79], v[78:79], 1.0
	v_div_scale_f64 v[98:99], vcc, 1.0, v[78:79], 1.0
	v_rcp_f64_e32 v[94:95], v[80:81]
	v_fma_f64 v[96:97], -v[80:81], v[94:95], 1.0
	v_fma_f64 v[94:95], v[94:95], v[96:97], v[94:95]
	v_fma_f64 v[96:97], -v[80:81], v[94:95], 1.0
	v_fma_f64 v[94:95], v[94:95], v[96:97], v[94:95]
	v_mul_f64 v[96:97], v[98:99], v[94:95]
	v_fma_f64 v[80:81], -v[80:81], v[96:97], v[98:99]
	v_div_fmas_f64 v[80:81], v[80:81], v[94:95], v[96:97]
	v_div_fixup_f64 v[80:81], v[80:81], v[78:79], 1.0
	v_mul_f64 v[78:79], v[92:93], v[80:81]
	v_xor_b32_e32 v81, 0x80000000, v81
.LBB36_91:
	s_andn2_saveexec_b64 s[8:9], s[8:9]
	s_cbranch_execz .LBB36_93
; %bb.92:
	v_div_scale_f64 v[92:93], s[20:21], v[78:79], v[78:79], v[80:81]
	v_rcp_f64_e32 v[94:95], v[92:93]
	v_fma_f64 v[96:97], -v[92:93], v[94:95], 1.0
	v_fma_f64 v[94:95], v[94:95], v[96:97], v[94:95]
	v_div_scale_f64 v[96:97], vcc, v[80:81], v[78:79], v[80:81]
	v_fma_f64 v[98:99], -v[92:93], v[94:95], 1.0
	v_fma_f64 v[94:95], v[94:95], v[98:99], v[94:95]
	v_mul_f64 v[98:99], v[96:97], v[94:95]
	v_fma_f64 v[92:93], -v[92:93], v[98:99], v[96:97]
	v_div_fmas_f64 v[92:93], v[92:93], v[94:95], v[98:99]
	v_div_fixup_f64 v[92:93], v[92:93], v[78:79], v[80:81]
	v_fma_f64 v[78:79], v[80:81], v[92:93], v[78:79]
	v_div_scale_f64 v[80:81], s[20:21], v[78:79], v[78:79], 1.0
	v_div_scale_f64 v[98:99], vcc, 1.0, v[78:79], 1.0
	v_rcp_f64_e32 v[94:95], v[80:81]
	v_fma_f64 v[96:97], -v[80:81], v[94:95], 1.0
	v_fma_f64 v[94:95], v[94:95], v[96:97], v[94:95]
	v_fma_f64 v[96:97], -v[80:81], v[94:95], 1.0
	v_fma_f64 v[94:95], v[94:95], v[96:97], v[94:95]
	v_mul_f64 v[96:97], v[98:99], v[94:95]
	v_fma_f64 v[80:81], -v[80:81], v[96:97], v[98:99]
	v_div_fmas_f64 v[80:81], v[80:81], v[94:95], v[96:97]
	v_div_fixup_f64 v[78:79], v[80:81], v[78:79], 1.0
	v_mul_f64 v[80:81], v[92:93], -v[78:79]
.LBB36_93:
	s_or_b64 exec, exec, s[8:9]
.LBB36_94:
	s_or_b64 exec, exec, s[0:1]
	v_cmp_ne_u32_e32 vcc, v88, v86
	s_and_saveexec_b64 s[0:1], vcc
	s_xor_b64 s[0:1], exec, s[0:1]
	s_cbranch_execz .LBB36_100
; %bb.95:
	v_cmp_eq_u32_e32 vcc, 4, v88
	s_and_saveexec_b64 s[8:9], vcc
	s_cbranch_execz .LBB36_99
; %bb.96:
	v_cmp_ne_u32_e32 vcc, 4, v86
	s_xor_b64 s[20:21], s[18:19], -1
	s_and_b64 s[24:25], s[20:21], vcc
	s_and_saveexec_b64 s[20:21], s[24:25]
	s_cbranch_execz .LBB36_98
; %bb.97:
	v_ashrrev_i32_e32 v87, 31, v86
	v_lshlrev_b64 v[87:88], 2, v[86:87]
	v_add_co_u32_e32 v87, vcc, v84, v87
	v_addc_co_u32_e32 v88, vcc, v85, v88, vcc
	global_load_dword v0, v[87:88], off
	global_load_dword v92, v[84:85], off offset:16
	s_waitcnt vmcnt(1)
	global_store_dword v[84:85], v0, off offset:16
	s_waitcnt vmcnt(1)
	global_store_dword v[87:88], v92, off
.LBB36_98:
	s_or_b64 exec, exec, s[20:21]
	v_mov_b32_e32 v88, v86
	v_mov_b32_e32 v0, v86
.LBB36_99:
	s_or_b64 exec, exec, s[8:9]
.LBB36_100:
	s_andn2_saveexec_b64 s[0:1], s[0:1]
	s_cbranch_execz .LBB36_102
; %bb.101:
	v_mov_b32_e32 v88, 4
	ds_write2_b64 v1, v[50:51], v[52:53] offset0:10 offset1:11
	ds_write2_b64 v1, v[46:47], v[48:49] offset0:12 offset1:13
	;; [unrolled: 1-line block ×14, first 2 shown]
.LBB36_102:
	s_or_b64 exec, exec, s[0:1]
	v_cmp_lt_i32_e32 vcc, 4, v88
	s_waitcnt vmcnt(0) lgkmcnt(0)
	s_barrier
	s_and_saveexec_b64 s[0:1], vcc
	s_cbranch_execz .LBB36_104
; %bb.103:
	v_mul_f64 v[86:87], v[78:79], v[56:57]
	v_mul_f64 v[56:57], v[80:81], v[56:57]
	v_fma_f64 v[86:87], v[80:81], v[54:55], v[86:87]
	v_fma_f64 v[54:55], v[78:79], v[54:55], -v[56:57]
	ds_read2_b64 v[78:81], v1 offset0:10 offset1:11
	s_waitcnt lgkmcnt(0)
	v_mul_f64 v[56:57], v[80:81], v[86:87]
	v_fma_f64 v[56:57], v[78:79], v[54:55], -v[56:57]
	v_mul_f64 v[78:79], v[78:79], v[86:87]
	v_add_f64 v[50:51], v[50:51], -v[56:57]
	v_fma_f64 v[78:79], v[80:81], v[54:55], v[78:79]
	v_add_f64 v[52:53], v[52:53], -v[78:79]
	ds_read2_b64 v[78:81], v1 offset0:12 offset1:13
	s_waitcnt lgkmcnt(0)
	v_mul_f64 v[56:57], v[80:81], v[86:87]
	v_fma_f64 v[56:57], v[78:79], v[54:55], -v[56:57]
	v_mul_f64 v[78:79], v[78:79], v[86:87]
	v_add_f64 v[46:47], v[46:47], -v[56:57]
	v_fma_f64 v[78:79], v[80:81], v[54:55], v[78:79]
	v_add_f64 v[48:49], v[48:49], -v[78:79]
	;; [unrolled: 8-line block ×13, first 2 shown]
	ds_read2_b64 v[78:81], v1 offset0:36 offset1:37
	s_waitcnt lgkmcnt(0)
	v_mul_f64 v[56:57], v[80:81], v[86:87]
	v_fma_f64 v[56:57], v[78:79], v[54:55], -v[56:57]
	v_mul_f64 v[78:79], v[78:79], v[86:87]
	v_add_f64 v[74:75], v[74:75], -v[56:57]
	v_fma_f64 v[78:79], v[80:81], v[54:55], v[78:79]
	v_mov_b32_e32 v56, v86
	v_mov_b32_e32 v57, v87
	v_add_f64 v[76:77], v[76:77], -v[78:79]
.LBB36_104:
	s_or_b64 exec, exec, s[0:1]
	v_lshl_add_u32 v78, v88, 4, v1
	s_barrier
	ds_write2_b64 v78, v[50:51], v[52:53] offset1:1
	s_waitcnt lgkmcnt(0)
	s_barrier
	ds_read2_b64 v[78:81], v1 offset0:10 offset1:11
	s_cmp_lt_i32 s22, 7
	v_mov_b32_e32 v86, 5
	s_cbranch_scc1 .LBB36_107
; %bb.105:
	v_add_u32_e32 v87, 0x60, v1
	s_mov_b32 s7, 6
	v_mov_b32_e32 v86, 5
.LBB36_106:                             ; =>This Inner Loop Header: Depth=1
	s_waitcnt lgkmcnt(0)
	v_cmp_gt_f64_e32 vcc, 0, v[80:81]
	v_cmp_gt_f64_e64 s[0:1], 0, v[78:79]
	ds_read2_b64 v[92:95], v87 offset1:1
	v_xor_b32_e32 v97, 0x80000000, v79
	v_xor_b32_e32 v99, 0x80000000, v81
	v_mov_b32_e32 v96, v78
	v_mov_b32_e32 v98, v80
	s_waitcnt lgkmcnt(0)
	v_xor_b32_e32 v101, 0x80000000, v95
	v_cndmask_b32_e32 v99, v81, v99, vcc
	v_cndmask_b32_e64 v97, v79, v97, s[0:1]
	v_cmp_gt_f64_e32 vcc, 0, v[94:95]
	v_cmp_gt_f64_e64 s[0:1], 0, v[92:93]
	v_add_f64 v[96:97], v[96:97], v[98:99]
	v_xor_b32_e32 v99, 0x80000000, v93
	v_mov_b32_e32 v98, v92
	v_mov_b32_e32 v100, v94
	v_add_u32_e32 v87, 16, v87
	v_cndmask_b32_e32 v101, v95, v101, vcc
	v_cndmask_b32_e64 v99, v93, v99, s[0:1]
	v_add_f64 v[98:99], v[98:99], v[100:101]
	v_mov_b32_e32 v100, s7
	s_add_i32 s7, s7, 1
	s_cmp_lg_u32 s22, s7
	v_cmp_lt_f64_e32 vcc, v[96:97], v[98:99]
	v_cndmask_b32_e32 v79, v79, v93, vcc
	v_cndmask_b32_e32 v78, v78, v92, vcc
	;; [unrolled: 1-line block ×5, first 2 shown]
	s_cbranch_scc1 .LBB36_106
.LBB36_107:
	s_waitcnt lgkmcnt(0)
	v_cmp_eq_f64_e32 vcc, 0, v[78:79]
	v_cmp_eq_f64_e64 s[0:1], 0, v[80:81]
	s_and_b64 s[0:1], vcc, s[0:1]
	s_and_saveexec_b64 s[8:9], s[0:1]
	s_xor_b64 s[0:1], exec, s[8:9]
; %bb.108:
	v_cmp_ne_u32_e32 vcc, 0, v91
	v_cndmask_b32_e32 v91, 6, v91, vcc
; %bb.109:
	s_andn2_saveexec_b64 s[0:1], s[0:1]
	s_cbranch_execz .LBB36_115
; %bb.110:
	v_cmp_ngt_f64_e64 s[8:9], |v[78:79]|, |v[80:81]|
	s_and_saveexec_b64 s[20:21], s[8:9]
	s_xor_b64 s[8:9], exec, s[20:21]
	s_cbranch_execz .LBB36_112
; %bb.111:
	v_div_scale_f64 v[92:93], s[20:21], v[80:81], v[80:81], v[78:79]
	v_rcp_f64_e32 v[94:95], v[92:93]
	v_fma_f64 v[96:97], -v[92:93], v[94:95], 1.0
	v_fma_f64 v[94:95], v[94:95], v[96:97], v[94:95]
	v_div_scale_f64 v[96:97], vcc, v[78:79], v[80:81], v[78:79]
	v_fma_f64 v[98:99], -v[92:93], v[94:95], 1.0
	v_fma_f64 v[94:95], v[94:95], v[98:99], v[94:95]
	v_mul_f64 v[98:99], v[96:97], v[94:95]
	v_fma_f64 v[92:93], -v[92:93], v[98:99], v[96:97]
	v_div_fmas_f64 v[92:93], v[92:93], v[94:95], v[98:99]
	v_div_fixup_f64 v[92:93], v[92:93], v[80:81], v[78:79]
	v_fma_f64 v[78:79], v[78:79], v[92:93], v[80:81]
	v_div_scale_f64 v[80:81], s[20:21], v[78:79], v[78:79], 1.0
	v_div_scale_f64 v[98:99], vcc, 1.0, v[78:79], 1.0
	v_rcp_f64_e32 v[94:95], v[80:81]
	v_fma_f64 v[96:97], -v[80:81], v[94:95], 1.0
	v_fma_f64 v[94:95], v[94:95], v[96:97], v[94:95]
	v_fma_f64 v[96:97], -v[80:81], v[94:95], 1.0
	v_fma_f64 v[94:95], v[94:95], v[96:97], v[94:95]
	v_mul_f64 v[96:97], v[98:99], v[94:95]
	v_fma_f64 v[80:81], -v[80:81], v[96:97], v[98:99]
	v_div_fmas_f64 v[80:81], v[80:81], v[94:95], v[96:97]
	v_div_fixup_f64 v[80:81], v[80:81], v[78:79], 1.0
	v_mul_f64 v[78:79], v[92:93], v[80:81]
	v_xor_b32_e32 v81, 0x80000000, v81
.LBB36_112:
	s_andn2_saveexec_b64 s[8:9], s[8:9]
	s_cbranch_execz .LBB36_114
; %bb.113:
	v_div_scale_f64 v[92:93], s[20:21], v[78:79], v[78:79], v[80:81]
	v_rcp_f64_e32 v[94:95], v[92:93]
	v_fma_f64 v[96:97], -v[92:93], v[94:95], 1.0
	v_fma_f64 v[94:95], v[94:95], v[96:97], v[94:95]
	v_div_scale_f64 v[96:97], vcc, v[80:81], v[78:79], v[80:81]
	v_fma_f64 v[98:99], -v[92:93], v[94:95], 1.0
	v_fma_f64 v[94:95], v[94:95], v[98:99], v[94:95]
	v_mul_f64 v[98:99], v[96:97], v[94:95]
	v_fma_f64 v[92:93], -v[92:93], v[98:99], v[96:97]
	v_div_fmas_f64 v[92:93], v[92:93], v[94:95], v[98:99]
	v_div_fixup_f64 v[92:93], v[92:93], v[78:79], v[80:81]
	v_fma_f64 v[78:79], v[80:81], v[92:93], v[78:79]
	v_div_scale_f64 v[80:81], s[20:21], v[78:79], v[78:79], 1.0
	v_div_scale_f64 v[98:99], vcc, 1.0, v[78:79], 1.0
	v_rcp_f64_e32 v[94:95], v[80:81]
	v_fma_f64 v[96:97], -v[80:81], v[94:95], 1.0
	v_fma_f64 v[94:95], v[94:95], v[96:97], v[94:95]
	v_fma_f64 v[96:97], -v[80:81], v[94:95], 1.0
	v_fma_f64 v[94:95], v[94:95], v[96:97], v[94:95]
	v_mul_f64 v[96:97], v[98:99], v[94:95]
	v_fma_f64 v[80:81], -v[80:81], v[96:97], v[98:99]
	v_div_fmas_f64 v[80:81], v[80:81], v[94:95], v[96:97]
	v_div_fixup_f64 v[78:79], v[80:81], v[78:79], 1.0
	v_mul_f64 v[80:81], v[92:93], -v[78:79]
.LBB36_114:
	s_or_b64 exec, exec, s[8:9]
.LBB36_115:
	s_or_b64 exec, exec, s[0:1]
	v_cmp_ne_u32_e32 vcc, v88, v86
	s_and_saveexec_b64 s[0:1], vcc
	s_xor_b64 s[0:1], exec, s[0:1]
	s_cbranch_execz .LBB36_121
; %bb.116:
	v_cmp_eq_u32_e32 vcc, 5, v88
	s_and_saveexec_b64 s[8:9], vcc
	s_cbranch_execz .LBB36_120
; %bb.117:
	v_cmp_ne_u32_e32 vcc, 5, v86
	s_xor_b64 s[20:21], s[18:19], -1
	s_and_b64 s[24:25], s[20:21], vcc
	s_and_saveexec_b64 s[20:21], s[24:25]
	s_cbranch_execz .LBB36_119
; %bb.118:
	v_ashrrev_i32_e32 v87, 31, v86
	v_lshlrev_b64 v[87:88], 2, v[86:87]
	v_add_co_u32_e32 v87, vcc, v84, v87
	v_addc_co_u32_e32 v88, vcc, v85, v88, vcc
	global_load_dword v0, v[87:88], off
	global_load_dword v92, v[84:85], off offset:20
	s_waitcnt vmcnt(1)
	global_store_dword v[84:85], v0, off offset:20
	s_waitcnt vmcnt(1)
	global_store_dword v[87:88], v92, off
.LBB36_119:
	s_or_b64 exec, exec, s[20:21]
	v_mov_b32_e32 v88, v86
	v_mov_b32_e32 v0, v86
.LBB36_120:
	s_or_b64 exec, exec, s[8:9]
.LBB36_121:
	s_andn2_saveexec_b64 s[0:1], s[0:1]
	s_cbranch_execz .LBB36_123
; %bb.122:
	v_mov_b32_e32 v88, 5
	ds_write2_b64 v1, v[46:47], v[48:49] offset0:12 offset1:13
	ds_write2_b64 v1, v[42:43], v[44:45] offset0:14 offset1:15
	;; [unrolled: 1-line block ×13, first 2 shown]
.LBB36_123:
	s_or_b64 exec, exec, s[0:1]
	v_cmp_lt_i32_e32 vcc, 5, v88
	s_waitcnt vmcnt(0) lgkmcnt(0)
	s_barrier
	s_and_saveexec_b64 s[0:1], vcc
	s_cbranch_execz .LBB36_125
; %bb.124:
	v_mul_f64 v[86:87], v[78:79], v[52:53]
	v_mul_f64 v[52:53], v[80:81], v[52:53]
	v_fma_f64 v[86:87], v[80:81], v[50:51], v[86:87]
	v_fma_f64 v[50:51], v[78:79], v[50:51], -v[52:53]
	ds_read2_b64 v[78:81], v1 offset0:12 offset1:13
	s_waitcnt lgkmcnt(0)
	v_mul_f64 v[52:53], v[80:81], v[86:87]
	v_fma_f64 v[52:53], v[78:79], v[50:51], -v[52:53]
	v_mul_f64 v[78:79], v[78:79], v[86:87]
	v_add_f64 v[46:47], v[46:47], -v[52:53]
	v_fma_f64 v[78:79], v[80:81], v[50:51], v[78:79]
	v_add_f64 v[48:49], v[48:49], -v[78:79]
	ds_read2_b64 v[78:81], v1 offset0:14 offset1:15
	s_waitcnt lgkmcnt(0)
	v_mul_f64 v[52:53], v[80:81], v[86:87]
	v_fma_f64 v[52:53], v[78:79], v[50:51], -v[52:53]
	v_mul_f64 v[78:79], v[78:79], v[86:87]
	v_add_f64 v[42:43], v[42:43], -v[52:53]
	v_fma_f64 v[78:79], v[80:81], v[50:51], v[78:79]
	v_add_f64 v[44:45], v[44:45], -v[78:79]
	;; [unrolled: 8-line block ×12, first 2 shown]
	ds_read2_b64 v[78:81], v1 offset0:36 offset1:37
	s_waitcnt lgkmcnt(0)
	v_mul_f64 v[52:53], v[80:81], v[86:87]
	v_fma_f64 v[52:53], v[78:79], v[50:51], -v[52:53]
	v_mul_f64 v[78:79], v[78:79], v[86:87]
	v_add_f64 v[74:75], v[74:75], -v[52:53]
	v_fma_f64 v[78:79], v[80:81], v[50:51], v[78:79]
	v_mov_b32_e32 v52, v86
	v_mov_b32_e32 v53, v87
	v_add_f64 v[76:77], v[76:77], -v[78:79]
.LBB36_125:
	s_or_b64 exec, exec, s[0:1]
	v_lshl_add_u32 v78, v88, 4, v1
	s_barrier
	ds_write2_b64 v78, v[46:47], v[48:49] offset1:1
	s_waitcnt lgkmcnt(0)
	s_barrier
	ds_read2_b64 v[78:81], v1 offset0:12 offset1:13
	s_cmp_lt_i32 s22, 8
	v_mov_b32_e32 v86, 6
	s_cbranch_scc1 .LBB36_128
; %bb.126:
	v_add_u32_e32 v87, 0x70, v1
	s_mov_b32 s7, 7
	v_mov_b32_e32 v86, 6
.LBB36_127:                             ; =>This Inner Loop Header: Depth=1
	s_waitcnt lgkmcnt(0)
	v_cmp_gt_f64_e32 vcc, 0, v[80:81]
	v_cmp_gt_f64_e64 s[0:1], 0, v[78:79]
	ds_read2_b64 v[92:95], v87 offset1:1
	v_xor_b32_e32 v97, 0x80000000, v79
	v_xor_b32_e32 v99, 0x80000000, v81
	v_mov_b32_e32 v96, v78
	v_mov_b32_e32 v98, v80
	s_waitcnt lgkmcnt(0)
	v_xor_b32_e32 v101, 0x80000000, v95
	v_cndmask_b32_e32 v99, v81, v99, vcc
	v_cndmask_b32_e64 v97, v79, v97, s[0:1]
	v_cmp_gt_f64_e32 vcc, 0, v[94:95]
	v_cmp_gt_f64_e64 s[0:1], 0, v[92:93]
	v_add_f64 v[96:97], v[96:97], v[98:99]
	v_xor_b32_e32 v99, 0x80000000, v93
	v_mov_b32_e32 v98, v92
	v_mov_b32_e32 v100, v94
	v_add_u32_e32 v87, 16, v87
	v_cndmask_b32_e32 v101, v95, v101, vcc
	v_cndmask_b32_e64 v99, v93, v99, s[0:1]
	v_add_f64 v[98:99], v[98:99], v[100:101]
	v_mov_b32_e32 v100, s7
	s_add_i32 s7, s7, 1
	s_cmp_lg_u32 s22, s7
	v_cmp_lt_f64_e32 vcc, v[96:97], v[98:99]
	v_cndmask_b32_e32 v79, v79, v93, vcc
	v_cndmask_b32_e32 v78, v78, v92, vcc
	;; [unrolled: 1-line block ×5, first 2 shown]
	s_cbranch_scc1 .LBB36_127
.LBB36_128:
	s_waitcnt lgkmcnt(0)
	v_cmp_eq_f64_e32 vcc, 0, v[78:79]
	v_cmp_eq_f64_e64 s[0:1], 0, v[80:81]
	s_and_b64 s[0:1], vcc, s[0:1]
	s_and_saveexec_b64 s[8:9], s[0:1]
	s_xor_b64 s[0:1], exec, s[8:9]
; %bb.129:
	v_cmp_ne_u32_e32 vcc, 0, v91
	v_cndmask_b32_e32 v91, 7, v91, vcc
; %bb.130:
	s_andn2_saveexec_b64 s[0:1], s[0:1]
	s_cbranch_execz .LBB36_136
; %bb.131:
	v_cmp_ngt_f64_e64 s[8:9], |v[78:79]|, |v[80:81]|
	s_and_saveexec_b64 s[20:21], s[8:9]
	s_xor_b64 s[8:9], exec, s[20:21]
	s_cbranch_execz .LBB36_133
; %bb.132:
	v_div_scale_f64 v[92:93], s[20:21], v[80:81], v[80:81], v[78:79]
	v_rcp_f64_e32 v[94:95], v[92:93]
	v_fma_f64 v[96:97], -v[92:93], v[94:95], 1.0
	v_fma_f64 v[94:95], v[94:95], v[96:97], v[94:95]
	v_div_scale_f64 v[96:97], vcc, v[78:79], v[80:81], v[78:79]
	v_fma_f64 v[98:99], -v[92:93], v[94:95], 1.0
	v_fma_f64 v[94:95], v[94:95], v[98:99], v[94:95]
	v_mul_f64 v[98:99], v[96:97], v[94:95]
	v_fma_f64 v[92:93], -v[92:93], v[98:99], v[96:97]
	v_div_fmas_f64 v[92:93], v[92:93], v[94:95], v[98:99]
	v_div_fixup_f64 v[92:93], v[92:93], v[80:81], v[78:79]
	v_fma_f64 v[78:79], v[78:79], v[92:93], v[80:81]
	v_div_scale_f64 v[80:81], s[20:21], v[78:79], v[78:79], 1.0
	v_div_scale_f64 v[98:99], vcc, 1.0, v[78:79], 1.0
	v_rcp_f64_e32 v[94:95], v[80:81]
	v_fma_f64 v[96:97], -v[80:81], v[94:95], 1.0
	v_fma_f64 v[94:95], v[94:95], v[96:97], v[94:95]
	v_fma_f64 v[96:97], -v[80:81], v[94:95], 1.0
	v_fma_f64 v[94:95], v[94:95], v[96:97], v[94:95]
	v_mul_f64 v[96:97], v[98:99], v[94:95]
	v_fma_f64 v[80:81], -v[80:81], v[96:97], v[98:99]
	v_div_fmas_f64 v[80:81], v[80:81], v[94:95], v[96:97]
	v_div_fixup_f64 v[80:81], v[80:81], v[78:79], 1.0
	v_mul_f64 v[78:79], v[92:93], v[80:81]
	v_xor_b32_e32 v81, 0x80000000, v81
.LBB36_133:
	s_andn2_saveexec_b64 s[8:9], s[8:9]
	s_cbranch_execz .LBB36_135
; %bb.134:
	v_div_scale_f64 v[92:93], s[20:21], v[78:79], v[78:79], v[80:81]
	v_rcp_f64_e32 v[94:95], v[92:93]
	v_fma_f64 v[96:97], -v[92:93], v[94:95], 1.0
	v_fma_f64 v[94:95], v[94:95], v[96:97], v[94:95]
	v_div_scale_f64 v[96:97], vcc, v[80:81], v[78:79], v[80:81]
	v_fma_f64 v[98:99], -v[92:93], v[94:95], 1.0
	v_fma_f64 v[94:95], v[94:95], v[98:99], v[94:95]
	v_mul_f64 v[98:99], v[96:97], v[94:95]
	v_fma_f64 v[92:93], -v[92:93], v[98:99], v[96:97]
	v_div_fmas_f64 v[92:93], v[92:93], v[94:95], v[98:99]
	v_div_fixup_f64 v[92:93], v[92:93], v[78:79], v[80:81]
	v_fma_f64 v[78:79], v[80:81], v[92:93], v[78:79]
	v_div_scale_f64 v[80:81], s[20:21], v[78:79], v[78:79], 1.0
	v_div_scale_f64 v[98:99], vcc, 1.0, v[78:79], 1.0
	v_rcp_f64_e32 v[94:95], v[80:81]
	v_fma_f64 v[96:97], -v[80:81], v[94:95], 1.0
	v_fma_f64 v[94:95], v[94:95], v[96:97], v[94:95]
	v_fma_f64 v[96:97], -v[80:81], v[94:95], 1.0
	v_fma_f64 v[94:95], v[94:95], v[96:97], v[94:95]
	v_mul_f64 v[96:97], v[98:99], v[94:95]
	v_fma_f64 v[80:81], -v[80:81], v[96:97], v[98:99]
	v_div_fmas_f64 v[80:81], v[80:81], v[94:95], v[96:97]
	v_div_fixup_f64 v[78:79], v[80:81], v[78:79], 1.0
	v_mul_f64 v[80:81], v[92:93], -v[78:79]
.LBB36_135:
	s_or_b64 exec, exec, s[8:9]
.LBB36_136:
	s_or_b64 exec, exec, s[0:1]
	v_cmp_ne_u32_e32 vcc, v88, v86
	s_and_saveexec_b64 s[0:1], vcc
	s_xor_b64 s[0:1], exec, s[0:1]
	s_cbranch_execz .LBB36_142
; %bb.137:
	v_cmp_eq_u32_e32 vcc, 6, v88
	s_and_saveexec_b64 s[8:9], vcc
	s_cbranch_execz .LBB36_141
; %bb.138:
	v_cmp_ne_u32_e32 vcc, 6, v86
	s_xor_b64 s[20:21], s[18:19], -1
	s_and_b64 s[24:25], s[20:21], vcc
	s_and_saveexec_b64 s[20:21], s[24:25]
	s_cbranch_execz .LBB36_140
; %bb.139:
	v_ashrrev_i32_e32 v87, 31, v86
	v_lshlrev_b64 v[87:88], 2, v[86:87]
	v_add_co_u32_e32 v87, vcc, v84, v87
	v_addc_co_u32_e32 v88, vcc, v85, v88, vcc
	global_load_dword v0, v[87:88], off
	global_load_dword v92, v[84:85], off offset:24
	s_waitcnt vmcnt(1)
	global_store_dword v[84:85], v0, off offset:24
	s_waitcnt vmcnt(1)
	global_store_dword v[87:88], v92, off
.LBB36_140:
	s_or_b64 exec, exec, s[20:21]
	v_mov_b32_e32 v88, v86
	v_mov_b32_e32 v0, v86
.LBB36_141:
	s_or_b64 exec, exec, s[8:9]
.LBB36_142:
	s_andn2_saveexec_b64 s[0:1], s[0:1]
	s_cbranch_execz .LBB36_144
; %bb.143:
	v_mov_b32_e32 v88, 6
	ds_write2_b64 v1, v[42:43], v[44:45] offset0:14 offset1:15
	ds_write2_b64 v1, v[38:39], v[40:41] offset0:16 offset1:17
	;; [unrolled: 1-line block ×12, first 2 shown]
.LBB36_144:
	s_or_b64 exec, exec, s[0:1]
	v_cmp_lt_i32_e32 vcc, 6, v88
	s_waitcnt vmcnt(0) lgkmcnt(0)
	s_barrier
	s_and_saveexec_b64 s[0:1], vcc
	s_cbranch_execz .LBB36_146
; %bb.145:
	v_mul_f64 v[86:87], v[78:79], v[48:49]
	v_mul_f64 v[48:49], v[80:81], v[48:49]
	ds_read2_b64 v[92:95], v1 offset0:14 offset1:15
	ds_read2_b64 v[96:99], v1 offset0:16 offset1:17
	;; [unrolled: 1-line block ×6, first 2 shown]
	v_fma_f64 v[86:87], v[80:81], v[46:47], v[86:87]
	v_fma_f64 v[46:47], v[78:79], v[46:47], -v[48:49]
	s_waitcnt lgkmcnt(5)
	v_mul_f64 v[48:49], v[94:95], v[86:87]
	v_mul_f64 v[78:79], v[92:93], v[86:87]
	s_waitcnt lgkmcnt(4)
	v_mul_f64 v[80:81], v[98:99], v[86:87]
	v_mul_f64 v[116:117], v[96:97], v[86:87]
	;; [unrolled: 3-line block ×4, first 2 shown]
	v_fma_f64 v[48:49], v[92:93], v[46:47], -v[48:49]
	v_fma_f64 v[78:79], v[94:95], v[46:47], v[78:79]
	v_fma_f64 v[80:81], v[96:97], v[46:47], -v[80:81]
	v_fma_f64 v[92:93], v[98:99], v[46:47], v[116:117]
	;; [unrolled: 2-line block ×4, first 2 shown]
	v_add_f64 v[42:43], v[42:43], -v[48:49]
	s_waitcnt lgkmcnt(1)
	v_mul_f64 v[48:49], v[110:111], v[86:87]
	v_add_f64 v[44:45], v[44:45], -v[78:79]
	v_add_f64 v[38:39], v[38:39], -v[80:81]
	;; [unrolled: 1-line block ×4, first 2 shown]
	ds_read2_b64 v[78:81], v1 offset0:26 offset1:27
	ds_read2_b64 v[92:95], v1 offset0:28 offset1:29
	v_add_f64 v[36:37], v[36:37], -v[96:97]
	v_add_f64 v[30:31], v[30:31], -v[98:99]
	;; [unrolled: 1-line block ×3, first 2 shown]
	v_mul_f64 v[96:97], v[108:109], v[86:87]
	s_waitcnt lgkmcnt(2)
	v_mul_f64 v[98:99], v[114:115], v[86:87]
	v_mul_f64 v[100:101], v[112:113], v[86:87]
	s_waitcnt lgkmcnt(1)
	v_mul_f64 v[102:103], v[80:81], v[86:87]
	v_fma_f64 v[48:49], v[108:109], v[46:47], -v[48:49]
	s_waitcnt lgkmcnt(0)
	v_mul_f64 v[106:107], v[94:95], v[86:87]
	v_mul_f64 v[108:109], v[92:93], v[86:87]
	;; [unrolled: 1-line block ×3, first 2 shown]
	v_fma_f64 v[96:97], v[110:111], v[46:47], v[96:97]
	v_fma_f64 v[98:99], v[112:113], v[46:47], -v[98:99]
	v_fma_f64 v[100:101], v[114:115], v[46:47], v[100:101]
	v_fma_f64 v[78:79], v[78:79], v[46:47], -v[102:103]
	v_add_f64 v[26:27], v[26:27], -v[48:49]
	v_fma_f64 v[92:93], v[92:93], v[46:47], -v[106:107]
	v_fma_f64 v[94:95], v[94:95], v[46:47], v[108:109]
	v_fma_f64 v[48:49], v[80:81], v[46:47], v[104:105]
	v_add_f64 v[28:29], v[28:29], -v[96:97]
	v_add_f64 v[22:23], v[22:23], -v[98:99]
	;; [unrolled: 1-line block ×4, first 2 shown]
	ds_read2_b64 v[78:81], v1 offset0:30 offset1:31
	v_add_f64 v[14:15], v[14:15], -v[92:93]
	v_add_f64 v[16:17], v[16:17], -v[94:95]
	ds_read2_b64 v[92:95], v1 offset0:32 offset1:33
	ds_read2_b64 v[96:99], v1 offset0:34 offset1:35
	;; [unrolled: 1-line block ×3, first 2 shown]
	v_add_f64 v[20:21], v[20:21], -v[48:49]
	s_waitcnt lgkmcnt(3)
	v_mul_f64 v[48:49], v[80:81], v[86:87]
	v_mul_f64 v[104:105], v[78:79], v[86:87]
	s_waitcnt lgkmcnt(2)
	v_mul_f64 v[106:107], v[94:95], v[86:87]
	v_mul_f64 v[108:109], v[92:93], v[86:87]
	;; [unrolled: 3-line block ×4, first 2 shown]
	v_fma_f64 v[48:49], v[78:79], v[46:47], -v[48:49]
	v_fma_f64 v[78:79], v[80:81], v[46:47], v[104:105]
	v_fma_f64 v[80:81], v[92:93], v[46:47], -v[106:107]
	v_fma_f64 v[92:93], v[94:95], v[46:47], v[108:109]
	;; [unrolled: 2-line block ×4, first 2 shown]
	v_add_f64 v[10:11], v[10:11], -v[48:49]
	v_add_f64 v[12:13], v[12:13], -v[78:79]
	;; [unrolled: 1-line block ×8, first 2 shown]
	v_mov_b32_e32 v48, v86
	v_mov_b32_e32 v49, v87
.LBB36_146:
	s_or_b64 exec, exec, s[0:1]
	v_lshl_add_u32 v78, v88, 4, v1
	s_barrier
	ds_write2_b64 v78, v[42:43], v[44:45] offset1:1
	s_waitcnt lgkmcnt(0)
	s_barrier
	ds_read2_b64 v[78:81], v1 offset0:14 offset1:15
	s_cmp_lt_i32 s22, 9
	v_mov_b32_e32 v86, 7
	s_cbranch_scc1 .LBB36_149
; %bb.147:
	v_add_u32_e32 v87, 0x80, v1
	s_mov_b32 s7, 8
	v_mov_b32_e32 v86, 7
.LBB36_148:                             ; =>This Inner Loop Header: Depth=1
	s_waitcnt lgkmcnt(0)
	v_cmp_gt_f64_e32 vcc, 0, v[80:81]
	v_cmp_gt_f64_e64 s[0:1], 0, v[78:79]
	ds_read2_b64 v[92:95], v87 offset1:1
	v_xor_b32_e32 v97, 0x80000000, v79
	v_xor_b32_e32 v99, 0x80000000, v81
	v_mov_b32_e32 v96, v78
	v_mov_b32_e32 v98, v80
	s_waitcnt lgkmcnt(0)
	v_xor_b32_e32 v101, 0x80000000, v95
	v_cndmask_b32_e32 v99, v81, v99, vcc
	v_cndmask_b32_e64 v97, v79, v97, s[0:1]
	v_cmp_gt_f64_e32 vcc, 0, v[94:95]
	v_cmp_gt_f64_e64 s[0:1], 0, v[92:93]
	v_add_f64 v[96:97], v[96:97], v[98:99]
	v_xor_b32_e32 v99, 0x80000000, v93
	v_mov_b32_e32 v98, v92
	v_mov_b32_e32 v100, v94
	v_add_u32_e32 v87, 16, v87
	v_cndmask_b32_e32 v101, v95, v101, vcc
	v_cndmask_b32_e64 v99, v93, v99, s[0:1]
	v_add_f64 v[98:99], v[98:99], v[100:101]
	v_mov_b32_e32 v100, s7
	s_add_i32 s7, s7, 1
	s_cmp_lg_u32 s22, s7
	v_cmp_lt_f64_e32 vcc, v[96:97], v[98:99]
	v_cndmask_b32_e32 v79, v79, v93, vcc
	v_cndmask_b32_e32 v78, v78, v92, vcc
	;; [unrolled: 1-line block ×5, first 2 shown]
	s_cbranch_scc1 .LBB36_148
.LBB36_149:
	s_waitcnt lgkmcnt(0)
	v_cmp_eq_f64_e32 vcc, 0, v[78:79]
	v_cmp_eq_f64_e64 s[0:1], 0, v[80:81]
	s_and_b64 s[0:1], vcc, s[0:1]
	s_and_saveexec_b64 s[8:9], s[0:1]
	s_xor_b64 s[0:1], exec, s[8:9]
; %bb.150:
	v_cmp_ne_u32_e32 vcc, 0, v91
	v_cndmask_b32_e32 v91, 8, v91, vcc
; %bb.151:
	s_andn2_saveexec_b64 s[0:1], s[0:1]
	s_cbranch_execz .LBB36_157
; %bb.152:
	v_cmp_ngt_f64_e64 s[8:9], |v[78:79]|, |v[80:81]|
	s_and_saveexec_b64 s[20:21], s[8:9]
	s_xor_b64 s[8:9], exec, s[20:21]
	s_cbranch_execz .LBB36_154
; %bb.153:
	v_div_scale_f64 v[92:93], s[20:21], v[80:81], v[80:81], v[78:79]
	v_rcp_f64_e32 v[94:95], v[92:93]
	v_fma_f64 v[96:97], -v[92:93], v[94:95], 1.0
	v_fma_f64 v[94:95], v[94:95], v[96:97], v[94:95]
	v_div_scale_f64 v[96:97], vcc, v[78:79], v[80:81], v[78:79]
	v_fma_f64 v[98:99], -v[92:93], v[94:95], 1.0
	v_fma_f64 v[94:95], v[94:95], v[98:99], v[94:95]
	v_mul_f64 v[98:99], v[96:97], v[94:95]
	v_fma_f64 v[92:93], -v[92:93], v[98:99], v[96:97]
	v_div_fmas_f64 v[92:93], v[92:93], v[94:95], v[98:99]
	v_div_fixup_f64 v[92:93], v[92:93], v[80:81], v[78:79]
	v_fma_f64 v[78:79], v[78:79], v[92:93], v[80:81]
	v_div_scale_f64 v[80:81], s[20:21], v[78:79], v[78:79], 1.0
	v_div_scale_f64 v[98:99], vcc, 1.0, v[78:79], 1.0
	v_rcp_f64_e32 v[94:95], v[80:81]
	v_fma_f64 v[96:97], -v[80:81], v[94:95], 1.0
	v_fma_f64 v[94:95], v[94:95], v[96:97], v[94:95]
	v_fma_f64 v[96:97], -v[80:81], v[94:95], 1.0
	v_fma_f64 v[94:95], v[94:95], v[96:97], v[94:95]
	v_mul_f64 v[96:97], v[98:99], v[94:95]
	v_fma_f64 v[80:81], -v[80:81], v[96:97], v[98:99]
	v_div_fmas_f64 v[80:81], v[80:81], v[94:95], v[96:97]
	v_div_fixup_f64 v[80:81], v[80:81], v[78:79], 1.0
	v_mul_f64 v[78:79], v[92:93], v[80:81]
	v_xor_b32_e32 v81, 0x80000000, v81
.LBB36_154:
	s_andn2_saveexec_b64 s[8:9], s[8:9]
	s_cbranch_execz .LBB36_156
; %bb.155:
	v_div_scale_f64 v[92:93], s[20:21], v[78:79], v[78:79], v[80:81]
	v_rcp_f64_e32 v[94:95], v[92:93]
	v_fma_f64 v[96:97], -v[92:93], v[94:95], 1.0
	v_fma_f64 v[94:95], v[94:95], v[96:97], v[94:95]
	v_div_scale_f64 v[96:97], vcc, v[80:81], v[78:79], v[80:81]
	v_fma_f64 v[98:99], -v[92:93], v[94:95], 1.0
	v_fma_f64 v[94:95], v[94:95], v[98:99], v[94:95]
	v_mul_f64 v[98:99], v[96:97], v[94:95]
	v_fma_f64 v[92:93], -v[92:93], v[98:99], v[96:97]
	v_div_fmas_f64 v[92:93], v[92:93], v[94:95], v[98:99]
	v_div_fixup_f64 v[92:93], v[92:93], v[78:79], v[80:81]
	v_fma_f64 v[78:79], v[80:81], v[92:93], v[78:79]
	v_div_scale_f64 v[80:81], s[20:21], v[78:79], v[78:79], 1.0
	v_div_scale_f64 v[98:99], vcc, 1.0, v[78:79], 1.0
	v_rcp_f64_e32 v[94:95], v[80:81]
	v_fma_f64 v[96:97], -v[80:81], v[94:95], 1.0
	v_fma_f64 v[94:95], v[94:95], v[96:97], v[94:95]
	v_fma_f64 v[96:97], -v[80:81], v[94:95], 1.0
	v_fma_f64 v[94:95], v[94:95], v[96:97], v[94:95]
	v_mul_f64 v[96:97], v[98:99], v[94:95]
	v_fma_f64 v[80:81], -v[80:81], v[96:97], v[98:99]
	v_div_fmas_f64 v[80:81], v[80:81], v[94:95], v[96:97]
	v_div_fixup_f64 v[78:79], v[80:81], v[78:79], 1.0
	v_mul_f64 v[80:81], v[92:93], -v[78:79]
.LBB36_156:
	s_or_b64 exec, exec, s[8:9]
.LBB36_157:
	s_or_b64 exec, exec, s[0:1]
	v_cmp_ne_u32_e32 vcc, v88, v86
	s_and_saveexec_b64 s[0:1], vcc
	s_xor_b64 s[0:1], exec, s[0:1]
	s_cbranch_execz .LBB36_163
; %bb.158:
	v_cmp_eq_u32_e32 vcc, 7, v88
	s_and_saveexec_b64 s[8:9], vcc
	s_cbranch_execz .LBB36_162
; %bb.159:
	v_cmp_ne_u32_e32 vcc, 7, v86
	s_xor_b64 s[20:21], s[18:19], -1
	s_and_b64 s[24:25], s[20:21], vcc
	s_and_saveexec_b64 s[20:21], s[24:25]
	s_cbranch_execz .LBB36_161
; %bb.160:
	v_ashrrev_i32_e32 v87, 31, v86
	v_lshlrev_b64 v[87:88], 2, v[86:87]
	v_add_co_u32_e32 v87, vcc, v84, v87
	v_addc_co_u32_e32 v88, vcc, v85, v88, vcc
	global_load_dword v0, v[87:88], off
	global_load_dword v92, v[84:85], off offset:28
	s_waitcnt vmcnt(1)
	global_store_dword v[84:85], v0, off offset:28
	s_waitcnt vmcnt(1)
	global_store_dword v[87:88], v92, off
.LBB36_161:
	s_or_b64 exec, exec, s[20:21]
	v_mov_b32_e32 v88, v86
	v_mov_b32_e32 v0, v86
.LBB36_162:
	s_or_b64 exec, exec, s[8:9]
.LBB36_163:
	s_andn2_saveexec_b64 s[0:1], s[0:1]
	s_cbranch_execz .LBB36_165
; %bb.164:
	v_mov_b32_e32 v88, 7
	ds_write2_b64 v1, v[38:39], v[40:41] offset0:16 offset1:17
	ds_write2_b64 v1, v[34:35], v[36:37] offset0:18 offset1:19
	;; [unrolled: 1-line block ×11, first 2 shown]
.LBB36_165:
	s_or_b64 exec, exec, s[0:1]
	v_cmp_lt_i32_e32 vcc, 7, v88
	s_waitcnt vmcnt(0) lgkmcnt(0)
	s_barrier
	s_and_saveexec_b64 s[0:1], vcc
	s_cbranch_execz .LBB36_167
; %bb.166:
	v_mul_f64 v[86:87], v[78:79], v[44:45]
	v_mul_f64 v[44:45], v[80:81], v[44:45]
	v_fma_f64 v[86:87], v[80:81], v[42:43], v[86:87]
	v_fma_f64 v[42:43], v[78:79], v[42:43], -v[44:45]
	ds_read2_b64 v[78:81], v1 offset0:16 offset1:17
	s_waitcnt lgkmcnt(0)
	v_mul_f64 v[44:45], v[80:81], v[86:87]
	v_fma_f64 v[44:45], v[78:79], v[42:43], -v[44:45]
	v_mul_f64 v[78:79], v[78:79], v[86:87]
	v_add_f64 v[38:39], v[38:39], -v[44:45]
	v_fma_f64 v[78:79], v[80:81], v[42:43], v[78:79]
	v_add_f64 v[40:41], v[40:41], -v[78:79]
	ds_read2_b64 v[78:81], v1 offset0:18 offset1:19
	s_waitcnt lgkmcnt(0)
	v_mul_f64 v[44:45], v[80:81], v[86:87]
	v_fma_f64 v[44:45], v[78:79], v[42:43], -v[44:45]
	v_mul_f64 v[78:79], v[78:79], v[86:87]
	v_add_f64 v[34:35], v[34:35], -v[44:45]
	v_fma_f64 v[78:79], v[80:81], v[42:43], v[78:79]
	v_add_f64 v[36:37], v[36:37], -v[78:79]
	;; [unrolled: 8-line block ×10, first 2 shown]
	ds_read2_b64 v[78:81], v1 offset0:36 offset1:37
	s_waitcnt lgkmcnt(0)
	v_mul_f64 v[44:45], v[80:81], v[86:87]
	v_fma_f64 v[44:45], v[78:79], v[42:43], -v[44:45]
	v_mul_f64 v[78:79], v[78:79], v[86:87]
	v_add_f64 v[74:75], v[74:75], -v[44:45]
	v_fma_f64 v[78:79], v[80:81], v[42:43], v[78:79]
	v_mov_b32_e32 v44, v86
	v_mov_b32_e32 v45, v87
	v_add_f64 v[76:77], v[76:77], -v[78:79]
.LBB36_167:
	s_or_b64 exec, exec, s[0:1]
	v_lshl_add_u32 v78, v88, 4, v1
	s_barrier
	ds_write2_b64 v78, v[38:39], v[40:41] offset1:1
	s_waitcnt lgkmcnt(0)
	s_barrier
	ds_read2_b64 v[78:81], v1 offset0:16 offset1:17
	s_cmp_lt_i32 s22, 10
	v_mov_b32_e32 v86, 8
	s_cbranch_scc1 .LBB36_170
; %bb.168:
	v_add_u32_e32 v87, 0x90, v1
	s_mov_b32 s7, 9
	v_mov_b32_e32 v86, 8
.LBB36_169:                             ; =>This Inner Loop Header: Depth=1
	s_waitcnt lgkmcnt(0)
	v_cmp_gt_f64_e32 vcc, 0, v[80:81]
	v_cmp_gt_f64_e64 s[0:1], 0, v[78:79]
	ds_read2_b64 v[92:95], v87 offset1:1
	v_xor_b32_e32 v97, 0x80000000, v79
	v_xor_b32_e32 v99, 0x80000000, v81
	v_mov_b32_e32 v96, v78
	v_mov_b32_e32 v98, v80
	s_waitcnt lgkmcnt(0)
	v_xor_b32_e32 v101, 0x80000000, v95
	v_cndmask_b32_e32 v99, v81, v99, vcc
	v_cndmask_b32_e64 v97, v79, v97, s[0:1]
	v_cmp_gt_f64_e32 vcc, 0, v[94:95]
	v_cmp_gt_f64_e64 s[0:1], 0, v[92:93]
	v_add_f64 v[96:97], v[96:97], v[98:99]
	v_xor_b32_e32 v99, 0x80000000, v93
	v_mov_b32_e32 v98, v92
	v_mov_b32_e32 v100, v94
	v_add_u32_e32 v87, 16, v87
	v_cndmask_b32_e32 v101, v95, v101, vcc
	v_cndmask_b32_e64 v99, v93, v99, s[0:1]
	v_add_f64 v[98:99], v[98:99], v[100:101]
	v_mov_b32_e32 v100, s7
	s_add_i32 s7, s7, 1
	s_cmp_lg_u32 s22, s7
	v_cmp_lt_f64_e32 vcc, v[96:97], v[98:99]
	v_cndmask_b32_e32 v79, v79, v93, vcc
	v_cndmask_b32_e32 v78, v78, v92, vcc
	;; [unrolled: 1-line block ×5, first 2 shown]
	s_cbranch_scc1 .LBB36_169
.LBB36_170:
	s_waitcnt lgkmcnt(0)
	v_cmp_eq_f64_e32 vcc, 0, v[78:79]
	v_cmp_eq_f64_e64 s[0:1], 0, v[80:81]
	s_and_b64 s[0:1], vcc, s[0:1]
	s_and_saveexec_b64 s[8:9], s[0:1]
	s_xor_b64 s[0:1], exec, s[8:9]
; %bb.171:
	v_cmp_ne_u32_e32 vcc, 0, v91
	v_cndmask_b32_e32 v91, 9, v91, vcc
; %bb.172:
	s_andn2_saveexec_b64 s[0:1], s[0:1]
	s_cbranch_execz .LBB36_178
; %bb.173:
	v_cmp_ngt_f64_e64 s[8:9], |v[78:79]|, |v[80:81]|
	s_and_saveexec_b64 s[20:21], s[8:9]
	s_xor_b64 s[8:9], exec, s[20:21]
	s_cbranch_execz .LBB36_175
; %bb.174:
	v_div_scale_f64 v[92:93], s[20:21], v[80:81], v[80:81], v[78:79]
	v_rcp_f64_e32 v[94:95], v[92:93]
	v_fma_f64 v[96:97], -v[92:93], v[94:95], 1.0
	v_fma_f64 v[94:95], v[94:95], v[96:97], v[94:95]
	v_div_scale_f64 v[96:97], vcc, v[78:79], v[80:81], v[78:79]
	v_fma_f64 v[98:99], -v[92:93], v[94:95], 1.0
	v_fma_f64 v[94:95], v[94:95], v[98:99], v[94:95]
	v_mul_f64 v[98:99], v[96:97], v[94:95]
	v_fma_f64 v[92:93], -v[92:93], v[98:99], v[96:97]
	v_div_fmas_f64 v[92:93], v[92:93], v[94:95], v[98:99]
	v_div_fixup_f64 v[92:93], v[92:93], v[80:81], v[78:79]
	v_fma_f64 v[78:79], v[78:79], v[92:93], v[80:81]
	v_div_scale_f64 v[80:81], s[20:21], v[78:79], v[78:79], 1.0
	v_div_scale_f64 v[98:99], vcc, 1.0, v[78:79], 1.0
	v_rcp_f64_e32 v[94:95], v[80:81]
	v_fma_f64 v[96:97], -v[80:81], v[94:95], 1.0
	v_fma_f64 v[94:95], v[94:95], v[96:97], v[94:95]
	v_fma_f64 v[96:97], -v[80:81], v[94:95], 1.0
	v_fma_f64 v[94:95], v[94:95], v[96:97], v[94:95]
	v_mul_f64 v[96:97], v[98:99], v[94:95]
	v_fma_f64 v[80:81], -v[80:81], v[96:97], v[98:99]
	v_div_fmas_f64 v[80:81], v[80:81], v[94:95], v[96:97]
	v_div_fixup_f64 v[80:81], v[80:81], v[78:79], 1.0
	v_mul_f64 v[78:79], v[92:93], v[80:81]
	v_xor_b32_e32 v81, 0x80000000, v81
.LBB36_175:
	s_andn2_saveexec_b64 s[8:9], s[8:9]
	s_cbranch_execz .LBB36_177
; %bb.176:
	v_div_scale_f64 v[92:93], s[20:21], v[78:79], v[78:79], v[80:81]
	v_rcp_f64_e32 v[94:95], v[92:93]
	v_fma_f64 v[96:97], -v[92:93], v[94:95], 1.0
	v_fma_f64 v[94:95], v[94:95], v[96:97], v[94:95]
	v_div_scale_f64 v[96:97], vcc, v[80:81], v[78:79], v[80:81]
	v_fma_f64 v[98:99], -v[92:93], v[94:95], 1.0
	v_fma_f64 v[94:95], v[94:95], v[98:99], v[94:95]
	v_mul_f64 v[98:99], v[96:97], v[94:95]
	v_fma_f64 v[92:93], -v[92:93], v[98:99], v[96:97]
	v_div_fmas_f64 v[92:93], v[92:93], v[94:95], v[98:99]
	v_div_fixup_f64 v[92:93], v[92:93], v[78:79], v[80:81]
	v_fma_f64 v[78:79], v[80:81], v[92:93], v[78:79]
	v_div_scale_f64 v[80:81], s[20:21], v[78:79], v[78:79], 1.0
	v_div_scale_f64 v[98:99], vcc, 1.0, v[78:79], 1.0
	v_rcp_f64_e32 v[94:95], v[80:81]
	v_fma_f64 v[96:97], -v[80:81], v[94:95], 1.0
	v_fma_f64 v[94:95], v[94:95], v[96:97], v[94:95]
	v_fma_f64 v[96:97], -v[80:81], v[94:95], 1.0
	v_fma_f64 v[94:95], v[94:95], v[96:97], v[94:95]
	v_mul_f64 v[96:97], v[98:99], v[94:95]
	v_fma_f64 v[80:81], -v[80:81], v[96:97], v[98:99]
	v_div_fmas_f64 v[80:81], v[80:81], v[94:95], v[96:97]
	v_div_fixup_f64 v[78:79], v[80:81], v[78:79], 1.0
	v_mul_f64 v[80:81], v[92:93], -v[78:79]
.LBB36_177:
	s_or_b64 exec, exec, s[8:9]
.LBB36_178:
	s_or_b64 exec, exec, s[0:1]
	v_cmp_ne_u32_e32 vcc, v88, v86
	s_and_saveexec_b64 s[0:1], vcc
	s_xor_b64 s[0:1], exec, s[0:1]
	s_cbranch_execz .LBB36_184
; %bb.179:
	v_cmp_eq_u32_e32 vcc, 8, v88
	s_and_saveexec_b64 s[8:9], vcc
	s_cbranch_execz .LBB36_183
; %bb.180:
	v_cmp_ne_u32_e32 vcc, 8, v86
	s_xor_b64 s[20:21], s[18:19], -1
	s_and_b64 s[24:25], s[20:21], vcc
	s_and_saveexec_b64 s[20:21], s[24:25]
	s_cbranch_execz .LBB36_182
; %bb.181:
	v_ashrrev_i32_e32 v87, 31, v86
	v_lshlrev_b64 v[87:88], 2, v[86:87]
	v_add_co_u32_e32 v87, vcc, v84, v87
	v_addc_co_u32_e32 v88, vcc, v85, v88, vcc
	global_load_dword v0, v[87:88], off
	global_load_dword v92, v[84:85], off offset:32
	s_waitcnt vmcnt(1)
	global_store_dword v[84:85], v0, off offset:32
	s_waitcnt vmcnt(1)
	global_store_dword v[87:88], v92, off
.LBB36_182:
	s_or_b64 exec, exec, s[20:21]
	v_mov_b32_e32 v88, v86
	v_mov_b32_e32 v0, v86
.LBB36_183:
	s_or_b64 exec, exec, s[8:9]
.LBB36_184:
	s_andn2_saveexec_b64 s[0:1], s[0:1]
	s_cbranch_execz .LBB36_186
; %bb.185:
	v_mov_b32_e32 v88, 8
	ds_write2_b64 v1, v[34:35], v[36:37] offset0:18 offset1:19
	ds_write2_b64 v1, v[30:31], v[32:33] offset0:20 offset1:21
	;; [unrolled: 1-line block ×10, first 2 shown]
.LBB36_186:
	s_or_b64 exec, exec, s[0:1]
	v_cmp_lt_i32_e32 vcc, 8, v88
	s_waitcnt vmcnt(0) lgkmcnt(0)
	s_barrier
	s_and_saveexec_b64 s[0:1], vcc
	s_cbranch_execz .LBB36_188
; %bb.187:
	v_mul_f64 v[86:87], v[78:79], v[40:41]
	v_mul_f64 v[40:41], v[80:81], v[40:41]
	v_fma_f64 v[86:87], v[80:81], v[38:39], v[86:87]
	v_fma_f64 v[38:39], v[78:79], v[38:39], -v[40:41]
	ds_read2_b64 v[78:81], v1 offset0:18 offset1:19
	s_waitcnt lgkmcnt(0)
	v_mul_f64 v[40:41], v[80:81], v[86:87]
	v_fma_f64 v[40:41], v[78:79], v[38:39], -v[40:41]
	v_mul_f64 v[78:79], v[78:79], v[86:87]
	v_add_f64 v[34:35], v[34:35], -v[40:41]
	v_fma_f64 v[78:79], v[80:81], v[38:39], v[78:79]
	v_add_f64 v[36:37], v[36:37], -v[78:79]
	ds_read2_b64 v[78:81], v1 offset0:20 offset1:21
	s_waitcnt lgkmcnt(0)
	v_mul_f64 v[40:41], v[80:81], v[86:87]
	v_fma_f64 v[40:41], v[78:79], v[38:39], -v[40:41]
	v_mul_f64 v[78:79], v[78:79], v[86:87]
	v_add_f64 v[30:31], v[30:31], -v[40:41]
	v_fma_f64 v[78:79], v[80:81], v[38:39], v[78:79]
	v_add_f64 v[32:33], v[32:33], -v[78:79]
	;; [unrolled: 8-line block ×9, first 2 shown]
	ds_read2_b64 v[78:81], v1 offset0:36 offset1:37
	s_waitcnt lgkmcnt(0)
	v_mul_f64 v[40:41], v[80:81], v[86:87]
	v_fma_f64 v[40:41], v[78:79], v[38:39], -v[40:41]
	v_mul_f64 v[78:79], v[78:79], v[86:87]
	v_add_f64 v[74:75], v[74:75], -v[40:41]
	v_fma_f64 v[78:79], v[80:81], v[38:39], v[78:79]
	v_mov_b32_e32 v40, v86
	v_mov_b32_e32 v41, v87
	v_add_f64 v[76:77], v[76:77], -v[78:79]
.LBB36_188:
	s_or_b64 exec, exec, s[0:1]
	v_lshl_add_u32 v78, v88, 4, v1
	s_barrier
	ds_write2_b64 v78, v[34:35], v[36:37] offset1:1
	s_waitcnt lgkmcnt(0)
	s_barrier
	ds_read2_b64 v[78:81], v1 offset0:18 offset1:19
	s_cmp_lt_i32 s22, 11
	v_mov_b32_e32 v86, 9
	s_cbranch_scc1 .LBB36_191
; %bb.189:
	v_add_u32_e32 v87, 0xa0, v1
	s_mov_b32 s7, 10
	v_mov_b32_e32 v86, 9
.LBB36_190:                             ; =>This Inner Loop Header: Depth=1
	s_waitcnt lgkmcnt(0)
	v_cmp_gt_f64_e32 vcc, 0, v[80:81]
	v_cmp_gt_f64_e64 s[0:1], 0, v[78:79]
	ds_read2_b64 v[92:95], v87 offset1:1
	v_xor_b32_e32 v97, 0x80000000, v79
	v_xor_b32_e32 v99, 0x80000000, v81
	v_mov_b32_e32 v96, v78
	v_mov_b32_e32 v98, v80
	s_waitcnt lgkmcnt(0)
	v_xor_b32_e32 v101, 0x80000000, v95
	v_cndmask_b32_e32 v99, v81, v99, vcc
	v_cndmask_b32_e64 v97, v79, v97, s[0:1]
	v_cmp_gt_f64_e32 vcc, 0, v[94:95]
	v_cmp_gt_f64_e64 s[0:1], 0, v[92:93]
	v_add_f64 v[96:97], v[96:97], v[98:99]
	v_xor_b32_e32 v99, 0x80000000, v93
	v_mov_b32_e32 v98, v92
	v_mov_b32_e32 v100, v94
	v_add_u32_e32 v87, 16, v87
	v_cndmask_b32_e32 v101, v95, v101, vcc
	v_cndmask_b32_e64 v99, v93, v99, s[0:1]
	v_add_f64 v[98:99], v[98:99], v[100:101]
	v_mov_b32_e32 v100, s7
	s_add_i32 s7, s7, 1
	s_cmp_lg_u32 s22, s7
	v_cmp_lt_f64_e32 vcc, v[96:97], v[98:99]
	v_cndmask_b32_e32 v79, v79, v93, vcc
	v_cndmask_b32_e32 v78, v78, v92, vcc
	;; [unrolled: 1-line block ×5, first 2 shown]
	s_cbranch_scc1 .LBB36_190
.LBB36_191:
	s_waitcnt lgkmcnt(0)
	v_cmp_eq_f64_e32 vcc, 0, v[78:79]
	v_cmp_eq_f64_e64 s[0:1], 0, v[80:81]
	s_and_b64 s[0:1], vcc, s[0:1]
	s_and_saveexec_b64 s[8:9], s[0:1]
	s_xor_b64 s[0:1], exec, s[8:9]
; %bb.192:
	v_cmp_ne_u32_e32 vcc, 0, v91
	v_cndmask_b32_e32 v91, 10, v91, vcc
; %bb.193:
	s_andn2_saveexec_b64 s[0:1], s[0:1]
	s_cbranch_execz .LBB36_199
; %bb.194:
	v_cmp_ngt_f64_e64 s[8:9], |v[78:79]|, |v[80:81]|
	s_and_saveexec_b64 s[20:21], s[8:9]
	s_xor_b64 s[8:9], exec, s[20:21]
	s_cbranch_execz .LBB36_196
; %bb.195:
	v_div_scale_f64 v[92:93], s[20:21], v[80:81], v[80:81], v[78:79]
	v_rcp_f64_e32 v[94:95], v[92:93]
	v_fma_f64 v[96:97], -v[92:93], v[94:95], 1.0
	v_fma_f64 v[94:95], v[94:95], v[96:97], v[94:95]
	v_div_scale_f64 v[96:97], vcc, v[78:79], v[80:81], v[78:79]
	v_fma_f64 v[98:99], -v[92:93], v[94:95], 1.0
	v_fma_f64 v[94:95], v[94:95], v[98:99], v[94:95]
	v_mul_f64 v[98:99], v[96:97], v[94:95]
	v_fma_f64 v[92:93], -v[92:93], v[98:99], v[96:97]
	v_div_fmas_f64 v[92:93], v[92:93], v[94:95], v[98:99]
	v_div_fixup_f64 v[92:93], v[92:93], v[80:81], v[78:79]
	v_fma_f64 v[78:79], v[78:79], v[92:93], v[80:81]
	v_div_scale_f64 v[80:81], s[20:21], v[78:79], v[78:79], 1.0
	v_div_scale_f64 v[98:99], vcc, 1.0, v[78:79], 1.0
	v_rcp_f64_e32 v[94:95], v[80:81]
	v_fma_f64 v[96:97], -v[80:81], v[94:95], 1.0
	v_fma_f64 v[94:95], v[94:95], v[96:97], v[94:95]
	v_fma_f64 v[96:97], -v[80:81], v[94:95], 1.0
	v_fma_f64 v[94:95], v[94:95], v[96:97], v[94:95]
	v_mul_f64 v[96:97], v[98:99], v[94:95]
	v_fma_f64 v[80:81], -v[80:81], v[96:97], v[98:99]
	v_div_fmas_f64 v[80:81], v[80:81], v[94:95], v[96:97]
	v_div_fixup_f64 v[80:81], v[80:81], v[78:79], 1.0
	v_mul_f64 v[78:79], v[92:93], v[80:81]
	v_xor_b32_e32 v81, 0x80000000, v81
.LBB36_196:
	s_andn2_saveexec_b64 s[8:9], s[8:9]
	s_cbranch_execz .LBB36_198
; %bb.197:
	v_div_scale_f64 v[92:93], s[20:21], v[78:79], v[78:79], v[80:81]
	v_rcp_f64_e32 v[94:95], v[92:93]
	v_fma_f64 v[96:97], -v[92:93], v[94:95], 1.0
	v_fma_f64 v[94:95], v[94:95], v[96:97], v[94:95]
	v_div_scale_f64 v[96:97], vcc, v[80:81], v[78:79], v[80:81]
	v_fma_f64 v[98:99], -v[92:93], v[94:95], 1.0
	v_fma_f64 v[94:95], v[94:95], v[98:99], v[94:95]
	v_mul_f64 v[98:99], v[96:97], v[94:95]
	v_fma_f64 v[92:93], -v[92:93], v[98:99], v[96:97]
	v_div_fmas_f64 v[92:93], v[92:93], v[94:95], v[98:99]
	v_div_fixup_f64 v[92:93], v[92:93], v[78:79], v[80:81]
	v_fma_f64 v[78:79], v[80:81], v[92:93], v[78:79]
	v_div_scale_f64 v[80:81], s[20:21], v[78:79], v[78:79], 1.0
	v_div_scale_f64 v[98:99], vcc, 1.0, v[78:79], 1.0
	v_rcp_f64_e32 v[94:95], v[80:81]
	v_fma_f64 v[96:97], -v[80:81], v[94:95], 1.0
	v_fma_f64 v[94:95], v[94:95], v[96:97], v[94:95]
	v_fma_f64 v[96:97], -v[80:81], v[94:95], 1.0
	v_fma_f64 v[94:95], v[94:95], v[96:97], v[94:95]
	v_mul_f64 v[96:97], v[98:99], v[94:95]
	v_fma_f64 v[80:81], -v[80:81], v[96:97], v[98:99]
	v_div_fmas_f64 v[80:81], v[80:81], v[94:95], v[96:97]
	v_div_fixup_f64 v[78:79], v[80:81], v[78:79], 1.0
	v_mul_f64 v[80:81], v[92:93], -v[78:79]
.LBB36_198:
	s_or_b64 exec, exec, s[8:9]
.LBB36_199:
	s_or_b64 exec, exec, s[0:1]
	v_cmp_ne_u32_e32 vcc, v88, v86
	s_and_saveexec_b64 s[0:1], vcc
	s_xor_b64 s[0:1], exec, s[0:1]
	s_cbranch_execz .LBB36_205
; %bb.200:
	v_cmp_eq_u32_e32 vcc, 9, v88
	s_and_saveexec_b64 s[8:9], vcc
	s_cbranch_execz .LBB36_204
; %bb.201:
	v_cmp_ne_u32_e32 vcc, 9, v86
	s_xor_b64 s[20:21], s[18:19], -1
	s_and_b64 s[24:25], s[20:21], vcc
	s_and_saveexec_b64 s[20:21], s[24:25]
	s_cbranch_execz .LBB36_203
; %bb.202:
	v_ashrrev_i32_e32 v87, 31, v86
	v_lshlrev_b64 v[87:88], 2, v[86:87]
	v_add_co_u32_e32 v87, vcc, v84, v87
	v_addc_co_u32_e32 v88, vcc, v85, v88, vcc
	global_load_dword v0, v[87:88], off
	global_load_dword v92, v[84:85], off offset:36
	s_waitcnt vmcnt(1)
	global_store_dword v[84:85], v0, off offset:36
	s_waitcnt vmcnt(1)
	global_store_dword v[87:88], v92, off
.LBB36_203:
	s_or_b64 exec, exec, s[20:21]
	v_mov_b32_e32 v88, v86
	v_mov_b32_e32 v0, v86
.LBB36_204:
	s_or_b64 exec, exec, s[8:9]
.LBB36_205:
	s_andn2_saveexec_b64 s[0:1], s[0:1]
	s_cbranch_execz .LBB36_207
; %bb.206:
	v_mov_b32_e32 v88, 9
	ds_write2_b64 v1, v[30:31], v[32:33] offset0:20 offset1:21
	ds_write2_b64 v1, v[26:27], v[28:29] offset0:22 offset1:23
	ds_write2_b64 v1, v[22:23], v[24:25] offset0:24 offset1:25
	ds_write2_b64 v1, v[18:19], v[20:21] offset0:26 offset1:27
	ds_write2_b64 v1, v[14:15], v[16:17] offset0:28 offset1:29
	ds_write2_b64 v1, v[10:11], v[12:13] offset0:30 offset1:31
	ds_write2_b64 v1, v[6:7], v[8:9] offset0:32 offset1:33
	ds_write2_b64 v1, v[2:3], v[4:5] offset0:34 offset1:35
	ds_write2_b64 v1, v[74:75], v[76:77] offset0:36 offset1:37
.LBB36_207:
	s_or_b64 exec, exec, s[0:1]
	v_cmp_lt_i32_e32 vcc, 9, v88
	s_waitcnt vmcnt(0) lgkmcnt(0)
	s_barrier
	s_and_saveexec_b64 s[0:1], vcc
	s_cbranch_execz .LBB36_209
; %bb.208:
	v_mul_f64 v[86:87], v[78:79], v[36:37]
	v_mul_f64 v[36:37], v[80:81], v[36:37]
	v_fma_f64 v[86:87], v[80:81], v[34:35], v[86:87]
	v_fma_f64 v[34:35], v[78:79], v[34:35], -v[36:37]
	ds_read2_b64 v[78:81], v1 offset0:20 offset1:21
	s_waitcnt lgkmcnt(0)
	v_mul_f64 v[36:37], v[80:81], v[86:87]
	v_fma_f64 v[36:37], v[78:79], v[34:35], -v[36:37]
	v_mul_f64 v[78:79], v[78:79], v[86:87]
	v_add_f64 v[30:31], v[30:31], -v[36:37]
	v_fma_f64 v[78:79], v[80:81], v[34:35], v[78:79]
	v_add_f64 v[32:33], v[32:33], -v[78:79]
	ds_read2_b64 v[78:81], v1 offset0:22 offset1:23
	s_waitcnt lgkmcnt(0)
	v_mul_f64 v[36:37], v[80:81], v[86:87]
	v_fma_f64 v[36:37], v[78:79], v[34:35], -v[36:37]
	v_mul_f64 v[78:79], v[78:79], v[86:87]
	v_add_f64 v[26:27], v[26:27], -v[36:37]
	v_fma_f64 v[78:79], v[80:81], v[34:35], v[78:79]
	v_add_f64 v[28:29], v[28:29], -v[78:79]
	;; [unrolled: 8-line block ×8, first 2 shown]
	ds_read2_b64 v[78:81], v1 offset0:36 offset1:37
	s_waitcnt lgkmcnt(0)
	v_mul_f64 v[36:37], v[80:81], v[86:87]
	v_fma_f64 v[36:37], v[78:79], v[34:35], -v[36:37]
	v_mul_f64 v[78:79], v[78:79], v[86:87]
	v_add_f64 v[74:75], v[74:75], -v[36:37]
	v_fma_f64 v[78:79], v[80:81], v[34:35], v[78:79]
	v_mov_b32_e32 v36, v86
	v_mov_b32_e32 v37, v87
	v_add_f64 v[76:77], v[76:77], -v[78:79]
.LBB36_209:
	s_or_b64 exec, exec, s[0:1]
	v_lshl_add_u32 v78, v88, 4, v1
	s_barrier
	ds_write2_b64 v78, v[30:31], v[32:33] offset1:1
	s_waitcnt lgkmcnt(0)
	s_barrier
	ds_read2_b64 v[78:81], v1 offset0:20 offset1:21
	s_cmp_lt_i32 s22, 12
	v_mov_b32_e32 v86, 10
	s_cbranch_scc1 .LBB36_212
; %bb.210:
	v_add_u32_e32 v87, 0xb0, v1
	s_mov_b32 s7, 11
	v_mov_b32_e32 v86, 10
.LBB36_211:                             ; =>This Inner Loop Header: Depth=1
	s_waitcnt lgkmcnt(0)
	v_cmp_gt_f64_e32 vcc, 0, v[80:81]
	v_cmp_gt_f64_e64 s[0:1], 0, v[78:79]
	ds_read2_b64 v[92:95], v87 offset1:1
	v_xor_b32_e32 v97, 0x80000000, v79
	v_xor_b32_e32 v99, 0x80000000, v81
	v_mov_b32_e32 v96, v78
	v_mov_b32_e32 v98, v80
	s_waitcnt lgkmcnt(0)
	v_xor_b32_e32 v101, 0x80000000, v95
	v_cndmask_b32_e32 v99, v81, v99, vcc
	v_cndmask_b32_e64 v97, v79, v97, s[0:1]
	v_cmp_gt_f64_e32 vcc, 0, v[94:95]
	v_cmp_gt_f64_e64 s[0:1], 0, v[92:93]
	v_add_f64 v[96:97], v[96:97], v[98:99]
	v_xor_b32_e32 v99, 0x80000000, v93
	v_mov_b32_e32 v98, v92
	v_mov_b32_e32 v100, v94
	v_add_u32_e32 v87, 16, v87
	v_cndmask_b32_e32 v101, v95, v101, vcc
	v_cndmask_b32_e64 v99, v93, v99, s[0:1]
	v_add_f64 v[98:99], v[98:99], v[100:101]
	v_mov_b32_e32 v100, s7
	s_add_i32 s7, s7, 1
	s_cmp_lg_u32 s22, s7
	v_cmp_lt_f64_e32 vcc, v[96:97], v[98:99]
	v_cndmask_b32_e32 v79, v79, v93, vcc
	v_cndmask_b32_e32 v78, v78, v92, vcc
	;; [unrolled: 1-line block ×5, first 2 shown]
	s_cbranch_scc1 .LBB36_211
.LBB36_212:
	s_waitcnt lgkmcnt(0)
	v_cmp_eq_f64_e32 vcc, 0, v[78:79]
	v_cmp_eq_f64_e64 s[0:1], 0, v[80:81]
	s_and_b64 s[0:1], vcc, s[0:1]
	s_and_saveexec_b64 s[8:9], s[0:1]
	s_xor_b64 s[0:1], exec, s[8:9]
; %bb.213:
	v_cmp_ne_u32_e32 vcc, 0, v91
	v_cndmask_b32_e32 v91, 11, v91, vcc
; %bb.214:
	s_andn2_saveexec_b64 s[0:1], s[0:1]
	s_cbranch_execz .LBB36_220
; %bb.215:
	v_cmp_ngt_f64_e64 s[8:9], |v[78:79]|, |v[80:81]|
	s_and_saveexec_b64 s[20:21], s[8:9]
	s_xor_b64 s[8:9], exec, s[20:21]
	s_cbranch_execz .LBB36_217
; %bb.216:
	v_div_scale_f64 v[92:93], s[20:21], v[80:81], v[80:81], v[78:79]
	v_rcp_f64_e32 v[94:95], v[92:93]
	v_fma_f64 v[96:97], -v[92:93], v[94:95], 1.0
	v_fma_f64 v[94:95], v[94:95], v[96:97], v[94:95]
	v_div_scale_f64 v[96:97], vcc, v[78:79], v[80:81], v[78:79]
	v_fma_f64 v[98:99], -v[92:93], v[94:95], 1.0
	v_fma_f64 v[94:95], v[94:95], v[98:99], v[94:95]
	v_mul_f64 v[98:99], v[96:97], v[94:95]
	v_fma_f64 v[92:93], -v[92:93], v[98:99], v[96:97]
	v_div_fmas_f64 v[92:93], v[92:93], v[94:95], v[98:99]
	v_div_fixup_f64 v[92:93], v[92:93], v[80:81], v[78:79]
	v_fma_f64 v[78:79], v[78:79], v[92:93], v[80:81]
	v_div_scale_f64 v[80:81], s[20:21], v[78:79], v[78:79], 1.0
	v_div_scale_f64 v[98:99], vcc, 1.0, v[78:79], 1.0
	v_rcp_f64_e32 v[94:95], v[80:81]
	v_fma_f64 v[96:97], -v[80:81], v[94:95], 1.0
	v_fma_f64 v[94:95], v[94:95], v[96:97], v[94:95]
	v_fma_f64 v[96:97], -v[80:81], v[94:95], 1.0
	v_fma_f64 v[94:95], v[94:95], v[96:97], v[94:95]
	v_mul_f64 v[96:97], v[98:99], v[94:95]
	v_fma_f64 v[80:81], -v[80:81], v[96:97], v[98:99]
	v_div_fmas_f64 v[80:81], v[80:81], v[94:95], v[96:97]
	v_div_fixup_f64 v[80:81], v[80:81], v[78:79], 1.0
	v_mul_f64 v[78:79], v[92:93], v[80:81]
	v_xor_b32_e32 v81, 0x80000000, v81
.LBB36_217:
	s_andn2_saveexec_b64 s[8:9], s[8:9]
	s_cbranch_execz .LBB36_219
; %bb.218:
	v_div_scale_f64 v[92:93], s[20:21], v[78:79], v[78:79], v[80:81]
	v_rcp_f64_e32 v[94:95], v[92:93]
	v_fma_f64 v[96:97], -v[92:93], v[94:95], 1.0
	v_fma_f64 v[94:95], v[94:95], v[96:97], v[94:95]
	v_div_scale_f64 v[96:97], vcc, v[80:81], v[78:79], v[80:81]
	v_fma_f64 v[98:99], -v[92:93], v[94:95], 1.0
	v_fma_f64 v[94:95], v[94:95], v[98:99], v[94:95]
	v_mul_f64 v[98:99], v[96:97], v[94:95]
	v_fma_f64 v[92:93], -v[92:93], v[98:99], v[96:97]
	v_div_fmas_f64 v[92:93], v[92:93], v[94:95], v[98:99]
	v_div_fixup_f64 v[92:93], v[92:93], v[78:79], v[80:81]
	v_fma_f64 v[78:79], v[80:81], v[92:93], v[78:79]
	v_div_scale_f64 v[80:81], s[20:21], v[78:79], v[78:79], 1.0
	v_div_scale_f64 v[98:99], vcc, 1.0, v[78:79], 1.0
	v_rcp_f64_e32 v[94:95], v[80:81]
	v_fma_f64 v[96:97], -v[80:81], v[94:95], 1.0
	v_fma_f64 v[94:95], v[94:95], v[96:97], v[94:95]
	v_fma_f64 v[96:97], -v[80:81], v[94:95], 1.0
	v_fma_f64 v[94:95], v[94:95], v[96:97], v[94:95]
	v_mul_f64 v[96:97], v[98:99], v[94:95]
	v_fma_f64 v[80:81], -v[80:81], v[96:97], v[98:99]
	v_div_fmas_f64 v[80:81], v[80:81], v[94:95], v[96:97]
	v_div_fixup_f64 v[78:79], v[80:81], v[78:79], 1.0
	v_mul_f64 v[80:81], v[92:93], -v[78:79]
.LBB36_219:
	s_or_b64 exec, exec, s[8:9]
.LBB36_220:
	s_or_b64 exec, exec, s[0:1]
	v_cmp_ne_u32_e32 vcc, v88, v86
	s_and_saveexec_b64 s[0:1], vcc
	s_xor_b64 s[0:1], exec, s[0:1]
	s_cbranch_execz .LBB36_226
; %bb.221:
	v_cmp_eq_u32_e32 vcc, 10, v88
	s_and_saveexec_b64 s[8:9], vcc
	s_cbranch_execz .LBB36_225
; %bb.222:
	v_cmp_ne_u32_e32 vcc, 10, v86
	s_xor_b64 s[20:21], s[18:19], -1
	s_and_b64 s[24:25], s[20:21], vcc
	s_and_saveexec_b64 s[20:21], s[24:25]
	s_cbranch_execz .LBB36_224
; %bb.223:
	v_ashrrev_i32_e32 v87, 31, v86
	v_lshlrev_b64 v[87:88], 2, v[86:87]
	v_add_co_u32_e32 v87, vcc, v84, v87
	v_addc_co_u32_e32 v88, vcc, v85, v88, vcc
	global_load_dword v0, v[87:88], off
	global_load_dword v92, v[84:85], off offset:40
	s_waitcnt vmcnt(1)
	global_store_dword v[84:85], v0, off offset:40
	s_waitcnt vmcnt(1)
	global_store_dword v[87:88], v92, off
.LBB36_224:
	s_or_b64 exec, exec, s[20:21]
	v_mov_b32_e32 v88, v86
	v_mov_b32_e32 v0, v86
.LBB36_225:
	s_or_b64 exec, exec, s[8:9]
.LBB36_226:
	s_andn2_saveexec_b64 s[0:1], s[0:1]
	s_cbranch_execz .LBB36_228
; %bb.227:
	v_mov_b32_e32 v88, 10
	ds_write2_b64 v1, v[26:27], v[28:29] offset0:22 offset1:23
	ds_write2_b64 v1, v[22:23], v[24:25] offset0:24 offset1:25
	;; [unrolled: 1-line block ×8, first 2 shown]
.LBB36_228:
	s_or_b64 exec, exec, s[0:1]
	v_cmp_lt_i32_e32 vcc, 10, v88
	s_waitcnt vmcnt(0) lgkmcnt(0)
	s_barrier
	s_and_saveexec_b64 s[0:1], vcc
	s_cbranch_execz .LBB36_230
; %bb.229:
	v_mul_f64 v[86:87], v[78:79], v[32:33]
	v_mul_f64 v[32:33], v[80:81], v[32:33]
	ds_read2_b64 v[92:95], v1 offset0:22 offset1:23
	ds_read2_b64 v[96:99], v1 offset0:24 offset1:25
	;; [unrolled: 1-line block ×5, first 2 shown]
	v_fma_f64 v[86:87], v[80:81], v[30:31], v[86:87]
	v_fma_f64 v[30:31], v[78:79], v[30:31], -v[32:33]
	s_waitcnt lgkmcnt(4)
	v_mul_f64 v[32:33], v[94:95], v[86:87]
	v_mul_f64 v[78:79], v[92:93], v[86:87]
	s_waitcnt lgkmcnt(3)
	v_mul_f64 v[80:81], v[98:99], v[86:87]
	v_mul_f64 v[112:113], v[96:97], v[86:87]
	;; [unrolled: 3-line block ×4, first 2 shown]
	v_fma_f64 v[32:33], v[92:93], v[30:31], -v[32:33]
	v_fma_f64 v[78:79], v[94:95], v[30:31], v[78:79]
	v_fma_f64 v[80:81], v[96:97], v[30:31], -v[80:81]
	v_fma_f64 v[92:93], v[98:99], v[30:31], v[112:113]
	;; [unrolled: 2-line block ×4, first 2 shown]
	v_add_f64 v[26:27], v[26:27], -v[32:33]
	v_add_f64 v[28:29], v[28:29], -v[78:79]
	;; [unrolled: 1-line block ×7, first 2 shown]
	ds_read2_b64 v[78:81], v1 offset0:32 offset1:33
	ds_read2_b64 v[92:95], v1 offset0:34 offset1:35
	;; [unrolled: 1-line block ×3, first 2 shown]
	v_add_f64 v[16:17], v[16:17], -v[100:101]
	s_waitcnt lgkmcnt(3)
	v_mul_f64 v[32:33], v[110:111], v[86:87]
	v_mul_f64 v[100:101], v[108:109], v[86:87]
	s_waitcnt lgkmcnt(2)
	v_mul_f64 v[102:103], v[80:81], v[86:87]
	v_mul_f64 v[104:105], v[78:79], v[86:87]
	;; [unrolled: 3-line block ×4, first 2 shown]
	v_fma_f64 v[32:33], v[108:109], v[30:31], -v[32:33]
	v_fma_f64 v[100:101], v[110:111], v[30:31], v[100:101]
	v_fma_f64 v[78:79], v[78:79], v[30:31], -v[102:103]
	v_fma_f64 v[80:81], v[80:81], v[30:31], v[104:105]
	;; [unrolled: 2-line block ×4, first 2 shown]
	v_add_f64 v[10:11], v[10:11], -v[32:33]
	v_add_f64 v[12:13], v[12:13], -v[100:101]
	;; [unrolled: 1-line block ×8, first 2 shown]
	v_mov_b32_e32 v32, v86
	v_mov_b32_e32 v33, v87
.LBB36_230:
	s_or_b64 exec, exec, s[0:1]
	v_lshl_add_u32 v78, v88, 4, v1
	s_barrier
	ds_write2_b64 v78, v[26:27], v[28:29] offset1:1
	s_waitcnt lgkmcnt(0)
	s_barrier
	ds_read2_b64 v[78:81], v1 offset0:22 offset1:23
	s_cmp_lt_i32 s22, 13
	v_mov_b32_e32 v86, 11
	s_cbranch_scc1 .LBB36_233
; %bb.231:
	v_add_u32_e32 v87, 0xc0, v1
	s_mov_b32 s7, 12
	v_mov_b32_e32 v86, 11
.LBB36_232:                             ; =>This Inner Loop Header: Depth=1
	s_waitcnt lgkmcnt(0)
	v_cmp_gt_f64_e32 vcc, 0, v[80:81]
	v_cmp_gt_f64_e64 s[0:1], 0, v[78:79]
	ds_read2_b64 v[92:95], v87 offset1:1
	v_xor_b32_e32 v97, 0x80000000, v79
	v_xor_b32_e32 v99, 0x80000000, v81
	v_mov_b32_e32 v96, v78
	v_mov_b32_e32 v98, v80
	s_waitcnt lgkmcnt(0)
	v_xor_b32_e32 v101, 0x80000000, v95
	v_cndmask_b32_e32 v99, v81, v99, vcc
	v_cndmask_b32_e64 v97, v79, v97, s[0:1]
	v_cmp_gt_f64_e32 vcc, 0, v[94:95]
	v_cmp_gt_f64_e64 s[0:1], 0, v[92:93]
	v_add_f64 v[96:97], v[96:97], v[98:99]
	v_xor_b32_e32 v99, 0x80000000, v93
	v_mov_b32_e32 v98, v92
	v_mov_b32_e32 v100, v94
	v_add_u32_e32 v87, 16, v87
	v_cndmask_b32_e32 v101, v95, v101, vcc
	v_cndmask_b32_e64 v99, v93, v99, s[0:1]
	v_add_f64 v[98:99], v[98:99], v[100:101]
	v_mov_b32_e32 v100, s7
	s_add_i32 s7, s7, 1
	s_cmp_lg_u32 s22, s7
	v_cmp_lt_f64_e32 vcc, v[96:97], v[98:99]
	v_cndmask_b32_e32 v79, v79, v93, vcc
	v_cndmask_b32_e32 v78, v78, v92, vcc
	;; [unrolled: 1-line block ×5, first 2 shown]
	s_cbranch_scc1 .LBB36_232
.LBB36_233:
	s_waitcnt lgkmcnt(0)
	v_cmp_eq_f64_e32 vcc, 0, v[78:79]
	v_cmp_eq_f64_e64 s[0:1], 0, v[80:81]
	s_and_b64 s[0:1], vcc, s[0:1]
	s_and_saveexec_b64 s[8:9], s[0:1]
	s_xor_b64 s[0:1], exec, s[8:9]
; %bb.234:
	v_cmp_ne_u32_e32 vcc, 0, v91
	v_cndmask_b32_e32 v91, 12, v91, vcc
; %bb.235:
	s_andn2_saveexec_b64 s[0:1], s[0:1]
	s_cbranch_execz .LBB36_241
; %bb.236:
	v_cmp_ngt_f64_e64 s[8:9], |v[78:79]|, |v[80:81]|
	s_and_saveexec_b64 s[20:21], s[8:9]
	s_xor_b64 s[8:9], exec, s[20:21]
	s_cbranch_execz .LBB36_238
; %bb.237:
	v_div_scale_f64 v[92:93], s[20:21], v[80:81], v[80:81], v[78:79]
	v_rcp_f64_e32 v[94:95], v[92:93]
	v_fma_f64 v[96:97], -v[92:93], v[94:95], 1.0
	v_fma_f64 v[94:95], v[94:95], v[96:97], v[94:95]
	v_div_scale_f64 v[96:97], vcc, v[78:79], v[80:81], v[78:79]
	v_fma_f64 v[98:99], -v[92:93], v[94:95], 1.0
	v_fma_f64 v[94:95], v[94:95], v[98:99], v[94:95]
	v_mul_f64 v[98:99], v[96:97], v[94:95]
	v_fma_f64 v[92:93], -v[92:93], v[98:99], v[96:97]
	v_div_fmas_f64 v[92:93], v[92:93], v[94:95], v[98:99]
	v_div_fixup_f64 v[92:93], v[92:93], v[80:81], v[78:79]
	v_fma_f64 v[78:79], v[78:79], v[92:93], v[80:81]
	v_div_scale_f64 v[80:81], s[20:21], v[78:79], v[78:79], 1.0
	v_div_scale_f64 v[98:99], vcc, 1.0, v[78:79], 1.0
	v_rcp_f64_e32 v[94:95], v[80:81]
	v_fma_f64 v[96:97], -v[80:81], v[94:95], 1.0
	v_fma_f64 v[94:95], v[94:95], v[96:97], v[94:95]
	v_fma_f64 v[96:97], -v[80:81], v[94:95], 1.0
	v_fma_f64 v[94:95], v[94:95], v[96:97], v[94:95]
	v_mul_f64 v[96:97], v[98:99], v[94:95]
	v_fma_f64 v[80:81], -v[80:81], v[96:97], v[98:99]
	v_div_fmas_f64 v[80:81], v[80:81], v[94:95], v[96:97]
	v_div_fixup_f64 v[80:81], v[80:81], v[78:79], 1.0
	v_mul_f64 v[78:79], v[92:93], v[80:81]
	v_xor_b32_e32 v81, 0x80000000, v81
.LBB36_238:
	s_andn2_saveexec_b64 s[8:9], s[8:9]
	s_cbranch_execz .LBB36_240
; %bb.239:
	v_div_scale_f64 v[92:93], s[20:21], v[78:79], v[78:79], v[80:81]
	v_rcp_f64_e32 v[94:95], v[92:93]
	v_fma_f64 v[96:97], -v[92:93], v[94:95], 1.0
	v_fma_f64 v[94:95], v[94:95], v[96:97], v[94:95]
	v_div_scale_f64 v[96:97], vcc, v[80:81], v[78:79], v[80:81]
	v_fma_f64 v[98:99], -v[92:93], v[94:95], 1.0
	v_fma_f64 v[94:95], v[94:95], v[98:99], v[94:95]
	v_mul_f64 v[98:99], v[96:97], v[94:95]
	v_fma_f64 v[92:93], -v[92:93], v[98:99], v[96:97]
	v_div_fmas_f64 v[92:93], v[92:93], v[94:95], v[98:99]
	v_div_fixup_f64 v[92:93], v[92:93], v[78:79], v[80:81]
	v_fma_f64 v[78:79], v[80:81], v[92:93], v[78:79]
	v_div_scale_f64 v[80:81], s[20:21], v[78:79], v[78:79], 1.0
	v_div_scale_f64 v[98:99], vcc, 1.0, v[78:79], 1.0
	v_rcp_f64_e32 v[94:95], v[80:81]
	v_fma_f64 v[96:97], -v[80:81], v[94:95], 1.0
	v_fma_f64 v[94:95], v[94:95], v[96:97], v[94:95]
	v_fma_f64 v[96:97], -v[80:81], v[94:95], 1.0
	v_fma_f64 v[94:95], v[94:95], v[96:97], v[94:95]
	v_mul_f64 v[96:97], v[98:99], v[94:95]
	v_fma_f64 v[80:81], -v[80:81], v[96:97], v[98:99]
	v_div_fmas_f64 v[80:81], v[80:81], v[94:95], v[96:97]
	v_div_fixup_f64 v[78:79], v[80:81], v[78:79], 1.0
	v_mul_f64 v[80:81], v[92:93], -v[78:79]
.LBB36_240:
	s_or_b64 exec, exec, s[8:9]
.LBB36_241:
	s_or_b64 exec, exec, s[0:1]
	v_cmp_ne_u32_e32 vcc, v88, v86
	s_and_saveexec_b64 s[0:1], vcc
	s_xor_b64 s[0:1], exec, s[0:1]
	s_cbranch_execz .LBB36_247
; %bb.242:
	v_cmp_eq_u32_e32 vcc, 11, v88
	s_and_saveexec_b64 s[8:9], vcc
	s_cbranch_execz .LBB36_246
; %bb.243:
	v_cmp_ne_u32_e32 vcc, 11, v86
	s_xor_b64 s[20:21], s[18:19], -1
	s_and_b64 s[24:25], s[20:21], vcc
	s_and_saveexec_b64 s[20:21], s[24:25]
	s_cbranch_execz .LBB36_245
; %bb.244:
	v_ashrrev_i32_e32 v87, 31, v86
	v_lshlrev_b64 v[87:88], 2, v[86:87]
	v_add_co_u32_e32 v87, vcc, v84, v87
	v_addc_co_u32_e32 v88, vcc, v85, v88, vcc
	global_load_dword v0, v[87:88], off
	global_load_dword v92, v[84:85], off offset:44
	s_waitcnt vmcnt(1)
	global_store_dword v[84:85], v0, off offset:44
	s_waitcnt vmcnt(1)
	global_store_dword v[87:88], v92, off
.LBB36_245:
	s_or_b64 exec, exec, s[20:21]
	v_mov_b32_e32 v88, v86
	v_mov_b32_e32 v0, v86
.LBB36_246:
	s_or_b64 exec, exec, s[8:9]
.LBB36_247:
	s_andn2_saveexec_b64 s[0:1], s[0:1]
	s_cbranch_execz .LBB36_249
; %bb.248:
	v_mov_b32_e32 v88, 11
	ds_write2_b64 v1, v[22:23], v[24:25] offset0:24 offset1:25
	ds_write2_b64 v1, v[18:19], v[20:21] offset0:26 offset1:27
	;; [unrolled: 1-line block ×7, first 2 shown]
.LBB36_249:
	s_or_b64 exec, exec, s[0:1]
	v_cmp_lt_i32_e32 vcc, 11, v88
	s_waitcnt vmcnt(0) lgkmcnt(0)
	s_barrier
	s_and_saveexec_b64 s[0:1], vcc
	s_cbranch_execz .LBB36_251
; %bb.250:
	v_mul_f64 v[86:87], v[78:79], v[28:29]
	v_mul_f64 v[28:29], v[80:81], v[28:29]
	v_fma_f64 v[86:87], v[80:81], v[26:27], v[86:87]
	v_fma_f64 v[26:27], v[78:79], v[26:27], -v[28:29]
	ds_read2_b64 v[78:81], v1 offset0:24 offset1:25
	s_waitcnt lgkmcnt(0)
	v_mul_f64 v[28:29], v[80:81], v[86:87]
	v_fma_f64 v[28:29], v[78:79], v[26:27], -v[28:29]
	v_mul_f64 v[78:79], v[78:79], v[86:87]
	v_add_f64 v[22:23], v[22:23], -v[28:29]
	v_fma_f64 v[78:79], v[80:81], v[26:27], v[78:79]
	v_add_f64 v[24:25], v[24:25], -v[78:79]
	ds_read2_b64 v[78:81], v1 offset0:26 offset1:27
	s_waitcnt lgkmcnt(0)
	v_mul_f64 v[28:29], v[80:81], v[86:87]
	v_fma_f64 v[28:29], v[78:79], v[26:27], -v[28:29]
	v_mul_f64 v[78:79], v[78:79], v[86:87]
	v_add_f64 v[18:19], v[18:19], -v[28:29]
	v_fma_f64 v[78:79], v[80:81], v[26:27], v[78:79]
	v_add_f64 v[20:21], v[20:21], -v[78:79]
	;; [unrolled: 8-line block ×6, first 2 shown]
	ds_read2_b64 v[78:81], v1 offset0:36 offset1:37
	s_waitcnt lgkmcnt(0)
	v_mul_f64 v[28:29], v[80:81], v[86:87]
	v_fma_f64 v[28:29], v[78:79], v[26:27], -v[28:29]
	v_mul_f64 v[78:79], v[78:79], v[86:87]
	v_add_f64 v[74:75], v[74:75], -v[28:29]
	v_fma_f64 v[78:79], v[80:81], v[26:27], v[78:79]
	v_mov_b32_e32 v28, v86
	v_mov_b32_e32 v29, v87
	v_add_f64 v[76:77], v[76:77], -v[78:79]
.LBB36_251:
	s_or_b64 exec, exec, s[0:1]
	v_lshl_add_u32 v78, v88, 4, v1
	s_barrier
	ds_write2_b64 v78, v[22:23], v[24:25] offset1:1
	s_waitcnt lgkmcnt(0)
	s_barrier
	ds_read2_b64 v[78:81], v1 offset0:24 offset1:25
	s_cmp_lt_i32 s22, 14
	v_mov_b32_e32 v86, 12
	s_cbranch_scc1 .LBB36_254
; %bb.252:
	v_add_u32_e32 v87, 0xd0, v1
	s_mov_b32 s7, 13
	v_mov_b32_e32 v86, 12
.LBB36_253:                             ; =>This Inner Loop Header: Depth=1
	s_waitcnt lgkmcnt(0)
	v_cmp_gt_f64_e32 vcc, 0, v[80:81]
	v_cmp_gt_f64_e64 s[0:1], 0, v[78:79]
	ds_read2_b64 v[92:95], v87 offset1:1
	v_xor_b32_e32 v97, 0x80000000, v79
	v_xor_b32_e32 v99, 0x80000000, v81
	v_mov_b32_e32 v96, v78
	v_mov_b32_e32 v98, v80
	s_waitcnt lgkmcnt(0)
	v_xor_b32_e32 v101, 0x80000000, v95
	v_cndmask_b32_e32 v99, v81, v99, vcc
	v_cndmask_b32_e64 v97, v79, v97, s[0:1]
	v_cmp_gt_f64_e32 vcc, 0, v[94:95]
	v_cmp_gt_f64_e64 s[0:1], 0, v[92:93]
	v_add_f64 v[96:97], v[96:97], v[98:99]
	v_xor_b32_e32 v99, 0x80000000, v93
	v_mov_b32_e32 v98, v92
	v_mov_b32_e32 v100, v94
	v_add_u32_e32 v87, 16, v87
	v_cndmask_b32_e32 v101, v95, v101, vcc
	v_cndmask_b32_e64 v99, v93, v99, s[0:1]
	v_add_f64 v[98:99], v[98:99], v[100:101]
	v_mov_b32_e32 v100, s7
	s_add_i32 s7, s7, 1
	s_cmp_lg_u32 s22, s7
	v_cmp_lt_f64_e32 vcc, v[96:97], v[98:99]
	v_cndmask_b32_e32 v79, v79, v93, vcc
	v_cndmask_b32_e32 v78, v78, v92, vcc
	;; [unrolled: 1-line block ×5, first 2 shown]
	s_cbranch_scc1 .LBB36_253
.LBB36_254:
	s_waitcnt lgkmcnt(0)
	v_cmp_eq_f64_e32 vcc, 0, v[78:79]
	v_cmp_eq_f64_e64 s[0:1], 0, v[80:81]
	s_and_b64 s[0:1], vcc, s[0:1]
	s_and_saveexec_b64 s[8:9], s[0:1]
	s_xor_b64 s[0:1], exec, s[8:9]
; %bb.255:
	v_cmp_ne_u32_e32 vcc, 0, v91
	v_cndmask_b32_e32 v91, 13, v91, vcc
; %bb.256:
	s_andn2_saveexec_b64 s[0:1], s[0:1]
	s_cbranch_execz .LBB36_262
; %bb.257:
	v_cmp_ngt_f64_e64 s[8:9], |v[78:79]|, |v[80:81]|
	s_and_saveexec_b64 s[20:21], s[8:9]
	s_xor_b64 s[8:9], exec, s[20:21]
	s_cbranch_execz .LBB36_259
; %bb.258:
	v_div_scale_f64 v[92:93], s[20:21], v[80:81], v[80:81], v[78:79]
	v_rcp_f64_e32 v[94:95], v[92:93]
	v_fma_f64 v[96:97], -v[92:93], v[94:95], 1.0
	v_fma_f64 v[94:95], v[94:95], v[96:97], v[94:95]
	v_div_scale_f64 v[96:97], vcc, v[78:79], v[80:81], v[78:79]
	v_fma_f64 v[98:99], -v[92:93], v[94:95], 1.0
	v_fma_f64 v[94:95], v[94:95], v[98:99], v[94:95]
	v_mul_f64 v[98:99], v[96:97], v[94:95]
	v_fma_f64 v[92:93], -v[92:93], v[98:99], v[96:97]
	v_div_fmas_f64 v[92:93], v[92:93], v[94:95], v[98:99]
	v_div_fixup_f64 v[92:93], v[92:93], v[80:81], v[78:79]
	v_fma_f64 v[78:79], v[78:79], v[92:93], v[80:81]
	v_div_scale_f64 v[80:81], s[20:21], v[78:79], v[78:79], 1.0
	v_div_scale_f64 v[98:99], vcc, 1.0, v[78:79], 1.0
	v_rcp_f64_e32 v[94:95], v[80:81]
	v_fma_f64 v[96:97], -v[80:81], v[94:95], 1.0
	v_fma_f64 v[94:95], v[94:95], v[96:97], v[94:95]
	v_fma_f64 v[96:97], -v[80:81], v[94:95], 1.0
	v_fma_f64 v[94:95], v[94:95], v[96:97], v[94:95]
	v_mul_f64 v[96:97], v[98:99], v[94:95]
	v_fma_f64 v[80:81], -v[80:81], v[96:97], v[98:99]
	v_div_fmas_f64 v[80:81], v[80:81], v[94:95], v[96:97]
	v_div_fixup_f64 v[80:81], v[80:81], v[78:79], 1.0
	v_mul_f64 v[78:79], v[92:93], v[80:81]
	v_xor_b32_e32 v81, 0x80000000, v81
.LBB36_259:
	s_andn2_saveexec_b64 s[8:9], s[8:9]
	s_cbranch_execz .LBB36_261
; %bb.260:
	v_div_scale_f64 v[92:93], s[20:21], v[78:79], v[78:79], v[80:81]
	v_rcp_f64_e32 v[94:95], v[92:93]
	v_fma_f64 v[96:97], -v[92:93], v[94:95], 1.0
	v_fma_f64 v[94:95], v[94:95], v[96:97], v[94:95]
	v_div_scale_f64 v[96:97], vcc, v[80:81], v[78:79], v[80:81]
	v_fma_f64 v[98:99], -v[92:93], v[94:95], 1.0
	v_fma_f64 v[94:95], v[94:95], v[98:99], v[94:95]
	v_mul_f64 v[98:99], v[96:97], v[94:95]
	v_fma_f64 v[92:93], -v[92:93], v[98:99], v[96:97]
	v_div_fmas_f64 v[92:93], v[92:93], v[94:95], v[98:99]
	v_div_fixup_f64 v[92:93], v[92:93], v[78:79], v[80:81]
	v_fma_f64 v[78:79], v[80:81], v[92:93], v[78:79]
	v_div_scale_f64 v[80:81], s[20:21], v[78:79], v[78:79], 1.0
	v_div_scale_f64 v[98:99], vcc, 1.0, v[78:79], 1.0
	v_rcp_f64_e32 v[94:95], v[80:81]
	v_fma_f64 v[96:97], -v[80:81], v[94:95], 1.0
	v_fma_f64 v[94:95], v[94:95], v[96:97], v[94:95]
	v_fma_f64 v[96:97], -v[80:81], v[94:95], 1.0
	v_fma_f64 v[94:95], v[94:95], v[96:97], v[94:95]
	v_mul_f64 v[96:97], v[98:99], v[94:95]
	v_fma_f64 v[80:81], -v[80:81], v[96:97], v[98:99]
	v_div_fmas_f64 v[80:81], v[80:81], v[94:95], v[96:97]
	v_div_fixup_f64 v[78:79], v[80:81], v[78:79], 1.0
	v_mul_f64 v[80:81], v[92:93], -v[78:79]
.LBB36_261:
	s_or_b64 exec, exec, s[8:9]
.LBB36_262:
	s_or_b64 exec, exec, s[0:1]
	v_cmp_ne_u32_e32 vcc, v88, v86
	s_and_saveexec_b64 s[0:1], vcc
	s_xor_b64 s[0:1], exec, s[0:1]
	s_cbranch_execz .LBB36_268
; %bb.263:
	v_cmp_eq_u32_e32 vcc, 12, v88
	s_and_saveexec_b64 s[8:9], vcc
	s_cbranch_execz .LBB36_267
; %bb.264:
	v_cmp_ne_u32_e32 vcc, 12, v86
	s_xor_b64 s[20:21], s[18:19], -1
	s_and_b64 s[24:25], s[20:21], vcc
	s_and_saveexec_b64 s[20:21], s[24:25]
	s_cbranch_execz .LBB36_266
; %bb.265:
	v_ashrrev_i32_e32 v87, 31, v86
	v_lshlrev_b64 v[87:88], 2, v[86:87]
	v_add_co_u32_e32 v87, vcc, v84, v87
	v_addc_co_u32_e32 v88, vcc, v85, v88, vcc
	global_load_dword v0, v[87:88], off
	global_load_dword v92, v[84:85], off offset:48
	s_waitcnt vmcnt(1)
	global_store_dword v[84:85], v0, off offset:48
	s_waitcnt vmcnt(1)
	global_store_dword v[87:88], v92, off
.LBB36_266:
	s_or_b64 exec, exec, s[20:21]
	v_mov_b32_e32 v88, v86
	v_mov_b32_e32 v0, v86
.LBB36_267:
	s_or_b64 exec, exec, s[8:9]
.LBB36_268:
	s_andn2_saveexec_b64 s[0:1], s[0:1]
	s_cbranch_execz .LBB36_270
; %bb.269:
	v_mov_b32_e32 v88, 12
	ds_write2_b64 v1, v[18:19], v[20:21] offset0:26 offset1:27
	ds_write2_b64 v1, v[14:15], v[16:17] offset0:28 offset1:29
	;; [unrolled: 1-line block ×6, first 2 shown]
.LBB36_270:
	s_or_b64 exec, exec, s[0:1]
	v_cmp_lt_i32_e32 vcc, 12, v88
	s_waitcnt vmcnt(0) lgkmcnt(0)
	s_barrier
	s_and_saveexec_b64 s[0:1], vcc
	s_cbranch_execz .LBB36_272
; %bb.271:
	v_mul_f64 v[86:87], v[78:79], v[24:25]
	v_mul_f64 v[24:25], v[80:81], v[24:25]
	v_fma_f64 v[86:87], v[80:81], v[22:23], v[86:87]
	v_fma_f64 v[22:23], v[78:79], v[22:23], -v[24:25]
	ds_read2_b64 v[78:81], v1 offset0:26 offset1:27
	s_waitcnt lgkmcnt(0)
	v_mul_f64 v[24:25], v[80:81], v[86:87]
	v_fma_f64 v[24:25], v[78:79], v[22:23], -v[24:25]
	v_mul_f64 v[78:79], v[78:79], v[86:87]
	v_add_f64 v[18:19], v[18:19], -v[24:25]
	v_fma_f64 v[78:79], v[80:81], v[22:23], v[78:79]
	v_add_f64 v[20:21], v[20:21], -v[78:79]
	ds_read2_b64 v[78:81], v1 offset0:28 offset1:29
	s_waitcnt lgkmcnt(0)
	v_mul_f64 v[24:25], v[80:81], v[86:87]
	v_fma_f64 v[24:25], v[78:79], v[22:23], -v[24:25]
	v_mul_f64 v[78:79], v[78:79], v[86:87]
	v_add_f64 v[14:15], v[14:15], -v[24:25]
	v_fma_f64 v[78:79], v[80:81], v[22:23], v[78:79]
	v_add_f64 v[16:17], v[16:17], -v[78:79]
	;; [unrolled: 8-line block ×5, first 2 shown]
	ds_read2_b64 v[78:81], v1 offset0:36 offset1:37
	s_waitcnt lgkmcnt(0)
	v_mul_f64 v[24:25], v[80:81], v[86:87]
	v_fma_f64 v[24:25], v[78:79], v[22:23], -v[24:25]
	v_mul_f64 v[78:79], v[78:79], v[86:87]
	v_add_f64 v[74:75], v[74:75], -v[24:25]
	v_fma_f64 v[78:79], v[80:81], v[22:23], v[78:79]
	v_mov_b32_e32 v24, v86
	v_mov_b32_e32 v25, v87
	v_add_f64 v[76:77], v[76:77], -v[78:79]
.LBB36_272:
	s_or_b64 exec, exec, s[0:1]
	v_lshl_add_u32 v78, v88, 4, v1
	s_barrier
	ds_write2_b64 v78, v[18:19], v[20:21] offset1:1
	s_waitcnt lgkmcnt(0)
	s_barrier
	ds_read2_b64 v[78:81], v1 offset0:26 offset1:27
	s_cmp_lt_i32 s22, 15
	v_mov_b32_e32 v86, 13
	s_cbranch_scc1 .LBB36_275
; %bb.273:
	v_add_u32_e32 v87, 0xe0, v1
	s_mov_b32 s7, 14
	v_mov_b32_e32 v86, 13
.LBB36_274:                             ; =>This Inner Loop Header: Depth=1
	s_waitcnt lgkmcnt(0)
	v_cmp_gt_f64_e32 vcc, 0, v[80:81]
	v_cmp_gt_f64_e64 s[0:1], 0, v[78:79]
	ds_read2_b64 v[92:95], v87 offset1:1
	v_xor_b32_e32 v97, 0x80000000, v79
	v_xor_b32_e32 v99, 0x80000000, v81
	v_mov_b32_e32 v96, v78
	v_mov_b32_e32 v98, v80
	s_waitcnt lgkmcnt(0)
	v_xor_b32_e32 v101, 0x80000000, v95
	v_cndmask_b32_e32 v99, v81, v99, vcc
	v_cndmask_b32_e64 v97, v79, v97, s[0:1]
	v_cmp_gt_f64_e32 vcc, 0, v[94:95]
	v_cmp_gt_f64_e64 s[0:1], 0, v[92:93]
	v_add_f64 v[96:97], v[96:97], v[98:99]
	v_xor_b32_e32 v99, 0x80000000, v93
	v_mov_b32_e32 v98, v92
	v_mov_b32_e32 v100, v94
	v_add_u32_e32 v87, 16, v87
	v_cndmask_b32_e32 v101, v95, v101, vcc
	v_cndmask_b32_e64 v99, v93, v99, s[0:1]
	v_add_f64 v[98:99], v[98:99], v[100:101]
	v_mov_b32_e32 v100, s7
	s_add_i32 s7, s7, 1
	s_cmp_lg_u32 s22, s7
	v_cmp_lt_f64_e32 vcc, v[96:97], v[98:99]
	v_cndmask_b32_e32 v79, v79, v93, vcc
	v_cndmask_b32_e32 v78, v78, v92, vcc
	;; [unrolled: 1-line block ×5, first 2 shown]
	s_cbranch_scc1 .LBB36_274
.LBB36_275:
	s_waitcnt lgkmcnt(0)
	v_cmp_eq_f64_e32 vcc, 0, v[78:79]
	v_cmp_eq_f64_e64 s[0:1], 0, v[80:81]
	s_and_b64 s[0:1], vcc, s[0:1]
	s_and_saveexec_b64 s[8:9], s[0:1]
	s_xor_b64 s[0:1], exec, s[8:9]
; %bb.276:
	v_cmp_ne_u32_e32 vcc, 0, v91
	v_cndmask_b32_e32 v91, 14, v91, vcc
; %bb.277:
	s_andn2_saveexec_b64 s[0:1], s[0:1]
	s_cbranch_execz .LBB36_283
; %bb.278:
	v_cmp_ngt_f64_e64 s[8:9], |v[78:79]|, |v[80:81]|
	s_and_saveexec_b64 s[20:21], s[8:9]
	s_xor_b64 s[8:9], exec, s[20:21]
	s_cbranch_execz .LBB36_280
; %bb.279:
	v_div_scale_f64 v[92:93], s[20:21], v[80:81], v[80:81], v[78:79]
	v_rcp_f64_e32 v[94:95], v[92:93]
	v_fma_f64 v[96:97], -v[92:93], v[94:95], 1.0
	v_fma_f64 v[94:95], v[94:95], v[96:97], v[94:95]
	v_div_scale_f64 v[96:97], vcc, v[78:79], v[80:81], v[78:79]
	v_fma_f64 v[98:99], -v[92:93], v[94:95], 1.0
	v_fma_f64 v[94:95], v[94:95], v[98:99], v[94:95]
	v_mul_f64 v[98:99], v[96:97], v[94:95]
	v_fma_f64 v[92:93], -v[92:93], v[98:99], v[96:97]
	v_div_fmas_f64 v[92:93], v[92:93], v[94:95], v[98:99]
	v_div_fixup_f64 v[92:93], v[92:93], v[80:81], v[78:79]
	v_fma_f64 v[78:79], v[78:79], v[92:93], v[80:81]
	v_div_scale_f64 v[80:81], s[20:21], v[78:79], v[78:79], 1.0
	v_div_scale_f64 v[98:99], vcc, 1.0, v[78:79], 1.0
	v_rcp_f64_e32 v[94:95], v[80:81]
	v_fma_f64 v[96:97], -v[80:81], v[94:95], 1.0
	v_fma_f64 v[94:95], v[94:95], v[96:97], v[94:95]
	v_fma_f64 v[96:97], -v[80:81], v[94:95], 1.0
	v_fma_f64 v[94:95], v[94:95], v[96:97], v[94:95]
	v_mul_f64 v[96:97], v[98:99], v[94:95]
	v_fma_f64 v[80:81], -v[80:81], v[96:97], v[98:99]
	v_div_fmas_f64 v[80:81], v[80:81], v[94:95], v[96:97]
	v_div_fixup_f64 v[80:81], v[80:81], v[78:79], 1.0
	v_mul_f64 v[78:79], v[92:93], v[80:81]
	v_xor_b32_e32 v81, 0x80000000, v81
.LBB36_280:
	s_andn2_saveexec_b64 s[8:9], s[8:9]
	s_cbranch_execz .LBB36_282
; %bb.281:
	v_div_scale_f64 v[92:93], s[20:21], v[78:79], v[78:79], v[80:81]
	v_rcp_f64_e32 v[94:95], v[92:93]
	v_fma_f64 v[96:97], -v[92:93], v[94:95], 1.0
	v_fma_f64 v[94:95], v[94:95], v[96:97], v[94:95]
	v_div_scale_f64 v[96:97], vcc, v[80:81], v[78:79], v[80:81]
	v_fma_f64 v[98:99], -v[92:93], v[94:95], 1.0
	v_fma_f64 v[94:95], v[94:95], v[98:99], v[94:95]
	v_mul_f64 v[98:99], v[96:97], v[94:95]
	v_fma_f64 v[92:93], -v[92:93], v[98:99], v[96:97]
	v_div_fmas_f64 v[92:93], v[92:93], v[94:95], v[98:99]
	v_div_fixup_f64 v[92:93], v[92:93], v[78:79], v[80:81]
	v_fma_f64 v[78:79], v[80:81], v[92:93], v[78:79]
	v_div_scale_f64 v[80:81], s[20:21], v[78:79], v[78:79], 1.0
	v_div_scale_f64 v[98:99], vcc, 1.0, v[78:79], 1.0
	v_rcp_f64_e32 v[94:95], v[80:81]
	v_fma_f64 v[96:97], -v[80:81], v[94:95], 1.0
	v_fma_f64 v[94:95], v[94:95], v[96:97], v[94:95]
	v_fma_f64 v[96:97], -v[80:81], v[94:95], 1.0
	v_fma_f64 v[94:95], v[94:95], v[96:97], v[94:95]
	v_mul_f64 v[96:97], v[98:99], v[94:95]
	v_fma_f64 v[80:81], -v[80:81], v[96:97], v[98:99]
	v_div_fmas_f64 v[80:81], v[80:81], v[94:95], v[96:97]
	v_div_fixup_f64 v[78:79], v[80:81], v[78:79], 1.0
	v_mul_f64 v[80:81], v[92:93], -v[78:79]
.LBB36_282:
	s_or_b64 exec, exec, s[8:9]
.LBB36_283:
	s_or_b64 exec, exec, s[0:1]
	v_cmp_ne_u32_e32 vcc, v88, v86
	s_and_saveexec_b64 s[0:1], vcc
	s_xor_b64 s[0:1], exec, s[0:1]
	s_cbranch_execz .LBB36_289
; %bb.284:
	v_cmp_eq_u32_e32 vcc, 13, v88
	s_and_saveexec_b64 s[8:9], vcc
	s_cbranch_execz .LBB36_288
; %bb.285:
	v_cmp_ne_u32_e32 vcc, 13, v86
	s_xor_b64 s[20:21], s[18:19], -1
	s_and_b64 s[24:25], s[20:21], vcc
	s_and_saveexec_b64 s[20:21], s[24:25]
	s_cbranch_execz .LBB36_287
; %bb.286:
	v_ashrrev_i32_e32 v87, 31, v86
	v_lshlrev_b64 v[87:88], 2, v[86:87]
	v_add_co_u32_e32 v87, vcc, v84, v87
	v_addc_co_u32_e32 v88, vcc, v85, v88, vcc
	global_load_dword v0, v[87:88], off
	global_load_dword v92, v[84:85], off offset:52
	s_waitcnt vmcnt(1)
	global_store_dword v[84:85], v0, off offset:52
	s_waitcnt vmcnt(1)
	global_store_dword v[87:88], v92, off
.LBB36_287:
	s_or_b64 exec, exec, s[20:21]
	v_mov_b32_e32 v88, v86
	v_mov_b32_e32 v0, v86
.LBB36_288:
	s_or_b64 exec, exec, s[8:9]
.LBB36_289:
	s_andn2_saveexec_b64 s[0:1], s[0:1]
	s_cbranch_execz .LBB36_291
; %bb.290:
	v_mov_b32_e32 v88, 13
	ds_write2_b64 v1, v[14:15], v[16:17] offset0:28 offset1:29
	ds_write2_b64 v1, v[10:11], v[12:13] offset0:30 offset1:31
	;; [unrolled: 1-line block ×5, first 2 shown]
.LBB36_291:
	s_or_b64 exec, exec, s[0:1]
	v_cmp_lt_i32_e32 vcc, 13, v88
	s_waitcnt vmcnt(0) lgkmcnt(0)
	s_barrier
	s_and_saveexec_b64 s[0:1], vcc
	s_cbranch_execz .LBB36_293
; %bb.292:
	v_mul_f64 v[86:87], v[78:79], v[20:21]
	v_mul_f64 v[20:21], v[80:81], v[20:21]
	ds_read2_b64 v[92:95], v1 offset0:28 offset1:29
	ds_read2_b64 v[96:99], v1 offset0:30 offset1:31
	;; [unrolled: 1-line block ×5, first 2 shown]
	v_fma_f64 v[80:81], v[80:81], v[18:19], v[86:87]
	v_fma_f64 v[18:19], v[78:79], v[18:19], -v[20:21]
	s_waitcnt lgkmcnt(4)
	v_mul_f64 v[20:21], v[94:95], v[80:81]
	v_mul_f64 v[78:79], v[92:93], v[80:81]
	s_waitcnt lgkmcnt(3)
	v_mul_f64 v[86:87], v[98:99], v[80:81]
	v_mul_f64 v[112:113], v[96:97], v[80:81]
	;; [unrolled: 3-line block ×5, first 2 shown]
	v_fma_f64 v[20:21], v[92:93], v[18:19], -v[20:21]
	v_fma_f64 v[78:79], v[94:95], v[18:19], v[78:79]
	v_fma_f64 v[86:87], v[96:97], v[18:19], -v[86:87]
	v_fma_f64 v[92:93], v[98:99], v[18:19], v[112:113]
	;; [unrolled: 2-line block ×5, first 2 shown]
	v_add_f64 v[14:15], v[14:15], -v[20:21]
	v_add_f64 v[16:17], v[16:17], -v[78:79]
	;; [unrolled: 1-line block ×10, first 2 shown]
	v_mov_b32_e32 v20, v80
	v_mov_b32_e32 v21, v81
.LBB36_293:
	s_or_b64 exec, exec, s[0:1]
	v_lshl_add_u32 v78, v88, 4, v1
	s_barrier
	ds_write2_b64 v78, v[14:15], v[16:17] offset1:1
	s_waitcnt lgkmcnt(0)
	s_barrier
	ds_read2_b64 v[78:81], v1 offset0:28 offset1:29
	s_cmp_lt_i32 s22, 16
	v_mov_b32_e32 v86, 14
	s_cbranch_scc1 .LBB36_296
; %bb.294:
	v_add_u32_e32 v87, 0xf0, v1
	s_mov_b32 s7, 15
	v_mov_b32_e32 v86, 14
.LBB36_295:                             ; =>This Inner Loop Header: Depth=1
	s_waitcnt lgkmcnt(0)
	v_cmp_gt_f64_e32 vcc, 0, v[80:81]
	v_cmp_gt_f64_e64 s[0:1], 0, v[78:79]
	ds_read2_b64 v[92:95], v87 offset1:1
	v_xor_b32_e32 v97, 0x80000000, v79
	v_xor_b32_e32 v99, 0x80000000, v81
	v_mov_b32_e32 v96, v78
	v_mov_b32_e32 v98, v80
	s_waitcnt lgkmcnt(0)
	v_xor_b32_e32 v101, 0x80000000, v95
	v_cndmask_b32_e32 v99, v81, v99, vcc
	v_cndmask_b32_e64 v97, v79, v97, s[0:1]
	v_cmp_gt_f64_e32 vcc, 0, v[94:95]
	v_cmp_gt_f64_e64 s[0:1], 0, v[92:93]
	v_add_f64 v[96:97], v[96:97], v[98:99]
	v_xor_b32_e32 v99, 0x80000000, v93
	v_mov_b32_e32 v98, v92
	v_mov_b32_e32 v100, v94
	v_add_u32_e32 v87, 16, v87
	v_cndmask_b32_e32 v101, v95, v101, vcc
	v_cndmask_b32_e64 v99, v93, v99, s[0:1]
	v_add_f64 v[98:99], v[98:99], v[100:101]
	v_mov_b32_e32 v100, s7
	s_add_i32 s7, s7, 1
	s_cmp_lg_u32 s22, s7
	v_cmp_lt_f64_e32 vcc, v[96:97], v[98:99]
	v_cndmask_b32_e32 v79, v79, v93, vcc
	v_cndmask_b32_e32 v78, v78, v92, vcc
	;; [unrolled: 1-line block ×5, first 2 shown]
	s_cbranch_scc1 .LBB36_295
.LBB36_296:
	s_waitcnt lgkmcnt(0)
	v_cmp_eq_f64_e32 vcc, 0, v[78:79]
	v_cmp_eq_f64_e64 s[0:1], 0, v[80:81]
	s_and_b64 s[0:1], vcc, s[0:1]
	s_and_saveexec_b64 s[8:9], s[0:1]
	s_xor_b64 s[0:1], exec, s[8:9]
; %bb.297:
	v_cmp_ne_u32_e32 vcc, 0, v91
	v_cndmask_b32_e32 v91, 15, v91, vcc
; %bb.298:
	s_andn2_saveexec_b64 s[0:1], s[0:1]
	s_cbranch_execz .LBB36_304
; %bb.299:
	v_cmp_ngt_f64_e64 s[8:9], |v[78:79]|, |v[80:81]|
	s_and_saveexec_b64 s[20:21], s[8:9]
	s_xor_b64 s[8:9], exec, s[20:21]
	s_cbranch_execz .LBB36_301
; %bb.300:
	v_div_scale_f64 v[92:93], s[20:21], v[80:81], v[80:81], v[78:79]
	v_rcp_f64_e32 v[94:95], v[92:93]
	v_fma_f64 v[96:97], -v[92:93], v[94:95], 1.0
	v_fma_f64 v[94:95], v[94:95], v[96:97], v[94:95]
	v_div_scale_f64 v[96:97], vcc, v[78:79], v[80:81], v[78:79]
	v_fma_f64 v[98:99], -v[92:93], v[94:95], 1.0
	v_fma_f64 v[94:95], v[94:95], v[98:99], v[94:95]
	v_mul_f64 v[98:99], v[96:97], v[94:95]
	v_fma_f64 v[92:93], -v[92:93], v[98:99], v[96:97]
	v_div_fmas_f64 v[92:93], v[92:93], v[94:95], v[98:99]
	v_div_fixup_f64 v[92:93], v[92:93], v[80:81], v[78:79]
	v_fma_f64 v[78:79], v[78:79], v[92:93], v[80:81]
	v_div_scale_f64 v[80:81], s[20:21], v[78:79], v[78:79], 1.0
	v_div_scale_f64 v[98:99], vcc, 1.0, v[78:79], 1.0
	v_rcp_f64_e32 v[94:95], v[80:81]
	v_fma_f64 v[96:97], -v[80:81], v[94:95], 1.0
	v_fma_f64 v[94:95], v[94:95], v[96:97], v[94:95]
	v_fma_f64 v[96:97], -v[80:81], v[94:95], 1.0
	v_fma_f64 v[94:95], v[94:95], v[96:97], v[94:95]
	v_mul_f64 v[96:97], v[98:99], v[94:95]
	v_fma_f64 v[80:81], -v[80:81], v[96:97], v[98:99]
	v_div_fmas_f64 v[80:81], v[80:81], v[94:95], v[96:97]
	v_div_fixup_f64 v[80:81], v[80:81], v[78:79], 1.0
	v_mul_f64 v[78:79], v[92:93], v[80:81]
	v_xor_b32_e32 v81, 0x80000000, v81
.LBB36_301:
	s_andn2_saveexec_b64 s[8:9], s[8:9]
	s_cbranch_execz .LBB36_303
; %bb.302:
	v_div_scale_f64 v[92:93], s[20:21], v[78:79], v[78:79], v[80:81]
	v_rcp_f64_e32 v[94:95], v[92:93]
	v_fma_f64 v[96:97], -v[92:93], v[94:95], 1.0
	v_fma_f64 v[94:95], v[94:95], v[96:97], v[94:95]
	v_div_scale_f64 v[96:97], vcc, v[80:81], v[78:79], v[80:81]
	v_fma_f64 v[98:99], -v[92:93], v[94:95], 1.0
	v_fma_f64 v[94:95], v[94:95], v[98:99], v[94:95]
	v_mul_f64 v[98:99], v[96:97], v[94:95]
	v_fma_f64 v[92:93], -v[92:93], v[98:99], v[96:97]
	v_div_fmas_f64 v[92:93], v[92:93], v[94:95], v[98:99]
	v_div_fixup_f64 v[92:93], v[92:93], v[78:79], v[80:81]
	v_fma_f64 v[78:79], v[80:81], v[92:93], v[78:79]
	v_div_scale_f64 v[80:81], s[20:21], v[78:79], v[78:79], 1.0
	v_div_scale_f64 v[98:99], vcc, 1.0, v[78:79], 1.0
	v_rcp_f64_e32 v[94:95], v[80:81]
	v_fma_f64 v[96:97], -v[80:81], v[94:95], 1.0
	v_fma_f64 v[94:95], v[94:95], v[96:97], v[94:95]
	v_fma_f64 v[96:97], -v[80:81], v[94:95], 1.0
	v_fma_f64 v[94:95], v[94:95], v[96:97], v[94:95]
	v_mul_f64 v[96:97], v[98:99], v[94:95]
	v_fma_f64 v[80:81], -v[80:81], v[96:97], v[98:99]
	v_div_fmas_f64 v[80:81], v[80:81], v[94:95], v[96:97]
	v_div_fixup_f64 v[78:79], v[80:81], v[78:79], 1.0
	v_mul_f64 v[80:81], v[92:93], -v[78:79]
.LBB36_303:
	s_or_b64 exec, exec, s[8:9]
.LBB36_304:
	s_or_b64 exec, exec, s[0:1]
	v_cmp_ne_u32_e32 vcc, v88, v86
	s_and_saveexec_b64 s[0:1], vcc
	s_xor_b64 s[0:1], exec, s[0:1]
	s_cbranch_execz .LBB36_310
; %bb.305:
	v_cmp_eq_u32_e32 vcc, 14, v88
	s_and_saveexec_b64 s[8:9], vcc
	s_cbranch_execz .LBB36_309
; %bb.306:
	v_cmp_ne_u32_e32 vcc, 14, v86
	s_xor_b64 s[20:21], s[18:19], -1
	s_and_b64 s[24:25], s[20:21], vcc
	s_and_saveexec_b64 s[20:21], s[24:25]
	s_cbranch_execz .LBB36_308
; %bb.307:
	v_ashrrev_i32_e32 v87, 31, v86
	v_lshlrev_b64 v[87:88], 2, v[86:87]
	v_add_co_u32_e32 v87, vcc, v84, v87
	v_addc_co_u32_e32 v88, vcc, v85, v88, vcc
	global_load_dword v0, v[87:88], off
	global_load_dword v92, v[84:85], off offset:56
	s_waitcnt vmcnt(1)
	global_store_dword v[84:85], v0, off offset:56
	s_waitcnt vmcnt(1)
	global_store_dword v[87:88], v92, off
.LBB36_308:
	s_or_b64 exec, exec, s[20:21]
	v_mov_b32_e32 v88, v86
	v_mov_b32_e32 v0, v86
.LBB36_309:
	s_or_b64 exec, exec, s[8:9]
.LBB36_310:
	s_andn2_saveexec_b64 s[0:1], s[0:1]
	s_cbranch_execz .LBB36_312
; %bb.311:
	v_mov_b32_e32 v88, 14
	ds_write2_b64 v1, v[10:11], v[12:13] offset0:30 offset1:31
	ds_write2_b64 v1, v[6:7], v[8:9] offset0:32 offset1:33
	;; [unrolled: 1-line block ×4, first 2 shown]
.LBB36_312:
	s_or_b64 exec, exec, s[0:1]
	v_cmp_lt_i32_e32 vcc, 14, v88
	s_waitcnt vmcnt(0) lgkmcnt(0)
	s_barrier
	s_and_saveexec_b64 s[0:1], vcc
	s_cbranch_execz .LBB36_314
; %bb.313:
	v_mul_f64 v[86:87], v[78:79], v[16:17]
	v_mul_f64 v[16:17], v[80:81], v[16:17]
	ds_read2_b64 v[92:95], v1 offset0:30 offset1:31
	ds_read2_b64 v[96:99], v1 offset0:32 offset1:33
	;; [unrolled: 1-line block ×4, first 2 shown]
	v_fma_f64 v[80:81], v[80:81], v[14:15], v[86:87]
	v_fma_f64 v[14:15], v[78:79], v[14:15], -v[16:17]
	s_waitcnt lgkmcnt(3)
	v_mul_f64 v[16:17], v[94:95], v[80:81]
	v_mul_f64 v[78:79], v[92:93], v[80:81]
	s_waitcnt lgkmcnt(2)
	v_mul_f64 v[86:87], v[98:99], v[80:81]
	v_mul_f64 v[108:109], v[96:97], v[80:81]
	;; [unrolled: 3-line block ×4, first 2 shown]
	v_fma_f64 v[16:17], v[92:93], v[14:15], -v[16:17]
	v_fma_f64 v[78:79], v[94:95], v[14:15], v[78:79]
	v_fma_f64 v[86:87], v[96:97], v[14:15], -v[86:87]
	v_fma_f64 v[92:93], v[98:99], v[14:15], v[108:109]
	;; [unrolled: 2-line block ×4, first 2 shown]
	v_add_f64 v[10:11], v[10:11], -v[16:17]
	v_add_f64 v[12:13], v[12:13], -v[78:79]
	;; [unrolled: 1-line block ×8, first 2 shown]
	v_mov_b32_e32 v16, v80
	v_mov_b32_e32 v17, v81
.LBB36_314:
	s_or_b64 exec, exec, s[0:1]
	v_lshl_add_u32 v78, v88, 4, v1
	s_barrier
	ds_write2_b64 v78, v[10:11], v[12:13] offset1:1
	s_waitcnt lgkmcnt(0)
	s_barrier
	ds_read2_b64 v[78:81], v1 offset0:30 offset1:31
	s_cmp_lt_i32 s22, 17
	v_mov_b32_e32 v86, 15
	s_cbranch_scc1 .LBB36_317
; %bb.315:
	v_add_u32_e32 v87, 0x100, v1
	s_mov_b32 s7, 16
	v_mov_b32_e32 v86, 15
.LBB36_316:                             ; =>This Inner Loop Header: Depth=1
	s_waitcnt lgkmcnt(0)
	v_cmp_gt_f64_e32 vcc, 0, v[80:81]
	v_cmp_gt_f64_e64 s[0:1], 0, v[78:79]
	ds_read2_b64 v[92:95], v87 offset1:1
	v_xor_b32_e32 v97, 0x80000000, v79
	v_xor_b32_e32 v99, 0x80000000, v81
	v_mov_b32_e32 v96, v78
	v_mov_b32_e32 v98, v80
	s_waitcnt lgkmcnt(0)
	v_xor_b32_e32 v101, 0x80000000, v95
	v_cndmask_b32_e32 v99, v81, v99, vcc
	v_cndmask_b32_e64 v97, v79, v97, s[0:1]
	v_cmp_gt_f64_e32 vcc, 0, v[94:95]
	v_cmp_gt_f64_e64 s[0:1], 0, v[92:93]
	v_add_f64 v[96:97], v[96:97], v[98:99]
	v_xor_b32_e32 v99, 0x80000000, v93
	v_mov_b32_e32 v98, v92
	v_mov_b32_e32 v100, v94
	v_add_u32_e32 v87, 16, v87
	v_cndmask_b32_e32 v101, v95, v101, vcc
	v_cndmask_b32_e64 v99, v93, v99, s[0:1]
	v_add_f64 v[98:99], v[98:99], v[100:101]
	v_mov_b32_e32 v100, s7
	s_add_i32 s7, s7, 1
	s_cmp_lg_u32 s22, s7
	v_cmp_lt_f64_e32 vcc, v[96:97], v[98:99]
	v_cndmask_b32_e32 v79, v79, v93, vcc
	v_cndmask_b32_e32 v78, v78, v92, vcc
	;; [unrolled: 1-line block ×5, first 2 shown]
	s_cbranch_scc1 .LBB36_316
.LBB36_317:
	s_waitcnt lgkmcnt(0)
	v_cmp_eq_f64_e32 vcc, 0, v[78:79]
	v_cmp_eq_f64_e64 s[0:1], 0, v[80:81]
	s_and_b64 s[0:1], vcc, s[0:1]
	s_and_saveexec_b64 s[8:9], s[0:1]
	s_xor_b64 s[0:1], exec, s[8:9]
; %bb.318:
	v_cmp_ne_u32_e32 vcc, 0, v91
	v_cndmask_b32_e32 v91, 16, v91, vcc
; %bb.319:
	s_andn2_saveexec_b64 s[0:1], s[0:1]
	s_cbranch_execz .LBB36_325
; %bb.320:
	v_cmp_ngt_f64_e64 s[8:9], |v[78:79]|, |v[80:81]|
	s_and_saveexec_b64 s[20:21], s[8:9]
	s_xor_b64 s[8:9], exec, s[20:21]
	s_cbranch_execz .LBB36_322
; %bb.321:
	v_div_scale_f64 v[92:93], s[20:21], v[80:81], v[80:81], v[78:79]
	v_rcp_f64_e32 v[94:95], v[92:93]
	v_fma_f64 v[96:97], -v[92:93], v[94:95], 1.0
	v_fma_f64 v[94:95], v[94:95], v[96:97], v[94:95]
	v_div_scale_f64 v[96:97], vcc, v[78:79], v[80:81], v[78:79]
	v_fma_f64 v[98:99], -v[92:93], v[94:95], 1.0
	v_fma_f64 v[94:95], v[94:95], v[98:99], v[94:95]
	v_mul_f64 v[98:99], v[96:97], v[94:95]
	v_fma_f64 v[92:93], -v[92:93], v[98:99], v[96:97]
	v_div_fmas_f64 v[92:93], v[92:93], v[94:95], v[98:99]
	v_div_fixup_f64 v[92:93], v[92:93], v[80:81], v[78:79]
	v_fma_f64 v[78:79], v[78:79], v[92:93], v[80:81]
	v_div_scale_f64 v[80:81], s[20:21], v[78:79], v[78:79], 1.0
	v_div_scale_f64 v[98:99], vcc, 1.0, v[78:79], 1.0
	v_rcp_f64_e32 v[94:95], v[80:81]
	v_fma_f64 v[96:97], -v[80:81], v[94:95], 1.0
	v_fma_f64 v[94:95], v[94:95], v[96:97], v[94:95]
	v_fma_f64 v[96:97], -v[80:81], v[94:95], 1.0
	v_fma_f64 v[94:95], v[94:95], v[96:97], v[94:95]
	v_mul_f64 v[96:97], v[98:99], v[94:95]
	v_fma_f64 v[80:81], -v[80:81], v[96:97], v[98:99]
	v_div_fmas_f64 v[80:81], v[80:81], v[94:95], v[96:97]
	v_div_fixup_f64 v[80:81], v[80:81], v[78:79], 1.0
	v_mul_f64 v[78:79], v[92:93], v[80:81]
	v_xor_b32_e32 v81, 0x80000000, v81
.LBB36_322:
	s_andn2_saveexec_b64 s[8:9], s[8:9]
	s_cbranch_execz .LBB36_324
; %bb.323:
	v_div_scale_f64 v[92:93], s[20:21], v[78:79], v[78:79], v[80:81]
	v_rcp_f64_e32 v[94:95], v[92:93]
	v_fma_f64 v[96:97], -v[92:93], v[94:95], 1.0
	v_fma_f64 v[94:95], v[94:95], v[96:97], v[94:95]
	v_div_scale_f64 v[96:97], vcc, v[80:81], v[78:79], v[80:81]
	v_fma_f64 v[98:99], -v[92:93], v[94:95], 1.0
	v_fma_f64 v[94:95], v[94:95], v[98:99], v[94:95]
	v_mul_f64 v[98:99], v[96:97], v[94:95]
	v_fma_f64 v[92:93], -v[92:93], v[98:99], v[96:97]
	v_div_fmas_f64 v[92:93], v[92:93], v[94:95], v[98:99]
	v_div_fixup_f64 v[92:93], v[92:93], v[78:79], v[80:81]
	v_fma_f64 v[78:79], v[80:81], v[92:93], v[78:79]
	v_div_scale_f64 v[80:81], s[20:21], v[78:79], v[78:79], 1.0
	v_div_scale_f64 v[98:99], vcc, 1.0, v[78:79], 1.0
	v_rcp_f64_e32 v[94:95], v[80:81]
	v_fma_f64 v[96:97], -v[80:81], v[94:95], 1.0
	v_fma_f64 v[94:95], v[94:95], v[96:97], v[94:95]
	v_fma_f64 v[96:97], -v[80:81], v[94:95], 1.0
	v_fma_f64 v[94:95], v[94:95], v[96:97], v[94:95]
	v_mul_f64 v[96:97], v[98:99], v[94:95]
	v_fma_f64 v[80:81], -v[80:81], v[96:97], v[98:99]
	v_div_fmas_f64 v[80:81], v[80:81], v[94:95], v[96:97]
	v_div_fixup_f64 v[78:79], v[80:81], v[78:79], 1.0
	v_mul_f64 v[80:81], v[92:93], -v[78:79]
.LBB36_324:
	s_or_b64 exec, exec, s[8:9]
.LBB36_325:
	s_or_b64 exec, exec, s[0:1]
	v_cmp_ne_u32_e32 vcc, v88, v86
	s_and_saveexec_b64 s[0:1], vcc
	s_xor_b64 s[0:1], exec, s[0:1]
	s_cbranch_execz .LBB36_331
; %bb.326:
	v_cmp_eq_u32_e32 vcc, 15, v88
	s_and_saveexec_b64 s[8:9], vcc
	s_cbranch_execz .LBB36_330
; %bb.327:
	v_cmp_ne_u32_e32 vcc, 15, v86
	s_xor_b64 s[20:21], s[18:19], -1
	s_and_b64 s[24:25], s[20:21], vcc
	s_and_saveexec_b64 s[20:21], s[24:25]
	s_cbranch_execz .LBB36_329
; %bb.328:
	v_ashrrev_i32_e32 v87, 31, v86
	v_lshlrev_b64 v[87:88], 2, v[86:87]
	v_add_co_u32_e32 v87, vcc, v84, v87
	v_addc_co_u32_e32 v88, vcc, v85, v88, vcc
	global_load_dword v0, v[87:88], off
	global_load_dword v92, v[84:85], off offset:60
	s_waitcnt vmcnt(1)
	global_store_dword v[84:85], v0, off offset:60
	s_waitcnt vmcnt(1)
	global_store_dword v[87:88], v92, off
.LBB36_329:
	s_or_b64 exec, exec, s[20:21]
	v_mov_b32_e32 v88, v86
	v_mov_b32_e32 v0, v86
.LBB36_330:
	s_or_b64 exec, exec, s[8:9]
.LBB36_331:
	s_andn2_saveexec_b64 s[0:1], s[0:1]
	s_cbranch_execz .LBB36_333
; %bb.332:
	v_mov_b32_e32 v88, 15
	ds_write2_b64 v1, v[6:7], v[8:9] offset0:32 offset1:33
	ds_write2_b64 v1, v[2:3], v[4:5] offset0:34 offset1:35
	;; [unrolled: 1-line block ×3, first 2 shown]
.LBB36_333:
	s_or_b64 exec, exec, s[0:1]
	v_cmp_lt_i32_e32 vcc, 15, v88
	s_waitcnt vmcnt(0) lgkmcnt(0)
	s_barrier
	s_and_saveexec_b64 s[0:1], vcc
	s_cbranch_execz .LBB36_335
; %bb.334:
	v_mul_f64 v[86:87], v[78:79], v[12:13]
	v_mul_f64 v[12:13], v[80:81], v[12:13]
	ds_read2_b64 v[92:95], v1 offset0:32 offset1:33
	ds_read2_b64 v[96:99], v1 offset0:34 offset1:35
	;; [unrolled: 1-line block ×3, first 2 shown]
	v_fma_f64 v[80:81], v[80:81], v[10:11], v[86:87]
	v_fma_f64 v[10:11], v[78:79], v[10:11], -v[12:13]
	s_waitcnt lgkmcnt(2)
	v_mul_f64 v[12:13], v[94:95], v[80:81]
	v_mul_f64 v[78:79], v[92:93], v[80:81]
	s_waitcnt lgkmcnt(1)
	v_mul_f64 v[86:87], v[98:99], v[80:81]
	v_mul_f64 v[104:105], v[96:97], v[80:81]
	;; [unrolled: 3-line block ×3, first 2 shown]
	v_fma_f64 v[12:13], v[92:93], v[10:11], -v[12:13]
	v_fma_f64 v[78:79], v[94:95], v[10:11], v[78:79]
	v_fma_f64 v[86:87], v[96:97], v[10:11], -v[86:87]
	v_fma_f64 v[92:93], v[98:99], v[10:11], v[104:105]
	;; [unrolled: 2-line block ×3, first 2 shown]
	v_add_f64 v[6:7], v[6:7], -v[12:13]
	v_add_f64 v[8:9], v[8:9], -v[78:79]
	;; [unrolled: 1-line block ×6, first 2 shown]
	v_mov_b32_e32 v12, v80
	v_mov_b32_e32 v13, v81
.LBB36_335:
	s_or_b64 exec, exec, s[0:1]
	v_lshl_add_u32 v78, v88, 4, v1
	s_barrier
	ds_write2_b64 v78, v[6:7], v[8:9] offset1:1
	s_waitcnt lgkmcnt(0)
	s_barrier
	ds_read2_b64 v[78:81], v1 offset0:32 offset1:33
	s_cmp_lt_i32 s22, 18
	v_mov_b32_e32 v86, 16
	s_cbranch_scc1 .LBB36_338
; %bb.336:
	v_add_u32_e32 v87, 0x110, v1
	s_mov_b32 s7, 17
	v_mov_b32_e32 v86, 16
.LBB36_337:                             ; =>This Inner Loop Header: Depth=1
	s_waitcnt lgkmcnt(0)
	v_cmp_gt_f64_e32 vcc, 0, v[80:81]
	v_cmp_gt_f64_e64 s[0:1], 0, v[78:79]
	ds_read2_b64 v[92:95], v87 offset1:1
	v_xor_b32_e32 v97, 0x80000000, v79
	v_xor_b32_e32 v99, 0x80000000, v81
	v_mov_b32_e32 v96, v78
	v_mov_b32_e32 v98, v80
	s_waitcnt lgkmcnt(0)
	v_xor_b32_e32 v101, 0x80000000, v95
	v_cndmask_b32_e32 v99, v81, v99, vcc
	v_cndmask_b32_e64 v97, v79, v97, s[0:1]
	v_cmp_gt_f64_e32 vcc, 0, v[94:95]
	v_cmp_gt_f64_e64 s[0:1], 0, v[92:93]
	v_add_f64 v[96:97], v[96:97], v[98:99]
	v_xor_b32_e32 v99, 0x80000000, v93
	v_mov_b32_e32 v98, v92
	v_mov_b32_e32 v100, v94
	v_add_u32_e32 v87, 16, v87
	v_cndmask_b32_e32 v101, v95, v101, vcc
	v_cndmask_b32_e64 v99, v93, v99, s[0:1]
	v_add_f64 v[98:99], v[98:99], v[100:101]
	v_mov_b32_e32 v100, s7
	s_add_i32 s7, s7, 1
	s_cmp_lg_u32 s22, s7
	v_cmp_lt_f64_e32 vcc, v[96:97], v[98:99]
	v_cndmask_b32_e32 v79, v79, v93, vcc
	v_cndmask_b32_e32 v78, v78, v92, vcc
	;; [unrolled: 1-line block ×5, first 2 shown]
	s_cbranch_scc1 .LBB36_337
.LBB36_338:
	s_waitcnt lgkmcnt(0)
	v_cmp_eq_f64_e32 vcc, 0, v[78:79]
	v_cmp_eq_f64_e64 s[0:1], 0, v[80:81]
	s_and_b64 s[0:1], vcc, s[0:1]
	s_and_saveexec_b64 s[8:9], s[0:1]
	s_xor_b64 s[0:1], exec, s[8:9]
; %bb.339:
	v_cmp_ne_u32_e32 vcc, 0, v91
	v_cndmask_b32_e32 v91, 17, v91, vcc
; %bb.340:
	s_andn2_saveexec_b64 s[0:1], s[0:1]
	s_cbranch_execz .LBB36_346
; %bb.341:
	v_cmp_ngt_f64_e64 s[8:9], |v[78:79]|, |v[80:81]|
	s_and_saveexec_b64 s[20:21], s[8:9]
	s_xor_b64 s[8:9], exec, s[20:21]
	s_cbranch_execz .LBB36_343
; %bb.342:
	v_div_scale_f64 v[92:93], s[20:21], v[80:81], v[80:81], v[78:79]
	v_rcp_f64_e32 v[94:95], v[92:93]
	v_fma_f64 v[96:97], -v[92:93], v[94:95], 1.0
	v_fma_f64 v[94:95], v[94:95], v[96:97], v[94:95]
	v_div_scale_f64 v[96:97], vcc, v[78:79], v[80:81], v[78:79]
	v_fma_f64 v[98:99], -v[92:93], v[94:95], 1.0
	v_fma_f64 v[94:95], v[94:95], v[98:99], v[94:95]
	v_mul_f64 v[98:99], v[96:97], v[94:95]
	v_fma_f64 v[92:93], -v[92:93], v[98:99], v[96:97]
	v_div_fmas_f64 v[92:93], v[92:93], v[94:95], v[98:99]
	v_div_fixup_f64 v[92:93], v[92:93], v[80:81], v[78:79]
	v_fma_f64 v[78:79], v[78:79], v[92:93], v[80:81]
	v_div_scale_f64 v[80:81], s[20:21], v[78:79], v[78:79], 1.0
	v_div_scale_f64 v[98:99], vcc, 1.0, v[78:79], 1.0
	v_rcp_f64_e32 v[94:95], v[80:81]
	v_fma_f64 v[96:97], -v[80:81], v[94:95], 1.0
	v_fma_f64 v[94:95], v[94:95], v[96:97], v[94:95]
	v_fma_f64 v[96:97], -v[80:81], v[94:95], 1.0
	v_fma_f64 v[94:95], v[94:95], v[96:97], v[94:95]
	v_mul_f64 v[96:97], v[98:99], v[94:95]
	v_fma_f64 v[80:81], -v[80:81], v[96:97], v[98:99]
	v_div_fmas_f64 v[80:81], v[80:81], v[94:95], v[96:97]
	v_div_fixup_f64 v[80:81], v[80:81], v[78:79], 1.0
	v_mul_f64 v[78:79], v[92:93], v[80:81]
	v_xor_b32_e32 v81, 0x80000000, v81
.LBB36_343:
	s_andn2_saveexec_b64 s[8:9], s[8:9]
	s_cbranch_execz .LBB36_345
; %bb.344:
	v_div_scale_f64 v[92:93], s[20:21], v[78:79], v[78:79], v[80:81]
	v_rcp_f64_e32 v[94:95], v[92:93]
	v_fma_f64 v[96:97], -v[92:93], v[94:95], 1.0
	v_fma_f64 v[94:95], v[94:95], v[96:97], v[94:95]
	v_div_scale_f64 v[96:97], vcc, v[80:81], v[78:79], v[80:81]
	v_fma_f64 v[98:99], -v[92:93], v[94:95], 1.0
	v_fma_f64 v[94:95], v[94:95], v[98:99], v[94:95]
	v_mul_f64 v[98:99], v[96:97], v[94:95]
	v_fma_f64 v[92:93], -v[92:93], v[98:99], v[96:97]
	v_div_fmas_f64 v[92:93], v[92:93], v[94:95], v[98:99]
	v_div_fixup_f64 v[92:93], v[92:93], v[78:79], v[80:81]
	v_fma_f64 v[78:79], v[80:81], v[92:93], v[78:79]
	v_div_scale_f64 v[80:81], s[20:21], v[78:79], v[78:79], 1.0
	v_div_scale_f64 v[98:99], vcc, 1.0, v[78:79], 1.0
	v_rcp_f64_e32 v[94:95], v[80:81]
	v_fma_f64 v[96:97], -v[80:81], v[94:95], 1.0
	v_fma_f64 v[94:95], v[94:95], v[96:97], v[94:95]
	v_fma_f64 v[96:97], -v[80:81], v[94:95], 1.0
	v_fma_f64 v[94:95], v[94:95], v[96:97], v[94:95]
	v_mul_f64 v[96:97], v[98:99], v[94:95]
	v_fma_f64 v[80:81], -v[80:81], v[96:97], v[98:99]
	v_div_fmas_f64 v[80:81], v[80:81], v[94:95], v[96:97]
	v_div_fixup_f64 v[78:79], v[80:81], v[78:79], 1.0
	v_mul_f64 v[80:81], v[92:93], -v[78:79]
.LBB36_345:
	s_or_b64 exec, exec, s[8:9]
.LBB36_346:
	s_or_b64 exec, exec, s[0:1]
	v_cmp_ne_u32_e32 vcc, v88, v86
	s_and_saveexec_b64 s[0:1], vcc
	s_xor_b64 s[0:1], exec, s[0:1]
	s_cbranch_execz .LBB36_352
; %bb.347:
	v_cmp_eq_u32_e32 vcc, 16, v88
	s_and_saveexec_b64 s[8:9], vcc
	s_cbranch_execz .LBB36_351
; %bb.348:
	v_cmp_ne_u32_e32 vcc, 16, v86
	s_xor_b64 s[20:21], s[18:19], -1
	s_and_b64 s[24:25], s[20:21], vcc
	s_and_saveexec_b64 s[20:21], s[24:25]
	s_cbranch_execz .LBB36_350
; %bb.349:
	v_ashrrev_i32_e32 v87, 31, v86
	v_lshlrev_b64 v[87:88], 2, v[86:87]
	v_add_co_u32_e32 v87, vcc, v84, v87
	v_addc_co_u32_e32 v88, vcc, v85, v88, vcc
	global_load_dword v0, v[87:88], off
	global_load_dword v92, v[84:85], off offset:64
	s_waitcnt vmcnt(1)
	global_store_dword v[84:85], v0, off offset:64
	s_waitcnt vmcnt(1)
	global_store_dword v[87:88], v92, off
.LBB36_350:
	s_or_b64 exec, exec, s[20:21]
	v_mov_b32_e32 v88, v86
	v_mov_b32_e32 v0, v86
.LBB36_351:
	s_or_b64 exec, exec, s[8:9]
.LBB36_352:
	s_andn2_saveexec_b64 s[0:1], s[0:1]
	s_cbranch_execz .LBB36_354
; %bb.353:
	v_mov_b32_e32 v88, 16
	ds_write2_b64 v1, v[2:3], v[4:5] offset0:34 offset1:35
	ds_write2_b64 v1, v[74:75], v[76:77] offset0:36 offset1:37
.LBB36_354:
	s_or_b64 exec, exec, s[0:1]
	v_cmp_lt_i32_e32 vcc, 16, v88
	s_waitcnt vmcnt(0) lgkmcnt(0)
	s_barrier
	s_and_saveexec_b64 s[0:1], vcc
	s_cbranch_execz .LBB36_356
; %bb.355:
	v_mul_f64 v[86:87], v[78:79], v[8:9]
	v_mul_f64 v[8:9], v[80:81], v[8:9]
	ds_read2_b64 v[92:95], v1 offset0:34 offset1:35
	ds_read2_b64 v[96:99], v1 offset0:36 offset1:37
	v_fma_f64 v[80:81], v[80:81], v[6:7], v[86:87]
	v_fma_f64 v[6:7], v[78:79], v[6:7], -v[8:9]
	s_waitcnt lgkmcnt(1)
	v_mul_f64 v[8:9], v[94:95], v[80:81]
	v_mul_f64 v[78:79], v[92:93], v[80:81]
	s_waitcnt lgkmcnt(0)
	v_mul_f64 v[86:87], v[98:99], v[80:81]
	v_mul_f64 v[100:101], v[96:97], v[80:81]
	v_fma_f64 v[8:9], v[92:93], v[6:7], -v[8:9]
	v_fma_f64 v[78:79], v[94:95], v[6:7], v[78:79]
	v_fma_f64 v[86:87], v[96:97], v[6:7], -v[86:87]
	v_fma_f64 v[92:93], v[98:99], v[6:7], v[100:101]
	v_add_f64 v[2:3], v[2:3], -v[8:9]
	v_add_f64 v[4:5], v[4:5], -v[78:79]
	v_add_f64 v[74:75], v[74:75], -v[86:87]
	v_add_f64 v[76:77], v[76:77], -v[92:93]
	v_mov_b32_e32 v8, v80
	v_mov_b32_e32 v9, v81
.LBB36_356:
	s_or_b64 exec, exec, s[0:1]
	v_lshl_add_u32 v78, v88, 4, v1
	s_barrier
	ds_write2_b64 v78, v[2:3], v[4:5] offset1:1
	s_waitcnt lgkmcnt(0)
	s_barrier
	ds_read2_b64 v[78:81], v1 offset0:34 offset1:35
	s_cmp_lt_i32 s22, 19
	v_mov_b32_e32 v86, 17
	s_cbranch_scc1 .LBB36_359
; %bb.357:
	v_add_u32_e32 v87, 0x120, v1
	s_mov_b32 s7, 18
	v_mov_b32_e32 v86, 17
.LBB36_358:                             ; =>This Inner Loop Header: Depth=1
	s_waitcnt lgkmcnt(0)
	v_cmp_gt_f64_e32 vcc, 0, v[80:81]
	v_cmp_gt_f64_e64 s[0:1], 0, v[78:79]
	ds_read2_b64 v[92:95], v87 offset1:1
	v_xor_b32_e32 v97, 0x80000000, v79
	v_xor_b32_e32 v99, 0x80000000, v81
	v_mov_b32_e32 v96, v78
	v_mov_b32_e32 v98, v80
	s_waitcnt lgkmcnt(0)
	v_xor_b32_e32 v101, 0x80000000, v95
	v_cndmask_b32_e32 v99, v81, v99, vcc
	v_cndmask_b32_e64 v97, v79, v97, s[0:1]
	v_cmp_gt_f64_e32 vcc, 0, v[94:95]
	v_cmp_gt_f64_e64 s[0:1], 0, v[92:93]
	v_add_f64 v[96:97], v[96:97], v[98:99]
	v_xor_b32_e32 v99, 0x80000000, v93
	v_mov_b32_e32 v98, v92
	v_mov_b32_e32 v100, v94
	v_add_u32_e32 v87, 16, v87
	v_cndmask_b32_e32 v101, v95, v101, vcc
	v_cndmask_b32_e64 v99, v93, v99, s[0:1]
	v_add_f64 v[98:99], v[98:99], v[100:101]
	v_mov_b32_e32 v100, s7
	s_add_i32 s7, s7, 1
	s_cmp_lg_u32 s22, s7
	v_cmp_lt_f64_e32 vcc, v[96:97], v[98:99]
	v_cndmask_b32_e32 v79, v79, v93, vcc
	v_cndmask_b32_e32 v78, v78, v92, vcc
	v_cndmask_b32_e32 v81, v81, v95, vcc
	v_cndmask_b32_e32 v80, v80, v94, vcc
	v_cndmask_b32_e32 v86, v86, v100, vcc
	s_cbranch_scc1 .LBB36_358
.LBB36_359:
	s_waitcnt lgkmcnt(0)
	v_cmp_eq_f64_e32 vcc, 0, v[78:79]
	v_cmp_eq_f64_e64 s[0:1], 0, v[80:81]
	s_and_b64 s[0:1], vcc, s[0:1]
	s_and_saveexec_b64 s[8:9], s[0:1]
	s_xor_b64 s[0:1], exec, s[8:9]
; %bb.360:
	v_cmp_ne_u32_e32 vcc, 0, v91
	v_cndmask_b32_e32 v91, 18, v91, vcc
; %bb.361:
	s_andn2_saveexec_b64 s[0:1], s[0:1]
	s_cbranch_execz .LBB36_367
; %bb.362:
	v_cmp_ngt_f64_e64 s[8:9], |v[78:79]|, |v[80:81]|
	s_and_saveexec_b64 s[20:21], s[8:9]
	s_xor_b64 s[8:9], exec, s[20:21]
	s_cbranch_execz .LBB36_364
; %bb.363:
	v_div_scale_f64 v[92:93], s[20:21], v[80:81], v[80:81], v[78:79]
	v_rcp_f64_e32 v[94:95], v[92:93]
	v_fma_f64 v[96:97], -v[92:93], v[94:95], 1.0
	v_fma_f64 v[94:95], v[94:95], v[96:97], v[94:95]
	v_div_scale_f64 v[96:97], vcc, v[78:79], v[80:81], v[78:79]
	v_fma_f64 v[98:99], -v[92:93], v[94:95], 1.0
	v_fma_f64 v[94:95], v[94:95], v[98:99], v[94:95]
	v_mul_f64 v[98:99], v[96:97], v[94:95]
	v_fma_f64 v[92:93], -v[92:93], v[98:99], v[96:97]
	v_div_fmas_f64 v[92:93], v[92:93], v[94:95], v[98:99]
	v_div_fixup_f64 v[92:93], v[92:93], v[80:81], v[78:79]
	v_fma_f64 v[78:79], v[78:79], v[92:93], v[80:81]
	v_div_scale_f64 v[80:81], s[20:21], v[78:79], v[78:79], 1.0
	v_div_scale_f64 v[98:99], vcc, 1.0, v[78:79], 1.0
	v_rcp_f64_e32 v[94:95], v[80:81]
	v_fma_f64 v[96:97], -v[80:81], v[94:95], 1.0
	v_fma_f64 v[94:95], v[94:95], v[96:97], v[94:95]
	v_fma_f64 v[96:97], -v[80:81], v[94:95], 1.0
	v_fma_f64 v[94:95], v[94:95], v[96:97], v[94:95]
	v_mul_f64 v[96:97], v[98:99], v[94:95]
	v_fma_f64 v[80:81], -v[80:81], v[96:97], v[98:99]
	v_div_fmas_f64 v[80:81], v[80:81], v[94:95], v[96:97]
	v_div_fixup_f64 v[80:81], v[80:81], v[78:79], 1.0
	v_mul_f64 v[78:79], v[92:93], v[80:81]
	v_xor_b32_e32 v81, 0x80000000, v81
.LBB36_364:
	s_andn2_saveexec_b64 s[8:9], s[8:9]
	s_cbranch_execz .LBB36_366
; %bb.365:
	v_div_scale_f64 v[92:93], s[20:21], v[78:79], v[78:79], v[80:81]
	v_rcp_f64_e32 v[94:95], v[92:93]
	v_fma_f64 v[96:97], -v[92:93], v[94:95], 1.0
	v_fma_f64 v[94:95], v[94:95], v[96:97], v[94:95]
	v_div_scale_f64 v[96:97], vcc, v[80:81], v[78:79], v[80:81]
	v_fma_f64 v[98:99], -v[92:93], v[94:95], 1.0
	v_fma_f64 v[94:95], v[94:95], v[98:99], v[94:95]
	v_mul_f64 v[98:99], v[96:97], v[94:95]
	v_fma_f64 v[92:93], -v[92:93], v[98:99], v[96:97]
	v_div_fmas_f64 v[92:93], v[92:93], v[94:95], v[98:99]
	v_div_fixup_f64 v[92:93], v[92:93], v[78:79], v[80:81]
	v_fma_f64 v[78:79], v[80:81], v[92:93], v[78:79]
	v_div_scale_f64 v[80:81], s[20:21], v[78:79], v[78:79], 1.0
	v_div_scale_f64 v[98:99], vcc, 1.0, v[78:79], 1.0
	v_rcp_f64_e32 v[94:95], v[80:81]
	v_fma_f64 v[96:97], -v[80:81], v[94:95], 1.0
	v_fma_f64 v[94:95], v[94:95], v[96:97], v[94:95]
	v_fma_f64 v[96:97], -v[80:81], v[94:95], 1.0
	v_fma_f64 v[94:95], v[94:95], v[96:97], v[94:95]
	v_mul_f64 v[96:97], v[98:99], v[94:95]
	v_fma_f64 v[80:81], -v[80:81], v[96:97], v[98:99]
	v_div_fmas_f64 v[80:81], v[80:81], v[94:95], v[96:97]
	v_div_fixup_f64 v[78:79], v[80:81], v[78:79], 1.0
	v_mul_f64 v[80:81], v[92:93], -v[78:79]
.LBB36_366:
	s_or_b64 exec, exec, s[8:9]
.LBB36_367:
	s_or_b64 exec, exec, s[0:1]
	v_cmp_ne_u32_e32 vcc, v88, v86
	s_and_saveexec_b64 s[0:1], vcc
	s_xor_b64 s[0:1], exec, s[0:1]
	s_cbranch_execz .LBB36_373
; %bb.368:
	v_cmp_eq_u32_e32 vcc, 17, v88
	s_and_saveexec_b64 s[8:9], vcc
	s_cbranch_execz .LBB36_372
; %bb.369:
	v_cmp_ne_u32_e32 vcc, 17, v86
	s_xor_b64 s[20:21], s[18:19], -1
	s_and_b64 s[24:25], s[20:21], vcc
	s_and_saveexec_b64 s[20:21], s[24:25]
	s_cbranch_execz .LBB36_371
; %bb.370:
	v_ashrrev_i32_e32 v87, 31, v86
	v_lshlrev_b64 v[87:88], 2, v[86:87]
	v_add_co_u32_e32 v87, vcc, v84, v87
	v_addc_co_u32_e32 v88, vcc, v85, v88, vcc
	global_load_dword v0, v[87:88], off
	global_load_dword v92, v[84:85], off offset:68
	s_waitcnt vmcnt(1)
	global_store_dword v[84:85], v0, off offset:68
	s_waitcnt vmcnt(1)
	global_store_dword v[87:88], v92, off
.LBB36_371:
	s_or_b64 exec, exec, s[20:21]
	v_mov_b32_e32 v88, v86
	v_mov_b32_e32 v0, v86
.LBB36_372:
	s_or_b64 exec, exec, s[8:9]
.LBB36_373:
	s_andn2_saveexec_b64 s[0:1], s[0:1]
; %bb.374:
	v_mov_b32_e32 v88, 17
	ds_write2_b64 v1, v[74:75], v[76:77] offset0:36 offset1:37
; %bb.375:
	s_or_b64 exec, exec, s[0:1]
	v_cmp_lt_i32_e32 vcc, 17, v88
	s_waitcnt vmcnt(0) lgkmcnt(0)
	s_barrier
	s_and_saveexec_b64 s[0:1], vcc
	s_cbranch_execz .LBB36_377
; %bb.376:
	v_mul_f64 v[86:87], v[78:79], v[4:5]
	v_mul_f64 v[4:5], v[80:81], v[4:5]
	ds_read2_b64 v[92:95], v1 offset0:36 offset1:37
	v_fma_f64 v[80:81], v[80:81], v[2:3], v[86:87]
	v_fma_f64 v[2:3], v[78:79], v[2:3], -v[4:5]
	s_waitcnt lgkmcnt(0)
	v_mul_f64 v[4:5], v[94:95], v[80:81]
	v_mul_f64 v[78:79], v[92:93], v[80:81]
	v_fma_f64 v[4:5], v[92:93], v[2:3], -v[4:5]
	v_fma_f64 v[78:79], v[94:95], v[2:3], v[78:79]
	v_add_f64 v[74:75], v[74:75], -v[4:5]
	v_add_f64 v[76:77], v[76:77], -v[78:79]
	v_mov_b32_e32 v4, v80
	v_mov_b32_e32 v5, v81
.LBB36_377:
	s_or_b64 exec, exec, s[0:1]
	v_lshl_add_u32 v78, v88, 4, v1
	s_barrier
	ds_write2_b64 v78, v[74:75], v[76:77] offset1:1
	s_waitcnt lgkmcnt(0)
	s_barrier
	ds_read2_b64 v[78:81], v1 offset0:36 offset1:37
	s_cmp_lt_i32 s22, 20
	v_mov_b32_e32 v86, 18
	s_cbranch_scc1 .LBB36_380
; %bb.378:
	v_add_u32_e32 v1, 0x130, v1
	s_mov_b32 s7, 19
	v_mov_b32_e32 v86, 18
.LBB36_379:                             ; =>This Inner Loop Header: Depth=1
	s_waitcnt lgkmcnt(0)
	v_cmp_gt_f64_e32 vcc, 0, v[80:81]
	v_cmp_gt_f64_e64 s[0:1], 0, v[78:79]
	ds_read2_b64 v[92:95], v1 offset1:1
	v_xor_b32_e32 v87, 0x80000000, v79
	v_xor_b32_e32 v99, 0x80000000, v81
	v_mov_b32_e32 v96, v78
	v_mov_b32_e32 v98, v80
	s_waitcnt lgkmcnt(0)
	v_xor_b32_e32 v101, 0x80000000, v95
	v_cndmask_b32_e32 v99, v81, v99, vcc
	v_cndmask_b32_e64 v97, v79, v87, s[0:1]
	v_cmp_gt_f64_e32 vcc, 0, v[94:95]
	v_cmp_gt_f64_e64 s[0:1], 0, v[92:93]
	v_xor_b32_e32 v87, 0x80000000, v93
	v_add_f64 v[96:97], v[96:97], v[98:99]
	v_mov_b32_e32 v98, v92
	v_mov_b32_e32 v100, v94
	v_add_u32_e32 v1, 16, v1
	v_cndmask_b32_e32 v101, v95, v101, vcc
	v_cndmask_b32_e64 v99, v93, v87, s[0:1]
	v_add_f64 v[98:99], v[98:99], v[100:101]
	v_mov_b32_e32 v87, s7
	s_add_i32 s7, s7, 1
	s_cmp_lg_u32 s22, s7
	v_cmp_lt_f64_e32 vcc, v[96:97], v[98:99]
	v_cndmask_b32_e32 v79, v79, v93, vcc
	v_cndmask_b32_e32 v78, v78, v92, vcc
	v_cndmask_b32_e32 v81, v81, v95, vcc
	v_cndmask_b32_e32 v80, v80, v94, vcc
	v_cndmask_b32_e32 v86, v86, v87, vcc
	s_cbranch_scc1 .LBB36_379
.LBB36_380:
	s_waitcnt lgkmcnt(0)
	v_cmp_eq_f64_e32 vcc, 0, v[78:79]
	v_cmp_eq_f64_e64 s[0:1], 0, v[80:81]
	s_and_b64 s[0:1], vcc, s[0:1]
	s_and_saveexec_b64 s[8:9], s[0:1]
	s_xor_b64 s[0:1], exec, s[8:9]
; %bb.381:
	v_cmp_ne_u32_e32 vcc, 0, v91
	v_cndmask_b32_e32 v91, 19, v91, vcc
; %bb.382:
	s_andn2_saveexec_b64 s[0:1], s[0:1]
	s_cbranch_execz .LBB36_388
; %bb.383:
	v_cmp_ngt_f64_e64 s[8:9], |v[78:79]|, |v[80:81]|
	s_and_saveexec_b64 s[20:21], s[8:9]
	s_xor_b64 s[8:9], exec, s[20:21]
	s_cbranch_execz .LBB36_385
; %bb.384:
	v_div_scale_f64 v[92:93], s[20:21], v[80:81], v[80:81], v[78:79]
	v_rcp_f64_e32 v[94:95], v[92:93]
	v_fma_f64 v[96:97], -v[92:93], v[94:95], 1.0
	v_fma_f64 v[94:95], v[94:95], v[96:97], v[94:95]
	v_div_scale_f64 v[96:97], vcc, v[78:79], v[80:81], v[78:79]
	v_fma_f64 v[98:99], -v[92:93], v[94:95], 1.0
	v_fma_f64 v[94:95], v[94:95], v[98:99], v[94:95]
	v_mul_f64 v[98:99], v[96:97], v[94:95]
	v_fma_f64 v[92:93], -v[92:93], v[98:99], v[96:97]
	v_div_fmas_f64 v[92:93], v[92:93], v[94:95], v[98:99]
	v_div_fixup_f64 v[92:93], v[92:93], v[80:81], v[78:79]
	v_fma_f64 v[78:79], v[78:79], v[92:93], v[80:81]
	v_div_scale_f64 v[80:81], s[20:21], v[78:79], v[78:79], 1.0
	v_div_scale_f64 v[98:99], vcc, 1.0, v[78:79], 1.0
	v_rcp_f64_e32 v[94:95], v[80:81]
	v_fma_f64 v[96:97], -v[80:81], v[94:95], 1.0
	v_fma_f64 v[94:95], v[94:95], v[96:97], v[94:95]
	v_fma_f64 v[96:97], -v[80:81], v[94:95], 1.0
	v_fma_f64 v[94:95], v[94:95], v[96:97], v[94:95]
	v_mul_f64 v[96:97], v[98:99], v[94:95]
	v_fma_f64 v[80:81], -v[80:81], v[96:97], v[98:99]
	v_div_fmas_f64 v[80:81], v[80:81], v[94:95], v[96:97]
	v_div_fixup_f64 v[80:81], v[80:81], v[78:79], 1.0
	v_mul_f64 v[78:79], v[92:93], v[80:81]
	v_xor_b32_e32 v81, 0x80000000, v81
.LBB36_385:
	s_andn2_saveexec_b64 s[8:9], s[8:9]
	s_cbranch_execz .LBB36_387
; %bb.386:
	v_div_scale_f64 v[92:93], s[20:21], v[78:79], v[78:79], v[80:81]
	v_rcp_f64_e32 v[94:95], v[92:93]
	v_fma_f64 v[96:97], -v[92:93], v[94:95], 1.0
	v_fma_f64 v[94:95], v[94:95], v[96:97], v[94:95]
	v_div_scale_f64 v[96:97], vcc, v[80:81], v[78:79], v[80:81]
	v_fma_f64 v[98:99], -v[92:93], v[94:95], 1.0
	v_fma_f64 v[94:95], v[94:95], v[98:99], v[94:95]
	v_mul_f64 v[98:99], v[96:97], v[94:95]
	v_fma_f64 v[92:93], -v[92:93], v[98:99], v[96:97]
	v_div_fmas_f64 v[92:93], v[92:93], v[94:95], v[98:99]
	v_div_fixup_f64 v[92:93], v[92:93], v[78:79], v[80:81]
	v_fma_f64 v[78:79], v[80:81], v[92:93], v[78:79]
	v_div_scale_f64 v[80:81], s[20:21], v[78:79], v[78:79], 1.0
	v_div_scale_f64 v[98:99], vcc, 1.0, v[78:79], 1.0
	v_rcp_f64_e32 v[94:95], v[80:81]
	v_fma_f64 v[96:97], -v[80:81], v[94:95], 1.0
	v_fma_f64 v[94:95], v[94:95], v[96:97], v[94:95]
	v_fma_f64 v[96:97], -v[80:81], v[94:95], 1.0
	v_fma_f64 v[94:95], v[94:95], v[96:97], v[94:95]
	v_mul_f64 v[96:97], v[98:99], v[94:95]
	v_fma_f64 v[80:81], -v[80:81], v[96:97], v[98:99]
	v_div_fmas_f64 v[80:81], v[80:81], v[94:95], v[96:97]
	v_div_fixup_f64 v[78:79], v[80:81], v[78:79], 1.0
	v_mul_f64 v[80:81], v[92:93], -v[78:79]
.LBB36_387:
	s_or_b64 exec, exec, s[8:9]
.LBB36_388:
	s_or_b64 exec, exec, s[0:1]
	v_cmp_ne_u32_e32 vcc, v88, v86
	v_mov_b32_e32 v87, 18
	s_and_saveexec_b64 s[0:1], vcc
	s_cbranch_execz .LBB36_394
; %bb.389:
	v_cmp_eq_u32_e32 vcc, 18, v88
	s_and_saveexec_b64 s[8:9], vcc
	s_cbranch_execz .LBB36_393
; %bb.390:
	v_cmp_ne_u32_e32 vcc, 18, v86
	s_xor_b64 s[18:19], s[18:19], -1
	s_and_b64 s[20:21], s[18:19], vcc
	s_and_saveexec_b64 s[18:19], s[20:21]
	s_cbranch_execz .LBB36_392
; %bb.391:
	v_ashrrev_i32_e32 v87, 31, v86
	v_lshlrev_b64 v[0:1], 2, v[86:87]
	v_add_co_u32_e32 v0, vcc, v84, v0
	v_addc_co_u32_e32 v1, vcc, v85, v1, vcc
	global_load_dword v87, v[0:1], off
	global_load_dword v88, v[84:85], off offset:72
	s_waitcnt vmcnt(1)
	global_store_dword v[84:85], v87, off offset:72
	s_waitcnt vmcnt(1)
	global_store_dword v[0:1], v88, off
.LBB36_392:
	s_or_b64 exec, exec, s[18:19]
	v_mov_b32_e32 v88, v86
	v_mov_b32_e32 v0, v86
.LBB36_393:
	s_or_b64 exec, exec, s[8:9]
	v_mov_b32_e32 v87, v88
.LBB36_394:
	s_or_b64 exec, exec, s[0:1]
	v_cmp_gt_i32_e32 vcc, 19, v87
	v_ashrrev_i32_e32 v88, 31, v87
	s_waitcnt vmcnt(0)
	s_barrier
	s_barrier
	s_and_saveexec_b64 s[0:1], vcc
	s_cbranch_execz .LBB36_396
; %bb.395:
	v_mul_lo_u32 v1, s15, v82
	v_mul_lo_u32 v86, s14, v83
	v_mad_u64_u32 v[84:85], s[8:9], s14, v82, 0
	s_lshl_b64 s[8:9], s[12:13], 2
	v_add3_u32 v0, v0, s17, 1
	v_add3_u32 v85, v85, v86, v1
	v_lshlrev_b64 v[84:85], 2, v[84:85]
	v_mov_b32_e32 v1, s11
	v_add_co_u32_e32 v84, vcc, s10, v84
	v_addc_co_u32_e32 v1, vcc, v1, v85, vcc
	v_mov_b32_e32 v85, s9
	v_add_co_u32_e32 v86, vcc, s8, v84
	v_addc_co_u32_e32 v1, vcc, v1, v85, vcc
	v_lshlrev_b64 v[84:85], 2, v[87:88]
	v_add_co_u32_e32 v84, vcc, v86, v84
	v_addc_co_u32_e32 v85, vcc, v1, v85, vcc
	global_store_dword v[84:85], v0, off
.LBB36_396:
	s_or_b64 exec, exec, s[0:1]
	v_cmp_eq_u32_e32 vcc, 0, v87
	s_and_saveexec_b64 s[8:9], vcc
	s_cbranch_execz .LBB36_399
; %bb.397:
	v_lshlrev_b64 v[0:1], 2, v[82:83]
	v_mov_b32_e32 v82, s5
	v_add_co_u32_e32 v0, vcc, s4, v0
	v_addc_co_u32_e32 v1, vcc, v82, v1, vcc
	global_load_dword v82, v[0:1], off
	v_cmp_ne_u32_e64 s[0:1], 0, v91
	s_waitcnt vmcnt(0)
	v_cmp_eq_u32_e32 vcc, 0, v82
	s_and_b64 s[0:1], vcc, s[0:1]
	s_and_b64 exec, exec, s[0:1]
	s_cbranch_execz .LBB36_399
; %bb.398:
	v_add_u32_e32 v82, s17, v91
	global_store_dword v[0:1], v82, off
.LBB36_399:
	s_or_b64 exec, exec, s[8:9]
	v_mul_f64 v[0:1], v[78:79], v[76:77]
	v_mul_f64 v[82:83], v[80:81], v[76:77]
	v_lshlrev_b64 v[84:85], 4, v[87:88]
	v_mov_b32_e32 v86, s3
	v_fma_f64 v[0:1], v[80:81], v[74:75], v[0:1]
	v_fma_f64 v[78:79], v[78:79], v[74:75], -v[82:83]
	v_add_co_u32_e32 v80, vcc, v89, v84
	v_addc_co_u32_e32 v81, vcc, v90, v85, vcc
	v_cmp_lt_i32_e32 vcc, 18, v87
	global_store_dwordx4 v[80:81], v[70:73], off
	s_nop 0
	v_cndmask_b32_e32 v73, v77, v1, vcc
	v_cndmask_b32_e32 v72, v76, v0, vcc
	;; [unrolled: 1-line block ×4, first 2 shown]
	v_add_co_u32_e32 v0, vcc, s2, v80
	v_addc_co_u32_e32 v1, vcc, v81, v86, vcc
	global_store_dwordx4 v[0:1], v[66:69], off
	v_add_u32_e32 v0, s16, v87
	v_ashrrev_i32_e32 v1, 31, v0
	v_lshlrev_b64 v[66:67], 4, v[0:1]
	v_add_u32_e32 v0, s6, v0
	v_add_co_u32_e32 v66, vcc, v89, v66
	v_addc_co_u32_e32 v67, vcc, v90, v67, vcc
	v_ashrrev_i32_e32 v1, 31, v0
	global_store_dwordx4 v[66:67], v[62:65], off
	s_nop 0
	v_lshlrev_b64 v[62:63], 4, v[0:1]
	v_add_u32_e32 v0, s6, v0
	v_add_co_u32_e32 v62, vcc, v89, v62
	v_addc_co_u32_e32 v63, vcc, v90, v63, vcc
	v_ashrrev_i32_e32 v1, 31, v0
	global_store_dwordx4 v[62:63], v[58:61], off
	s_nop 0
	;; [unrolled: 7-line block ×15, first 2 shown]
	v_lshlrev_b64 v[6:7], 4, v[0:1]
	v_add_u32_e32 v0, s6, v0
	v_ashrrev_i32_e32 v1, 31, v0
	v_add_co_u32_e32 v6, vcc, v89, v6
	v_lshlrev_b64 v[0:1], 4, v[0:1]
	v_addc_co_u32_e32 v7, vcc, v90, v7, vcc
	v_add_co_u32_e32 v0, vcc, v89, v0
	v_addc_co_u32_e32 v1, vcc, v90, v1, vcc
	global_store_dwordx4 v[6:7], v[2:5], off
	global_store_dwordx4 v[0:1], v[70:73], off
.LBB36_400:
	s_endpgm
	.section	.rodata,"a",@progbits
	.p2align	6, 0x0
	.amdhsa_kernel _ZN9rocsolver6v33100L18getf2_small_kernelILi19E19rocblas_complex_numIdEiiPS3_EEvT1_T3_lS5_lPS5_llPT2_S5_S5_S7_l
		.amdhsa_group_segment_fixed_size 0
		.amdhsa_private_segment_fixed_size 0
		.amdhsa_kernarg_size 352
		.amdhsa_user_sgpr_count 6
		.amdhsa_user_sgpr_private_segment_buffer 1
		.amdhsa_user_sgpr_dispatch_ptr 0
		.amdhsa_user_sgpr_queue_ptr 0
		.amdhsa_user_sgpr_kernarg_segment_ptr 1
		.amdhsa_user_sgpr_dispatch_id 0
		.amdhsa_user_sgpr_flat_scratch_init 0
		.amdhsa_user_sgpr_private_segment_size 0
		.amdhsa_uses_dynamic_stack 0
		.amdhsa_system_sgpr_private_segment_wavefront_offset 0
		.amdhsa_system_sgpr_workgroup_id_x 1
		.amdhsa_system_sgpr_workgroup_id_y 1
		.amdhsa_system_sgpr_workgroup_id_z 0
		.amdhsa_system_sgpr_workgroup_info 0
		.amdhsa_system_vgpr_workitem_id 1
		.amdhsa_next_free_vgpr 126
		.amdhsa_next_free_sgpr 26
		.amdhsa_reserve_vcc 1
		.amdhsa_reserve_flat_scratch 0
		.amdhsa_float_round_mode_32 0
		.amdhsa_float_round_mode_16_64 0
		.amdhsa_float_denorm_mode_32 3
		.amdhsa_float_denorm_mode_16_64 3
		.amdhsa_dx10_clamp 1
		.amdhsa_ieee_mode 1
		.amdhsa_fp16_overflow 0
		.amdhsa_exception_fp_ieee_invalid_op 0
		.amdhsa_exception_fp_denorm_src 0
		.amdhsa_exception_fp_ieee_div_zero 0
		.amdhsa_exception_fp_ieee_overflow 0
		.amdhsa_exception_fp_ieee_underflow 0
		.amdhsa_exception_fp_ieee_inexact 0
		.amdhsa_exception_int_div_zero 0
	.end_amdhsa_kernel
	.section	.text._ZN9rocsolver6v33100L18getf2_small_kernelILi19E19rocblas_complex_numIdEiiPS3_EEvT1_T3_lS5_lPS5_llPT2_S5_S5_S7_l,"axG",@progbits,_ZN9rocsolver6v33100L18getf2_small_kernelILi19E19rocblas_complex_numIdEiiPS3_EEvT1_T3_lS5_lPS5_llPT2_S5_S5_S7_l,comdat
.Lfunc_end36:
	.size	_ZN9rocsolver6v33100L18getf2_small_kernelILi19E19rocblas_complex_numIdEiiPS3_EEvT1_T3_lS5_lPS5_llPT2_S5_S5_S7_l, .Lfunc_end36-_ZN9rocsolver6v33100L18getf2_small_kernelILi19E19rocblas_complex_numIdEiiPS3_EEvT1_T3_lS5_lPS5_llPT2_S5_S5_S7_l
                                        ; -- End function
	.set _ZN9rocsolver6v33100L18getf2_small_kernelILi19E19rocblas_complex_numIdEiiPS3_EEvT1_T3_lS5_lPS5_llPT2_S5_S5_S7_l.num_vgpr, 126
	.set _ZN9rocsolver6v33100L18getf2_small_kernelILi19E19rocblas_complex_numIdEiiPS3_EEvT1_T3_lS5_lPS5_llPT2_S5_S5_S7_l.num_agpr, 0
	.set _ZN9rocsolver6v33100L18getf2_small_kernelILi19E19rocblas_complex_numIdEiiPS3_EEvT1_T3_lS5_lPS5_llPT2_S5_S5_S7_l.numbered_sgpr, 26
	.set _ZN9rocsolver6v33100L18getf2_small_kernelILi19E19rocblas_complex_numIdEiiPS3_EEvT1_T3_lS5_lPS5_llPT2_S5_S5_S7_l.num_named_barrier, 0
	.set _ZN9rocsolver6v33100L18getf2_small_kernelILi19E19rocblas_complex_numIdEiiPS3_EEvT1_T3_lS5_lPS5_llPT2_S5_S5_S7_l.private_seg_size, 0
	.set _ZN9rocsolver6v33100L18getf2_small_kernelILi19E19rocblas_complex_numIdEiiPS3_EEvT1_T3_lS5_lPS5_llPT2_S5_S5_S7_l.uses_vcc, 1
	.set _ZN9rocsolver6v33100L18getf2_small_kernelILi19E19rocblas_complex_numIdEiiPS3_EEvT1_T3_lS5_lPS5_llPT2_S5_S5_S7_l.uses_flat_scratch, 0
	.set _ZN9rocsolver6v33100L18getf2_small_kernelILi19E19rocblas_complex_numIdEiiPS3_EEvT1_T3_lS5_lPS5_llPT2_S5_S5_S7_l.has_dyn_sized_stack, 0
	.set _ZN9rocsolver6v33100L18getf2_small_kernelILi19E19rocblas_complex_numIdEiiPS3_EEvT1_T3_lS5_lPS5_llPT2_S5_S5_S7_l.has_recursion, 0
	.set _ZN9rocsolver6v33100L18getf2_small_kernelILi19E19rocblas_complex_numIdEiiPS3_EEvT1_T3_lS5_lPS5_llPT2_S5_S5_S7_l.has_indirect_call, 0
	.section	.AMDGPU.csdata,"",@progbits
; Kernel info:
; codeLenInByte = 30368
; TotalNumSgprs: 30
; NumVgprs: 126
; ScratchSize: 0
; MemoryBound: 0
; FloatMode: 240
; IeeeMode: 1
; LDSByteSize: 0 bytes/workgroup (compile time only)
; SGPRBlocks: 3
; VGPRBlocks: 31
; NumSGPRsForWavesPerEU: 30
; NumVGPRsForWavesPerEU: 126
; Occupancy: 2
; WaveLimiterHint : 0
; COMPUTE_PGM_RSRC2:SCRATCH_EN: 0
; COMPUTE_PGM_RSRC2:USER_SGPR: 6
; COMPUTE_PGM_RSRC2:TRAP_HANDLER: 0
; COMPUTE_PGM_RSRC2:TGID_X_EN: 1
; COMPUTE_PGM_RSRC2:TGID_Y_EN: 1
; COMPUTE_PGM_RSRC2:TGID_Z_EN: 0
; COMPUTE_PGM_RSRC2:TIDIG_COMP_CNT: 1
	.section	.text._ZN9rocsolver6v33100L23getf2_npvt_small_kernelILi19E19rocblas_complex_numIdEiiPS3_EEvT1_T3_lS5_lPT2_S5_S5_,"axG",@progbits,_ZN9rocsolver6v33100L23getf2_npvt_small_kernelILi19E19rocblas_complex_numIdEiiPS3_EEvT1_T3_lS5_lPT2_S5_S5_,comdat
	.globl	_ZN9rocsolver6v33100L23getf2_npvt_small_kernelILi19E19rocblas_complex_numIdEiiPS3_EEvT1_T3_lS5_lPT2_S5_S5_ ; -- Begin function _ZN9rocsolver6v33100L23getf2_npvt_small_kernelILi19E19rocblas_complex_numIdEiiPS3_EEvT1_T3_lS5_lPT2_S5_S5_
	.p2align	8
	.type	_ZN9rocsolver6v33100L23getf2_npvt_small_kernelILi19E19rocblas_complex_numIdEiiPS3_EEvT1_T3_lS5_lPT2_S5_S5_,@function
_ZN9rocsolver6v33100L23getf2_npvt_small_kernelILi19E19rocblas_complex_numIdEiiPS3_EEvT1_T3_lS5_lPT2_S5_S5_: ; @_ZN9rocsolver6v33100L23getf2_npvt_small_kernelILi19E19rocblas_complex_numIdEiiPS3_EEvT1_T3_lS5_lPT2_S5_S5_
; %bb.0:
	s_mov_b64 s[22:23], s[2:3]
	s_mov_b64 s[20:21], s[0:1]
	s_load_dword s0, s[4:5], 0x44
	s_load_dwordx2 s[12:13], s[4:5], 0x30
	s_add_u32 s20, s20, s8
	s_addc_u32 s21, s21, 0
	s_waitcnt lgkmcnt(0)
	s_lshr_b32 s2, s0, 16
	s_mul_i32 s7, s7, s2
	v_add_u32_e32 v2, s7, v1
	v_cmp_gt_i32_e32 vcc, s12, v2
	s_and_saveexec_b64 s[0:1], vcc
	s_cbranch_execz .LBB37_174
; %bb.1:
	s_load_dwordx4 s[8:11], s[4:5], 0x20
	s_load_dwordx4 s[16:19], s[4:5], 0x8
	v_ashrrev_i32_e32 v3, 31, v2
	s_mulk_i32 s2, 0x130
	s_waitcnt lgkmcnt(0)
	v_mul_lo_u32 v4, s9, v2
	v_mul_lo_u32 v5, s8, v3
	buffer_store_dword v2, off, s[20:23], 0 offset:296 ; 4-byte Folded Spill
	s_nop 0
	buffer_store_dword v3, off, s[20:23], 0 offset:300 ; 4-byte Folded Spill
	v_mov_b32_e32 v6, s17
	v_mad_u64_u32 v[2:3], s[0:1], s8, v2, 0
	s_load_dword s0, s[4:5], 0x18
	s_lshl_b64 s[4:5], s[18:19], 4
	v_add3_u32 v3, v3, v5, v4
	v_lshlrev_b64 v[2:3], 4, v[2:3]
	v_mov_b32_e32 v4, s5
	v_add_co_u32_e32 v2, vcc, s16, v2
	v_addc_co_u32_e32 v3, vcc, v6, v3, vcc
	v_add_co_u32_e32 v2, vcc, s4, v2
	s_waitcnt lgkmcnt(0)
	s_add_i32 s1, s0, s0
	v_addc_co_u32_e32 v3, vcc, v3, v4, vcc
	v_add_u32_e32 v4, s1, v0
	v_ashrrev_i32_e32 v5, 31, v4
	v_lshlrev_b64 v[5:6], 4, v[4:5]
	v_add_u32_e32 v4, s0, v4
	v_add_co_u32_e32 v110, vcc, v2, v5
	v_ashrrev_i32_e32 v5, 31, v4
	v_addc_co_u32_e32 v111, vcc, v3, v6, vcc
	v_lshlrev_b64 v[5:6], 4, v[4:5]
	v_add_u32_e32 v4, s0, v4
	v_add_co_u32_e32 v15, vcc, v2, v5
	v_ashrrev_i32_e32 v5, 31, v4
	v_addc_co_u32_e32 v16, vcc, v3, v6, vcc
	;; [unrolled: 5-line block ×15, first 2 shown]
	v_lshlrev_b64 v[5:6], 4, v[4:5]
	v_add_u32_e32 v4, s0, v4
	v_add_co_u32_e32 v74, vcc, v2, v5
	v_ashrrev_i32_e32 v5, 31, v4
	v_lshlrev_b64 v[4:5], 4, v[4:5]
	v_addc_co_u32_e32 v75, vcc, v3, v6, vcc
	v_add_co_u32_e32 v78, vcc, v2, v4
	v_addc_co_u32_e32 v79, vcc, v3, v5, vcc
	v_lshlrev_b32_e32 v4, 4, v0
	v_add_co_u32_e32 v4, vcc, v2, v4
	s_ashr_i32 s1, s0, 31
	v_addc_co_u32_e32 v5, vcc, 0, v3, vcc
	s_lshl_b64 s[0:1], s[0:1], 4
	v_mov_b32_e32 v2, s1
	v_add_co_u32_e32 v13, vcc, s0, v4
	v_addc_co_u32_e32 v14, vcc, v5, v2, vcc
	buffer_store_dword v4, off, s[20:23], 0 offset:72 ; 4-byte Folded Spill
	s_nop 0
	buffer_store_dword v5, off, s[20:23], 0 offset:76 ; 4-byte Folded Spill
	s_movk_i32 s0, 0x130
	s_add_i32 s1, s2, 0
	v_mad_u32_u24 v126, v1, s0, 0
	v_lshl_add_u32 v1, v1, 4, s1
	v_cmp_ne_u32_e64 s[2:3], 0, v0
	v_cmp_eq_u32_e64 s[0:1], 0, v0
	global_load_dwordx4 v[2:5], v[4:5], off
	s_waitcnt vmcnt(0)
	buffer_store_dword v2, off, s[20:23], 0 ; 4-byte Folded Spill
	s_nop 0
	buffer_store_dword v3, off, s[20:23], 0 offset:4 ; 4-byte Folded Spill
	buffer_store_dword v4, off, s[20:23], 0 offset:8 ; 4-byte Folded Spill
	;; [unrolled: 1-line block ×4, first 2 shown]
	s_nop 0
	buffer_store_dword v14, off, s[20:23], 0 offset:84 ; 4-byte Folded Spill
	global_load_dwordx4 v[70:73], v[13:14], off
	global_load_dwordx4 v[114:117], v[110:111], off
	s_nop 0
	buffer_store_dword v15, off, s[20:23], 0 offset:288 ; 4-byte Folded Spill
	s_nop 0
	buffer_store_dword v16, off, s[20:23], 0 offset:292 ; 4-byte Folded Spill
	global_load_dwordx4 v[62:65], v[15:16], off
	s_nop 0
	buffer_store_dword v17, off, s[20:23], 0 offset:280 ; 4-byte Folded Spill
	s_nop 0
	buffer_store_dword v18, off, s[20:23], 0 offset:284 ; 4-byte Folded Spill
	global_load_dwordx4 v[58:61], v[17:18], off
	global_load_dwordx4 v[54:57], v[120:121], off
	global_load_dwordx4 v[46:49], v[118:119], off
	global_load_dwordx4 v[42:45], v[124:125], off
	global_load_dwordx4 v[38:41], v[122:123], off
	global_load_dwordx4 v[34:37], v[112:113], off
	global_load_dwordx4 v[30:33], v[108:109], off
	global_load_dwordx4 v[26:29], v[76:77], off
	s_nop 0
	buffer_store_dword v7, off, s[20:23], 0 offset:16 ; 4-byte Folded Spill
	s_nop 0
	buffer_store_dword v8, off, s[20:23], 0 offset:20 ; 4-byte Folded Spill
	global_load_dwordx4 v[22:25], v[7:8], off
	s_nop 0
	buffer_store_dword v9, off, s[20:23], 0 offset:24 ; 4-byte Folded Spill
	s_nop 0
	buffer_store_dword v10, off, s[20:23], 0 offset:28 ; 4-byte Folded Spill
	global_load_dwordx4 v[18:21], v[9:10], off
	;; [unrolled: 5-line block ×7, first 2 shown]
	s_and_saveexec_b64 s[6:7], s[0:1]
	s_cbranch_execz .LBB37_8
; %bb.2:
	buffer_load_dword v78, off, s[20:23], 0 ; 4-byte Folded Reload
	buffer_load_dword v79, off, s[20:23], 0 offset:4 ; 4-byte Folded Reload
	buffer_load_dword v80, off, s[20:23], 0 offset:8 ; 4-byte Folded Reload
	;; [unrolled: 1-line block ×3, first 2 shown]
	s_waitcnt vmcnt(0)
	ds_write2_b64 v1, v[78:79], v[80:81] offset1:1
	ds_write2_b64 v126, v[70:71], v[72:73] offset0:2 offset1:3
	ds_write2_b64 v126, v[114:115], v[116:117] offset0:4 offset1:5
	;; [unrolled: 1-line block ×18, first 2 shown]
	ds_read2_b64 v[78:81], v1 offset1:1
	s_waitcnt lgkmcnt(0)
	v_cmp_neq_f64_e32 vcc, 0, v[78:79]
	v_cmp_neq_f64_e64 s[4:5], 0, v[80:81]
	s_or_b64 s[4:5], vcc, s[4:5]
	s_and_b64 exec, exec, s[4:5]
	s_cbranch_execz .LBB37_8
; %bb.3:
	v_cmp_ngt_f64_e64 s[4:5], |v[78:79]|, |v[80:81]|
                                        ; implicit-def: $vgpr82_vgpr83
	s_and_saveexec_b64 s[8:9], s[4:5]
	s_xor_b64 s[4:5], exec, s[8:9]
                                        ; implicit-def: $vgpr84_vgpr85
	s_cbranch_execz .LBB37_5
; %bb.4:
	v_div_scale_f64 v[82:83], s[8:9], v[80:81], v[80:81], v[78:79]
	v_rcp_f64_e32 v[84:85], v[82:83]
	v_fma_f64 v[86:87], -v[82:83], v[84:85], 1.0
	v_fma_f64 v[84:85], v[84:85], v[86:87], v[84:85]
	v_div_scale_f64 v[86:87], vcc, v[78:79], v[80:81], v[78:79]
	v_fma_f64 v[88:89], -v[82:83], v[84:85], 1.0
	v_fma_f64 v[84:85], v[84:85], v[88:89], v[84:85]
	v_mul_f64 v[88:89], v[86:87], v[84:85]
	v_fma_f64 v[82:83], -v[82:83], v[88:89], v[86:87]
	v_div_fmas_f64 v[82:83], v[82:83], v[84:85], v[88:89]
	v_div_fixup_f64 v[82:83], v[82:83], v[80:81], v[78:79]
	v_fma_f64 v[78:79], v[78:79], v[82:83], v[80:81]
	v_div_scale_f64 v[80:81], s[8:9], v[78:79], v[78:79], 1.0
	v_div_scale_f64 v[88:89], vcc, 1.0, v[78:79], 1.0
	v_rcp_f64_e32 v[84:85], v[80:81]
	v_fma_f64 v[86:87], -v[80:81], v[84:85], 1.0
	v_fma_f64 v[84:85], v[84:85], v[86:87], v[84:85]
	v_fma_f64 v[86:87], -v[80:81], v[84:85], 1.0
	v_fma_f64 v[84:85], v[84:85], v[86:87], v[84:85]
	v_mul_f64 v[86:87], v[88:89], v[84:85]
	v_fma_f64 v[80:81], -v[80:81], v[86:87], v[88:89]
	v_div_fmas_f64 v[80:81], v[80:81], v[84:85], v[86:87]
	v_div_fixup_f64 v[84:85], v[80:81], v[78:79], 1.0
                                        ; implicit-def: $vgpr78_vgpr79
	v_mul_f64 v[82:83], v[82:83], v[84:85]
	v_xor_b32_e32 v85, 0x80000000, v85
.LBB37_5:
	s_andn2_saveexec_b64 s[4:5], s[4:5]
	s_cbranch_execz .LBB37_7
; %bb.6:
	v_div_scale_f64 v[82:83], s[8:9], v[78:79], v[78:79], v[80:81]
	v_rcp_f64_e32 v[84:85], v[82:83]
	v_fma_f64 v[86:87], -v[82:83], v[84:85], 1.0
	v_fma_f64 v[84:85], v[84:85], v[86:87], v[84:85]
	v_div_scale_f64 v[86:87], vcc, v[80:81], v[78:79], v[80:81]
	v_fma_f64 v[88:89], -v[82:83], v[84:85], 1.0
	v_fma_f64 v[84:85], v[84:85], v[88:89], v[84:85]
	v_mul_f64 v[88:89], v[86:87], v[84:85]
	v_fma_f64 v[82:83], -v[82:83], v[88:89], v[86:87]
	v_div_fmas_f64 v[82:83], v[82:83], v[84:85], v[88:89]
	v_div_fixup_f64 v[84:85], v[82:83], v[78:79], v[80:81]
	v_fma_f64 v[78:79], v[80:81], v[84:85], v[78:79]
	v_div_scale_f64 v[80:81], s[8:9], v[78:79], v[78:79], 1.0
	v_div_scale_f64 v[88:89], vcc, 1.0, v[78:79], 1.0
	v_rcp_f64_e32 v[82:83], v[80:81]
	v_fma_f64 v[86:87], -v[80:81], v[82:83], 1.0
	v_fma_f64 v[82:83], v[82:83], v[86:87], v[82:83]
	v_fma_f64 v[86:87], -v[80:81], v[82:83], 1.0
	v_fma_f64 v[82:83], v[82:83], v[86:87], v[82:83]
	v_mul_f64 v[86:87], v[88:89], v[82:83]
	v_fma_f64 v[80:81], -v[80:81], v[86:87], v[88:89]
	v_div_fmas_f64 v[80:81], v[80:81], v[82:83], v[86:87]
	v_div_fixup_f64 v[82:83], v[80:81], v[78:79], 1.0
	v_mul_f64 v[84:85], v[84:85], -v[82:83]
.LBB37_7:
	s_or_b64 exec, exec, s[4:5]
	ds_write2_b64 v1, v[82:83], v[84:85] offset1:1
.LBB37_8:
	s_or_b64 exec, exec, s[6:7]
	s_waitcnt vmcnt(0) lgkmcnt(0)
	s_barrier
	ds_read2_b64 v[78:81], v1 offset1:1
	s_waitcnt lgkmcnt(0)
	buffer_store_dword v78, off, s[20:23], 0 offset:88 ; 4-byte Folded Spill
	s_nop 0
	buffer_store_dword v79, off, s[20:23], 0 offset:92 ; 4-byte Folded Spill
	buffer_store_dword v80, off, s[20:23], 0 offset:96 ; 4-byte Folded Spill
	;; [unrolled: 1-line block ×3, first 2 shown]
	s_and_saveexec_b64 s[4:5], s[2:3]
	s_cbranch_execz .LBB37_10
; %bb.9:
	buffer_load_dword v82, off, s[20:23], 0 ; 4-byte Folded Reload
	buffer_load_dword v83, off, s[20:23], 0 offset:4 ; 4-byte Folded Reload
	buffer_load_dword v84, off, s[20:23], 0 offset:8 ; 4-byte Folded Reload
	;; [unrolled: 1-line block ×7, first 2 shown]
	v_mov_b32_e32 v74, v76
	v_mov_b32_e32 v75, v77
	s_waitcnt vmcnt(2)
	v_mul_f64 v[76:77], v[86:87], v[84:85]
	s_waitcnt vmcnt(0)
	v_mul_f64 v[78:79], v[88:89], v[84:85]
	v_fma_f64 v[84:85], v[88:89], v[82:83], v[76:77]
	v_mov_b32_e32 v77, v75
	v_fma_f64 v[78:79], v[86:87], v[82:83], -v[78:79]
	ds_read2_b64 v[80:83], v126 offset0:2 offset1:3
	v_mov_b32_e32 v76, v74
	s_waitcnt lgkmcnt(0)
	v_mul_f64 v[74:75], v[82:83], v[84:85]
	v_fma_f64 v[74:75], v[80:81], v[78:79], -v[74:75]
	v_mul_f64 v[80:81], v[80:81], v[84:85]
	v_add_f64 v[70:71], v[70:71], -v[74:75]
	v_fma_f64 v[80:81], v[82:83], v[78:79], v[80:81]
	v_add_f64 v[72:73], v[72:73], -v[80:81]
	ds_read2_b64 v[80:83], v126 offset0:4 offset1:5
	s_waitcnt lgkmcnt(0)
	v_mul_f64 v[74:75], v[82:83], v[84:85]
	v_fma_f64 v[74:75], v[80:81], v[78:79], -v[74:75]
	v_mul_f64 v[80:81], v[80:81], v[84:85]
	v_add_f64 v[114:115], v[114:115], -v[74:75]
	v_fma_f64 v[80:81], v[82:83], v[78:79], v[80:81]
	v_add_f64 v[116:117], v[116:117], -v[80:81]
	ds_read2_b64 v[80:83], v126 offset0:6 offset1:7
	;; [unrolled: 8-line block ×17, first 2 shown]
	s_waitcnt lgkmcnt(0)
	v_mul_f64 v[74:75], v[82:83], v[84:85]
	v_fma_f64 v[74:75], v[80:81], v[78:79], -v[74:75]
	v_mul_f64 v[80:81], v[80:81], v[84:85]
	v_add_f64 v[50:51], v[50:51], -v[74:75]
	v_fma_f64 v[80:81], v[82:83], v[78:79], v[80:81]
	v_mov_b32_e32 v83, v79
	v_mov_b32_e32 v82, v78
	buffer_store_dword v82, off, s[20:23], 0 ; 4-byte Folded Spill
	s_nop 0
	buffer_store_dword v83, off, s[20:23], 0 offset:4 ; 4-byte Folded Spill
	buffer_store_dword v84, off, s[20:23], 0 offset:8 ; 4-byte Folded Spill
	;; [unrolled: 1-line block ×3, first 2 shown]
	v_add_f64 v[52:53], v[52:53], -v[80:81]
.LBB37_10:
	s_or_b64 exec, exec, s[4:5]
	v_cmp_eq_u32_e32 vcc, 1, v0
	s_waitcnt vmcnt(0)
	s_barrier
	s_and_saveexec_b64 s[4:5], vcc
	s_cbranch_execz .LBB37_17
; %bb.11:
	ds_write2_b64 v1, v[70:71], v[72:73] offset1:1
	ds_write2_b64 v126, v[114:115], v[116:117] offset0:4 offset1:5
	ds_write2_b64 v126, v[62:63], v[64:65] offset0:6 offset1:7
	ds_write2_b64 v126, v[58:59], v[60:61] offset0:8 offset1:9
	ds_write2_b64 v126, v[54:55], v[56:57] offset0:10 offset1:11
	ds_write2_b64 v126, v[46:47], v[48:49] offset0:12 offset1:13
	ds_write2_b64 v126, v[42:43], v[44:45] offset0:14 offset1:15
	ds_write2_b64 v126, v[38:39], v[40:41] offset0:16 offset1:17
	ds_write2_b64 v126, v[34:35], v[36:37] offset0:18 offset1:19
	ds_write2_b64 v126, v[30:31], v[32:33] offset0:20 offset1:21
	ds_write2_b64 v126, v[26:27], v[28:29] offset0:22 offset1:23
	ds_write2_b64 v126, v[22:23], v[24:25] offset0:24 offset1:25
	ds_write2_b64 v126, v[18:19], v[20:21] offset0:26 offset1:27
	ds_write2_b64 v126, v[14:15], v[16:17] offset0:28 offset1:29
	ds_write2_b64 v126, v[10:11], v[12:13] offset0:30 offset1:31
	ds_write2_b64 v126, v[6:7], v[8:9] offset0:32 offset1:33
	ds_write2_b64 v126, v[2:3], v[4:5] offset0:34 offset1:35
	ds_write2_b64 v126, v[50:51], v[52:53] offset0:36 offset1:37
	ds_read2_b64 v[78:81], v1 offset1:1
	s_waitcnt lgkmcnt(0)
	v_cmp_neq_f64_e32 vcc, 0, v[78:79]
	v_cmp_neq_f64_e64 s[2:3], 0, v[80:81]
	s_or_b64 s[2:3], vcc, s[2:3]
	s_and_b64 exec, exec, s[2:3]
	s_cbranch_execz .LBB37_17
; %bb.12:
	v_cmp_ngt_f64_e64 s[2:3], |v[78:79]|, |v[80:81]|
                                        ; implicit-def: $vgpr82_vgpr83
	s_and_saveexec_b64 s[6:7], s[2:3]
	s_xor_b64 s[2:3], exec, s[6:7]
                                        ; implicit-def: $vgpr84_vgpr85
	s_cbranch_execz .LBB37_14
; %bb.13:
	v_div_scale_f64 v[82:83], s[6:7], v[80:81], v[80:81], v[78:79]
	v_rcp_f64_e32 v[84:85], v[82:83]
	v_fma_f64 v[86:87], -v[82:83], v[84:85], 1.0
	v_fma_f64 v[84:85], v[84:85], v[86:87], v[84:85]
	v_div_scale_f64 v[86:87], vcc, v[78:79], v[80:81], v[78:79]
	v_fma_f64 v[88:89], -v[82:83], v[84:85], 1.0
	v_fma_f64 v[84:85], v[84:85], v[88:89], v[84:85]
	v_mul_f64 v[88:89], v[86:87], v[84:85]
	v_fma_f64 v[82:83], -v[82:83], v[88:89], v[86:87]
	v_div_fmas_f64 v[82:83], v[82:83], v[84:85], v[88:89]
	v_div_fixup_f64 v[82:83], v[82:83], v[80:81], v[78:79]
	v_fma_f64 v[78:79], v[78:79], v[82:83], v[80:81]
	v_div_scale_f64 v[80:81], s[6:7], v[78:79], v[78:79], 1.0
	v_div_scale_f64 v[88:89], vcc, 1.0, v[78:79], 1.0
	v_rcp_f64_e32 v[84:85], v[80:81]
	v_fma_f64 v[86:87], -v[80:81], v[84:85], 1.0
	v_fma_f64 v[84:85], v[84:85], v[86:87], v[84:85]
	v_fma_f64 v[86:87], -v[80:81], v[84:85], 1.0
	v_fma_f64 v[84:85], v[84:85], v[86:87], v[84:85]
	v_mul_f64 v[86:87], v[88:89], v[84:85]
	v_fma_f64 v[80:81], -v[80:81], v[86:87], v[88:89]
	v_div_fmas_f64 v[80:81], v[80:81], v[84:85], v[86:87]
	v_div_fixup_f64 v[84:85], v[80:81], v[78:79], 1.0
                                        ; implicit-def: $vgpr78_vgpr79
	v_mul_f64 v[82:83], v[82:83], v[84:85]
	v_xor_b32_e32 v85, 0x80000000, v85
.LBB37_14:
	s_andn2_saveexec_b64 s[2:3], s[2:3]
	s_cbranch_execz .LBB37_16
; %bb.15:
	v_div_scale_f64 v[82:83], s[6:7], v[78:79], v[78:79], v[80:81]
	v_rcp_f64_e32 v[84:85], v[82:83]
	v_fma_f64 v[86:87], -v[82:83], v[84:85], 1.0
	v_fma_f64 v[84:85], v[84:85], v[86:87], v[84:85]
	v_div_scale_f64 v[86:87], vcc, v[80:81], v[78:79], v[80:81]
	v_fma_f64 v[88:89], -v[82:83], v[84:85], 1.0
	v_fma_f64 v[84:85], v[84:85], v[88:89], v[84:85]
	v_mul_f64 v[88:89], v[86:87], v[84:85]
	v_fma_f64 v[82:83], -v[82:83], v[88:89], v[86:87]
	v_div_fmas_f64 v[82:83], v[82:83], v[84:85], v[88:89]
	v_div_fixup_f64 v[84:85], v[82:83], v[78:79], v[80:81]
	v_fma_f64 v[78:79], v[80:81], v[84:85], v[78:79]
	v_div_scale_f64 v[80:81], s[6:7], v[78:79], v[78:79], 1.0
	v_div_scale_f64 v[88:89], vcc, 1.0, v[78:79], 1.0
	v_rcp_f64_e32 v[82:83], v[80:81]
	v_fma_f64 v[86:87], -v[80:81], v[82:83], 1.0
	v_fma_f64 v[82:83], v[82:83], v[86:87], v[82:83]
	v_fma_f64 v[86:87], -v[80:81], v[82:83], 1.0
	v_fma_f64 v[82:83], v[82:83], v[86:87], v[82:83]
	v_mul_f64 v[86:87], v[88:89], v[82:83]
	v_fma_f64 v[80:81], -v[80:81], v[86:87], v[88:89]
	v_div_fmas_f64 v[80:81], v[80:81], v[82:83], v[86:87]
	v_div_fixup_f64 v[82:83], v[80:81], v[78:79], 1.0
	v_mul_f64 v[84:85], v[84:85], -v[82:83]
.LBB37_16:
	s_or_b64 exec, exec, s[2:3]
	ds_write2_b64 v1, v[82:83], v[84:85] offset1:1
.LBB37_17:
	s_or_b64 exec, exec, s[4:5]
	s_waitcnt lgkmcnt(0)
	s_barrier
	ds_read2_b64 v[78:81], v1 offset1:1
	v_cmp_lt_u32_e32 vcc, 1, v0
	s_waitcnt lgkmcnt(0)
	buffer_store_dword v78, off, s[20:23], 0 offset:104 ; 4-byte Folded Spill
	s_nop 0
	buffer_store_dword v79, off, s[20:23], 0 offset:108 ; 4-byte Folded Spill
	buffer_store_dword v80, off, s[20:23], 0 offset:112 ; 4-byte Folded Spill
	;; [unrolled: 1-line block ×3, first 2 shown]
	s_and_saveexec_b64 s[2:3], vcc
	s_cbranch_execz .LBB37_19
; %bb.18:
	buffer_load_dword v80, off, s[20:23], 0 offset:104 ; 4-byte Folded Reload
	buffer_load_dword v81, off, s[20:23], 0 offset:108 ; 4-byte Folded Reload
	;; [unrolled: 1-line block ×4, first 2 shown]
	s_waitcnt vmcnt(0)
	v_mul_f64 v[78:79], v[82:83], v[72:73]
	v_mul_f64 v[72:73], v[80:81], v[72:73]
	v_fma_f64 v[78:79], v[80:81], v[70:71], -v[78:79]
	v_fma_f64 v[72:73], v[82:83], v[70:71], v[72:73]
	ds_read2_b64 v[80:83], v126 offset0:4 offset1:5
	s_waitcnt lgkmcnt(0)
	v_mul_f64 v[70:71], v[82:83], v[72:73]
	v_fma_f64 v[70:71], v[80:81], v[78:79], -v[70:71]
	v_mul_f64 v[80:81], v[80:81], v[72:73]
	v_add_f64 v[114:115], v[114:115], -v[70:71]
	v_fma_f64 v[80:81], v[82:83], v[78:79], v[80:81]
	v_add_f64 v[116:117], v[116:117], -v[80:81]
	ds_read2_b64 v[80:83], v126 offset0:6 offset1:7
	s_waitcnt lgkmcnt(0)
	v_mul_f64 v[70:71], v[82:83], v[72:73]
	v_fma_f64 v[70:71], v[80:81], v[78:79], -v[70:71]
	v_mul_f64 v[80:81], v[80:81], v[72:73]
	v_add_f64 v[62:63], v[62:63], -v[70:71]
	v_fma_f64 v[80:81], v[82:83], v[78:79], v[80:81]
	v_add_f64 v[64:65], v[64:65], -v[80:81]
	;; [unrolled: 8-line block ×16, first 2 shown]
	ds_read2_b64 v[80:83], v126 offset0:36 offset1:37
	s_waitcnt lgkmcnt(0)
	v_mul_f64 v[70:71], v[82:83], v[72:73]
	v_fma_f64 v[70:71], v[80:81], v[78:79], -v[70:71]
	v_mul_f64 v[80:81], v[80:81], v[72:73]
	v_add_f64 v[50:51], v[50:51], -v[70:71]
	v_fma_f64 v[80:81], v[82:83], v[78:79], v[80:81]
	v_mov_b32_e32 v70, v78
	v_mov_b32_e32 v71, v79
	v_add_f64 v[52:53], v[52:53], -v[80:81]
.LBB37_19:
	s_or_b64 exec, exec, s[2:3]
	v_cmp_eq_u32_e32 vcc, 2, v0
	s_waitcnt vmcnt(0)
	s_barrier
	s_and_saveexec_b64 s[4:5], vcc
	s_cbranch_execz .LBB37_26
; %bb.20:
	ds_write2_b64 v1, v[114:115], v[116:117] offset1:1
	ds_write2_b64 v126, v[62:63], v[64:65] offset0:6 offset1:7
	ds_write2_b64 v126, v[58:59], v[60:61] offset0:8 offset1:9
	;; [unrolled: 1-line block ×16, first 2 shown]
	ds_read2_b64 v[78:81], v1 offset1:1
	s_waitcnt lgkmcnt(0)
	v_cmp_neq_f64_e32 vcc, 0, v[78:79]
	v_cmp_neq_f64_e64 s[2:3], 0, v[80:81]
	s_or_b64 s[2:3], vcc, s[2:3]
	s_and_b64 exec, exec, s[2:3]
	s_cbranch_execz .LBB37_26
; %bb.21:
	v_cmp_ngt_f64_e64 s[2:3], |v[78:79]|, |v[80:81]|
                                        ; implicit-def: $vgpr82_vgpr83
	s_and_saveexec_b64 s[6:7], s[2:3]
	s_xor_b64 s[2:3], exec, s[6:7]
                                        ; implicit-def: $vgpr84_vgpr85
	s_cbranch_execz .LBB37_23
; %bb.22:
	v_div_scale_f64 v[82:83], s[6:7], v[80:81], v[80:81], v[78:79]
	v_rcp_f64_e32 v[84:85], v[82:83]
	v_fma_f64 v[86:87], -v[82:83], v[84:85], 1.0
	v_fma_f64 v[84:85], v[84:85], v[86:87], v[84:85]
	v_div_scale_f64 v[86:87], vcc, v[78:79], v[80:81], v[78:79]
	v_fma_f64 v[88:89], -v[82:83], v[84:85], 1.0
	v_fma_f64 v[84:85], v[84:85], v[88:89], v[84:85]
	v_mul_f64 v[88:89], v[86:87], v[84:85]
	v_fma_f64 v[82:83], -v[82:83], v[88:89], v[86:87]
	v_div_fmas_f64 v[82:83], v[82:83], v[84:85], v[88:89]
	v_div_fixup_f64 v[82:83], v[82:83], v[80:81], v[78:79]
	v_fma_f64 v[78:79], v[78:79], v[82:83], v[80:81]
	v_div_scale_f64 v[80:81], s[6:7], v[78:79], v[78:79], 1.0
	v_div_scale_f64 v[88:89], vcc, 1.0, v[78:79], 1.0
	v_rcp_f64_e32 v[84:85], v[80:81]
	v_fma_f64 v[86:87], -v[80:81], v[84:85], 1.0
	v_fma_f64 v[84:85], v[84:85], v[86:87], v[84:85]
	v_fma_f64 v[86:87], -v[80:81], v[84:85], 1.0
	v_fma_f64 v[84:85], v[84:85], v[86:87], v[84:85]
	v_mul_f64 v[86:87], v[88:89], v[84:85]
	v_fma_f64 v[80:81], -v[80:81], v[86:87], v[88:89]
	v_div_fmas_f64 v[80:81], v[80:81], v[84:85], v[86:87]
	v_div_fixup_f64 v[84:85], v[80:81], v[78:79], 1.0
                                        ; implicit-def: $vgpr78_vgpr79
	v_mul_f64 v[82:83], v[82:83], v[84:85]
	v_xor_b32_e32 v85, 0x80000000, v85
.LBB37_23:
	s_andn2_saveexec_b64 s[2:3], s[2:3]
	s_cbranch_execz .LBB37_25
; %bb.24:
	v_div_scale_f64 v[82:83], s[6:7], v[78:79], v[78:79], v[80:81]
	v_rcp_f64_e32 v[84:85], v[82:83]
	v_fma_f64 v[86:87], -v[82:83], v[84:85], 1.0
	v_fma_f64 v[84:85], v[84:85], v[86:87], v[84:85]
	v_div_scale_f64 v[86:87], vcc, v[80:81], v[78:79], v[80:81]
	v_fma_f64 v[88:89], -v[82:83], v[84:85], 1.0
	v_fma_f64 v[84:85], v[84:85], v[88:89], v[84:85]
	v_mul_f64 v[88:89], v[86:87], v[84:85]
	v_fma_f64 v[82:83], -v[82:83], v[88:89], v[86:87]
	v_div_fmas_f64 v[82:83], v[82:83], v[84:85], v[88:89]
	v_div_fixup_f64 v[84:85], v[82:83], v[78:79], v[80:81]
	v_fma_f64 v[78:79], v[80:81], v[84:85], v[78:79]
	v_div_scale_f64 v[80:81], s[6:7], v[78:79], v[78:79], 1.0
	v_div_scale_f64 v[88:89], vcc, 1.0, v[78:79], 1.0
	v_rcp_f64_e32 v[82:83], v[80:81]
	v_fma_f64 v[86:87], -v[80:81], v[82:83], 1.0
	v_fma_f64 v[82:83], v[82:83], v[86:87], v[82:83]
	v_fma_f64 v[86:87], -v[80:81], v[82:83], 1.0
	v_fma_f64 v[82:83], v[82:83], v[86:87], v[82:83]
	v_mul_f64 v[86:87], v[88:89], v[82:83]
	v_fma_f64 v[80:81], -v[80:81], v[86:87], v[88:89]
	v_div_fmas_f64 v[80:81], v[80:81], v[82:83], v[86:87]
	v_div_fixup_f64 v[82:83], v[80:81], v[78:79], 1.0
	v_mul_f64 v[84:85], v[84:85], -v[82:83]
.LBB37_25:
	s_or_b64 exec, exec, s[2:3]
	ds_write2_b64 v1, v[82:83], v[84:85] offset1:1
.LBB37_26:
	s_or_b64 exec, exec, s[4:5]
	s_waitcnt lgkmcnt(0)
	s_barrier
	ds_read2_b64 v[78:81], v1 offset1:1
	v_cmp_lt_u32_e32 vcc, 2, v0
	s_waitcnt lgkmcnt(0)
	buffer_store_dword v78, off, s[20:23], 0 offset:120 ; 4-byte Folded Spill
	s_nop 0
	buffer_store_dword v79, off, s[20:23], 0 offset:124 ; 4-byte Folded Spill
	buffer_store_dword v80, off, s[20:23], 0 offset:128 ; 4-byte Folded Spill
	;; [unrolled: 1-line block ×3, first 2 shown]
	s_and_saveexec_b64 s[2:3], vcc
	s_cbranch_execz .LBB37_28
; %bb.27:
	buffer_load_dword v80, off, s[20:23], 0 offset:120 ; 4-byte Folded Reload
	buffer_load_dword v81, off, s[20:23], 0 offset:124 ; 4-byte Folded Reload
	;; [unrolled: 1-line block ×4, first 2 shown]
	s_waitcnt vmcnt(2)
	v_mul_f64 v[78:79], v[80:81], v[116:117]
	s_waitcnt vmcnt(0)
	v_mul_f64 v[68:69], v[82:83], v[116:117]
	v_fma_f64 v[78:79], v[82:83], v[114:115], v[78:79]
	v_fma_f64 v[114:115], v[80:81], v[114:115], -v[68:69]
	ds_read2_b64 v[80:83], v126 offset0:6 offset1:7
	s_waitcnt lgkmcnt(0)
	v_mul_f64 v[68:69], v[82:83], v[78:79]
	v_mov_b32_e32 v117, v79
	v_mov_b32_e32 v116, v78
	v_fma_f64 v[68:69], v[80:81], v[114:115], -v[68:69]
	v_mul_f64 v[80:81], v[80:81], v[78:79]
	v_add_f64 v[62:63], v[62:63], -v[68:69]
	v_fma_f64 v[80:81], v[82:83], v[114:115], v[80:81]
	v_add_f64 v[64:65], v[64:65], -v[80:81]
	ds_read2_b64 v[80:83], v126 offset0:8 offset1:9
	s_waitcnt lgkmcnt(0)
	v_mul_f64 v[68:69], v[82:83], v[78:79]
	v_fma_f64 v[68:69], v[80:81], v[114:115], -v[68:69]
	v_mul_f64 v[80:81], v[80:81], v[78:79]
	v_add_f64 v[58:59], v[58:59], -v[68:69]
	v_fma_f64 v[80:81], v[82:83], v[114:115], v[80:81]
	v_add_f64 v[60:61], v[60:61], -v[80:81]
	ds_read2_b64 v[80:83], v126 offset0:10 offset1:11
	s_waitcnt lgkmcnt(0)
	v_mul_f64 v[68:69], v[82:83], v[78:79]
	;; [unrolled: 8-line block ×15, first 2 shown]
	v_fma_f64 v[68:69], v[80:81], v[114:115], -v[68:69]
	v_mul_f64 v[80:81], v[80:81], v[78:79]
	v_add_f64 v[50:51], v[50:51], -v[68:69]
	v_fma_f64 v[80:81], v[82:83], v[114:115], v[80:81]
	v_add_f64 v[52:53], v[52:53], -v[80:81]
.LBB37_28:
	s_or_b64 exec, exec, s[2:3]
	v_cmp_eq_u32_e32 vcc, 3, v0
	s_waitcnt vmcnt(0)
	s_barrier
	s_and_saveexec_b64 s[4:5], vcc
	s_cbranch_execz .LBB37_35
; %bb.29:
	ds_write2_b64 v1, v[62:63], v[64:65] offset1:1
	ds_write2_b64 v126, v[58:59], v[60:61] offset0:8 offset1:9
	ds_write2_b64 v126, v[54:55], v[56:57] offset0:10 offset1:11
	;; [unrolled: 1-line block ×15, first 2 shown]
	ds_read2_b64 v[78:81], v1 offset1:1
	s_waitcnt lgkmcnt(0)
	v_cmp_neq_f64_e32 vcc, 0, v[78:79]
	v_cmp_neq_f64_e64 s[2:3], 0, v[80:81]
	s_or_b64 s[2:3], vcc, s[2:3]
	s_and_b64 exec, exec, s[2:3]
	s_cbranch_execz .LBB37_35
; %bb.30:
	v_cmp_ngt_f64_e64 s[2:3], |v[78:79]|, |v[80:81]|
                                        ; implicit-def: $vgpr82_vgpr83
	s_and_saveexec_b64 s[6:7], s[2:3]
	s_xor_b64 s[2:3], exec, s[6:7]
                                        ; implicit-def: $vgpr84_vgpr85
	s_cbranch_execz .LBB37_32
; %bb.31:
	v_div_scale_f64 v[82:83], s[6:7], v[80:81], v[80:81], v[78:79]
	v_rcp_f64_e32 v[84:85], v[82:83]
	v_fma_f64 v[86:87], -v[82:83], v[84:85], 1.0
	v_fma_f64 v[84:85], v[84:85], v[86:87], v[84:85]
	v_div_scale_f64 v[86:87], vcc, v[78:79], v[80:81], v[78:79]
	v_fma_f64 v[88:89], -v[82:83], v[84:85], 1.0
	v_fma_f64 v[84:85], v[84:85], v[88:89], v[84:85]
	v_mul_f64 v[88:89], v[86:87], v[84:85]
	v_fma_f64 v[82:83], -v[82:83], v[88:89], v[86:87]
	v_div_fmas_f64 v[82:83], v[82:83], v[84:85], v[88:89]
	v_div_fixup_f64 v[82:83], v[82:83], v[80:81], v[78:79]
	v_fma_f64 v[78:79], v[78:79], v[82:83], v[80:81]
	v_div_scale_f64 v[80:81], s[6:7], v[78:79], v[78:79], 1.0
	v_div_scale_f64 v[88:89], vcc, 1.0, v[78:79], 1.0
	v_rcp_f64_e32 v[84:85], v[80:81]
	v_fma_f64 v[86:87], -v[80:81], v[84:85], 1.0
	v_fma_f64 v[84:85], v[84:85], v[86:87], v[84:85]
	v_fma_f64 v[86:87], -v[80:81], v[84:85], 1.0
	v_fma_f64 v[84:85], v[84:85], v[86:87], v[84:85]
	v_mul_f64 v[86:87], v[88:89], v[84:85]
	v_fma_f64 v[80:81], -v[80:81], v[86:87], v[88:89]
	v_div_fmas_f64 v[80:81], v[80:81], v[84:85], v[86:87]
	v_div_fixup_f64 v[84:85], v[80:81], v[78:79], 1.0
                                        ; implicit-def: $vgpr78_vgpr79
	v_mul_f64 v[82:83], v[82:83], v[84:85]
	v_xor_b32_e32 v85, 0x80000000, v85
.LBB37_32:
	s_andn2_saveexec_b64 s[2:3], s[2:3]
	s_cbranch_execz .LBB37_34
; %bb.33:
	v_div_scale_f64 v[82:83], s[6:7], v[78:79], v[78:79], v[80:81]
	v_rcp_f64_e32 v[84:85], v[82:83]
	v_fma_f64 v[86:87], -v[82:83], v[84:85], 1.0
	v_fma_f64 v[84:85], v[84:85], v[86:87], v[84:85]
	v_div_scale_f64 v[86:87], vcc, v[80:81], v[78:79], v[80:81]
	v_fma_f64 v[88:89], -v[82:83], v[84:85], 1.0
	v_fma_f64 v[84:85], v[84:85], v[88:89], v[84:85]
	v_mul_f64 v[88:89], v[86:87], v[84:85]
	v_fma_f64 v[82:83], -v[82:83], v[88:89], v[86:87]
	v_div_fmas_f64 v[82:83], v[82:83], v[84:85], v[88:89]
	v_div_fixup_f64 v[84:85], v[82:83], v[78:79], v[80:81]
	v_fma_f64 v[78:79], v[80:81], v[84:85], v[78:79]
	v_div_scale_f64 v[80:81], s[6:7], v[78:79], v[78:79], 1.0
	v_div_scale_f64 v[88:89], vcc, 1.0, v[78:79], 1.0
	v_rcp_f64_e32 v[82:83], v[80:81]
	v_fma_f64 v[86:87], -v[80:81], v[82:83], 1.0
	v_fma_f64 v[82:83], v[82:83], v[86:87], v[82:83]
	v_fma_f64 v[86:87], -v[80:81], v[82:83], 1.0
	v_fma_f64 v[82:83], v[82:83], v[86:87], v[82:83]
	v_mul_f64 v[86:87], v[88:89], v[82:83]
	v_fma_f64 v[80:81], -v[80:81], v[86:87], v[88:89]
	v_div_fmas_f64 v[80:81], v[80:81], v[82:83], v[86:87]
	v_div_fixup_f64 v[82:83], v[80:81], v[78:79], 1.0
	v_mul_f64 v[84:85], v[84:85], -v[82:83]
.LBB37_34:
	s_or_b64 exec, exec, s[2:3]
	ds_write2_b64 v1, v[82:83], v[84:85] offset1:1
.LBB37_35:
	s_or_b64 exec, exec, s[4:5]
	s_waitcnt lgkmcnt(0)
	s_barrier
	ds_read2_b64 v[78:81], v1 offset1:1
	v_cmp_lt_u32_e32 vcc, 3, v0
	s_waitcnt lgkmcnt(0)
	buffer_store_dword v78, off, s[20:23], 0 offset:136 ; 4-byte Folded Spill
	s_nop 0
	buffer_store_dword v79, off, s[20:23], 0 offset:140 ; 4-byte Folded Spill
	buffer_store_dword v80, off, s[20:23], 0 offset:144 ; 4-byte Folded Spill
	;; [unrolled: 1-line block ×3, first 2 shown]
	s_and_saveexec_b64 s[2:3], vcc
	s_cbranch_execz .LBB37_37
; %bb.36:
	buffer_load_dword v80, off, s[20:23], 0 offset:136 ; 4-byte Folded Reload
	buffer_load_dword v81, off, s[20:23], 0 offset:140 ; 4-byte Folded Reload
	;; [unrolled: 1-line block ×4, first 2 shown]
	s_waitcnt vmcnt(2)
	v_mul_f64 v[78:79], v[80:81], v[64:65]
	s_waitcnt vmcnt(0)
	v_mul_f64 v[64:65], v[82:83], v[64:65]
	v_fma_f64 v[78:79], v[82:83], v[62:63], v[78:79]
	v_fma_f64 v[62:63], v[80:81], v[62:63], -v[64:65]
	ds_read2_b64 v[80:83], v126 offset0:8 offset1:9
	s_waitcnt lgkmcnt(0)
	v_mul_f64 v[64:65], v[82:83], v[78:79]
	v_fma_f64 v[64:65], v[80:81], v[62:63], -v[64:65]
	v_mul_f64 v[80:81], v[80:81], v[78:79]
	v_add_f64 v[58:59], v[58:59], -v[64:65]
	v_fma_f64 v[80:81], v[82:83], v[62:63], v[80:81]
	v_add_f64 v[60:61], v[60:61], -v[80:81]
	ds_read2_b64 v[80:83], v126 offset0:10 offset1:11
	s_waitcnt lgkmcnt(0)
	v_mul_f64 v[64:65], v[82:83], v[78:79]
	v_fma_f64 v[64:65], v[80:81], v[62:63], -v[64:65]
	v_mul_f64 v[80:81], v[80:81], v[78:79]
	v_add_f64 v[54:55], v[54:55], -v[64:65]
	v_fma_f64 v[80:81], v[82:83], v[62:63], v[80:81]
	v_add_f64 v[56:57], v[56:57], -v[80:81]
	;; [unrolled: 8-line block ×14, first 2 shown]
	ds_read2_b64 v[80:83], v126 offset0:36 offset1:37
	s_waitcnt lgkmcnt(0)
	v_mul_f64 v[64:65], v[82:83], v[78:79]
	v_fma_f64 v[64:65], v[80:81], v[62:63], -v[64:65]
	v_mul_f64 v[80:81], v[80:81], v[78:79]
	v_add_f64 v[50:51], v[50:51], -v[64:65]
	v_fma_f64 v[80:81], v[82:83], v[62:63], v[80:81]
	v_mov_b32_e32 v64, v78
	v_mov_b32_e32 v65, v79
	v_add_f64 v[52:53], v[52:53], -v[80:81]
.LBB37_37:
	s_or_b64 exec, exec, s[2:3]
	v_cmp_eq_u32_e32 vcc, 4, v0
	s_waitcnt vmcnt(0)
	s_barrier
	s_and_saveexec_b64 s[4:5], vcc
	s_cbranch_execz .LBB37_44
; %bb.38:
	ds_write2_b64 v1, v[58:59], v[60:61] offset1:1
	ds_write2_b64 v126, v[54:55], v[56:57] offset0:10 offset1:11
	ds_write2_b64 v126, v[46:47], v[48:49] offset0:12 offset1:13
	;; [unrolled: 1-line block ×14, first 2 shown]
	ds_read2_b64 v[78:81], v1 offset1:1
	s_waitcnt lgkmcnt(0)
	v_cmp_neq_f64_e32 vcc, 0, v[78:79]
	v_cmp_neq_f64_e64 s[2:3], 0, v[80:81]
	s_or_b64 s[2:3], vcc, s[2:3]
	s_and_b64 exec, exec, s[2:3]
	s_cbranch_execz .LBB37_44
; %bb.39:
	v_cmp_ngt_f64_e64 s[2:3], |v[78:79]|, |v[80:81]|
                                        ; implicit-def: $vgpr82_vgpr83
	s_and_saveexec_b64 s[6:7], s[2:3]
	s_xor_b64 s[2:3], exec, s[6:7]
                                        ; implicit-def: $vgpr84_vgpr85
	s_cbranch_execz .LBB37_41
; %bb.40:
	v_div_scale_f64 v[82:83], s[6:7], v[80:81], v[80:81], v[78:79]
	v_rcp_f64_e32 v[84:85], v[82:83]
	v_fma_f64 v[86:87], -v[82:83], v[84:85], 1.0
	v_fma_f64 v[84:85], v[84:85], v[86:87], v[84:85]
	v_div_scale_f64 v[86:87], vcc, v[78:79], v[80:81], v[78:79]
	v_fma_f64 v[88:89], -v[82:83], v[84:85], 1.0
	v_fma_f64 v[84:85], v[84:85], v[88:89], v[84:85]
	v_mul_f64 v[88:89], v[86:87], v[84:85]
	v_fma_f64 v[82:83], -v[82:83], v[88:89], v[86:87]
	v_div_fmas_f64 v[82:83], v[82:83], v[84:85], v[88:89]
	v_div_fixup_f64 v[82:83], v[82:83], v[80:81], v[78:79]
	v_fma_f64 v[78:79], v[78:79], v[82:83], v[80:81]
	v_div_scale_f64 v[80:81], s[6:7], v[78:79], v[78:79], 1.0
	v_div_scale_f64 v[88:89], vcc, 1.0, v[78:79], 1.0
	v_rcp_f64_e32 v[84:85], v[80:81]
	v_fma_f64 v[86:87], -v[80:81], v[84:85], 1.0
	v_fma_f64 v[84:85], v[84:85], v[86:87], v[84:85]
	v_fma_f64 v[86:87], -v[80:81], v[84:85], 1.0
	v_fma_f64 v[84:85], v[84:85], v[86:87], v[84:85]
	v_mul_f64 v[86:87], v[88:89], v[84:85]
	v_fma_f64 v[80:81], -v[80:81], v[86:87], v[88:89]
	v_div_fmas_f64 v[80:81], v[80:81], v[84:85], v[86:87]
	v_div_fixup_f64 v[84:85], v[80:81], v[78:79], 1.0
                                        ; implicit-def: $vgpr78_vgpr79
	v_mul_f64 v[82:83], v[82:83], v[84:85]
	v_xor_b32_e32 v85, 0x80000000, v85
.LBB37_41:
	s_andn2_saveexec_b64 s[2:3], s[2:3]
	s_cbranch_execz .LBB37_43
; %bb.42:
	v_div_scale_f64 v[82:83], s[6:7], v[78:79], v[78:79], v[80:81]
	v_rcp_f64_e32 v[84:85], v[82:83]
	v_fma_f64 v[86:87], -v[82:83], v[84:85], 1.0
	v_fma_f64 v[84:85], v[84:85], v[86:87], v[84:85]
	v_div_scale_f64 v[86:87], vcc, v[80:81], v[78:79], v[80:81]
	v_fma_f64 v[88:89], -v[82:83], v[84:85], 1.0
	v_fma_f64 v[84:85], v[84:85], v[88:89], v[84:85]
	v_mul_f64 v[88:89], v[86:87], v[84:85]
	v_fma_f64 v[82:83], -v[82:83], v[88:89], v[86:87]
	v_div_fmas_f64 v[82:83], v[82:83], v[84:85], v[88:89]
	v_div_fixup_f64 v[84:85], v[82:83], v[78:79], v[80:81]
	v_fma_f64 v[78:79], v[80:81], v[84:85], v[78:79]
	v_div_scale_f64 v[80:81], s[6:7], v[78:79], v[78:79], 1.0
	v_div_scale_f64 v[88:89], vcc, 1.0, v[78:79], 1.0
	v_rcp_f64_e32 v[82:83], v[80:81]
	v_fma_f64 v[86:87], -v[80:81], v[82:83], 1.0
	v_fma_f64 v[82:83], v[82:83], v[86:87], v[82:83]
	v_fma_f64 v[86:87], -v[80:81], v[82:83], 1.0
	v_fma_f64 v[82:83], v[82:83], v[86:87], v[82:83]
	v_mul_f64 v[86:87], v[88:89], v[82:83]
	v_fma_f64 v[80:81], -v[80:81], v[86:87], v[88:89]
	v_div_fmas_f64 v[80:81], v[80:81], v[82:83], v[86:87]
	v_div_fixup_f64 v[82:83], v[80:81], v[78:79], 1.0
	v_mul_f64 v[84:85], v[84:85], -v[82:83]
.LBB37_43:
	s_or_b64 exec, exec, s[2:3]
	ds_write2_b64 v1, v[82:83], v[84:85] offset1:1
.LBB37_44:
	s_or_b64 exec, exec, s[4:5]
	s_waitcnt lgkmcnt(0)
	s_barrier
	ds_read2_b64 v[78:81], v1 offset1:1
	v_cmp_lt_u32_e32 vcc, 4, v0
	s_waitcnt lgkmcnt(0)
	buffer_store_dword v78, off, s[20:23], 0 offset:152 ; 4-byte Folded Spill
	s_nop 0
	buffer_store_dword v79, off, s[20:23], 0 offset:156 ; 4-byte Folded Spill
	buffer_store_dword v80, off, s[20:23], 0 offset:160 ; 4-byte Folded Spill
	;; [unrolled: 1-line block ×3, first 2 shown]
	s_and_saveexec_b64 s[2:3], vcc
	s_cbranch_execz .LBB37_46
; %bb.45:
	buffer_load_dword v80, off, s[20:23], 0 offset:152 ; 4-byte Folded Reload
	buffer_load_dword v81, off, s[20:23], 0 offset:156 ; 4-byte Folded Reload
	;; [unrolled: 1-line block ×4, first 2 shown]
	s_waitcnt vmcnt(2)
	v_mul_f64 v[78:79], v[80:81], v[60:61]
	s_waitcnt vmcnt(0)
	v_mul_f64 v[60:61], v[82:83], v[60:61]
	v_fma_f64 v[78:79], v[82:83], v[58:59], v[78:79]
	v_fma_f64 v[58:59], v[80:81], v[58:59], -v[60:61]
	ds_read2_b64 v[80:83], v126 offset0:10 offset1:11
	s_waitcnt lgkmcnt(0)
	v_mul_f64 v[60:61], v[82:83], v[78:79]
	v_fma_f64 v[60:61], v[80:81], v[58:59], -v[60:61]
	v_mul_f64 v[80:81], v[80:81], v[78:79]
	v_add_f64 v[54:55], v[54:55], -v[60:61]
	v_fma_f64 v[80:81], v[82:83], v[58:59], v[80:81]
	v_add_f64 v[56:57], v[56:57], -v[80:81]
	ds_read2_b64 v[80:83], v126 offset0:12 offset1:13
	s_waitcnt lgkmcnt(0)
	v_mul_f64 v[60:61], v[82:83], v[78:79]
	v_fma_f64 v[60:61], v[80:81], v[58:59], -v[60:61]
	v_mul_f64 v[80:81], v[80:81], v[78:79]
	v_add_f64 v[46:47], v[46:47], -v[60:61]
	v_fma_f64 v[80:81], v[82:83], v[58:59], v[80:81]
	v_add_f64 v[48:49], v[48:49], -v[80:81]
	;; [unrolled: 8-line block ×13, first 2 shown]
	ds_read2_b64 v[80:83], v126 offset0:36 offset1:37
	s_waitcnt lgkmcnt(0)
	v_mul_f64 v[60:61], v[82:83], v[78:79]
	v_fma_f64 v[60:61], v[80:81], v[58:59], -v[60:61]
	v_mul_f64 v[80:81], v[80:81], v[78:79]
	v_add_f64 v[50:51], v[50:51], -v[60:61]
	v_fma_f64 v[80:81], v[82:83], v[58:59], v[80:81]
	v_mov_b32_e32 v60, v78
	v_mov_b32_e32 v61, v79
	v_add_f64 v[52:53], v[52:53], -v[80:81]
.LBB37_46:
	s_or_b64 exec, exec, s[2:3]
	v_cmp_eq_u32_e32 vcc, 5, v0
	s_waitcnt vmcnt(0)
	s_barrier
	s_and_saveexec_b64 s[4:5], vcc
	s_cbranch_execz .LBB37_53
; %bb.47:
	ds_write2_b64 v1, v[54:55], v[56:57] offset1:1
	ds_write2_b64 v126, v[46:47], v[48:49] offset0:12 offset1:13
	ds_write2_b64 v126, v[42:43], v[44:45] offset0:14 offset1:15
	ds_write2_b64 v126, v[38:39], v[40:41] offset0:16 offset1:17
	ds_write2_b64 v126, v[34:35], v[36:37] offset0:18 offset1:19
	ds_write2_b64 v126, v[30:31], v[32:33] offset0:20 offset1:21
	ds_write2_b64 v126, v[26:27], v[28:29] offset0:22 offset1:23
	ds_write2_b64 v126, v[22:23], v[24:25] offset0:24 offset1:25
	ds_write2_b64 v126, v[18:19], v[20:21] offset0:26 offset1:27
	ds_write2_b64 v126, v[14:15], v[16:17] offset0:28 offset1:29
	ds_write2_b64 v126, v[10:11], v[12:13] offset0:30 offset1:31
	ds_write2_b64 v126, v[6:7], v[8:9] offset0:32 offset1:33
	ds_write2_b64 v126, v[2:3], v[4:5] offset0:34 offset1:35
	ds_write2_b64 v126, v[50:51], v[52:53] offset0:36 offset1:37
	ds_read2_b64 v[78:81], v1 offset1:1
	s_waitcnt lgkmcnt(0)
	v_cmp_neq_f64_e32 vcc, 0, v[78:79]
	v_cmp_neq_f64_e64 s[2:3], 0, v[80:81]
	s_or_b64 s[2:3], vcc, s[2:3]
	s_and_b64 exec, exec, s[2:3]
	s_cbranch_execz .LBB37_53
; %bb.48:
	v_cmp_ngt_f64_e64 s[2:3], |v[78:79]|, |v[80:81]|
                                        ; implicit-def: $vgpr82_vgpr83
	s_and_saveexec_b64 s[6:7], s[2:3]
	s_xor_b64 s[2:3], exec, s[6:7]
                                        ; implicit-def: $vgpr84_vgpr85
	s_cbranch_execz .LBB37_50
; %bb.49:
	v_div_scale_f64 v[82:83], s[6:7], v[80:81], v[80:81], v[78:79]
	v_rcp_f64_e32 v[84:85], v[82:83]
	v_fma_f64 v[86:87], -v[82:83], v[84:85], 1.0
	v_fma_f64 v[84:85], v[84:85], v[86:87], v[84:85]
	v_div_scale_f64 v[86:87], vcc, v[78:79], v[80:81], v[78:79]
	v_fma_f64 v[88:89], -v[82:83], v[84:85], 1.0
	v_fma_f64 v[84:85], v[84:85], v[88:89], v[84:85]
	v_mul_f64 v[88:89], v[86:87], v[84:85]
	v_fma_f64 v[82:83], -v[82:83], v[88:89], v[86:87]
	v_div_fmas_f64 v[82:83], v[82:83], v[84:85], v[88:89]
	v_div_fixup_f64 v[82:83], v[82:83], v[80:81], v[78:79]
	v_fma_f64 v[78:79], v[78:79], v[82:83], v[80:81]
	v_div_scale_f64 v[80:81], s[6:7], v[78:79], v[78:79], 1.0
	v_div_scale_f64 v[88:89], vcc, 1.0, v[78:79], 1.0
	v_rcp_f64_e32 v[84:85], v[80:81]
	v_fma_f64 v[86:87], -v[80:81], v[84:85], 1.0
	v_fma_f64 v[84:85], v[84:85], v[86:87], v[84:85]
	v_fma_f64 v[86:87], -v[80:81], v[84:85], 1.0
	v_fma_f64 v[84:85], v[84:85], v[86:87], v[84:85]
	v_mul_f64 v[86:87], v[88:89], v[84:85]
	v_fma_f64 v[80:81], -v[80:81], v[86:87], v[88:89]
	v_div_fmas_f64 v[80:81], v[80:81], v[84:85], v[86:87]
	v_div_fixup_f64 v[84:85], v[80:81], v[78:79], 1.0
                                        ; implicit-def: $vgpr78_vgpr79
	v_mul_f64 v[82:83], v[82:83], v[84:85]
	v_xor_b32_e32 v85, 0x80000000, v85
.LBB37_50:
	s_andn2_saveexec_b64 s[2:3], s[2:3]
	s_cbranch_execz .LBB37_52
; %bb.51:
	v_div_scale_f64 v[82:83], s[6:7], v[78:79], v[78:79], v[80:81]
	v_rcp_f64_e32 v[84:85], v[82:83]
	v_fma_f64 v[86:87], -v[82:83], v[84:85], 1.0
	v_fma_f64 v[84:85], v[84:85], v[86:87], v[84:85]
	v_div_scale_f64 v[86:87], vcc, v[80:81], v[78:79], v[80:81]
	v_fma_f64 v[88:89], -v[82:83], v[84:85], 1.0
	v_fma_f64 v[84:85], v[84:85], v[88:89], v[84:85]
	v_mul_f64 v[88:89], v[86:87], v[84:85]
	v_fma_f64 v[82:83], -v[82:83], v[88:89], v[86:87]
	v_div_fmas_f64 v[82:83], v[82:83], v[84:85], v[88:89]
	v_div_fixup_f64 v[84:85], v[82:83], v[78:79], v[80:81]
	v_fma_f64 v[78:79], v[80:81], v[84:85], v[78:79]
	v_div_scale_f64 v[80:81], s[6:7], v[78:79], v[78:79], 1.0
	v_div_scale_f64 v[88:89], vcc, 1.0, v[78:79], 1.0
	v_rcp_f64_e32 v[82:83], v[80:81]
	v_fma_f64 v[86:87], -v[80:81], v[82:83], 1.0
	v_fma_f64 v[82:83], v[82:83], v[86:87], v[82:83]
	v_fma_f64 v[86:87], -v[80:81], v[82:83], 1.0
	v_fma_f64 v[82:83], v[82:83], v[86:87], v[82:83]
	v_mul_f64 v[86:87], v[88:89], v[82:83]
	v_fma_f64 v[80:81], -v[80:81], v[86:87], v[88:89]
	v_div_fmas_f64 v[80:81], v[80:81], v[82:83], v[86:87]
	v_div_fixup_f64 v[82:83], v[80:81], v[78:79], 1.0
	v_mul_f64 v[84:85], v[84:85], -v[82:83]
.LBB37_52:
	s_or_b64 exec, exec, s[2:3]
	ds_write2_b64 v1, v[82:83], v[84:85] offset1:1
.LBB37_53:
	s_or_b64 exec, exec, s[4:5]
	s_waitcnt lgkmcnt(0)
	s_barrier
	ds_read2_b64 v[78:81], v1 offset1:1
	v_cmp_lt_u32_e32 vcc, 5, v0
	s_waitcnt lgkmcnt(0)
	buffer_store_dword v78, off, s[20:23], 0 offset:168 ; 4-byte Folded Spill
	s_nop 0
	buffer_store_dword v79, off, s[20:23], 0 offset:172 ; 4-byte Folded Spill
	buffer_store_dword v80, off, s[20:23], 0 offset:176 ; 4-byte Folded Spill
	buffer_store_dword v81, off, s[20:23], 0 offset:180 ; 4-byte Folded Spill
	s_and_saveexec_b64 s[2:3], vcc
	s_cbranch_execz .LBB37_55
; %bb.54:
	buffer_load_dword v80, off, s[20:23], 0 offset:168 ; 4-byte Folded Reload
	buffer_load_dword v81, off, s[20:23], 0 offset:172 ; 4-byte Folded Reload
	;; [unrolled: 1-line block ×4, first 2 shown]
	s_waitcnt vmcnt(2)
	v_mul_f64 v[78:79], v[80:81], v[56:57]
	s_waitcnt vmcnt(0)
	v_mul_f64 v[56:57], v[82:83], v[56:57]
	v_fma_f64 v[78:79], v[82:83], v[54:55], v[78:79]
	v_fma_f64 v[54:55], v[80:81], v[54:55], -v[56:57]
	ds_read2_b64 v[80:83], v126 offset0:12 offset1:13
	s_waitcnt lgkmcnt(0)
	v_mul_f64 v[56:57], v[82:83], v[78:79]
	v_fma_f64 v[56:57], v[80:81], v[54:55], -v[56:57]
	v_mul_f64 v[80:81], v[80:81], v[78:79]
	v_add_f64 v[46:47], v[46:47], -v[56:57]
	v_fma_f64 v[80:81], v[82:83], v[54:55], v[80:81]
	v_add_f64 v[48:49], v[48:49], -v[80:81]
	ds_read2_b64 v[80:83], v126 offset0:14 offset1:15
	s_waitcnt lgkmcnt(0)
	v_mul_f64 v[56:57], v[82:83], v[78:79]
	v_fma_f64 v[56:57], v[80:81], v[54:55], -v[56:57]
	v_mul_f64 v[80:81], v[80:81], v[78:79]
	v_add_f64 v[42:43], v[42:43], -v[56:57]
	v_fma_f64 v[80:81], v[82:83], v[54:55], v[80:81]
	v_add_f64 v[44:45], v[44:45], -v[80:81]
	ds_read2_b64 v[80:83], v126 offset0:16 offset1:17
	s_waitcnt lgkmcnt(0)
	v_mul_f64 v[56:57], v[82:83], v[78:79]
	v_fma_f64 v[56:57], v[80:81], v[54:55], -v[56:57]
	v_mul_f64 v[80:81], v[80:81], v[78:79]
	v_add_f64 v[38:39], v[38:39], -v[56:57]
	v_fma_f64 v[80:81], v[82:83], v[54:55], v[80:81]
	v_add_f64 v[40:41], v[40:41], -v[80:81]
	ds_read2_b64 v[80:83], v126 offset0:18 offset1:19
	s_waitcnt lgkmcnt(0)
	v_mul_f64 v[56:57], v[82:83], v[78:79]
	v_fma_f64 v[56:57], v[80:81], v[54:55], -v[56:57]
	v_mul_f64 v[80:81], v[80:81], v[78:79]
	v_add_f64 v[34:35], v[34:35], -v[56:57]
	v_fma_f64 v[80:81], v[82:83], v[54:55], v[80:81]
	v_add_f64 v[36:37], v[36:37], -v[80:81]
	ds_read2_b64 v[80:83], v126 offset0:20 offset1:21
	s_waitcnt lgkmcnt(0)
	v_mul_f64 v[56:57], v[82:83], v[78:79]
	v_fma_f64 v[56:57], v[80:81], v[54:55], -v[56:57]
	v_mul_f64 v[80:81], v[80:81], v[78:79]
	v_add_f64 v[30:31], v[30:31], -v[56:57]
	v_fma_f64 v[80:81], v[82:83], v[54:55], v[80:81]
	v_add_f64 v[32:33], v[32:33], -v[80:81]
	ds_read2_b64 v[80:83], v126 offset0:22 offset1:23
	s_waitcnt lgkmcnt(0)
	v_mul_f64 v[56:57], v[82:83], v[78:79]
	v_fma_f64 v[56:57], v[80:81], v[54:55], -v[56:57]
	v_mul_f64 v[80:81], v[80:81], v[78:79]
	v_add_f64 v[26:27], v[26:27], -v[56:57]
	v_fma_f64 v[80:81], v[82:83], v[54:55], v[80:81]
	v_add_f64 v[28:29], v[28:29], -v[80:81]
	ds_read2_b64 v[80:83], v126 offset0:24 offset1:25
	s_waitcnt lgkmcnt(0)
	v_mul_f64 v[56:57], v[82:83], v[78:79]
	v_fma_f64 v[56:57], v[80:81], v[54:55], -v[56:57]
	v_mul_f64 v[80:81], v[80:81], v[78:79]
	v_add_f64 v[22:23], v[22:23], -v[56:57]
	v_fma_f64 v[80:81], v[82:83], v[54:55], v[80:81]
	v_add_f64 v[24:25], v[24:25], -v[80:81]
	ds_read2_b64 v[80:83], v126 offset0:26 offset1:27
	s_waitcnt lgkmcnt(0)
	v_mul_f64 v[56:57], v[82:83], v[78:79]
	v_fma_f64 v[56:57], v[80:81], v[54:55], -v[56:57]
	v_mul_f64 v[80:81], v[80:81], v[78:79]
	v_add_f64 v[18:19], v[18:19], -v[56:57]
	v_fma_f64 v[80:81], v[82:83], v[54:55], v[80:81]
	v_add_f64 v[20:21], v[20:21], -v[80:81]
	ds_read2_b64 v[80:83], v126 offset0:28 offset1:29
	s_waitcnt lgkmcnt(0)
	v_mul_f64 v[56:57], v[82:83], v[78:79]
	v_fma_f64 v[56:57], v[80:81], v[54:55], -v[56:57]
	v_mul_f64 v[80:81], v[80:81], v[78:79]
	v_add_f64 v[14:15], v[14:15], -v[56:57]
	v_fma_f64 v[80:81], v[82:83], v[54:55], v[80:81]
	v_add_f64 v[16:17], v[16:17], -v[80:81]
	ds_read2_b64 v[80:83], v126 offset0:30 offset1:31
	s_waitcnt lgkmcnt(0)
	v_mul_f64 v[56:57], v[82:83], v[78:79]
	v_fma_f64 v[56:57], v[80:81], v[54:55], -v[56:57]
	v_mul_f64 v[80:81], v[80:81], v[78:79]
	v_add_f64 v[10:11], v[10:11], -v[56:57]
	v_fma_f64 v[80:81], v[82:83], v[54:55], v[80:81]
	v_add_f64 v[12:13], v[12:13], -v[80:81]
	ds_read2_b64 v[80:83], v126 offset0:32 offset1:33
	s_waitcnt lgkmcnt(0)
	v_mul_f64 v[56:57], v[82:83], v[78:79]
	v_fma_f64 v[56:57], v[80:81], v[54:55], -v[56:57]
	v_mul_f64 v[80:81], v[80:81], v[78:79]
	v_add_f64 v[6:7], v[6:7], -v[56:57]
	v_fma_f64 v[80:81], v[82:83], v[54:55], v[80:81]
	v_add_f64 v[8:9], v[8:9], -v[80:81]
	ds_read2_b64 v[80:83], v126 offset0:34 offset1:35
	s_waitcnt lgkmcnt(0)
	v_mul_f64 v[56:57], v[82:83], v[78:79]
	v_fma_f64 v[56:57], v[80:81], v[54:55], -v[56:57]
	v_mul_f64 v[80:81], v[80:81], v[78:79]
	v_add_f64 v[2:3], v[2:3], -v[56:57]
	v_fma_f64 v[80:81], v[82:83], v[54:55], v[80:81]
	v_add_f64 v[4:5], v[4:5], -v[80:81]
	ds_read2_b64 v[80:83], v126 offset0:36 offset1:37
	s_waitcnt lgkmcnt(0)
	v_mul_f64 v[56:57], v[82:83], v[78:79]
	v_fma_f64 v[56:57], v[80:81], v[54:55], -v[56:57]
	v_mul_f64 v[80:81], v[80:81], v[78:79]
	v_add_f64 v[50:51], v[50:51], -v[56:57]
	v_fma_f64 v[80:81], v[82:83], v[54:55], v[80:81]
	v_mov_b32_e32 v56, v78
	v_mov_b32_e32 v57, v79
	v_add_f64 v[52:53], v[52:53], -v[80:81]
.LBB37_55:
	s_or_b64 exec, exec, s[2:3]
	v_cmp_eq_u32_e32 vcc, 6, v0
	s_waitcnt vmcnt(0)
	s_barrier
	s_and_saveexec_b64 s[4:5], vcc
	s_cbranch_execz .LBB37_62
; %bb.56:
	ds_write2_b64 v1, v[46:47], v[48:49] offset1:1
	ds_write2_b64 v126, v[42:43], v[44:45] offset0:14 offset1:15
	ds_write2_b64 v126, v[38:39], v[40:41] offset0:16 offset1:17
	;; [unrolled: 1-line block ×12, first 2 shown]
	ds_read2_b64 v[78:81], v1 offset1:1
	s_waitcnt lgkmcnt(0)
	v_cmp_neq_f64_e32 vcc, 0, v[78:79]
	v_cmp_neq_f64_e64 s[2:3], 0, v[80:81]
	s_or_b64 s[2:3], vcc, s[2:3]
	s_and_b64 exec, exec, s[2:3]
	s_cbranch_execz .LBB37_62
; %bb.57:
	v_cmp_ngt_f64_e64 s[2:3], |v[78:79]|, |v[80:81]|
                                        ; implicit-def: $vgpr82_vgpr83
	s_and_saveexec_b64 s[6:7], s[2:3]
	s_xor_b64 s[2:3], exec, s[6:7]
                                        ; implicit-def: $vgpr84_vgpr85
	s_cbranch_execz .LBB37_59
; %bb.58:
	v_div_scale_f64 v[82:83], s[6:7], v[80:81], v[80:81], v[78:79]
	v_rcp_f64_e32 v[84:85], v[82:83]
	v_fma_f64 v[86:87], -v[82:83], v[84:85], 1.0
	v_fma_f64 v[84:85], v[84:85], v[86:87], v[84:85]
	v_div_scale_f64 v[86:87], vcc, v[78:79], v[80:81], v[78:79]
	v_fma_f64 v[88:89], -v[82:83], v[84:85], 1.0
	v_fma_f64 v[84:85], v[84:85], v[88:89], v[84:85]
	v_mul_f64 v[88:89], v[86:87], v[84:85]
	v_fma_f64 v[82:83], -v[82:83], v[88:89], v[86:87]
	v_div_fmas_f64 v[82:83], v[82:83], v[84:85], v[88:89]
	v_div_fixup_f64 v[82:83], v[82:83], v[80:81], v[78:79]
	v_fma_f64 v[78:79], v[78:79], v[82:83], v[80:81]
	v_div_scale_f64 v[80:81], s[6:7], v[78:79], v[78:79], 1.0
	v_div_scale_f64 v[88:89], vcc, 1.0, v[78:79], 1.0
	v_rcp_f64_e32 v[84:85], v[80:81]
	v_fma_f64 v[86:87], -v[80:81], v[84:85], 1.0
	v_fma_f64 v[84:85], v[84:85], v[86:87], v[84:85]
	v_fma_f64 v[86:87], -v[80:81], v[84:85], 1.0
	v_fma_f64 v[84:85], v[84:85], v[86:87], v[84:85]
	v_mul_f64 v[86:87], v[88:89], v[84:85]
	v_fma_f64 v[80:81], -v[80:81], v[86:87], v[88:89]
	v_div_fmas_f64 v[80:81], v[80:81], v[84:85], v[86:87]
	v_div_fixup_f64 v[84:85], v[80:81], v[78:79], 1.0
                                        ; implicit-def: $vgpr78_vgpr79
	v_mul_f64 v[82:83], v[82:83], v[84:85]
	v_xor_b32_e32 v85, 0x80000000, v85
.LBB37_59:
	s_andn2_saveexec_b64 s[2:3], s[2:3]
	s_cbranch_execz .LBB37_61
; %bb.60:
	v_div_scale_f64 v[82:83], s[6:7], v[78:79], v[78:79], v[80:81]
	v_rcp_f64_e32 v[84:85], v[82:83]
	v_fma_f64 v[86:87], -v[82:83], v[84:85], 1.0
	v_fma_f64 v[84:85], v[84:85], v[86:87], v[84:85]
	v_div_scale_f64 v[86:87], vcc, v[80:81], v[78:79], v[80:81]
	v_fma_f64 v[88:89], -v[82:83], v[84:85], 1.0
	v_fma_f64 v[84:85], v[84:85], v[88:89], v[84:85]
	v_mul_f64 v[88:89], v[86:87], v[84:85]
	v_fma_f64 v[82:83], -v[82:83], v[88:89], v[86:87]
	v_div_fmas_f64 v[82:83], v[82:83], v[84:85], v[88:89]
	v_div_fixup_f64 v[84:85], v[82:83], v[78:79], v[80:81]
	v_fma_f64 v[78:79], v[80:81], v[84:85], v[78:79]
	v_div_scale_f64 v[80:81], s[6:7], v[78:79], v[78:79], 1.0
	v_div_scale_f64 v[88:89], vcc, 1.0, v[78:79], 1.0
	v_rcp_f64_e32 v[82:83], v[80:81]
	v_fma_f64 v[86:87], -v[80:81], v[82:83], 1.0
	v_fma_f64 v[82:83], v[82:83], v[86:87], v[82:83]
	v_fma_f64 v[86:87], -v[80:81], v[82:83], 1.0
	v_fma_f64 v[82:83], v[82:83], v[86:87], v[82:83]
	v_mul_f64 v[86:87], v[88:89], v[82:83]
	v_fma_f64 v[80:81], -v[80:81], v[86:87], v[88:89]
	v_div_fmas_f64 v[80:81], v[80:81], v[82:83], v[86:87]
	v_div_fixup_f64 v[82:83], v[80:81], v[78:79], 1.0
	v_mul_f64 v[84:85], v[84:85], -v[82:83]
.LBB37_61:
	s_or_b64 exec, exec, s[2:3]
	ds_write2_b64 v1, v[82:83], v[84:85] offset1:1
.LBB37_62:
	s_or_b64 exec, exec, s[4:5]
	s_waitcnt lgkmcnt(0)
	s_barrier
	ds_read2_b64 v[78:81], v1 offset1:1
	v_cmp_lt_u32_e32 vcc, 6, v0
	s_waitcnt lgkmcnt(0)
	buffer_store_dword v78, off, s[20:23], 0 offset:184 ; 4-byte Folded Spill
	s_nop 0
	buffer_store_dword v79, off, s[20:23], 0 offset:188 ; 4-byte Folded Spill
	buffer_store_dword v80, off, s[20:23], 0 offset:192 ; 4-byte Folded Spill
	;; [unrolled: 1-line block ×3, first 2 shown]
	s_and_saveexec_b64 s[2:3], vcc
	s_cbranch_execz .LBB37_64
; %bb.63:
	buffer_load_dword v80, off, s[20:23], 0 offset:184 ; 4-byte Folded Reload
	buffer_load_dword v81, off, s[20:23], 0 offset:188 ; 4-byte Folded Reload
	buffer_load_dword v82, off, s[20:23], 0 offset:192 ; 4-byte Folded Reload
	buffer_load_dword v83, off, s[20:23], 0 offset:196 ; 4-byte Folded Reload
	s_waitcnt vmcnt(2)
	v_mul_f64 v[78:79], v[80:81], v[48:49]
	s_waitcnt vmcnt(0)
	v_mul_f64 v[48:49], v[82:83], v[48:49]
	v_fma_f64 v[78:79], v[82:83], v[46:47], v[78:79]
	v_fma_f64 v[46:47], v[80:81], v[46:47], -v[48:49]
	ds_read2_b64 v[80:83], v126 offset0:14 offset1:15
	s_waitcnt lgkmcnt(0)
	v_mul_f64 v[48:49], v[82:83], v[78:79]
	v_fma_f64 v[48:49], v[80:81], v[46:47], -v[48:49]
	v_mul_f64 v[80:81], v[80:81], v[78:79]
	v_add_f64 v[42:43], v[42:43], -v[48:49]
	v_fma_f64 v[80:81], v[82:83], v[46:47], v[80:81]
	v_add_f64 v[44:45], v[44:45], -v[80:81]
	ds_read2_b64 v[80:83], v126 offset0:16 offset1:17
	s_waitcnt lgkmcnt(0)
	v_mul_f64 v[48:49], v[82:83], v[78:79]
	v_fma_f64 v[48:49], v[80:81], v[46:47], -v[48:49]
	v_mul_f64 v[80:81], v[80:81], v[78:79]
	v_add_f64 v[38:39], v[38:39], -v[48:49]
	v_fma_f64 v[80:81], v[82:83], v[46:47], v[80:81]
	v_add_f64 v[40:41], v[40:41], -v[80:81]
	;; [unrolled: 8-line block ×11, first 2 shown]
	ds_read2_b64 v[80:83], v126 offset0:36 offset1:37
	s_waitcnt lgkmcnt(0)
	v_mul_f64 v[48:49], v[82:83], v[78:79]
	v_fma_f64 v[48:49], v[80:81], v[46:47], -v[48:49]
	v_mul_f64 v[80:81], v[80:81], v[78:79]
	v_add_f64 v[50:51], v[50:51], -v[48:49]
	v_fma_f64 v[80:81], v[82:83], v[46:47], v[80:81]
	v_mov_b32_e32 v48, v78
	v_mov_b32_e32 v49, v79
	v_add_f64 v[52:53], v[52:53], -v[80:81]
.LBB37_64:
	s_or_b64 exec, exec, s[2:3]
	v_cmp_eq_u32_e32 vcc, 7, v0
	s_waitcnt vmcnt(0)
	s_barrier
	s_and_saveexec_b64 s[4:5], vcc
	s_cbranch_execz .LBB37_71
; %bb.65:
	ds_write2_b64 v1, v[42:43], v[44:45] offset1:1
	ds_write2_b64 v126, v[38:39], v[40:41] offset0:16 offset1:17
	ds_write2_b64 v126, v[34:35], v[36:37] offset0:18 offset1:19
	;; [unrolled: 1-line block ×11, first 2 shown]
	ds_read2_b64 v[78:81], v1 offset1:1
	s_waitcnt lgkmcnt(0)
	v_cmp_neq_f64_e32 vcc, 0, v[78:79]
	v_cmp_neq_f64_e64 s[2:3], 0, v[80:81]
	s_or_b64 s[2:3], vcc, s[2:3]
	s_and_b64 exec, exec, s[2:3]
	s_cbranch_execz .LBB37_71
; %bb.66:
	v_cmp_ngt_f64_e64 s[2:3], |v[78:79]|, |v[80:81]|
                                        ; implicit-def: $vgpr82_vgpr83
	s_and_saveexec_b64 s[6:7], s[2:3]
	s_xor_b64 s[2:3], exec, s[6:7]
                                        ; implicit-def: $vgpr84_vgpr85
	s_cbranch_execz .LBB37_68
; %bb.67:
	v_div_scale_f64 v[82:83], s[6:7], v[80:81], v[80:81], v[78:79]
	v_rcp_f64_e32 v[84:85], v[82:83]
	v_fma_f64 v[86:87], -v[82:83], v[84:85], 1.0
	v_fma_f64 v[84:85], v[84:85], v[86:87], v[84:85]
	v_div_scale_f64 v[86:87], vcc, v[78:79], v[80:81], v[78:79]
	v_fma_f64 v[88:89], -v[82:83], v[84:85], 1.0
	v_fma_f64 v[84:85], v[84:85], v[88:89], v[84:85]
	v_mul_f64 v[88:89], v[86:87], v[84:85]
	v_fma_f64 v[82:83], -v[82:83], v[88:89], v[86:87]
	v_div_fmas_f64 v[82:83], v[82:83], v[84:85], v[88:89]
	v_div_fixup_f64 v[82:83], v[82:83], v[80:81], v[78:79]
	v_fma_f64 v[78:79], v[78:79], v[82:83], v[80:81]
	v_div_scale_f64 v[80:81], s[6:7], v[78:79], v[78:79], 1.0
	v_div_scale_f64 v[88:89], vcc, 1.0, v[78:79], 1.0
	v_rcp_f64_e32 v[84:85], v[80:81]
	v_fma_f64 v[86:87], -v[80:81], v[84:85], 1.0
	v_fma_f64 v[84:85], v[84:85], v[86:87], v[84:85]
	v_fma_f64 v[86:87], -v[80:81], v[84:85], 1.0
	v_fma_f64 v[84:85], v[84:85], v[86:87], v[84:85]
	v_mul_f64 v[86:87], v[88:89], v[84:85]
	v_fma_f64 v[80:81], -v[80:81], v[86:87], v[88:89]
	v_div_fmas_f64 v[80:81], v[80:81], v[84:85], v[86:87]
	v_div_fixup_f64 v[84:85], v[80:81], v[78:79], 1.0
                                        ; implicit-def: $vgpr78_vgpr79
	v_mul_f64 v[82:83], v[82:83], v[84:85]
	v_xor_b32_e32 v85, 0x80000000, v85
.LBB37_68:
	s_andn2_saveexec_b64 s[2:3], s[2:3]
	s_cbranch_execz .LBB37_70
; %bb.69:
	v_div_scale_f64 v[82:83], s[6:7], v[78:79], v[78:79], v[80:81]
	v_rcp_f64_e32 v[84:85], v[82:83]
	v_fma_f64 v[86:87], -v[82:83], v[84:85], 1.0
	v_fma_f64 v[84:85], v[84:85], v[86:87], v[84:85]
	v_div_scale_f64 v[86:87], vcc, v[80:81], v[78:79], v[80:81]
	v_fma_f64 v[88:89], -v[82:83], v[84:85], 1.0
	v_fma_f64 v[84:85], v[84:85], v[88:89], v[84:85]
	v_mul_f64 v[88:89], v[86:87], v[84:85]
	v_fma_f64 v[82:83], -v[82:83], v[88:89], v[86:87]
	v_div_fmas_f64 v[82:83], v[82:83], v[84:85], v[88:89]
	v_div_fixup_f64 v[84:85], v[82:83], v[78:79], v[80:81]
	v_fma_f64 v[78:79], v[80:81], v[84:85], v[78:79]
	v_div_scale_f64 v[80:81], s[6:7], v[78:79], v[78:79], 1.0
	v_div_scale_f64 v[88:89], vcc, 1.0, v[78:79], 1.0
	v_rcp_f64_e32 v[82:83], v[80:81]
	v_fma_f64 v[86:87], -v[80:81], v[82:83], 1.0
	v_fma_f64 v[82:83], v[82:83], v[86:87], v[82:83]
	v_fma_f64 v[86:87], -v[80:81], v[82:83], 1.0
	v_fma_f64 v[82:83], v[82:83], v[86:87], v[82:83]
	v_mul_f64 v[86:87], v[88:89], v[82:83]
	v_fma_f64 v[80:81], -v[80:81], v[86:87], v[88:89]
	v_div_fmas_f64 v[80:81], v[80:81], v[82:83], v[86:87]
	v_div_fixup_f64 v[82:83], v[80:81], v[78:79], 1.0
	v_mul_f64 v[84:85], v[84:85], -v[82:83]
.LBB37_70:
	s_or_b64 exec, exec, s[2:3]
	ds_write2_b64 v1, v[82:83], v[84:85] offset1:1
.LBB37_71:
	s_or_b64 exec, exec, s[4:5]
	s_waitcnt lgkmcnt(0)
	s_barrier
	ds_read2_b64 v[78:81], v1 offset1:1
	v_cmp_lt_u32_e32 vcc, 7, v0
	s_waitcnt lgkmcnt(0)
	buffer_store_dword v78, off, s[20:23], 0 offset:200 ; 4-byte Folded Spill
	s_nop 0
	buffer_store_dword v79, off, s[20:23], 0 offset:204 ; 4-byte Folded Spill
	buffer_store_dword v80, off, s[20:23], 0 offset:208 ; 4-byte Folded Spill
	;; [unrolled: 1-line block ×3, first 2 shown]
	s_and_saveexec_b64 s[2:3], vcc
	s_cbranch_execz .LBB37_73
; %bb.72:
	buffer_load_dword v80, off, s[20:23], 0 offset:200 ; 4-byte Folded Reload
	buffer_load_dword v81, off, s[20:23], 0 offset:204 ; 4-byte Folded Reload
	;; [unrolled: 1-line block ×4, first 2 shown]
	s_waitcnt vmcnt(2)
	v_mul_f64 v[78:79], v[80:81], v[44:45]
	s_waitcnt vmcnt(0)
	v_mul_f64 v[44:45], v[82:83], v[44:45]
	v_fma_f64 v[78:79], v[82:83], v[42:43], v[78:79]
	v_fma_f64 v[42:43], v[80:81], v[42:43], -v[44:45]
	ds_read2_b64 v[80:83], v126 offset0:16 offset1:17
	s_waitcnt lgkmcnt(0)
	v_mul_f64 v[44:45], v[82:83], v[78:79]
	v_fma_f64 v[44:45], v[80:81], v[42:43], -v[44:45]
	v_mul_f64 v[80:81], v[80:81], v[78:79]
	v_add_f64 v[38:39], v[38:39], -v[44:45]
	v_fma_f64 v[80:81], v[82:83], v[42:43], v[80:81]
	v_add_f64 v[40:41], v[40:41], -v[80:81]
	ds_read2_b64 v[80:83], v126 offset0:18 offset1:19
	s_waitcnt lgkmcnt(0)
	v_mul_f64 v[44:45], v[82:83], v[78:79]
	v_fma_f64 v[44:45], v[80:81], v[42:43], -v[44:45]
	v_mul_f64 v[80:81], v[80:81], v[78:79]
	v_add_f64 v[34:35], v[34:35], -v[44:45]
	v_fma_f64 v[80:81], v[82:83], v[42:43], v[80:81]
	v_add_f64 v[36:37], v[36:37], -v[80:81]
	;; [unrolled: 8-line block ×10, first 2 shown]
	ds_read2_b64 v[80:83], v126 offset0:36 offset1:37
	s_waitcnt lgkmcnt(0)
	v_mul_f64 v[44:45], v[82:83], v[78:79]
	v_fma_f64 v[44:45], v[80:81], v[42:43], -v[44:45]
	v_mul_f64 v[80:81], v[80:81], v[78:79]
	v_add_f64 v[50:51], v[50:51], -v[44:45]
	v_fma_f64 v[80:81], v[82:83], v[42:43], v[80:81]
	v_mov_b32_e32 v44, v78
	v_mov_b32_e32 v45, v79
	v_add_f64 v[52:53], v[52:53], -v[80:81]
.LBB37_73:
	s_or_b64 exec, exec, s[2:3]
	v_cmp_eq_u32_e32 vcc, 8, v0
	s_waitcnt vmcnt(0)
	s_barrier
	s_and_saveexec_b64 s[4:5], vcc
	s_cbranch_execz .LBB37_80
; %bb.74:
	ds_write2_b64 v1, v[38:39], v[40:41] offset1:1
	ds_write2_b64 v126, v[34:35], v[36:37] offset0:18 offset1:19
	ds_write2_b64 v126, v[30:31], v[32:33] offset0:20 offset1:21
	;; [unrolled: 1-line block ×10, first 2 shown]
	ds_read2_b64 v[78:81], v1 offset1:1
	s_waitcnt lgkmcnt(0)
	v_cmp_neq_f64_e32 vcc, 0, v[78:79]
	v_cmp_neq_f64_e64 s[2:3], 0, v[80:81]
	s_or_b64 s[2:3], vcc, s[2:3]
	s_and_b64 exec, exec, s[2:3]
	s_cbranch_execz .LBB37_80
; %bb.75:
	v_cmp_ngt_f64_e64 s[2:3], |v[78:79]|, |v[80:81]|
                                        ; implicit-def: $vgpr82_vgpr83
	s_and_saveexec_b64 s[6:7], s[2:3]
	s_xor_b64 s[2:3], exec, s[6:7]
                                        ; implicit-def: $vgpr84_vgpr85
	s_cbranch_execz .LBB37_77
; %bb.76:
	v_div_scale_f64 v[82:83], s[6:7], v[80:81], v[80:81], v[78:79]
	v_rcp_f64_e32 v[84:85], v[82:83]
	v_fma_f64 v[86:87], -v[82:83], v[84:85], 1.0
	v_fma_f64 v[84:85], v[84:85], v[86:87], v[84:85]
	v_div_scale_f64 v[86:87], vcc, v[78:79], v[80:81], v[78:79]
	v_fma_f64 v[88:89], -v[82:83], v[84:85], 1.0
	v_fma_f64 v[84:85], v[84:85], v[88:89], v[84:85]
	v_mul_f64 v[88:89], v[86:87], v[84:85]
	v_fma_f64 v[82:83], -v[82:83], v[88:89], v[86:87]
	v_div_fmas_f64 v[82:83], v[82:83], v[84:85], v[88:89]
	v_div_fixup_f64 v[82:83], v[82:83], v[80:81], v[78:79]
	v_fma_f64 v[78:79], v[78:79], v[82:83], v[80:81]
	v_div_scale_f64 v[80:81], s[6:7], v[78:79], v[78:79], 1.0
	v_div_scale_f64 v[88:89], vcc, 1.0, v[78:79], 1.0
	v_rcp_f64_e32 v[84:85], v[80:81]
	v_fma_f64 v[86:87], -v[80:81], v[84:85], 1.0
	v_fma_f64 v[84:85], v[84:85], v[86:87], v[84:85]
	v_fma_f64 v[86:87], -v[80:81], v[84:85], 1.0
	v_fma_f64 v[84:85], v[84:85], v[86:87], v[84:85]
	v_mul_f64 v[86:87], v[88:89], v[84:85]
	v_fma_f64 v[80:81], -v[80:81], v[86:87], v[88:89]
	v_div_fmas_f64 v[80:81], v[80:81], v[84:85], v[86:87]
	v_div_fixup_f64 v[84:85], v[80:81], v[78:79], 1.0
                                        ; implicit-def: $vgpr78_vgpr79
	v_mul_f64 v[82:83], v[82:83], v[84:85]
	v_xor_b32_e32 v85, 0x80000000, v85
.LBB37_77:
	s_andn2_saveexec_b64 s[2:3], s[2:3]
	s_cbranch_execz .LBB37_79
; %bb.78:
	v_div_scale_f64 v[82:83], s[6:7], v[78:79], v[78:79], v[80:81]
	v_rcp_f64_e32 v[84:85], v[82:83]
	v_fma_f64 v[86:87], -v[82:83], v[84:85], 1.0
	v_fma_f64 v[84:85], v[84:85], v[86:87], v[84:85]
	v_div_scale_f64 v[86:87], vcc, v[80:81], v[78:79], v[80:81]
	v_fma_f64 v[88:89], -v[82:83], v[84:85], 1.0
	v_fma_f64 v[84:85], v[84:85], v[88:89], v[84:85]
	v_mul_f64 v[88:89], v[86:87], v[84:85]
	v_fma_f64 v[82:83], -v[82:83], v[88:89], v[86:87]
	v_div_fmas_f64 v[82:83], v[82:83], v[84:85], v[88:89]
	v_div_fixup_f64 v[84:85], v[82:83], v[78:79], v[80:81]
	v_fma_f64 v[78:79], v[80:81], v[84:85], v[78:79]
	v_div_scale_f64 v[80:81], s[6:7], v[78:79], v[78:79], 1.0
	v_div_scale_f64 v[88:89], vcc, 1.0, v[78:79], 1.0
	v_rcp_f64_e32 v[82:83], v[80:81]
	v_fma_f64 v[86:87], -v[80:81], v[82:83], 1.0
	v_fma_f64 v[82:83], v[82:83], v[86:87], v[82:83]
	v_fma_f64 v[86:87], -v[80:81], v[82:83], 1.0
	v_fma_f64 v[82:83], v[82:83], v[86:87], v[82:83]
	v_mul_f64 v[86:87], v[88:89], v[82:83]
	v_fma_f64 v[80:81], -v[80:81], v[86:87], v[88:89]
	v_div_fmas_f64 v[80:81], v[80:81], v[82:83], v[86:87]
	v_div_fixup_f64 v[82:83], v[80:81], v[78:79], 1.0
	v_mul_f64 v[84:85], v[84:85], -v[82:83]
.LBB37_79:
	s_or_b64 exec, exec, s[2:3]
	ds_write2_b64 v1, v[82:83], v[84:85] offset1:1
.LBB37_80:
	s_or_b64 exec, exec, s[4:5]
	s_waitcnt lgkmcnt(0)
	s_barrier
	ds_read2_b64 v[78:81], v1 offset1:1
	v_cmp_lt_u32_e32 vcc, 8, v0
	s_waitcnt lgkmcnt(0)
	buffer_store_dword v78, off, s[20:23], 0 offset:216 ; 4-byte Folded Spill
	s_nop 0
	buffer_store_dword v79, off, s[20:23], 0 offset:220 ; 4-byte Folded Spill
	buffer_store_dword v80, off, s[20:23], 0 offset:224 ; 4-byte Folded Spill
	;; [unrolled: 1-line block ×3, first 2 shown]
	s_and_saveexec_b64 s[2:3], vcc
	s_cbranch_execz .LBB37_82
; %bb.81:
	buffer_load_dword v80, off, s[20:23], 0 offset:216 ; 4-byte Folded Reload
	buffer_load_dword v81, off, s[20:23], 0 offset:220 ; 4-byte Folded Reload
	;; [unrolled: 1-line block ×4, first 2 shown]
	s_waitcnt vmcnt(2)
	v_mul_f64 v[78:79], v[80:81], v[40:41]
	s_waitcnt vmcnt(0)
	v_mul_f64 v[40:41], v[82:83], v[40:41]
	v_fma_f64 v[78:79], v[82:83], v[38:39], v[78:79]
	v_fma_f64 v[38:39], v[80:81], v[38:39], -v[40:41]
	ds_read2_b64 v[80:83], v126 offset0:18 offset1:19
	s_waitcnt lgkmcnt(0)
	v_mul_f64 v[40:41], v[82:83], v[78:79]
	v_fma_f64 v[40:41], v[80:81], v[38:39], -v[40:41]
	v_mul_f64 v[80:81], v[80:81], v[78:79]
	v_add_f64 v[34:35], v[34:35], -v[40:41]
	v_fma_f64 v[80:81], v[82:83], v[38:39], v[80:81]
	v_add_f64 v[36:37], v[36:37], -v[80:81]
	ds_read2_b64 v[80:83], v126 offset0:20 offset1:21
	s_waitcnt lgkmcnt(0)
	v_mul_f64 v[40:41], v[82:83], v[78:79]
	v_fma_f64 v[40:41], v[80:81], v[38:39], -v[40:41]
	v_mul_f64 v[80:81], v[80:81], v[78:79]
	v_add_f64 v[30:31], v[30:31], -v[40:41]
	v_fma_f64 v[80:81], v[82:83], v[38:39], v[80:81]
	v_add_f64 v[32:33], v[32:33], -v[80:81]
	;; [unrolled: 8-line block ×9, first 2 shown]
	ds_read2_b64 v[80:83], v126 offset0:36 offset1:37
	s_waitcnt lgkmcnt(0)
	v_mul_f64 v[40:41], v[82:83], v[78:79]
	v_fma_f64 v[40:41], v[80:81], v[38:39], -v[40:41]
	v_mul_f64 v[80:81], v[80:81], v[78:79]
	v_add_f64 v[50:51], v[50:51], -v[40:41]
	v_fma_f64 v[80:81], v[82:83], v[38:39], v[80:81]
	v_mov_b32_e32 v40, v78
	v_mov_b32_e32 v41, v79
	v_add_f64 v[52:53], v[52:53], -v[80:81]
.LBB37_82:
	s_or_b64 exec, exec, s[2:3]
	v_cmp_eq_u32_e32 vcc, 9, v0
	s_waitcnt vmcnt(0)
	s_barrier
	s_and_saveexec_b64 s[4:5], vcc
	s_cbranch_execz .LBB37_89
; %bb.83:
	ds_write2_b64 v1, v[34:35], v[36:37] offset1:1
	ds_write2_b64 v126, v[30:31], v[32:33] offset0:20 offset1:21
	ds_write2_b64 v126, v[26:27], v[28:29] offset0:22 offset1:23
	;; [unrolled: 1-line block ×9, first 2 shown]
	ds_read2_b64 v[78:81], v1 offset1:1
	s_waitcnt lgkmcnt(0)
	v_cmp_neq_f64_e32 vcc, 0, v[78:79]
	v_cmp_neq_f64_e64 s[2:3], 0, v[80:81]
	s_or_b64 s[2:3], vcc, s[2:3]
	s_and_b64 exec, exec, s[2:3]
	s_cbranch_execz .LBB37_89
; %bb.84:
	v_cmp_ngt_f64_e64 s[2:3], |v[78:79]|, |v[80:81]|
                                        ; implicit-def: $vgpr82_vgpr83
	s_and_saveexec_b64 s[6:7], s[2:3]
	s_xor_b64 s[2:3], exec, s[6:7]
                                        ; implicit-def: $vgpr84_vgpr85
	s_cbranch_execz .LBB37_86
; %bb.85:
	v_div_scale_f64 v[82:83], s[6:7], v[80:81], v[80:81], v[78:79]
	v_rcp_f64_e32 v[84:85], v[82:83]
	v_fma_f64 v[86:87], -v[82:83], v[84:85], 1.0
	v_fma_f64 v[84:85], v[84:85], v[86:87], v[84:85]
	v_div_scale_f64 v[86:87], vcc, v[78:79], v[80:81], v[78:79]
	v_fma_f64 v[88:89], -v[82:83], v[84:85], 1.0
	v_fma_f64 v[84:85], v[84:85], v[88:89], v[84:85]
	v_mul_f64 v[88:89], v[86:87], v[84:85]
	v_fma_f64 v[82:83], -v[82:83], v[88:89], v[86:87]
	v_div_fmas_f64 v[82:83], v[82:83], v[84:85], v[88:89]
	v_div_fixup_f64 v[82:83], v[82:83], v[80:81], v[78:79]
	v_fma_f64 v[78:79], v[78:79], v[82:83], v[80:81]
	v_div_scale_f64 v[80:81], s[6:7], v[78:79], v[78:79], 1.0
	v_div_scale_f64 v[88:89], vcc, 1.0, v[78:79], 1.0
	v_rcp_f64_e32 v[84:85], v[80:81]
	v_fma_f64 v[86:87], -v[80:81], v[84:85], 1.0
	v_fma_f64 v[84:85], v[84:85], v[86:87], v[84:85]
	v_fma_f64 v[86:87], -v[80:81], v[84:85], 1.0
	v_fma_f64 v[84:85], v[84:85], v[86:87], v[84:85]
	v_mul_f64 v[86:87], v[88:89], v[84:85]
	v_fma_f64 v[80:81], -v[80:81], v[86:87], v[88:89]
	v_div_fmas_f64 v[80:81], v[80:81], v[84:85], v[86:87]
	v_div_fixup_f64 v[84:85], v[80:81], v[78:79], 1.0
                                        ; implicit-def: $vgpr78_vgpr79
	v_mul_f64 v[82:83], v[82:83], v[84:85]
	v_xor_b32_e32 v85, 0x80000000, v85
.LBB37_86:
	s_andn2_saveexec_b64 s[2:3], s[2:3]
	s_cbranch_execz .LBB37_88
; %bb.87:
	v_div_scale_f64 v[82:83], s[6:7], v[78:79], v[78:79], v[80:81]
	v_rcp_f64_e32 v[84:85], v[82:83]
	v_fma_f64 v[86:87], -v[82:83], v[84:85], 1.0
	v_fma_f64 v[84:85], v[84:85], v[86:87], v[84:85]
	v_div_scale_f64 v[86:87], vcc, v[80:81], v[78:79], v[80:81]
	v_fma_f64 v[88:89], -v[82:83], v[84:85], 1.0
	v_fma_f64 v[84:85], v[84:85], v[88:89], v[84:85]
	v_mul_f64 v[88:89], v[86:87], v[84:85]
	v_fma_f64 v[82:83], -v[82:83], v[88:89], v[86:87]
	v_div_fmas_f64 v[82:83], v[82:83], v[84:85], v[88:89]
	v_div_fixup_f64 v[84:85], v[82:83], v[78:79], v[80:81]
	v_fma_f64 v[78:79], v[80:81], v[84:85], v[78:79]
	v_div_scale_f64 v[80:81], s[6:7], v[78:79], v[78:79], 1.0
	v_div_scale_f64 v[88:89], vcc, 1.0, v[78:79], 1.0
	v_rcp_f64_e32 v[82:83], v[80:81]
	v_fma_f64 v[86:87], -v[80:81], v[82:83], 1.0
	v_fma_f64 v[82:83], v[82:83], v[86:87], v[82:83]
	v_fma_f64 v[86:87], -v[80:81], v[82:83], 1.0
	v_fma_f64 v[82:83], v[82:83], v[86:87], v[82:83]
	v_mul_f64 v[86:87], v[88:89], v[82:83]
	v_fma_f64 v[80:81], -v[80:81], v[86:87], v[88:89]
	v_div_fmas_f64 v[80:81], v[80:81], v[82:83], v[86:87]
	v_div_fixup_f64 v[82:83], v[80:81], v[78:79], 1.0
	v_mul_f64 v[84:85], v[84:85], -v[82:83]
.LBB37_88:
	s_or_b64 exec, exec, s[2:3]
	ds_write2_b64 v1, v[82:83], v[84:85] offset1:1
.LBB37_89:
	s_or_b64 exec, exec, s[4:5]
	s_waitcnt lgkmcnt(0)
	s_barrier
	ds_read2_b64 v[78:81], v1 offset1:1
	v_cmp_lt_u32_e32 vcc, 9, v0
	s_waitcnt lgkmcnt(0)
	buffer_store_dword v78, off, s[20:23], 0 offset:232 ; 4-byte Folded Spill
	s_nop 0
	buffer_store_dword v79, off, s[20:23], 0 offset:236 ; 4-byte Folded Spill
	buffer_store_dword v80, off, s[20:23], 0 offset:240 ; 4-byte Folded Spill
	;; [unrolled: 1-line block ×3, first 2 shown]
	s_and_saveexec_b64 s[2:3], vcc
	s_cbranch_execz .LBB37_91
; %bb.90:
	buffer_load_dword v80, off, s[20:23], 0 offset:232 ; 4-byte Folded Reload
	buffer_load_dword v81, off, s[20:23], 0 offset:236 ; 4-byte Folded Reload
	buffer_load_dword v82, off, s[20:23], 0 offset:240 ; 4-byte Folded Reload
	buffer_load_dword v83, off, s[20:23], 0 offset:244 ; 4-byte Folded Reload
	s_waitcnt vmcnt(2)
	v_mul_f64 v[78:79], v[80:81], v[36:37]
	s_waitcnt vmcnt(0)
	v_mul_f64 v[36:37], v[82:83], v[36:37]
	v_fma_f64 v[78:79], v[82:83], v[34:35], v[78:79]
	v_fma_f64 v[34:35], v[80:81], v[34:35], -v[36:37]
	ds_read2_b64 v[80:83], v126 offset0:20 offset1:21
	s_waitcnt lgkmcnt(0)
	v_mul_f64 v[36:37], v[82:83], v[78:79]
	v_fma_f64 v[36:37], v[80:81], v[34:35], -v[36:37]
	v_mul_f64 v[80:81], v[80:81], v[78:79]
	v_add_f64 v[30:31], v[30:31], -v[36:37]
	v_fma_f64 v[80:81], v[82:83], v[34:35], v[80:81]
	v_add_f64 v[32:33], v[32:33], -v[80:81]
	ds_read2_b64 v[80:83], v126 offset0:22 offset1:23
	s_waitcnt lgkmcnt(0)
	v_mul_f64 v[36:37], v[82:83], v[78:79]
	v_fma_f64 v[36:37], v[80:81], v[34:35], -v[36:37]
	v_mul_f64 v[80:81], v[80:81], v[78:79]
	v_add_f64 v[26:27], v[26:27], -v[36:37]
	v_fma_f64 v[80:81], v[82:83], v[34:35], v[80:81]
	v_add_f64 v[28:29], v[28:29], -v[80:81]
	;; [unrolled: 8-line block ×8, first 2 shown]
	ds_read2_b64 v[80:83], v126 offset0:36 offset1:37
	s_waitcnt lgkmcnt(0)
	v_mul_f64 v[36:37], v[82:83], v[78:79]
	v_fma_f64 v[36:37], v[80:81], v[34:35], -v[36:37]
	v_mul_f64 v[80:81], v[80:81], v[78:79]
	v_add_f64 v[50:51], v[50:51], -v[36:37]
	v_fma_f64 v[80:81], v[82:83], v[34:35], v[80:81]
	v_mov_b32_e32 v36, v78
	v_mov_b32_e32 v37, v79
	v_add_f64 v[52:53], v[52:53], -v[80:81]
.LBB37_91:
	s_or_b64 exec, exec, s[2:3]
	v_cmp_eq_u32_e32 vcc, 10, v0
	s_waitcnt vmcnt(0)
	s_barrier
	s_and_saveexec_b64 s[4:5], vcc
	s_cbranch_execz .LBB37_98
; %bb.92:
	ds_write2_b64 v1, v[30:31], v[32:33] offset1:1
	ds_write2_b64 v126, v[26:27], v[28:29] offset0:22 offset1:23
	ds_write2_b64 v126, v[22:23], v[24:25] offset0:24 offset1:25
	ds_write2_b64 v126, v[18:19], v[20:21] offset0:26 offset1:27
	ds_write2_b64 v126, v[14:15], v[16:17] offset0:28 offset1:29
	ds_write2_b64 v126, v[10:11], v[12:13] offset0:30 offset1:31
	ds_write2_b64 v126, v[6:7], v[8:9] offset0:32 offset1:33
	ds_write2_b64 v126, v[2:3], v[4:5] offset0:34 offset1:35
	ds_write2_b64 v126, v[50:51], v[52:53] offset0:36 offset1:37
	ds_read2_b64 v[78:81], v1 offset1:1
	s_waitcnt lgkmcnt(0)
	v_cmp_neq_f64_e32 vcc, 0, v[78:79]
	v_cmp_neq_f64_e64 s[2:3], 0, v[80:81]
	s_or_b64 s[2:3], vcc, s[2:3]
	s_and_b64 exec, exec, s[2:3]
	s_cbranch_execz .LBB37_98
; %bb.93:
	v_cmp_ngt_f64_e64 s[2:3], |v[78:79]|, |v[80:81]|
                                        ; implicit-def: $vgpr82_vgpr83
	s_and_saveexec_b64 s[6:7], s[2:3]
	s_xor_b64 s[2:3], exec, s[6:7]
                                        ; implicit-def: $vgpr84_vgpr85
	s_cbranch_execz .LBB37_95
; %bb.94:
	v_div_scale_f64 v[82:83], s[6:7], v[80:81], v[80:81], v[78:79]
	v_rcp_f64_e32 v[84:85], v[82:83]
	v_fma_f64 v[86:87], -v[82:83], v[84:85], 1.0
	v_fma_f64 v[84:85], v[84:85], v[86:87], v[84:85]
	v_div_scale_f64 v[86:87], vcc, v[78:79], v[80:81], v[78:79]
	v_fma_f64 v[88:89], -v[82:83], v[84:85], 1.0
	v_fma_f64 v[84:85], v[84:85], v[88:89], v[84:85]
	v_mul_f64 v[88:89], v[86:87], v[84:85]
	v_fma_f64 v[82:83], -v[82:83], v[88:89], v[86:87]
	v_div_fmas_f64 v[82:83], v[82:83], v[84:85], v[88:89]
	v_div_fixup_f64 v[82:83], v[82:83], v[80:81], v[78:79]
	v_fma_f64 v[78:79], v[78:79], v[82:83], v[80:81]
	v_div_scale_f64 v[80:81], s[6:7], v[78:79], v[78:79], 1.0
	v_div_scale_f64 v[88:89], vcc, 1.0, v[78:79], 1.0
	v_rcp_f64_e32 v[84:85], v[80:81]
	v_fma_f64 v[86:87], -v[80:81], v[84:85], 1.0
	v_fma_f64 v[84:85], v[84:85], v[86:87], v[84:85]
	v_fma_f64 v[86:87], -v[80:81], v[84:85], 1.0
	v_fma_f64 v[84:85], v[84:85], v[86:87], v[84:85]
	v_mul_f64 v[86:87], v[88:89], v[84:85]
	v_fma_f64 v[80:81], -v[80:81], v[86:87], v[88:89]
	v_div_fmas_f64 v[80:81], v[80:81], v[84:85], v[86:87]
	v_div_fixup_f64 v[84:85], v[80:81], v[78:79], 1.0
                                        ; implicit-def: $vgpr78_vgpr79
	v_mul_f64 v[82:83], v[82:83], v[84:85]
	v_xor_b32_e32 v85, 0x80000000, v85
.LBB37_95:
	s_andn2_saveexec_b64 s[2:3], s[2:3]
	s_cbranch_execz .LBB37_97
; %bb.96:
	v_div_scale_f64 v[82:83], s[6:7], v[78:79], v[78:79], v[80:81]
	v_rcp_f64_e32 v[84:85], v[82:83]
	v_fma_f64 v[86:87], -v[82:83], v[84:85], 1.0
	v_fma_f64 v[84:85], v[84:85], v[86:87], v[84:85]
	v_div_scale_f64 v[86:87], vcc, v[80:81], v[78:79], v[80:81]
	v_fma_f64 v[88:89], -v[82:83], v[84:85], 1.0
	v_fma_f64 v[84:85], v[84:85], v[88:89], v[84:85]
	v_mul_f64 v[88:89], v[86:87], v[84:85]
	v_fma_f64 v[82:83], -v[82:83], v[88:89], v[86:87]
	v_div_fmas_f64 v[82:83], v[82:83], v[84:85], v[88:89]
	v_div_fixup_f64 v[84:85], v[82:83], v[78:79], v[80:81]
	v_fma_f64 v[78:79], v[80:81], v[84:85], v[78:79]
	v_div_scale_f64 v[80:81], s[6:7], v[78:79], v[78:79], 1.0
	v_div_scale_f64 v[88:89], vcc, 1.0, v[78:79], 1.0
	v_rcp_f64_e32 v[82:83], v[80:81]
	v_fma_f64 v[86:87], -v[80:81], v[82:83], 1.0
	v_fma_f64 v[82:83], v[82:83], v[86:87], v[82:83]
	v_fma_f64 v[86:87], -v[80:81], v[82:83], 1.0
	v_fma_f64 v[82:83], v[82:83], v[86:87], v[82:83]
	v_mul_f64 v[86:87], v[88:89], v[82:83]
	v_fma_f64 v[80:81], -v[80:81], v[86:87], v[88:89]
	v_div_fmas_f64 v[80:81], v[80:81], v[82:83], v[86:87]
	v_div_fixup_f64 v[82:83], v[80:81], v[78:79], 1.0
	v_mul_f64 v[84:85], v[84:85], -v[82:83]
.LBB37_97:
	s_or_b64 exec, exec, s[2:3]
	ds_write2_b64 v1, v[82:83], v[84:85] offset1:1
.LBB37_98:
	s_or_b64 exec, exec, s[4:5]
	s_waitcnt lgkmcnt(0)
	s_barrier
	ds_read2_b64 v[78:81], v1 offset1:1
	v_cmp_lt_u32_e32 vcc, 10, v0
	s_waitcnt lgkmcnt(0)
	buffer_store_dword v78, off, s[20:23], 0 offset:248 ; 4-byte Folded Spill
	s_nop 0
	buffer_store_dword v79, off, s[20:23], 0 offset:252 ; 4-byte Folded Spill
	buffer_store_dword v80, off, s[20:23], 0 offset:256 ; 4-byte Folded Spill
	;; [unrolled: 1-line block ×3, first 2 shown]
	s_and_saveexec_b64 s[2:3], vcc
	s_cbranch_execz .LBB37_100
; %bb.99:
	buffer_load_dword v80, off, s[20:23], 0 offset:248 ; 4-byte Folded Reload
	buffer_load_dword v81, off, s[20:23], 0 offset:252 ; 4-byte Folded Reload
	;; [unrolled: 1-line block ×4, first 2 shown]
	s_waitcnt vmcnt(2)
	v_mul_f64 v[78:79], v[80:81], v[32:33]
	s_waitcnt vmcnt(0)
	v_mul_f64 v[32:33], v[82:83], v[32:33]
	v_fma_f64 v[78:79], v[82:83], v[30:31], v[78:79]
	v_fma_f64 v[30:31], v[80:81], v[30:31], -v[32:33]
	ds_read2_b64 v[80:83], v126 offset0:22 offset1:23
	s_waitcnt lgkmcnt(0)
	v_mul_f64 v[32:33], v[82:83], v[78:79]
	v_fma_f64 v[32:33], v[80:81], v[30:31], -v[32:33]
	v_mul_f64 v[80:81], v[80:81], v[78:79]
	v_add_f64 v[26:27], v[26:27], -v[32:33]
	v_fma_f64 v[80:81], v[82:83], v[30:31], v[80:81]
	v_add_f64 v[28:29], v[28:29], -v[80:81]
	ds_read2_b64 v[80:83], v126 offset0:24 offset1:25
	s_waitcnt lgkmcnt(0)
	v_mul_f64 v[32:33], v[82:83], v[78:79]
	v_fma_f64 v[32:33], v[80:81], v[30:31], -v[32:33]
	v_mul_f64 v[80:81], v[80:81], v[78:79]
	v_add_f64 v[22:23], v[22:23], -v[32:33]
	v_fma_f64 v[80:81], v[82:83], v[30:31], v[80:81]
	v_add_f64 v[24:25], v[24:25], -v[80:81]
	;; [unrolled: 8-line block ×7, first 2 shown]
	ds_read2_b64 v[80:83], v126 offset0:36 offset1:37
	s_waitcnt lgkmcnt(0)
	v_mul_f64 v[32:33], v[82:83], v[78:79]
	v_fma_f64 v[32:33], v[80:81], v[30:31], -v[32:33]
	v_mul_f64 v[80:81], v[80:81], v[78:79]
	v_add_f64 v[50:51], v[50:51], -v[32:33]
	v_fma_f64 v[80:81], v[82:83], v[30:31], v[80:81]
	v_mov_b32_e32 v32, v78
	v_mov_b32_e32 v33, v79
	v_add_f64 v[52:53], v[52:53], -v[80:81]
.LBB37_100:
	s_or_b64 exec, exec, s[2:3]
	v_cmp_eq_u32_e32 vcc, 11, v0
	s_waitcnt vmcnt(0)
	s_barrier
	s_and_saveexec_b64 s[4:5], vcc
	s_cbranch_execz .LBB37_107
; %bb.101:
	ds_write2_b64 v1, v[26:27], v[28:29] offset1:1
	ds_write2_b64 v126, v[22:23], v[24:25] offset0:24 offset1:25
	ds_write2_b64 v126, v[18:19], v[20:21] offset0:26 offset1:27
	;; [unrolled: 1-line block ×7, first 2 shown]
	ds_read2_b64 v[78:81], v1 offset1:1
	s_waitcnt lgkmcnt(0)
	v_cmp_neq_f64_e32 vcc, 0, v[78:79]
	v_cmp_neq_f64_e64 s[2:3], 0, v[80:81]
	s_or_b64 s[2:3], vcc, s[2:3]
	s_and_b64 exec, exec, s[2:3]
	s_cbranch_execz .LBB37_107
; %bb.102:
	v_cmp_ngt_f64_e64 s[2:3], |v[78:79]|, |v[80:81]|
                                        ; implicit-def: $vgpr82_vgpr83
	s_and_saveexec_b64 s[6:7], s[2:3]
	s_xor_b64 s[2:3], exec, s[6:7]
                                        ; implicit-def: $vgpr84_vgpr85
	s_cbranch_execz .LBB37_104
; %bb.103:
	v_div_scale_f64 v[82:83], s[6:7], v[80:81], v[80:81], v[78:79]
	v_rcp_f64_e32 v[84:85], v[82:83]
	v_fma_f64 v[86:87], -v[82:83], v[84:85], 1.0
	v_fma_f64 v[84:85], v[84:85], v[86:87], v[84:85]
	v_div_scale_f64 v[86:87], vcc, v[78:79], v[80:81], v[78:79]
	v_fma_f64 v[88:89], -v[82:83], v[84:85], 1.0
	v_fma_f64 v[84:85], v[84:85], v[88:89], v[84:85]
	v_mul_f64 v[88:89], v[86:87], v[84:85]
	v_fma_f64 v[82:83], -v[82:83], v[88:89], v[86:87]
	v_div_fmas_f64 v[82:83], v[82:83], v[84:85], v[88:89]
	v_div_fixup_f64 v[82:83], v[82:83], v[80:81], v[78:79]
	v_fma_f64 v[78:79], v[78:79], v[82:83], v[80:81]
	v_div_scale_f64 v[80:81], s[6:7], v[78:79], v[78:79], 1.0
	v_div_scale_f64 v[88:89], vcc, 1.0, v[78:79], 1.0
	v_rcp_f64_e32 v[84:85], v[80:81]
	v_fma_f64 v[86:87], -v[80:81], v[84:85], 1.0
	v_fma_f64 v[84:85], v[84:85], v[86:87], v[84:85]
	v_fma_f64 v[86:87], -v[80:81], v[84:85], 1.0
	v_fma_f64 v[84:85], v[84:85], v[86:87], v[84:85]
	v_mul_f64 v[86:87], v[88:89], v[84:85]
	v_fma_f64 v[80:81], -v[80:81], v[86:87], v[88:89]
	v_div_fmas_f64 v[80:81], v[80:81], v[84:85], v[86:87]
	v_div_fixup_f64 v[84:85], v[80:81], v[78:79], 1.0
                                        ; implicit-def: $vgpr78_vgpr79
	v_mul_f64 v[82:83], v[82:83], v[84:85]
	v_xor_b32_e32 v85, 0x80000000, v85
.LBB37_104:
	s_andn2_saveexec_b64 s[2:3], s[2:3]
	s_cbranch_execz .LBB37_106
; %bb.105:
	v_div_scale_f64 v[82:83], s[6:7], v[78:79], v[78:79], v[80:81]
	v_rcp_f64_e32 v[84:85], v[82:83]
	v_fma_f64 v[86:87], -v[82:83], v[84:85], 1.0
	v_fma_f64 v[84:85], v[84:85], v[86:87], v[84:85]
	v_div_scale_f64 v[86:87], vcc, v[80:81], v[78:79], v[80:81]
	v_fma_f64 v[88:89], -v[82:83], v[84:85], 1.0
	v_fma_f64 v[84:85], v[84:85], v[88:89], v[84:85]
	v_mul_f64 v[88:89], v[86:87], v[84:85]
	v_fma_f64 v[82:83], -v[82:83], v[88:89], v[86:87]
	v_div_fmas_f64 v[82:83], v[82:83], v[84:85], v[88:89]
	v_div_fixup_f64 v[84:85], v[82:83], v[78:79], v[80:81]
	v_fma_f64 v[78:79], v[80:81], v[84:85], v[78:79]
	v_div_scale_f64 v[80:81], s[6:7], v[78:79], v[78:79], 1.0
	v_div_scale_f64 v[88:89], vcc, 1.0, v[78:79], 1.0
	v_rcp_f64_e32 v[82:83], v[80:81]
	v_fma_f64 v[86:87], -v[80:81], v[82:83], 1.0
	v_fma_f64 v[82:83], v[82:83], v[86:87], v[82:83]
	v_fma_f64 v[86:87], -v[80:81], v[82:83], 1.0
	v_fma_f64 v[82:83], v[82:83], v[86:87], v[82:83]
	v_mul_f64 v[86:87], v[88:89], v[82:83]
	v_fma_f64 v[80:81], -v[80:81], v[86:87], v[88:89]
	v_div_fmas_f64 v[80:81], v[80:81], v[82:83], v[86:87]
	v_div_fixup_f64 v[82:83], v[80:81], v[78:79], 1.0
	v_mul_f64 v[84:85], v[84:85], -v[82:83]
.LBB37_106:
	s_or_b64 exec, exec, s[2:3]
	ds_write2_b64 v1, v[82:83], v[84:85] offset1:1
.LBB37_107:
	s_or_b64 exec, exec, s[4:5]
	s_waitcnt lgkmcnt(0)
	s_barrier
	ds_read2_b64 v[78:81], v1 offset1:1
	v_cmp_lt_u32_e32 vcc, 11, v0
	s_waitcnt lgkmcnt(0)
	buffer_store_dword v78, off, s[20:23], 0 offset:264 ; 4-byte Folded Spill
	s_nop 0
	buffer_store_dword v79, off, s[20:23], 0 offset:268 ; 4-byte Folded Spill
	buffer_store_dword v80, off, s[20:23], 0 offset:272 ; 4-byte Folded Spill
	;; [unrolled: 1-line block ×3, first 2 shown]
	s_and_saveexec_b64 s[2:3], vcc
	s_cbranch_execz .LBB37_109
; %bb.108:
	buffer_load_dword v80, off, s[20:23], 0 offset:264 ; 4-byte Folded Reload
	buffer_load_dword v81, off, s[20:23], 0 offset:268 ; 4-byte Folded Reload
	;; [unrolled: 1-line block ×4, first 2 shown]
	s_waitcnt vmcnt(2)
	v_mul_f64 v[78:79], v[80:81], v[28:29]
	s_waitcnt vmcnt(0)
	v_mul_f64 v[28:29], v[82:83], v[28:29]
	v_fma_f64 v[78:79], v[82:83], v[26:27], v[78:79]
	v_fma_f64 v[26:27], v[80:81], v[26:27], -v[28:29]
	ds_read2_b64 v[80:83], v126 offset0:24 offset1:25
	s_waitcnt lgkmcnt(0)
	v_mul_f64 v[28:29], v[82:83], v[78:79]
	v_fma_f64 v[28:29], v[80:81], v[26:27], -v[28:29]
	v_mul_f64 v[80:81], v[80:81], v[78:79]
	v_add_f64 v[22:23], v[22:23], -v[28:29]
	v_fma_f64 v[80:81], v[82:83], v[26:27], v[80:81]
	v_add_f64 v[24:25], v[24:25], -v[80:81]
	ds_read2_b64 v[80:83], v126 offset0:26 offset1:27
	s_waitcnt lgkmcnt(0)
	v_mul_f64 v[28:29], v[82:83], v[78:79]
	v_fma_f64 v[28:29], v[80:81], v[26:27], -v[28:29]
	v_mul_f64 v[80:81], v[80:81], v[78:79]
	v_add_f64 v[18:19], v[18:19], -v[28:29]
	v_fma_f64 v[80:81], v[82:83], v[26:27], v[80:81]
	v_add_f64 v[20:21], v[20:21], -v[80:81]
	;; [unrolled: 8-line block ×6, first 2 shown]
	ds_read2_b64 v[80:83], v126 offset0:36 offset1:37
	s_waitcnt lgkmcnt(0)
	v_mul_f64 v[28:29], v[82:83], v[78:79]
	v_fma_f64 v[28:29], v[80:81], v[26:27], -v[28:29]
	v_mul_f64 v[80:81], v[80:81], v[78:79]
	v_add_f64 v[50:51], v[50:51], -v[28:29]
	v_fma_f64 v[80:81], v[82:83], v[26:27], v[80:81]
	v_mov_b32_e32 v28, v78
	v_mov_b32_e32 v29, v79
	v_add_f64 v[52:53], v[52:53], -v[80:81]
.LBB37_109:
	s_or_b64 exec, exec, s[2:3]
	v_cmp_eq_u32_e32 vcc, 12, v0
	s_waitcnt vmcnt(0)
	s_barrier
	s_and_saveexec_b64 s[4:5], vcc
	s_cbranch_execz .LBB37_116
; %bb.110:
	ds_write2_b64 v1, v[22:23], v[24:25] offset1:1
	ds_write2_b64 v126, v[18:19], v[20:21] offset0:26 offset1:27
	ds_write2_b64 v126, v[14:15], v[16:17] offset0:28 offset1:29
	;; [unrolled: 1-line block ×6, first 2 shown]
	ds_read2_b64 v[78:81], v1 offset1:1
	s_waitcnt lgkmcnt(0)
	v_cmp_neq_f64_e32 vcc, 0, v[78:79]
	v_cmp_neq_f64_e64 s[2:3], 0, v[80:81]
	s_or_b64 s[2:3], vcc, s[2:3]
	s_and_b64 exec, exec, s[2:3]
	s_cbranch_execz .LBB37_116
; %bb.111:
	v_cmp_ngt_f64_e64 s[2:3], |v[78:79]|, |v[80:81]|
                                        ; implicit-def: $vgpr82_vgpr83
	s_and_saveexec_b64 s[6:7], s[2:3]
	s_xor_b64 s[2:3], exec, s[6:7]
                                        ; implicit-def: $vgpr84_vgpr85
	s_cbranch_execz .LBB37_113
; %bb.112:
	v_div_scale_f64 v[82:83], s[6:7], v[80:81], v[80:81], v[78:79]
	v_rcp_f64_e32 v[84:85], v[82:83]
	v_fma_f64 v[86:87], -v[82:83], v[84:85], 1.0
	v_fma_f64 v[84:85], v[84:85], v[86:87], v[84:85]
	v_div_scale_f64 v[86:87], vcc, v[78:79], v[80:81], v[78:79]
	v_fma_f64 v[88:89], -v[82:83], v[84:85], 1.0
	v_fma_f64 v[84:85], v[84:85], v[88:89], v[84:85]
	v_mul_f64 v[88:89], v[86:87], v[84:85]
	v_fma_f64 v[82:83], -v[82:83], v[88:89], v[86:87]
	v_div_fmas_f64 v[82:83], v[82:83], v[84:85], v[88:89]
	v_div_fixup_f64 v[82:83], v[82:83], v[80:81], v[78:79]
	v_fma_f64 v[78:79], v[78:79], v[82:83], v[80:81]
	v_div_scale_f64 v[80:81], s[6:7], v[78:79], v[78:79], 1.0
	v_div_scale_f64 v[88:89], vcc, 1.0, v[78:79], 1.0
	v_rcp_f64_e32 v[84:85], v[80:81]
	v_fma_f64 v[86:87], -v[80:81], v[84:85], 1.0
	v_fma_f64 v[84:85], v[84:85], v[86:87], v[84:85]
	v_fma_f64 v[86:87], -v[80:81], v[84:85], 1.0
	v_fma_f64 v[84:85], v[84:85], v[86:87], v[84:85]
	v_mul_f64 v[86:87], v[88:89], v[84:85]
	v_fma_f64 v[80:81], -v[80:81], v[86:87], v[88:89]
	v_div_fmas_f64 v[80:81], v[80:81], v[84:85], v[86:87]
	v_div_fixup_f64 v[84:85], v[80:81], v[78:79], 1.0
                                        ; implicit-def: $vgpr78_vgpr79
	v_mul_f64 v[82:83], v[82:83], v[84:85]
	v_xor_b32_e32 v85, 0x80000000, v85
.LBB37_113:
	s_andn2_saveexec_b64 s[2:3], s[2:3]
	s_cbranch_execz .LBB37_115
; %bb.114:
	v_div_scale_f64 v[82:83], s[6:7], v[78:79], v[78:79], v[80:81]
	v_rcp_f64_e32 v[84:85], v[82:83]
	v_fma_f64 v[86:87], -v[82:83], v[84:85], 1.0
	v_fma_f64 v[84:85], v[84:85], v[86:87], v[84:85]
	v_div_scale_f64 v[86:87], vcc, v[80:81], v[78:79], v[80:81]
	v_fma_f64 v[88:89], -v[82:83], v[84:85], 1.0
	v_fma_f64 v[84:85], v[84:85], v[88:89], v[84:85]
	v_mul_f64 v[88:89], v[86:87], v[84:85]
	v_fma_f64 v[82:83], -v[82:83], v[88:89], v[86:87]
	v_div_fmas_f64 v[82:83], v[82:83], v[84:85], v[88:89]
	v_div_fixup_f64 v[84:85], v[82:83], v[78:79], v[80:81]
	v_fma_f64 v[78:79], v[80:81], v[84:85], v[78:79]
	v_div_scale_f64 v[80:81], s[6:7], v[78:79], v[78:79], 1.0
	v_div_scale_f64 v[88:89], vcc, 1.0, v[78:79], 1.0
	v_rcp_f64_e32 v[82:83], v[80:81]
	v_fma_f64 v[86:87], -v[80:81], v[82:83], 1.0
	v_fma_f64 v[82:83], v[82:83], v[86:87], v[82:83]
	v_fma_f64 v[86:87], -v[80:81], v[82:83], 1.0
	v_fma_f64 v[82:83], v[82:83], v[86:87], v[82:83]
	v_mul_f64 v[86:87], v[88:89], v[82:83]
	v_fma_f64 v[80:81], -v[80:81], v[86:87], v[88:89]
	v_div_fmas_f64 v[80:81], v[80:81], v[82:83], v[86:87]
	v_div_fixup_f64 v[82:83], v[80:81], v[78:79], 1.0
	v_mul_f64 v[84:85], v[84:85], -v[82:83]
.LBB37_115:
	s_or_b64 exec, exec, s[2:3]
	ds_write2_b64 v1, v[82:83], v[84:85] offset1:1
.LBB37_116:
	s_or_b64 exec, exec, s[4:5]
	s_waitcnt lgkmcnt(0)
	s_barrier
	ds_read2_b64 v[78:81], v1 offset1:1
	v_cmp_lt_u32_e32 vcc, 12, v0
	s_and_saveexec_b64 s[2:3], vcc
	s_cbranch_execz .LBB37_118
; %bb.117:
	s_waitcnt lgkmcnt(0)
	v_mul_f64 v[82:83], v[78:79], v[24:25]
	v_mul_f64 v[24:25], v[80:81], v[24:25]
	ds_read2_b64 v[84:87], v126 offset0:26 offset1:27
	v_fma_f64 v[82:83], v[80:81], v[22:23], v[82:83]
	v_fma_f64 v[22:23], v[78:79], v[22:23], -v[24:25]
	s_waitcnt lgkmcnt(0)
	v_mul_f64 v[24:25], v[86:87], v[82:83]
	v_fma_f64 v[24:25], v[84:85], v[22:23], -v[24:25]
	v_mul_f64 v[84:85], v[84:85], v[82:83]
	v_add_f64 v[18:19], v[18:19], -v[24:25]
	v_fma_f64 v[84:85], v[86:87], v[22:23], v[84:85]
	v_add_f64 v[20:21], v[20:21], -v[84:85]
	ds_read2_b64 v[84:87], v126 offset0:28 offset1:29
	s_waitcnt lgkmcnt(0)
	v_mul_f64 v[24:25], v[86:87], v[82:83]
	v_fma_f64 v[24:25], v[84:85], v[22:23], -v[24:25]
	v_mul_f64 v[84:85], v[84:85], v[82:83]
	v_add_f64 v[14:15], v[14:15], -v[24:25]
	v_fma_f64 v[84:85], v[86:87], v[22:23], v[84:85]
	v_add_f64 v[16:17], v[16:17], -v[84:85]
	ds_read2_b64 v[84:87], v126 offset0:30 offset1:31
	;; [unrolled: 8-line block ×5, first 2 shown]
	s_waitcnt lgkmcnt(0)
	v_mul_f64 v[24:25], v[86:87], v[82:83]
	v_fma_f64 v[24:25], v[84:85], v[22:23], -v[24:25]
	v_mul_f64 v[84:85], v[84:85], v[82:83]
	v_add_f64 v[50:51], v[50:51], -v[24:25]
	v_fma_f64 v[84:85], v[86:87], v[22:23], v[84:85]
	v_mov_b32_e32 v24, v82
	v_mov_b32_e32 v25, v83
	v_add_f64 v[52:53], v[52:53], -v[84:85]
.LBB37_118:
	s_or_b64 exec, exec, s[2:3]
	v_cmp_eq_u32_e32 vcc, 13, v0
	s_waitcnt lgkmcnt(0)
	s_barrier
	s_and_saveexec_b64 s[4:5], vcc
	s_cbranch_execz .LBB37_125
; %bb.119:
	ds_write2_b64 v1, v[18:19], v[20:21] offset1:1
	ds_write2_b64 v126, v[14:15], v[16:17] offset0:28 offset1:29
	ds_write2_b64 v126, v[10:11], v[12:13] offset0:30 offset1:31
	;; [unrolled: 1-line block ×5, first 2 shown]
	ds_read2_b64 v[82:85], v1 offset1:1
	s_waitcnt lgkmcnt(0)
	v_cmp_neq_f64_e32 vcc, 0, v[82:83]
	v_cmp_neq_f64_e64 s[2:3], 0, v[84:85]
	s_or_b64 s[2:3], vcc, s[2:3]
	s_and_b64 exec, exec, s[2:3]
	s_cbranch_execz .LBB37_125
; %bb.120:
	v_cmp_ngt_f64_e64 s[2:3], |v[82:83]|, |v[84:85]|
                                        ; implicit-def: $vgpr86_vgpr87
	s_and_saveexec_b64 s[6:7], s[2:3]
	s_xor_b64 s[2:3], exec, s[6:7]
                                        ; implicit-def: $vgpr88_vgpr89
	s_cbranch_execz .LBB37_122
; %bb.121:
	v_div_scale_f64 v[86:87], s[6:7], v[84:85], v[84:85], v[82:83]
	v_rcp_f64_e32 v[88:89], v[86:87]
	v_fma_f64 v[90:91], -v[86:87], v[88:89], 1.0
	v_fma_f64 v[88:89], v[88:89], v[90:91], v[88:89]
	v_div_scale_f64 v[90:91], vcc, v[82:83], v[84:85], v[82:83]
	v_fma_f64 v[92:93], -v[86:87], v[88:89], 1.0
	v_fma_f64 v[88:89], v[88:89], v[92:93], v[88:89]
	v_mul_f64 v[92:93], v[90:91], v[88:89]
	v_fma_f64 v[86:87], -v[86:87], v[92:93], v[90:91]
	v_div_fmas_f64 v[86:87], v[86:87], v[88:89], v[92:93]
	v_div_fixup_f64 v[86:87], v[86:87], v[84:85], v[82:83]
	v_fma_f64 v[82:83], v[82:83], v[86:87], v[84:85]
	v_div_scale_f64 v[84:85], s[6:7], v[82:83], v[82:83], 1.0
	v_div_scale_f64 v[92:93], vcc, 1.0, v[82:83], 1.0
	v_rcp_f64_e32 v[88:89], v[84:85]
	v_fma_f64 v[90:91], -v[84:85], v[88:89], 1.0
	v_fma_f64 v[88:89], v[88:89], v[90:91], v[88:89]
	v_fma_f64 v[90:91], -v[84:85], v[88:89], 1.0
	v_fma_f64 v[88:89], v[88:89], v[90:91], v[88:89]
	v_mul_f64 v[90:91], v[92:93], v[88:89]
	v_fma_f64 v[84:85], -v[84:85], v[90:91], v[92:93]
	v_div_fmas_f64 v[84:85], v[84:85], v[88:89], v[90:91]
	v_div_fixup_f64 v[88:89], v[84:85], v[82:83], 1.0
                                        ; implicit-def: $vgpr82_vgpr83
	v_mul_f64 v[86:87], v[86:87], v[88:89]
	v_xor_b32_e32 v89, 0x80000000, v89
.LBB37_122:
	s_andn2_saveexec_b64 s[2:3], s[2:3]
	s_cbranch_execz .LBB37_124
; %bb.123:
	v_div_scale_f64 v[86:87], s[6:7], v[82:83], v[82:83], v[84:85]
	v_rcp_f64_e32 v[88:89], v[86:87]
	v_fma_f64 v[90:91], -v[86:87], v[88:89], 1.0
	v_fma_f64 v[88:89], v[88:89], v[90:91], v[88:89]
	v_div_scale_f64 v[90:91], vcc, v[84:85], v[82:83], v[84:85]
	v_fma_f64 v[92:93], -v[86:87], v[88:89], 1.0
	v_fma_f64 v[88:89], v[88:89], v[92:93], v[88:89]
	v_mul_f64 v[92:93], v[90:91], v[88:89]
	v_fma_f64 v[86:87], -v[86:87], v[92:93], v[90:91]
	v_div_fmas_f64 v[86:87], v[86:87], v[88:89], v[92:93]
	v_div_fixup_f64 v[88:89], v[86:87], v[82:83], v[84:85]
	v_fma_f64 v[82:83], v[84:85], v[88:89], v[82:83]
	v_div_scale_f64 v[84:85], s[6:7], v[82:83], v[82:83], 1.0
	v_div_scale_f64 v[92:93], vcc, 1.0, v[82:83], 1.0
	v_rcp_f64_e32 v[86:87], v[84:85]
	v_fma_f64 v[90:91], -v[84:85], v[86:87], 1.0
	v_fma_f64 v[86:87], v[86:87], v[90:91], v[86:87]
	v_fma_f64 v[90:91], -v[84:85], v[86:87], 1.0
	v_fma_f64 v[86:87], v[86:87], v[90:91], v[86:87]
	v_mul_f64 v[90:91], v[92:93], v[86:87]
	v_fma_f64 v[84:85], -v[84:85], v[90:91], v[92:93]
	v_div_fmas_f64 v[84:85], v[84:85], v[86:87], v[90:91]
	v_div_fixup_f64 v[86:87], v[84:85], v[82:83], 1.0
	v_mul_f64 v[88:89], v[88:89], -v[86:87]
.LBB37_124:
	s_or_b64 exec, exec, s[2:3]
	ds_write2_b64 v1, v[86:87], v[88:89] offset1:1
.LBB37_125:
	s_or_b64 exec, exec, s[4:5]
	s_waitcnt lgkmcnt(0)
	s_barrier
	ds_read2_b64 v[82:85], v1 offset1:1
	v_cmp_lt_u32_e32 vcc, 13, v0
	s_and_saveexec_b64 s[2:3], vcc
	s_cbranch_execz .LBB37_127
; %bb.126:
	s_waitcnt lgkmcnt(0)
	v_mul_f64 v[86:87], v[82:83], v[20:21]
	v_mul_f64 v[20:21], v[84:85], v[20:21]
	v_fma_f64 v[90:91], v[84:85], v[18:19], v[86:87]
	ds_read2_b64 v[86:89], v126 offset0:28 offset1:29
	v_fma_f64 v[18:19], v[82:83], v[18:19], -v[20:21]
	s_waitcnt lgkmcnt(0)
	v_mul_f64 v[20:21], v[88:89], v[90:91]
	v_fma_f64 v[20:21], v[86:87], v[18:19], -v[20:21]
	v_mul_f64 v[86:87], v[86:87], v[90:91]
	v_add_f64 v[14:15], v[14:15], -v[20:21]
	v_fma_f64 v[86:87], v[88:89], v[18:19], v[86:87]
	v_add_f64 v[16:17], v[16:17], -v[86:87]
	ds_read2_b64 v[86:89], v126 offset0:30 offset1:31
	s_waitcnt lgkmcnt(0)
	v_mul_f64 v[20:21], v[88:89], v[90:91]
	v_fma_f64 v[20:21], v[86:87], v[18:19], -v[20:21]
	v_mul_f64 v[86:87], v[86:87], v[90:91]
	v_add_f64 v[10:11], v[10:11], -v[20:21]
	v_fma_f64 v[86:87], v[88:89], v[18:19], v[86:87]
	v_add_f64 v[12:13], v[12:13], -v[86:87]
	ds_read2_b64 v[86:89], v126 offset0:32 offset1:33
	;; [unrolled: 8-line block ×4, first 2 shown]
	s_waitcnt lgkmcnt(0)
	v_mul_f64 v[20:21], v[88:89], v[90:91]
	v_fma_f64 v[20:21], v[86:87], v[18:19], -v[20:21]
	v_mul_f64 v[86:87], v[86:87], v[90:91]
	v_add_f64 v[50:51], v[50:51], -v[20:21]
	v_fma_f64 v[86:87], v[88:89], v[18:19], v[86:87]
	v_mov_b32_e32 v20, v90
	v_mov_b32_e32 v21, v91
	v_add_f64 v[52:53], v[52:53], -v[86:87]
.LBB37_127:
	s_or_b64 exec, exec, s[2:3]
	v_cmp_eq_u32_e32 vcc, 14, v0
	s_waitcnt lgkmcnt(0)
	s_barrier
	s_and_saveexec_b64 s[4:5], vcc
	s_cbranch_execz .LBB37_134
; %bb.128:
	ds_write2_b64 v1, v[14:15], v[16:17] offset1:1
	ds_write2_b64 v126, v[10:11], v[12:13] offset0:30 offset1:31
	ds_write2_b64 v126, v[6:7], v[8:9] offset0:32 offset1:33
	;; [unrolled: 1-line block ×4, first 2 shown]
	ds_read2_b64 v[86:89], v1 offset1:1
	s_waitcnt lgkmcnt(0)
	v_cmp_neq_f64_e32 vcc, 0, v[86:87]
	v_cmp_neq_f64_e64 s[2:3], 0, v[88:89]
	s_or_b64 s[2:3], vcc, s[2:3]
	s_and_b64 exec, exec, s[2:3]
	s_cbranch_execz .LBB37_134
; %bb.129:
	v_cmp_ngt_f64_e64 s[2:3], |v[86:87]|, |v[88:89]|
                                        ; implicit-def: $vgpr90_vgpr91
	s_and_saveexec_b64 s[6:7], s[2:3]
	s_xor_b64 s[2:3], exec, s[6:7]
                                        ; implicit-def: $vgpr92_vgpr93
	s_cbranch_execz .LBB37_131
; %bb.130:
	v_div_scale_f64 v[90:91], s[6:7], v[88:89], v[88:89], v[86:87]
	v_rcp_f64_e32 v[92:93], v[90:91]
	v_fma_f64 v[94:95], -v[90:91], v[92:93], 1.0
	v_fma_f64 v[92:93], v[92:93], v[94:95], v[92:93]
	v_div_scale_f64 v[94:95], vcc, v[86:87], v[88:89], v[86:87]
	v_fma_f64 v[96:97], -v[90:91], v[92:93], 1.0
	v_fma_f64 v[92:93], v[92:93], v[96:97], v[92:93]
	v_mul_f64 v[96:97], v[94:95], v[92:93]
	v_fma_f64 v[90:91], -v[90:91], v[96:97], v[94:95]
	v_div_fmas_f64 v[90:91], v[90:91], v[92:93], v[96:97]
	v_div_fixup_f64 v[90:91], v[90:91], v[88:89], v[86:87]
	v_fma_f64 v[86:87], v[86:87], v[90:91], v[88:89]
	v_div_scale_f64 v[88:89], s[6:7], v[86:87], v[86:87], 1.0
	v_div_scale_f64 v[96:97], vcc, 1.0, v[86:87], 1.0
	v_rcp_f64_e32 v[92:93], v[88:89]
	v_fma_f64 v[94:95], -v[88:89], v[92:93], 1.0
	v_fma_f64 v[92:93], v[92:93], v[94:95], v[92:93]
	v_fma_f64 v[94:95], -v[88:89], v[92:93], 1.0
	v_fma_f64 v[92:93], v[92:93], v[94:95], v[92:93]
	v_mul_f64 v[94:95], v[96:97], v[92:93]
	v_fma_f64 v[88:89], -v[88:89], v[94:95], v[96:97]
	v_div_fmas_f64 v[88:89], v[88:89], v[92:93], v[94:95]
	v_div_fixup_f64 v[92:93], v[88:89], v[86:87], 1.0
                                        ; implicit-def: $vgpr86_vgpr87
	v_mul_f64 v[90:91], v[90:91], v[92:93]
	v_xor_b32_e32 v93, 0x80000000, v93
.LBB37_131:
	s_andn2_saveexec_b64 s[2:3], s[2:3]
	s_cbranch_execz .LBB37_133
; %bb.132:
	v_div_scale_f64 v[90:91], s[6:7], v[86:87], v[86:87], v[88:89]
	v_rcp_f64_e32 v[92:93], v[90:91]
	v_fma_f64 v[94:95], -v[90:91], v[92:93], 1.0
	v_fma_f64 v[92:93], v[92:93], v[94:95], v[92:93]
	v_div_scale_f64 v[94:95], vcc, v[88:89], v[86:87], v[88:89]
	v_fma_f64 v[96:97], -v[90:91], v[92:93], 1.0
	v_fma_f64 v[92:93], v[92:93], v[96:97], v[92:93]
	v_mul_f64 v[96:97], v[94:95], v[92:93]
	v_fma_f64 v[90:91], -v[90:91], v[96:97], v[94:95]
	v_div_fmas_f64 v[90:91], v[90:91], v[92:93], v[96:97]
	v_div_fixup_f64 v[92:93], v[90:91], v[86:87], v[88:89]
	v_fma_f64 v[86:87], v[88:89], v[92:93], v[86:87]
	v_div_scale_f64 v[88:89], s[6:7], v[86:87], v[86:87], 1.0
	v_div_scale_f64 v[96:97], vcc, 1.0, v[86:87], 1.0
	v_rcp_f64_e32 v[90:91], v[88:89]
	v_fma_f64 v[94:95], -v[88:89], v[90:91], 1.0
	v_fma_f64 v[90:91], v[90:91], v[94:95], v[90:91]
	v_fma_f64 v[94:95], -v[88:89], v[90:91], 1.0
	v_fma_f64 v[90:91], v[90:91], v[94:95], v[90:91]
	v_mul_f64 v[94:95], v[96:97], v[90:91]
	v_fma_f64 v[88:89], -v[88:89], v[94:95], v[96:97]
	v_div_fmas_f64 v[88:89], v[88:89], v[90:91], v[94:95]
	v_div_fixup_f64 v[90:91], v[88:89], v[86:87], 1.0
	v_mul_f64 v[92:93], v[92:93], -v[90:91]
.LBB37_133:
	s_or_b64 exec, exec, s[2:3]
	ds_write2_b64 v1, v[90:91], v[92:93] offset1:1
.LBB37_134:
	s_or_b64 exec, exec, s[4:5]
	s_waitcnt lgkmcnt(0)
	s_barrier
	ds_read2_b64 v[86:89], v1 offset1:1
	v_cmp_lt_u32_e32 vcc, 14, v0
	s_and_saveexec_b64 s[2:3], vcc
	s_cbranch_execz .LBB37_136
; %bb.135:
	s_waitcnt lgkmcnt(0)
	v_mul_f64 v[90:91], v[86:87], v[16:17]
	v_mul_f64 v[16:17], v[88:89], v[16:17]
	v_fma_f64 v[94:95], v[88:89], v[14:15], v[90:91]
	ds_read2_b64 v[90:93], v126 offset0:30 offset1:31
	v_fma_f64 v[14:15], v[86:87], v[14:15], -v[16:17]
	s_waitcnt lgkmcnt(0)
	v_mul_f64 v[16:17], v[92:93], v[94:95]
	v_fma_f64 v[16:17], v[90:91], v[14:15], -v[16:17]
	v_mul_f64 v[90:91], v[90:91], v[94:95]
	v_add_f64 v[10:11], v[10:11], -v[16:17]
	v_fma_f64 v[90:91], v[92:93], v[14:15], v[90:91]
	v_add_f64 v[12:13], v[12:13], -v[90:91]
	ds_read2_b64 v[90:93], v126 offset0:32 offset1:33
	s_waitcnt lgkmcnt(0)
	v_mul_f64 v[16:17], v[92:93], v[94:95]
	v_fma_f64 v[16:17], v[90:91], v[14:15], -v[16:17]
	v_mul_f64 v[90:91], v[90:91], v[94:95]
	v_add_f64 v[6:7], v[6:7], -v[16:17]
	v_fma_f64 v[90:91], v[92:93], v[14:15], v[90:91]
	v_add_f64 v[8:9], v[8:9], -v[90:91]
	ds_read2_b64 v[90:93], v126 offset0:34 offset1:35
	s_waitcnt lgkmcnt(0)
	v_mul_f64 v[16:17], v[92:93], v[94:95]
	v_fma_f64 v[16:17], v[90:91], v[14:15], -v[16:17]
	v_mul_f64 v[90:91], v[90:91], v[94:95]
	v_add_f64 v[2:3], v[2:3], -v[16:17]
	v_fma_f64 v[90:91], v[92:93], v[14:15], v[90:91]
	v_add_f64 v[4:5], v[4:5], -v[90:91]
	ds_read2_b64 v[90:93], v126 offset0:36 offset1:37
	s_waitcnt lgkmcnt(0)
	v_mul_f64 v[16:17], v[92:93], v[94:95]
	v_fma_f64 v[16:17], v[90:91], v[14:15], -v[16:17]
	v_mul_f64 v[90:91], v[90:91], v[94:95]
	v_add_f64 v[50:51], v[50:51], -v[16:17]
	v_fma_f64 v[90:91], v[92:93], v[14:15], v[90:91]
	v_mov_b32_e32 v16, v94
	v_mov_b32_e32 v17, v95
	v_add_f64 v[52:53], v[52:53], -v[90:91]
.LBB37_136:
	s_or_b64 exec, exec, s[2:3]
	v_cmp_eq_u32_e32 vcc, 15, v0
	s_waitcnt lgkmcnt(0)
	s_barrier
	s_and_saveexec_b64 s[4:5], vcc
	s_cbranch_execz .LBB37_143
; %bb.137:
	ds_write2_b64 v1, v[10:11], v[12:13] offset1:1
	ds_write2_b64 v126, v[6:7], v[8:9] offset0:32 offset1:33
	ds_write2_b64 v126, v[2:3], v[4:5] offset0:34 offset1:35
	ds_write2_b64 v126, v[50:51], v[52:53] offset0:36 offset1:37
	ds_read2_b64 v[90:93], v1 offset1:1
	s_waitcnt lgkmcnt(0)
	v_cmp_neq_f64_e32 vcc, 0, v[90:91]
	v_cmp_neq_f64_e64 s[2:3], 0, v[92:93]
	s_or_b64 s[2:3], vcc, s[2:3]
	s_and_b64 exec, exec, s[2:3]
	s_cbranch_execz .LBB37_143
; %bb.138:
	v_cmp_ngt_f64_e64 s[2:3], |v[90:91]|, |v[92:93]|
                                        ; implicit-def: $vgpr94_vgpr95
	s_and_saveexec_b64 s[6:7], s[2:3]
	s_xor_b64 s[2:3], exec, s[6:7]
                                        ; implicit-def: $vgpr96_vgpr97
	s_cbranch_execz .LBB37_140
; %bb.139:
	v_div_scale_f64 v[94:95], s[6:7], v[92:93], v[92:93], v[90:91]
	v_rcp_f64_e32 v[96:97], v[94:95]
	v_fma_f64 v[98:99], -v[94:95], v[96:97], 1.0
	v_fma_f64 v[96:97], v[96:97], v[98:99], v[96:97]
	v_div_scale_f64 v[98:99], vcc, v[90:91], v[92:93], v[90:91]
	v_fma_f64 v[100:101], -v[94:95], v[96:97], 1.0
	v_fma_f64 v[96:97], v[96:97], v[100:101], v[96:97]
	v_mul_f64 v[100:101], v[98:99], v[96:97]
	v_fma_f64 v[94:95], -v[94:95], v[100:101], v[98:99]
	v_div_fmas_f64 v[94:95], v[94:95], v[96:97], v[100:101]
	v_div_fixup_f64 v[94:95], v[94:95], v[92:93], v[90:91]
	v_fma_f64 v[90:91], v[90:91], v[94:95], v[92:93]
	v_div_scale_f64 v[92:93], s[6:7], v[90:91], v[90:91], 1.0
	v_div_scale_f64 v[100:101], vcc, 1.0, v[90:91], 1.0
	v_rcp_f64_e32 v[96:97], v[92:93]
	v_fma_f64 v[98:99], -v[92:93], v[96:97], 1.0
	v_fma_f64 v[96:97], v[96:97], v[98:99], v[96:97]
	v_fma_f64 v[98:99], -v[92:93], v[96:97], 1.0
	v_fma_f64 v[96:97], v[96:97], v[98:99], v[96:97]
	v_mul_f64 v[98:99], v[100:101], v[96:97]
	v_fma_f64 v[92:93], -v[92:93], v[98:99], v[100:101]
	v_div_fmas_f64 v[92:93], v[92:93], v[96:97], v[98:99]
	v_div_fixup_f64 v[96:97], v[92:93], v[90:91], 1.0
                                        ; implicit-def: $vgpr90_vgpr91
	v_mul_f64 v[94:95], v[94:95], v[96:97]
	v_xor_b32_e32 v97, 0x80000000, v97
.LBB37_140:
	s_andn2_saveexec_b64 s[2:3], s[2:3]
	s_cbranch_execz .LBB37_142
; %bb.141:
	v_div_scale_f64 v[94:95], s[6:7], v[90:91], v[90:91], v[92:93]
	v_rcp_f64_e32 v[96:97], v[94:95]
	v_fma_f64 v[98:99], -v[94:95], v[96:97], 1.0
	v_fma_f64 v[96:97], v[96:97], v[98:99], v[96:97]
	v_div_scale_f64 v[98:99], vcc, v[92:93], v[90:91], v[92:93]
	v_fma_f64 v[100:101], -v[94:95], v[96:97], 1.0
	v_fma_f64 v[96:97], v[96:97], v[100:101], v[96:97]
	v_mul_f64 v[100:101], v[98:99], v[96:97]
	v_fma_f64 v[94:95], -v[94:95], v[100:101], v[98:99]
	v_div_fmas_f64 v[94:95], v[94:95], v[96:97], v[100:101]
	v_div_fixup_f64 v[96:97], v[94:95], v[90:91], v[92:93]
	v_fma_f64 v[90:91], v[92:93], v[96:97], v[90:91]
	v_div_scale_f64 v[92:93], s[6:7], v[90:91], v[90:91], 1.0
	v_div_scale_f64 v[100:101], vcc, 1.0, v[90:91], 1.0
	v_rcp_f64_e32 v[94:95], v[92:93]
	v_fma_f64 v[98:99], -v[92:93], v[94:95], 1.0
	v_fma_f64 v[94:95], v[94:95], v[98:99], v[94:95]
	v_fma_f64 v[98:99], -v[92:93], v[94:95], 1.0
	v_fma_f64 v[94:95], v[94:95], v[98:99], v[94:95]
	v_mul_f64 v[98:99], v[100:101], v[94:95]
	v_fma_f64 v[92:93], -v[92:93], v[98:99], v[100:101]
	v_div_fmas_f64 v[92:93], v[92:93], v[94:95], v[98:99]
	v_div_fixup_f64 v[94:95], v[92:93], v[90:91], 1.0
	v_mul_f64 v[96:97], v[96:97], -v[94:95]
.LBB37_142:
	s_or_b64 exec, exec, s[2:3]
	ds_write2_b64 v1, v[94:95], v[96:97] offset1:1
.LBB37_143:
	s_or_b64 exec, exec, s[4:5]
	s_waitcnt lgkmcnt(0)
	s_barrier
	ds_read2_b64 v[90:93], v1 offset1:1
	v_cmp_lt_u32_e32 vcc, 15, v0
	s_and_saveexec_b64 s[2:3], vcc
	s_cbranch_execz .LBB37_145
; %bb.144:
	s_waitcnt lgkmcnt(0)
	v_mul_f64 v[94:95], v[90:91], v[12:13]
	v_mul_f64 v[12:13], v[92:93], v[12:13]
	v_fma_f64 v[98:99], v[92:93], v[10:11], v[94:95]
	ds_read2_b64 v[94:97], v126 offset0:32 offset1:33
	v_fma_f64 v[10:11], v[90:91], v[10:11], -v[12:13]
	s_waitcnt lgkmcnt(0)
	v_mul_f64 v[12:13], v[96:97], v[98:99]
	v_fma_f64 v[12:13], v[94:95], v[10:11], -v[12:13]
	v_mul_f64 v[94:95], v[94:95], v[98:99]
	v_add_f64 v[6:7], v[6:7], -v[12:13]
	v_fma_f64 v[94:95], v[96:97], v[10:11], v[94:95]
	v_add_f64 v[8:9], v[8:9], -v[94:95]
	ds_read2_b64 v[94:97], v126 offset0:34 offset1:35
	s_waitcnt lgkmcnt(0)
	v_mul_f64 v[12:13], v[96:97], v[98:99]
	v_fma_f64 v[12:13], v[94:95], v[10:11], -v[12:13]
	v_mul_f64 v[94:95], v[94:95], v[98:99]
	v_add_f64 v[2:3], v[2:3], -v[12:13]
	v_fma_f64 v[94:95], v[96:97], v[10:11], v[94:95]
	v_add_f64 v[4:5], v[4:5], -v[94:95]
	ds_read2_b64 v[94:97], v126 offset0:36 offset1:37
	s_waitcnt lgkmcnt(0)
	v_mul_f64 v[12:13], v[96:97], v[98:99]
	v_fma_f64 v[12:13], v[94:95], v[10:11], -v[12:13]
	v_mul_f64 v[94:95], v[94:95], v[98:99]
	v_add_f64 v[50:51], v[50:51], -v[12:13]
	v_fma_f64 v[94:95], v[96:97], v[10:11], v[94:95]
	v_mov_b32_e32 v12, v98
	v_mov_b32_e32 v13, v99
	v_add_f64 v[52:53], v[52:53], -v[94:95]
.LBB37_145:
	s_or_b64 exec, exec, s[2:3]
	v_cmp_eq_u32_e32 vcc, 16, v0
	s_waitcnt lgkmcnt(0)
	s_barrier
	s_and_saveexec_b64 s[4:5], vcc
	s_cbranch_execz .LBB37_152
; %bb.146:
	ds_write2_b64 v1, v[6:7], v[8:9] offset1:1
	ds_write2_b64 v126, v[2:3], v[4:5] offset0:34 offset1:35
	ds_write2_b64 v126, v[50:51], v[52:53] offset0:36 offset1:37
	ds_read2_b64 v[94:97], v1 offset1:1
	s_waitcnt lgkmcnt(0)
	v_cmp_neq_f64_e32 vcc, 0, v[94:95]
	v_cmp_neq_f64_e64 s[2:3], 0, v[96:97]
	s_or_b64 s[2:3], vcc, s[2:3]
	s_and_b64 exec, exec, s[2:3]
	s_cbranch_execz .LBB37_152
; %bb.147:
	v_cmp_ngt_f64_e64 s[2:3], |v[94:95]|, |v[96:97]|
                                        ; implicit-def: $vgpr98_vgpr99
	s_and_saveexec_b64 s[6:7], s[2:3]
	s_xor_b64 s[2:3], exec, s[6:7]
                                        ; implicit-def: $vgpr100_vgpr101
	s_cbranch_execz .LBB37_149
; %bb.148:
	v_div_scale_f64 v[98:99], s[6:7], v[96:97], v[96:97], v[94:95]
	v_rcp_f64_e32 v[100:101], v[98:99]
	v_fma_f64 v[102:103], -v[98:99], v[100:101], 1.0
	v_fma_f64 v[100:101], v[100:101], v[102:103], v[100:101]
	v_div_scale_f64 v[102:103], vcc, v[94:95], v[96:97], v[94:95]
	v_fma_f64 v[104:105], -v[98:99], v[100:101], 1.0
	v_fma_f64 v[100:101], v[100:101], v[104:105], v[100:101]
	v_mul_f64 v[104:105], v[102:103], v[100:101]
	v_fma_f64 v[98:99], -v[98:99], v[104:105], v[102:103]
	v_div_fmas_f64 v[98:99], v[98:99], v[100:101], v[104:105]
	v_div_fixup_f64 v[98:99], v[98:99], v[96:97], v[94:95]
	v_fma_f64 v[94:95], v[94:95], v[98:99], v[96:97]
	v_div_scale_f64 v[96:97], s[6:7], v[94:95], v[94:95], 1.0
	v_div_scale_f64 v[104:105], vcc, 1.0, v[94:95], 1.0
	v_rcp_f64_e32 v[100:101], v[96:97]
	v_fma_f64 v[102:103], -v[96:97], v[100:101], 1.0
	v_fma_f64 v[100:101], v[100:101], v[102:103], v[100:101]
	v_fma_f64 v[102:103], -v[96:97], v[100:101], 1.0
	v_fma_f64 v[100:101], v[100:101], v[102:103], v[100:101]
	v_mul_f64 v[102:103], v[104:105], v[100:101]
	v_fma_f64 v[96:97], -v[96:97], v[102:103], v[104:105]
	v_div_fmas_f64 v[96:97], v[96:97], v[100:101], v[102:103]
	v_div_fixup_f64 v[100:101], v[96:97], v[94:95], 1.0
                                        ; implicit-def: $vgpr94_vgpr95
	v_mul_f64 v[98:99], v[98:99], v[100:101]
	v_xor_b32_e32 v101, 0x80000000, v101
.LBB37_149:
	s_andn2_saveexec_b64 s[2:3], s[2:3]
	s_cbranch_execz .LBB37_151
; %bb.150:
	v_div_scale_f64 v[98:99], s[6:7], v[94:95], v[94:95], v[96:97]
	v_rcp_f64_e32 v[100:101], v[98:99]
	v_fma_f64 v[102:103], -v[98:99], v[100:101], 1.0
	v_fma_f64 v[100:101], v[100:101], v[102:103], v[100:101]
	v_div_scale_f64 v[102:103], vcc, v[96:97], v[94:95], v[96:97]
	v_fma_f64 v[104:105], -v[98:99], v[100:101], 1.0
	v_fma_f64 v[100:101], v[100:101], v[104:105], v[100:101]
	v_mul_f64 v[104:105], v[102:103], v[100:101]
	v_fma_f64 v[98:99], -v[98:99], v[104:105], v[102:103]
	v_div_fmas_f64 v[98:99], v[98:99], v[100:101], v[104:105]
	v_div_fixup_f64 v[100:101], v[98:99], v[94:95], v[96:97]
	v_fma_f64 v[94:95], v[96:97], v[100:101], v[94:95]
	v_div_scale_f64 v[96:97], s[6:7], v[94:95], v[94:95], 1.0
	v_div_scale_f64 v[104:105], vcc, 1.0, v[94:95], 1.0
	v_rcp_f64_e32 v[98:99], v[96:97]
	v_fma_f64 v[102:103], -v[96:97], v[98:99], 1.0
	v_fma_f64 v[98:99], v[98:99], v[102:103], v[98:99]
	v_fma_f64 v[102:103], -v[96:97], v[98:99], 1.0
	v_fma_f64 v[98:99], v[98:99], v[102:103], v[98:99]
	v_mul_f64 v[102:103], v[104:105], v[98:99]
	v_fma_f64 v[96:97], -v[96:97], v[102:103], v[104:105]
	v_div_fmas_f64 v[96:97], v[96:97], v[98:99], v[102:103]
	v_div_fixup_f64 v[98:99], v[96:97], v[94:95], 1.0
	v_mul_f64 v[100:101], v[100:101], -v[98:99]
.LBB37_151:
	s_or_b64 exec, exec, s[2:3]
	ds_write2_b64 v1, v[98:99], v[100:101] offset1:1
.LBB37_152:
	s_or_b64 exec, exec, s[4:5]
	s_waitcnt lgkmcnt(0)
	s_barrier
	ds_read2_b64 v[98:101], v1 offset1:1
	v_cmp_lt_u32_e32 vcc, 16, v0
	s_and_saveexec_b64 s[2:3], vcc
	s_cbranch_execz .LBB37_154
; %bb.153:
	s_waitcnt lgkmcnt(0)
	v_mul_f64 v[94:95], v[98:99], v[8:9]
	v_mul_f64 v[8:9], v[100:101], v[8:9]
	v_fma_f64 v[102:103], v[100:101], v[6:7], v[94:95]
	ds_read2_b64 v[94:97], v126 offset0:34 offset1:35
	v_fma_f64 v[6:7], v[98:99], v[6:7], -v[8:9]
	s_waitcnt lgkmcnt(0)
	v_mul_f64 v[8:9], v[96:97], v[102:103]
	v_fma_f64 v[8:9], v[94:95], v[6:7], -v[8:9]
	v_mul_f64 v[94:95], v[94:95], v[102:103]
	v_add_f64 v[2:3], v[2:3], -v[8:9]
	v_fma_f64 v[94:95], v[96:97], v[6:7], v[94:95]
	v_add_f64 v[4:5], v[4:5], -v[94:95]
	ds_read2_b64 v[94:97], v126 offset0:36 offset1:37
	s_waitcnt lgkmcnt(0)
	v_mul_f64 v[8:9], v[96:97], v[102:103]
	v_fma_f64 v[8:9], v[94:95], v[6:7], -v[8:9]
	v_mul_f64 v[94:95], v[94:95], v[102:103]
	v_add_f64 v[50:51], v[50:51], -v[8:9]
	v_fma_f64 v[94:95], v[96:97], v[6:7], v[94:95]
	v_mov_b32_e32 v8, v102
	v_mov_b32_e32 v9, v103
	v_add_f64 v[52:53], v[52:53], -v[94:95]
.LBB37_154:
	s_or_b64 exec, exec, s[2:3]
	v_cmp_eq_u32_e32 vcc, 17, v0
	s_waitcnt lgkmcnt(0)
	s_barrier
	s_and_saveexec_b64 s[4:5], vcc
	s_cbranch_execz .LBB37_161
; %bb.155:
	ds_write2_b64 v1, v[2:3], v[4:5] offset1:1
	ds_write2_b64 v126, v[50:51], v[52:53] offset0:36 offset1:37
	ds_read2_b64 v[94:97], v1 offset1:1
	s_waitcnt lgkmcnt(0)
	v_cmp_neq_f64_e32 vcc, 0, v[94:95]
	v_cmp_neq_f64_e64 s[2:3], 0, v[96:97]
	s_or_b64 s[2:3], vcc, s[2:3]
	s_and_b64 exec, exec, s[2:3]
	s_cbranch_execz .LBB37_161
; %bb.156:
	v_cmp_ngt_f64_e64 s[2:3], |v[94:95]|, |v[96:97]|
                                        ; implicit-def: $vgpr102_vgpr103
	s_and_saveexec_b64 s[6:7], s[2:3]
	s_xor_b64 s[2:3], exec, s[6:7]
                                        ; implicit-def: $vgpr104_vgpr105
	s_cbranch_execz .LBB37_158
; %bb.157:
	v_div_scale_f64 v[102:103], s[6:7], v[96:97], v[96:97], v[94:95]
	v_mov_b32_e32 v74, v108
	v_mov_b32_e32 v75, v109
	v_rcp_f64_e32 v[104:105], v[102:103]
	v_fma_f64 v[106:107], -v[102:103], v[104:105], 1.0
	v_fma_f64 v[104:105], v[104:105], v[106:107], v[104:105]
	v_div_scale_f64 v[106:107], vcc, v[94:95], v[96:97], v[94:95]
	v_fma_f64 v[108:109], -v[102:103], v[104:105], 1.0
	v_fma_f64 v[104:105], v[104:105], v[108:109], v[104:105]
	v_mul_f64 v[108:109], v[106:107], v[104:105]
	v_fma_f64 v[102:103], -v[102:103], v[108:109], v[106:107]
	v_div_fmas_f64 v[102:103], v[102:103], v[104:105], v[108:109]
	v_div_fixup_f64 v[102:103], v[102:103], v[96:97], v[94:95]
	v_fma_f64 v[94:95], v[94:95], v[102:103], v[96:97]
	v_div_scale_f64 v[96:97], s[6:7], v[94:95], v[94:95], 1.0
	v_div_scale_f64 v[108:109], vcc, 1.0, v[94:95], 1.0
	v_rcp_f64_e32 v[104:105], v[96:97]
	v_fma_f64 v[106:107], -v[96:97], v[104:105], 1.0
	v_fma_f64 v[104:105], v[104:105], v[106:107], v[104:105]
	v_fma_f64 v[106:107], -v[96:97], v[104:105], 1.0
	v_fma_f64 v[104:105], v[104:105], v[106:107], v[104:105]
	v_mul_f64 v[106:107], v[108:109], v[104:105]
	v_fma_f64 v[96:97], -v[96:97], v[106:107], v[108:109]
	v_mov_b32_e32 v109, v75
	v_mov_b32_e32 v108, v74
	v_div_fmas_f64 v[96:97], v[96:97], v[104:105], v[106:107]
	v_div_fixup_f64 v[104:105], v[96:97], v[94:95], 1.0
                                        ; implicit-def: $vgpr94_vgpr95
	v_mul_f64 v[102:103], v[102:103], v[104:105]
	v_xor_b32_e32 v105, 0x80000000, v105
.LBB37_158:
	s_andn2_saveexec_b64 s[2:3], s[2:3]
	s_cbranch_execz .LBB37_160
; %bb.159:
	v_div_scale_f64 v[102:103], s[6:7], v[94:95], v[94:95], v[96:97]
	v_mov_b32_e32 v74, v108
	v_mov_b32_e32 v75, v109
	v_rcp_f64_e32 v[104:105], v[102:103]
	v_fma_f64 v[106:107], -v[102:103], v[104:105], 1.0
	v_fma_f64 v[104:105], v[104:105], v[106:107], v[104:105]
	v_div_scale_f64 v[106:107], vcc, v[96:97], v[94:95], v[96:97]
	v_fma_f64 v[108:109], -v[102:103], v[104:105], 1.0
	v_fma_f64 v[104:105], v[104:105], v[108:109], v[104:105]
	v_mul_f64 v[108:109], v[106:107], v[104:105]
	v_fma_f64 v[102:103], -v[102:103], v[108:109], v[106:107]
	v_div_fmas_f64 v[102:103], v[102:103], v[104:105], v[108:109]
	v_div_fixup_f64 v[104:105], v[102:103], v[94:95], v[96:97]
	v_fma_f64 v[94:95], v[96:97], v[104:105], v[94:95]
	v_div_scale_f64 v[96:97], s[6:7], v[94:95], v[94:95], 1.0
	v_div_scale_f64 v[108:109], vcc, 1.0, v[94:95], 1.0
	v_rcp_f64_e32 v[102:103], v[96:97]
	v_fma_f64 v[106:107], -v[96:97], v[102:103], 1.0
	v_fma_f64 v[102:103], v[102:103], v[106:107], v[102:103]
	v_fma_f64 v[106:107], -v[96:97], v[102:103], 1.0
	v_fma_f64 v[102:103], v[102:103], v[106:107], v[102:103]
	v_mul_f64 v[106:107], v[108:109], v[102:103]
	v_fma_f64 v[96:97], -v[96:97], v[106:107], v[108:109]
	v_mov_b32_e32 v109, v75
	v_mov_b32_e32 v108, v74
	v_div_fmas_f64 v[96:97], v[96:97], v[102:103], v[106:107]
	v_div_fixup_f64 v[102:103], v[96:97], v[94:95], 1.0
	v_mul_f64 v[104:105], v[104:105], -v[102:103]
.LBB37_160:
	s_or_b64 exec, exec, s[2:3]
	ds_write2_b64 v1, v[102:103], v[104:105] offset1:1
.LBB37_161:
	s_or_b64 exec, exec, s[4:5]
	s_waitcnt lgkmcnt(0)
	s_barrier
	ds_read2_b64 v[102:105], v1 offset1:1
	v_cmp_lt_u32_e32 vcc, 17, v0
	s_and_saveexec_b64 s[2:3], vcc
	s_cbranch_execz .LBB37_163
; %bb.162:
	s_waitcnt lgkmcnt(0)
	v_mul_f64 v[94:95], v[102:103], v[4:5]
	v_mul_f64 v[4:5], v[104:105], v[4:5]
	v_fma_f64 v[106:107], v[104:105], v[2:3], v[94:95]
	ds_read2_b64 v[94:97], v126 offset0:36 offset1:37
	v_fma_f64 v[2:3], v[102:103], v[2:3], -v[4:5]
	s_waitcnt lgkmcnt(0)
	v_mul_f64 v[4:5], v[96:97], v[106:107]
	v_fma_f64 v[4:5], v[94:95], v[2:3], -v[4:5]
	v_mul_f64 v[94:95], v[94:95], v[106:107]
	v_add_f64 v[50:51], v[50:51], -v[4:5]
	v_fma_f64 v[94:95], v[96:97], v[2:3], v[94:95]
	v_mov_b32_e32 v4, v106
	v_mov_b32_e32 v5, v107
	v_add_f64 v[52:53], v[52:53], -v[94:95]
.LBB37_163:
	s_or_b64 exec, exec, s[2:3]
	v_cmp_eq_u32_e32 vcc, 18, v0
	s_waitcnt lgkmcnt(0)
	s_barrier
	s_and_saveexec_b64 s[4:5], vcc
	s_cbranch_execz .LBB37_170
; %bb.164:
	v_cmp_neq_f64_e32 vcc, 0, v[50:51]
	v_cmp_neq_f64_e64 s[2:3], 0, v[52:53]
	ds_write2_b64 v1, v[50:51], v[52:53] offset1:1
	s_or_b64 s[2:3], vcc, s[2:3]
	s_and_b64 exec, exec, s[2:3]
	s_cbranch_execz .LBB37_170
; %bb.165:
	v_cmp_ngt_f64_e64 s[2:3], |v[50:51]|, |v[52:53]|
                                        ; implicit-def: $vgpr94_vgpr95
	s_and_saveexec_b64 s[6:7], s[2:3]
	s_xor_b64 s[2:3], exec, s[6:7]
                                        ; implicit-def: $vgpr96_vgpr97
	s_cbranch_execz .LBB37_167
; %bb.166:
	v_div_scale_f64 v[94:95], s[6:7], v[52:53], v[52:53], v[50:51]
	v_mov_b32_e32 v74, v108
	v_mov_b32_e32 v75, v109
	v_mov_b32_e32 v66, v70
	v_mov_b32_e32 v67, v71
	v_mov_b32_e32 v68, v72
	v_mov_b32_e32 v69, v73
	v_mov_b32_e32 v70, v78
	v_mov_b32_e32 v71, v79
	v_mov_b32_e32 v72, v80
	v_mov_b32_e32 v73, v81
	v_mov_b32_e32 v78, v124
	v_mov_b32_e32 v79, v125
	v_mov_b32_e32 v125, v123
	v_mov_b32_e32 v124, v122
	v_rcp_f64_e32 v[96:97], v[94:95]
	v_mov_b32_e32 v123, v121
	v_mov_b32_e32 v122, v120
	v_mov_b32_e32 v121, v119
	v_mov_b32_e32 v120, v118
	v_mov_b32_e32 v119, v117
	v_mov_b32_e32 v118, v116
	v_mov_b32_e32 v117, v115
	v_mov_b32_e32 v116, v114
	v_mov_b32_e32 v115, v111
	v_mov_b32_e32 v114, v110
	v_mov_b32_e32 v80, v112
	v_mov_b32_e32 v81, v113
	v_fma_f64 v[106:107], -v[94:95], v[96:97], 1.0
	v_fma_f64 v[96:97], v[96:97], v[106:107], v[96:97]
	v_div_scale_f64 v[106:107], vcc, v[50:51], v[52:53], v[50:51]
	v_fma_f64 v[108:109], -v[94:95], v[96:97], 1.0
	v_fma_f64 v[96:97], v[96:97], v[108:109], v[96:97]
	v_mul_f64 v[108:109], v[106:107], v[96:97]
	v_fma_f64 v[94:95], -v[94:95], v[108:109], v[106:107]
	v_div_fmas_f64 v[94:95], v[94:95], v[96:97], v[108:109]
	v_div_fixup_f64 v[94:95], v[94:95], v[52:53], v[50:51]
	v_fma_f64 v[96:97], v[50:51], v[94:95], v[52:53]
	v_div_scale_f64 v[106:107], s[6:7], v[96:97], v[96:97], 1.0
	v_div_scale_f64 v[110:111], vcc, 1.0, v[96:97], 1.0
	v_rcp_f64_e32 v[108:109], v[106:107]
	v_fma_f64 v[126:127], -v[106:107], v[108:109], 1.0
	v_fma_f64 v[108:109], v[108:109], v[126:127], v[108:109]
	v_fma_f64 v[126:127], -v[106:107], v[108:109], 1.0
	v_fma_f64 v[108:109], v[108:109], v[126:127], v[108:109]
	v_mul_f64 v[112:113], v[110:111], v[108:109]
	v_fma_f64 v[106:107], -v[106:107], v[112:113], v[110:111]
	v_mov_b32_e32 v110, v114
	v_mov_b32_e32 v111, v115
	;; [unrolled: 1-line block ×7, first 2 shown]
	v_div_fmas_f64 v[106:107], v[106:107], v[108:109], v[112:113]
	v_mov_b32_e32 v119, v121
	v_mov_b32_e32 v120, v122
	;; [unrolled: 1-line block ×15, first 2 shown]
	v_div_fixup_f64 v[96:97], v[106:107], v[96:97], 1.0
	v_mov_b32_e32 v108, v74
	v_mov_b32_e32 v72, v68
	;; [unrolled: 1-line block ×4, first 2 shown]
	v_mul_f64 v[94:95], v[94:95], v[96:97]
	v_xor_b32_e32 v97, 0x80000000, v97
.LBB37_167:
	s_andn2_saveexec_b64 s[2:3], s[2:3]
	s_cbranch_execz .LBB37_169
; %bb.168:
	v_div_scale_f64 v[94:95], s[6:7], v[50:51], v[50:51], v[52:53]
	v_mov_b32_e32 v74, v108
	v_mov_b32_e32 v75, v109
	;; [unrolled: 1-line block ×14, first 2 shown]
	v_rcp_f64_e32 v[96:97], v[94:95]
	v_fma_f64 v[106:107], -v[94:95], v[96:97], 1.0
	v_fma_f64 v[96:97], v[96:97], v[106:107], v[96:97]
	v_div_scale_f64 v[106:107], vcc, v[52:53], v[50:51], v[52:53]
	v_fma_f64 v[108:109], -v[94:95], v[96:97], 1.0
	v_fma_f64 v[96:97], v[96:97], v[108:109], v[96:97]
	v_mul_f64 v[108:109], v[106:107], v[96:97]
	v_fma_f64 v[94:95], -v[94:95], v[108:109], v[106:107]
	v_div_fmas_f64 v[94:95], v[94:95], v[96:97], v[108:109]
	v_div_fixup_f64 v[96:97], v[94:95], v[50:51], v[52:53]
	v_fma_f64 v[94:95], v[52:53], v[96:97], v[50:51]
	v_div_scale_f64 v[106:107], s[6:7], v[94:95], v[94:95], 1.0
	v_div_scale_f64 v[112:113], vcc, 1.0, v[94:95], 1.0
	v_rcp_f64_e32 v[108:109], v[106:107]
	v_fma_f64 v[110:111], -v[106:107], v[108:109], 1.0
	v_fma_f64 v[108:109], v[108:109], v[110:111], v[108:109]
	v_fma_f64 v[110:111], -v[106:107], v[108:109], 1.0
	v_fma_f64 v[108:109], v[108:109], v[110:111], v[108:109]
	v_mul_f64 v[110:111], v[112:113], v[108:109]
	v_fma_f64 v[106:107], -v[106:107], v[110:111], v[112:113]
	v_mov_b32_e32 v113, v79
	v_mov_b32_e32 v112, v78
	;; [unrolled: 1-line block ×7, first 2 shown]
	v_div_fmas_f64 v[106:107], v[106:107], v[108:109], v[110:111]
	v_mov_b32_e32 v109, v75
	v_mov_b32_e32 v110, v126
	;; [unrolled: 1-line block ×7, first 2 shown]
	v_div_fixup_f64 v[94:95], v[106:107], v[94:95], 1.0
	v_mul_f64 v[96:97], v[96:97], -v[94:95]
.LBB37_169:
	s_or_b64 exec, exec, s[2:3]
	ds_write2_b64 v1, v[94:95], v[96:97] offset1:1
.LBB37_170:
	s_or_b64 exec, exec, s[4:5]
	s_waitcnt lgkmcnt(0)
	s_barrier
	ds_read2_b64 v[94:97], v1 offset1:1
	s_waitcnt lgkmcnt(0)
	s_barrier
	s_and_saveexec_b64 s[2:3], s[0:1]
	s_cbranch_execz .LBB37_173
; %bb.171:
	v_mov_b32_e32 v66, v114
	v_mov_b32_e32 v67, v115
	;; [unrolled: 1-line block ×12, first 2 shown]
	buffer_load_dword v78, off, s[20:23], 0 offset:88 ; 4-byte Folded Reload
	buffer_load_dword v79, off, s[20:23], 0 offset:92 ; 4-byte Folded Reload
	;; [unrolled: 1-line block ×4, first 2 shown]
	s_waitcnt vmcnt(2)
	v_cmp_eq_f64_e32 vcc, 0, v[78:79]
	s_waitcnt vmcnt(0)
	v_cmp_eq_f64_e64 s[0:1], 0, v[80:81]
	buffer_load_dword v78, off, s[20:23], 0 offset:104 ; 4-byte Folded Reload
	buffer_load_dword v79, off, s[20:23], 0 offset:108 ; 4-byte Folded Reload
	buffer_load_dword v80, off, s[20:23], 0 offset:112 ; 4-byte Folded Reload
	buffer_load_dword v81, off, s[20:23], 0 offset:116 ; 4-byte Folded Reload
	s_and_b64 s[4:5], vcc, s[0:1]
	v_cndmask_b32_e64 v1, 0, 1, s[4:5]
	s_waitcnt vmcnt(2)
	v_cmp_neq_f64_e32 vcc, 0, v[78:79]
	s_waitcnt vmcnt(0)
	v_cmp_neq_f64_e64 s[0:1], 0, v[80:81]
	buffer_load_dword v78, off, s[20:23], 0 offset:120 ; 4-byte Folded Reload
	buffer_load_dword v79, off, s[20:23], 0 offset:124 ; 4-byte Folded Reload
	;; [unrolled: 1-line block ×4, first 2 shown]
	s_or_b64 s[0:1], vcc, s[0:1]
	s_or_b64 vcc, s[0:1], s[4:5]
	v_cndmask_b32_e32 v1, 2, v1, vcc
	s_waitcnt vmcnt(2)
	v_cmp_eq_f64_e32 vcc, 0, v[78:79]
	s_waitcnt vmcnt(0)
	v_cmp_eq_f64_e64 s[0:1], 0, v[80:81]
	buffer_load_dword v78, off, s[20:23], 0 offset:136 ; 4-byte Folded Reload
	buffer_load_dword v79, off, s[20:23], 0 offset:140 ; 4-byte Folded Reload
	buffer_load_dword v80, off, s[20:23], 0 offset:144 ; 4-byte Folded Reload
	buffer_load_dword v81, off, s[20:23], 0 offset:148 ; 4-byte Folded Reload
	s_and_b64 s[0:1], vcc, s[0:1]
	v_cmp_eq_u32_e32 vcc, 0, v1
	s_and_b64 s[0:1], s[0:1], vcc
	v_cndmask_b32_e64 v1, v1, 3, s[0:1]
	s_waitcnt vmcnt(2)
	v_cmp_eq_f64_e32 vcc, 0, v[78:79]
	s_waitcnt vmcnt(0)
	v_cmp_eq_f64_e64 s[0:1], 0, v[80:81]
	buffer_load_dword v78, off, s[20:23], 0 offset:152 ; 4-byte Folded Reload
	buffer_load_dword v79, off, s[20:23], 0 offset:156 ; 4-byte Folded Reload
	buffer_load_dword v80, off, s[20:23], 0 offset:160 ; 4-byte Folded Reload
	buffer_load_dword v81, off, s[20:23], 0 offset:164 ; 4-byte Folded Reload
	s_and_b64 s[0:1], vcc, s[0:1]
	v_cmp_eq_u32_e32 vcc, 0, v1
	s_and_b64 s[0:1], s[0:1], vcc
	v_cndmask_b32_e64 v1, v1, 4, s[0:1]
	;; [unrolled: 12-line block ×8, first 2 shown]
	s_waitcnt vmcnt(2)
	v_cmp_eq_f64_e32 vcc, 0, v[78:79]
	s_waitcnt vmcnt(0)
	v_cmp_eq_f64_e64 s[0:1], 0, v[80:81]
	buffer_load_dword v78, off, s[20:23], 0 offset:264 ; 4-byte Folded Reload
	buffer_load_dword v79, off, s[20:23], 0 offset:268 ; 4-byte Folded Reload
	;; [unrolled: 1-line block ×6, first 2 shown]
	s_and_b64 s[0:1], vcc, s[0:1]
	v_cmp_eq_u32_e32 vcc, 0, v1
	s_and_b64 s[0:1], s[0:1], vcc
	v_cndmask_b32_e64 v1, v1, 11, s[0:1]
	s_waitcnt vmcnt(4)
	v_cmp_eq_f64_e32 vcc, 0, v[78:79]
	s_waitcnt vmcnt(2)
	v_cmp_eq_f64_e64 s[0:1], 0, v[80:81]
	s_waitcnt vmcnt(0)
	v_lshlrev_b64 v[78:79], 2, v[74:75]
	v_mov_b32_e32 v80, s11
	s_and_b64 s[0:1], vcc, s[0:1]
	v_cmp_eq_u32_e32 vcc, 0, v1
	s_and_b64 s[0:1], s[0:1], vcc
	v_cndmask_b32_e64 v1, v1, 12, s[0:1]
	v_cmp_eq_f64_e32 vcc, 0, v[70:71]
	v_cmp_eq_f64_e64 s[0:1], 0, v[72:73]
	v_mov_b32_e32 v70, v114
	v_mov_b32_e32 v71, v115
	;; [unrolled: 1-line block ×7, first 2 shown]
	s_and_b64 s[0:1], vcc, s[0:1]
	v_cmp_eq_u32_e32 vcc, 0, v1
	s_and_b64 s[0:1], s[0:1], vcc
	v_cndmask_b32_e64 v1, v1, 13, s[0:1]
	v_cmp_eq_f64_e32 vcc, 0, v[82:83]
	v_cmp_eq_f64_e64 s[0:1], 0, v[84:85]
	v_mov_b32_e32 v114, v66
	s_and_b64 s[0:1], vcc, s[0:1]
	v_cmp_eq_u32_e32 vcc, 0, v1
	s_and_b64 s[0:1], s[0:1], vcc
	v_cndmask_b32_e64 v1, v1, 14, s[0:1]
	v_cmp_eq_f64_e32 vcc, 0, v[86:87]
	v_cmp_eq_f64_e64 s[0:1], 0, v[88:89]
	s_and_b64 s[0:1], vcc, s[0:1]
	v_cmp_eq_u32_e32 vcc, 0, v1
	s_and_b64 s[0:1], s[0:1], vcc
	v_cndmask_b32_e64 v1, v1, 15, s[0:1]
	v_cmp_eq_f64_e32 vcc, 0, v[90:91]
	v_cmp_eq_f64_e64 s[0:1], 0, v[92:93]
	;; [unrolled: 6-line block ×5, first 2 shown]
	s_and_b64 s[0:1], vcc, s[0:1]
	v_cmp_eq_u32_e32 vcc, 0, v1
	s_and_b64 s[0:1], s[0:1], vcc
	v_add_co_u32_e32 v78, vcc, s10, v78
	v_addc_co_u32_e32 v79, vcc, v80, v79, vcc
	global_load_dword v80, v[78:79], off
	v_cndmask_b32_e64 v1, v1, 19, s[0:1]
	v_cmp_ne_u32_e64 s[0:1], 0, v1
	s_waitcnt vmcnt(0)
	v_cmp_eq_u32_e32 vcc, 0, v80
	s_and_b64 s[0:1], vcc, s[0:1]
	s_and_b64 exec, exec, s[0:1]
	s_cbranch_execz .LBB37_173
; %bb.172:
	v_add_u32_e32 v1, s13, v1
	global_store_dword v[78:79], v1, off
.LBB37_173:
	s_or_b64 exec, exec, s[2:3]
	buffer_load_dword v74, off, s[20:23], 0 offset:72 ; 4-byte Folded Reload
	buffer_load_dword v75, off, s[20:23], 0 offset:76 ; 4-byte Folded Reload
	buffer_load_dword v82, off, s[20:23], 0 ; 4-byte Folded Reload
	buffer_load_dword v83, off, s[20:23], 0 offset:4 ; 4-byte Folded Reload
	buffer_load_dword v84, off, s[20:23], 0 offset:8 ; 4-byte Folded Reload
	;; [unrolled: 1-line block ×3, first 2 shown]
	v_cmp_lt_u32_e32 vcc, 18, v0
	v_mul_f64 v[78:79], v[94:95], v[52:53]
	v_mul_f64 v[80:81], v[96:97], v[52:53]
	v_fma_f64 v[66:67], v[96:97], v[50:51], v[78:79]
	s_waitcnt vmcnt(0)
	global_store_dwordx4 v[74:75], v[82:85], off
	buffer_load_dword v74, off, s[20:23], 0 offset:80 ; 4-byte Folded Reload
	s_nop 0
	buffer_load_dword v75, off, s[20:23], 0 offset:84 ; 4-byte Folded Reload
	s_waitcnt vmcnt(0)
	global_store_dwordx4 v[74:75], v[70:73], off
	global_store_dwordx4 v[110:111], v[114:117], off
	buffer_load_dword v68, off, s[20:23], 0 offset:288 ; 4-byte Folded Reload
	buffer_load_dword v69, off, s[20:23], 0 offset:292 ; 4-byte Folded Reload
	s_waitcnt vmcnt(0)
	global_store_dwordx4 v[68:69], v[62:65], off
	buffer_load_dword v64, off, s[20:23], 0 offset:280 ; 4-byte Folded Reload
	s_nop 0
	buffer_load_dword v65, off, s[20:23], 0 offset:284 ; 4-byte Folded Reload
	v_fma_f64 v[62:63], v[94:95], v[50:51], -v[80:81]
	s_waitcnt vmcnt(0)
	global_store_dwordx4 v[64:65], v[58:61], off
	global_store_dwordx4 v[120:121], v[54:57], off
	;; [unrolled: 1-line block ×8, first 2 shown]
	buffer_load_dword v0, off, s[20:23], 0 offset:16 ; 4-byte Folded Reload
	buffer_load_dword v1, off, s[20:23], 0 offset:20 ; 4-byte Folded Reload
	v_cndmask_b32_e32 v45, v53, v67, vcc
	v_cndmask_b32_e32 v44, v52, v66, vcc
	;; [unrolled: 1-line block ×4, first 2 shown]
	s_waitcnt vmcnt(0)
	global_store_dwordx4 v[0:1], v[22:25], off
	buffer_load_dword v0, off, s[20:23], 0 offset:24 ; 4-byte Folded Reload
	s_nop 0
	buffer_load_dword v1, off, s[20:23], 0 offset:28 ; 4-byte Folded Reload
	s_waitcnt vmcnt(0)
	global_store_dwordx4 v[0:1], v[18:21], off
	buffer_load_dword v0, off, s[20:23], 0 offset:32 ; 4-byte Folded Reload
	s_nop 0
	buffer_load_dword v1, off, s[20:23], 0 offset:36 ; 4-byte Folded Reload
	;; [unrolled: 5-line block ×6, first 2 shown]
	s_waitcnt vmcnt(0)
	global_store_dwordx4 v[0:1], v[42:45], off
.LBB37_174:
	s_endpgm
	.section	.rodata,"a",@progbits
	.p2align	6, 0x0
	.amdhsa_kernel _ZN9rocsolver6v33100L23getf2_npvt_small_kernelILi19E19rocblas_complex_numIdEiiPS3_EEvT1_T3_lS5_lPT2_S5_S5_
		.amdhsa_group_segment_fixed_size 0
		.amdhsa_private_segment_fixed_size 308
		.amdhsa_kernarg_size 312
		.amdhsa_user_sgpr_count 6
		.amdhsa_user_sgpr_private_segment_buffer 1
		.amdhsa_user_sgpr_dispatch_ptr 0
		.amdhsa_user_sgpr_queue_ptr 0
		.amdhsa_user_sgpr_kernarg_segment_ptr 1
		.amdhsa_user_sgpr_dispatch_id 0
		.amdhsa_user_sgpr_flat_scratch_init 0
		.amdhsa_user_sgpr_private_segment_size 0
		.amdhsa_uses_dynamic_stack 0
		.amdhsa_system_sgpr_private_segment_wavefront_offset 1
		.amdhsa_system_sgpr_workgroup_id_x 1
		.amdhsa_system_sgpr_workgroup_id_y 1
		.amdhsa_system_sgpr_workgroup_id_z 0
		.amdhsa_system_sgpr_workgroup_info 0
		.amdhsa_system_vgpr_workitem_id 1
		.amdhsa_next_free_vgpr 128
		.amdhsa_next_free_sgpr 24
		.amdhsa_reserve_vcc 1
		.amdhsa_reserve_flat_scratch 0
		.amdhsa_float_round_mode_32 0
		.amdhsa_float_round_mode_16_64 0
		.amdhsa_float_denorm_mode_32 3
		.amdhsa_float_denorm_mode_16_64 3
		.amdhsa_dx10_clamp 1
		.amdhsa_ieee_mode 1
		.amdhsa_fp16_overflow 0
		.amdhsa_exception_fp_ieee_invalid_op 0
		.amdhsa_exception_fp_denorm_src 0
		.amdhsa_exception_fp_ieee_div_zero 0
		.amdhsa_exception_fp_ieee_overflow 0
		.amdhsa_exception_fp_ieee_underflow 0
		.amdhsa_exception_fp_ieee_inexact 0
		.amdhsa_exception_int_div_zero 0
	.end_amdhsa_kernel
	.section	.text._ZN9rocsolver6v33100L23getf2_npvt_small_kernelILi19E19rocblas_complex_numIdEiiPS3_EEvT1_T3_lS5_lPT2_S5_S5_,"axG",@progbits,_ZN9rocsolver6v33100L23getf2_npvt_small_kernelILi19E19rocblas_complex_numIdEiiPS3_EEvT1_T3_lS5_lPT2_S5_S5_,comdat
.Lfunc_end37:
	.size	_ZN9rocsolver6v33100L23getf2_npvt_small_kernelILi19E19rocblas_complex_numIdEiiPS3_EEvT1_T3_lS5_lPT2_S5_S5_, .Lfunc_end37-_ZN9rocsolver6v33100L23getf2_npvt_small_kernelILi19E19rocblas_complex_numIdEiiPS3_EEvT1_T3_lS5_lPT2_S5_S5_
                                        ; -- End function
	.set _ZN9rocsolver6v33100L23getf2_npvt_small_kernelILi19E19rocblas_complex_numIdEiiPS3_EEvT1_T3_lS5_lPT2_S5_S5_.num_vgpr, 128
	.set _ZN9rocsolver6v33100L23getf2_npvt_small_kernelILi19E19rocblas_complex_numIdEiiPS3_EEvT1_T3_lS5_lPT2_S5_S5_.num_agpr, 0
	.set _ZN9rocsolver6v33100L23getf2_npvt_small_kernelILi19E19rocblas_complex_numIdEiiPS3_EEvT1_T3_lS5_lPT2_S5_S5_.numbered_sgpr, 24
	.set _ZN9rocsolver6v33100L23getf2_npvt_small_kernelILi19E19rocblas_complex_numIdEiiPS3_EEvT1_T3_lS5_lPT2_S5_S5_.num_named_barrier, 0
	.set _ZN9rocsolver6v33100L23getf2_npvt_small_kernelILi19E19rocblas_complex_numIdEiiPS3_EEvT1_T3_lS5_lPT2_S5_S5_.private_seg_size, 308
	.set _ZN9rocsolver6v33100L23getf2_npvt_small_kernelILi19E19rocblas_complex_numIdEiiPS3_EEvT1_T3_lS5_lPT2_S5_S5_.uses_vcc, 1
	.set _ZN9rocsolver6v33100L23getf2_npvt_small_kernelILi19E19rocblas_complex_numIdEiiPS3_EEvT1_T3_lS5_lPT2_S5_S5_.uses_flat_scratch, 0
	.set _ZN9rocsolver6v33100L23getf2_npvt_small_kernelILi19E19rocblas_complex_numIdEiiPS3_EEvT1_T3_lS5_lPT2_S5_S5_.has_dyn_sized_stack, 0
	.set _ZN9rocsolver6v33100L23getf2_npvt_small_kernelILi19E19rocblas_complex_numIdEiiPS3_EEvT1_T3_lS5_lPT2_S5_S5_.has_recursion, 0
	.set _ZN9rocsolver6v33100L23getf2_npvt_small_kernelILi19E19rocblas_complex_numIdEiiPS3_EEvT1_T3_lS5_lPT2_S5_S5_.has_indirect_call, 0
	.section	.AMDGPU.csdata,"",@progbits
; Kernel info:
; codeLenInByte = 26432
; TotalNumSgprs: 28
; NumVgprs: 128
; ScratchSize: 308
; MemoryBound: 1
; FloatMode: 240
; IeeeMode: 1
; LDSByteSize: 0 bytes/workgroup (compile time only)
; SGPRBlocks: 3
; VGPRBlocks: 31
; NumSGPRsForWavesPerEU: 28
; NumVGPRsForWavesPerEU: 128
; Occupancy: 2
; WaveLimiterHint : 0
; COMPUTE_PGM_RSRC2:SCRATCH_EN: 1
; COMPUTE_PGM_RSRC2:USER_SGPR: 6
; COMPUTE_PGM_RSRC2:TRAP_HANDLER: 0
; COMPUTE_PGM_RSRC2:TGID_X_EN: 1
; COMPUTE_PGM_RSRC2:TGID_Y_EN: 1
; COMPUTE_PGM_RSRC2:TGID_Z_EN: 0
; COMPUTE_PGM_RSRC2:TIDIG_COMP_CNT: 1
	.section	.text._ZN9rocsolver6v33100L18getf2_small_kernelILi20E19rocblas_complex_numIdEiiPS3_EEvT1_T3_lS5_lPS5_llPT2_S5_S5_S7_l,"axG",@progbits,_ZN9rocsolver6v33100L18getf2_small_kernelILi20E19rocblas_complex_numIdEiiPS3_EEvT1_T3_lS5_lPS5_llPT2_S5_S5_S7_l,comdat
	.globl	_ZN9rocsolver6v33100L18getf2_small_kernelILi20E19rocblas_complex_numIdEiiPS3_EEvT1_T3_lS5_lPS5_llPT2_S5_S5_S7_l ; -- Begin function _ZN9rocsolver6v33100L18getf2_small_kernelILi20E19rocblas_complex_numIdEiiPS3_EEvT1_T3_lS5_lPS5_llPT2_S5_S5_S7_l
	.p2align	8
	.type	_ZN9rocsolver6v33100L18getf2_small_kernelILi20E19rocblas_complex_numIdEiiPS3_EEvT1_T3_lS5_lPS5_llPT2_S5_S5_S7_l,@function
_ZN9rocsolver6v33100L18getf2_small_kernelILi20E19rocblas_complex_numIdEiiPS3_EEvT1_T3_lS5_lPS5_llPT2_S5_S5_S7_l: ; @_ZN9rocsolver6v33100L18getf2_small_kernelILi20E19rocblas_complex_numIdEiiPS3_EEvT1_T3_lS5_lPS5_llPT2_S5_S5_S7_l
; %bb.0:
	s_load_dword s0, s[4:5], 0x6c
	s_load_dwordx2 s[16:17], s[4:5], 0x48
	s_waitcnt lgkmcnt(0)
	s_lshr_b32 s0, s0, 16
	s_mul_i32 s7, s7, s0
	v_add_u32_e32 v86, s7, v1
	v_cmp_gt_i32_e32 vcc, s16, v86
	s_and_saveexec_b64 s[0:1], vcc
	s_cbranch_execz .LBB38_421
; %bb.1:
	s_load_dwordx4 s[0:3], s[4:5], 0x50
	v_mov_b32_e32 v88, 0
	v_ashrrev_i32_e32 v87, 31, v86
	v_mov_b32_e32 v89, 0
	s_waitcnt lgkmcnt(0)
	s_cmp_eq_u64 s[0:1], 0
	s_cselect_b64 s[18:19], -1, 0
	s_and_b64 vcc, exec, s[18:19]
	s_cbranch_vccnz .LBB38_3
; %bb.2:
	v_mul_lo_u32 v4, s3, v86
	v_mul_lo_u32 v5, s2, v87
	v_mad_u64_u32 v[2:3], s[2:3], s2, v86, 0
	v_add3_u32 v3, v3, v5, v4
	v_lshlrev_b64 v[2:3], 2, v[2:3]
	v_mov_b32_e32 v4, s1
	v_add_co_u32_e32 v88, vcc, s0, v2
	v_addc_co_u32_e32 v89, vcc, v4, v3, vcc
.LBB38_3:
	s_load_dwordx8 s[8:15], s[4:5], 0x20
	s_load_dwordx4 s[0:3], s[4:5], 0x8
	v_lshlrev_b32_e32 v92, 4, v0
	s_waitcnt lgkmcnt(0)
	v_mul_lo_u32 v4, s9, v86
	v_mul_lo_u32 v5, s8, v87
	v_mad_u64_u32 v[2:3], s[6:7], s8, v86, 0
	s_load_dword s6, s[4:5], 0x18
	s_load_dword s22, s[4:5], 0x0
	v_mov_b32_e32 v6, s1
	v_add3_u32 v3, v3, v5, v4
	v_lshlrev_b64 v[2:3], 4, v[2:3]
	s_waitcnt lgkmcnt(0)
	s_add_i32 s16, s6, s6
	v_add_co_u32_e32 v2, vcc, s0, v2
	v_addc_co_u32_e32 v3, vcc, v6, v3, vcc
	s_lshl_b64 s[0:1], s[2:3], 4
	v_mov_b32_e32 v4, s1
	v_add_co_u32_e32 v93, vcc, s0, v2
	v_add_u32_e32 v2, s16, v0
	v_addc_co_u32_e32 v94, vcc, v3, v4, vcc
	v_ashrrev_i32_e32 v3, 31, v2
	v_lshlrev_b64 v[3:4], 4, v[2:3]
	v_add_u32_e32 v5, s6, v2
	v_ashrrev_i32_e32 v6, 31, v5
	v_add_co_u32_e32 v3, vcc, v93, v3
	v_lshlrev_b64 v[6:7], 4, v[5:6]
	v_add_u32_e32 v8, s6, v5
	v_addc_co_u32_e32 v4, vcc, v94, v4, vcc
	v_ashrrev_i32_e32 v9, 31, v8
	v_add_co_u32_e32 v6, vcc, v93, v6
	v_lshlrev_b64 v[9:10], 4, v[8:9]
	v_add_u32_e32 v11, s6, v8
	v_addc_co_u32_e32 v7, vcc, v94, v7, vcc
	;; [unrolled: 5-line block ×6, first 2 shown]
	v_ashrrev_i32_e32 v24, 31, v23
	v_add_co_u32_e32 v21, vcc, v93, v21
	v_lshlrev_b64 v[24:25], 4, v[23:24]
	v_addc_co_u32_e32 v22, vcc, v94, v22, vcc
	v_add_co_u32_e32 v24, vcc, v93, v24
	v_add_u32_e32 v26, s6, v23
	v_addc_co_u32_e32 v25, vcc, v94, v25, vcc
	v_ashrrev_i32_e32 v27, 31, v26
	v_lshlrev_b64 v[27:28], 4, v[26:27]
	v_add_co_u32_e32 v29, vcc, v93, v92
	v_add_u32_e32 v31, s6, v26
	v_addc_co_u32_e32 v30, vcc, 0, v94, vcc
	v_ashrrev_i32_e32 v32, 31, v31
	v_add_co_u32_e32 v27, vcc, v93, v27
	v_lshlrev_b64 v[32:33], 4, v[31:32]
	v_add_u32_e32 v34, s6, v31
	v_addc_co_u32_e32 v28, vcc, v94, v28, vcc
	v_ashrrev_i32_e32 v35, 31, v34
	v_add_co_u32_e32 v32, vcc, v93, v32
	v_lshlrev_b64 v[35:36], 4, v[34:35]
	v_addc_co_u32_e32 v33, vcc, v94, v33, vcc
	v_add_u32_e32 v34, s6, v34
	v_add_co_u32_e32 v78, vcc, v93, v35
	v_ashrrev_i32_e32 v35, 31, v34
	v_addc_co_u32_e32 v79, vcc, v94, v36, vcc
	v_lshlrev_b64 v[35:36], 4, v[34:35]
	v_add_u32_e32 v34, s6, v34
	v_add_co_u32_e32 v80, vcc, v93, v35
	v_ashrrev_i32_e32 v35, 31, v34
	v_addc_co_u32_e32 v81, vcc, v94, v36, vcc
	v_lshlrev_b64 v[35:36], 4, v[34:35]
	v_add_u32_e32 v34, s6, v34
	v_add_co_u32_e32 v82, vcc, v93, v35
	v_ashrrev_i32_e32 v35, 31, v34
	v_addc_co_u32_e32 v83, vcc, v94, v36, vcc
	v_lshlrev_b64 v[35:36], 4, v[34:35]
	v_add_u32_e32 v34, s6, v34
	v_add_co_u32_e32 v84, vcc, v93, v35
	v_ashrrev_i32_e32 v35, 31, v34
	v_addc_co_u32_e32 v85, vcc, v94, v36, vcc
	v_lshlrev_b64 v[35:36], 4, v[34:35]
	v_add_u32_e32 v34, s6, v34
	v_add_co_u32_e32 v90, vcc, v93, v35
	v_ashrrev_i32_e32 v35, 31, v34
	v_addc_co_u32_e32 v91, vcc, v94, v36, vcc
	v_lshlrev_b64 v[35:36], 4, v[34:35]
	v_add_u32_e32 v34, s6, v34
	v_add_co_u32_e32 v95, vcc, v93, v35
	v_ashrrev_i32_e32 v35, 31, v34
	v_addc_co_u32_e32 v96, vcc, v94, v36, vcc
	v_lshlrev_b64 v[35:36], 4, v[34:35]
	v_add_u32_e32 v34, s6, v34
	v_add_co_u32_e32 v97, vcc, v93, v35
	v_ashrrev_i32_e32 v35, 31, v34
	v_lshlrev_b64 v[34:35], 4, v[34:35]
	v_addc_co_u32_e32 v98, vcc, v94, v36, vcc
	v_add_co_u32_e32 v99, vcc, v93, v34
	s_ashr_i32 s7, s6, 31
	v_addc_co_u32_e32 v100, vcc, v94, v35, vcc
	s_lshl_b64 s[2:3], s[6:7], 4
	v_mov_b32_e32 v2, s3
	v_add_co_u32_e32 v34, vcc, s2, v29
	v_addc_co_u32_e32 v35, vcc, v30, v2, vcc
	global_load_dwordx4 v[74:77], v[29:30], off
	global_load_dwordx4 v[70:73], v[34:35], off
	;; [unrolled: 1-line block ×3, first 2 shown]
                                        ; kill: killed $vgpr29 killed $vgpr30
                                        ; kill: killed $vgpr3 killed $vgpr4
                                        ; kill: killed $vgpr34 killed $vgpr35
	global_load_dwordx4 v[62:65], v[6:7], off
	global_load_dwordx4 v[58:61], v[9:10], off
                                        ; kill: killed $vgpr9 killed $vgpr10
                                        ; kill: killed $vgpr6 killed $vgpr7
	global_load_dwordx4 v[54:57], v[12:13], off
	global_load_dwordx4 v[50:53], v[15:16], off
	global_load_dwordx4 v[46:49], v[18:19], off
	global_load_dwordx4 v[42:45], v[21:22], off
	global_load_dwordx4 v[38:41], v[24:25], off
	global_load_dwordx4 v[34:37], v[27:28], off
	s_nop 0
	global_load_dwordx4 v[30:33], v[32:33], off
	s_nop 0
	global_load_dwordx4 v[26:29], v[78:79], off
	global_load_dwordx4 v[22:25], v[80:81], off
	;; [unrolled: 1-line block ×8, first 2 shown]
	s_max_i32 s0, s22, 20
	v_mul_lo_u32 v90, s0, v1
	s_load_dwordx2 s[4:5], s[4:5], 0x40
	s_cmp_lt_i32 s22, 2
	v_lshl_add_u32 v1, v90, 4, 0
	v_add_u32_e32 v82, v1, v92
	v_lshlrev_b32_e32 v96, 4, v90
	v_mov_b32_e32 v90, 0
	s_waitcnt vmcnt(19)
	ds_write2_b64 v82, v[74:75], v[76:77] offset1:1
	s_waitcnt vmcnt(0) lgkmcnt(0)
	s_barrier
	ds_read2_b64 v[82:85], v1 offset1:1
	s_cbranch_scc1 .LBB38_6
; %bb.4:
	v_add3_u32 v91, v96, 0, 16
	s_mov_b32 s7, 1
	v_mov_b32_e32 v90, 0
.LBB38_5:                               ; =>This Inner Loop Header: Depth=1
	s_waitcnt lgkmcnt(0)
	v_cmp_gt_f64_e32 vcc, 0, v[84:85]
	v_cmp_gt_f64_e64 s[0:1], 0, v[82:83]
	ds_read2_b64 v[97:100], v91 offset1:1
	v_xor_b32_e32 v92, 0x80000000, v83
	v_xor_b32_e32 v95, 0x80000000, v85
	v_mov_b32_e32 v101, v82
	v_mov_b32_e32 v103, v84
	s_waitcnt lgkmcnt(0)
	v_mov_b32_e32 v105, v99
	v_cndmask_b32_e32 v104, v85, v95, vcc
	v_cndmask_b32_e64 v102, v83, v92, s[0:1]
	v_cmp_gt_f64_e32 vcc, 0, v[99:100]
	v_cmp_gt_f64_e64 s[0:1], 0, v[97:98]
	v_xor_b32_e32 v92, 0x80000000, v98
	v_xor_b32_e32 v95, 0x80000000, v100
	v_add_f64 v[101:102], v[101:102], v[103:104]
	v_mov_b32_e32 v103, v97
	v_add_u32_e32 v91, 16, v91
	v_cndmask_b32_e32 v106, v100, v95, vcc
	v_cndmask_b32_e64 v104, v98, v92, s[0:1]
	v_add_f64 v[103:104], v[103:104], v[105:106]
	v_mov_b32_e32 v92, s7
	s_add_i32 s7, s7, 1
	s_cmp_eq_u32 s22, s7
	v_cmp_lt_f64_e32 vcc, v[101:102], v[103:104]
	v_cndmask_b32_e32 v83, v83, v98, vcc
	v_cndmask_b32_e32 v82, v82, v97, vcc
	;; [unrolled: 1-line block ×5, first 2 shown]
	s_cbranch_scc0 .LBB38_5
.LBB38_6:
	s_waitcnt lgkmcnt(0)
	v_cmp_neq_f64_e32 vcc, 0, v[82:83]
	v_cmp_neq_f64_e64 s[0:1], 0, v[84:85]
	v_mov_b32_e32 v95, 1
	v_mov_b32_e32 v97, 1
	s_or_b64 s[8:9], vcc, s[0:1]
	s_and_saveexec_b64 s[0:1], s[8:9]
	s_cbranch_execz .LBB38_12
; %bb.7:
	v_cmp_ngt_f64_e64 s[8:9], |v[82:83]|, |v[84:85]|
	s_and_saveexec_b64 s[20:21], s[8:9]
	s_xor_b64 s[8:9], exec, s[20:21]
	s_cbranch_execz .LBB38_9
; %bb.8:
	v_div_scale_f64 v[91:92], s[20:21], v[84:85], v[84:85], v[82:83]
	v_rcp_f64_e32 v[97:98], v[91:92]
	v_fma_f64 v[99:100], -v[91:92], v[97:98], 1.0
	v_fma_f64 v[97:98], v[97:98], v[99:100], v[97:98]
	v_div_scale_f64 v[99:100], vcc, v[82:83], v[84:85], v[82:83]
	v_fma_f64 v[101:102], -v[91:92], v[97:98], 1.0
	v_fma_f64 v[97:98], v[97:98], v[101:102], v[97:98]
	v_mul_f64 v[101:102], v[99:100], v[97:98]
	v_fma_f64 v[91:92], -v[91:92], v[101:102], v[99:100]
	v_div_fmas_f64 v[91:92], v[91:92], v[97:98], v[101:102]
	v_div_fixup_f64 v[91:92], v[91:92], v[84:85], v[82:83]
	v_fma_f64 v[82:83], v[82:83], v[91:92], v[84:85]
	v_div_scale_f64 v[84:85], s[20:21], v[82:83], v[82:83], 1.0
	v_div_scale_f64 v[101:102], vcc, 1.0, v[82:83], 1.0
	v_rcp_f64_e32 v[97:98], v[84:85]
	v_fma_f64 v[99:100], -v[84:85], v[97:98], 1.0
	v_fma_f64 v[97:98], v[97:98], v[99:100], v[97:98]
	v_fma_f64 v[99:100], -v[84:85], v[97:98], 1.0
	v_fma_f64 v[97:98], v[97:98], v[99:100], v[97:98]
	v_mul_f64 v[99:100], v[101:102], v[97:98]
	v_fma_f64 v[84:85], -v[84:85], v[99:100], v[101:102]
	v_div_fmas_f64 v[84:85], v[84:85], v[97:98], v[99:100]
	v_div_fixup_f64 v[84:85], v[84:85], v[82:83], 1.0
	v_mul_f64 v[82:83], v[91:92], v[84:85]
	v_xor_b32_e32 v85, 0x80000000, v85
.LBB38_9:
	s_andn2_saveexec_b64 s[8:9], s[8:9]
	s_cbranch_execz .LBB38_11
; %bb.10:
	v_div_scale_f64 v[91:92], s[20:21], v[82:83], v[82:83], v[84:85]
	v_rcp_f64_e32 v[97:98], v[91:92]
	v_fma_f64 v[99:100], -v[91:92], v[97:98], 1.0
	v_fma_f64 v[97:98], v[97:98], v[99:100], v[97:98]
	v_div_scale_f64 v[99:100], vcc, v[84:85], v[82:83], v[84:85]
	v_fma_f64 v[101:102], -v[91:92], v[97:98], 1.0
	v_fma_f64 v[97:98], v[97:98], v[101:102], v[97:98]
	v_mul_f64 v[101:102], v[99:100], v[97:98]
	v_fma_f64 v[91:92], -v[91:92], v[101:102], v[99:100]
	v_div_fmas_f64 v[91:92], v[91:92], v[97:98], v[101:102]
	v_div_fixup_f64 v[91:92], v[91:92], v[82:83], v[84:85]
	v_fma_f64 v[82:83], v[84:85], v[91:92], v[82:83]
	v_div_scale_f64 v[84:85], s[20:21], v[82:83], v[82:83], 1.0
	v_div_scale_f64 v[101:102], vcc, 1.0, v[82:83], 1.0
	v_rcp_f64_e32 v[97:98], v[84:85]
	v_fma_f64 v[99:100], -v[84:85], v[97:98], 1.0
	v_fma_f64 v[97:98], v[97:98], v[99:100], v[97:98]
	v_fma_f64 v[99:100], -v[84:85], v[97:98], 1.0
	v_fma_f64 v[97:98], v[97:98], v[99:100], v[97:98]
	v_mul_f64 v[99:100], v[101:102], v[97:98]
	v_fma_f64 v[84:85], -v[84:85], v[99:100], v[101:102]
	v_div_fmas_f64 v[84:85], v[84:85], v[97:98], v[99:100]
	v_div_fixup_f64 v[82:83], v[84:85], v[82:83], 1.0
	v_mul_f64 v[84:85], v[91:92], -v[82:83]
.LBB38_11:
	s_or_b64 exec, exec, s[8:9]
	v_mov_b32_e32 v97, 0
	v_mov_b32_e32 v95, 2
.LBB38_12:
	s_or_b64 exec, exec, s[0:1]
	v_cmp_ne_u32_e32 vcc, v0, v90
	s_and_saveexec_b64 s[0:1], vcc
	s_xor_b64 s[0:1], exec, s[0:1]
	s_cbranch_execz .LBB38_18
; %bb.13:
	v_cmp_eq_u32_e32 vcc, 0, v0
	s_and_saveexec_b64 s[8:9], vcc
	s_cbranch_execz .LBB38_17
; %bb.14:
	v_cmp_ne_u32_e32 vcc, 0, v90
	s_xor_b64 s[20:21], s[18:19], -1
	s_and_b64 s[24:25], s[20:21], vcc
	s_and_saveexec_b64 s[20:21], s[24:25]
	s_cbranch_execz .LBB38_16
; %bb.15:
	v_ashrrev_i32_e32 v91, 31, v90
	v_lshlrev_b64 v[91:92], 2, v[90:91]
	v_add_co_u32_e32 v91, vcc, v88, v91
	v_addc_co_u32_e32 v92, vcc, v89, v92, vcc
	global_load_dword v0, v[91:92], off
	global_load_dword v98, v[88:89], off
	s_waitcnt vmcnt(1)
	global_store_dword v[88:89], v0, off
	s_waitcnt vmcnt(1)
	global_store_dword v[91:92], v98, off
.LBB38_16:
	s_or_b64 exec, exec, s[20:21]
	v_mov_b32_e32 v0, v90
.LBB38_17:
	s_or_b64 exec, exec, s[8:9]
.LBB38_18:
	s_or_saveexec_b64 s[0:1], s[0:1]
	v_mov_b32_e32 v92, v0
	s_xor_b64 exec, exec, s[0:1]
	s_cbranch_execz .LBB38_20
; %bb.19:
	v_mov_b32_e32 v92, 0
	ds_write2_b64 v1, v[70:71], v[72:73] offset0:2 offset1:3
	ds_write2_b64 v1, v[66:67], v[68:69] offset0:4 offset1:5
	;; [unrolled: 1-line block ×19, first 2 shown]
.LBB38_20:
	s_or_b64 exec, exec, s[0:1]
	v_cmp_lt_i32_e32 vcc, 0, v92
	s_waitcnt vmcnt(0) lgkmcnt(0)
	s_barrier
	s_and_saveexec_b64 s[0:1], vcc
	s_cbranch_execz .LBB38_22
; %bb.21:
	v_mul_f64 v[90:91], v[84:85], v[76:77]
	v_mul_f64 v[76:77], v[82:83], v[76:77]
	v_fma_f64 v[90:91], v[82:83], v[74:75], -v[90:91]
	v_fma_f64 v[76:77], v[84:85], v[74:75], v[76:77]
	ds_read2_b64 v[82:85], v1 offset0:2 offset1:3
	s_waitcnt lgkmcnt(0)
	v_mul_f64 v[74:75], v[84:85], v[76:77]
	v_fma_f64 v[74:75], v[82:83], v[90:91], -v[74:75]
	v_mul_f64 v[82:83], v[82:83], v[76:77]
	v_add_f64 v[70:71], v[70:71], -v[74:75]
	v_fma_f64 v[82:83], v[84:85], v[90:91], v[82:83]
	v_add_f64 v[72:73], v[72:73], -v[82:83]
	ds_read2_b64 v[82:85], v1 offset0:4 offset1:5
	s_waitcnt lgkmcnt(0)
	v_mul_f64 v[74:75], v[84:85], v[76:77]
	v_fma_f64 v[74:75], v[82:83], v[90:91], -v[74:75]
	v_mul_f64 v[82:83], v[82:83], v[76:77]
	v_add_f64 v[66:67], v[66:67], -v[74:75]
	v_fma_f64 v[82:83], v[84:85], v[90:91], v[82:83]
	v_add_f64 v[68:69], v[68:69], -v[82:83]
	;; [unrolled: 8-line block ×18, first 2 shown]
	ds_read2_b64 v[82:85], v1 offset0:38 offset1:39
	s_waitcnt lgkmcnt(0)
	v_mul_f64 v[74:75], v[84:85], v[76:77]
	v_fma_f64 v[74:75], v[82:83], v[90:91], -v[74:75]
	v_mul_f64 v[82:83], v[82:83], v[76:77]
	v_add_f64 v[78:79], v[78:79], -v[74:75]
	v_fma_f64 v[82:83], v[84:85], v[90:91], v[82:83]
	v_mov_b32_e32 v74, v90
	v_mov_b32_e32 v75, v91
	v_add_f64 v[80:81], v[80:81], -v[82:83]
.LBB38_22:
	s_or_b64 exec, exec, s[0:1]
	v_lshl_add_u32 v82, v92, 4, v1
	s_barrier
	ds_write2_b64 v82, v[70:71], v[72:73] offset1:1
	s_waitcnt lgkmcnt(0)
	s_barrier
	ds_read2_b64 v[82:85], v1 offset0:2 offset1:3
	s_cmp_lt_i32 s22, 3
	v_mov_b32_e32 v90, 1
	s_cbranch_scc1 .LBB38_25
; %bb.23:
	v_add3_u32 v91, v96, 0, 32
	s_mov_b32 s7, 2
	v_mov_b32_e32 v90, 1
.LBB38_24:                              ; =>This Inner Loop Header: Depth=1
	s_waitcnt lgkmcnt(0)
	v_cmp_gt_f64_e32 vcc, 0, v[84:85]
	v_cmp_gt_f64_e64 s[0:1], 0, v[82:83]
	ds_read2_b64 v[98:101], v91 offset1:1
	v_xor_b32_e32 v103, 0x80000000, v83
	v_xor_b32_e32 v105, 0x80000000, v85
	v_mov_b32_e32 v102, v82
	v_mov_b32_e32 v104, v84
	s_waitcnt lgkmcnt(0)
	v_xor_b32_e32 v107, 0x80000000, v101
	v_cndmask_b32_e32 v105, v85, v105, vcc
	v_cndmask_b32_e64 v103, v83, v103, s[0:1]
	v_cmp_gt_f64_e32 vcc, 0, v[100:101]
	v_cmp_gt_f64_e64 s[0:1], 0, v[98:99]
	v_add_f64 v[102:103], v[102:103], v[104:105]
	v_xor_b32_e32 v105, 0x80000000, v99
	v_mov_b32_e32 v104, v98
	v_mov_b32_e32 v106, v100
	v_add_u32_e32 v91, 16, v91
	v_cndmask_b32_e32 v107, v101, v107, vcc
	v_cndmask_b32_e64 v105, v99, v105, s[0:1]
	v_add_f64 v[104:105], v[104:105], v[106:107]
	v_mov_b32_e32 v106, s7
	s_add_i32 s7, s7, 1
	s_cmp_lg_u32 s22, s7
	v_cmp_lt_f64_e32 vcc, v[102:103], v[104:105]
	v_cndmask_b32_e32 v83, v83, v99, vcc
	v_cndmask_b32_e32 v82, v82, v98, vcc
	;; [unrolled: 1-line block ×5, first 2 shown]
	s_cbranch_scc1 .LBB38_24
.LBB38_25:
	s_waitcnt lgkmcnt(0)
	v_cmp_neq_f64_e32 vcc, 0, v[82:83]
	v_cmp_neq_f64_e64 s[0:1], 0, v[84:85]
	s_or_b64 s[8:9], vcc, s[0:1]
	s_and_saveexec_b64 s[0:1], s[8:9]
	s_cbranch_execz .LBB38_31
; %bb.26:
	v_cmp_ngt_f64_e64 s[8:9], |v[82:83]|, |v[84:85]|
	s_and_saveexec_b64 s[20:21], s[8:9]
	s_xor_b64 s[8:9], exec, s[20:21]
	s_cbranch_execz .LBB38_28
; %bb.27:
	v_div_scale_f64 v[98:99], s[20:21], v[84:85], v[84:85], v[82:83]
	v_rcp_f64_e32 v[100:101], v[98:99]
	v_fma_f64 v[102:103], -v[98:99], v[100:101], 1.0
	v_fma_f64 v[100:101], v[100:101], v[102:103], v[100:101]
	v_div_scale_f64 v[102:103], vcc, v[82:83], v[84:85], v[82:83]
	v_fma_f64 v[104:105], -v[98:99], v[100:101], 1.0
	v_fma_f64 v[100:101], v[100:101], v[104:105], v[100:101]
	v_mul_f64 v[104:105], v[102:103], v[100:101]
	v_fma_f64 v[98:99], -v[98:99], v[104:105], v[102:103]
	v_div_fmas_f64 v[98:99], v[98:99], v[100:101], v[104:105]
	v_div_fixup_f64 v[98:99], v[98:99], v[84:85], v[82:83]
	v_fma_f64 v[82:83], v[82:83], v[98:99], v[84:85]
	v_div_scale_f64 v[84:85], s[20:21], v[82:83], v[82:83], 1.0
	v_div_scale_f64 v[104:105], vcc, 1.0, v[82:83], 1.0
	v_rcp_f64_e32 v[100:101], v[84:85]
	v_fma_f64 v[102:103], -v[84:85], v[100:101], 1.0
	v_fma_f64 v[100:101], v[100:101], v[102:103], v[100:101]
	v_fma_f64 v[102:103], -v[84:85], v[100:101], 1.0
	v_fma_f64 v[100:101], v[100:101], v[102:103], v[100:101]
	v_mul_f64 v[102:103], v[104:105], v[100:101]
	v_fma_f64 v[84:85], -v[84:85], v[102:103], v[104:105]
	v_div_fmas_f64 v[84:85], v[84:85], v[100:101], v[102:103]
	v_div_fixup_f64 v[84:85], v[84:85], v[82:83], 1.0
	v_mul_f64 v[82:83], v[98:99], v[84:85]
	v_xor_b32_e32 v85, 0x80000000, v85
.LBB38_28:
	s_andn2_saveexec_b64 s[8:9], s[8:9]
	s_cbranch_execz .LBB38_30
; %bb.29:
	v_div_scale_f64 v[98:99], s[20:21], v[82:83], v[82:83], v[84:85]
	v_rcp_f64_e32 v[100:101], v[98:99]
	v_fma_f64 v[102:103], -v[98:99], v[100:101], 1.0
	v_fma_f64 v[100:101], v[100:101], v[102:103], v[100:101]
	v_div_scale_f64 v[102:103], vcc, v[84:85], v[82:83], v[84:85]
	v_fma_f64 v[104:105], -v[98:99], v[100:101], 1.0
	v_fma_f64 v[100:101], v[100:101], v[104:105], v[100:101]
	v_mul_f64 v[104:105], v[102:103], v[100:101]
	v_fma_f64 v[98:99], -v[98:99], v[104:105], v[102:103]
	v_div_fmas_f64 v[98:99], v[98:99], v[100:101], v[104:105]
	v_div_fixup_f64 v[98:99], v[98:99], v[82:83], v[84:85]
	v_fma_f64 v[82:83], v[84:85], v[98:99], v[82:83]
	v_div_scale_f64 v[84:85], s[20:21], v[82:83], v[82:83], 1.0
	v_div_scale_f64 v[104:105], vcc, 1.0, v[82:83], 1.0
	v_rcp_f64_e32 v[100:101], v[84:85]
	v_fma_f64 v[102:103], -v[84:85], v[100:101], 1.0
	v_fma_f64 v[100:101], v[100:101], v[102:103], v[100:101]
	v_fma_f64 v[102:103], -v[84:85], v[100:101], 1.0
	v_fma_f64 v[100:101], v[100:101], v[102:103], v[100:101]
	v_mul_f64 v[102:103], v[104:105], v[100:101]
	v_fma_f64 v[84:85], -v[84:85], v[102:103], v[104:105]
	v_div_fmas_f64 v[84:85], v[84:85], v[100:101], v[102:103]
	v_div_fixup_f64 v[82:83], v[84:85], v[82:83], 1.0
	v_mul_f64 v[84:85], v[98:99], -v[82:83]
.LBB38_30:
	s_or_b64 exec, exec, s[8:9]
	v_mov_b32_e32 v95, v97
.LBB38_31:
	s_or_b64 exec, exec, s[0:1]
	v_cmp_ne_u32_e32 vcc, v92, v90
	s_and_saveexec_b64 s[0:1], vcc
	s_xor_b64 s[0:1], exec, s[0:1]
	s_cbranch_execz .LBB38_37
; %bb.32:
	v_cmp_eq_u32_e32 vcc, 1, v92
	s_and_saveexec_b64 s[8:9], vcc
	s_cbranch_execz .LBB38_36
; %bb.33:
	v_cmp_ne_u32_e32 vcc, 1, v90
	s_xor_b64 s[20:21], s[18:19], -1
	s_and_b64 s[24:25], s[20:21], vcc
	s_and_saveexec_b64 s[20:21], s[24:25]
	s_cbranch_execz .LBB38_35
; %bb.34:
	v_ashrrev_i32_e32 v91, 31, v90
	v_lshlrev_b64 v[91:92], 2, v[90:91]
	v_add_co_u32_e32 v91, vcc, v88, v91
	v_addc_co_u32_e32 v92, vcc, v89, v92, vcc
	global_load_dword v0, v[91:92], off
	global_load_dword v97, v[88:89], off offset:4
	s_waitcnt vmcnt(1)
	global_store_dword v[88:89], v0, off offset:4
	s_waitcnt vmcnt(1)
	global_store_dword v[91:92], v97, off
.LBB38_35:
	s_or_b64 exec, exec, s[20:21]
	v_mov_b32_e32 v92, v90
	v_mov_b32_e32 v0, v90
.LBB38_36:
	s_or_b64 exec, exec, s[8:9]
.LBB38_37:
	s_andn2_saveexec_b64 s[0:1], s[0:1]
	s_cbranch_execz .LBB38_39
; %bb.38:
	v_mov_b32_e32 v92, 1
	ds_write2_b64 v1, v[66:67], v[68:69] offset0:4 offset1:5
	ds_write2_b64 v1, v[62:63], v[64:65] offset0:6 offset1:7
	;; [unrolled: 1-line block ×18, first 2 shown]
.LBB38_39:
	s_or_b64 exec, exec, s[0:1]
	v_cmp_lt_i32_e32 vcc, 1, v92
	s_waitcnt vmcnt(0) lgkmcnt(0)
	s_barrier
	s_and_saveexec_b64 s[0:1], vcc
	s_cbranch_execz .LBB38_41
; %bb.40:
	v_mul_f64 v[90:91], v[84:85], v[72:73]
	v_mul_f64 v[72:73], v[82:83], v[72:73]
	v_fma_f64 v[90:91], v[82:83], v[70:71], -v[90:91]
	v_fma_f64 v[72:73], v[84:85], v[70:71], v[72:73]
	ds_read2_b64 v[82:85], v1 offset0:4 offset1:5
	s_waitcnt lgkmcnt(0)
	v_mul_f64 v[70:71], v[84:85], v[72:73]
	v_fma_f64 v[70:71], v[82:83], v[90:91], -v[70:71]
	v_mul_f64 v[82:83], v[82:83], v[72:73]
	v_add_f64 v[66:67], v[66:67], -v[70:71]
	v_fma_f64 v[82:83], v[84:85], v[90:91], v[82:83]
	v_add_f64 v[68:69], v[68:69], -v[82:83]
	ds_read2_b64 v[82:85], v1 offset0:6 offset1:7
	s_waitcnt lgkmcnt(0)
	v_mul_f64 v[70:71], v[84:85], v[72:73]
	v_fma_f64 v[70:71], v[82:83], v[90:91], -v[70:71]
	v_mul_f64 v[82:83], v[82:83], v[72:73]
	v_add_f64 v[62:63], v[62:63], -v[70:71]
	v_fma_f64 v[82:83], v[84:85], v[90:91], v[82:83]
	v_add_f64 v[64:65], v[64:65], -v[82:83]
	;; [unrolled: 8-line block ×17, first 2 shown]
	ds_read2_b64 v[82:85], v1 offset0:38 offset1:39
	s_waitcnt lgkmcnt(0)
	v_mul_f64 v[70:71], v[84:85], v[72:73]
	v_fma_f64 v[70:71], v[82:83], v[90:91], -v[70:71]
	v_mul_f64 v[82:83], v[82:83], v[72:73]
	v_add_f64 v[78:79], v[78:79], -v[70:71]
	v_fma_f64 v[82:83], v[84:85], v[90:91], v[82:83]
	v_mov_b32_e32 v70, v90
	v_mov_b32_e32 v71, v91
	v_add_f64 v[80:81], v[80:81], -v[82:83]
.LBB38_41:
	s_or_b64 exec, exec, s[0:1]
	v_lshl_add_u32 v82, v92, 4, v1
	s_barrier
	ds_write2_b64 v82, v[66:67], v[68:69] offset1:1
	s_waitcnt lgkmcnt(0)
	s_barrier
	ds_read2_b64 v[82:85], v1 offset0:4 offset1:5
	s_cmp_lt_i32 s22, 4
	v_mov_b32_e32 v90, 2
	s_cbranch_scc1 .LBB38_44
; %bb.42:
	v_add3_u32 v91, v96, 0, 48
	s_mov_b32 s7, 3
	v_mov_b32_e32 v90, 2
.LBB38_43:                              ; =>This Inner Loop Header: Depth=1
	s_waitcnt lgkmcnt(0)
	v_cmp_gt_f64_e32 vcc, 0, v[84:85]
	v_cmp_gt_f64_e64 s[0:1], 0, v[82:83]
	ds_read2_b64 v[97:100], v91 offset1:1
	v_xor_b32_e32 v102, 0x80000000, v83
	v_xor_b32_e32 v104, 0x80000000, v85
	v_mov_b32_e32 v101, v82
	v_mov_b32_e32 v103, v84
	s_waitcnt lgkmcnt(0)
	v_xor_b32_e32 v106, 0x80000000, v100
	v_cndmask_b32_e32 v104, v85, v104, vcc
	v_cndmask_b32_e64 v102, v83, v102, s[0:1]
	v_cmp_gt_f64_e32 vcc, 0, v[99:100]
	v_cmp_gt_f64_e64 s[0:1], 0, v[97:98]
	v_add_f64 v[101:102], v[101:102], v[103:104]
	v_xor_b32_e32 v104, 0x80000000, v98
	v_mov_b32_e32 v103, v97
	v_mov_b32_e32 v105, v99
	v_add_u32_e32 v91, 16, v91
	v_cndmask_b32_e32 v106, v100, v106, vcc
	v_cndmask_b32_e64 v104, v98, v104, s[0:1]
	v_add_f64 v[103:104], v[103:104], v[105:106]
	v_mov_b32_e32 v105, s7
	s_add_i32 s7, s7, 1
	s_cmp_lg_u32 s22, s7
	v_cmp_lt_f64_e32 vcc, v[101:102], v[103:104]
	v_cndmask_b32_e32 v83, v83, v98, vcc
	v_cndmask_b32_e32 v82, v82, v97, vcc
	;; [unrolled: 1-line block ×5, first 2 shown]
	s_cbranch_scc1 .LBB38_43
.LBB38_44:
	s_waitcnt lgkmcnt(0)
	v_cmp_eq_f64_e32 vcc, 0, v[82:83]
	v_cmp_eq_f64_e64 s[0:1], 0, v[84:85]
	s_and_b64 s[0:1], vcc, s[0:1]
	s_and_saveexec_b64 s[8:9], s[0:1]
	s_xor_b64 s[0:1], exec, s[8:9]
; %bb.45:
	v_cmp_ne_u32_e32 vcc, 0, v95
	v_cndmask_b32_e32 v95, 3, v95, vcc
; %bb.46:
	s_andn2_saveexec_b64 s[0:1], s[0:1]
	s_cbranch_execz .LBB38_52
; %bb.47:
	v_cmp_ngt_f64_e64 s[8:9], |v[82:83]|, |v[84:85]|
	s_and_saveexec_b64 s[20:21], s[8:9]
	s_xor_b64 s[8:9], exec, s[20:21]
	s_cbranch_execz .LBB38_49
; %bb.48:
	v_div_scale_f64 v[97:98], s[20:21], v[84:85], v[84:85], v[82:83]
	v_rcp_f64_e32 v[99:100], v[97:98]
	v_fma_f64 v[101:102], -v[97:98], v[99:100], 1.0
	v_fma_f64 v[99:100], v[99:100], v[101:102], v[99:100]
	v_div_scale_f64 v[101:102], vcc, v[82:83], v[84:85], v[82:83]
	v_fma_f64 v[103:104], -v[97:98], v[99:100], 1.0
	v_fma_f64 v[99:100], v[99:100], v[103:104], v[99:100]
	v_mul_f64 v[103:104], v[101:102], v[99:100]
	v_fma_f64 v[97:98], -v[97:98], v[103:104], v[101:102]
	v_div_fmas_f64 v[97:98], v[97:98], v[99:100], v[103:104]
	v_div_fixup_f64 v[97:98], v[97:98], v[84:85], v[82:83]
	v_fma_f64 v[82:83], v[82:83], v[97:98], v[84:85]
	v_div_scale_f64 v[84:85], s[20:21], v[82:83], v[82:83], 1.0
	v_div_scale_f64 v[103:104], vcc, 1.0, v[82:83], 1.0
	v_rcp_f64_e32 v[99:100], v[84:85]
	v_fma_f64 v[101:102], -v[84:85], v[99:100], 1.0
	v_fma_f64 v[99:100], v[99:100], v[101:102], v[99:100]
	v_fma_f64 v[101:102], -v[84:85], v[99:100], 1.0
	v_fma_f64 v[99:100], v[99:100], v[101:102], v[99:100]
	v_mul_f64 v[101:102], v[103:104], v[99:100]
	v_fma_f64 v[84:85], -v[84:85], v[101:102], v[103:104]
	v_div_fmas_f64 v[84:85], v[84:85], v[99:100], v[101:102]
	v_div_fixup_f64 v[84:85], v[84:85], v[82:83], 1.0
	v_mul_f64 v[82:83], v[97:98], v[84:85]
	v_xor_b32_e32 v85, 0x80000000, v85
.LBB38_49:
	s_andn2_saveexec_b64 s[8:9], s[8:9]
	s_cbranch_execz .LBB38_51
; %bb.50:
	v_div_scale_f64 v[97:98], s[20:21], v[82:83], v[82:83], v[84:85]
	v_rcp_f64_e32 v[99:100], v[97:98]
	v_fma_f64 v[101:102], -v[97:98], v[99:100], 1.0
	v_fma_f64 v[99:100], v[99:100], v[101:102], v[99:100]
	v_div_scale_f64 v[101:102], vcc, v[84:85], v[82:83], v[84:85]
	v_fma_f64 v[103:104], -v[97:98], v[99:100], 1.0
	v_fma_f64 v[99:100], v[99:100], v[103:104], v[99:100]
	v_mul_f64 v[103:104], v[101:102], v[99:100]
	v_fma_f64 v[97:98], -v[97:98], v[103:104], v[101:102]
	v_div_fmas_f64 v[97:98], v[97:98], v[99:100], v[103:104]
	v_div_fixup_f64 v[97:98], v[97:98], v[82:83], v[84:85]
	v_fma_f64 v[82:83], v[84:85], v[97:98], v[82:83]
	v_div_scale_f64 v[84:85], s[20:21], v[82:83], v[82:83], 1.0
	v_div_scale_f64 v[103:104], vcc, 1.0, v[82:83], 1.0
	v_rcp_f64_e32 v[99:100], v[84:85]
	v_fma_f64 v[101:102], -v[84:85], v[99:100], 1.0
	v_fma_f64 v[99:100], v[99:100], v[101:102], v[99:100]
	v_fma_f64 v[101:102], -v[84:85], v[99:100], 1.0
	v_fma_f64 v[99:100], v[99:100], v[101:102], v[99:100]
	v_mul_f64 v[101:102], v[103:104], v[99:100]
	v_fma_f64 v[84:85], -v[84:85], v[101:102], v[103:104]
	v_div_fmas_f64 v[84:85], v[84:85], v[99:100], v[101:102]
	v_div_fixup_f64 v[82:83], v[84:85], v[82:83], 1.0
	v_mul_f64 v[84:85], v[97:98], -v[82:83]
.LBB38_51:
	s_or_b64 exec, exec, s[8:9]
.LBB38_52:
	s_or_b64 exec, exec, s[0:1]
	v_cmp_ne_u32_e32 vcc, v92, v90
	s_and_saveexec_b64 s[0:1], vcc
	s_xor_b64 s[0:1], exec, s[0:1]
	s_cbranch_execz .LBB38_58
; %bb.53:
	v_cmp_eq_u32_e32 vcc, 2, v92
	s_and_saveexec_b64 s[8:9], vcc
	s_cbranch_execz .LBB38_57
; %bb.54:
	v_cmp_ne_u32_e32 vcc, 2, v90
	s_xor_b64 s[20:21], s[18:19], -1
	s_and_b64 s[24:25], s[20:21], vcc
	s_and_saveexec_b64 s[20:21], s[24:25]
	s_cbranch_execz .LBB38_56
; %bb.55:
	v_ashrrev_i32_e32 v91, 31, v90
	v_lshlrev_b64 v[91:92], 2, v[90:91]
	v_add_co_u32_e32 v91, vcc, v88, v91
	v_addc_co_u32_e32 v92, vcc, v89, v92, vcc
	global_load_dword v0, v[91:92], off
	global_load_dword v97, v[88:89], off offset:8
	s_waitcnt vmcnt(1)
	global_store_dword v[88:89], v0, off offset:8
	s_waitcnt vmcnt(1)
	global_store_dword v[91:92], v97, off
.LBB38_56:
	s_or_b64 exec, exec, s[20:21]
	v_mov_b32_e32 v92, v90
	v_mov_b32_e32 v0, v90
.LBB38_57:
	s_or_b64 exec, exec, s[8:9]
.LBB38_58:
	s_andn2_saveexec_b64 s[0:1], s[0:1]
	s_cbranch_execz .LBB38_60
; %bb.59:
	v_mov_b32_e32 v92, 2
	ds_write2_b64 v1, v[62:63], v[64:65] offset0:6 offset1:7
	ds_write2_b64 v1, v[58:59], v[60:61] offset0:8 offset1:9
	;; [unrolled: 1-line block ×17, first 2 shown]
.LBB38_60:
	s_or_b64 exec, exec, s[0:1]
	v_cmp_lt_i32_e32 vcc, 2, v92
	s_waitcnt vmcnt(0) lgkmcnt(0)
	s_barrier
	s_and_saveexec_b64 s[0:1], vcc
	s_cbranch_execz .LBB38_62
; %bb.61:
	v_mul_f64 v[90:91], v[84:85], v[68:69]
	v_mul_f64 v[68:69], v[82:83], v[68:69]
	v_fma_f64 v[90:91], v[82:83], v[66:67], -v[90:91]
	v_fma_f64 v[68:69], v[84:85], v[66:67], v[68:69]
	ds_read2_b64 v[82:85], v1 offset0:6 offset1:7
	s_waitcnt lgkmcnt(0)
	v_mul_f64 v[66:67], v[84:85], v[68:69]
	v_fma_f64 v[66:67], v[82:83], v[90:91], -v[66:67]
	v_mul_f64 v[82:83], v[82:83], v[68:69]
	v_add_f64 v[62:63], v[62:63], -v[66:67]
	v_fma_f64 v[82:83], v[84:85], v[90:91], v[82:83]
	v_add_f64 v[64:65], v[64:65], -v[82:83]
	ds_read2_b64 v[82:85], v1 offset0:8 offset1:9
	s_waitcnt lgkmcnt(0)
	v_mul_f64 v[66:67], v[84:85], v[68:69]
	v_fma_f64 v[66:67], v[82:83], v[90:91], -v[66:67]
	v_mul_f64 v[82:83], v[82:83], v[68:69]
	v_add_f64 v[58:59], v[58:59], -v[66:67]
	v_fma_f64 v[82:83], v[84:85], v[90:91], v[82:83]
	v_add_f64 v[60:61], v[60:61], -v[82:83]
	ds_read2_b64 v[82:85], v1 offset0:10 offset1:11
	s_waitcnt lgkmcnt(0)
	v_mul_f64 v[66:67], v[84:85], v[68:69]
	v_fma_f64 v[66:67], v[82:83], v[90:91], -v[66:67]
	v_mul_f64 v[82:83], v[82:83], v[68:69]
	v_add_f64 v[54:55], v[54:55], -v[66:67]
	v_fma_f64 v[82:83], v[84:85], v[90:91], v[82:83]
	v_add_f64 v[56:57], v[56:57], -v[82:83]
	ds_read2_b64 v[82:85], v1 offset0:12 offset1:13
	s_waitcnt lgkmcnt(0)
	v_mul_f64 v[66:67], v[84:85], v[68:69]
	v_fma_f64 v[66:67], v[82:83], v[90:91], -v[66:67]
	v_mul_f64 v[82:83], v[82:83], v[68:69]
	v_add_f64 v[50:51], v[50:51], -v[66:67]
	v_fma_f64 v[82:83], v[84:85], v[90:91], v[82:83]
	v_add_f64 v[52:53], v[52:53], -v[82:83]
	ds_read2_b64 v[82:85], v1 offset0:14 offset1:15
	s_waitcnt lgkmcnt(0)
	v_mul_f64 v[66:67], v[84:85], v[68:69]
	v_fma_f64 v[66:67], v[82:83], v[90:91], -v[66:67]
	v_mul_f64 v[82:83], v[82:83], v[68:69]
	v_add_f64 v[46:47], v[46:47], -v[66:67]
	v_fma_f64 v[82:83], v[84:85], v[90:91], v[82:83]
	v_add_f64 v[48:49], v[48:49], -v[82:83]
	ds_read2_b64 v[82:85], v1 offset0:16 offset1:17
	s_waitcnt lgkmcnt(0)
	v_mul_f64 v[66:67], v[84:85], v[68:69]
	v_fma_f64 v[66:67], v[82:83], v[90:91], -v[66:67]
	v_mul_f64 v[82:83], v[82:83], v[68:69]
	v_add_f64 v[42:43], v[42:43], -v[66:67]
	v_fma_f64 v[82:83], v[84:85], v[90:91], v[82:83]
	v_add_f64 v[44:45], v[44:45], -v[82:83]
	ds_read2_b64 v[82:85], v1 offset0:18 offset1:19
	s_waitcnt lgkmcnt(0)
	v_mul_f64 v[66:67], v[84:85], v[68:69]
	v_fma_f64 v[66:67], v[82:83], v[90:91], -v[66:67]
	v_mul_f64 v[82:83], v[82:83], v[68:69]
	v_add_f64 v[38:39], v[38:39], -v[66:67]
	v_fma_f64 v[82:83], v[84:85], v[90:91], v[82:83]
	v_add_f64 v[40:41], v[40:41], -v[82:83]
	ds_read2_b64 v[82:85], v1 offset0:20 offset1:21
	s_waitcnt lgkmcnt(0)
	v_mul_f64 v[66:67], v[84:85], v[68:69]
	v_fma_f64 v[66:67], v[82:83], v[90:91], -v[66:67]
	v_mul_f64 v[82:83], v[82:83], v[68:69]
	v_add_f64 v[34:35], v[34:35], -v[66:67]
	v_fma_f64 v[82:83], v[84:85], v[90:91], v[82:83]
	v_add_f64 v[36:37], v[36:37], -v[82:83]
	ds_read2_b64 v[82:85], v1 offset0:22 offset1:23
	s_waitcnt lgkmcnt(0)
	v_mul_f64 v[66:67], v[84:85], v[68:69]
	v_fma_f64 v[66:67], v[82:83], v[90:91], -v[66:67]
	v_mul_f64 v[82:83], v[82:83], v[68:69]
	v_add_f64 v[30:31], v[30:31], -v[66:67]
	v_fma_f64 v[82:83], v[84:85], v[90:91], v[82:83]
	v_add_f64 v[32:33], v[32:33], -v[82:83]
	ds_read2_b64 v[82:85], v1 offset0:24 offset1:25
	s_waitcnt lgkmcnt(0)
	v_mul_f64 v[66:67], v[84:85], v[68:69]
	v_fma_f64 v[66:67], v[82:83], v[90:91], -v[66:67]
	v_mul_f64 v[82:83], v[82:83], v[68:69]
	v_add_f64 v[26:27], v[26:27], -v[66:67]
	v_fma_f64 v[82:83], v[84:85], v[90:91], v[82:83]
	v_add_f64 v[28:29], v[28:29], -v[82:83]
	ds_read2_b64 v[82:85], v1 offset0:26 offset1:27
	s_waitcnt lgkmcnt(0)
	v_mul_f64 v[66:67], v[84:85], v[68:69]
	v_fma_f64 v[66:67], v[82:83], v[90:91], -v[66:67]
	v_mul_f64 v[82:83], v[82:83], v[68:69]
	v_add_f64 v[22:23], v[22:23], -v[66:67]
	v_fma_f64 v[82:83], v[84:85], v[90:91], v[82:83]
	v_add_f64 v[24:25], v[24:25], -v[82:83]
	ds_read2_b64 v[82:85], v1 offset0:28 offset1:29
	s_waitcnt lgkmcnt(0)
	v_mul_f64 v[66:67], v[84:85], v[68:69]
	v_fma_f64 v[66:67], v[82:83], v[90:91], -v[66:67]
	v_mul_f64 v[82:83], v[82:83], v[68:69]
	v_add_f64 v[18:19], v[18:19], -v[66:67]
	v_fma_f64 v[82:83], v[84:85], v[90:91], v[82:83]
	v_add_f64 v[20:21], v[20:21], -v[82:83]
	ds_read2_b64 v[82:85], v1 offset0:30 offset1:31
	s_waitcnt lgkmcnt(0)
	v_mul_f64 v[66:67], v[84:85], v[68:69]
	v_fma_f64 v[66:67], v[82:83], v[90:91], -v[66:67]
	v_mul_f64 v[82:83], v[82:83], v[68:69]
	v_add_f64 v[14:15], v[14:15], -v[66:67]
	v_fma_f64 v[82:83], v[84:85], v[90:91], v[82:83]
	v_add_f64 v[16:17], v[16:17], -v[82:83]
	ds_read2_b64 v[82:85], v1 offset0:32 offset1:33
	s_waitcnt lgkmcnt(0)
	v_mul_f64 v[66:67], v[84:85], v[68:69]
	v_fma_f64 v[66:67], v[82:83], v[90:91], -v[66:67]
	v_mul_f64 v[82:83], v[82:83], v[68:69]
	v_add_f64 v[10:11], v[10:11], -v[66:67]
	v_fma_f64 v[82:83], v[84:85], v[90:91], v[82:83]
	v_add_f64 v[12:13], v[12:13], -v[82:83]
	ds_read2_b64 v[82:85], v1 offset0:34 offset1:35
	s_waitcnt lgkmcnt(0)
	v_mul_f64 v[66:67], v[84:85], v[68:69]
	v_fma_f64 v[66:67], v[82:83], v[90:91], -v[66:67]
	v_mul_f64 v[82:83], v[82:83], v[68:69]
	v_add_f64 v[6:7], v[6:7], -v[66:67]
	v_fma_f64 v[82:83], v[84:85], v[90:91], v[82:83]
	v_add_f64 v[8:9], v[8:9], -v[82:83]
	ds_read2_b64 v[82:85], v1 offset0:36 offset1:37
	s_waitcnt lgkmcnt(0)
	v_mul_f64 v[66:67], v[84:85], v[68:69]
	v_fma_f64 v[66:67], v[82:83], v[90:91], -v[66:67]
	v_mul_f64 v[82:83], v[82:83], v[68:69]
	v_add_f64 v[2:3], v[2:3], -v[66:67]
	v_fma_f64 v[82:83], v[84:85], v[90:91], v[82:83]
	v_add_f64 v[4:5], v[4:5], -v[82:83]
	ds_read2_b64 v[82:85], v1 offset0:38 offset1:39
	s_waitcnt lgkmcnt(0)
	v_mul_f64 v[66:67], v[84:85], v[68:69]
	v_fma_f64 v[66:67], v[82:83], v[90:91], -v[66:67]
	v_mul_f64 v[82:83], v[82:83], v[68:69]
	v_add_f64 v[78:79], v[78:79], -v[66:67]
	v_fma_f64 v[82:83], v[84:85], v[90:91], v[82:83]
	v_mov_b32_e32 v66, v90
	v_mov_b32_e32 v67, v91
	v_add_f64 v[80:81], v[80:81], -v[82:83]
.LBB38_62:
	s_or_b64 exec, exec, s[0:1]
	v_lshl_add_u32 v82, v92, 4, v1
	s_barrier
	ds_write2_b64 v82, v[62:63], v[64:65] offset1:1
	s_waitcnt lgkmcnt(0)
	s_barrier
	ds_read2_b64 v[82:85], v1 offset0:6 offset1:7
	s_mov_b32 s7, 4
	s_cmp_lt_i32 s22, 5
	v_mov_b32_e32 v90, 3
	s_cbranch_scc1 .LBB38_65
; %bb.63:
	v_add3_u32 v91, v96, 0, 64
	v_mov_b32_e32 v90, 3
.LBB38_64:                              ; =>This Inner Loop Header: Depth=1
	s_waitcnt lgkmcnt(0)
	v_cmp_gt_f64_e32 vcc, 0, v[84:85]
	v_cmp_gt_f64_e64 s[0:1], 0, v[82:83]
	ds_read2_b64 v[96:99], v91 offset1:1
	v_xor_b32_e32 v101, 0x80000000, v83
	v_xor_b32_e32 v103, 0x80000000, v85
	v_mov_b32_e32 v100, v82
	v_mov_b32_e32 v102, v84
	s_waitcnt lgkmcnt(0)
	v_xor_b32_e32 v105, 0x80000000, v99
	v_cndmask_b32_e32 v103, v85, v103, vcc
	v_cndmask_b32_e64 v101, v83, v101, s[0:1]
	v_cmp_gt_f64_e32 vcc, 0, v[98:99]
	v_cmp_gt_f64_e64 s[0:1], 0, v[96:97]
	v_add_f64 v[100:101], v[100:101], v[102:103]
	v_xor_b32_e32 v103, 0x80000000, v97
	v_mov_b32_e32 v102, v96
	v_mov_b32_e32 v104, v98
	v_add_u32_e32 v91, 16, v91
	v_cndmask_b32_e32 v105, v99, v105, vcc
	v_cndmask_b32_e64 v103, v97, v103, s[0:1]
	v_add_f64 v[102:103], v[102:103], v[104:105]
	v_mov_b32_e32 v104, s7
	s_add_i32 s7, s7, 1
	s_cmp_lg_u32 s22, s7
	v_cmp_lt_f64_e32 vcc, v[100:101], v[102:103]
	v_cndmask_b32_e32 v83, v83, v97, vcc
	v_cndmask_b32_e32 v82, v82, v96, vcc
	;; [unrolled: 1-line block ×5, first 2 shown]
	s_cbranch_scc1 .LBB38_64
.LBB38_65:
	s_waitcnt lgkmcnt(0)
	v_cmp_eq_f64_e32 vcc, 0, v[82:83]
	v_cmp_eq_f64_e64 s[0:1], 0, v[84:85]
	s_and_b64 s[0:1], vcc, s[0:1]
	s_and_saveexec_b64 s[8:9], s[0:1]
	s_xor_b64 s[0:1], exec, s[8:9]
; %bb.66:
	v_cmp_ne_u32_e32 vcc, 0, v95
	v_cndmask_b32_e32 v95, 4, v95, vcc
; %bb.67:
	s_andn2_saveexec_b64 s[0:1], s[0:1]
	s_cbranch_execz .LBB38_73
; %bb.68:
	v_cmp_ngt_f64_e64 s[8:9], |v[82:83]|, |v[84:85]|
	s_and_saveexec_b64 s[20:21], s[8:9]
	s_xor_b64 s[8:9], exec, s[20:21]
	s_cbranch_execz .LBB38_70
; %bb.69:
	v_div_scale_f64 v[96:97], s[20:21], v[84:85], v[84:85], v[82:83]
	v_rcp_f64_e32 v[98:99], v[96:97]
	v_fma_f64 v[100:101], -v[96:97], v[98:99], 1.0
	v_fma_f64 v[98:99], v[98:99], v[100:101], v[98:99]
	v_div_scale_f64 v[100:101], vcc, v[82:83], v[84:85], v[82:83]
	v_fma_f64 v[102:103], -v[96:97], v[98:99], 1.0
	v_fma_f64 v[98:99], v[98:99], v[102:103], v[98:99]
	v_mul_f64 v[102:103], v[100:101], v[98:99]
	v_fma_f64 v[96:97], -v[96:97], v[102:103], v[100:101]
	v_div_fmas_f64 v[96:97], v[96:97], v[98:99], v[102:103]
	v_div_fixup_f64 v[96:97], v[96:97], v[84:85], v[82:83]
	v_fma_f64 v[82:83], v[82:83], v[96:97], v[84:85]
	v_div_scale_f64 v[84:85], s[20:21], v[82:83], v[82:83], 1.0
	v_div_scale_f64 v[102:103], vcc, 1.0, v[82:83], 1.0
	v_rcp_f64_e32 v[98:99], v[84:85]
	v_fma_f64 v[100:101], -v[84:85], v[98:99], 1.0
	v_fma_f64 v[98:99], v[98:99], v[100:101], v[98:99]
	v_fma_f64 v[100:101], -v[84:85], v[98:99], 1.0
	v_fma_f64 v[98:99], v[98:99], v[100:101], v[98:99]
	v_mul_f64 v[100:101], v[102:103], v[98:99]
	v_fma_f64 v[84:85], -v[84:85], v[100:101], v[102:103]
	v_div_fmas_f64 v[84:85], v[84:85], v[98:99], v[100:101]
	v_div_fixup_f64 v[84:85], v[84:85], v[82:83], 1.0
	v_mul_f64 v[82:83], v[96:97], v[84:85]
	v_xor_b32_e32 v85, 0x80000000, v85
.LBB38_70:
	s_andn2_saveexec_b64 s[8:9], s[8:9]
	s_cbranch_execz .LBB38_72
; %bb.71:
	v_div_scale_f64 v[96:97], s[20:21], v[82:83], v[82:83], v[84:85]
	v_rcp_f64_e32 v[98:99], v[96:97]
	v_fma_f64 v[100:101], -v[96:97], v[98:99], 1.0
	v_fma_f64 v[98:99], v[98:99], v[100:101], v[98:99]
	v_div_scale_f64 v[100:101], vcc, v[84:85], v[82:83], v[84:85]
	v_fma_f64 v[102:103], -v[96:97], v[98:99], 1.0
	v_fma_f64 v[98:99], v[98:99], v[102:103], v[98:99]
	v_mul_f64 v[102:103], v[100:101], v[98:99]
	v_fma_f64 v[96:97], -v[96:97], v[102:103], v[100:101]
	v_div_fmas_f64 v[96:97], v[96:97], v[98:99], v[102:103]
	v_div_fixup_f64 v[96:97], v[96:97], v[82:83], v[84:85]
	v_fma_f64 v[82:83], v[84:85], v[96:97], v[82:83]
	v_div_scale_f64 v[84:85], s[20:21], v[82:83], v[82:83], 1.0
	v_div_scale_f64 v[102:103], vcc, 1.0, v[82:83], 1.0
	v_rcp_f64_e32 v[98:99], v[84:85]
	v_fma_f64 v[100:101], -v[84:85], v[98:99], 1.0
	v_fma_f64 v[98:99], v[98:99], v[100:101], v[98:99]
	v_fma_f64 v[100:101], -v[84:85], v[98:99], 1.0
	v_fma_f64 v[98:99], v[98:99], v[100:101], v[98:99]
	v_mul_f64 v[100:101], v[102:103], v[98:99]
	v_fma_f64 v[84:85], -v[84:85], v[100:101], v[102:103]
	v_div_fmas_f64 v[84:85], v[84:85], v[98:99], v[100:101]
	v_div_fixup_f64 v[82:83], v[84:85], v[82:83], 1.0
	v_mul_f64 v[84:85], v[96:97], -v[82:83]
.LBB38_72:
	s_or_b64 exec, exec, s[8:9]
.LBB38_73:
	s_or_b64 exec, exec, s[0:1]
	v_cmp_ne_u32_e32 vcc, v92, v90
	s_and_saveexec_b64 s[0:1], vcc
	s_xor_b64 s[0:1], exec, s[0:1]
	s_cbranch_execz .LBB38_79
; %bb.74:
	v_cmp_eq_u32_e32 vcc, 3, v92
	s_and_saveexec_b64 s[8:9], vcc
	s_cbranch_execz .LBB38_78
; %bb.75:
	v_cmp_ne_u32_e32 vcc, 3, v90
	s_xor_b64 s[20:21], s[18:19], -1
	s_and_b64 s[24:25], s[20:21], vcc
	s_and_saveexec_b64 s[20:21], s[24:25]
	s_cbranch_execz .LBB38_77
; %bb.76:
	v_ashrrev_i32_e32 v91, 31, v90
	v_lshlrev_b64 v[91:92], 2, v[90:91]
	v_add_co_u32_e32 v91, vcc, v88, v91
	v_addc_co_u32_e32 v92, vcc, v89, v92, vcc
	global_load_dword v0, v[91:92], off
	global_load_dword v96, v[88:89], off offset:12
	s_waitcnt vmcnt(1)
	global_store_dword v[88:89], v0, off offset:12
	s_waitcnt vmcnt(1)
	global_store_dword v[91:92], v96, off
.LBB38_77:
	s_or_b64 exec, exec, s[20:21]
	v_mov_b32_e32 v92, v90
	v_mov_b32_e32 v0, v90
.LBB38_78:
	s_or_b64 exec, exec, s[8:9]
.LBB38_79:
	s_andn2_saveexec_b64 s[0:1], s[0:1]
	s_cbranch_execz .LBB38_81
; %bb.80:
	v_mov_b32_e32 v92, 3
	ds_write2_b64 v1, v[58:59], v[60:61] offset0:8 offset1:9
	ds_write2_b64 v1, v[54:55], v[56:57] offset0:10 offset1:11
	;; [unrolled: 1-line block ×16, first 2 shown]
.LBB38_81:
	s_or_b64 exec, exec, s[0:1]
	v_cmp_lt_i32_e32 vcc, 3, v92
	s_waitcnt vmcnt(0) lgkmcnt(0)
	s_barrier
	s_and_saveexec_b64 s[0:1], vcc
	s_cbranch_execz .LBB38_83
; %bb.82:
	v_mul_f64 v[90:91], v[82:83], v[64:65]
	v_mul_f64 v[64:65], v[84:85], v[64:65]
	v_fma_f64 v[90:91], v[84:85], v[62:63], v[90:91]
	v_fma_f64 v[62:63], v[82:83], v[62:63], -v[64:65]
	ds_read2_b64 v[82:85], v1 offset0:8 offset1:9
	s_waitcnt lgkmcnt(0)
	v_mul_f64 v[64:65], v[84:85], v[90:91]
	v_fma_f64 v[64:65], v[82:83], v[62:63], -v[64:65]
	v_mul_f64 v[82:83], v[82:83], v[90:91]
	v_add_f64 v[58:59], v[58:59], -v[64:65]
	v_fma_f64 v[82:83], v[84:85], v[62:63], v[82:83]
	v_add_f64 v[60:61], v[60:61], -v[82:83]
	ds_read2_b64 v[82:85], v1 offset0:10 offset1:11
	s_waitcnt lgkmcnt(0)
	v_mul_f64 v[64:65], v[84:85], v[90:91]
	v_fma_f64 v[64:65], v[82:83], v[62:63], -v[64:65]
	v_mul_f64 v[82:83], v[82:83], v[90:91]
	v_add_f64 v[54:55], v[54:55], -v[64:65]
	v_fma_f64 v[82:83], v[84:85], v[62:63], v[82:83]
	v_add_f64 v[56:57], v[56:57], -v[82:83]
	;; [unrolled: 8-line block ×15, first 2 shown]
	ds_read2_b64 v[82:85], v1 offset0:38 offset1:39
	s_waitcnt lgkmcnt(0)
	v_mul_f64 v[64:65], v[84:85], v[90:91]
	v_fma_f64 v[64:65], v[82:83], v[62:63], -v[64:65]
	v_mul_f64 v[82:83], v[82:83], v[90:91]
	v_add_f64 v[78:79], v[78:79], -v[64:65]
	v_fma_f64 v[82:83], v[84:85], v[62:63], v[82:83]
	v_mov_b32_e32 v64, v90
	v_mov_b32_e32 v65, v91
	v_add_f64 v[80:81], v[80:81], -v[82:83]
.LBB38_83:
	s_or_b64 exec, exec, s[0:1]
	v_lshl_add_u32 v82, v92, 4, v1
	s_barrier
	ds_write2_b64 v82, v[58:59], v[60:61] offset1:1
	s_waitcnt lgkmcnt(0)
	s_barrier
	ds_read2_b64 v[82:85], v1 offset0:8 offset1:9
	s_cmp_lt_i32 s22, 6
	v_mov_b32_e32 v90, 4
	s_cbranch_scc1 .LBB38_86
; %bb.84:
	v_mov_b32_e32 v90, 4
	v_add_u32_e32 v91, 0x50, v1
	s_mov_b32 s7, 5
.LBB38_85:                              ; =>This Inner Loop Header: Depth=1
	s_waitcnt lgkmcnt(0)
	v_cmp_gt_f64_e32 vcc, 0, v[84:85]
	v_cmp_gt_f64_e64 s[0:1], 0, v[82:83]
	ds_read2_b64 v[96:99], v91 offset1:1
	v_xor_b32_e32 v101, 0x80000000, v83
	v_xor_b32_e32 v103, 0x80000000, v85
	v_mov_b32_e32 v100, v82
	v_mov_b32_e32 v102, v84
	s_waitcnt lgkmcnt(0)
	v_xor_b32_e32 v105, 0x80000000, v99
	v_cndmask_b32_e32 v103, v85, v103, vcc
	v_cndmask_b32_e64 v101, v83, v101, s[0:1]
	v_cmp_gt_f64_e32 vcc, 0, v[98:99]
	v_cmp_gt_f64_e64 s[0:1], 0, v[96:97]
	v_add_f64 v[100:101], v[100:101], v[102:103]
	v_xor_b32_e32 v103, 0x80000000, v97
	v_mov_b32_e32 v102, v96
	v_mov_b32_e32 v104, v98
	v_add_u32_e32 v91, 16, v91
	v_cndmask_b32_e32 v105, v99, v105, vcc
	v_cndmask_b32_e64 v103, v97, v103, s[0:1]
	v_add_f64 v[102:103], v[102:103], v[104:105]
	v_mov_b32_e32 v104, s7
	s_add_i32 s7, s7, 1
	s_cmp_lg_u32 s22, s7
	v_cmp_lt_f64_e32 vcc, v[100:101], v[102:103]
	v_cndmask_b32_e32 v83, v83, v97, vcc
	v_cndmask_b32_e32 v82, v82, v96, vcc
	;; [unrolled: 1-line block ×5, first 2 shown]
	s_cbranch_scc1 .LBB38_85
.LBB38_86:
	s_waitcnt lgkmcnt(0)
	v_cmp_eq_f64_e32 vcc, 0, v[82:83]
	v_cmp_eq_f64_e64 s[0:1], 0, v[84:85]
	s_and_b64 s[0:1], vcc, s[0:1]
	s_and_saveexec_b64 s[8:9], s[0:1]
	s_xor_b64 s[0:1], exec, s[8:9]
; %bb.87:
	v_cmp_ne_u32_e32 vcc, 0, v95
	v_cndmask_b32_e32 v95, 5, v95, vcc
; %bb.88:
	s_andn2_saveexec_b64 s[0:1], s[0:1]
	s_cbranch_execz .LBB38_94
; %bb.89:
	v_cmp_ngt_f64_e64 s[8:9], |v[82:83]|, |v[84:85]|
	s_and_saveexec_b64 s[20:21], s[8:9]
	s_xor_b64 s[8:9], exec, s[20:21]
	s_cbranch_execz .LBB38_91
; %bb.90:
	v_div_scale_f64 v[96:97], s[20:21], v[84:85], v[84:85], v[82:83]
	v_rcp_f64_e32 v[98:99], v[96:97]
	v_fma_f64 v[100:101], -v[96:97], v[98:99], 1.0
	v_fma_f64 v[98:99], v[98:99], v[100:101], v[98:99]
	v_div_scale_f64 v[100:101], vcc, v[82:83], v[84:85], v[82:83]
	v_fma_f64 v[102:103], -v[96:97], v[98:99], 1.0
	v_fma_f64 v[98:99], v[98:99], v[102:103], v[98:99]
	v_mul_f64 v[102:103], v[100:101], v[98:99]
	v_fma_f64 v[96:97], -v[96:97], v[102:103], v[100:101]
	v_div_fmas_f64 v[96:97], v[96:97], v[98:99], v[102:103]
	v_div_fixup_f64 v[96:97], v[96:97], v[84:85], v[82:83]
	v_fma_f64 v[82:83], v[82:83], v[96:97], v[84:85]
	v_div_scale_f64 v[84:85], s[20:21], v[82:83], v[82:83], 1.0
	v_div_scale_f64 v[102:103], vcc, 1.0, v[82:83], 1.0
	v_rcp_f64_e32 v[98:99], v[84:85]
	v_fma_f64 v[100:101], -v[84:85], v[98:99], 1.0
	v_fma_f64 v[98:99], v[98:99], v[100:101], v[98:99]
	v_fma_f64 v[100:101], -v[84:85], v[98:99], 1.0
	v_fma_f64 v[98:99], v[98:99], v[100:101], v[98:99]
	v_mul_f64 v[100:101], v[102:103], v[98:99]
	v_fma_f64 v[84:85], -v[84:85], v[100:101], v[102:103]
	v_div_fmas_f64 v[84:85], v[84:85], v[98:99], v[100:101]
	v_div_fixup_f64 v[84:85], v[84:85], v[82:83], 1.0
	v_mul_f64 v[82:83], v[96:97], v[84:85]
	v_xor_b32_e32 v85, 0x80000000, v85
.LBB38_91:
	s_andn2_saveexec_b64 s[8:9], s[8:9]
	s_cbranch_execz .LBB38_93
; %bb.92:
	v_div_scale_f64 v[96:97], s[20:21], v[82:83], v[82:83], v[84:85]
	v_rcp_f64_e32 v[98:99], v[96:97]
	v_fma_f64 v[100:101], -v[96:97], v[98:99], 1.0
	v_fma_f64 v[98:99], v[98:99], v[100:101], v[98:99]
	v_div_scale_f64 v[100:101], vcc, v[84:85], v[82:83], v[84:85]
	v_fma_f64 v[102:103], -v[96:97], v[98:99], 1.0
	v_fma_f64 v[98:99], v[98:99], v[102:103], v[98:99]
	v_mul_f64 v[102:103], v[100:101], v[98:99]
	v_fma_f64 v[96:97], -v[96:97], v[102:103], v[100:101]
	v_div_fmas_f64 v[96:97], v[96:97], v[98:99], v[102:103]
	v_div_fixup_f64 v[96:97], v[96:97], v[82:83], v[84:85]
	v_fma_f64 v[82:83], v[84:85], v[96:97], v[82:83]
	v_div_scale_f64 v[84:85], s[20:21], v[82:83], v[82:83], 1.0
	v_div_scale_f64 v[102:103], vcc, 1.0, v[82:83], 1.0
	v_rcp_f64_e32 v[98:99], v[84:85]
	v_fma_f64 v[100:101], -v[84:85], v[98:99], 1.0
	v_fma_f64 v[98:99], v[98:99], v[100:101], v[98:99]
	v_fma_f64 v[100:101], -v[84:85], v[98:99], 1.0
	v_fma_f64 v[98:99], v[98:99], v[100:101], v[98:99]
	v_mul_f64 v[100:101], v[102:103], v[98:99]
	v_fma_f64 v[84:85], -v[84:85], v[100:101], v[102:103]
	v_div_fmas_f64 v[84:85], v[84:85], v[98:99], v[100:101]
	v_div_fixup_f64 v[82:83], v[84:85], v[82:83], 1.0
	v_mul_f64 v[84:85], v[96:97], -v[82:83]
.LBB38_93:
	s_or_b64 exec, exec, s[8:9]
.LBB38_94:
	s_or_b64 exec, exec, s[0:1]
	v_cmp_ne_u32_e32 vcc, v92, v90
	s_and_saveexec_b64 s[0:1], vcc
	s_xor_b64 s[0:1], exec, s[0:1]
	s_cbranch_execz .LBB38_100
; %bb.95:
	v_cmp_eq_u32_e32 vcc, 4, v92
	s_and_saveexec_b64 s[8:9], vcc
	s_cbranch_execz .LBB38_99
; %bb.96:
	v_cmp_ne_u32_e32 vcc, 4, v90
	s_xor_b64 s[20:21], s[18:19], -1
	s_and_b64 s[24:25], s[20:21], vcc
	s_and_saveexec_b64 s[20:21], s[24:25]
	s_cbranch_execz .LBB38_98
; %bb.97:
	v_ashrrev_i32_e32 v91, 31, v90
	v_lshlrev_b64 v[91:92], 2, v[90:91]
	v_add_co_u32_e32 v91, vcc, v88, v91
	v_addc_co_u32_e32 v92, vcc, v89, v92, vcc
	global_load_dword v0, v[91:92], off
	global_load_dword v96, v[88:89], off offset:16
	s_waitcnt vmcnt(1)
	global_store_dword v[88:89], v0, off offset:16
	s_waitcnt vmcnt(1)
	global_store_dword v[91:92], v96, off
.LBB38_98:
	s_or_b64 exec, exec, s[20:21]
	v_mov_b32_e32 v92, v90
	v_mov_b32_e32 v0, v90
.LBB38_99:
	s_or_b64 exec, exec, s[8:9]
.LBB38_100:
	s_andn2_saveexec_b64 s[0:1], s[0:1]
	s_cbranch_execz .LBB38_102
; %bb.101:
	v_mov_b32_e32 v92, 4
	ds_write2_b64 v1, v[54:55], v[56:57] offset0:10 offset1:11
	ds_write2_b64 v1, v[50:51], v[52:53] offset0:12 offset1:13
	;; [unrolled: 1-line block ×15, first 2 shown]
.LBB38_102:
	s_or_b64 exec, exec, s[0:1]
	v_cmp_lt_i32_e32 vcc, 4, v92
	s_waitcnt vmcnt(0) lgkmcnt(0)
	s_barrier
	s_and_saveexec_b64 s[0:1], vcc
	s_cbranch_execz .LBB38_104
; %bb.103:
	v_mul_f64 v[90:91], v[82:83], v[60:61]
	v_mul_f64 v[60:61], v[84:85], v[60:61]
	v_fma_f64 v[90:91], v[84:85], v[58:59], v[90:91]
	v_fma_f64 v[58:59], v[82:83], v[58:59], -v[60:61]
	ds_read2_b64 v[82:85], v1 offset0:10 offset1:11
	s_waitcnt lgkmcnt(0)
	v_mul_f64 v[60:61], v[84:85], v[90:91]
	v_fma_f64 v[60:61], v[82:83], v[58:59], -v[60:61]
	v_mul_f64 v[82:83], v[82:83], v[90:91]
	v_add_f64 v[54:55], v[54:55], -v[60:61]
	v_fma_f64 v[82:83], v[84:85], v[58:59], v[82:83]
	v_add_f64 v[56:57], v[56:57], -v[82:83]
	ds_read2_b64 v[82:85], v1 offset0:12 offset1:13
	s_waitcnt lgkmcnt(0)
	v_mul_f64 v[60:61], v[84:85], v[90:91]
	v_fma_f64 v[60:61], v[82:83], v[58:59], -v[60:61]
	v_mul_f64 v[82:83], v[82:83], v[90:91]
	v_add_f64 v[50:51], v[50:51], -v[60:61]
	v_fma_f64 v[82:83], v[84:85], v[58:59], v[82:83]
	v_add_f64 v[52:53], v[52:53], -v[82:83]
	;; [unrolled: 8-line block ×14, first 2 shown]
	ds_read2_b64 v[82:85], v1 offset0:38 offset1:39
	s_waitcnt lgkmcnt(0)
	v_mul_f64 v[60:61], v[84:85], v[90:91]
	v_fma_f64 v[60:61], v[82:83], v[58:59], -v[60:61]
	v_mul_f64 v[82:83], v[82:83], v[90:91]
	v_add_f64 v[78:79], v[78:79], -v[60:61]
	v_fma_f64 v[82:83], v[84:85], v[58:59], v[82:83]
	v_mov_b32_e32 v60, v90
	v_mov_b32_e32 v61, v91
	v_add_f64 v[80:81], v[80:81], -v[82:83]
.LBB38_104:
	s_or_b64 exec, exec, s[0:1]
	v_lshl_add_u32 v82, v92, 4, v1
	s_barrier
	ds_write2_b64 v82, v[54:55], v[56:57] offset1:1
	s_waitcnt lgkmcnt(0)
	s_barrier
	ds_read2_b64 v[82:85], v1 offset0:10 offset1:11
	s_cmp_lt_i32 s22, 7
	v_mov_b32_e32 v90, 5
	s_cbranch_scc1 .LBB38_107
; %bb.105:
	v_add_u32_e32 v91, 0x60, v1
	s_mov_b32 s7, 6
	v_mov_b32_e32 v90, 5
.LBB38_106:                             ; =>This Inner Loop Header: Depth=1
	s_waitcnt lgkmcnt(0)
	v_cmp_gt_f64_e32 vcc, 0, v[84:85]
	v_cmp_gt_f64_e64 s[0:1], 0, v[82:83]
	ds_read2_b64 v[96:99], v91 offset1:1
	v_xor_b32_e32 v101, 0x80000000, v83
	v_xor_b32_e32 v103, 0x80000000, v85
	v_mov_b32_e32 v100, v82
	v_mov_b32_e32 v102, v84
	s_waitcnt lgkmcnt(0)
	v_xor_b32_e32 v105, 0x80000000, v99
	v_cndmask_b32_e32 v103, v85, v103, vcc
	v_cndmask_b32_e64 v101, v83, v101, s[0:1]
	v_cmp_gt_f64_e32 vcc, 0, v[98:99]
	v_cmp_gt_f64_e64 s[0:1], 0, v[96:97]
	v_add_f64 v[100:101], v[100:101], v[102:103]
	v_xor_b32_e32 v103, 0x80000000, v97
	v_mov_b32_e32 v102, v96
	v_mov_b32_e32 v104, v98
	v_add_u32_e32 v91, 16, v91
	v_cndmask_b32_e32 v105, v99, v105, vcc
	v_cndmask_b32_e64 v103, v97, v103, s[0:1]
	v_add_f64 v[102:103], v[102:103], v[104:105]
	v_mov_b32_e32 v104, s7
	s_add_i32 s7, s7, 1
	s_cmp_lg_u32 s22, s7
	v_cmp_lt_f64_e32 vcc, v[100:101], v[102:103]
	v_cndmask_b32_e32 v83, v83, v97, vcc
	v_cndmask_b32_e32 v82, v82, v96, vcc
	;; [unrolled: 1-line block ×5, first 2 shown]
	s_cbranch_scc1 .LBB38_106
.LBB38_107:
	s_waitcnt lgkmcnt(0)
	v_cmp_eq_f64_e32 vcc, 0, v[82:83]
	v_cmp_eq_f64_e64 s[0:1], 0, v[84:85]
	s_and_b64 s[0:1], vcc, s[0:1]
	s_and_saveexec_b64 s[8:9], s[0:1]
	s_xor_b64 s[0:1], exec, s[8:9]
; %bb.108:
	v_cmp_ne_u32_e32 vcc, 0, v95
	v_cndmask_b32_e32 v95, 6, v95, vcc
; %bb.109:
	s_andn2_saveexec_b64 s[0:1], s[0:1]
	s_cbranch_execz .LBB38_115
; %bb.110:
	v_cmp_ngt_f64_e64 s[8:9], |v[82:83]|, |v[84:85]|
	s_and_saveexec_b64 s[20:21], s[8:9]
	s_xor_b64 s[8:9], exec, s[20:21]
	s_cbranch_execz .LBB38_112
; %bb.111:
	v_div_scale_f64 v[96:97], s[20:21], v[84:85], v[84:85], v[82:83]
	v_rcp_f64_e32 v[98:99], v[96:97]
	v_fma_f64 v[100:101], -v[96:97], v[98:99], 1.0
	v_fma_f64 v[98:99], v[98:99], v[100:101], v[98:99]
	v_div_scale_f64 v[100:101], vcc, v[82:83], v[84:85], v[82:83]
	v_fma_f64 v[102:103], -v[96:97], v[98:99], 1.0
	v_fma_f64 v[98:99], v[98:99], v[102:103], v[98:99]
	v_mul_f64 v[102:103], v[100:101], v[98:99]
	v_fma_f64 v[96:97], -v[96:97], v[102:103], v[100:101]
	v_div_fmas_f64 v[96:97], v[96:97], v[98:99], v[102:103]
	v_div_fixup_f64 v[96:97], v[96:97], v[84:85], v[82:83]
	v_fma_f64 v[82:83], v[82:83], v[96:97], v[84:85]
	v_div_scale_f64 v[84:85], s[20:21], v[82:83], v[82:83], 1.0
	v_div_scale_f64 v[102:103], vcc, 1.0, v[82:83], 1.0
	v_rcp_f64_e32 v[98:99], v[84:85]
	v_fma_f64 v[100:101], -v[84:85], v[98:99], 1.0
	v_fma_f64 v[98:99], v[98:99], v[100:101], v[98:99]
	v_fma_f64 v[100:101], -v[84:85], v[98:99], 1.0
	v_fma_f64 v[98:99], v[98:99], v[100:101], v[98:99]
	v_mul_f64 v[100:101], v[102:103], v[98:99]
	v_fma_f64 v[84:85], -v[84:85], v[100:101], v[102:103]
	v_div_fmas_f64 v[84:85], v[84:85], v[98:99], v[100:101]
	v_div_fixup_f64 v[84:85], v[84:85], v[82:83], 1.0
	v_mul_f64 v[82:83], v[96:97], v[84:85]
	v_xor_b32_e32 v85, 0x80000000, v85
.LBB38_112:
	s_andn2_saveexec_b64 s[8:9], s[8:9]
	s_cbranch_execz .LBB38_114
; %bb.113:
	v_div_scale_f64 v[96:97], s[20:21], v[82:83], v[82:83], v[84:85]
	v_rcp_f64_e32 v[98:99], v[96:97]
	v_fma_f64 v[100:101], -v[96:97], v[98:99], 1.0
	v_fma_f64 v[98:99], v[98:99], v[100:101], v[98:99]
	v_div_scale_f64 v[100:101], vcc, v[84:85], v[82:83], v[84:85]
	v_fma_f64 v[102:103], -v[96:97], v[98:99], 1.0
	v_fma_f64 v[98:99], v[98:99], v[102:103], v[98:99]
	v_mul_f64 v[102:103], v[100:101], v[98:99]
	v_fma_f64 v[96:97], -v[96:97], v[102:103], v[100:101]
	v_div_fmas_f64 v[96:97], v[96:97], v[98:99], v[102:103]
	v_div_fixup_f64 v[96:97], v[96:97], v[82:83], v[84:85]
	v_fma_f64 v[82:83], v[84:85], v[96:97], v[82:83]
	v_div_scale_f64 v[84:85], s[20:21], v[82:83], v[82:83], 1.0
	v_div_scale_f64 v[102:103], vcc, 1.0, v[82:83], 1.0
	v_rcp_f64_e32 v[98:99], v[84:85]
	v_fma_f64 v[100:101], -v[84:85], v[98:99], 1.0
	v_fma_f64 v[98:99], v[98:99], v[100:101], v[98:99]
	v_fma_f64 v[100:101], -v[84:85], v[98:99], 1.0
	v_fma_f64 v[98:99], v[98:99], v[100:101], v[98:99]
	v_mul_f64 v[100:101], v[102:103], v[98:99]
	v_fma_f64 v[84:85], -v[84:85], v[100:101], v[102:103]
	v_div_fmas_f64 v[84:85], v[84:85], v[98:99], v[100:101]
	v_div_fixup_f64 v[82:83], v[84:85], v[82:83], 1.0
	v_mul_f64 v[84:85], v[96:97], -v[82:83]
.LBB38_114:
	s_or_b64 exec, exec, s[8:9]
.LBB38_115:
	s_or_b64 exec, exec, s[0:1]
	v_cmp_ne_u32_e32 vcc, v92, v90
	s_and_saveexec_b64 s[0:1], vcc
	s_xor_b64 s[0:1], exec, s[0:1]
	s_cbranch_execz .LBB38_121
; %bb.116:
	v_cmp_eq_u32_e32 vcc, 5, v92
	s_and_saveexec_b64 s[8:9], vcc
	s_cbranch_execz .LBB38_120
; %bb.117:
	v_cmp_ne_u32_e32 vcc, 5, v90
	s_xor_b64 s[20:21], s[18:19], -1
	s_and_b64 s[24:25], s[20:21], vcc
	s_and_saveexec_b64 s[20:21], s[24:25]
	s_cbranch_execz .LBB38_119
; %bb.118:
	v_ashrrev_i32_e32 v91, 31, v90
	v_lshlrev_b64 v[91:92], 2, v[90:91]
	v_add_co_u32_e32 v91, vcc, v88, v91
	v_addc_co_u32_e32 v92, vcc, v89, v92, vcc
	global_load_dword v0, v[91:92], off
	global_load_dword v96, v[88:89], off offset:20
	s_waitcnt vmcnt(1)
	global_store_dword v[88:89], v0, off offset:20
	s_waitcnt vmcnt(1)
	global_store_dword v[91:92], v96, off
.LBB38_119:
	s_or_b64 exec, exec, s[20:21]
	v_mov_b32_e32 v92, v90
	v_mov_b32_e32 v0, v90
.LBB38_120:
	s_or_b64 exec, exec, s[8:9]
.LBB38_121:
	s_andn2_saveexec_b64 s[0:1], s[0:1]
	s_cbranch_execz .LBB38_123
; %bb.122:
	v_mov_b32_e32 v92, 5
	ds_write2_b64 v1, v[50:51], v[52:53] offset0:12 offset1:13
	ds_write2_b64 v1, v[46:47], v[48:49] offset0:14 offset1:15
	;; [unrolled: 1-line block ×14, first 2 shown]
.LBB38_123:
	s_or_b64 exec, exec, s[0:1]
	v_cmp_lt_i32_e32 vcc, 5, v92
	s_waitcnt vmcnt(0) lgkmcnt(0)
	s_barrier
	s_and_saveexec_b64 s[0:1], vcc
	s_cbranch_execz .LBB38_125
; %bb.124:
	v_mul_f64 v[90:91], v[82:83], v[56:57]
	v_mul_f64 v[56:57], v[84:85], v[56:57]
	v_fma_f64 v[90:91], v[84:85], v[54:55], v[90:91]
	v_fma_f64 v[54:55], v[82:83], v[54:55], -v[56:57]
	ds_read2_b64 v[82:85], v1 offset0:12 offset1:13
	s_waitcnt lgkmcnt(0)
	v_mul_f64 v[56:57], v[84:85], v[90:91]
	v_fma_f64 v[56:57], v[82:83], v[54:55], -v[56:57]
	v_mul_f64 v[82:83], v[82:83], v[90:91]
	v_add_f64 v[50:51], v[50:51], -v[56:57]
	v_fma_f64 v[82:83], v[84:85], v[54:55], v[82:83]
	v_add_f64 v[52:53], v[52:53], -v[82:83]
	ds_read2_b64 v[82:85], v1 offset0:14 offset1:15
	s_waitcnt lgkmcnt(0)
	v_mul_f64 v[56:57], v[84:85], v[90:91]
	v_fma_f64 v[56:57], v[82:83], v[54:55], -v[56:57]
	v_mul_f64 v[82:83], v[82:83], v[90:91]
	v_add_f64 v[46:47], v[46:47], -v[56:57]
	v_fma_f64 v[82:83], v[84:85], v[54:55], v[82:83]
	v_add_f64 v[48:49], v[48:49], -v[82:83]
	;; [unrolled: 8-line block ×13, first 2 shown]
	ds_read2_b64 v[82:85], v1 offset0:38 offset1:39
	s_waitcnt lgkmcnt(0)
	v_mul_f64 v[56:57], v[84:85], v[90:91]
	v_fma_f64 v[56:57], v[82:83], v[54:55], -v[56:57]
	v_mul_f64 v[82:83], v[82:83], v[90:91]
	v_add_f64 v[78:79], v[78:79], -v[56:57]
	v_fma_f64 v[82:83], v[84:85], v[54:55], v[82:83]
	v_mov_b32_e32 v56, v90
	v_mov_b32_e32 v57, v91
	v_add_f64 v[80:81], v[80:81], -v[82:83]
.LBB38_125:
	s_or_b64 exec, exec, s[0:1]
	v_lshl_add_u32 v82, v92, 4, v1
	s_barrier
	ds_write2_b64 v82, v[50:51], v[52:53] offset1:1
	s_waitcnt lgkmcnt(0)
	s_barrier
	ds_read2_b64 v[82:85], v1 offset0:12 offset1:13
	s_cmp_lt_i32 s22, 8
	v_mov_b32_e32 v90, 6
	s_cbranch_scc1 .LBB38_128
; %bb.126:
	v_add_u32_e32 v91, 0x70, v1
	s_mov_b32 s7, 7
	v_mov_b32_e32 v90, 6
.LBB38_127:                             ; =>This Inner Loop Header: Depth=1
	s_waitcnt lgkmcnt(0)
	v_cmp_gt_f64_e32 vcc, 0, v[84:85]
	v_cmp_gt_f64_e64 s[0:1], 0, v[82:83]
	ds_read2_b64 v[96:99], v91 offset1:1
	v_xor_b32_e32 v101, 0x80000000, v83
	v_xor_b32_e32 v103, 0x80000000, v85
	v_mov_b32_e32 v100, v82
	v_mov_b32_e32 v102, v84
	s_waitcnt lgkmcnt(0)
	v_xor_b32_e32 v105, 0x80000000, v99
	v_cndmask_b32_e32 v103, v85, v103, vcc
	v_cndmask_b32_e64 v101, v83, v101, s[0:1]
	v_cmp_gt_f64_e32 vcc, 0, v[98:99]
	v_cmp_gt_f64_e64 s[0:1], 0, v[96:97]
	v_add_f64 v[100:101], v[100:101], v[102:103]
	v_xor_b32_e32 v103, 0x80000000, v97
	v_mov_b32_e32 v102, v96
	v_mov_b32_e32 v104, v98
	v_add_u32_e32 v91, 16, v91
	v_cndmask_b32_e32 v105, v99, v105, vcc
	v_cndmask_b32_e64 v103, v97, v103, s[0:1]
	v_add_f64 v[102:103], v[102:103], v[104:105]
	v_mov_b32_e32 v104, s7
	s_add_i32 s7, s7, 1
	s_cmp_lg_u32 s22, s7
	v_cmp_lt_f64_e32 vcc, v[100:101], v[102:103]
	v_cndmask_b32_e32 v83, v83, v97, vcc
	v_cndmask_b32_e32 v82, v82, v96, vcc
	;; [unrolled: 1-line block ×5, first 2 shown]
	s_cbranch_scc1 .LBB38_127
.LBB38_128:
	s_waitcnt lgkmcnt(0)
	v_cmp_eq_f64_e32 vcc, 0, v[82:83]
	v_cmp_eq_f64_e64 s[0:1], 0, v[84:85]
	s_and_b64 s[0:1], vcc, s[0:1]
	s_and_saveexec_b64 s[8:9], s[0:1]
	s_xor_b64 s[0:1], exec, s[8:9]
; %bb.129:
	v_cmp_ne_u32_e32 vcc, 0, v95
	v_cndmask_b32_e32 v95, 7, v95, vcc
; %bb.130:
	s_andn2_saveexec_b64 s[0:1], s[0:1]
	s_cbranch_execz .LBB38_136
; %bb.131:
	v_cmp_ngt_f64_e64 s[8:9], |v[82:83]|, |v[84:85]|
	s_and_saveexec_b64 s[20:21], s[8:9]
	s_xor_b64 s[8:9], exec, s[20:21]
	s_cbranch_execz .LBB38_133
; %bb.132:
	v_div_scale_f64 v[96:97], s[20:21], v[84:85], v[84:85], v[82:83]
	v_rcp_f64_e32 v[98:99], v[96:97]
	v_fma_f64 v[100:101], -v[96:97], v[98:99], 1.0
	v_fma_f64 v[98:99], v[98:99], v[100:101], v[98:99]
	v_div_scale_f64 v[100:101], vcc, v[82:83], v[84:85], v[82:83]
	v_fma_f64 v[102:103], -v[96:97], v[98:99], 1.0
	v_fma_f64 v[98:99], v[98:99], v[102:103], v[98:99]
	v_mul_f64 v[102:103], v[100:101], v[98:99]
	v_fma_f64 v[96:97], -v[96:97], v[102:103], v[100:101]
	v_div_fmas_f64 v[96:97], v[96:97], v[98:99], v[102:103]
	v_div_fixup_f64 v[96:97], v[96:97], v[84:85], v[82:83]
	v_fma_f64 v[82:83], v[82:83], v[96:97], v[84:85]
	v_div_scale_f64 v[84:85], s[20:21], v[82:83], v[82:83], 1.0
	v_div_scale_f64 v[102:103], vcc, 1.0, v[82:83], 1.0
	v_rcp_f64_e32 v[98:99], v[84:85]
	v_fma_f64 v[100:101], -v[84:85], v[98:99], 1.0
	v_fma_f64 v[98:99], v[98:99], v[100:101], v[98:99]
	v_fma_f64 v[100:101], -v[84:85], v[98:99], 1.0
	v_fma_f64 v[98:99], v[98:99], v[100:101], v[98:99]
	v_mul_f64 v[100:101], v[102:103], v[98:99]
	v_fma_f64 v[84:85], -v[84:85], v[100:101], v[102:103]
	v_div_fmas_f64 v[84:85], v[84:85], v[98:99], v[100:101]
	v_div_fixup_f64 v[84:85], v[84:85], v[82:83], 1.0
	v_mul_f64 v[82:83], v[96:97], v[84:85]
	v_xor_b32_e32 v85, 0x80000000, v85
.LBB38_133:
	s_andn2_saveexec_b64 s[8:9], s[8:9]
	s_cbranch_execz .LBB38_135
; %bb.134:
	v_div_scale_f64 v[96:97], s[20:21], v[82:83], v[82:83], v[84:85]
	v_rcp_f64_e32 v[98:99], v[96:97]
	v_fma_f64 v[100:101], -v[96:97], v[98:99], 1.0
	v_fma_f64 v[98:99], v[98:99], v[100:101], v[98:99]
	v_div_scale_f64 v[100:101], vcc, v[84:85], v[82:83], v[84:85]
	v_fma_f64 v[102:103], -v[96:97], v[98:99], 1.0
	v_fma_f64 v[98:99], v[98:99], v[102:103], v[98:99]
	v_mul_f64 v[102:103], v[100:101], v[98:99]
	v_fma_f64 v[96:97], -v[96:97], v[102:103], v[100:101]
	v_div_fmas_f64 v[96:97], v[96:97], v[98:99], v[102:103]
	v_div_fixup_f64 v[96:97], v[96:97], v[82:83], v[84:85]
	v_fma_f64 v[82:83], v[84:85], v[96:97], v[82:83]
	v_div_scale_f64 v[84:85], s[20:21], v[82:83], v[82:83], 1.0
	v_div_scale_f64 v[102:103], vcc, 1.0, v[82:83], 1.0
	v_rcp_f64_e32 v[98:99], v[84:85]
	v_fma_f64 v[100:101], -v[84:85], v[98:99], 1.0
	v_fma_f64 v[98:99], v[98:99], v[100:101], v[98:99]
	v_fma_f64 v[100:101], -v[84:85], v[98:99], 1.0
	v_fma_f64 v[98:99], v[98:99], v[100:101], v[98:99]
	v_mul_f64 v[100:101], v[102:103], v[98:99]
	v_fma_f64 v[84:85], -v[84:85], v[100:101], v[102:103]
	v_div_fmas_f64 v[84:85], v[84:85], v[98:99], v[100:101]
	v_div_fixup_f64 v[82:83], v[84:85], v[82:83], 1.0
	v_mul_f64 v[84:85], v[96:97], -v[82:83]
.LBB38_135:
	s_or_b64 exec, exec, s[8:9]
.LBB38_136:
	s_or_b64 exec, exec, s[0:1]
	v_cmp_ne_u32_e32 vcc, v92, v90
	s_and_saveexec_b64 s[0:1], vcc
	s_xor_b64 s[0:1], exec, s[0:1]
	s_cbranch_execz .LBB38_142
; %bb.137:
	v_cmp_eq_u32_e32 vcc, 6, v92
	s_and_saveexec_b64 s[8:9], vcc
	s_cbranch_execz .LBB38_141
; %bb.138:
	v_cmp_ne_u32_e32 vcc, 6, v90
	s_xor_b64 s[20:21], s[18:19], -1
	s_and_b64 s[24:25], s[20:21], vcc
	s_and_saveexec_b64 s[20:21], s[24:25]
	s_cbranch_execz .LBB38_140
; %bb.139:
	v_ashrrev_i32_e32 v91, 31, v90
	v_lshlrev_b64 v[91:92], 2, v[90:91]
	v_add_co_u32_e32 v91, vcc, v88, v91
	v_addc_co_u32_e32 v92, vcc, v89, v92, vcc
	global_load_dword v0, v[91:92], off
	global_load_dword v96, v[88:89], off offset:24
	s_waitcnt vmcnt(1)
	global_store_dword v[88:89], v0, off offset:24
	s_waitcnt vmcnt(1)
	global_store_dword v[91:92], v96, off
.LBB38_140:
	s_or_b64 exec, exec, s[20:21]
	v_mov_b32_e32 v92, v90
	v_mov_b32_e32 v0, v90
.LBB38_141:
	s_or_b64 exec, exec, s[8:9]
.LBB38_142:
	s_andn2_saveexec_b64 s[0:1], s[0:1]
	s_cbranch_execz .LBB38_144
; %bb.143:
	v_mov_b32_e32 v92, 6
	ds_write2_b64 v1, v[46:47], v[48:49] offset0:14 offset1:15
	ds_write2_b64 v1, v[42:43], v[44:45] offset0:16 offset1:17
	ds_write2_b64 v1, v[38:39], v[40:41] offset0:18 offset1:19
	ds_write2_b64 v1, v[34:35], v[36:37] offset0:20 offset1:21
	ds_write2_b64 v1, v[30:31], v[32:33] offset0:22 offset1:23
	ds_write2_b64 v1, v[26:27], v[28:29] offset0:24 offset1:25
	ds_write2_b64 v1, v[22:23], v[24:25] offset0:26 offset1:27
	ds_write2_b64 v1, v[18:19], v[20:21] offset0:28 offset1:29
	ds_write2_b64 v1, v[14:15], v[16:17] offset0:30 offset1:31
	ds_write2_b64 v1, v[10:11], v[12:13] offset0:32 offset1:33
	ds_write2_b64 v1, v[6:7], v[8:9] offset0:34 offset1:35
	ds_write2_b64 v1, v[2:3], v[4:5] offset0:36 offset1:37
	ds_write2_b64 v1, v[78:79], v[80:81] offset0:38 offset1:39
.LBB38_144:
	s_or_b64 exec, exec, s[0:1]
	v_cmp_lt_i32_e32 vcc, 6, v92
	s_waitcnt vmcnt(0) lgkmcnt(0)
	s_barrier
	s_and_saveexec_b64 s[0:1], vcc
	s_cbranch_execz .LBB38_146
; %bb.145:
	v_mul_f64 v[90:91], v[82:83], v[52:53]
	v_mul_f64 v[52:53], v[84:85], v[52:53]
	v_fma_f64 v[90:91], v[84:85], v[50:51], v[90:91]
	v_fma_f64 v[50:51], v[82:83], v[50:51], -v[52:53]
	ds_read2_b64 v[82:85], v1 offset0:14 offset1:15
	s_waitcnt lgkmcnt(0)
	v_mul_f64 v[52:53], v[84:85], v[90:91]
	v_fma_f64 v[52:53], v[82:83], v[50:51], -v[52:53]
	v_mul_f64 v[82:83], v[82:83], v[90:91]
	v_add_f64 v[46:47], v[46:47], -v[52:53]
	v_fma_f64 v[82:83], v[84:85], v[50:51], v[82:83]
	v_add_f64 v[48:49], v[48:49], -v[82:83]
	ds_read2_b64 v[82:85], v1 offset0:16 offset1:17
	s_waitcnt lgkmcnt(0)
	v_mul_f64 v[52:53], v[84:85], v[90:91]
	v_fma_f64 v[52:53], v[82:83], v[50:51], -v[52:53]
	v_mul_f64 v[82:83], v[82:83], v[90:91]
	v_add_f64 v[42:43], v[42:43], -v[52:53]
	v_fma_f64 v[82:83], v[84:85], v[50:51], v[82:83]
	v_add_f64 v[44:45], v[44:45], -v[82:83]
	;; [unrolled: 8-line block ×12, first 2 shown]
	ds_read2_b64 v[82:85], v1 offset0:38 offset1:39
	s_waitcnt lgkmcnt(0)
	v_mul_f64 v[52:53], v[84:85], v[90:91]
	v_fma_f64 v[52:53], v[82:83], v[50:51], -v[52:53]
	v_mul_f64 v[82:83], v[82:83], v[90:91]
	v_add_f64 v[78:79], v[78:79], -v[52:53]
	v_fma_f64 v[82:83], v[84:85], v[50:51], v[82:83]
	v_mov_b32_e32 v52, v90
	v_mov_b32_e32 v53, v91
	v_add_f64 v[80:81], v[80:81], -v[82:83]
.LBB38_146:
	s_or_b64 exec, exec, s[0:1]
	v_lshl_add_u32 v82, v92, 4, v1
	s_barrier
	ds_write2_b64 v82, v[46:47], v[48:49] offset1:1
	s_waitcnt lgkmcnt(0)
	s_barrier
	ds_read2_b64 v[82:85], v1 offset0:14 offset1:15
	s_cmp_lt_i32 s22, 9
	v_mov_b32_e32 v90, 7
	s_cbranch_scc1 .LBB38_149
; %bb.147:
	v_add_u32_e32 v91, 0x80, v1
	s_mov_b32 s7, 8
	v_mov_b32_e32 v90, 7
.LBB38_148:                             ; =>This Inner Loop Header: Depth=1
	s_waitcnt lgkmcnt(0)
	v_cmp_gt_f64_e32 vcc, 0, v[84:85]
	v_cmp_gt_f64_e64 s[0:1], 0, v[82:83]
	ds_read2_b64 v[96:99], v91 offset1:1
	v_xor_b32_e32 v101, 0x80000000, v83
	v_xor_b32_e32 v103, 0x80000000, v85
	v_mov_b32_e32 v100, v82
	v_mov_b32_e32 v102, v84
	s_waitcnt lgkmcnt(0)
	v_xor_b32_e32 v105, 0x80000000, v99
	v_cndmask_b32_e32 v103, v85, v103, vcc
	v_cndmask_b32_e64 v101, v83, v101, s[0:1]
	v_cmp_gt_f64_e32 vcc, 0, v[98:99]
	v_cmp_gt_f64_e64 s[0:1], 0, v[96:97]
	v_add_f64 v[100:101], v[100:101], v[102:103]
	v_xor_b32_e32 v103, 0x80000000, v97
	v_mov_b32_e32 v102, v96
	v_mov_b32_e32 v104, v98
	v_add_u32_e32 v91, 16, v91
	v_cndmask_b32_e32 v105, v99, v105, vcc
	v_cndmask_b32_e64 v103, v97, v103, s[0:1]
	v_add_f64 v[102:103], v[102:103], v[104:105]
	v_mov_b32_e32 v104, s7
	s_add_i32 s7, s7, 1
	s_cmp_lg_u32 s22, s7
	v_cmp_lt_f64_e32 vcc, v[100:101], v[102:103]
	v_cndmask_b32_e32 v83, v83, v97, vcc
	v_cndmask_b32_e32 v82, v82, v96, vcc
	;; [unrolled: 1-line block ×5, first 2 shown]
	s_cbranch_scc1 .LBB38_148
.LBB38_149:
	s_waitcnt lgkmcnt(0)
	v_cmp_eq_f64_e32 vcc, 0, v[82:83]
	v_cmp_eq_f64_e64 s[0:1], 0, v[84:85]
	s_and_b64 s[0:1], vcc, s[0:1]
	s_and_saveexec_b64 s[8:9], s[0:1]
	s_xor_b64 s[0:1], exec, s[8:9]
; %bb.150:
	v_cmp_ne_u32_e32 vcc, 0, v95
	v_cndmask_b32_e32 v95, 8, v95, vcc
; %bb.151:
	s_andn2_saveexec_b64 s[0:1], s[0:1]
	s_cbranch_execz .LBB38_157
; %bb.152:
	v_cmp_ngt_f64_e64 s[8:9], |v[82:83]|, |v[84:85]|
	s_and_saveexec_b64 s[20:21], s[8:9]
	s_xor_b64 s[8:9], exec, s[20:21]
	s_cbranch_execz .LBB38_154
; %bb.153:
	v_div_scale_f64 v[96:97], s[20:21], v[84:85], v[84:85], v[82:83]
	v_rcp_f64_e32 v[98:99], v[96:97]
	v_fma_f64 v[100:101], -v[96:97], v[98:99], 1.0
	v_fma_f64 v[98:99], v[98:99], v[100:101], v[98:99]
	v_div_scale_f64 v[100:101], vcc, v[82:83], v[84:85], v[82:83]
	v_fma_f64 v[102:103], -v[96:97], v[98:99], 1.0
	v_fma_f64 v[98:99], v[98:99], v[102:103], v[98:99]
	v_mul_f64 v[102:103], v[100:101], v[98:99]
	v_fma_f64 v[96:97], -v[96:97], v[102:103], v[100:101]
	v_div_fmas_f64 v[96:97], v[96:97], v[98:99], v[102:103]
	v_div_fixup_f64 v[96:97], v[96:97], v[84:85], v[82:83]
	v_fma_f64 v[82:83], v[82:83], v[96:97], v[84:85]
	v_div_scale_f64 v[84:85], s[20:21], v[82:83], v[82:83], 1.0
	v_div_scale_f64 v[102:103], vcc, 1.0, v[82:83], 1.0
	v_rcp_f64_e32 v[98:99], v[84:85]
	v_fma_f64 v[100:101], -v[84:85], v[98:99], 1.0
	v_fma_f64 v[98:99], v[98:99], v[100:101], v[98:99]
	v_fma_f64 v[100:101], -v[84:85], v[98:99], 1.0
	v_fma_f64 v[98:99], v[98:99], v[100:101], v[98:99]
	v_mul_f64 v[100:101], v[102:103], v[98:99]
	v_fma_f64 v[84:85], -v[84:85], v[100:101], v[102:103]
	v_div_fmas_f64 v[84:85], v[84:85], v[98:99], v[100:101]
	v_div_fixup_f64 v[84:85], v[84:85], v[82:83], 1.0
	v_mul_f64 v[82:83], v[96:97], v[84:85]
	v_xor_b32_e32 v85, 0x80000000, v85
.LBB38_154:
	s_andn2_saveexec_b64 s[8:9], s[8:9]
	s_cbranch_execz .LBB38_156
; %bb.155:
	v_div_scale_f64 v[96:97], s[20:21], v[82:83], v[82:83], v[84:85]
	v_rcp_f64_e32 v[98:99], v[96:97]
	v_fma_f64 v[100:101], -v[96:97], v[98:99], 1.0
	v_fma_f64 v[98:99], v[98:99], v[100:101], v[98:99]
	v_div_scale_f64 v[100:101], vcc, v[84:85], v[82:83], v[84:85]
	v_fma_f64 v[102:103], -v[96:97], v[98:99], 1.0
	v_fma_f64 v[98:99], v[98:99], v[102:103], v[98:99]
	v_mul_f64 v[102:103], v[100:101], v[98:99]
	v_fma_f64 v[96:97], -v[96:97], v[102:103], v[100:101]
	v_div_fmas_f64 v[96:97], v[96:97], v[98:99], v[102:103]
	v_div_fixup_f64 v[96:97], v[96:97], v[82:83], v[84:85]
	v_fma_f64 v[82:83], v[84:85], v[96:97], v[82:83]
	v_div_scale_f64 v[84:85], s[20:21], v[82:83], v[82:83], 1.0
	v_div_scale_f64 v[102:103], vcc, 1.0, v[82:83], 1.0
	v_rcp_f64_e32 v[98:99], v[84:85]
	v_fma_f64 v[100:101], -v[84:85], v[98:99], 1.0
	v_fma_f64 v[98:99], v[98:99], v[100:101], v[98:99]
	v_fma_f64 v[100:101], -v[84:85], v[98:99], 1.0
	v_fma_f64 v[98:99], v[98:99], v[100:101], v[98:99]
	v_mul_f64 v[100:101], v[102:103], v[98:99]
	v_fma_f64 v[84:85], -v[84:85], v[100:101], v[102:103]
	v_div_fmas_f64 v[84:85], v[84:85], v[98:99], v[100:101]
	v_div_fixup_f64 v[82:83], v[84:85], v[82:83], 1.0
	v_mul_f64 v[84:85], v[96:97], -v[82:83]
.LBB38_156:
	s_or_b64 exec, exec, s[8:9]
.LBB38_157:
	s_or_b64 exec, exec, s[0:1]
	v_cmp_ne_u32_e32 vcc, v92, v90
	s_and_saveexec_b64 s[0:1], vcc
	s_xor_b64 s[0:1], exec, s[0:1]
	s_cbranch_execz .LBB38_163
; %bb.158:
	v_cmp_eq_u32_e32 vcc, 7, v92
	s_and_saveexec_b64 s[8:9], vcc
	s_cbranch_execz .LBB38_162
; %bb.159:
	v_cmp_ne_u32_e32 vcc, 7, v90
	s_xor_b64 s[20:21], s[18:19], -1
	s_and_b64 s[24:25], s[20:21], vcc
	s_and_saveexec_b64 s[20:21], s[24:25]
	s_cbranch_execz .LBB38_161
; %bb.160:
	v_ashrrev_i32_e32 v91, 31, v90
	v_lshlrev_b64 v[91:92], 2, v[90:91]
	v_add_co_u32_e32 v91, vcc, v88, v91
	v_addc_co_u32_e32 v92, vcc, v89, v92, vcc
	global_load_dword v0, v[91:92], off
	global_load_dword v96, v[88:89], off offset:28
	s_waitcnt vmcnt(1)
	global_store_dword v[88:89], v0, off offset:28
	s_waitcnt vmcnt(1)
	global_store_dword v[91:92], v96, off
.LBB38_161:
	s_or_b64 exec, exec, s[20:21]
	v_mov_b32_e32 v92, v90
	v_mov_b32_e32 v0, v90
.LBB38_162:
	s_or_b64 exec, exec, s[8:9]
.LBB38_163:
	s_andn2_saveexec_b64 s[0:1], s[0:1]
	s_cbranch_execz .LBB38_165
; %bb.164:
	v_mov_b32_e32 v92, 7
	ds_write2_b64 v1, v[42:43], v[44:45] offset0:16 offset1:17
	ds_write2_b64 v1, v[38:39], v[40:41] offset0:18 offset1:19
	;; [unrolled: 1-line block ×12, first 2 shown]
.LBB38_165:
	s_or_b64 exec, exec, s[0:1]
	v_cmp_lt_i32_e32 vcc, 7, v92
	s_waitcnt vmcnt(0) lgkmcnt(0)
	s_barrier
	s_and_saveexec_b64 s[0:1], vcc
	s_cbranch_execz .LBB38_167
; %bb.166:
	v_mul_f64 v[90:91], v[82:83], v[48:49]
	v_mul_f64 v[48:49], v[84:85], v[48:49]
	v_fma_f64 v[90:91], v[84:85], v[46:47], v[90:91]
	v_fma_f64 v[46:47], v[82:83], v[46:47], -v[48:49]
	ds_read2_b64 v[82:85], v1 offset0:16 offset1:17
	s_waitcnt lgkmcnt(0)
	v_mul_f64 v[48:49], v[84:85], v[90:91]
	v_fma_f64 v[48:49], v[82:83], v[46:47], -v[48:49]
	v_mul_f64 v[82:83], v[82:83], v[90:91]
	v_add_f64 v[42:43], v[42:43], -v[48:49]
	v_fma_f64 v[82:83], v[84:85], v[46:47], v[82:83]
	v_add_f64 v[44:45], v[44:45], -v[82:83]
	ds_read2_b64 v[82:85], v1 offset0:18 offset1:19
	s_waitcnt lgkmcnt(0)
	v_mul_f64 v[48:49], v[84:85], v[90:91]
	v_fma_f64 v[48:49], v[82:83], v[46:47], -v[48:49]
	v_mul_f64 v[82:83], v[82:83], v[90:91]
	v_add_f64 v[38:39], v[38:39], -v[48:49]
	v_fma_f64 v[82:83], v[84:85], v[46:47], v[82:83]
	v_add_f64 v[40:41], v[40:41], -v[82:83]
	;; [unrolled: 8-line block ×11, first 2 shown]
	ds_read2_b64 v[82:85], v1 offset0:38 offset1:39
	s_waitcnt lgkmcnt(0)
	v_mul_f64 v[48:49], v[84:85], v[90:91]
	v_fma_f64 v[48:49], v[82:83], v[46:47], -v[48:49]
	v_mul_f64 v[82:83], v[82:83], v[90:91]
	v_add_f64 v[78:79], v[78:79], -v[48:49]
	v_fma_f64 v[82:83], v[84:85], v[46:47], v[82:83]
	v_mov_b32_e32 v48, v90
	v_mov_b32_e32 v49, v91
	v_add_f64 v[80:81], v[80:81], -v[82:83]
.LBB38_167:
	s_or_b64 exec, exec, s[0:1]
	v_lshl_add_u32 v82, v92, 4, v1
	s_barrier
	ds_write2_b64 v82, v[42:43], v[44:45] offset1:1
	s_waitcnt lgkmcnt(0)
	s_barrier
	ds_read2_b64 v[82:85], v1 offset0:16 offset1:17
	s_cmp_lt_i32 s22, 10
	v_mov_b32_e32 v90, 8
	s_cbranch_scc1 .LBB38_170
; %bb.168:
	v_add_u32_e32 v91, 0x90, v1
	s_mov_b32 s7, 9
	v_mov_b32_e32 v90, 8
.LBB38_169:                             ; =>This Inner Loop Header: Depth=1
	s_waitcnt lgkmcnt(0)
	v_cmp_gt_f64_e32 vcc, 0, v[84:85]
	v_cmp_gt_f64_e64 s[0:1], 0, v[82:83]
	ds_read2_b64 v[96:99], v91 offset1:1
	v_xor_b32_e32 v101, 0x80000000, v83
	v_xor_b32_e32 v103, 0x80000000, v85
	v_mov_b32_e32 v100, v82
	v_mov_b32_e32 v102, v84
	s_waitcnt lgkmcnt(0)
	v_xor_b32_e32 v105, 0x80000000, v99
	v_cndmask_b32_e32 v103, v85, v103, vcc
	v_cndmask_b32_e64 v101, v83, v101, s[0:1]
	v_cmp_gt_f64_e32 vcc, 0, v[98:99]
	v_cmp_gt_f64_e64 s[0:1], 0, v[96:97]
	v_add_f64 v[100:101], v[100:101], v[102:103]
	v_xor_b32_e32 v103, 0x80000000, v97
	v_mov_b32_e32 v102, v96
	v_mov_b32_e32 v104, v98
	v_add_u32_e32 v91, 16, v91
	v_cndmask_b32_e32 v105, v99, v105, vcc
	v_cndmask_b32_e64 v103, v97, v103, s[0:1]
	v_add_f64 v[102:103], v[102:103], v[104:105]
	v_mov_b32_e32 v104, s7
	s_add_i32 s7, s7, 1
	s_cmp_lg_u32 s22, s7
	v_cmp_lt_f64_e32 vcc, v[100:101], v[102:103]
	v_cndmask_b32_e32 v83, v83, v97, vcc
	v_cndmask_b32_e32 v82, v82, v96, vcc
	;; [unrolled: 1-line block ×5, first 2 shown]
	s_cbranch_scc1 .LBB38_169
.LBB38_170:
	s_waitcnt lgkmcnt(0)
	v_cmp_eq_f64_e32 vcc, 0, v[82:83]
	v_cmp_eq_f64_e64 s[0:1], 0, v[84:85]
	s_and_b64 s[0:1], vcc, s[0:1]
	s_and_saveexec_b64 s[8:9], s[0:1]
	s_xor_b64 s[0:1], exec, s[8:9]
; %bb.171:
	v_cmp_ne_u32_e32 vcc, 0, v95
	v_cndmask_b32_e32 v95, 9, v95, vcc
; %bb.172:
	s_andn2_saveexec_b64 s[0:1], s[0:1]
	s_cbranch_execz .LBB38_178
; %bb.173:
	v_cmp_ngt_f64_e64 s[8:9], |v[82:83]|, |v[84:85]|
	s_and_saveexec_b64 s[20:21], s[8:9]
	s_xor_b64 s[8:9], exec, s[20:21]
	s_cbranch_execz .LBB38_175
; %bb.174:
	v_div_scale_f64 v[96:97], s[20:21], v[84:85], v[84:85], v[82:83]
	v_rcp_f64_e32 v[98:99], v[96:97]
	v_fma_f64 v[100:101], -v[96:97], v[98:99], 1.0
	v_fma_f64 v[98:99], v[98:99], v[100:101], v[98:99]
	v_div_scale_f64 v[100:101], vcc, v[82:83], v[84:85], v[82:83]
	v_fma_f64 v[102:103], -v[96:97], v[98:99], 1.0
	v_fma_f64 v[98:99], v[98:99], v[102:103], v[98:99]
	v_mul_f64 v[102:103], v[100:101], v[98:99]
	v_fma_f64 v[96:97], -v[96:97], v[102:103], v[100:101]
	v_div_fmas_f64 v[96:97], v[96:97], v[98:99], v[102:103]
	v_div_fixup_f64 v[96:97], v[96:97], v[84:85], v[82:83]
	v_fma_f64 v[82:83], v[82:83], v[96:97], v[84:85]
	v_div_scale_f64 v[84:85], s[20:21], v[82:83], v[82:83], 1.0
	v_div_scale_f64 v[102:103], vcc, 1.0, v[82:83], 1.0
	v_rcp_f64_e32 v[98:99], v[84:85]
	v_fma_f64 v[100:101], -v[84:85], v[98:99], 1.0
	v_fma_f64 v[98:99], v[98:99], v[100:101], v[98:99]
	v_fma_f64 v[100:101], -v[84:85], v[98:99], 1.0
	v_fma_f64 v[98:99], v[98:99], v[100:101], v[98:99]
	v_mul_f64 v[100:101], v[102:103], v[98:99]
	v_fma_f64 v[84:85], -v[84:85], v[100:101], v[102:103]
	v_div_fmas_f64 v[84:85], v[84:85], v[98:99], v[100:101]
	v_div_fixup_f64 v[84:85], v[84:85], v[82:83], 1.0
	v_mul_f64 v[82:83], v[96:97], v[84:85]
	v_xor_b32_e32 v85, 0x80000000, v85
.LBB38_175:
	s_andn2_saveexec_b64 s[8:9], s[8:9]
	s_cbranch_execz .LBB38_177
; %bb.176:
	v_div_scale_f64 v[96:97], s[20:21], v[82:83], v[82:83], v[84:85]
	v_rcp_f64_e32 v[98:99], v[96:97]
	v_fma_f64 v[100:101], -v[96:97], v[98:99], 1.0
	v_fma_f64 v[98:99], v[98:99], v[100:101], v[98:99]
	v_div_scale_f64 v[100:101], vcc, v[84:85], v[82:83], v[84:85]
	v_fma_f64 v[102:103], -v[96:97], v[98:99], 1.0
	v_fma_f64 v[98:99], v[98:99], v[102:103], v[98:99]
	v_mul_f64 v[102:103], v[100:101], v[98:99]
	v_fma_f64 v[96:97], -v[96:97], v[102:103], v[100:101]
	v_div_fmas_f64 v[96:97], v[96:97], v[98:99], v[102:103]
	v_div_fixup_f64 v[96:97], v[96:97], v[82:83], v[84:85]
	v_fma_f64 v[82:83], v[84:85], v[96:97], v[82:83]
	v_div_scale_f64 v[84:85], s[20:21], v[82:83], v[82:83], 1.0
	v_div_scale_f64 v[102:103], vcc, 1.0, v[82:83], 1.0
	v_rcp_f64_e32 v[98:99], v[84:85]
	v_fma_f64 v[100:101], -v[84:85], v[98:99], 1.0
	v_fma_f64 v[98:99], v[98:99], v[100:101], v[98:99]
	v_fma_f64 v[100:101], -v[84:85], v[98:99], 1.0
	v_fma_f64 v[98:99], v[98:99], v[100:101], v[98:99]
	v_mul_f64 v[100:101], v[102:103], v[98:99]
	v_fma_f64 v[84:85], -v[84:85], v[100:101], v[102:103]
	v_div_fmas_f64 v[84:85], v[84:85], v[98:99], v[100:101]
	v_div_fixup_f64 v[82:83], v[84:85], v[82:83], 1.0
	v_mul_f64 v[84:85], v[96:97], -v[82:83]
.LBB38_177:
	s_or_b64 exec, exec, s[8:9]
.LBB38_178:
	s_or_b64 exec, exec, s[0:1]
	v_cmp_ne_u32_e32 vcc, v92, v90
	s_and_saveexec_b64 s[0:1], vcc
	s_xor_b64 s[0:1], exec, s[0:1]
	s_cbranch_execz .LBB38_184
; %bb.179:
	v_cmp_eq_u32_e32 vcc, 8, v92
	s_and_saveexec_b64 s[8:9], vcc
	s_cbranch_execz .LBB38_183
; %bb.180:
	v_cmp_ne_u32_e32 vcc, 8, v90
	s_xor_b64 s[20:21], s[18:19], -1
	s_and_b64 s[24:25], s[20:21], vcc
	s_and_saveexec_b64 s[20:21], s[24:25]
	s_cbranch_execz .LBB38_182
; %bb.181:
	v_ashrrev_i32_e32 v91, 31, v90
	v_lshlrev_b64 v[91:92], 2, v[90:91]
	v_add_co_u32_e32 v91, vcc, v88, v91
	v_addc_co_u32_e32 v92, vcc, v89, v92, vcc
	global_load_dword v0, v[91:92], off
	global_load_dword v96, v[88:89], off offset:32
	s_waitcnt vmcnt(1)
	global_store_dword v[88:89], v0, off offset:32
	s_waitcnt vmcnt(1)
	global_store_dword v[91:92], v96, off
.LBB38_182:
	s_or_b64 exec, exec, s[20:21]
	v_mov_b32_e32 v92, v90
	v_mov_b32_e32 v0, v90
.LBB38_183:
	s_or_b64 exec, exec, s[8:9]
.LBB38_184:
	s_andn2_saveexec_b64 s[0:1], s[0:1]
	s_cbranch_execz .LBB38_186
; %bb.185:
	v_mov_b32_e32 v92, 8
	ds_write2_b64 v1, v[38:39], v[40:41] offset0:18 offset1:19
	ds_write2_b64 v1, v[34:35], v[36:37] offset0:20 offset1:21
	;; [unrolled: 1-line block ×11, first 2 shown]
.LBB38_186:
	s_or_b64 exec, exec, s[0:1]
	v_cmp_lt_i32_e32 vcc, 8, v92
	s_waitcnt vmcnt(0) lgkmcnt(0)
	s_barrier
	s_and_saveexec_b64 s[0:1], vcc
	s_cbranch_execz .LBB38_188
; %bb.187:
	v_mul_f64 v[90:91], v[82:83], v[44:45]
	v_mul_f64 v[44:45], v[84:85], v[44:45]
	v_fma_f64 v[90:91], v[84:85], v[42:43], v[90:91]
	v_fma_f64 v[42:43], v[82:83], v[42:43], -v[44:45]
	ds_read2_b64 v[82:85], v1 offset0:18 offset1:19
	s_waitcnt lgkmcnt(0)
	v_mul_f64 v[44:45], v[84:85], v[90:91]
	v_fma_f64 v[44:45], v[82:83], v[42:43], -v[44:45]
	v_mul_f64 v[82:83], v[82:83], v[90:91]
	v_add_f64 v[38:39], v[38:39], -v[44:45]
	v_fma_f64 v[82:83], v[84:85], v[42:43], v[82:83]
	v_add_f64 v[40:41], v[40:41], -v[82:83]
	ds_read2_b64 v[82:85], v1 offset0:20 offset1:21
	s_waitcnt lgkmcnt(0)
	v_mul_f64 v[44:45], v[84:85], v[90:91]
	v_fma_f64 v[44:45], v[82:83], v[42:43], -v[44:45]
	v_mul_f64 v[82:83], v[82:83], v[90:91]
	v_add_f64 v[34:35], v[34:35], -v[44:45]
	v_fma_f64 v[82:83], v[84:85], v[42:43], v[82:83]
	v_add_f64 v[36:37], v[36:37], -v[82:83]
	;; [unrolled: 8-line block ×10, first 2 shown]
	ds_read2_b64 v[82:85], v1 offset0:38 offset1:39
	s_waitcnt lgkmcnt(0)
	v_mul_f64 v[44:45], v[84:85], v[90:91]
	v_fma_f64 v[44:45], v[82:83], v[42:43], -v[44:45]
	v_mul_f64 v[82:83], v[82:83], v[90:91]
	v_add_f64 v[78:79], v[78:79], -v[44:45]
	v_fma_f64 v[82:83], v[84:85], v[42:43], v[82:83]
	v_mov_b32_e32 v44, v90
	v_mov_b32_e32 v45, v91
	v_add_f64 v[80:81], v[80:81], -v[82:83]
.LBB38_188:
	s_or_b64 exec, exec, s[0:1]
	v_lshl_add_u32 v82, v92, 4, v1
	s_barrier
	ds_write2_b64 v82, v[38:39], v[40:41] offset1:1
	s_waitcnt lgkmcnt(0)
	s_barrier
	ds_read2_b64 v[82:85], v1 offset0:18 offset1:19
	s_cmp_lt_i32 s22, 11
	v_mov_b32_e32 v90, 9
	s_cbranch_scc1 .LBB38_191
; %bb.189:
	v_add_u32_e32 v91, 0xa0, v1
	s_mov_b32 s7, 10
	v_mov_b32_e32 v90, 9
.LBB38_190:                             ; =>This Inner Loop Header: Depth=1
	s_waitcnt lgkmcnt(0)
	v_cmp_gt_f64_e32 vcc, 0, v[84:85]
	v_cmp_gt_f64_e64 s[0:1], 0, v[82:83]
	ds_read2_b64 v[96:99], v91 offset1:1
	v_xor_b32_e32 v101, 0x80000000, v83
	v_xor_b32_e32 v103, 0x80000000, v85
	v_mov_b32_e32 v100, v82
	v_mov_b32_e32 v102, v84
	s_waitcnt lgkmcnt(0)
	v_xor_b32_e32 v105, 0x80000000, v99
	v_cndmask_b32_e32 v103, v85, v103, vcc
	v_cndmask_b32_e64 v101, v83, v101, s[0:1]
	v_cmp_gt_f64_e32 vcc, 0, v[98:99]
	v_cmp_gt_f64_e64 s[0:1], 0, v[96:97]
	v_add_f64 v[100:101], v[100:101], v[102:103]
	v_xor_b32_e32 v103, 0x80000000, v97
	v_mov_b32_e32 v102, v96
	v_mov_b32_e32 v104, v98
	v_add_u32_e32 v91, 16, v91
	v_cndmask_b32_e32 v105, v99, v105, vcc
	v_cndmask_b32_e64 v103, v97, v103, s[0:1]
	v_add_f64 v[102:103], v[102:103], v[104:105]
	v_mov_b32_e32 v104, s7
	s_add_i32 s7, s7, 1
	s_cmp_lg_u32 s22, s7
	v_cmp_lt_f64_e32 vcc, v[100:101], v[102:103]
	v_cndmask_b32_e32 v83, v83, v97, vcc
	v_cndmask_b32_e32 v82, v82, v96, vcc
	;; [unrolled: 1-line block ×5, first 2 shown]
	s_cbranch_scc1 .LBB38_190
.LBB38_191:
	s_waitcnt lgkmcnt(0)
	v_cmp_eq_f64_e32 vcc, 0, v[82:83]
	v_cmp_eq_f64_e64 s[0:1], 0, v[84:85]
	s_and_b64 s[0:1], vcc, s[0:1]
	s_and_saveexec_b64 s[8:9], s[0:1]
	s_xor_b64 s[0:1], exec, s[8:9]
; %bb.192:
	v_cmp_ne_u32_e32 vcc, 0, v95
	v_cndmask_b32_e32 v95, 10, v95, vcc
; %bb.193:
	s_andn2_saveexec_b64 s[0:1], s[0:1]
	s_cbranch_execz .LBB38_199
; %bb.194:
	v_cmp_ngt_f64_e64 s[8:9], |v[82:83]|, |v[84:85]|
	s_and_saveexec_b64 s[20:21], s[8:9]
	s_xor_b64 s[8:9], exec, s[20:21]
	s_cbranch_execz .LBB38_196
; %bb.195:
	v_div_scale_f64 v[96:97], s[20:21], v[84:85], v[84:85], v[82:83]
	v_rcp_f64_e32 v[98:99], v[96:97]
	v_fma_f64 v[100:101], -v[96:97], v[98:99], 1.0
	v_fma_f64 v[98:99], v[98:99], v[100:101], v[98:99]
	v_div_scale_f64 v[100:101], vcc, v[82:83], v[84:85], v[82:83]
	v_fma_f64 v[102:103], -v[96:97], v[98:99], 1.0
	v_fma_f64 v[98:99], v[98:99], v[102:103], v[98:99]
	v_mul_f64 v[102:103], v[100:101], v[98:99]
	v_fma_f64 v[96:97], -v[96:97], v[102:103], v[100:101]
	v_div_fmas_f64 v[96:97], v[96:97], v[98:99], v[102:103]
	v_div_fixup_f64 v[96:97], v[96:97], v[84:85], v[82:83]
	v_fma_f64 v[82:83], v[82:83], v[96:97], v[84:85]
	v_div_scale_f64 v[84:85], s[20:21], v[82:83], v[82:83], 1.0
	v_div_scale_f64 v[102:103], vcc, 1.0, v[82:83], 1.0
	v_rcp_f64_e32 v[98:99], v[84:85]
	v_fma_f64 v[100:101], -v[84:85], v[98:99], 1.0
	v_fma_f64 v[98:99], v[98:99], v[100:101], v[98:99]
	v_fma_f64 v[100:101], -v[84:85], v[98:99], 1.0
	v_fma_f64 v[98:99], v[98:99], v[100:101], v[98:99]
	v_mul_f64 v[100:101], v[102:103], v[98:99]
	v_fma_f64 v[84:85], -v[84:85], v[100:101], v[102:103]
	v_div_fmas_f64 v[84:85], v[84:85], v[98:99], v[100:101]
	v_div_fixup_f64 v[84:85], v[84:85], v[82:83], 1.0
	v_mul_f64 v[82:83], v[96:97], v[84:85]
	v_xor_b32_e32 v85, 0x80000000, v85
.LBB38_196:
	s_andn2_saveexec_b64 s[8:9], s[8:9]
	s_cbranch_execz .LBB38_198
; %bb.197:
	v_div_scale_f64 v[96:97], s[20:21], v[82:83], v[82:83], v[84:85]
	v_rcp_f64_e32 v[98:99], v[96:97]
	v_fma_f64 v[100:101], -v[96:97], v[98:99], 1.0
	v_fma_f64 v[98:99], v[98:99], v[100:101], v[98:99]
	v_div_scale_f64 v[100:101], vcc, v[84:85], v[82:83], v[84:85]
	v_fma_f64 v[102:103], -v[96:97], v[98:99], 1.0
	v_fma_f64 v[98:99], v[98:99], v[102:103], v[98:99]
	v_mul_f64 v[102:103], v[100:101], v[98:99]
	v_fma_f64 v[96:97], -v[96:97], v[102:103], v[100:101]
	v_div_fmas_f64 v[96:97], v[96:97], v[98:99], v[102:103]
	v_div_fixup_f64 v[96:97], v[96:97], v[82:83], v[84:85]
	v_fma_f64 v[82:83], v[84:85], v[96:97], v[82:83]
	v_div_scale_f64 v[84:85], s[20:21], v[82:83], v[82:83], 1.0
	v_div_scale_f64 v[102:103], vcc, 1.0, v[82:83], 1.0
	v_rcp_f64_e32 v[98:99], v[84:85]
	v_fma_f64 v[100:101], -v[84:85], v[98:99], 1.0
	v_fma_f64 v[98:99], v[98:99], v[100:101], v[98:99]
	v_fma_f64 v[100:101], -v[84:85], v[98:99], 1.0
	v_fma_f64 v[98:99], v[98:99], v[100:101], v[98:99]
	v_mul_f64 v[100:101], v[102:103], v[98:99]
	v_fma_f64 v[84:85], -v[84:85], v[100:101], v[102:103]
	v_div_fmas_f64 v[84:85], v[84:85], v[98:99], v[100:101]
	v_div_fixup_f64 v[82:83], v[84:85], v[82:83], 1.0
	v_mul_f64 v[84:85], v[96:97], -v[82:83]
.LBB38_198:
	s_or_b64 exec, exec, s[8:9]
.LBB38_199:
	s_or_b64 exec, exec, s[0:1]
	v_cmp_ne_u32_e32 vcc, v92, v90
	s_and_saveexec_b64 s[0:1], vcc
	s_xor_b64 s[0:1], exec, s[0:1]
	s_cbranch_execz .LBB38_205
; %bb.200:
	v_cmp_eq_u32_e32 vcc, 9, v92
	s_and_saveexec_b64 s[8:9], vcc
	s_cbranch_execz .LBB38_204
; %bb.201:
	v_cmp_ne_u32_e32 vcc, 9, v90
	s_xor_b64 s[20:21], s[18:19], -1
	s_and_b64 s[24:25], s[20:21], vcc
	s_and_saveexec_b64 s[20:21], s[24:25]
	s_cbranch_execz .LBB38_203
; %bb.202:
	v_ashrrev_i32_e32 v91, 31, v90
	v_lshlrev_b64 v[91:92], 2, v[90:91]
	v_add_co_u32_e32 v91, vcc, v88, v91
	v_addc_co_u32_e32 v92, vcc, v89, v92, vcc
	global_load_dword v0, v[91:92], off
	global_load_dword v96, v[88:89], off offset:36
	s_waitcnt vmcnt(1)
	global_store_dword v[88:89], v0, off offset:36
	s_waitcnt vmcnt(1)
	global_store_dword v[91:92], v96, off
.LBB38_203:
	s_or_b64 exec, exec, s[20:21]
	v_mov_b32_e32 v92, v90
	v_mov_b32_e32 v0, v90
.LBB38_204:
	s_or_b64 exec, exec, s[8:9]
.LBB38_205:
	s_andn2_saveexec_b64 s[0:1], s[0:1]
	s_cbranch_execz .LBB38_207
; %bb.206:
	v_mov_b32_e32 v92, 9
	ds_write2_b64 v1, v[34:35], v[36:37] offset0:20 offset1:21
	ds_write2_b64 v1, v[30:31], v[32:33] offset0:22 offset1:23
	;; [unrolled: 1-line block ×10, first 2 shown]
.LBB38_207:
	s_or_b64 exec, exec, s[0:1]
	v_cmp_lt_i32_e32 vcc, 9, v92
	s_waitcnt vmcnt(0) lgkmcnt(0)
	s_barrier
	s_and_saveexec_b64 s[0:1], vcc
	s_cbranch_execz .LBB38_209
; %bb.208:
	v_mul_f64 v[90:91], v[82:83], v[40:41]
	v_mul_f64 v[40:41], v[84:85], v[40:41]
	v_fma_f64 v[90:91], v[84:85], v[38:39], v[90:91]
	v_fma_f64 v[38:39], v[82:83], v[38:39], -v[40:41]
	ds_read2_b64 v[82:85], v1 offset0:20 offset1:21
	s_waitcnt lgkmcnt(0)
	v_mul_f64 v[40:41], v[84:85], v[90:91]
	v_fma_f64 v[40:41], v[82:83], v[38:39], -v[40:41]
	v_mul_f64 v[82:83], v[82:83], v[90:91]
	v_add_f64 v[34:35], v[34:35], -v[40:41]
	v_fma_f64 v[82:83], v[84:85], v[38:39], v[82:83]
	v_add_f64 v[36:37], v[36:37], -v[82:83]
	ds_read2_b64 v[82:85], v1 offset0:22 offset1:23
	s_waitcnt lgkmcnt(0)
	v_mul_f64 v[40:41], v[84:85], v[90:91]
	v_fma_f64 v[40:41], v[82:83], v[38:39], -v[40:41]
	v_mul_f64 v[82:83], v[82:83], v[90:91]
	v_add_f64 v[30:31], v[30:31], -v[40:41]
	v_fma_f64 v[82:83], v[84:85], v[38:39], v[82:83]
	v_add_f64 v[32:33], v[32:33], -v[82:83]
	;; [unrolled: 8-line block ×9, first 2 shown]
	ds_read2_b64 v[82:85], v1 offset0:38 offset1:39
	s_waitcnt lgkmcnt(0)
	v_mul_f64 v[40:41], v[84:85], v[90:91]
	v_fma_f64 v[40:41], v[82:83], v[38:39], -v[40:41]
	v_mul_f64 v[82:83], v[82:83], v[90:91]
	v_add_f64 v[78:79], v[78:79], -v[40:41]
	v_fma_f64 v[82:83], v[84:85], v[38:39], v[82:83]
	v_mov_b32_e32 v40, v90
	v_mov_b32_e32 v41, v91
	v_add_f64 v[80:81], v[80:81], -v[82:83]
.LBB38_209:
	s_or_b64 exec, exec, s[0:1]
	v_lshl_add_u32 v82, v92, 4, v1
	s_barrier
	ds_write2_b64 v82, v[34:35], v[36:37] offset1:1
	s_waitcnt lgkmcnt(0)
	s_barrier
	ds_read2_b64 v[82:85], v1 offset0:20 offset1:21
	s_cmp_lt_i32 s22, 12
	v_mov_b32_e32 v90, 10
	s_cbranch_scc1 .LBB38_212
; %bb.210:
	v_add_u32_e32 v91, 0xb0, v1
	s_mov_b32 s7, 11
	v_mov_b32_e32 v90, 10
.LBB38_211:                             ; =>This Inner Loop Header: Depth=1
	s_waitcnt lgkmcnt(0)
	v_cmp_gt_f64_e32 vcc, 0, v[84:85]
	v_cmp_gt_f64_e64 s[0:1], 0, v[82:83]
	ds_read2_b64 v[96:99], v91 offset1:1
	v_xor_b32_e32 v101, 0x80000000, v83
	v_xor_b32_e32 v103, 0x80000000, v85
	v_mov_b32_e32 v100, v82
	v_mov_b32_e32 v102, v84
	s_waitcnt lgkmcnt(0)
	v_xor_b32_e32 v105, 0x80000000, v99
	v_cndmask_b32_e32 v103, v85, v103, vcc
	v_cndmask_b32_e64 v101, v83, v101, s[0:1]
	v_cmp_gt_f64_e32 vcc, 0, v[98:99]
	v_cmp_gt_f64_e64 s[0:1], 0, v[96:97]
	v_add_f64 v[100:101], v[100:101], v[102:103]
	v_xor_b32_e32 v103, 0x80000000, v97
	v_mov_b32_e32 v102, v96
	v_mov_b32_e32 v104, v98
	v_add_u32_e32 v91, 16, v91
	v_cndmask_b32_e32 v105, v99, v105, vcc
	v_cndmask_b32_e64 v103, v97, v103, s[0:1]
	v_add_f64 v[102:103], v[102:103], v[104:105]
	v_mov_b32_e32 v104, s7
	s_add_i32 s7, s7, 1
	s_cmp_lg_u32 s22, s7
	v_cmp_lt_f64_e32 vcc, v[100:101], v[102:103]
	v_cndmask_b32_e32 v83, v83, v97, vcc
	v_cndmask_b32_e32 v82, v82, v96, vcc
	;; [unrolled: 1-line block ×5, first 2 shown]
	s_cbranch_scc1 .LBB38_211
.LBB38_212:
	s_waitcnt lgkmcnt(0)
	v_cmp_eq_f64_e32 vcc, 0, v[82:83]
	v_cmp_eq_f64_e64 s[0:1], 0, v[84:85]
	s_and_b64 s[0:1], vcc, s[0:1]
	s_and_saveexec_b64 s[8:9], s[0:1]
	s_xor_b64 s[0:1], exec, s[8:9]
; %bb.213:
	v_cmp_ne_u32_e32 vcc, 0, v95
	v_cndmask_b32_e32 v95, 11, v95, vcc
; %bb.214:
	s_andn2_saveexec_b64 s[0:1], s[0:1]
	s_cbranch_execz .LBB38_220
; %bb.215:
	v_cmp_ngt_f64_e64 s[8:9], |v[82:83]|, |v[84:85]|
	s_and_saveexec_b64 s[20:21], s[8:9]
	s_xor_b64 s[8:9], exec, s[20:21]
	s_cbranch_execz .LBB38_217
; %bb.216:
	v_div_scale_f64 v[96:97], s[20:21], v[84:85], v[84:85], v[82:83]
	v_rcp_f64_e32 v[98:99], v[96:97]
	v_fma_f64 v[100:101], -v[96:97], v[98:99], 1.0
	v_fma_f64 v[98:99], v[98:99], v[100:101], v[98:99]
	v_div_scale_f64 v[100:101], vcc, v[82:83], v[84:85], v[82:83]
	v_fma_f64 v[102:103], -v[96:97], v[98:99], 1.0
	v_fma_f64 v[98:99], v[98:99], v[102:103], v[98:99]
	v_mul_f64 v[102:103], v[100:101], v[98:99]
	v_fma_f64 v[96:97], -v[96:97], v[102:103], v[100:101]
	v_div_fmas_f64 v[96:97], v[96:97], v[98:99], v[102:103]
	v_div_fixup_f64 v[96:97], v[96:97], v[84:85], v[82:83]
	v_fma_f64 v[82:83], v[82:83], v[96:97], v[84:85]
	v_div_scale_f64 v[84:85], s[20:21], v[82:83], v[82:83], 1.0
	v_div_scale_f64 v[102:103], vcc, 1.0, v[82:83], 1.0
	v_rcp_f64_e32 v[98:99], v[84:85]
	v_fma_f64 v[100:101], -v[84:85], v[98:99], 1.0
	v_fma_f64 v[98:99], v[98:99], v[100:101], v[98:99]
	v_fma_f64 v[100:101], -v[84:85], v[98:99], 1.0
	v_fma_f64 v[98:99], v[98:99], v[100:101], v[98:99]
	v_mul_f64 v[100:101], v[102:103], v[98:99]
	v_fma_f64 v[84:85], -v[84:85], v[100:101], v[102:103]
	v_div_fmas_f64 v[84:85], v[84:85], v[98:99], v[100:101]
	v_div_fixup_f64 v[84:85], v[84:85], v[82:83], 1.0
	v_mul_f64 v[82:83], v[96:97], v[84:85]
	v_xor_b32_e32 v85, 0x80000000, v85
.LBB38_217:
	s_andn2_saveexec_b64 s[8:9], s[8:9]
	s_cbranch_execz .LBB38_219
; %bb.218:
	v_div_scale_f64 v[96:97], s[20:21], v[82:83], v[82:83], v[84:85]
	v_rcp_f64_e32 v[98:99], v[96:97]
	v_fma_f64 v[100:101], -v[96:97], v[98:99], 1.0
	v_fma_f64 v[98:99], v[98:99], v[100:101], v[98:99]
	v_div_scale_f64 v[100:101], vcc, v[84:85], v[82:83], v[84:85]
	v_fma_f64 v[102:103], -v[96:97], v[98:99], 1.0
	v_fma_f64 v[98:99], v[98:99], v[102:103], v[98:99]
	v_mul_f64 v[102:103], v[100:101], v[98:99]
	v_fma_f64 v[96:97], -v[96:97], v[102:103], v[100:101]
	v_div_fmas_f64 v[96:97], v[96:97], v[98:99], v[102:103]
	v_div_fixup_f64 v[96:97], v[96:97], v[82:83], v[84:85]
	v_fma_f64 v[82:83], v[84:85], v[96:97], v[82:83]
	v_div_scale_f64 v[84:85], s[20:21], v[82:83], v[82:83], 1.0
	v_div_scale_f64 v[102:103], vcc, 1.0, v[82:83], 1.0
	v_rcp_f64_e32 v[98:99], v[84:85]
	v_fma_f64 v[100:101], -v[84:85], v[98:99], 1.0
	v_fma_f64 v[98:99], v[98:99], v[100:101], v[98:99]
	v_fma_f64 v[100:101], -v[84:85], v[98:99], 1.0
	v_fma_f64 v[98:99], v[98:99], v[100:101], v[98:99]
	v_mul_f64 v[100:101], v[102:103], v[98:99]
	v_fma_f64 v[84:85], -v[84:85], v[100:101], v[102:103]
	v_div_fmas_f64 v[84:85], v[84:85], v[98:99], v[100:101]
	v_div_fixup_f64 v[82:83], v[84:85], v[82:83], 1.0
	v_mul_f64 v[84:85], v[96:97], -v[82:83]
.LBB38_219:
	s_or_b64 exec, exec, s[8:9]
.LBB38_220:
	s_or_b64 exec, exec, s[0:1]
	v_cmp_ne_u32_e32 vcc, v92, v90
	s_and_saveexec_b64 s[0:1], vcc
	s_xor_b64 s[0:1], exec, s[0:1]
	s_cbranch_execz .LBB38_226
; %bb.221:
	v_cmp_eq_u32_e32 vcc, 10, v92
	s_and_saveexec_b64 s[8:9], vcc
	s_cbranch_execz .LBB38_225
; %bb.222:
	v_cmp_ne_u32_e32 vcc, 10, v90
	s_xor_b64 s[20:21], s[18:19], -1
	s_and_b64 s[24:25], s[20:21], vcc
	s_and_saveexec_b64 s[20:21], s[24:25]
	s_cbranch_execz .LBB38_224
; %bb.223:
	v_ashrrev_i32_e32 v91, 31, v90
	v_lshlrev_b64 v[91:92], 2, v[90:91]
	v_add_co_u32_e32 v91, vcc, v88, v91
	v_addc_co_u32_e32 v92, vcc, v89, v92, vcc
	global_load_dword v0, v[91:92], off
	global_load_dword v96, v[88:89], off offset:40
	s_waitcnt vmcnt(1)
	global_store_dword v[88:89], v0, off offset:40
	s_waitcnt vmcnt(1)
	global_store_dword v[91:92], v96, off
.LBB38_224:
	s_or_b64 exec, exec, s[20:21]
	v_mov_b32_e32 v92, v90
	v_mov_b32_e32 v0, v90
.LBB38_225:
	s_or_b64 exec, exec, s[8:9]
.LBB38_226:
	s_andn2_saveexec_b64 s[0:1], s[0:1]
	s_cbranch_execz .LBB38_228
; %bb.227:
	v_mov_b32_e32 v92, 10
	ds_write2_b64 v1, v[30:31], v[32:33] offset0:22 offset1:23
	ds_write2_b64 v1, v[26:27], v[28:29] offset0:24 offset1:25
	;; [unrolled: 1-line block ×9, first 2 shown]
.LBB38_228:
	s_or_b64 exec, exec, s[0:1]
	v_cmp_lt_i32_e32 vcc, 10, v92
	s_waitcnt vmcnt(0) lgkmcnt(0)
	s_barrier
	s_and_saveexec_b64 s[0:1], vcc
	s_cbranch_execz .LBB38_230
; %bb.229:
	v_mul_f64 v[90:91], v[82:83], v[36:37]
	v_mul_f64 v[36:37], v[84:85], v[36:37]
	v_fma_f64 v[90:91], v[84:85], v[34:35], v[90:91]
	v_fma_f64 v[34:35], v[82:83], v[34:35], -v[36:37]
	ds_read2_b64 v[82:85], v1 offset0:22 offset1:23
	s_waitcnt lgkmcnt(0)
	v_mul_f64 v[36:37], v[84:85], v[90:91]
	v_fma_f64 v[36:37], v[82:83], v[34:35], -v[36:37]
	v_mul_f64 v[82:83], v[82:83], v[90:91]
	v_add_f64 v[30:31], v[30:31], -v[36:37]
	v_fma_f64 v[82:83], v[84:85], v[34:35], v[82:83]
	v_add_f64 v[32:33], v[32:33], -v[82:83]
	ds_read2_b64 v[82:85], v1 offset0:24 offset1:25
	s_waitcnt lgkmcnt(0)
	v_mul_f64 v[36:37], v[84:85], v[90:91]
	v_fma_f64 v[36:37], v[82:83], v[34:35], -v[36:37]
	v_mul_f64 v[82:83], v[82:83], v[90:91]
	v_add_f64 v[26:27], v[26:27], -v[36:37]
	v_fma_f64 v[82:83], v[84:85], v[34:35], v[82:83]
	v_add_f64 v[28:29], v[28:29], -v[82:83]
	;; [unrolled: 8-line block ×8, first 2 shown]
	ds_read2_b64 v[82:85], v1 offset0:38 offset1:39
	s_waitcnt lgkmcnt(0)
	v_mul_f64 v[36:37], v[84:85], v[90:91]
	v_fma_f64 v[36:37], v[82:83], v[34:35], -v[36:37]
	v_mul_f64 v[82:83], v[82:83], v[90:91]
	v_add_f64 v[78:79], v[78:79], -v[36:37]
	v_fma_f64 v[82:83], v[84:85], v[34:35], v[82:83]
	v_mov_b32_e32 v36, v90
	v_mov_b32_e32 v37, v91
	v_add_f64 v[80:81], v[80:81], -v[82:83]
.LBB38_230:
	s_or_b64 exec, exec, s[0:1]
	v_lshl_add_u32 v82, v92, 4, v1
	s_barrier
	ds_write2_b64 v82, v[30:31], v[32:33] offset1:1
	s_waitcnt lgkmcnt(0)
	s_barrier
	ds_read2_b64 v[82:85], v1 offset0:22 offset1:23
	s_cmp_lt_i32 s22, 13
	v_mov_b32_e32 v90, 11
	s_cbranch_scc1 .LBB38_233
; %bb.231:
	v_add_u32_e32 v91, 0xc0, v1
	s_mov_b32 s7, 12
	v_mov_b32_e32 v90, 11
.LBB38_232:                             ; =>This Inner Loop Header: Depth=1
	s_waitcnt lgkmcnt(0)
	v_cmp_gt_f64_e32 vcc, 0, v[84:85]
	v_cmp_gt_f64_e64 s[0:1], 0, v[82:83]
	ds_read2_b64 v[96:99], v91 offset1:1
	v_xor_b32_e32 v101, 0x80000000, v83
	v_xor_b32_e32 v103, 0x80000000, v85
	v_mov_b32_e32 v100, v82
	v_mov_b32_e32 v102, v84
	s_waitcnt lgkmcnt(0)
	v_xor_b32_e32 v105, 0x80000000, v99
	v_cndmask_b32_e32 v103, v85, v103, vcc
	v_cndmask_b32_e64 v101, v83, v101, s[0:1]
	v_cmp_gt_f64_e32 vcc, 0, v[98:99]
	v_cmp_gt_f64_e64 s[0:1], 0, v[96:97]
	v_add_f64 v[100:101], v[100:101], v[102:103]
	v_xor_b32_e32 v103, 0x80000000, v97
	v_mov_b32_e32 v102, v96
	v_mov_b32_e32 v104, v98
	v_add_u32_e32 v91, 16, v91
	v_cndmask_b32_e32 v105, v99, v105, vcc
	v_cndmask_b32_e64 v103, v97, v103, s[0:1]
	v_add_f64 v[102:103], v[102:103], v[104:105]
	v_mov_b32_e32 v104, s7
	s_add_i32 s7, s7, 1
	s_cmp_lg_u32 s22, s7
	v_cmp_lt_f64_e32 vcc, v[100:101], v[102:103]
	v_cndmask_b32_e32 v83, v83, v97, vcc
	v_cndmask_b32_e32 v82, v82, v96, vcc
	;; [unrolled: 1-line block ×5, first 2 shown]
	s_cbranch_scc1 .LBB38_232
.LBB38_233:
	s_waitcnt lgkmcnt(0)
	v_cmp_eq_f64_e32 vcc, 0, v[82:83]
	v_cmp_eq_f64_e64 s[0:1], 0, v[84:85]
	s_and_b64 s[0:1], vcc, s[0:1]
	s_and_saveexec_b64 s[8:9], s[0:1]
	s_xor_b64 s[0:1], exec, s[8:9]
; %bb.234:
	v_cmp_ne_u32_e32 vcc, 0, v95
	v_cndmask_b32_e32 v95, 12, v95, vcc
; %bb.235:
	s_andn2_saveexec_b64 s[0:1], s[0:1]
	s_cbranch_execz .LBB38_241
; %bb.236:
	v_cmp_ngt_f64_e64 s[8:9], |v[82:83]|, |v[84:85]|
	s_and_saveexec_b64 s[20:21], s[8:9]
	s_xor_b64 s[8:9], exec, s[20:21]
	s_cbranch_execz .LBB38_238
; %bb.237:
	v_div_scale_f64 v[96:97], s[20:21], v[84:85], v[84:85], v[82:83]
	v_rcp_f64_e32 v[98:99], v[96:97]
	v_fma_f64 v[100:101], -v[96:97], v[98:99], 1.0
	v_fma_f64 v[98:99], v[98:99], v[100:101], v[98:99]
	v_div_scale_f64 v[100:101], vcc, v[82:83], v[84:85], v[82:83]
	v_fma_f64 v[102:103], -v[96:97], v[98:99], 1.0
	v_fma_f64 v[98:99], v[98:99], v[102:103], v[98:99]
	v_mul_f64 v[102:103], v[100:101], v[98:99]
	v_fma_f64 v[96:97], -v[96:97], v[102:103], v[100:101]
	v_div_fmas_f64 v[96:97], v[96:97], v[98:99], v[102:103]
	v_div_fixup_f64 v[96:97], v[96:97], v[84:85], v[82:83]
	v_fma_f64 v[82:83], v[82:83], v[96:97], v[84:85]
	v_div_scale_f64 v[84:85], s[20:21], v[82:83], v[82:83], 1.0
	v_div_scale_f64 v[102:103], vcc, 1.0, v[82:83], 1.0
	v_rcp_f64_e32 v[98:99], v[84:85]
	v_fma_f64 v[100:101], -v[84:85], v[98:99], 1.0
	v_fma_f64 v[98:99], v[98:99], v[100:101], v[98:99]
	v_fma_f64 v[100:101], -v[84:85], v[98:99], 1.0
	v_fma_f64 v[98:99], v[98:99], v[100:101], v[98:99]
	v_mul_f64 v[100:101], v[102:103], v[98:99]
	v_fma_f64 v[84:85], -v[84:85], v[100:101], v[102:103]
	v_div_fmas_f64 v[84:85], v[84:85], v[98:99], v[100:101]
	v_div_fixup_f64 v[84:85], v[84:85], v[82:83], 1.0
	v_mul_f64 v[82:83], v[96:97], v[84:85]
	v_xor_b32_e32 v85, 0x80000000, v85
.LBB38_238:
	s_andn2_saveexec_b64 s[8:9], s[8:9]
	s_cbranch_execz .LBB38_240
; %bb.239:
	v_div_scale_f64 v[96:97], s[20:21], v[82:83], v[82:83], v[84:85]
	v_rcp_f64_e32 v[98:99], v[96:97]
	v_fma_f64 v[100:101], -v[96:97], v[98:99], 1.0
	v_fma_f64 v[98:99], v[98:99], v[100:101], v[98:99]
	v_div_scale_f64 v[100:101], vcc, v[84:85], v[82:83], v[84:85]
	v_fma_f64 v[102:103], -v[96:97], v[98:99], 1.0
	v_fma_f64 v[98:99], v[98:99], v[102:103], v[98:99]
	v_mul_f64 v[102:103], v[100:101], v[98:99]
	v_fma_f64 v[96:97], -v[96:97], v[102:103], v[100:101]
	v_div_fmas_f64 v[96:97], v[96:97], v[98:99], v[102:103]
	v_div_fixup_f64 v[96:97], v[96:97], v[82:83], v[84:85]
	v_fma_f64 v[82:83], v[84:85], v[96:97], v[82:83]
	v_div_scale_f64 v[84:85], s[20:21], v[82:83], v[82:83], 1.0
	v_div_scale_f64 v[102:103], vcc, 1.0, v[82:83], 1.0
	v_rcp_f64_e32 v[98:99], v[84:85]
	v_fma_f64 v[100:101], -v[84:85], v[98:99], 1.0
	v_fma_f64 v[98:99], v[98:99], v[100:101], v[98:99]
	v_fma_f64 v[100:101], -v[84:85], v[98:99], 1.0
	v_fma_f64 v[98:99], v[98:99], v[100:101], v[98:99]
	v_mul_f64 v[100:101], v[102:103], v[98:99]
	v_fma_f64 v[84:85], -v[84:85], v[100:101], v[102:103]
	v_div_fmas_f64 v[84:85], v[84:85], v[98:99], v[100:101]
	v_div_fixup_f64 v[82:83], v[84:85], v[82:83], 1.0
	v_mul_f64 v[84:85], v[96:97], -v[82:83]
.LBB38_240:
	s_or_b64 exec, exec, s[8:9]
.LBB38_241:
	s_or_b64 exec, exec, s[0:1]
	v_cmp_ne_u32_e32 vcc, v92, v90
	s_and_saveexec_b64 s[0:1], vcc
	s_xor_b64 s[0:1], exec, s[0:1]
	s_cbranch_execz .LBB38_247
; %bb.242:
	v_cmp_eq_u32_e32 vcc, 11, v92
	s_and_saveexec_b64 s[8:9], vcc
	s_cbranch_execz .LBB38_246
; %bb.243:
	v_cmp_ne_u32_e32 vcc, 11, v90
	s_xor_b64 s[20:21], s[18:19], -1
	s_and_b64 s[24:25], s[20:21], vcc
	s_and_saveexec_b64 s[20:21], s[24:25]
	s_cbranch_execz .LBB38_245
; %bb.244:
	v_ashrrev_i32_e32 v91, 31, v90
	v_lshlrev_b64 v[91:92], 2, v[90:91]
	v_add_co_u32_e32 v91, vcc, v88, v91
	v_addc_co_u32_e32 v92, vcc, v89, v92, vcc
	global_load_dword v0, v[91:92], off
	global_load_dword v96, v[88:89], off offset:44
	s_waitcnt vmcnt(1)
	global_store_dword v[88:89], v0, off offset:44
	s_waitcnt vmcnt(1)
	global_store_dword v[91:92], v96, off
.LBB38_245:
	s_or_b64 exec, exec, s[20:21]
	v_mov_b32_e32 v92, v90
	v_mov_b32_e32 v0, v90
.LBB38_246:
	s_or_b64 exec, exec, s[8:9]
.LBB38_247:
	s_andn2_saveexec_b64 s[0:1], s[0:1]
	s_cbranch_execz .LBB38_249
; %bb.248:
	v_mov_b32_e32 v92, 11
	ds_write2_b64 v1, v[26:27], v[28:29] offset0:24 offset1:25
	ds_write2_b64 v1, v[22:23], v[24:25] offset0:26 offset1:27
	;; [unrolled: 1-line block ×8, first 2 shown]
.LBB38_249:
	s_or_b64 exec, exec, s[0:1]
	v_cmp_lt_i32_e32 vcc, 11, v92
	s_waitcnt vmcnt(0) lgkmcnt(0)
	s_barrier
	s_and_saveexec_b64 s[0:1], vcc
	s_cbranch_execz .LBB38_251
; %bb.250:
	v_mul_f64 v[90:91], v[82:83], v[32:33]
	v_mul_f64 v[32:33], v[84:85], v[32:33]
	ds_read2_b64 v[96:99], v1 offset0:24 offset1:25
	ds_read2_b64 v[100:103], v1 offset0:26 offset1:27
	;; [unrolled: 1-line block ×5, first 2 shown]
	v_fma_f64 v[90:91], v[84:85], v[30:31], v[90:91]
	v_fma_f64 v[30:31], v[82:83], v[30:31], -v[32:33]
	s_waitcnt lgkmcnt(4)
	v_mul_f64 v[32:33], v[98:99], v[90:91]
	v_mul_f64 v[82:83], v[96:97], v[90:91]
	s_waitcnt lgkmcnt(3)
	v_mul_f64 v[84:85], v[102:103], v[90:91]
	v_mul_f64 v[116:117], v[100:101], v[90:91]
	;; [unrolled: 3-line block ×4, first 2 shown]
	v_fma_f64 v[32:33], v[96:97], v[30:31], -v[32:33]
	v_fma_f64 v[82:83], v[98:99], v[30:31], v[82:83]
	v_fma_f64 v[84:85], v[100:101], v[30:31], -v[84:85]
	v_fma_f64 v[96:97], v[102:103], v[30:31], v[116:117]
	;; [unrolled: 2-line block ×4, first 2 shown]
	v_add_f64 v[26:27], v[26:27], -v[32:33]
	v_add_f64 v[28:29], v[28:29], -v[82:83]
	;; [unrolled: 1-line block ×7, first 2 shown]
	ds_read2_b64 v[82:85], v1 offset0:34 offset1:35
	ds_read2_b64 v[96:99], v1 offset0:36 offset1:37
	;; [unrolled: 1-line block ×3, first 2 shown]
	v_add_f64 v[16:17], v[16:17], -v[104:105]
	s_waitcnt lgkmcnt(3)
	v_mul_f64 v[32:33], v[114:115], v[90:91]
	v_mul_f64 v[104:105], v[112:113], v[90:91]
	s_waitcnt lgkmcnt(2)
	v_mul_f64 v[106:107], v[84:85], v[90:91]
	v_mul_f64 v[108:109], v[82:83], v[90:91]
	;; [unrolled: 3-line block ×4, first 2 shown]
	v_fma_f64 v[32:33], v[112:113], v[30:31], -v[32:33]
	v_fma_f64 v[104:105], v[114:115], v[30:31], v[104:105]
	v_fma_f64 v[82:83], v[82:83], v[30:31], -v[106:107]
	v_fma_f64 v[84:85], v[84:85], v[30:31], v[108:109]
	v_fma_f64 v[96:97], v[96:97], v[30:31], -v[110:111]
	v_fma_f64 v[98:99], v[98:99], v[30:31], v[116:117]
	v_fma_f64 v[100:101], v[100:101], v[30:31], -v[118:119]
	v_fma_f64 v[102:103], v[102:103], v[30:31], v[120:121]
	v_add_f64 v[10:11], v[10:11], -v[32:33]
	v_add_f64 v[12:13], v[12:13], -v[104:105]
	;; [unrolled: 1-line block ×8, first 2 shown]
	v_mov_b32_e32 v32, v90
	v_mov_b32_e32 v33, v91
.LBB38_251:
	s_or_b64 exec, exec, s[0:1]
	v_lshl_add_u32 v82, v92, 4, v1
	s_barrier
	ds_write2_b64 v82, v[26:27], v[28:29] offset1:1
	s_waitcnt lgkmcnt(0)
	s_barrier
	ds_read2_b64 v[82:85], v1 offset0:24 offset1:25
	s_cmp_lt_i32 s22, 14
	v_mov_b32_e32 v90, 12
	s_cbranch_scc1 .LBB38_254
; %bb.252:
	v_add_u32_e32 v91, 0xd0, v1
	s_mov_b32 s7, 13
	v_mov_b32_e32 v90, 12
.LBB38_253:                             ; =>This Inner Loop Header: Depth=1
	s_waitcnt lgkmcnt(0)
	v_cmp_gt_f64_e32 vcc, 0, v[84:85]
	v_cmp_gt_f64_e64 s[0:1], 0, v[82:83]
	ds_read2_b64 v[96:99], v91 offset1:1
	v_xor_b32_e32 v101, 0x80000000, v83
	v_xor_b32_e32 v103, 0x80000000, v85
	v_mov_b32_e32 v100, v82
	v_mov_b32_e32 v102, v84
	s_waitcnt lgkmcnt(0)
	v_xor_b32_e32 v105, 0x80000000, v99
	v_cndmask_b32_e32 v103, v85, v103, vcc
	v_cndmask_b32_e64 v101, v83, v101, s[0:1]
	v_cmp_gt_f64_e32 vcc, 0, v[98:99]
	v_cmp_gt_f64_e64 s[0:1], 0, v[96:97]
	v_add_f64 v[100:101], v[100:101], v[102:103]
	v_xor_b32_e32 v103, 0x80000000, v97
	v_mov_b32_e32 v102, v96
	v_mov_b32_e32 v104, v98
	v_add_u32_e32 v91, 16, v91
	v_cndmask_b32_e32 v105, v99, v105, vcc
	v_cndmask_b32_e64 v103, v97, v103, s[0:1]
	v_add_f64 v[102:103], v[102:103], v[104:105]
	v_mov_b32_e32 v104, s7
	s_add_i32 s7, s7, 1
	s_cmp_lg_u32 s22, s7
	v_cmp_lt_f64_e32 vcc, v[100:101], v[102:103]
	v_cndmask_b32_e32 v83, v83, v97, vcc
	v_cndmask_b32_e32 v82, v82, v96, vcc
	;; [unrolled: 1-line block ×5, first 2 shown]
	s_cbranch_scc1 .LBB38_253
.LBB38_254:
	s_waitcnt lgkmcnt(0)
	v_cmp_eq_f64_e32 vcc, 0, v[82:83]
	v_cmp_eq_f64_e64 s[0:1], 0, v[84:85]
	s_and_b64 s[0:1], vcc, s[0:1]
	s_and_saveexec_b64 s[8:9], s[0:1]
	s_xor_b64 s[0:1], exec, s[8:9]
; %bb.255:
	v_cmp_ne_u32_e32 vcc, 0, v95
	v_cndmask_b32_e32 v95, 13, v95, vcc
; %bb.256:
	s_andn2_saveexec_b64 s[0:1], s[0:1]
	s_cbranch_execz .LBB38_262
; %bb.257:
	v_cmp_ngt_f64_e64 s[8:9], |v[82:83]|, |v[84:85]|
	s_and_saveexec_b64 s[20:21], s[8:9]
	s_xor_b64 s[8:9], exec, s[20:21]
	s_cbranch_execz .LBB38_259
; %bb.258:
	v_div_scale_f64 v[96:97], s[20:21], v[84:85], v[84:85], v[82:83]
	v_rcp_f64_e32 v[98:99], v[96:97]
	v_fma_f64 v[100:101], -v[96:97], v[98:99], 1.0
	v_fma_f64 v[98:99], v[98:99], v[100:101], v[98:99]
	v_div_scale_f64 v[100:101], vcc, v[82:83], v[84:85], v[82:83]
	v_fma_f64 v[102:103], -v[96:97], v[98:99], 1.0
	v_fma_f64 v[98:99], v[98:99], v[102:103], v[98:99]
	v_mul_f64 v[102:103], v[100:101], v[98:99]
	v_fma_f64 v[96:97], -v[96:97], v[102:103], v[100:101]
	v_div_fmas_f64 v[96:97], v[96:97], v[98:99], v[102:103]
	v_div_fixup_f64 v[96:97], v[96:97], v[84:85], v[82:83]
	v_fma_f64 v[82:83], v[82:83], v[96:97], v[84:85]
	v_div_scale_f64 v[84:85], s[20:21], v[82:83], v[82:83], 1.0
	v_div_scale_f64 v[102:103], vcc, 1.0, v[82:83], 1.0
	v_rcp_f64_e32 v[98:99], v[84:85]
	v_fma_f64 v[100:101], -v[84:85], v[98:99], 1.0
	v_fma_f64 v[98:99], v[98:99], v[100:101], v[98:99]
	v_fma_f64 v[100:101], -v[84:85], v[98:99], 1.0
	v_fma_f64 v[98:99], v[98:99], v[100:101], v[98:99]
	v_mul_f64 v[100:101], v[102:103], v[98:99]
	v_fma_f64 v[84:85], -v[84:85], v[100:101], v[102:103]
	v_div_fmas_f64 v[84:85], v[84:85], v[98:99], v[100:101]
	v_div_fixup_f64 v[84:85], v[84:85], v[82:83], 1.0
	v_mul_f64 v[82:83], v[96:97], v[84:85]
	v_xor_b32_e32 v85, 0x80000000, v85
.LBB38_259:
	s_andn2_saveexec_b64 s[8:9], s[8:9]
	s_cbranch_execz .LBB38_261
; %bb.260:
	v_div_scale_f64 v[96:97], s[20:21], v[82:83], v[82:83], v[84:85]
	v_rcp_f64_e32 v[98:99], v[96:97]
	v_fma_f64 v[100:101], -v[96:97], v[98:99], 1.0
	v_fma_f64 v[98:99], v[98:99], v[100:101], v[98:99]
	v_div_scale_f64 v[100:101], vcc, v[84:85], v[82:83], v[84:85]
	v_fma_f64 v[102:103], -v[96:97], v[98:99], 1.0
	v_fma_f64 v[98:99], v[98:99], v[102:103], v[98:99]
	v_mul_f64 v[102:103], v[100:101], v[98:99]
	v_fma_f64 v[96:97], -v[96:97], v[102:103], v[100:101]
	v_div_fmas_f64 v[96:97], v[96:97], v[98:99], v[102:103]
	v_div_fixup_f64 v[96:97], v[96:97], v[82:83], v[84:85]
	v_fma_f64 v[82:83], v[84:85], v[96:97], v[82:83]
	v_div_scale_f64 v[84:85], s[20:21], v[82:83], v[82:83], 1.0
	v_div_scale_f64 v[102:103], vcc, 1.0, v[82:83], 1.0
	v_rcp_f64_e32 v[98:99], v[84:85]
	v_fma_f64 v[100:101], -v[84:85], v[98:99], 1.0
	v_fma_f64 v[98:99], v[98:99], v[100:101], v[98:99]
	v_fma_f64 v[100:101], -v[84:85], v[98:99], 1.0
	v_fma_f64 v[98:99], v[98:99], v[100:101], v[98:99]
	v_mul_f64 v[100:101], v[102:103], v[98:99]
	v_fma_f64 v[84:85], -v[84:85], v[100:101], v[102:103]
	v_div_fmas_f64 v[84:85], v[84:85], v[98:99], v[100:101]
	v_div_fixup_f64 v[82:83], v[84:85], v[82:83], 1.0
	v_mul_f64 v[84:85], v[96:97], -v[82:83]
.LBB38_261:
	s_or_b64 exec, exec, s[8:9]
.LBB38_262:
	s_or_b64 exec, exec, s[0:1]
	v_cmp_ne_u32_e32 vcc, v92, v90
	s_and_saveexec_b64 s[0:1], vcc
	s_xor_b64 s[0:1], exec, s[0:1]
	s_cbranch_execz .LBB38_268
; %bb.263:
	v_cmp_eq_u32_e32 vcc, 12, v92
	s_and_saveexec_b64 s[8:9], vcc
	s_cbranch_execz .LBB38_267
; %bb.264:
	v_cmp_ne_u32_e32 vcc, 12, v90
	s_xor_b64 s[20:21], s[18:19], -1
	s_and_b64 s[24:25], s[20:21], vcc
	s_and_saveexec_b64 s[20:21], s[24:25]
	s_cbranch_execz .LBB38_266
; %bb.265:
	v_ashrrev_i32_e32 v91, 31, v90
	v_lshlrev_b64 v[91:92], 2, v[90:91]
	v_add_co_u32_e32 v91, vcc, v88, v91
	v_addc_co_u32_e32 v92, vcc, v89, v92, vcc
	global_load_dword v0, v[91:92], off
	global_load_dword v96, v[88:89], off offset:48
	s_waitcnt vmcnt(1)
	global_store_dword v[88:89], v0, off offset:48
	s_waitcnt vmcnt(1)
	global_store_dword v[91:92], v96, off
.LBB38_266:
	s_or_b64 exec, exec, s[20:21]
	v_mov_b32_e32 v92, v90
	v_mov_b32_e32 v0, v90
.LBB38_267:
	s_or_b64 exec, exec, s[8:9]
.LBB38_268:
	s_andn2_saveexec_b64 s[0:1], s[0:1]
	s_cbranch_execz .LBB38_270
; %bb.269:
	v_mov_b32_e32 v92, 12
	ds_write2_b64 v1, v[22:23], v[24:25] offset0:26 offset1:27
	ds_write2_b64 v1, v[18:19], v[20:21] offset0:28 offset1:29
	;; [unrolled: 1-line block ×7, first 2 shown]
.LBB38_270:
	s_or_b64 exec, exec, s[0:1]
	v_cmp_lt_i32_e32 vcc, 12, v92
	s_waitcnt vmcnt(0) lgkmcnt(0)
	s_barrier
	s_and_saveexec_b64 s[0:1], vcc
	s_cbranch_execz .LBB38_272
; %bb.271:
	v_mul_f64 v[90:91], v[82:83], v[28:29]
	v_mul_f64 v[28:29], v[84:85], v[28:29]
	v_fma_f64 v[90:91], v[84:85], v[26:27], v[90:91]
	v_fma_f64 v[26:27], v[82:83], v[26:27], -v[28:29]
	ds_read2_b64 v[82:85], v1 offset0:26 offset1:27
	s_waitcnt lgkmcnt(0)
	v_mul_f64 v[28:29], v[84:85], v[90:91]
	v_fma_f64 v[28:29], v[82:83], v[26:27], -v[28:29]
	v_mul_f64 v[82:83], v[82:83], v[90:91]
	v_add_f64 v[22:23], v[22:23], -v[28:29]
	v_fma_f64 v[82:83], v[84:85], v[26:27], v[82:83]
	v_add_f64 v[24:25], v[24:25], -v[82:83]
	ds_read2_b64 v[82:85], v1 offset0:28 offset1:29
	s_waitcnt lgkmcnt(0)
	v_mul_f64 v[28:29], v[84:85], v[90:91]
	v_fma_f64 v[28:29], v[82:83], v[26:27], -v[28:29]
	v_mul_f64 v[82:83], v[82:83], v[90:91]
	v_add_f64 v[18:19], v[18:19], -v[28:29]
	v_fma_f64 v[82:83], v[84:85], v[26:27], v[82:83]
	v_add_f64 v[20:21], v[20:21], -v[82:83]
	;; [unrolled: 8-line block ×6, first 2 shown]
	ds_read2_b64 v[82:85], v1 offset0:38 offset1:39
	s_waitcnt lgkmcnt(0)
	v_mul_f64 v[28:29], v[84:85], v[90:91]
	v_fma_f64 v[28:29], v[82:83], v[26:27], -v[28:29]
	v_mul_f64 v[82:83], v[82:83], v[90:91]
	v_add_f64 v[78:79], v[78:79], -v[28:29]
	v_fma_f64 v[82:83], v[84:85], v[26:27], v[82:83]
	v_mov_b32_e32 v28, v90
	v_mov_b32_e32 v29, v91
	v_add_f64 v[80:81], v[80:81], -v[82:83]
.LBB38_272:
	s_or_b64 exec, exec, s[0:1]
	v_lshl_add_u32 v82, v92, 4, v1
	s_barrier
	ds_write2_b64 v82, v[22:23], v[24:25] offset1:1
	s_waitcnt lgkmcnt(0)
	s_barrier
	ds_read2_b64 v[82:85], v1 offset0:26 offset1:27
	s_cmp_lt_i32 s22, 15
	v_mov_b32_e32 v90, 13
	s_cbranch_scc1 .LBB38_275
; %bb.273:
	v_add_u32_e32 v91, 0xe0, v1
	s_mov_b32 s7, 14
	v_mov_b32_e32 v90, 13
.LBB38_274:                             ; =>This Inner Loop Header: Depth=1
	s_waitcnt lgkmcnt(0)
	v_cmp_gt_f64_e32 vcc, 0, v[84:85]
	v_cmp_gt_f64_e64 s[0:1], 0, v[82:83]
	ds_read2_b64 v[96:99], v91 offset1:1
	v_xor_b32_e32 v101, 0x80000000, v83
	v_xor_b32_e32 v103, 0x80000000, v85
	v_mov_b32_e32 v100, v82
	v_mov_b32_e32 v102, v84
	s_waitcnt lgkmcnt(0)
	v_xor_b32_e32 v105, 0x80000000, v99
	v_cndmask_b32_e32 v103, v85, v103, vcc
	v_cndmask_b32_e64 v101, v83, v101, s[0:1]
	v_cmp_gt_f64_e32 vcc, 0, v[98:99]
	v_cmp_gt_f64_e64 s[0:1], 0, v[96:97]
	v_add_f64 v[100:101], v[100:101], v[102:103]
	v_xor_b32_e32 v103, 0x80000000, v97
	v_mov_b32_e32 v102, v96
	v_mov_b32_e32 v104, v98
	v_add_u32_e32 v91, 16, v91
	v_cndmask_b32_e32 v105, v99, v105, vcc
	v_cndmask_b32_e64 v103, v97, v103, s[0:1]
	v_add_f64 v[102:103], v[102:103], v[104:105]
	v_mov_b32_e32 v104, s7
	s_add_i32 s7, s7, 1
	s_cmp_lg_u32 s22, s7
	v_cmp_lt_f64_e32 vcc, v[100:101], v[102:103]
	v_cndmask_b32_e32 v83, v83, v97, vcc
	v_cndmask_b32_e32 v82, v82, v96, vcc
	;; [unrolled: 1-line block ×5, first 2 shown]
	s_cbranch_scc1 .LBB38_274
.LBB38_275:
	s_waitcnt lgkmcnt(0)
	v_cmp_eq_f64_e32 vcc, 0, v[82:83]
	v_cmp_eq_f64_e64 s[0:1], 0, v[84:85]
	s_and_b64 s[0:1], vcc, s[0:1]
	s_and_saveexec_b64 s[8:9], s[0:1]
	s_xor_b64 s[0:1], exec, s[8:9]
; %bb.276:
	v_cmp_ne_u32_e32 vcc, 0, v95
	v_cndmask_b32_e32 v95, 14, v95, vcc
; %bb.277:
	s_andn2_saveexec_b64 s[0:1], s[0:1]
	s_cbranch_execz .LBB38_283
; %bb.278:
	v_cmp_ngt_f64_e64 s[8:9], |v[82:83]|, |v[84:85]|
	s_and_saveexec_b64 s[20:21], s[8:9]
	s_xor_b64 s[8:9], exec, s[20:21]
	s_cbranch_execz .LBB38_280
; %bb.279:
	v_div_scale_f64 v[96:97], s[20:21], v[84:85], v[84:85], v[82:83]
	v_rcp_f64_e32 v[98:99], v[96:97]
	v_fma_f64 v[100:101], -v[96:97], v[98:99], 1.0
	v_fma_f64 v[98:99], v[98:99], v[100:101], v[98:99]
	v_div_scale_f64 v[100:101], vcc, v[82:83], v[84:85], v[82:83]
	v_fma_f64 v[102:103], -v[96:97], v[98:99], 1.0
	v_fma_f64 v[98:99], v[98:99], v[102:103], v[98:99]
	v_mul_f64 v[102:103], v[100:101], v[98:99]
	v_fma_f64 v[96:97], -v[96:97], v[102:103], v[100:101]
	v_div_fmas_f64 v[96:97], v[96:97], v[98:99], v[102:103]
	v_div_fixup_f64 v[96:97], v[96:97], v[84:85], v[82:83]
	v_fma_f64 v[82:83], v[82:83], v[96:97], v[84:85]
	v_div_scale_f64 v[84:85], s[20:21], v[82:83], v[82:83], 1.0
	v_div_scale_f64 v[102:103], vcc, 1.0, v[82:83], 1.0
	v_rcp_f64_e32 v[98:99], v[84:85]
	v_fma_f64 v[100:101], -v[84:85], v[98:99], 1.0
	v_fma_f64 v[98:99], v[98:99], v[100:101], v[98:99]
	v_fma_f64 v[100:101], -v[84:85], v[98:99], 1.0
	v_fma_f64 v[98:99], v[98:99], v[100:101], v[98:99]
	v_mul_f64 v[100:101], v[102:103], v[98:99]
	v_fma_f64 v[84:85], -v[84:85], v[100:101], v[102:103]
	v_div_fmas_f64 v[84:85], v[84:85], v[98:99], v[100:101]
	v_div_fixup_f64 v[84:85], v[84:85], v[82:83], 1.0
	v_mul_f64 v[82:83], v[96:97], v[84:85]
	v_xor_b32_e32 v85, 0x80000000, v85
.LBB38_280:
	s_andn2_saveexec_b64 s[8:9], s[8:9]
	s_cbranch_execz .LBB38_282
; %bb.281:
	v_div_scale_f64 v[96:97], s[20:21], v[82:83], v[82:83], v[84:85]
	v_rcp_f64_e32 v[98:99], v[96:97]
	v_fma_f64 v[100:101], -v[96:97], v[98:99], 1.0
	v_fma_f64 v[98:99], v[98:99], v[100:101], v[98:99]
	v_div_scale_f64 v[100:101], vcc, v[84:85], v[82:83], v[84:85]
	v_fma_f64 v[102:103], -v[96:97], v[98:99], 1.0
	v_fma_f64 v[98:99], v[98:99], v[102:103], v[98:99]
	v_mul_f64 v[102:103], v[100:101], v[98:99]
	v_fma_f64 v[96:97], -v[96:97], v[102:103], v[100:101]
	v_div_fmas_f64 v[96:97], v[96:97], v[98:99], v[102:103]
	v_div_fixup_f64 v[96:97], v[96:97], v[82:83], v[84:85]
	v_fma_f64 v[82:83], v[84:85], v[96:97], v[82:83]
	v_div_scale_f64 v[84:85], s[20:21], v[82:83], v[82:83], 1.0
	v_div_scale_f64 v[102:103], vcc, 1.0, v[82:83], 1.0
	v_rcp_f64_e32 v[98:99], v[84:85]
	v_fma_f64 v[100:101], -v[84:85], v[98:99], 1.0
	v_fma_f64 v[98:99], v[98:99], v[100:101], v[98:99]
	v_fma_f64 v[100:101], -v[84:85], v[98:99], 1.0
	v_fma_f64 v[98:99], v[98:99], v[100:101], v[98:99]
	v_mul_f64 v[100:101], v[102:103], v[98:99]
	v_fma_f64 v[84:85], -v[84:85], v[100:101], v[102:103]
	v_div_fmas_f64 v[84:85], v[84:85], v[98:99], v[100:101]
	v_div_fixup_f64 v[82:83], v[84:85], v[82:83], 1.0
	v_mul_f64 v[84:85], v[96:97], -v[82:83]
.LBB38_282:
	s_or_b64 exec, exec, s[8:9]
.LBB38_283:
	s_or_b64 exec, exec, s[0:1]
	v_cmp_ne_u32_e32 vcc, v92, v90
	s_and_saveexec_b64 s[0:1], vcc
	s_xor_b64 s[0:1], exec, s[0:1]
	s_cbranch_execz .LBB38_289
; %bb.284:
	v_cmp_eq_u32_e32 vcc, 13, v92
	s_and_saveexec_b64 s[8:9], vcc
	s_cbranch_execz .LBB38_288
; %bb.285:
	v_cmp_ne_u32_e32 vcc, 13, v90
	s_xor_b64 s[20:21], s[18:19], -1
	s_and_b64 s[24:25], s[20:21], vcc
	s_and_saveexec_b64 s[20:21], s[24:25]
	s_cbranch_execz .LBB38_287
; %bb.286:
	v_ashrrev_i32_e32 v91, 31, v90
	v_lshlrev_b64 v[91:92], 2, v[90:91]
	v_add_co_u32_e32 v91, vcc, v88, v91
	v_addc_co_u32_e32 v92, vcc, v89, v92, vcc
	global_load_dword v0, v[91:92], off
	global_load_dword v96, v[88:89], off offset:52
	s_waitcnt vmcnt(1)
	global_store_dword v[88:89], v0, off offset:52
	s_waitcnt vmcnt(1)
	global_store_dword v[91:92], v96, off
.LBB38_287:
	s_or_b64 exec, exec, s[20:21]
	v_mov_b32_e32 v92, v90
	v_mov_b32_e32 v0, v90
.LBB38_288:
	s_or_b64 exec, exec, s[8:9]
.LBB38_289:
	s_andn2_saveexec_b64 s[0:1], s[0:1]
	s_cbranch_execz .LBB38_291
; %bb.290:
	v_mov_b32_e32 v92, 13
	ds_write2_b64 v1, v[18:19], v[20:21] offset0:28 offset1:29
	ds_write2_b64 v1, v[14:15], v[16:17] offset0:30 offset1:31
	;; [unrolled: 1-line block ×6, first 2 shown]
.LBB38_291:
	s_or_b64 exec, exec, s[0:1]
	v_cmp_lt_i32_e32 vcc, 13, v92
	s_waitcnt vmcnt(0) lgkmcnt(0)
	s_barrier
	s_and_saveexec_b64 s[0:1], vcc
	s_cbranch_execz .LBB38_293
; %bb.292:
	v_mul_f64 v[90:91], v[82:83], v[24:25]
	v_mul_f64 v[24:25], v[84:85], v[24:25]
	v_fma_f64 v[90:91], v[84:85], v[22:23], v[90:91]
	v_fma_f64 v[22:23], v[82:83], v[22:23], -v[24:25]
	ds_read2_b64 v[82:85], v1 offset0:28 offset1:29
	s_waitcnt lgkmcnt(0)
	v_mul_f64 v[24:25], v[84:85], v[90:91]
	v_fma_f64 v[24:25], v[82:83], v[22:23], -v[24:25]
	v_mul_f64 v[82:83], v[82:83], v[90:91]
	v_add_f64 v[18:19], v[18:19], -v[24:25]
	v_fma_f64 v[82:83], v[84:85], v[22:23], v[82:83]
	v_add_f64 v[20:21], v[20:21], -v[82:83]
	ds_read2_b64 v[82:85], v1 offset0:30 offset1:31
	s_waitcnt lgkmcnt(0)
	v_mul_f64 v[24:25], v[84:85], v[90:91]
	v_fma_f64 v[24:25], v[82:83], v[22:23], -v[24:25]
	v_mul_f64 v[82:83], v[82:83], v[90:91]
	v_add_f64 v[14:15], v[14:15], -v[24:25]
	v_fma_f64 v[82:83], v[84:85], v[22:23], v[82:83]
	v_add_f64 v[16:17], v[16:17], -v[82:83]
	;; [unrolled: 8-line block ×5, first 2 shown]
	ds_read2_b64 v[82:85], v1 offset0:38 offset1:39
	s_waitcnt lgkmcnt(0)
	v_mul_f64 v[24:25], v[84:85], v[90:91]
	v_fma_f64 v[24:25], v[82:83], v[22:23], -v[24:25]
	v_mul_f64 v[82:83], v[82:83], v[90:91]
	v_add_f64 v[78:79], v[78:79], -v[24:25]
	v_fma_f64 v[82:83], v[84:85], v[22:23], v[82:83]
	v_mov_b32_e32 v24, v90
	v_mov_b32_e32 v25, v91
	v_add_f64 v[80:81], v[80:81], -v[82:83]
.LBB38_293:
	s_or_b64 exec, exec, s[0:1]
	v_lshl_add_u32 v82, v92, 4, v1
	s_barrier
	ds_write2_b64 v82, v[18:19], v[20:21] offset1:1
	s_waitcnt lgkmcnt(0)
	s_barrier
	ds_read2_b64 v[82:85], v1 offset0:28 offset1:29
	s_cmp_lt_i32 s22, 16
	v_mov_b32_e32 v90, 14
	s_cbranch_scc1 .LBB38_296
; %bb.294:
	v_add_u32_e32 v91, 0xf0, v1
	s_mov_b32 s7, 15
	v_mov_b32_e32 v90, 14
.LBB38_295:                             ; =>This Inner Loop Header: Depth=1
	s_waitcnt lgkmcnt(0)
	v_cmp_gt_f64_e32 vcc, 0, v[84:85]
	v_cmp_gt_f64_e64 s[0:1], 0, v[82:83]
	ds_read2_b64 v[96:99], v91 offset1:1
	v_xor_b32_e32 v101, 0x80000000, v83
	v_xor_b32_e32 v103, 0x80000000, v85
	v_mov_b32_e32 v100, v82
	v_mov_b32_e32 v102, v84
	s_waitcnt lgkmcnt(0)
	v_xor_b32_e32 v105, 0x80000000, v99
	v_cndmask_b32_e32 v103, v85, v103, vcc
	v_cndmask_b32_e64 v101, v83, v101, s[0:1]
	v_cmp_gt_f64_e32 vcc, 0, v[98:99]
	v_cmp_gt_f64_e64 s[0:1], 0, v[96:97]
	v_add_f64 v[100:101], v[100:101], v[102:103]
	v_xor_b32_e32 v103, 0x80000000, v97
	v_mov_b32_e32 v102, v96
	v_mov_b32_e32 v104, v98
	v_add_u32_e32 v91, 16, v91
	v_cndmask_b32_e32 v105, v99, v105, vcc
	v_cndmask_b32_e64 v103, v97, v103, s[0:1]
	v_add_f64 v[102:103], v[102:103], v[104:105]
	v_mov_b32_e32 v104, s7
	s_add_i32 s7, s7, 1
	s_cmp_lg_u32 s22, s7
	v_cmp_lt_f64_e32 vcc, v[100:101], v[102:103]
	v_cndmask_b32_e32 v83, v83, v97, vcc
	v_cndmask_b32_e32 v82, v82, v96, vcc
	;; [unrolled: 1-line block ×5, first 2 shown]
	s_cbranch_scc1 .LBB38_295
.LBB38_296:
	s_waitcnt lgkmcnt(0)
	v_cmp_eq_f64_e32 vcc, 0, v[82:83]
	v_cmp_eq_f64_e64 s[0:1], 0, v[84:85]
	s_and_b64 s[0:1], vcc, s[0:1]
	s_and_saveexec_b64 s[8:9], s[0:1]
	s_xor_b64 s[0:1], exec, s[8:9]
; %bb.297:
	v_cmp_ne_u32_e32 vcc, 0, v95
	v_cndmask_b32_e32 v95, 15, v95, vcc
; %bb.298:
	s_andn2_saveexec_b64 s[0:1], s[0:1]
	s_cbranch_execz .LBB38_304
; %bb.299:
	v_cmp_ngt_f64_e64 s[8:9], |v[82:83]|, |v[84:85]|
	s_and_saveexec_b64 s[20:21], s[8:9]
	s_xor_b64 s[8:9], exec, s[20:21]
	s_cbranch_execz .LBB38_301
; %bb.300:
	v_div_scale_f64 v[96:97], s[20:21], v[84:85], v[84:85], v[82:83]
	v_rcp_f64_e32 v[98:99], v[96:97]
	v_fma_f64 v[100:101], -v[96:97], v[98:99], 1.0
	v_fma_f64 v[98:99], v[98:99], v[100:101], v[98:99]
	v_div_scale_f64 v[100:101], vcc, v[82:83], v[84:85], v[82:83]
	v_fma_f64 v[102:103], -v[96:97], v[98:99], 1.0
	v_fma_f64 v[98:99], v[98:99], v[102:103], v[98:99]
	v_mul_f64 v[102:103], v[100:101], v[98:99]
	v_fma_f64 v[96:97], -v[96:97], v[102:103], v[100:101]
	v_div_fmas_f64 v[96:97], v[96:97], v[98:99], v[102:103]
	v_div_fixup_f64 v[96:97], v[96:97], v[84:85], v[82:83]
	v_fma_f64 v[82:83], v[82:83], v[96:97], v[84:85]
	v_div_scale_f64 v[84:85], s[20:21], v[82:83], v[82:83], 1.0
	v_div_scale_f64 v[102:103], vcc, 1.0, v[82:83], 1.0
	v_rcp_f64_e32 v[98:99], v[84:85]
	v_fma_f64 v[100:101], -v[84:85], v[98:99], 1.0
	v_fma_f64 v[98:99], v[98:99], v[100:101], v[98:99]
	v_fma_f64 v[100:101], -v[84:85], v[98:99], 1.0
	v_fma_f64 v[98:99], v[98:99], v[100:101], v[98:99]
	v_mul_f64 v[100:101], v[102:103], v[98:99]
	v_fma_f64 v[84:85], -v[84:85], v[100:101], v[102:103]
	v_div_fmas_f64 v[84:85], v[84:85], v[98:99], v[100:101]
	v_div_fixup_f64 v[84:85], v[84:85], v[82:83], 1.0
	v_mul_f64 v[82:83], v[96:97], v[84:85]
	v_xor_b32_e32 v85, 0x80000000, v85
.LBB38_301:
	s_andn2_saveexec_b64 s[8:9], s[8:9]
	s_cbranch_execz .LBB38_303
; %bb.302:
	v_div_scale_f64 v[96:97], s[20:21], v[82:83], v[82:83], v[84:85]
	v_rcp_f64_e32 v[98:99], v[96:97]
	v_fma_f64 v[100:101], -v[96:97], v[98:99], 1.0
	v_fma_f64 v[98:99], v[98:99], v[100:101], v[98:99]
	v_div_scale_f64 v[100:101], vcc, v[84:85], v[82:83], v[84:85]
	v_fma_f64 v[102:103], -v[96:97], v[98:99], 1.0
	v_fma_f64 v[98:99], v[98:99], v[102:103], v[98:99]
	v_mul_f64 v[102:103], v[100:101], v[98:99]
	v_fma_f64 v[96:97], -v[96:97], v[102:103], v[100:101]
	v_div_fmas_f64 v[96:97], v[96:97], v[98:99], v[102:103]
	v_div_fixup_f64 v[96:97], v[96:97], v[82:83], v[84:85]
	v_fma_f64 v[82:83], v[84:85], v[96:97], v[82:83]
	v_div_scale_f64 v[84:85], s[20:21], v[82:83], v[82:83], 1.0
	v_div_scale_f64 v[102:103], vcc, 1.0, v[82:83], 1.0
	v_rcp_f64_e32 v[98:99], v[84:85]
	v_fma_f64 v[100:101], -v[84:85], v[98:99], 1.0
	v_fma_f64 v[98:99], v[98:99], v[100:101], v[98:99]
	v_fma_f64 v[100:101], -v[84:85], v[98:99], 1.0
	v_fma_f64 v[98:99], v[98:99], v[100:101], v[98:99]
	v_mul_f64 v[100:101], v[102:103], v[98:99]
	v_fma_f64 v[84:85], -v[84:85], v[100:101], v[102:103]
	v_div_fmas_f64 v[84:85], v[84:85], v[98:99], v[100:101]
	v_div_fixup_f64 v[82:83], v[84:85], v[82:83], 1.0
	v_mul_f64 v[84:85], v[96:97], -v[82:83]
.LBB38_303:
	s_or_b64 exec, exec, s[8:9]
.LBB38_304:
	s_or_b64 exec, exec, s[0:1]
	v_cmp_ne_u32_e32 vcc, v92, v90
	s_and_saveexec_b64 s[0:1], vcc
	s_xor_b64 s[0:1], exec, s[0:1]
	s_cbranch_execz .LBB38_310
; %bb.305:
	v_cmp_eq_u32_e32 vcc, 14, v92
	s_and_saveexec_b64 s[8:9], vcc
	s_cbranch_execz .LBB38_309
; %bb.306:
	v_cmp_ne_u32_e32 vcc, 14, v90
	s_xor_b64 s[20:21], s[18:19], -1
	s_and_b64 s[24:25], s[20:21], vcc
	s_and_saveexec_b64 s[20:21], s[24:25]
	s_cbranch_execz .LBB38_308
; %bb.307:
	v_ashrrev_i32_e32 v91, 31, v90
	v_lshlrev_b64 v[91:92], 2, v[90:91]
	v_add_co_u32_e32 v91, vcc, v88, v91
	v_addc_co_u32_e32 v92, vcc, v89, v92, vcc
	global_load_dword v0, v[91:92], off
	global_load_dword v96, v[88:89], off offset:56
	s_waitcnt vmcnt(1)
	global_store_dword v[88:89], v0, off offset:56
	s_waitcnt vmcnt(1)
	global_store_dword v[91:92], v96, off
.LBB38_308:
	s_or_b64 exec, exec, s[20:21]
	v_mov_b32_e32 v92, v90
	v_mov_b32_e32 v0, v90
.LBB38_309:
	s_or_b64 exec, exec, s[8:9]
.LBB38_310:
	s_andn2_saveexec_b64 s[0:1], s[0:1]
	s_cbranch_execz .LBB38_312
; %bb.311:
	v_mov_b32_e32 v92, 14
	ds_write2_b64 v1, v[14:15], v[16:17] offset0:30 offset1:31
	ds_write2_b64 v1, v[10:11], v[12:13] offset0:32 offset1:33
	ds_write2_b64 v1, v[6:7], v[8:9] offset0:34 offset1:35
	ds_write2_b64 v1, v[2:3], v[4:5] offset0:36 offset1:37
	ds_write2_b64 v1, v[78:79], v[80:81] offset0:38 offset1:39
.LBB38_312:
	s_or_b64 exec, exec, s[0:1]
	v_cmp_lt_i32_e32 vcc, 14, v92
	s_waitcnt vmcnt(0) lgkmcnt(0)
	s_barrier
	s_and_saveexec_b64 s[0:1], vcc
	s_cbranch_execz .LBB38_314
; %bb.313:
	v_mul_f64 v[90:91], v[82:83], v[20:21]
	v_mul_f64 v[20:21], v[84:85], v[20:21]
	v_fma_f64 v[90:91], v[84:85], v[18:19], v[90:91]
	v_fma_f64 v[18:19], v[82:83], v[18:19], -v[20:21]
	ds_read2_b64 v[82:85], v1 offset0:30 offset1:31
	s_waitcnt lgkmcnt(0)
	v_mul_f64 v[20:21], v[84:85], v[90:91]
	v_fma_f64 v[20:21], v[82:83], v[18:19], -v[20:21]
	v_mul_f64 v[82:83], v[82:83], v[90:91]
	v_add_f64 v[14:15], v[14:15], -v[20:21]
	v_fma_f64 v[82:83], v[84:85], v[18:19], v[82:83]
	v_add_f64 v[16:17], v[16:17], -v[82:83]
	ds_read2_b64 v[82:85], v1 offset0:32 offset1:33
	s_waitcnt lgkmcnt(0)
	v_mul_f64 v[20:21], v[84:85], v[90:91]
	v_fma_f64 v[20:21], v[82:83], v[18:19], -v[20:21]
	v_mul_f64 v[82:83], v[82:83], v[90:91]
	v_add_f64 v[10:11], v[10:11], -v[20:21]
	v_fma_f64 v[82:83], v[84:85], v[18:19], v[82:83]
	v_add_f64 v[12:13], v[12:13], -v[82:83]
	;; [unrolled: 8-line block ×4, first 2 shown]
	ds_read2_b64 v[82:85], v1 offset0:38 offset1:39
	s_waitcnt lgkmcnt(0)
	v_mul_f64 v[20:21], v[84:85], v[90:91]
	v_fma_f64 v[20:21], v[82:83], v[18:19], -v[20:21]
	v_mul_f64 v[82:83], v[82:83], v[90:91]
	v_add_f64 v[78:79], v[78:79], -v[20:21]
	v_fma_f64 v[82:83], v[84:85], v[18:19], v[82:83]
	v_mov_b32_e32 v20, v90
	v_mov_b32_e32 v21, v91
	v_add_f64 v[80:81], v[80:81], -v[82:83]
.LBB38_314:
	s_or_b64 exec, exec, s[0:1]
	v_lshl_add_u32 v82, v92, 4, v1
	s_barrier
	ds_write2_b64 v82, v[14:15], v[16:17] offset1:1
	s_waitcnt lgkmcnt(0)
	s_barrier
	ds_read2_b64 v[82:85], v1 offset0:30 offset1:31
	s_cmp_lt_i32 s22, 17
	v_mov_b32_e32 v90, 15
	s_cbranch_scc1 .LBB38_317
; %bb.315:
	v_add_u32_e32 v91, 0x100, v1
	s_mov_b32 s7, 16
	v_mov_b32_e32 v90, 15
.LBB38_316:                             ; =>This Inner Loop Header: Depth=1
	s_waitcnt lgkmcnt(0)
	v_cmp_gt_f64_e32 vcc, 0, v[84:85]
	v_cmp_gt_f64_e64 s[0:1], 0, v[82:83]
	ds_read2_b64 v[96:99], v91 offset1:1
	v_xor_b32_e32 v101, 0x80000000, v83
	v_xor_b32_e32 v103, 0x80000000, v85
	v_mov_b32_e32 v100, v82
	v_mov_b32_e32 v102, v84
	s_waitcnt lgkmcnt(0)
	v_xor_b32_e32 v105, 0x80000000, v99
	v_cndmask_b32_e32 v103, v85, v103, vcc
	v_cndmask_b32_e64 v101, v83, v101, s[0:1]
	v_cmp_gt_f64_e32 vcc, 0, v[98:99]
	v_cmp_gt_f64_e64 s[0:1], 0, v[96:97]
	v_add_f64 v[100:101], v[100:101], v[102:103]
	v_xor_b32_e32 v103, 0x80000000, v97
	v_mov_b32_e32 v102, v96
	v_mov_b32_e32 v104, v98
	v_add_u32_e32 v91, 16, v91
	v_cndmask_b32_e32 v105, v99, v105, vcc
	v_cndmask_b32_e64 v103, v97, v103, s[0:1]
	v_add_f64 v[102:103], v[102:103], v[104:105]
	v_mov_b32_e32 v104, s7
	s_add_i32 s7, s7, 1
	s_cmp_lg_u32 s22, s7
	v_cmp_lt_f64_e32 vcc, v[100:101], v[102:103]
	v_cndmask_b32_e32 v83, v83, v97, vcc
	v_cndmask_b32_e32 v82, v82, v96, vcc
	;; [unrolled: 1-line block ×5, first 2 shown]
	s_cbranch_scc1 .LBB38_316
.LBB38_317:
	s_waitcnt lgkmcnt(0)
	v_cmp_eq_f64_e32 vcc, 0, v[82:83]
	v_cmp_eq_f64_e64 s[0:1], 0, v[84:85]
	s_and_b64 s[0:1], vcc, s[0:1]
	s_and_saveexec_b64 s[8:9], s[0:1]
	s_xor_b64 s[0:1], exec, s[8:9]
; %bb.318:
	v_cmp_ne_u32_e32 vcc, 0, v95
	v_cndmask_b32_e32 v95, 16, v95, vcc
; %bb.319:
	s_andn2_saveexec_b64 s[0:1], s[0:1]
	s_cbranch_execz .LBB38_325
; %bb.320:
	v_cmp_ngt_f64_e64 s[8:9], |v[82:83]|, |v[84:85]|
	s_and_saveexec_b64 s[20:21], s[8:9]
	s_xor_b64 s[8:9], exec, s[20:21]
	s_cbranch_execz .LBB38_322
; %bb.321:
	v_div_scale_f64 v[96:97], s[20:21], v[84:85], v[84:85], v[82:83]
	v_rcp_f64_e32 v[98:99], v[96:97]
	v_fma_f64 v[100:101], -v[96:97], v[98:99], 1.0
	v_fma_f64 v[98:99], v[98:99], v[100:101], v[98:99]
	v_div_scale_f64 v[100:101], vcc, v[82:83], v[84:85], v[82:83]
	v_fma_f64 v[102:103], -v[96:97], v[98:99], 1.0
	v_fma_f64 v[98:99], v[98:99], v[102:103], v[98:99]
	v_mul_f64 v[102:103], v[100:101], v[98:99]
	v_fma_f64 v[96:97], -v[96:97], v[102:103], v[100:101]
	v_div_fmas_f64 v[96:97], v[96:97], v[98:99], v[102:103]
	v_div_fixup_f64 v[96:97], v[96:97], v[84:85], v[82:83]
	v_fma_f64 v[82:83], v[82:83], v[96:97], v[84:85]
	v_div_scale_f64 v[84:85], s[20:21], v[82:83], v[82:83], 1.0
	v_div_scale_f64 v[102:103], vcc, 1.0, v[82:83], 1.0
	v_rcp_f64_e32 v[98:99], v[84:85]
	v_fma_f64 v[100:101], -v[84:85], v[98:99], 1.0
	v_fma_f64 v[98:99], v[98:99], v[100:101], v[98:99]
	v_fma_f64 v[100:101], -v[84:85], v[98:99], 1.0
	v_fma_f64 v[98:99], v[98:99], v[100:101], v[98:99]
	v_mul_f64 v[100:101], v[102:103], v[98:99]
	v_fma_f64 v[84:85], -v[84:85], v[100:101], v[102:103]
	v_div_fmas_f64 v[84:85], v[84:85], v[98:99], v[100:101]
	v_div_fixup_f64 v[84:85], v[84:85], v[82:83], 1.0
	v_mul_f64 v[82:83], v[96:97], v[84:85]
	v_xor_b32_e32 v85, 0x80000000, v85
.LBB38_322:
	s_andn2_saveexec_b64 s[8:9], s[8:9]
	s_cbranch_execz .LBB38_324
; %bb.323:
	v_div_scale_f64 v[96:97], s[20:21], v[82:83], v[82:83], v[84:85]
	v_rcp_f64_e32 v[98:99], v[96:97]
	v_fma_f64 v[100:101], -v[96:97], v[98:99], 1.0
	v_fma_f64 v[98:99], v[98:99], v[100:101], v[98:99]
	v_div_scale_f64 v[100:101], vcc, v[84:85], v[82:83], v[84:85]
	v_fma_f64 v[102:103], -v[96:97], v[98:99], 1.0
	v_fma_f64 v[98:99], v[98:99], v[102:103], v[98:99]
	v_mul_f64 v[102:103], v[100:101], v[98:99]
	v_fma_f64 v[96:97], -v[96:97], v[102:103], v[100:101]
	v_div_fmas_f64 v[96:97], v[96:97], v[98:99], v[102:103]
	v_div_fixup_f64 v[96:97], v[96:97], v[82:83], v[84:85]
	v_fma_f64 v[82:83], v[84:85], v[96:97], v[82:83]
	v_div_scale_f64 v[84:85], s[20:21], v[82:83], v[82:83], 1.0
	v_div_scale_f64 v[102:103], vcc, 1.0, v[82:83], 1.0
	v_rcp_f64_e32 v[98:99], v[84:85]
	v_fma_f64 v[100:101], -v[84:85], v[98:99], 1.0
	v_fma_f64 v[98:99], v[98:99], v[100:101], v[98:99]
	v_fma_f64 v[100:101], -v[84:85], v[98:99], 1.0
	v_fma_f64 v[98:99], v[98:99], v[100:101], v[98:99]
	v_mul_f64 v[100:101], v[102:103], v[98:99]
	v_fma_f64 v[84:85], -v[84:85], v[100:101], v[102:103]
	v_div_fmas_f64 v[84:85], v[84:85], v[98:99], v[100:101]
	v_div_fixup_f64 v[82:83], v[84:85], v[82:83], 1.0
	v_mul_f64 v[84:85], v[96:97], -v[82:83]
.LBB38_324:
	s_or_b64 exec, exec, s[8:9]
.LBB38_325:
	s_or_b64 exec, exec, s[0:1]
	v_cmp_ne_u32_e32 vcc, v92, v90
	s_and_saveexec_b64 s[0:1], vcc
	s_xor_b64 s[0:1], exec, s[0:1]
	s_cbranch_execz .LBB38_331
; %bb.326:
	v_cmp_eq_u32_e32 vcc, 15, v92
	s_and_saveexec_b64 s[8:9], vcc
	s_cbranch_execz .LBB38_330
; %bb.327:
	v_cmp_ne_u32_e32 vcc, 15, v90
	s_xor_b64 s[20:21], s[18:19], -1
	s_and_b64 s[24:25], s[20:21], vcc
	s_and_saveexec_b64 s[20:21], s[24:25]
	s_cbranch_execz .LBB38_329
; %bb.328:
	v_ashrrev_i32_e32 v91, 31, v90
	v_lshlrev_b64 v[91:92], 2, v[90:91]
	v_add_co_u32_e32 v91, vcc, v88, v91
	v_addc_co_u32_e32 v92, vcc, v89, v92, vcc
	global_load_dword v0, v[91:92], off
	global_load_dword v96, v[88:89], off offset:60
	s_waitcnt vmcnt(1)
	global_store_dword v[88:89], v0, off offset:60
	s_waitcnt vmcnt(1)
	global_store_dword v[91:92], v96, off
.LBB38_329:
	s_or_b64 exec, exec, s[20:21]
	v_mov_b32_e32 v92, v90
	v_mov_b32_e32 v0, v90
.LBB38_330:
	s_or_b64 exec, exec, s[8:9]
.LBB38_331:
	s_andn2_saveexec_b64 s[0:1], s[0:1]
	s_cbranch_execz .LBB38_333
; %bb.332:
	v_mov_b32_e32 v92, 15
	ds_write2_b64 v1, v[10:11], v[12:13] offset0:32 offset1:33
	ds_write2_b64 v1, v[6:7], v[8:9] offset0:34 offset1:35
	;; [unrolled: 1-line block ×4, first 2 shown]
.LBB38_333:
	s_or_b64 exec, exec, s[0:1]
	v_cmp_lt_i32_e32 vcc, 15, v92
	s_waitcnt vmcnt(0) lgkmcnt(0)
	s_barrier
	s_and_saveexec_b64 s[0:1], vcc
	s_cbranch_execz .LBB38_335
; %bb.334:
	v_mul_f64 v[90:91], v[82:83], v[16:17]
	v_mul_f64 v[16:17], v[84:85], v[16:17]
	ds_read2_b64 v[96:99], v1 offset0:32 offset1:33
	ds_read2_b64 v[100:103], v1 offset0:34 offset1:35
	;; [unrolled: 1-line block ×4, first 2 shown]
	v_fma_f64 v[84:85], v[84:85], v[14:15], v[90:91]
	v_fma_f64 v[14:15], v[82:83], v[14:15], -v[16:17]
	s_waitcnt lgkmcnt(3)
	v_mul_f64 v[16:17], v[98:99], v[84:85]
	v_mul_f64 v[82:83], v[96:97], v[84:85]
	s_waitcnt lgkmcnt(2)
	v_mul_f64 v[90:91], v[102:103], v[84:85]
	v_mul_f64 v[112:113], v[100:101], v[84:85]
	;; [unrolled: 3-line block ×4, first 2 shown]
	v_fma_f64 v[16:17], v[96:97], v[14:15], -v[16:17]
	v_fma_f64 v[82:83], v[98:99], v[14:15], v[82:83]
	v_fma_f64 v[90:91], v[100:101], v[14:15], -v[90:91]
	v_fma_f64 v[96:97], v[102:103], v[14:15], v[112:113]
	;; [unrolled: 2-line block ×4, first 2 shown]
	v_add_f64 v[10:11], v[10:11], -v[16:17]
	v_add_f64 v[12:13], v[12:13], -v[82:83]
	;; [unrolled: 1-line block ×8, first 2 shown]
	v_mov_b32_e32 v16, v84
	v_mov_b32_e32 v17, v85
.LBB38_335:
	s_or_b64 exec, exec, s[0:1]
	v_lshl_add_u32 v82, v92, 4, v1
	s_barrier
	ds_write2_b64 v82, v[10:11], v[12:13] offset1:1
	s_waitcnt lgkmcnt(0)
	s_barrier
	ds_read2_b64 v[82:85], v1 offset0:32 offset1:33
	s_cmp_lt_i32 s22, 18
	v_mov_b32_e32 v90, 16
	s_cbranch_scc1 .LBB38_338
; %bb.336:
	v_add_u32_e32 v91, 0x110, v1
	s_mov_b32 s7, 17
	v_mov_b32_e32 v90, 16
.LBB38_337:                             ; =>This Inner Loop Header: Depth=1
	s_waitcnt lgkmcnt(0)
	v_cmp_gt_f64_e32 vcc, 0, v[84:85]
	v_cmp_gt_f64_e64 s[0:1], 0, v[82:83]
	ds_read2_b64 v[96:99], v91 offset1:1
	v_xor_b32_e32 v101, 0x80000000, v83
	v_xor_b32_e32 v103, 0x80000000, v85
	v_mov_b32_e32 v100, v82
	v_mov_b32_e32 v102, v84
	s_waitcnt lgkmcnt(0)
	v_xor_b32_e32 v105, 0x80000000, v99
	v_cndmask_b32_e32 v103, v85, v103, vcc
	v_cndmask_b32_e64 v101, v83, v101, s[0:1]
	v_cmp_gt_f64_e32 vcc, 0, v[98:99]
	v_cmp_gt_f64_e64 s[0:1], 0, v[96:97]
	v_add_f64 v[100:101], v[100:101], v[102:103]
	v_xor_b32_e32 v103, 0x80000000, v97
	v_mov_b32_e32 v102, v96
	v_mov_b32_e32 v104, v98
	v_add_u32_e32 v91, 16, v91
	v_cndmask_b32_e32 v105, v99, v105, vcc
	v_cndmask_b32_e64 v103, v97, v103, s[0:1]
	v_add_f64 v[102:103], v[102:103], v[104:105]
	v_mov_b32_e32 v104, s7
	s_add_i32 s7, s7, 1
	s_cmp_lg_u32 s22, s7
	v_cmp_lt_f64_e32 vcc, v[100:101], v[102:103]
	v_cndmask_b32_e32 v83, v83, v97, vcc
	v_cndmask_b32_e32 v82, v82, v96, vcc
	;; [unrolled: 1-line block ×5, first 2 shown]
	s_cbranch_scc1 .LBB38_337
.LBB38_338:
	s_waitcnt lgkmcnt(0)
	v_cmp_eq_f64_e32 vcc, 0, v[82:83]
	v_cmp_eq_f64_e64 s[0:1], 0, v[84:85]
	s_and_b64 s[0:1], vcc, s[0:1]
	s_and_saveexec_b64 s[8:9], s[0:1]
	s_xor_b64 s[0:1], exec, s[8:9]
; %bb.339:
	v_cmp_ne_u32_e32 vcc, 0, v95
	v_cndmask_b32_e32 v95, 17, v95, vcc
; %bb.340:
	s_andn2_saveexec_b64 s[0:1], s[0:1]
	s_cbranch_execz .LBB38_346
; %bb.341:
	v_cmp_ngt_f64_e64 s[8:9], |v[82:83]|, |v[84:85]|
	s_and_saveexec_b64 s[20:21], s[8:9]
	s_xor_b64 s[8:9], exec, s[20:21]
	s_cbranch_execz .LBB38_343
; %bb.342:
	v_div_scale_f64 v[96:97], s[20:21], v[84:85], v[84:85], v[82:83]
	v_rcp_f64_e32 v[98:99], v[96:97]
	v_fma_f64 v[100:101], -v[96:97], v[98:99], 1.0
	v_fma_f64 v[98:99], v[98:99], v[100:101], v[98:99]
	v_div_scale_f64 v[100:101], vcc, v[82:83], v[84:85], v[82:83]
	v_fma_f64 v[102:103], -v[96:97], v[98:99], 1.0
	v_fma_f64 v[98:99], v[98:99], v[102:103], v[98:99]
	v_mul_f64 v[102:103], v[100:101], v[98:99]
	v_fma_f64 v[96:97], -v[96:97], v[102:103], v[100:101]
	v_div_fmas_f64 v[96:97], v[96:97], v[98:99], v[102:103]
	v_div_fixup_f64 v[96:97], v[96:97], v[84:85], v[82:83]
	v_fma_f64 v[82:83], v[82:83], v[96:97], v[84:85]
	v_div_scale_f64 v[84:85], s[20:21], v[82:83], v[82:83], 1.0
	v_div_scale_f64 v[102:103], vcc, 1.0, v[82:83], 1.0
	v_rcp_f64_e32 v[98:99], v[84:85]
	v_fma_f64 v[100:101], -v[84:85], v[98:99], 1.0
	v_fma_f64 v[98:99], v[98:99], v[100:101], v[98:99]
	v_fma_f64 v[100:101], -v[84:85], v[98:99], 1.0
	v_fma_f64 v[98:99], v[98:99], v[100:101], v[98:99]
	v_mul_f64 v[100:101], v[102:103], v[98:99]
	v_fma_f64 v[84:85], -v[84:85], v[100:101], v[102:103]
	v_div_fmas_f64 v[84:85], v[84:85], v[98:99], v[100:101]
	v_div_fixup_f64 v[84:85], v[84:85], v[82:83], 1.0
	v_mul_f64 v[82:83], v[96:97], v[84:85]
	v_xor_b32_e32 v85, 0x80000000, v85
.LBB38_343:
	s_andn2_saveexec_b64 s[8:9], s[8:9]
	s_cbranch_execz .LBB38_345
; %bb.344:
	v_div_scale_f64 v[96:97], s[20:21], v[82:83], v[82:83], v[84:85]
	v_rcp_f64_e32 v[98:99], v[96:97]
	v_fma_f64 v[100:101], -v[96:97], v[98:99], 1.0
	v_fma_f64 v[98:99], v[98:99], v[100:101], v[98:99]
	v_div_scale_f64 v[100:101], vcc, v[84:85], v[82:83], v[84:85]
	v_fma_f64 v[102:103], -v[96:97], v[98:99], 1.0
	v_fma_f64 v[98:99], v[98:99], v[102:103], v[98:99]
	v_mul_f64 v[102:103], v[100:101], v[98:99]
	v_fma_f64 v[96:97], -v[96:97], v[102:103], v[100:101]
	v_div_fmas_f64 v[96:97], v[96:97], v[98:99], v[102:103]
	v_div_fixup_f64 v[96:97], v[96:97], v[82:83], v[84:85]
	v_fma_f64 v[82:83], v[84:85], v[96:97], v[82:83]
	v_div_scale_f64 v[84:85], s[20:21], v[82:83], v[82:83], 1.0
	v_div_scale_f64 v[102:103], vcc, 1.0, v[82:83], 1.0
	v_rcp_f64_e32 v[98:99], v[84:85]
	v_fma_f64 v[100:101], -v[84:85], v[98:99], 1.0
	v_fma_f64 v[98:99], v[98:99], v[100:101], v[98:99]
	v_fma_f64 v[100:101], -v[84:85], v[98:99], 1.0
	v_fma_f64 v[98:99], v[98:99], v[100:101], v[98:99]
	v_mul_f64 v[100:101], v[102:103], v[98:99]
	v_fma_f64 v[84:85], -v[84:85], v[100:101], v[102:103]
	v_div_fmas_f64 v[84:85], v[84:85], v[98:99], v[100:101]
	v_div_fixup_f64 v[82:83], v[84:85], v[82:83], 1.0
	v_mul_f64 v[84:85], v[96:97], -v[82:83]
.LBB38_345:
	s_or_b64 exec, exec, s[8:9]
.LBB38_346:
	s_or_b64 exec, exec, s[0:1]
	v_cmp_ne_u32_e32 vcc, v92, v90
	s_and_saveexec_b64 s[0:1], vcc
	s_xor_b64 s[0:1], exec, s[0:1]
	s_cbranch_execz .LBB38_352
; %bb.347:
	v_cmp_eq_u32_e32 vcc, 16, v92
	s_and_saveexec_b64 s[8:9], vcc
	s_cbranch_execz .LBB38_351
; %bb.348:
	v_cmp_ne_u32_e32 vcc, 16, v90
	s_xor_b64 s[20:21], s[18:19], -1
	s_and_b64 s[24:25], s[20:21], vcc
	s_and_saveexec_b64 s[20:21], s[24:25]
	s_cbranch_execz .LBB38_350
; %bb.349:
	v_ashrrev_i32_e32 v91, 31, v90
	v_lshlrev_b64 v[91:92], 2, v[90:91]
	v_add_co_u32_e32 v91, vcc, v88, v91
	v_addc_co_u32_e32 v92, vcc, v89, v92, vcc
	global_load_dword v0, v[91:92], off
	global_load_dword v96, v[88:89], off offset:64
	s_waitcnt vmcnt(1)
	global_store_dword v[88:89], v0, off offset:64
	s_waitcnt vmcnt(1)
	global_store_dword v[91:92], v96, off
.LBB38_350:
	s_or_b64 exec, exec, s[20:21]
	v_mov_b32_e32 v92, v90
	v_mov_b32_e32 v0, v90
.LBB38_351:
	s_or_b64 exec, exec, s[8:9]
.LBB38_352:
	s_andn2_saveexec_b64 s[0:1], s[0:1]
	s_cbranch_execz .LBB38_354
; %bb.353:
	v_mov_b32_e32 v92, 16
	ds_write2_b64 v1, v[6:7], v[8:9] offset0:34 offset1:35
	ds_write2_b64 v1, v[2:3], v[4:5] offset0:36 offset1:37
	;; [unrolled: 1-line block ×3, first 2 shown]
.LBB38_354:
	s_or_b64 exec, exec, s[0:1]
	v_cmp_lt_i32_e32 vcc, 16, v92
	s_waitcnt vmcnt(0) lgkmcnt(0)
	s_barrier
	s_and_saveexec_b64 s[0:1], vcc
	s_cbranch_execz .LBB38_356
; %bb.355:
	v_mul_f64 v[90:91], v[82:83], v[12:13]
	v_mul_f64 v[12:13], v[84:85], v[12:13]
	ds_read2_b64 v[96:99], v1 offset0:34 offset1:35
	ds_read2_b64 v[100:103], v1 offset0:36 offset1:37
	;; [unrolled: 1-line block ×3, first 2 shown]
	v_fma_f64 v[84:85], v[84:85], v[10:11], v[90:91]
	v_fma_f64 v[10:11], v[82:83], v[10:11], -v[12:13]
	s_waitcnt lgkmcnt(2)
	v_mul_f64 v[12:13], v[98:99], v[84:85]
	v_mul_f64 v[82:83], v[96:97], v[84:85]
	s_waitcnt lgkmcnt(1)
	v_mul_f64 v[90:91], v[102:103], v[84:85]
	v_mul_f64 v[108:109], v[100:101], v[84:85]
	;; [unrolled: 3-line block ×3, first 2 shown]
	v_fma_f64 v[12:13], v[96:97], v[10:11], -v[12:13]
	v_fma_f64 v[82:83], v[98:99], v[10:11], v[82:83]
	v_fma_f64 v[90:91], v[100:101], v[10:11], -v[90:91]
	v_fma_f64 v[96:97], v[102:103], v[10:11], v[108:109]
	;; [unrolled: 2-line block ×3, first 2 shown]
	v_add_f64 v[6:7], v[6:7], -v[12:13]
	v_add_f64 v[8:9], v[8:9], -v[82:83]
	;; [unrolled: 1-line block ×6, first 2 shown]
	v_mov_b32_e32 v12, v84
	v_mov_b32_e32 v13, v85
.LBB38_356:
	s_or_b64 exec, exec, s[0:1]
	v_lshl_add_u32 v82, v92, 4, v1
	s_barrier
	ds_write2_b64 v82, v[6:7], v[8:9] offset1:1
	s_waitcnt lgkmcnt(0)
	s_barrier
	ds_read2_b64 v[82:85], v1 offset0:34 offset1:35
	s_cmp_lt_i32 s22, 19
	v_mov_b32_e32 v90, 17
	s_cbranch_scc1 .LBB38_359
; %bb.357:
	v_add_u32_e32 v91, 0x120, v1
	s_mov_b32 s7, 18
	v_mov_b32_e32 v90, 17
.LBB38_358:                             ; =>This Inner Loop Header: Depth=1
	s_waitcnt lgkmcnt(0)
	v_cmp_gt_f64_e32 vcc, 0, v[84:85]
	v_cmp_gt_f64_e64 s[0:1], 0, v[82:83]
	ds_read2_b64 v[96:99], v91 offset1:1
	v_xor_b32_e32 v101, 0x80000000, v83
	v_xor_b32_e32 v103, 0x80000000, v85
	v_mov_b32_e32 v100, v82
	v_mov_b32_e32 v102, v84
	s_waitcnt lgkmcnt(0)
	v_xor_b32_e32 v105, 0x80000000, v99
	v_cndmask_b32_e32 v103, v85, v103, vcc
	v_cndmask_b32_e64 v101, v83, v101, s[0:1]
	v_cmp_gt_f64_e32 vcc, 0, v[98:99]
	v_cmp_gt_f64_e64 s[0:1], 0, v[96:97]
	v_add_f64 v[100:101], v[100:101], v[102:103]
	v_xor_b32_e32 v103, 0x80000000, v97
	v_mov_b32_e32 v102, v96
	v_mov_b32_e32 v104, v98
	v_add_u32_e32 v91, 16, v91
	v_cndmask_b32_e32 v105, v99, v105, vcc
	v_cndmask_b32_e64 v103, v97, v103, s[0:1]
	v_add_f64 v[102:103], v[102:103], v[104:105]
	v_mov_b32_e32 v104, s7
	s_add_i32 s7, s7, 1
	s_cmp_lg_u32 s22, s7
	v_cmp_lt_f64_e32 vcc, v[100:101], v[102:103]
	v_cndmask_b32_e32 v83, v83, v97, vcc
	v_cndmask_b32_e32 v82, v82, v96, vcc
	;; [unrolled: 1-line block ×5, first 2 shown]
	s_cbranch_scc1 .LBB38_358
.LBB38_359:
	s_waitcnt lgkmcnt(0)
	v_cmp_eq_f64_e32 vcc, 0, v[82:83]
	v_cmp_eq_f64_e64 s[0:1], 0, v[84:85]
	s_and_b64 s[0:1], vcc, s[0:1]
	s_and_saveexec_b64 s[8:9], s[0:1]
	s_xor_b64 s[0:1], exec, s[8:9]
; %bb.360:
	v_cmp_ne_u32_e32 vcc, 0, v95
	v_cndmask_b32_e32 v95, 18, v95, vcc
; %bb.361:
	s_andn2_saveexec_b64 s[0:1], s[0:1]
	s_cbranch_execz .LBB38_367
; %bb.362:
	v_cmp_ngt_f64_e64 s[8:9], |v[82:83]|, |v[84:85]|
	s_and_saveexec_b64 s[20:21], s[8:9]
	s_xor_b64 s[8:9], exec, s[20:21]
	s_cbranch_execz .LBB38_364
; %bb.363:
	v_div_scale_f64 v[96:97], s[20:21], v[84:85], v[84:85], v[82:83]
	v_rcp_f64_e32 v[98:99], v[96:97]
	v_fma_f64 v[100:101], -v[96:97], v[98:99], 1.0
	v_fma_f64 v[98:99], v[98:99], v[100:101], v[98:99]
	v_div_scale_f64 v[100:101], vcc, v[82:83], v[84:85], v[82:83]
	v_fma_f64 v[102:103], -v[96:97], v[98:99], 1.0
	v_fma_f64 v[98:99], v[98:99], v[102:103], v[98:99]
	v_mul_f64 v[102:103], v[100:101], v[98:99]
	v_fma_f64 v[96:97], -v[96:97], v[102:103], v[100:101]
	v_div_fmas_f64 v[96:97], v[96:97], v[98:99], v[102:103]
	v_div_fixup_f64 v[96:97], v[96:97], v[84:85], v[82:83]
	v_fma_f64 v[82:83], v[82:83], v[96:97], v[84:85]
	v_div_scale_f64 v[84:85], s[20:21], v[82:83], v[82:83], 1.0
	v_div_scale_f64 v[102:103], vcc, 1.0, v[82:83], 1.0
	v_rcp_f64_e32 v[98:99], v[84:85]
	v_fma_f64 v[100:101], -v[84:85], v[98:99], 1.0
	v_fma_f64 v[98:99], v[98:99], v[100:101], v[98:99]
	v_fma_f64 v[100:101], -v[84:85], v[98:99], 1.0
	v_fma_f64 v[98:99], v[98:99], v[100:101], v[98:99]
	v_mul_f64 v[100:101], v[102:103], v[98:99]
	v_fma_f64 v[84:85], -v[84:85], v[100:101], v[102:103]
	v_div_fmas_f64 v[84:85], v[84:85], v[98:99], v[100:101]
	v_div_fixup_f64 v[84:85], v[84:85], v[82:83], 1.0
	v_mul_f64 v[82:83], v[96:97], v[84:85]
	v_xor_b32_e32 v85, 0x80000000, v85
.LBB38_364:
	s_andn2_saveexec_b64 s[8:9], s[8:9]
	s_cbranch_execz .LBB38_366
; %bb.365:
	v_div_scale_f64 v[96:97], s[20:21], v[82:83], v[82:83], v[84:85]
	v_rcp_f64_e32 v[98:99], v[96:97]
	v_fma_f64 v[100:101], -v[96:97], v[98:99], 1.0
	v_fma_f64 v[98:99], v[98:99], v[100:101], v[98:99]
	v_div_scale_f64 v[100:101], vcc, v[84:85], v[82:83], v[84:85]
	v_fma_f64 v[102:103], -v[96:97], v[98:99], 1.0
	v_fma_f64 v[98:99], v[98:99], v[102:103], v[98:99]
	v_mul_f64 v[102:103], v[100:101], v[98:99]
	v_fma_f64 v[96:97], -v[96:97], v[102:103], v[100:101]
	v_div_fmas_f64 v[96:97], v[96:97], v[98:99], v[102:103]
	v_div_fixup_f64 v[96:97], v[96:97], v[82:83], v[84:85]
	v_fma_f64 v[82:83], v[84:85], v[96:97], v[82:83]
	v_div_scale_f64 v[84:85], s[20:21], v[82:83], v[82:83], 1.0
	v_div_scale_f64 v[102:103], vcc, 1.0, v[82:83], 1.0
	v_rcp_f64_e32 v[98:99], v[84:85]
	v_fma_f64 v[100:101], -v[84:85], v[98:99], 1.0
	v_fma_f64 v[98:99], v[98:99], v[100:101], v[98:99]
	v_fma_f64 v[100:101], -v[84:85], v[98:99], 1.0
	v_fma_f64 v[98:99], v[98:99], v[100:101], v[98:99]
	v_mul_f64 v[100:101], v[102:103], v[98:99]
	v_fma_f64 v[84:85], -v[84:85], v[100:101], v[102:103]
	v_div_fmas_f64 v[84:85], v[84:85], v[98:99], v[100:101]
	v_div_fixup_f64 v[82:83], v[84:85], v[82:83], 1.0
	v_mul_f64 v[84:85], v[96:97], -v[82:83]
.LBB38_366:
	s_or_b64 exec, exec, s[8:9]
.LBB38_367:
	s_or_b64 exec, exec, s[0:1]
	v_cmp_ne_u32_e32 vcc, v92, v90
	s_and_saveexec_b64 s[0:1], vcc
	s_xor_b64 s[0:1], exec, s[0:1]
	s_cbranch_execz .LBB38_373
; %bb.368:
	v_cmp_eq_u32_e32 vcc, 17, v92
	s_and_saveexec_b64 s[8:9], vcc
	s_cbranch_execz .LBB38_372
; %bb.369:
	v_cmp_ne_u32_e32 vcc, 17, v90
	s_xor_b64 s[20:21], s[18:19], -1
	s_and_b64 s[24:25], s[20:21], vcc
	s_and_saveexec_b64 s[20:21], s[24:25]
	s_cbranch_execz .LBB38_371
; %bb.370:
	v_ashrrev_i32_e32 v91, 31, v90
	v_lshlrev_b64 v[91:92], 2, v[90:91]
	v_add_co_u32_e32 v91, vcc, v88, v91
	v_addc_co_u32_e32 v92, vcc, v89, v92, vcc
	global_load_dword v0, v[91:92], off
	global_load_dword v96, v[88:89], off offset:68
	s_waitcnt vmcnt(1)
	global_store_dword v[88:89], v0, off offset:68
	s_waitcnt vmcnt(1)
	global_store_dword v[91:92], v96, off
.LBB38_371:
	s_or_b64 exec, exec, s[20:21]
	v_mov_b32_e32 v92, v90
	v_mov_b32_e32 v0, v90
.LBB38_372:
	s_or_b64 exec, exec, s[8:9]
.LBB38_373:
	s_andn2_saveexec_b64 s[0:1], s[0:1]
	s_cbranch_execz .LBB38_375
; %bb.374:
	v_mov_b32_e32 v92, 17
	ds_write2_b64 v1, v[2:3], v[4:5] offset0:36 offset1:37
	ds_write2_b64 v1, v[78:79], v[80:81] offset0:38 offset1:39
.LBB38_375:
	s_or_b64 exec, exec, s[0:1]
	v_cmp_lt_i32_e32 vcc, 17, v92
	s_waitcnt vmcnt(0) lgkmcnt(0)
	s_barrier
	s_and_saveexec_b64 s[0:1], vcc
	s_cbranch_execz .LBB38_377
; %bb.376:
	v_mul_f64 v[90:91], v[82:83], v[8:9]
	v_mul_f64 v[8:9], v[84:85], v[8:9]
	ds_read2_b64 v[96:99], v1 offset0:36 offset1:37
	ds_read2_b64 v[100:103], v1 offset0:38 offset1:39
	v_fma_f64 v[84:85], v[84:85], v[6:7], v[90:91]
	v_fma_f64 v[6:7], v[82:83], v[6:7], -v[8:9]
	s_waitcnt lgkmcnt(1)
	v_mul_f64 v[8:9], v[98:99], v[84:85]
	v_mul_f64 v[82:83], v[96:97], v[84:85]
	s_waitcnt lgkmcnt(0)
	v_mul_f64 v[90:91], v[102:103], v[84:85]
	v_mul_f64 v[104:105], v[100:101], v[84:85]
	v_fma_f64 v[8:9], v[96:97], v[6:7], -v[8:9]
	v_fma_f64 v[82:83], v[98:99], v[6:7], v[82:83]
	v_fma_f64 v[90:91], v[100:101], v[6:7], -v[90:91]
	v_fma_f64 v[96:97], v[102:103], v[6:7], v[104:105]
	v_add_f64 v[2:3], v[2:3], -v[8:9]
	v_add_f64 v[4:5], v[4:5], -v[82:83]
	;; [unrolled: 1-line block ×4, first 2 shown]
	v_mov_b32_e32 v8, v84
	v_mov_b32_e32 v9, v85
.LBB38_377:
	s_or_b64 exec, exec, s[0:1]
	v_lshl_add_u32 v82, v92, 4, v1
	s_barrier
	ds_write2_b64 v82, v[2:3], v[4:5] offset1:1
	s_waitcnt lgkmcnt(0)
	s_barrier
	ds_read2_b64 v[82:85], v1 offset0:36 offset1:37
	s_cmp_lt_i32 s22, 20
	v_mov_b32_e32 v90, 18
	s_cbranch_scc1 .LBB38_380
; %bb.378:
	v_add_u32_e32 v91, 0x130, v1
	s_mov_b32 s7, 19
	v_mov_b32_e32 v90, 18
.LBB38_379:                             ; =>This Inner Loop Header: Depth=1
	s_waitcnt lgkmcnt(0)
	v_cmp_gt_f64_e32 vcc, 0, v[84:85]
	v_cmp_gt_f64_e64 s[0:1], 0, v[82:83]
	ds_read2_b64 v[96:99], v91 offset1:1
	v_xor_b32_e32 v101, 0x80000000, v83
	v_xor_b32_e32 v103, 0x80000000, v85
	v_mov_b32_e32 v100, v82
	v_mov_b32_e32 v102, v84
	s_waitcnt lgkmcnt(0)
	v_xor_b32_e32 v105, 0x80000000, v99
	v_cndmask_b32_e32 v103, v85, v103, vcc
	v_cndmask_b32_e64 v101, v83, v101, s[0:1]
	v_cmp_gt_f64_e32 vcc, 0, v[98:99]
	v_cmp_gt_f64_e64 s[0:1], 0, v[96:97]
	v_add_f64 v[100:101], v[100:101], v[102:103]
	v_xor_b32_e32 v103, 0x80000000, v97
	v_mov_b32_e32 v102, v96
	v_mov_b32_e32 v104, v98
	v_add_u32_e32 v91, 16, v91
	v_cndmask_b32_e32 v105, v99, v105, vcc
	v_cndmask_b32_e64 v103, v97, v103, s[0:1]
	v_add_f64 v[102:103], v[102:103], v[104:105]
	v_mov_b32_e32 v104, s7
	s_add_i32 s7, s7, 1
	s_cmp_lg_u32 s22, s7
	v_cmp_lt_f64_e32 vcc, v[100:101], v[102:103]
	v_cndmask_b32_e32 v83, v83, v97, vcc
	v_cndmask_b32_e32 v82, v82, v96, vcc
	;; [unrolled: 1-line block ×5, first 2 shown]
	s_cbranch_scc1 .LBB38_379
.LBB38_380:
	s_waitcnt lgkmcnt(0)
	v_cmp_eq_f64_e32 vcc, 0, v[82:83]
	v_cmp_eq_f64_e64 s[0:1], 0, v[84:85]
	s_and_b64 s[0:1], vcc, s[0:1]
	s_and_saveexec_b64 s[8:9], s[0:1]
	s_xor_b64 s[0:1], exec, s[8:9]
; %bb.381:
	v_cmp_ne_u32_e32 vcc, 0, v95
	v_cndmask_b32_e32 v95, 19, v95, vcc
; %bb.382:
	s_andn2_saveexec_b64 s[0:1], s[0:1]
	s_cbranch_execz .LBB38_388
; %bb.383:
	v_cmp_ngt_f64_e64 s[8:9], |v[82:83]|, |v[84:85]|
	s_and_saveexec_b64 s[20:21], s[8:9]
	s_xor_b64 s[8:9], exec, s[20:21]
	s_cbranch_execz .LBB38_385
; %bb.384:
	v_div_scale_f64 v[96:97], s[20:21], v[84:85], v[84:85], v[82:83]
	v_rcp_f64_e32 v[98:99], v[96:97]
	v_fma_f64 v[100:101], -v[96:97], v[98:99], 1.0
	v_fma_f64 v[98:99], v[98:99], v[100:101], v[98:99]
	v_div_scale_f64 v[100:101], vcc, v[82:83], v[84:85], v[82:83]
	v_fma_f64 v[102:103], -v[96:97], v[98:99], 1.0
	v_fma_f64 v[98:99], v[98:99], v[102:103], v[98:99]
	v_mul_f64 v[102:103], v[100:101], v[98:99]
	v_fma_f64 v[96:97], -v[96:97], v[102:103], v[100:101]
	v_div_fmas_f64 v[96:97], v[96:97], v[98:99], v[102:103]
	v_div_fixup_f64 v[96:97], v[96:97], v[84:85], v[82:83]
	v_fma_f64 v[82:83], v[82:83], v[96:97], v[84:85]
	v_div_scale_f64 v[84:85], s[20:21], v[82:83], v[82:83], 1.0
	v_div_scale_f64 v[102:103], vcc, 1.0, v[82:83], 1.0
	v_rcp_f64_e32 v[98:99], v[84:85]
	v_fma_f64 v[100:101], -v[84:85], v[98:99], 1.0
	v_fma_f64 v[98:99], v[98:99], v[100:101], v[98:99]
	v_fma_f64 v[100:101], -v[84:85], v[98:99], 1.0
	v_fma_f64 v[98:99], v[98:99], v[100:101], v[98:99]
	v_mul_f64 v[100:101], v[102:103], v[98:99]
	v_fma_f64 v[84:85], -v[84:85], v[100:101], v[102:103]
	v_div_fmas_f64 v[84:85], v[84:85], v[98:99], v[100:101]
	v_div_fixup_f64 v[84:85], v[84:85], v[82:83], 1.0
	v_mul_f64 v[82:83], v[96:97], v[84:85]
	v_xor_b32_e32 v85, 0x80000000, v85
.LBB38_385:
	s_andn2_saveexec_b64 s[8:9], s[8:9]
	s_cbranch_execz .LBB38_387
; %bb.386:
	v_div_scale_f64 v[96:97], s[20:21], v[82:83], v[82:83], v[84:85]
	v_rcp_f64_e32 v[98:99], v[96:97]
	v_fma_f64 v[100:101], -v[96:97], v[98:99], 1.0
	v_fma_f64 v[98:99], v[98:99], v[100:101], v[98:99]
	v_div_scale_f64 v[100:101], vcc, v[84:85], v[82:83], v[84:85]
	v_fma_f64 v[102:103], -v[96:97], v[98:99], 1.0
	v_fma_f64 v[98:99], v[98:99], v[102:103], v[98:99]
	v_mul_f64 v[102:103], v[100:101], v[98:99]
	v_fma_f64 v[96:97], -v[96:97], v[102:103], v[100:101]
	v_div_fmas_f64 v[96:97], v[96:97], v[98:99], v[102:103]
	v_div_fixup_f64 v[96:97], v[96:97], v[82:83], v[84:85]
	v_fma_f64 v[82:83], v[84:85], v[96:97], v[82:83]
	v_div_scale_f64 v[84:85], s[20:21], v[82:83], v[82:83], 1.0
	v_div_scale_f64 v[102:103], vcc, 1.0, v[82:83], 1.0
	v_rcp_f64_e32 v[98:99], v[84:85]
	v_fma_f64 v[100:101], -v[84:85], v[98:99], 1.0
	v_fma_f64 v[98:99], v[98:99], v[100:101], v[98:99]
	v_fma_f64 v[100:101], -v[84:85], v[98:99], 1.0
	v_fma_f64 v[98:99], v[98:99], v[100:101], v[98:99]
	v_mul_f64 v[100:101], v[102:103], v[98:99]
	v_fma_f64 v[84:85], -v[84:85], v[100:101], v[102:103]
	v_div_fmas_f64 v[84:85], v[84:85], v[98:99], v[100:101]
	v_div_fixup_f64 v[82:83], v[84:85], v[82:83], 1.0
	v_mul_f64 v[84:85], v[96:97], -v[82:83]
.LBB38_387:
	s_or_b64 exec, exec, s[8:9]
.LBB38_388:
	s_or_b64 exec, exec, s[0:1]
	v_cmp_ne_u32_e32 vcc, v92, v90
	s_and_saveexec_b64 s[0:1], vcc
	s_xor_b64 s[0:1], exec, s[0:1]
	s_cbranch_execz .LBB38_394
; %bb.389:
	v_cmp_eq_u32_e32 vcc, 18, v92
	s_and_saveexec_b64 s[8:9], vcc
	s_cbranch_execz .LBB38_393
; %bb.390:
	v_cmp_ne_u32_e32 vcc, 18, v90
	s_xor_b64 s[20:21], s[18:19], -1
	s_and_b64 s[24:25], s[20:21], vcc
	s_and_saveexec_b64 s[20:21], s[24:25]
	s_cbranch_execz .LBB38_392
; %bb.391:
	v_ashrrev_i32_e32 v91, 31, v90
	v_lshlrev_b64 v[91:92], 2, v[90:91]
	v_add_co_u32_e32 v91, vcc, v88, v91
	v_addc_co_u32_e32 v92, vcc, v89, v92, vcc
	global_load_dword v0, v[91:92], off
	global_load_dword v96, v[88:89], off offset:72
	s_waitcnt vmcnt(1)
	global_store_dword v[88:89], v0, off offset:72
	s_waitcnt vmcnt(1)
	global_store_dword v[91:92], v96, off
.LBB38_392:
	s_or_b64 exec, exec, s[20:21]
	v_mov_b32_e32 v92, v90
	v_mov_b32_e32 v0, v90
.LBB38_393:
	s_or_b64 exec, exec, s[8:9]
.LBB38_394:
	s_andn2_saveexec_b64 s[0:1], s[0:1]
; %bb.395:
	v_mov_b32_e32 v92, 18
	ds_write2_b64 v1, v[78:79], v[80:81] offset0:38 offset1:39
; %bb.396:
	s_or_b64 exec, exec, s[0:1]
	v_cmp_lt_i32_e32 vcc, 18, v92
	s_waitcnt vmcnt(0) lgkmcnt(0)
	s_barrier
	s_and_saveexec_b64 s[0:1], vcc
	s_cbranch_execz .LBB38_398
; %bb.397:
	v_mul_f64 v[90:91], v[82:83], v[4:5]
	v_mul_f64 v[4:5], v[84:85], v[4:5]
	ds_read2_b64 v[96:99], v1 offset0:38 offset1:39
	v_fma_f64 v[84:85], v[84:85], v[2:3], v[90:91]
	v_fma_f64 v[2:3], v[82:83], v[2:3], -v[4:5]
	s_waitcnt lgkmcnt(0)
	v_mul_f64 v[4:5], v[98:99], v[84:85]
	v_mul_f64 v[82:83], v[96:97], v[84:85]
	v_fma_f64 v[4:5], v[96:97], v[2:3], -v[4:5]
	v_fma_f64 v[82:83], v[98:99], v[2:3], v[82:83]
	v_add_f64 v[78:79], v[78:79], -v[4:5]
	v_add_f64 v[80:81], v[80:81], -v[82:83]
	v_mov_b32_e32 v4, v84
	v_mov_b32_e32 v5, v85
.LBB38_398:
	s_or_b64 exec, exec, s[0:1]
	v_lshl_add_u32 v82, v92, 4, v1
	s_barrier
	ds_write2_b64 v82, v[78:79], v[80:81] offset1:1
	s_waitcnt lgkmcnt(0)
	s_barrier
	ds_read2_b64 v[82:85], v1 offset0:38 offset1:39
	s_cmp_lt_i32 s22, 21
	v_mov_b32_e32 v90, 19
	s_cbranch_scc1 .LBB38_401
; %bb.399:
	v_add_u32_e32 v1, 0x140, v1
	s_mov_b32 s7, 20
	v_mov_b32_e32 v90, 19
.LBB38_400:                             ; =>This Inner Loop Header: Depth=1
	s_waitcnt lgkmcnt(0)
	v_cmp_gt_f64_e32 vcc, 0, v[84:85]
	v_cmp_gt_f64_e64 s[0:1], 0, v[82:83]
	ds_read2_b64 v[96:99], v1 offset1:1
	v_xor_b32_e32 v91, 0x80000000, v83
	v_xor_b32_e32 v103, 0x80000000, v85
	v_mov_b32_e32 v100, v82
	v_mov_b32_e32 v102, v84
	s_waitcnt lgkmcnt(0)
	v_xor_b32_e32 v105, 0x80000000, v99
	v_cndmask_b32_e32 v103, v85, v103, vcc
	v_cndmask_b32_e64 v101, v83, v91, s[0:1]
	v_cmp_gt_f64_e32 vcc, 0, v[98:99]
	v_cmp_gt_f64_e64 s[0:1], 0, v[96:97]
	v_xor_b32_e32 v91, 0x80000000, v97
	v_add_f64 v[100:101], v[100:101], v[102:103]
	v_mov_b32_e32 v102, v96
	v_mov_b32_e32 v104, v98
	v_add_u32_e32 v1, 16, v1
	v_cndmask_b32_e32 v105, v99, v105, vcc
	v_cndmask_b32_e64 v103, v97, v91, s[0:1]
	v_add_f64 v[102:103], v[102:103], v[104:105]
	v_mov_b32_e32 v91, s7
	s_add_i32 s7, s7, 1
	s_cmp_lg_u32 s22, s7
	v_cmp_lt_f64_e32 vcc, v[100:101], v[102:103]
	v_cndmask_b32_e32 v83, v83, v97, vcc
	v_cndmask_b32_e32 v82, v82, v96, vcc
	;; [unrolled: 1-line block ×5, first 2 shown]
	s_cbranch_scc1 .LBB38_400
.LBB38_401:
	s_waitcnt lgkmcnt(0)
	v_cmp_eq_f64_e32 vcc, 0, v[82:83]
	v_cmp_eq_f64_e64 s[0:1], 0, v[84:85]
	s_and_b64 s[0:1], vcc, s[0:1]
	s_and_saveexec_b64 s[8:9], s[0:1]
	s_xor_b64 s[0:1], exec, s[8:9]
; %bb.402:
	v_cmp_ne_u32_e32 vcc, 0, v95
	v_cndmask_b32_e32 v95, 20, v95, vcc
; %bb.403:
	s_andn2_saveexec_b64 s[0:1], s[0:1]
	s_cbranch_execz .LBB38_409
; %bb.404:
	v_cmp_ngt_f64_e64 s[8:9], |v[82:83]|, |v[84:85]|
	s_and_saveexec_b64 s[20:21], s[8:9]
	s_xor_b64 s[8:9], exec, s[20:21]
	s_cbranch_execz .LBB38_406
; %bb.405:
	v_div_scale_f64 v[96:97], s[20:21], v[84:85], v[84:85], v[82:83]
	v_rcp_f64_e32 v[98:99], v[96:97]
	v_fma_f64 v[100:101], -v[96:97], v[98:99], 1.0
	v_fma_f64 v[98:99], v[98:99], v[100:101], v[98:99]
	v_div_scale_f64 v[100:101], vcc, v[82:83], v[84:85], v[82:83]
	v_fma_f64 v[102:103], -v[96:97], v[98:99], 1.0
	v_fma_f64 v[98:99], v[98:99], v[102:103], v[98:99]
	v_mul_f64 v[102:103], v[100:101], v[98:99]
	v_fma_f64 v[96:97], -v[96:97], v[102:103], v[100:101]
	v_div_fmas_f64 v[96:97], v[96:97], v[98:99], v[102:103]
	v_div_fixup_f64 v[96:97], v[96:97], v[84:85], v[82:83]
	v_fma_f64 v[82:83], v[82:83], v[96:97], v[84:85]
	v_div_scale_f64 v[84:85], s[20:21], v[82:83], v[82:83], 1.0
	v_div_scale_f64 v[102:103], vcc, 1.0, v[82:83], 1.0
	v_rcp_f64_e32 v[98:99], v[84:85]
	v_fma_f64 v[100:101], -v[84:85], v[98:99], 1.0
	v_fma_f64 v[98:99], v[98:99], v[100:101], v[98:99]
	v_fma_f64 v[100:101], -v[84:85], v[98:99], 1.0
	v_fma_f64 v[98:99], v[98:99], v[100:101], v[98:99]
	v_mul_f64 v[100:101], v[102:103], v[98:99]
	v_fma_f64 v[84:85], -v[84:85], v[100:101], v[102:103]
	v_div_fmas_f64 v[84:85], v[84:85], v[98:99], v[100:101]
	v_div_fixup_f64 v[84:85], v[84:85], v[82:83], 1.0
	v_mul_f64 v[82:83], v[96:97], v[84:85]
	v_xor_b32_e32 v85, 0x80000000, v85
.LBB38_406:
	s_andn2_saveexec_b64 s[8:9], s[8:9]
	s_cbranch_execz .LBB38_408
; %bb.407:
	v_div_scale_f64 v[96:97], s[20:21], v[82:83], v[82:83], v[84:85]
	v_rcp_f64_e32 v[98:99], v[96:97]
	v_fma_f64 v[100:101], -v[96:97], v[98:99], 1.0
	v_fma_f64 v[98:99], v[98:99], v[100:101], v[98:99]
	v_div_scale_f64 v[100:101], vcc, v[84:85], v[82:83], v[84:85]
	v_fma_f64 v[102:103], -v[96:97], v[98:99], 1.0
	v_fma_f64 v[98:99], v[98:99], v[102:103], v[98:99]
	v_mul_f64 v[102:103], v[100:101], v[98:99]
	v_fma_f64 v[96:97], -v[96:97], v[102:103], v[100:101]
	v_div_fmas_f64 v[96:97], v[96:97], v[98:99], v[102:103]
	v_div_fixup_f64 v[96:97], v[96:97], v[82:83], v[84:85]
	v_fma_f64 v[82:83], v[84:85], v[96:97], v[82:83]
	v_div_scale_f64 v[84:85], s[20:21], v[82:83], v[82:83], 1.0
	v_div_scale_f64 v[102:103], vcc, 1.0, v[82:83], 1.0
	v_rcp_f64_e32 v[98:99], v[84:85]
	v_fma_f64 v[100:101], -v[84:85], v[98:99], 1.0
	v_fma_f64 v[98:99], v[98:99], v[100:101], v[98:99]
	v_fma_f64 v[100:101], -v[84:85], v[98:99], 1.0
	v_fma_f64 v[98:99], v[98:99], v[100:101], v[98:99]
	v_mul_f64 v[100:101], v[102:103], v[98:99]
	v_fma_f64 v[84:85], -v[84:85], v[100:101], v[102:103]
	v_div_fmas_f64 v[84:85], v[84:85], v[98:99], v[100:101]
	v_div_fixup_f64 v[82:83], v[84:85], v[82:83], 1.0
	v_mul_f64 v[84:85], v[96:97], -v[82:83]
.LBB38_408:
	s_or_b64 exec, exec, s[8:9]
.LBB38_409:
	s_or_b64 exec, exec, s[0:1]
	v_cmp_ne_u32_e32 vcc, v92, v90
	v_mov_b32_e32 v91, 19
	s_and_saveexec_b64 s[0:1], vcc
	s_cbranch_execz .LBB38_415
; %bb.410:
	v_cmp_eq_u32_e32 vcc, 19, v92
	s_and_saveexec_b64 s[8:9], vcc
	s_cbranch_execz .LBB38_414
; %bb.411:
	v_cmp_ne_u32_e32 vcc, 19, v90
	s_xor_b64 s[18:19], s[18:19], -1
	s_and_b64 s[20:21], s[18:19], vcc
	s_and_saveexec_b64 s[18:19], s[20:21]
	s_cbranch_execz .LBB38_413
; %bb.412:
	v_ashrrev_i32_e32 v91, 31, v90
	v_lshlrev_b64 v[0:1], 2, v[90:91]
	v_add_co_u32_e32 v0, vcc, v88, v0
	v_addc_co_u32_e32 v1, vcc, v89, v1, vcc
	global_load_dword v91, v[0:1], off
	global_load_dword v92, v[88:89], off offset:76
	s_waitcnt vmcnt(1)
	global_store_dword v[88:89], v91, off offset:76
	s_waitcnt vmcnt(1)
	global_store_dword v[0:1], v92, off
.LBB38_413:
	s_or_b64 exec, exec, s[18:19]
	v_mov_b32_e32 v92, v90
	v_mov_b32_e32 v0, v90
.LBB38_414:
	s_or_b64 exec, exec, s[8:9]
	v_mov_b32_e32 v91, v92
.LBB38_415:
	s_or_b64 exec, exec, s[0:1]
	v_cmp_gt_i32_e32 vcc, 20, v91
	v_ashrrev_i32_e32 v92, 31, v91
	s_waitcnt vmcnt(0)
	s_barrier
	s_barrier
	s_and_saveexec_b64 s[0:1], vcc
	s_cbranch_execz .LBB38_417
; %bb.416:
	v_mul_lo_u32 v1, s15, v86
	v_mul_lo_u32 v90, s14, v87
	v_mad_u64_u32 v[88:89], s[8:9], s14, v86, 0
	s_lshl_b64 s[8:9], s[12:13], 2
	v_add3_u32 v0, v0, s17, 1
	v_add3_u32 v89, v89, v90, v1
	v_lshlrev_b64 v[88:89], 2, v[88:89]
	v_mov_b32_e32 v1, s11
	v_add_co_u32_e32 v88, vcc, s10, v88
	v_addc_co_u32_e32 v1, vcc, v1, v89, vcc
	v_mov_b32_e32 v89, s9
	v_add_co_u32_e32 v90, vcc, s8, v88
	v_addc_co_u32_e32 v1, vcc, v1, v89, vcc
	v_lshlrev_b64 v[88:89], 2, v[91:92]
	v_add_co_u32_e32 v88, vcc, v90, v88
	v_addc_co_u32_e32 v89, vcc, v1, v89, vcc
	global_store_dword v[88:89], v0, off
.LBB38_417:
	s_or_b64 exec, exec, s[0:1]
	v_cmp_eq_u32_e32 vcc, 0, v91
	s_and_saveexec_b64 s[8:9], vcc
	s_cbranch_execz .LBB38_420
; %bb.418:
	v_lshlrev_b64 v[0:1], 2, v[86:87]
	v_mov_b32_e32 v86, s5
	v_add_co_u32_e32 v0, vcc, s4, v0
	v_addc_co_u32_e32 v1, vcc, v86, v1, vcc
	global_load_dword v86, v[0:1], off
	v_cmp_ne_u32_e64 s[0:1], 0, v95
	s_waitcnt vmcnt(0)
	v_cmp_eq_u32_e32 vcc, 0, v86
	s_and_b64 s[0:1], vcc, s[0:1]
	s_and_b64 exec, exec, s[0:1]
	s_cbranch_execz .LBB38_420
; %bb.419:
	v_add_u32_e32 v86, s17, v95
	global_store_dword v[0:1], v86, off
.LBB38_420:
	s_or_b64 exec, exec, s[8:9]
	v_mul_f64 v[0:1], v[82:83], v[80:81]
	v_mul_f64 v[86:87], v[84:85], v[80:81]
	v_lshlrev_b64 v[88:89], 4, v[91:92]
	v_mov_b32_e32 v90, s3
	v_fma_f64 v[0:1], v[84:85], v[78:79], v[0:1]
	v_fma_f64 v[82:83], v[82:83], v[78:79], -v[86:87]
	v_add_co_u32_e32 v84, vcc, v93, v88
	v_addc_co_u32_e32 v85, vcc, v94, v89, vcc
	v_cmp_lt_i32_e32 vcc, 19, v91
	global_store_dwordx4 v[84:85], v[74:77], off
	s_nop 0
	v_cndmask_b32_e32 v77, v81, v1, vcc
	v_cndmask_b32_e32 v76, v80, v0, vcc
	;; [unrolled: 1-line block ×4, first 2 shown]
	v_add_co_u32_e32 v0, vcc, s2, v84
	v_addc_co_u32_e32 v1, vcc, v85, v90, vcc
	global_store_dwordx4 v[0:1], v[70:73], off
	v_add_u32_e32 v0, s16, v91
	v_ashrrev_i32_e32 v1, 31, v0
	v_lshlrev_b64 v[70:71], 4, v[0:1]
	v_add_u32_e32 v0, s6, v0
	v_add_co_u32_e32 v70, vcc, v93, v70
	v_addc_co_u32_e32 v71, vcc, v94, v71, vcc
	v_ashrrev_i32_e32 v1, 31, v0
	global_store_dwordx4 v[70:71], v[66:69], off
	s_nop 0
	v_lshlrev_b64 v[66:67], 4, v[0:1]
	v_add_u32_e32 v0, s6, v0
	v_add_co_u32_e32 v66, vcc, v93, v66
	v_addc_co_u32_e32 v67, vcc, v94, v67, vcc
	v_ashrrev_i32_e32 v1, 31, v0
	global_store_dwordx4 v[66:67], v[62:65], off
	s_nop 0
	;; [unrolled: 7-line block ×16, first 2 shown]
	v_lshlrev_b64 v[6:7], 4, v[0:1]
	v_add_u32_e32 v0, s6, v0
	v_ashrrev_i32_e32 v1, 31, v0
	v_add_co_u32_e32 v6, vcc, v93, v6
	v_lshlrev_b64 v[0:1], 4, v[0:1]
	v_addc_co_u32_e32 v7, vcc, v94, v7, vcc
	v_add_co_u32_e32 v0, vcc, v93, v0
	v_addc_co_u32_e32 v1, vcc, v94, v1, vcc
	global_store_dwordx4 v[6:7], v[2:5], off
	global_store_dwordx4 v[0:1], v[74:77], off
.LBB38_421:
	s_endpgm
	.section	.rodata,"a",@progbits
	.p2align	6, 0x0
	.amdhsa_kernel _ZN9rocsolver6v33100L18getf2_small_kernelILi20E19rocblas_complex_numIdEiiPS3_EEvT1_T3_lS5_lPS5_llPT2_S5_S5_S7_l
		.amdhsa_group_segment_fixed_size 0
		.amdhsa_private_segment_fixed_size 0
		.amdhsa_kernarg_size 352
		.amdhsa_user_sgpr_count 6
		.amdhsa_user_sgpr_private_segment_buffer 1
		.amdhsa_user_sgpr_dispatch_ptr 0
		.amdhsa_user_sgpr_queue_ptr 0
		.amdhsa_user_sgpr_kernarg_segment_ptr 1
		.amdhsa_user_sgpr_dispatch_id 0
		.amdhsa_user_sgpr_flat_scratch_init 0
		.amdhsa_user_sgpr_private_segment_size 0
		.amdhsa_uses_dynamic_stack 0
		.amdhsa_system_sgpr_private_segment_wavefront_offset 0
		.amdhsa_system_sgpr_workgroup_id_x 1
		.amdhsa_system_sgpr_workgroup_id_y 1
		.amdhsa_system_sgpr_workgroup_id_z 0
		.amdhsa_system_sgpr_workgroup_info 0
		.amdhsa_system_vgpr_workitem_id 1
		.amdhsa_next_free_vgpr 126
		.amdhsa_next_free_sgpr 26
		.amdhsa_reserve_vcc 1
		.amdhsa_reserve_flat_scratch 0
		.amdhsa_float_round_mode_32 0
		.amdhsa_float_round_mode_16_64 0
		.amdhsa_float_denorm_mode_32 3
		.amdhsa_float_denorm_mode_16_64 3
		.amdhsa_dx10_clamp 1
		.amdhsa_ieee_mode 1
		.amdhsa_fp16_overflow 0
		.amdhsa_exception_fp_ieee_invalid_op 0
		.amdhsa_exception_fp_denorm_src 0
		.amdhsa_exception_fp_ieee_div_zero 0
		.amdhsa_exception_fp_ieee_overflow 0
		.amdhsa_exception_fp_ieee_underflow 0
		.amdhsa_exception_fp_ieee_inexact 0
		.amdhsa_exception_int_div_zero 0
	.end_amdhsa_kernel
	.section	.text._ZN9rocsolver6v33100L18getf2_small_kernelILi20E19rocblas_complex_numIdEiiPS3_EEvT1_T3_lS5_lPS5_llPT2_S5_S5_S7_l,"axG",@progbits,_ZN9rocsolver6v33100L18getf2_small_kernelILi20E19rocblas_complex_numIdEiiPS3_EEvT1_T3_lS5_lPS5_llPT2_S5_S5_S7_l,comdat
.Lfunc_end38:
	.size	_ZN9rocsolver6v33100L18getf2_small_kernelILi20E19rocblas_complex_numIdEiiPS3_EEvT1_T3_lS5_lPS5_llPT2_S5_S5_S7_l, .Lfunc_end38-_ZN9rocsolver6v33100L18getf2_small_kernelILi20E19rocblas_complex_numIdEiiPS3_EEvT1_T3_lS5_lPS5_llPT2_S5_S5_S7_l
                                        ; -- End function
	.set _ZN9rocsolver6v33100L18getf2_small_kernelILi20E19rocblas_complex_numIdEiiPS3_EEvT1_T3_lS5_lPS5_llPT2_S5_S5_S7_l.num_vgpr, 126
	.set _ZN9rocsolver6v33100L18getf2_small_kernelILi20E19rocblas_complex_numIdEiiPS3_EEvT1_T3_lS5_lPS5_llPT2_S5_S5_S7_l.num_agpr, 0
	.set _ZN9rocsolver6v33100L18getf2_small_kernelILi20E19rocblas_complex_numIdEiiPS3_EEvT1_T3_lS5_lPS5_llPT2_S5_S5_S7_l.numbered_sgpr, 26
	.set _ZN9rocsolver6v33100L18getf2_small_kernelILi20E19rocblas_complex_numIdEiiPS3_EEvT1_T3_lS5_lPS5_llPT2_S5_S5_S7_l.num_named_barrier, 0
	.set _ZN9rocsolver6v33100L18getf2_small_kernelILi20E19rocblas_complex_numIdEiiPS3_EEvT1_T3_lS5_lPS5_llPT2_S5_S5_S7_l.private_seg_size, 0
	.set _ZN9rocsolver6v33100L18getf2_small_kernelILi20E19rocblas_complex_numIdEiiPS3_EEvT1_T3_lS5_lPS5_llPT2_S5_S5_S7_l.uses_vcc, 1
	.set _ZN9rocsolver6v33100L18getf2_small_kernelILi20E19rocblas_complex_numIdEiiPS3_EEvT1_T3_lS5_lPS5_llPT2_S5_S5_S7_l.uses_flat_scratch, 0
	.set _ZN9rocsolver6v33100L18getf2_small_kernelILi20E19rocblas_complex_numIdEiiPS3_EEvT1_T3_lS5_lPS5_llPT2_S5_S5_S7_l.has_dyn_sized_stack, 0
	.set _ZN9rocsolver6v33100L18getf2_small_kernelILi20E19rocblas_complex_numIdEiiPS3_EEvT1_T3_lS5_lPS5_llPT2_S5_S5_S7_l.has_recursion, 0
	.set _ZN9rocsolver6v33100L18getf2_small_kernelILi20E19rocblas_complex_numIdEiiPS3_EEvT1_T3_lS5_lPS5_llPT2_S5_S5_S7_l.has_indirect_call, 0
	.section	.AMDGPU.csdata,"",@progbits
; Kernel info:
; codeLenInByte = 32624
; TotalNumSgprs: 30
; NumVgprs: 126
; ScratchSize: 0
; MemoryBound: 0
; FloatMode: 240
; IeeeMode: 1
; LDSByteSize: 0 bytes/workgroup (compile time only)
; SGPRBlocks: 3
; VGPRBlocks: 31
; NumSGPRsForWavesPerEU: 30
; NumVGPRsForWavesPerEU: 126
; Occupancy: 2
; WaveLimiterHint : 0
; COMPUTE_PGM_RSRC2:SCRATCH_EN: 0
; COMPUTE_PGM_RSRC2:USER_SGPR: 6
; COMPUTE_PGM_RSRC2:TRAP_HANDLER: 0
; COMPUTE_PGM_RSRC2:TGID_X_EN: 1
; COMPUTE_PGM_RSRC2:TGID_Y_EN: 1
; COMPUTE_PGM_RSRC2:TGID_Z_EN: 0
; COMPUTE_PGM_RSRC2:TIDIG_COMP_CNT: 1
	.section	.text._ZN9rocsolver6v33100L23getf2_npvt_small_kernelILi20E19rocblas_complex_numIdEiiPS3_EEvT1_T3_lS5_lPT2_S5_S5_,"axG",@progbits,_ZN9rocsolver6v33100L23getf2_npvt_small_kernelILi20E19rocblas_complex_numIdEiiPS3_EEvT1_T3_lS5_lPT2_S5_S5_,comdat
	.globl	_ZN9rocsolver6v33100L23getf2_npvt_small_kernelILi20E19rocblas_complex_numIdEiiPS3_EEvT1_T3_lS5_lPT2_S5_S5_ ; -- Begin function _ZN9rocsolver6v33100L23getf2_npvt_small_kernelILi20E19rocblas_complex_numIdEiiPS3_EEvT1_T3_lS5_lPT2_S5_S5_
	.p2align	8
	.type	_ZN9rocsolver6v33100L23getf2_npvt_small_kernelILi20E19rocblas_complex_numIdEiiPS3_EEvT1_T3_lS5_lPT2_S5_S5_,@function
_ZN9rocsolver6v33100L23getf2_npvt_small_kernelILi20E19rocblas_complex_numIdEiiPS3_EEvT1_T3_lS5_lPT2_S5_S5_: ; @_ZN9rocsolver6v33100L23getf2_npvt_small_kernelILi20E19rocblas_complex_numIdEiiPS3_EEvT1_T3_lS5_lPT2_S5_S5_
; %bb.0:
	s_mov_b64 s[22:23], s[2:3]
	s_mov_b64 s[20:21], s[0:1]
	s_load_dword s0, s[4:5], 0x44
	s_load_dwordx2 s[12:13], s[4:5], 0x30
	s_add_u32 s20, s20, s8
	s_addc_u32 s21, s21, 0
	s_waitcnt lgkmcnt(0)
	s_lshr_b32 s2, s0, 16
	s_mul_i32 s7, s7, s2
	v_add_u32_e32 v2, s7, v1
	v_cmp_gt_i32_e32 vcc, s12, v2
	s_and_saveexec_b64 s[0:1], vcc
	s_cbranch_execz .LBB39_183
; %bb.1:
	s_load_dwordx4 s[8:11], s[4:5], 0x20
	s_load_dwordx4 s[16:19], s[4:5], 0x8
	v_ashrrev_i32_e32 v3, 31, v2
	s_mulk_i32 s2, 0x140
	s_waitcnt lgkmcnt(0)
	v_mul_lo_u32 v4, s9, v2
	v_mul_lo_u32 v5, s8, v3
	buffer_store_dword v2, off, s[20:23], 0 offset:344 ; 4-byte Folded Spill
	s_nop 0
	buffer_store_dword v3, off, s[20:23], 0 offset:348 ; 4-byte Folded Spill
	v_mov_b32_e32 v6, s17
	v_mad_u64_u32 v[2:3], s[0:1], s8, v2, 0
	s_load_dword s0, s[4:5], 0x18
	s_lshl_b64 s[4:5], s[18:19], 4
	v_add3_u32 v3, v3, v5, v4
	v_lshlrev_b64 v[2:3], 4, v[2:3]
	v_mov_b32_e32 v4, s5
	v_add_co_u32_e32 v2, vcc, s16, v2
	v_addc_co_u32_e32 v3, vcc, v6, v3, vcc
	v_add_co_u32_e32 v2, vcc, s4, v2
	s_waitcnt lgkmcnt(0)
	s_add_i32 s1, s0, s0
	v_addc_co_u32_e32 v3, vcc, v3, v4, vcc
	v_add_u32_e32 v4, s1, v0
	v_ashrrev_i32_e32 v5, 31, v4
	v_lshlrev_b64 v[5:6], 4, v[4:5]
	v_add_u32_e32 v4, s0, v4
	v_add_co_u32_e32 v121, vcc, v2, v5
	v_ashrrev_i32_e32 v5, 31, v4
	v_addc_co_u32_e32 v122, vcc, v3, v6, vcc
	v_lshlrev_b64 v[5:6], 4, v[4:5]
	v_add_u32_e32 v4, s0, v4
	v_add_co_u32_e32 v123, vcc, v2, v5
	v_ashrrev_i32_e32 v5, 31, v4
	v_addc_co_u32_e32 v124, vcc, v3, v6, vcc
	v_lshlrev_b64 v[5:6], 4, v[4:5]
	v_add_u32_e32 v4, s0, v4
	v_add_co_u32_e32 v119, vcc, v2, v5
	v_ashrrev_i32_e32 v5, 31, v4
	v_addc_co_u32_e32 v120, vcc, v3, v6, vcc
	v_lshlrev_b64 v[5:6], 4, v[4:5]
	v_add_u32_e32 v4, s0, v4
	v_add_co_u32_e32 v7, vcc, v2, v5
	v_ashrrev_i32_e32 v5, 31, v4
	v_addc_co_u32_e32 v8, vcc, v3, v6, vcc
	v_lshlrev_b64 v[5:6], 4, v[4:5]
	v_add_u32_e32 v4, s0, v4
	v_add_co_u32_e32 v9, vcc, v2, v5
	v_ashrrev_i32_e32 v5, 31, v4
	v_addc_co_u32_e32 v10, vcc, v3, v6, vcc
	v_lshlrev_b64 v[5:6], 4, v[4:5]
	v_add_u32_e32 v4, s0, v4
	v_add_co_u32_e32 v11, vcc, v2, v5
	v_ashrrev_i32_e32 v5, 31, v4
	v_addc_co_u32_e32 v12, vcc, v3, v6, vcc
	v_lshlrev_b64 v[5:6], 4, v[4:5]
	v_add_u32_e32 v4, s0, v4
	v_add_co_u32_e32 v13, vcc, v2, v5
	v_ashrrev_i32_e32 v5, 31, v4
	v_addc_co_u32_e32 v14, vcc, v3, v6, vcc
	v_lshlrev_b64 v[5:6], 4, v[4:5]
	v_add_u32_e32 v4, s0, v4
	v_add_co_u32_e32 v15, vcc, v2, v5
	v_ashrrev_i32_e32 v5, 31, v4
	v_addc_co_u32_e32 v16, vcc, v3, v6, vcc
	v_lshlrev_b64 v[5:6], 4, v[4:5]
	v_add_u32_e32 v4, s0, v4
	v_add_co_u32_e32 v17, vcc, v2, v5
	v_ashrrev_i32_e32 v5, 31, v4
	v_addc_co_u32_e32 v18, vcc, v3, v6, vcc
	v_lshlrev_b64 v[5:6], 4, v[4:5]
	v_add_u32_e32 v4, s0, v4
	v_add_co_u32_e32 v19, vcc, v2, v5
	v_ashrrev_i32_e32 v5, 31, v4
	v_addc_co_u32_e32 v20, vcc, v3, v6, vcc
	v_lshlrev_b64 v[5:6], 4, v[4:5]
	v_add_u32_e32 v4, s0, v4
	v_add_co_u32_e32 v21, vcc, v2, v5
	v_ashrrev_i32_e32 v5, 31, v4
	v_addc_co_u32_e32 v22, vcc, v3, v6, vcc
	v_lshlrev_b64 v[5:6], 4, v[4:5]
	v_add_u32_e32 v4, s0, v4
	v_add_co_u32_e32 v23, vcc, v2, v5
	v_ashrrev_i32_e32 v5, 31, v4
	v_addc_co_u32_e32 v24, vcc, v3, v6, vcc
	v_lshlrev_b64 v[5:6], 4, v[4:5]
	v_add_u32_e32 v4, s0, v4
	v_add_co_u32_e32 v53, vcc, v2, v5
	v_ashrrev_i32_e32 v5, 31, v4
	v_addc_co_u32_e32 v54, vcc, v3, v6, vcc
	v_lshlrev_b64 v[5:6], 4, v[4:5]
	v_add_u32_e32 v4, s0, v4
	v_add_co_u32_e32 v55, vcc, v2, v5
	v_ashrrev_i32_e32 v5, 31, v4
	v_addc_co_u32_e32 v56, vcc, v3, v6, vcc
	v_lshlrev_b64 v[5:6], 4, v[4:5]
	v_add_u32_e32 v4, s0, v4
	v_add_co_u32_e32 v81, vcc, v2, v5
	v_ashrrev_i32_e32 v5, 31, v4
	v_addc_co_u32_e32 v82, vcc, v3, v6, vcc
	v_lshlrev_b64 v[5:6], 4, v[4:5]
	v_add_u32_e32 v4, s0, v4
	v_add_co_u32_e32 v83, vcc, v2, v5
	v_ashrrev_i32_e32 v5, 31, v4
	v_addc_co_u32_e32 v84, vcc, v3, v6, vcc
	v_lshlrev_b64 v[5:6], 4, v[4:5]
	v_add_u32_e32 v4, s0, v4
	v_add_co_u32_e32 v85, vcc, v2, v5
	v_ashrrev_i32_e32 v5, 31, v4
	v_lshlrev_b64 v[4:5], 4, v[4:5]
	v_addc_co_u32_e32 v86, vcc, v3, v6, vcc
	v_add_co_u32_e32 v87, vcc, v2, v4
	v_addc_co_u32_e32 v88, vcc, v3, v5, vcc
	v_lshlrev_b32_e32 v4, 4, v0
	v_add_co_u32_e32 v5, vcc, v2, v4
	s_ashr_i32 s1, s0, 31
	v_addc_co_u32_e32 v6, vcc, 0, v3, vcc
	s_lshl_b64 s[0:1], s[0:1], 4
	v_mov_b32_e32 v2, s1
	v_add_co_u32_e32 v3, vcc, s0, v5
	v_addc_co_u32_e32 v4, vcc, v6, v2, vcc
	buffer_store_dword v5, off, s[20:23], 0 offset:144 ; 4-byte Folded Spill
	s_nop 0
	buffer_store_dword v6, off, s[20:23], 0 offset:148 ; 4-byte Folded Spill
	s_movk_i32 s0, 0x140
	s_add_i32 s1, s2, 0
	v_mad_u32_u24 v125, v1, s0, 0
	v_lshl_add_u32 v127, v1, 4, s1
	v_cmp_ne_u32_e64 s[2:3], 0, v0
	v_cmp_eq_u32_e64 s[0:1], 0, v0
	global_load_dwordx4 v[25:28], v[5:6], off
	s_waitcnt vmcnt(0)
	buffer_store_dword v25, off, s[20:23], 0 ; 4-byte Folded Spill
	s_nop 0
	buffer_store_dword v26, off, s[20:23], 0 offset:4 ; 4-byte Folded Spill
	buffer_store_dword v27, off, s[20:23], 0 offset:8 ; 4-byte Folded Spill
	;; [unrolled: 1-line block ×4, first 2 shown]
	s_nop 0
	buffer_store_dword v4, off, s[20:23], 0 offset:140 ; 4-byte Folded Spill
	global_load_dwordx4 v[73:76], v[3:4], off
	global_load_dwordx4 v[69:72], v[121:122], off
	;; [unrolled: 1-line block ×4, first 2 shown]
	s_nop 0
	buffer_store_dword v7, off, s[20:23], 0 offset:16 ; 4-byte Folded Spill
	s_nop 0
	buffer_store_dword v8, off, s[20:23], 0 offset:20 ; 4-byte Folded Spill
	global_load_dwordx4 v[57:60], v[7:8], off
	s_nop 0
	buffer_store_dword v9, off, s[20:23], 0 offset:24 ; 4-byte Folded Spill
	s_nop 0
	buffer_store_dword v10, off, s[20:23], 0 offset:28 ; 4-byte Folded Spill
	global_load_dwordx4 v[49:52], v[9:10], off
	s_nop 0
	buffer_store_dword v11, off, s[20:23], 0 offset:32 ; 4-byte Folded Spill
	s_nop 0
	buffer_store_dword v12, off, s[20:23], 0 offset:36 ; 4-byte Folded Spill
	global_load_dwordx4 v[45:48], v[11:12], off
	s_nop 0
	buffer_store_dword v13, off, s[20:23], 0 offset:40 ; 4-byte Folded Spill
	s_nop 0
	buffer_store_dword v14, off, s[20:23], 0 offset:44 ; 4-byte Folded Spill
	global_load_dwordx4 v[41:44], v[13:14], off
	s_nop 0
	buffer_store_dword v15, off, s[20:23], 0 offset:48 ; 4-byte Folded Spill
	s_nop 0
	buffer_store_dword v16, off, s[20:23], 0 offset:52 ; 4-byte Folded Spill
	global_load_dwordx4 v[37:40], v[15:16], off
	s_nop 0
	buffer_store_dword v17, off, s[20:23], 0 offset:56 ; 4-byte Folded Spill
	s_nop 0
	buffer_store_dword v18, off, s[20:23], 0 offset:60 ; 4-byte Folded Spill
	global_load_dwordx4 v[33:36], v[17:18], off
	s_nop 0
	buffer_store_dword v19, off, s[20:23], 0 offset:64 ; 4-byte Folded Spill
	s_nop 0
	buffer_store_dword v20, off, s[20:23], 0 offset:68 ; 4-byte Folded Spill
	global_load_dwordx4 v[29:32], v[19:20], off
	s_nop 0
	buffer_store_dword v21, off, s[20:23], 0 offset:72 ; 4-byte Folded Spill
	s_nop 0
	buffer_store_dword v22, off, s[20:23], 0 offset:76 ; 4-byte Folded Spill
	global_load_dwordx4 v[25:28], v[21:22], off
	s_nop 0
	buffer_store_dword v23, off, s[20:23], 0 offset:80 ; 4-byte Folded Spill
	s_nop 0
	buffer_store_dword v24, off, s[20:23], 0 offset:84 ; 4-byte Folded Spill
	global_load_dwordx4 v[21:24], v[23:24], off
	s_nop 0
	buffer_store_dword v53, off, s[20:23], 0 offset:88 ; 4-byte Folded Spill
	s_nop 0
	buffer_store_dword v54, off, s[20:23], 0 offset:92 ; 4-byte Folded Spill
	global_load_dwordx4 v[17:20], v[53:54], off
	s_nop 0
	buffer_store_dword v55, off, s[20:23], 0 offset:96 ; 4-byte Folded Spill
	s_nop 0
	buffer_store_dword v56, off, s[20:23], 0 offset:100 ; 4-byte Folded Spill
	global_load_dwordx4 v[13:16], v[55:56], off
	s_nop 0
	buffer_store_dword v81, off, s[20:23], 0 offset:104 ; 4-byte Folded Spill
	s_nop 0
	buffer_store_dword v82, off, s[20:23], 0 offset:108 ; 4-byte Folded Spill
	global_load_dwordx4 v[9:12], v[81:82], off
	s_nop 0
	buffer_store_dword v83, off, s[20:23], 0 offset:112 ; 4-byte Folded Spill
	s_nop 0
	buffer_store_dword v84, off, s[20:23], 0 offset:116 ; 4-byte Folded Spill
	global_load_dwordx4 v[5:8], v[83:84], off
	s_nop 0
	buffer_store_dword v85, off, s[20:23], 0 offset:120 ; 4-byte Folded Spill
	s_nop 0
	buffer_store_dword v86, off, s[20:23], 0 offset:124 ; 4-byte Folded Spill
	global_load_dwordx4 v[1:4], v[85:86], off
	s_nop 0
	buffer_store_dword v87, off, s[20:23], 0 offset:128 ; 4-byte Folded Spill
	s_nop 0
	buffer_store_dword v88, off, s[20:23], 0 offset:132 ; 4-byte Folded Spill
	global_load_dwordx4 v[53:56], v[87:88], off
	s_and_saveexec_b64 s[6:7], s[0:1]
	s_cbranch_execz .LBB39_8
; %bb.2:
	buffer_load_dword v77, off, s[20:23], 0 ; 4-byte Folded Reload
	buffer_load_dword v78, off, s[20:23], 0 offset:4 ; 4-byte Folded Reload
	buffer_load_dword v79, off, s[20:23], 0 offset:8 ; 4-byte Folded Reload
	;; [unrolled: 1-line block ×3, first 2 shown]
	s_waitcnt vmcnt(0)
	ds_write2_b64 v127, v[77:78], v[79:80] offset1:1
	ds_write2_b64 v125, v[73:74], v[75:76] offset0:2 offset1:3
	ds_write2_b64 v125, v[69:70], v[71:72] offset0:4 offset1:5
	ds_write2_b64 v125, v[65:66], v[67:68] offset0:6 offset1:7
	ds_write2_b64 v125, v[61:62], v[63:64] offset0:8 offset1:9
	ds_write2_b64 v125, v[57:58], v[59:60] offset0:10 offset1:11
	ds_write2_b64 v125, v[49:50], v[51:52] offset0:12 offset1:13
	ds_write2_b64 v125, v[45:46], v[47:48] offset0:14 offset1:15
	ds_write2_b64 v125, v[41:42], v[43:44] offset0:16 offset1:17
	ds_write2_b64 v125, v[37:38], v[39:40] offset0:18 offset1:19
	ds_write2_b64 v125, v[33:34], v[35:36] offset0:20 offset1:21
	ds_write2_b64 v125, v[29:30], v[31:32] offset0:22 offset1:23
	ds_write2_b64 v125, v[25:26], v[27:28] offset0:24 offset1:25
	ds_write2_b64 v125, v[21:22], v[23:24] offset0:26 offset1:27
	ds_write2_b64 v125, v[17:18], v[19:20] offset0:28 offset1:29
	ds_write2_b64 v125, v[13:14], v[15:16] offset0:30 offset1:31
	ds_write2_b64 v125, v[9:10], v[11:12] offset0:32 offset1:33
	ds_write2_b64 v125, v[5:6], v[7:8] offset0:34 offset1:35
	ds_write2_b64 v125, v[1:2], v[3:4] offset0:36 offset1:37
	ds_write2_b64 v125, v[53:54], v[55:56] offset0:38 offset1:39
	ds_read2_b64 v[81:84], v127 offset1:1
	s_waitcnt lgkmcnt(0)
	v_cmp_neq_f64_e32 vcc, 0, v[81:82]
	v_cmp_neq_f64_e64 s[4:5], 0, v[83:84]
	s_or_b64 s[4:5], vcc, s[4:5]
	s_and_b64 exec, exec, s[4:5]
	s_cbranch_execz .LBB39_8
; %bb.3:
	v_cmp_ngt_f64_e64 s[4:5], |v[81:82]|, |v[83:84]|
                                        ; implicit-def: $vgpr85_vgpr86
	s_and_saveexec_b64 s[8:9], s[4:5]
	s_xor_b64 s[4:5], exec, s[8:9]
                                        ; implicit-def: $vgpr87_vgpr88
	s_cbranch_execz .LBB39_5
; %bb.4:
	v_div_scale_f64 v[85:86], s[8:9], v[83:84], v[83:84], v[81:82]
	v_rcp_f64_e32 v[87:88], v[85:86]
	v_fma_f64 v[89:90], -v[85:86], v[87:88], 1.0
	v_fma_f64 v[87:88], v[87:88], v[89:90], v[87:88]
	v_div_scale_f64 v[89:90], vcc, v[81:82], v[83:84], v[81:82]
	v_fma_f64 v[91:92], -v[85:86], v[87:88], 1.0
	v_fma_f64 v[87:88], v[87:88], v[91:92], v[87:88]
	v_mul_f64 v[91:92], v[89:90], v[87:88]
	v_fma_f64 v[85:86], -v[85:86], v[91:92], v[89:90]
	v_div_fmas_f64 v[85:86], v[85:86], v[87:88], v[91:92]
	v_div_fixup_f64 v[85:86], v[85:86], v[83:84], v[81:82]
	v_fma_f64 v[81:82], v[81:82], v[85:86], v[83:84]
	v_div_scale_f64 v[83:84], s[8:9], v[81:82], v[81:82], 1.0
	v_div_scale_f64 v[91:92], vcc, 1.0, v[81:82], 1.0
	v_rcp_f64_e32 v[87:88], v[83:84]
	v_fma_f64 v[89:90], -v[83:84], v[87:88], 1.0
	v_fma_f64 v[87:88], v[87:88], v[89:90], v[87:88]
	v_fma_f64 v[89:90], -v[83:84], v[87:88], 1.0
	v_fma_f64 v[87:88], v[87:88], v[89:90], v[87:88]
	v_mul_f64 v[89:90], v[91:92], v[87:88]
	v_fma_f64 v[83:84], -v[83:84], v[89:90], v[91:92]
	v_div_fmas_f64 v[83:84], v[83:84], v[87:88], v[89:90]
	v_div_fixup_f64 v[87:88], v[83:84], v[81:82], 1.0
                                        ; implicit-def: $vgpr81_vgpr82
	v_mul_f64 v[85:86], v[85:86], v[87:88]
	v_xor_b32_e32 v88, 0x80000000, v88
.LBB39_5:
	s_andn2_saveexec_b64 s[4:5], s[4:5]
	s_cbranch_execz .LBB39_7
; %bb.6:
	v_div_scale_f64 v[85:86], s[8:9], v[81:82], v[81:82], v[83:84]
	v_rcp_f64_e32 v[87:88], v[85:86]
	v_fma_f64 v[89:90], -v[85:86], v[87:88], 1.0
	v_fma_f64 v[87:88], v[87:88], v[89:90], v[87:88]
	v_div_scale_f64 v[89:90], vcc, v[83:84], v[81:82], v[83:84]
	v_fma_f64 v[91:92], -v[85:86], v[87:88], 1.0
	v_fma_f64 v[87:88], v[87:88], v[91:92], v[87:88]
	v_mul_f64 v[91:92], v[89:90], v[87:88]
	v_fma_f64 v[85:86], -v[85:86], v[91:92], v[89:90]
	v_div_fmas_f64 v[85:86], v[85:86], v[87:88], v[91:92]
	v_div_fixup_f64 v[87:88], v[85:86], v[81:82], v[83:84]
	v_fma_f64 v[81:82], v[83:84], v[87:88], v[81:82]
	v_div_scale_f64 v[83:84], s[8:9], v[81:82], v[81:82], 1.0
	v_div_scale_f64 v[91:92], vcc, 1.0, v[81:82], 1.0
	v_rcp_f64_e32 v[85:86], v[83:84]
	v_fma_f64 v[89:90], -v[83:84], v[85:86], 1.0
	v_fma_f64 v[85:86], v[85:86], v[89:90], v[85:86]
	v_fma_f64 v[89:90], -v[83:84], v[85:86], 1.0
	v_fma_f64 v[85:86], v[85:86], v[89:90], v[85:86]
	v_mul_f64 v[89:90], v[91:92], v[85:86]
	v_fma_f64 v[83:84], -v[83:84], v[89:90], v[91:92]
	v_div_fmas_f64 v[83:84], v[83:84], v[85:86], v[89:90]
	v_div_fixup_f64 v[85:86], v[83:84], v[81:82], 1.0
	v_mul_f64 v[87:88], v[87:88], -v[85:86]
.LBB39_7:
	s_or_b64 exec, exec, s[4:5]
	ds_write2_b64 v127, v[85:86], v[87:88] offset1:1
.LBB39_8:
	s_or_b64 exec, exec, s[6:7]
	s_waitcnt vmcnt(0) lgkmcnt(0)
	s_barrier
	ds_read2_b64 v[81:84], v127 offset1:1
	s_waitcnt lgkmcnt(0)
	buffer_store_dword v81, off, s[20:23], 0 offset:152 ; 4-byte Folded Spill
	s_nop 0
	buffer_store_dword v82, off, s[20:23], 0 offset:156 ; 4-byte Folded Spill
	buffer_store_dword v83, off, s[20:23], 0 offset:160 ; 4-byte Folded Spill
	;; [unrolled: 1-line block ×3, first 2 shown]
	s_and_saveexec_b64 s[4:5], s[2:3]
	s_cbranch_execz .LBB39_10
; %bb.9:
	buffer_load_dword v83, off, s[20:23], 0 offset:152 ; 4-byte Folded Reload
	buffer_load_dword v84, off, s[20:23], 0 offset:156 ; 4-byte Folded Reload
	;; [unrolled: 1-line block ×4, first 2 shown]
	buffer_load_dword v77, off, s[20:23], 0 ; 4-byte Folded Reload
	buffer_load_dword v78, off, s[20:23], 0 offset:4 ; 4-byte Folded Reload
	buffer_load_dword v79, off, s[20:23], 0 offset:8 ; 4-byte Folded Reload
	;; [unrolled: 1-line block ×3, first 2 shown]
	s_waitcnt vmcnt(0)
	v_mul_f64 v[81:82], v[85:86], v[79:80]
	v_mul_f64 v[79:80], v[83:84], v[79:80]
	v_fma_f64 v[81:82], v[83:84], v[77:78], -v[81:82]
	v_fma_f64 v[79:80], v[85:86], v[77:78], v[79:80]
	ds_read2_b64 v[83:86], v125 offset0:2 offset1:3
	s_waitcnt lgkmcnt(0)
	v_mul_f64 v[77:78], v[85:86], v[79:80]
	v_fma_f64 v[77:78], v[83:84], v[81:82], -v[77:78]
	v_mul_f64 v[83:84], v[83:84], v[79:80]
	v_add_f64 v[73:74], v[73:74], -v[77:78]
	v_fma_f64 v[83:84], v[85:86], v[81:82], v[83:84]
	v_add_f64 v[75:76], v[75:76], -v[83:84]
	ds_read2_b64 v[83:86], v125 offset0:4 offset1:5
	s_waitcnt lgkmcnt(0)
	v_mul_f64 v[77:78], v[85:86], v[79:80]
	v_fma_f64 v[77:78], v[83:84], v[81:82], -v[77:78]
	v_mul_f64 v[83:84], v[83:84], v[79:80]
	v_add_f64 v[69:70], v[69:70], -v[77:78]
	v_fma_f64 v[83:84], v[85:86], v[81:82], v[83:84]
	v_add_f64 v[71:72], v[71:72], -v[83:84]
	ds_read2_b64 v[83:86], v125 offset0:6 offset1:7
	s_waitcnt lgkmcnt(0)
	v_mul_f64 v[77:78], v[85:86], v[79:80]
	v_fma_f64 v[77:78], v[83:84], v[81:82], -v[77:78]
	v_mul_f64 v[83:84], v[83:84], v[79:80]
	v_add_f64 v[65:66], v[65:66], -v[77:78]
	v_fma_f64 v[83:84], v[85:86], v[81:82], v[83:84]
	v_add_f64 v[67:68], v[67:68], -v[83:84]
	ds_read2_b64 v[83:86], v125 offset0:8 offset1:9
	s_waitcnt lgkmcnt(0)
	v_mul_f64 v[77:78], v[85:86], v[79:80]
	v_fma_f64 v[77:78], v[83:84], v[81:82], -v[77:78]
	v_mul_f64 v[83:84], v[83:84], v[79:80]
	v_add_f64 v[61:62], v[61:62], -v[77:78]
	v_fma_f64 v[83:84], v[85:86], v[81:82], v[83:84]
	v_add_f64 v[63:64], v[63:64], -v[83:84]
	ds_read2_b64 v[83:86], v125 offset0:10 offset1:11
	s_waitcnt lgkmcnt(0)
	v_mul_f64 v[77:78], v[85:86], v[79:80]
	v_fma_f64 v[77:78], v[83:84], v[81:82], -v[77:78]
	v_mul_f64 v[83:84], v[83:84], v[79:80]
	v_add_f64 v[57:58], v[57:58], -v[77:78]
	v_fma_f64 v[83:84], v[85:86], v[81:82], v[83:84]
	v_add_f64 v[59:60], v[59:60], -v[83:84]
	ds_read2_b64 v[83:86], v125 offset0:12 offset1:13
	s_waitcnt lgkmcnt(0)
	v_mul_f64 v[77:78], v[85:86], v[79:80]
	v_fma_f64 v[77:78], v[83:84], v[81:82], -v[77:78]
	v_mul_f64 v[83:84], v[83:84], v[79:80]
	v_add_f64 v[49:50], v[49:50], -v[77:78]
	v_fma_f64 v[83:84], v[85:86], v[81:82], v[83:84]
	v_add_f64 v[51:52], v[51:52], -v[83:84]
	ds_read2_b64 v[83:86], v125 offset0:14 offset1:15
	s_waitcnt lgkmcnt(0)
	v_mul_f64 v[77:78], v[85:86], v[79:80]
	v_fma_f64 v[77:78], v[83:84], v[81:82], -v[77:78]
	v_mul_f64 v[83:84], v[83:84], v[79:80]
	v_add_f64 v[45:46], v[45:46], -v[77:78]
	v_fma_f64 v[83:84], v[85:86], v[81:82], v[83:84]
	v_add_f64 v[47:48], v[47:48], -v[83:84]
	ds_read2_b64 v[83:86], v125 offset0:16 offset1:17
	s_waitcnt lgkmcnt(0)
	v_mul_f64 v[77:78], v[85:86], v[79:80]
	v_fma_f64 v[77:78], v[83:84], v[81:82], -v[77:78]
	v_mul_f64 v[83:84], v[83:84], v[79:80]
	v_add_f64 v[41:42], v[41:42], -v[77:78]
	v_fma_f64 v[83:84], v[85:86], v[81:82], v[83:84]
	v_add_f64 v[43:44], v[43:44], -v[83:84]
	ds_read2_b64 v[83:86], v125 offset0:18 offset1:19
	s_waitcnt lgkmcnt(0)
	v_mul_f64 v[77:78], v[85:86], v[79:80]
	v_fma_f64 v[77:78], v[83:84], v[81:82], -v[77:78]
	v_mul_f64 v[83:84], v[83:84], v[79:80]
	v_add_f64 v[37:38], v[37:38], -v[77:78]
	v_fma_f64 v[83:84], v[85:86], v[81:82], v[83:84]
	v_add_f64 v[39:40], v[39:40], -v[83:84]
	ds_read2_b64 v[83:86], v125 offset0:20 offset1:21
	s_waitcnt lgkmcnt(0)
	v_mul_f64 v[77:78], v[85:86], v[79:80]
	v_fma_f64 v[77:78], v[83:84], v[81:82], -v[77:78]
	v_mul_f64 v[83:84], v[83:84], v[79:80]
	v_add_f64 v[33:34], v[33:34], -v[77:78]
	v_fma_f64 v[83:84], v[85:86], v[81:82], v[83:84]
	v_add_f64 v[35:36], v[35:36], -v[83:84]
	ds_read2_b64 v[83:86], v125 offset0:22 offset1:23
	s_waitcnt lgkmcnt(0)
	v_mul_f64 v[77:78], v[85:86], v[79:80]
	v_fma_f64 v[77:78], v[83:84], v[81:82], -v[77:78]
	v_mul_f64 v[83:84], v[83:84], v[79:80]
	v_add_f64 v[29:30], v[29:30], -v[77:78]
	v_fma_f64 v[83:84], v[85:86], v[81:82], v[83:84]
	v_add_f64 v[31:32], v[31:32], -v[83:84]
	ds_read2_b64 v[83:86], v125 offset0:24 offset1:25
	s_waitcnt lgkmcnt(0)
	v_mul_f64 v[77:78], v[85:86], v[79:80]
	v_fma_f64 v[77:78], v[83:84], v[81:82], -v[77:78]
	v_mul_f64 v[83:84], v[83:84], v[79:80]
	v_add_f64 v[25:26], v[25:26], -v[77:78]
	v_fma_f64 v[83:84], v[85:86], v[81:82], v[83:84]
	v_add_f64 v[27:28], v[27:28], -v[83:84]
	ds_read2_b64 v[83:86], v125 offset0:26 offset1:27
	s_waitcnt lgkmcnt(0)
	v_mul_f64 v[77:78], v[85:86], v[79:80]
	v_fma_f64 v[77:78], v[83:84], v[81:82], -v[77:78]
	v_mul_f64 v[83:84], v[83:84], v[79:80]
	v_add_f64 v[21:22], v[21:22], -v[77:78]
	v_fma_f64 v[83:84], v[85:86], v[81:82], v[83:84]
	v_add_f64 v[23:24], v[23:24], -v[83:84]
	ds_read2_b64 v[83:86], v125 offset0:28 offset1:29
	s_waitcnt lgkmcnt(0)
	v_mul_f64 v[77:78], v[85:86], v[79:80]
	v_fma_f64 v[77:78], v[83:84], v[81:82], -v[77:78]
	v_mul_f64 v[83:84], v[83:84], v[79:80]
	v_add_f64 v[17:18], v[17:18], -v[77:78]
	v_fma_f64 v[83:84], v[85:86], v[81:82], v[83:84]
	v_add_f64 v[19:20], v[19:20], -v[83:84]
	ds_read2_b64 v[83:86], v125 offset0:30 offset1:31
	s_waitcnt lgkmcnt(0)
	v_mul_f64 v[77:78], v[85:86], v[79:80]
	v_fma_f64 v[77:78], v[83:84], v[81:82], -v[77:78]
	v_mul_f64 v[83:84], v[83:84], v[79:80]
	v_add_f64 v[13:14], v[13:14], -v[77:78]
	v_fma_f64 v[83:84], v[85:86], v[81:82], v[83:84]
	v_add_f64 v[15:16], v[15:16], -v[83:84]
	ds_read2_b64 v[83:86], v125 offset0:32 offset1:33
	s_waitcnt lgkmcnt(0)
	v_mul_f64 v[77:78], v[85:86], v[79:80]
	v_fma_f64 v[77:78], v[83:84], v[81:82], -v[77:78]
	v_mul_f64 v[83:84], v[83:84], v[79:80]
	v_add_f64 v[9:10], v[9:10], -v[77:78]
	v_fma_f64 v[83:84], v[85:86], v[81:82], v[83:84]
	v_add_f64 v[11:12], v[11:12], -v[83:84]
	ds_read2_b64 v[83:86], v125 offset0:34 offset1:35
	s_waitcnt lgkmcnt(0)
	v_mul_f64 v[77:78], v[85:86], v[79:80]
	v_fma_f64 v[77:78], v[83:84], v[81:82], -v[77:78]
	v_mul_f64 v[83:84], v[83:84], v[79:80]
	v_add_f64 v[5:6], v[5:6], -v[77:78]
	v_fma_f64 v[83:84], v[85:86], v[81:82], v[83:84]
	v_add_f64 v[7:8], v[7:8], -v[83:84]
	ds_read2_b64 v[83:86], v125 offset0:36 offset1:37
	s_waitcnt lgkmcnt(0)
	v_mul_f64 v[77:78], v[85:86], v[79:80]
	v_fma_f64 v[77:78], v[83:84], v[81:82], -v[77:78]
	v_mul_f64 v[83:84], v[83:84], v[79:80]
	v_add_f64 v[1:2], v[1:2], -v[77:78]
	v_fma_f64 v[83:84], v[85:86], v[81:82], v[83:84]
	v_add_f64 v[3:4], v[3:4], -v[83:84]
	ds_read2_b64 v[83:86], v125 offset0:38 offset1:39
	s_waitcnt lgkmcnt(0)
	v_mul_f64 v[77:78], v[85:86], v[79:80]
	v_fma_f64 v[77:78], v[83:84], v[81:82], -v[77:78]
	v_mul_f64 v[83:84], v[83:84], v[79:80]
	v_add_f64 v[53:54], v[53:54], -v[77:78]
	v_fma_f64 v[83:84], v[85:86], v[81:82], v[83:84]
	v_mov_b32_e32 v77, v81
	v_mov_b32_e32 v78, v82
	buffer_store_dword v77, off, s[20:23], 0 ; 4-byte Folded Spill
	s_nop 0
	buffer_store_dword v78, off, s[20:23], 0 offset:4 ; 4-byte Folded Spill
	buffer_store_dword v79, off, s[20:23], 0 offset:8 ; 4-byte Folded Spill
	;; [unrolled: 1-line block ×3, first 2 shown]
	v_add_f64 v[55:56], v[55:56], -v[83:84]
.LBB39_10:
	s_or_b64 exec, exec, s[4:5]
	v_cmp_eq_u32_e32 vcc, 1, v0
	s_waitcnt vmcnt(0)
	s_barrier
	s_and_saveexec_b64 s[4:5], vcc
	s_cbranch_execz .LBB39_17
; %bb.11:
	ds_write2_b64 v127, v[73:74], v[75:76] offset1:1
	ds_write2_b64 v125, v[69:70], v[71:72] offset0:4 offset1:5
	ds_write2_b64 v125, v[65:66], v[67:68] offset0:6 offset1:7
	;; [unrolled: 1-line block ×18, first 2 shown]
	ds_read2_b64 v[81:84], v127 offset1:1
	s_waitcnt lgkmcnt(0)
	v_cmp_neq_f64_e32 vcc, 0, v[81:82]
	v_cmp_neq_f64_e64 s[2:3], 0, v[83:84]
	s_or_b64 s[2:3], vcc, s[2:3]
	s_and_b64 exec, exec, s[2:3]
	s_cbranch_execz .LBB39_17
; %bb.12:
	v_cmp_ngt_f64_e64 s[2:3], |v[81:82]|, |v[83:84]|
                                        ; implicit-def: $vgpr85_vgpr86
	s_and_saveexec_b64 s[6:7], s[2:3]
	s_xor_b64 s[2:3], exec, s[6:7]
                                        ; implicit-def: $vgpr87_vgpr88
	s_cbranch_execz .LBB39_14
; %bb.13:
	v_div_scale_f64 v[85:86], s[6:7], v[83:84], v[83:84], v[81:82]
	v_rcp_f64_e32 v[87:88], v[85:86]
	v_fma_f64 v[89:90], -v[85:86], v[87:88], 1.0
	v_fma_f64 v[87:88], v[87:88], v[89:90], v[87:88]
	v_div_scale_f64 v[89:90], vcc, v[81:82], v[83:84], v[81:82]
	v_fma_f64 v[91:92], -v[85:86], v[87:88], 1.0
	v_fma_f64 v[87:88], v[87:88], v[91:92], v[87:88]
	v_mul_f64 v[91:92], v[89:90], v[87:88]
	v_fma_f64 v[85:86], -v[85:86], v[91:92], v[89:90]
	v_div_fmas_f64 v[85:86], v[85:86], v[87:88], v[91:92]
	v_div_fixup_f64 v[85:86], v[85:86], v[83:84], v[81:82]
	v_fma_f64 v[81:82], v[81:82], v[85:86], v[83:84]
	v_div_scale_f64 v[83:84], s[6:7], v[81:82], v[81:82], 1.0
	v_div_scale_f64 v[91:92], vcc, 1.0, v[81:82], 1.0
	v_rcp_f64_e32 v[87:88], v[83:84]
	v_fma_f64 v[89:90], -v[83:84], v[87:88], 1.0
	v_fma_f64 v[87:88], v[87:88], v[89:90], v[87:88]
	v_fma_f64 v[89:90], -v[83:84], v[87:88], 1.0
	v_fma_f64 v[87:88], v[87:88], v[89:90], v[87:88]
	v_mul_f64 v[89:90], v[91:92], v[87:88]
	v_fma_f64 v[83:84], -v[83:84], v[89:90], v[91:92]
	v_div_fmas_f64 v[83:84], v[83:84], v[87:88], v[89:90]
	v_div_fixup_f64 v[87:88], v[83:84], v[81:82], 1.0
                                        ; implicit-def: $vgpr81_vgpr82
	v_mul_f64 v[85:86], v[85:86], v[87:88]
	v_xor_b32_e32 v88, 0x80000000, v88
.LBB39_14:
	s_andn2_saveexec_b64 s[2:3], s[2:3]
	s_cbranch_execz .LBB39_16
; %bb.15:
	v_div_scale_f64 v[85:86], s[6:7], v[81:82], v[81:82], v[83:84]
	v_rcp_f64_e32 v[87:88], v[85:86]
	v_fma_f64 v[89:90], -v[85:86], v[87:88], 1.0
	v_fma_f64 v[87:88], v[87:88], v[89:90], v[87:88]
	v_div_scale_f64 v[89:90], vcc, v[83:84], v[81:82], v[83:84]
	v_fma_f64 v[91:92], -v[85:86], v[87:88], 1.0
	v_fma_f64 v[87:88], v[87:88], v[91:92], v[87:88]
	v_mul_f64 v[91:92], v[89:90], v[87:88]
	v_fma_f64 v[85:86], -v[85:86], v[91:92], v[89:90]
	v_div_fmas_f64 v[85:86], v[85:86], v[87:88], v[91:92]
	v_div_fixup_f64 v[87:88], v[85:86], v[81:82], v[83:84]
	v_fma_f64 v[81:82], v[83:84], v[87:88], v[81:82]
	v_div_scale_f64 v[83:84], s[6:7], v[81:82], v[81:82], 1.0
	v_div_scale_f64 v[91:92], vcc, 1.0, v[81:82], 1.0
	v_rcp_f64_e32 v[85:86], v[83:84]
	v_fma_f64 v[89:90], -v[83:84], v[85:86], 1.0
	v_fma_f64 v[85:86], v[85:86], v[89:90], v[85:86]
	v_fma_f64 v[89:90], -v[83:84], v[85:86], 1.0
	v_fma_f64 v[85:86], v[85:86], v[89:90], v[85:86]
	v_mul_f64 v[89:90], v[91:92], v[85:86]
	v_fma_f64 v[83:84], -v[83:84], v[89:90], v[91:92]
	v_div_fmas_f64 v[83:84], v[83:84], v[85:86], v[89:90]
	v_div_fixup_f64 v[85:86], v[83:84], v[81:82], 1.0
	v_mul_f64 v[87:88], v[87:88], -v[85:86]
.LBB39_16:
	s_or_b64 exec, exec, s[2:3]
	ds_write2_b64 v127, v[85:86], v[87:88] offset1:1
.LBB39_17:
	s_or_b64 exec, exec, s[4:5]
	s_waitcnt lgkmcnt(0)
	s_barrier
	ds_read2_b64 v[81:84], v127 offset1:1
	v_cmp_lt_u32_e32 vcc, 1, v0
	s_waitcnt lgkmcnt(0)
	buffer_store_dword v81, off, s[20:23], 0 offset:168 ; 4-byte Folded Spill
	s_nop 0
	buffer_store_dword v82, off, s[20:23], 0 offset:172 ; 4-byte Folded Spill
	buffer_store_dword v83, off, s[20:23], 0 offset:176 ; 4-byte Folded Spill
	;; [unrolled: 1-line block ×3, first 2 shown]
	s_and_saveexec_b64 s[2:3], vcc
	s_cbranch_execz .LBB39_19
; %bb.18:
	buffer_load_dword v83, off, s[20:23], 0 offset:168 ; 4-byte Folded Reload
	buffer_load_dword v84, off, s[20:23], 0 offset:172 ; 4-byte Folded Reload
	;; [unrolled: 1-line block ×4, first 2 shown]
	s_waitcnt vmcnt(0)
	v_mul_f64 v[81:82], v[85:86], v[75:76]
	v_mul_f64 v[75:76], v[83:84], v[75:76]
	v_fma_f64 v[81:82], v[83:84], v[73:74], -v[81:82]
	v_fma_f64 v[75:76], v[85:86], v[73:74], v[75:76]
	ds_read2_b64 v[83:86], v125 offset0:4 offset1:5
	s_waitcnt lgkmcnt(0)
	v_mul_f64 v[73:74], v[85:86], v[75:76]
	v_fma_f64 v[73:74], v[83:84], v[81:82], -v[73:74]
	v_mul_f64 v[83:84], v[83:84], v[75:76]
	v_add_f64 v[69:70], v[69:70], -v[73:74]
	v_fma_f64 v[83:84], v[85:86], v[81:82], v[83:84]
	v_add_f64 v[71:72], v[71:72], -v[83:84]
	ds_read2_b64 v[83:86], v125 offset0:6 offset1:7
	s_waitcnt lgkmcnt(0)
	v_mul_f64 v[73:74], v[85:86], v[75:76]
	v_fma_f64 v[73:74], v[83:84], v[81:82], -v[73:74]
	v_mul_f64 v[83:84], v[83:84], v[75:76]
	v_add_f64 v[65:66], v[65:66], -v[73:74]
	v_fma_f64 v[83:84], v[85:86], v[81:82], v[83:84]
	v_add_f64 v[67:68], v[67:68], -v[83:84]
	;; [unrolled: 8-line block ×17, first 2 shown]
	ds_read2_b64 v[83:86], v125 offset0:38 offset1:39
	s_waitcnt lgkmcnt(0)
	v_mul_f64 v[73:74], v[85:86], v[75:76]
	v_fma_f64 v[73:74], v[83:84], v[81:82], -v[73:74]
	v_mul_f64 v[83:84], v[83:84], v[75:76]
	v_add_f64 v[53:54], v[53:54], -v[73:74]
	v_fma_f64 v[83:84], v[85:86], v[81:82], v[83:84]
	v_mov_b32_e32 v73, v81
	v_mov_b32_e32 v74, v82
	v_add_f64 v[55:56], v[55:56], -v[83:84]
.LBB39_19:
	s_or_b64 exec, exec, s[2:3]
	v_cmp_eq_u32_e32 vcc, 2, v0
	s_waitcnt vmcnt(0)
	s_barrier
	s_and_saveexec_b64 s[4:5], vcc
	s_cbranch_execz .LBB39_26
; %bb.20:
	ds_write2_b64 v127, v[69:70], v[71:72] offset1:1
	ds_write2_b64 v125, v[65:66], v[67:68] offset0:6 offset1:7
	ds_write2_b64 v125, v[61:62], v[63:64] offset0:8 offset1:9
	;; [unrolled: 1-line block ×17, first 2 shown]
	ds_read2_b64 v[81:84], v127 offset1:1
	s_waitcnt lgkmcnt(0)
	v_cmp_neq_f64_e32 vcc, 0, v[81:82]
	v_cmp_neq_f64_e64 s[2:3], 0, v[83:84]
	s_or_b64 s[2:3], vcc, s[2:3]
	s_and_b64 exec, exec, s[2:3]
	s_cbranch_execz .LBB39_26
; %bb.21:
	v_cmp_ngt_f64_e64 s[2:3], |v[81:82]|, |v[83:84]|
                                        ; implicit-def: $vgpr85_vgpr86
	s_and_saveexec_b64 s[6:7], s[2:3]
	s_xor_b64 s[2:3], exec, s[6:7]
                                        ; implicit-def: $vgpr87_vgpr88
	s_cbranch_execz .LBB39_23
; %bb.22:
	v_div_scale_f64 v[85:86], s[6:7], v[83:84], v[83:84], v[81:82]
	v_rcp_f64_e32 v[87:88], v[85:86]
	v_fma_f64 v[89:90], -v[85:86], v[87:88], 1.0
	v_fma_f64 v[87:88], v[87:88], v[89:90], v[87:88]
	v_div_scale_f64 v[89:90], vcc, v[81:82], v[83:84], v[81:82]
	v_fma_f64 v[91:92], -v[85:86], v[87:88], 1.0
	v_fma_f64 v[87:88], v[87:88], v[91:92], v[87:88]
	v_mul_f64 v[91:92], v[89:90], v[87:88]
	v_fma_f64 v[85:86], -v[85:86], v[91:92], v[89:90]
	v_div_fmas_f64 v[85:86], v[85:86], v[87:88], v[91:92]
	v_div_fixup_f64 v[85:86], v[85:86], v[83:84], v[81:82]
	v_fma_f64 v[81:82], v[81:82], v[85:86], v[83:84]
	v_div_scale_f64 v[83:84], s[6:7], v[81:82], v[81:82], 1.0
	v_div_scale_f64 v[91:92], vcc, 1.0, v[81:82], 1.0
	v_rcp_f64_e32 v[87:88], v[83:84]
	v_fma_f64 v[89:90], -v[83:84], v[87:88], 1.0
	v_fma_f64 v[87:88], v[87:88], v[89:90], v[87:88]
	v_fma_f64 v[89:90], -v[83:84], v[87:88], 1.0
	v_fma_f64 v[87:88], v[87:88], v[89:90], v[87:88]
	v_mul_f64 v[89:90], v[91:92], v[87:88]
	v_fma_f64 v[83:84], -v[83:84], v[89:90], v[91:92]
	v_div_fmas_f64 v[83:84], v[83:84], v[87:88], v[89:90]
	v_div_fixup_f64 v[87:88], v[83:84], v[81:82], 1.0
                                        ; implicit-def: $vgpr81_vgpr82
	v_mul_f64 v[85:86], v[85:86], v[87:88]
	v_xor_b32_e32 v88, 0x80000000, v88
.LBB39_23:
	s_andn2_saveexec_b64 s[2:3], s[2:3]
	s_cbranch_execz .LBB39_25
; %bb.24:
	v_div_scale_f64 v[85:86], s[6:7], v[81:82], v[81:82], v[83:84]
	v_rcp_f64_e32 v[87:88], v[85:86]
	v_fma_f64 v[89:90], -v[85:86], v[87:88], 1.0
	v_fma_f64 v[87:88], v[87:88], v[89:90], v[87:88]
	v_div_scale_f64 v[89:90], vcc, v[83:84], v[81:82], v[83:84]
	v_fma_f64 v[91:92], -v[85:86], v[87:88], 1.0
	v_fma_f64 v[87:88], v[87:88], v[91:92], v[87:88]
	v_mul_f64 v[91:92], v[89:90], v[87:88]
	v_fma_f64 v[85:86], -v[85:86], v[91:92], v[89:90]
	v_div_fmas_f64 v[85:86], v[85:86], v[87:88], v[91:92]
	v_div_fixup_f64 v[87:88], v[85:86], v[81:82], v[83:84]
	v_fma_f64 v[81:82], v[83:84], v[87:88], v[81:82]
	v_div_scale_f64 v[83:84], s[6:7], v[81:82], v[81:82], 1.0
	v_div_scale_f64 v[91:92], vcc, 1.0, v[81:82], 1.0
	v_rcp_f64_e32 v[85:86], v[83:84]
	v_fma_f64 v[89:90], -v[83:84], v[85:86], 1.0
	v_fma_f64 v[85:86], v[85:86], v[89:90], v[85:86]
	v_fma_f64 v[89:90], -v[83:84], v[85:86], 1.0
	v_fma_f64 v[85:86], v[85:86], v[89:90], v[85:86]
	v_mul_f64 v[89:90], v[91:92], v[85:86]
	v_fma_f64 v[83:84], -v[83:84], v[89:90], v[91:92]
	v_div_fmas_f64 v[83:84], v[83:84], v[85:86], v[89:90]
	v_div_fixup_f64 v[85:86], v[83:84], v[81:82], 1.0
	v_mul_f64 v[87:88], v[87:88], -v[85:86]
.LBB39_25:
	s_or_b64 exec, exec, s[2:3]
	ds_write2_b64 v127, v[85:86], v[87:88] offset1:1
.LBB39_26:
	s_or_b64 exec, exec, s[4:5]
	s_waitcnt lgkmcnt(0)
	s_barrier
	ds_read2_b64 v[81:84], v127 offset1:1
	v_cmp_lt_u32_e32 vcc, 2, v0
	s_waitcnt lgkmcnt(0)
	buffer_store_dword v81, off, s[20:23], 0 offset:184 ; 4-byte Folded Spill
	s_nop 0
	buffer_store_dword v82, off, s[20:23], 0 offset:188 ; 4-byte Folded Spill
	buffer_store_dword v83, off, s[20:23], 0 offset:192 ; 4-byte Folded Spill
	;; [unrolled: 1-line block ×3, first 2 shown]
	s_and_saveexec_b64 s[2:3], vcc
	s_cbranch_execz .LBB39_28
; %bb.27:
	buffer_load_dword v83, off, s[20:23], 0 offset:184 ; 4-byte Folded Reload
	buffer_load_dword v84, off, s[20:23], 0 offset:188 ; 4-byte Folded Reload
	;; [unrolled: 1-line block ×4, first 2 shown]
	s_waitcnt vmcnt(0)
	v_mul_f64 v[81:82], v[85:86], v[71:72]
	v_mul_f64 v[71:72], v[83:84], v[71:72]
	v_fma_f64 v[81:82], v[83:84], v[69:70], -v[81:82]
	v_fma_f64 v[71:72], v[85:86], v[69:70], v[71:72]
	ds_read2_b64 v[83:86], v125 offset0:6 offset1:7
	s_waitcnt lgkmcnt(0)
	v_mul_f64 v[69:70], v[85:86], v[71:72]
	v_fma_f64 v[69:70], v[83:84], v[81:82], -v[69:70]
	v_mul_f64 v[83:84], v[83:84], v[71:72]
	v_add_f64 v[65:66], v[65:66], -v[69:70]
	v_fma_f64 v[83:84], v[85:86], v[81:82], v[83:84]
	v_add_f64 v[67:68], v[67:68], -v[83:84]
	ds_read2_b64 v[83:86], v125 offset0:8 offset1:9
	s_waitcnt lgkmcnt(0)
	v_mul_f64 v[69:70], v[85:86], v[71:72]
	v_fma_f64 v[69:70], v[83:84], v[81:82], -v[69:70]
	v_mul_f64 v[83:84], v[83:84], v[71:72]
	v_add_f64 v[61:62], v[61:62], -v[69:70]
	v_fma_f64 v[83:84], v[85:86], v[81:82], v[83:84]
	v_add_f64 v[63:64], v[63:64], -v[83:84]
	;; [unrolled: 8-line block ×16, first 2 shown]
	ds_read2_b64 v[83:86], v125 offset0:38 offset1:39
	s_waitcnt lgkmcnt(0)
	v_mul_f64 v[69:70], v[85:86], v[71:72]
	v_fma_f64 v[69:70], v[83:84], v[81:82], -v[69:70]
	v_mul_f64 v[83:84], v[83:84], v[71:72]
	v_add_f64 v[53:54], v[53:54], -v[69:70]
	v_fma_f64 v[83:84], v[85:86], v[81:82], v[83:84]
	v_mov_b32_e32 v69, v81
	v_mov_b32_e32 v70, v82
	v_add_f64 v[55:56], v[55:56], -v[83:84]
.LBB39_28:
	s_or_b64 exec, exec, s[2:3]
	v_cmp_eq_u32_e32 vcc, 3, v0
	s_waitcnt vmcnt(0)
	s_barrier
	s_and_saveexec_b64 s[4:5], vcc
	s_cbranch_execz .LBB39_35
; %bb.29:
	ds_write2_b64 v127, v[65:66], v[67:68] offset1:1
	ds_write2_b64 v125, v[61:62], v[63:64] offset0:8 offset1:9
	ds_write2_b64 v125, v[57:58], v[59:60] offset0:10 offset1:11
	;; [unrolled: 1-line block ×16, first 2 shown]
	ds_read2_b64 v[81:84], v127 offset1:1
	s_waitcnt lgkmcnt(0)
	v_cmp_neq_f64_e32 vcc, 0, v[81:82]
	v_cmp_neq_f64_e64 s[2:3], 0, v[83:84]
	s_or_b64 s[2:3], vcc, s[2:3]
	s_and_b64 exec, exec, s[2:3]
	s_cbranch_execz .LBB39_35
; %bb.30:
	v_cmp_ngt_f64_e64 s[2:3], |v[81:82]|, |v[83:84]|
                                        ; implicit-def: $vgpr85_vgpr86
	s_and_saveexec_b64 s[6:7], s[2:3]
	s_xor_b64 s[2:3], exec, s[6:7]
                                        ; implicit-def: $vgpr87_vgpr88
	s_cbranch_execz .LBB39_32
; %bb.31:
	v_div_scale_f64 v[85:86], s[6:7], v[83:84], v[83:84], v[81:82]
	v_rcp_f64_e32 v[87:88], v[85:86]
	v_fma_f64 v[89:90], -v[85:86], v[87:88], 1.0
	v_fma_f64 v[87:88], v[87:88], v[89:90], v[87:88]
	v_div_scale_f64 v[89:90], vcc, v[81:82], v[83:84], v[81:82]
	v_fma_f64 v[91:92], -v[85:86], v[87:88], 1.0
	v_fma_f64 v[87:88], v[87:88], v[91:92], v[87:88]
	v_mul_f64 v[91:92], v[89:90], v[87:88]
	v_fma_f64 v[85:86], -v[85:86], v[91:92], v[89:90]
	v_div_fmas_f64 v[85:86], v[85:86], v[87:88], v[91:92]
	v_div_fixup_f64 v[85:86], v[85:86], v[83:84], v[81:82]
	v_fma_f64 v[81:82], v[81:82], v[85:86], v[83:84]
	v_div_scale_f64 v[83:84], s[6:7], v[81:82], v[81:82], 1.0
	v_div_scale_f64 v[91:92], vcc, 1.0, v[81:82], 1.0
	v_rcp_f64_e32 v[87:88], v[83:84]
	v_fma_f64 v[89:90], -v[83:84], v[87:88], 1.0
	v_fma_f64 v[87:88], v[87:88], v[89:90], v[87:88]
	v_fma_f64 v[89:90], -v[83:84], v[87:88], 1.0
	v_fma_f64 v[87:88], v[87:88], v[89:90], v[87:88]
	v_mul_f64 v[89:90], v[91:92], v[87:88]
	v_fma_f64 v[83:84], -v[83:84], v[89:90], v[91:92]
	v_div_fmas_f64 v[83:84], v[83:84], v[87:88], v[89:90]
	v_div_fixup_f64 v[87:88], v[83:84], v[81:82], 1.0
                                        ; implicit-def: $vgpr81_vgpr82
	v_mul_f64 v[85:86], v[85:86], v[87:88]
	v_xor_b32_e32 v88, 0x80000000, v88
.LBB39_32:
	s_andn2_saveexec_b64 s[2:3], s[2:3]
	s_cbranch_execz .LBB39_34
; %bb.33:
	v_div_scale_f64 v[85:86], s[6:7], v[81:82], v[81:82], v[83:84]
	v_rcp_f64_e32 v[87:88], v[85:86]
	v_fma_f64 v[89:90], -v[85:86], v[87:88], 1.0
	v_fma_f64 v[87:88], v[87:88], v[89:90], v[87:88]
	v_div_scale_f64 v[89:90], vcc, v[83:84], v[81:82], v[83:84]
	v_fma_f64 v[91:92], -v[85:86], v[87:88], 1.0
	v_fma_f64 v[87:88], v[87:88], v[91:92], v[87:88]
	v_mul_f64 v[91:92], v[89:90], v[87:88]
	v_fma_f64 v[85:86], -v[85:86], v[91:92], v[89:90]
	v_div_fmas_f64 v[85:86], v[85:86], v[87:88], v[91:92]
	v_div_fixup_f64 v[87:88], v[85:86], v[81:82], v[83:84]
	v_fma_f64 v[81:82], v[83:84], v[87:88], v[81:82]
	v_div_scale_f64 v[83:84], s[6:7], v[81:82], v[81:82], 1.0
	v_div_scale_f64 v[91:92], vcc, 1.0, v[81:82], 1.0
	v_rcp_f64_e32 v[85:86], v[83:84]
	v_fma_f64 v[89:90], -v[83:84], v[85:86], 1.0
	v_fma_f64 v[85:86], v[85:86], v[89:90], v[85:86]
	v_fma_f64 v[89:90], -v[83:84], v[85:86], 1.0
	v_fma_f64 v[85:86], v[85:86], v[89:90], v[85:86]
	v_mul_f64 v[89:90], v[91:92], v[85:86]
	v_fma_f64 v[83:84], -v[83:84], v[89:90], v[91:92]
	v_div_fmas_f64 v[83:84], v[83:84], v[85:86], v[89:90]
	v_div_fixup_f64 v[85:86], v[83:84], v[81:82], 1.0
	v_mul_f64 v[87:88], v[87:88], -v[85:86]
.LBB39_34:
	s_or_b64 exec, exec, s[2:3]
	ds_write2_b64 v127, v[85:86], v[87:88] offset1:1
.LBB39_35:
	s_or_b64 exec, exec, s[4:5]
	s_waitcnt lgkmcnt(0)
	s_barrier
	ds_read2_b64 v[81:84], v127 offset1:1
	v_cmp_lt_u32_e32 vcc, 3, v0
	s_waitcnt lgkmcnt(0)
	buffer_store_dword v81, off, s[20:23], 0 offset:200 ; 4-byte Folded Spill
	s_nop 0
	buffer_store_dword v82, off, s[20:23], 0 offset:204 ; 4-byte Folded Spill
	buffer_store_dword v83, off, s[20:23], 0 offset:208 ; 4-byte Folded Spill
	;; [unrolled: 1-line block ×3, first 2 shown]
	s_and_saveexec_b64 s[2:3], vcc
	s_cbranch_execz .LBB39_37
; %bb.36:
	buffer_load_dword v83, off, s[20:23], 0 offset:200 ; 4-byte Folded Reload
	buffer_load_dword v84, off, s[20:23], 0 offset:204 ; 4-byte Folded Reload
	;; [unrolled: 1-line block ×4, first 2 shown]
	s_waitcnt vmcnt(2)
	v_mul_f64 v[81:82], v[83:84], v[67:68]
	s_waitcnt vmcnt(0)
	v_mul_f64 v[67:68], v[85:86], v[67:68]
	v_fma_f64 v[81:82], v[85:86], v[65:66], v[81:82]
	v_fma_f64 v[65:66], v[83:84], v[65:66], -v[67:68]
	ds_read2_b64 v[83:86], v125 offset0:8 offset1:9
	s_waitcnt lgkmcnt(0)
	v_mul_f64 v[67:68], v[85:86], v[81:82]
	v_fma_f64 v[67:68], v[83:84], v[65:66], -v[67:68]
	v_mul_f64 v[83:84], v[83:84], v[81:82]
	v_add_f64 v[61:62], v[61:62], -v[67:68]
	v_fma_f64 v[83:84], v[85:86], v[65:66], v[83:84]
	v_add_f64 v[63:64], v[63:64], -v[83:84]
	ds_read2_b64 v[83:86], v125 offset0:10 offset1:11
	s_waitcnt lgkmcnt(0)
	v_mul_f64 v[67:68], v[85:86], v[81:82]
	v_fma_f64 v[67:68], v[83:84], v[65:66], -v[67:68]
	v_mul_f64 v[83:84], v[83:84], v[81:82]
	v_add_f64 v[57:58], v[57:58], -v[67:68]
	v_fma_f64 v[83:84], v[85:86], v[65:66], v[83:84]
	v_add_f64 v[59:60], v[59:60], -v[83:84]
	;; [unrolled: 8-line block ×15, first 2 shown]
	ds_read2_b64 v[83:86], v125 offset0:38 offset1:39
	s_waitcnt lgkmcnt(0)
	v_mul_f64 v[67:68], v[85:86], v[81:82]
	v_fma_f64 v[67:68], v[83:84], v[65:66], -v[67:68]
	v_mul_f64 v[83:84], v[83:84], v[81:82]
	v_add_f64 v[53:54], v[53:54], -v[67:68]
	v_fma_f64 v[83:84], v[85:86], v[65:66], v[83:84]
	v_mov_b32_e32 v67, v81
	v_mov_b32_e32 v68, v82
	v_add_f64 v[55:56], v[55:56], -v[83:84]
.LBB39_37:
	s_or_b64 exec, exec, s[2:3]
	v_cmp_eq_u32_e32 vcc, 4, v0
	s_waitcnt vmcnt(0)
	s_barrier
	s_and_saveexec_b64 s[4:5], vcc
	s_cbranch_execz .LBB39_44
; %bb.38:
	ds_write2_b64 v127, v[61:62], v[63:64] offset1:1
	ds_write2_b64 v125, v[57:58], v[59:60] offset0:10 offset1:11
	ds_write2_b64 v125, v[49:50], v[51:52] offset0:12 offset1:13
	;; [unrolled: 1-line block ×15, first 2 shown]
	ds_read2_b64 v[81:84], v127 offset1:1
	s_waitcnt lgkmcnt(0)
	v_cmp_neq_f64_e32 vcc, 0, v[81:82]
	v_cmp_neq_f64_e64 s[2:3], 0, v[83:84]
	s_or_b64 s[2:3], vcc, s[2:3]
	s_and_b64 exec, exec, s[2:3]
	s_cbranch_execz .LBB39_44
; %bb.39:
	v_cmp_ngt_f64_e64 s[2:3], |v[81:82]|, |v[83:84]|
                                        ; implicit-def: $vgpr85_vgpr86
	s_and_saveexec_b64 s[6:7], s[2:3]
	s_xor_b64 s[2:3], exec, s[6:7]
                                        ; implicit-def: $vgpr87_vgpr88
	s_cbranch_execz .LBB39_41
; %bb.40:
	v_div_scale_f64 v[85:86], s[6:7], v[83:84], v[83:84], v[81:82]
	v_rcp_f64_e32 v[87:88], v[85:86]
	v_fma_f64 v[89:90], -v[85:86], v[87:88], 1.0
	v_fma_f64 v[87:88], v[87:88], v[89:90], v[87:88]
	v_div_scale_f64 v[89:90], vcc, v[81:82], v[83:84], v[81:82]
	v_fma_f64 v[91:92], -v[85:86], v[87:88], 1.0
	v_fma_f64 v[87:88], v[87:88], v[91:92], v[87:88]
	v_mul_f64 v[91:92], v[89:90], v[87:88]
	v_fma_f64 v[85:86], -v[85:86], v[91:92], v[89:90]
	v_div_fmas_f64 v[85:86], v[85:86], v[87:88], v[91:92]
	v_div_fixup_f64 v[85:86], v[85:86], v[83:84], v[81:82]
	v_fma_f64 v[81:82], v[81:82], v[85:86], v[83:84]
	v_div_scale_f64 v[83:84], s[6:7], v[81:82], v[81:82], 1.0
	v_div_scale_f64 v[91:92], vcc, 1.0, v[81:82], 1.0
	v_rcp_f64_e32 v[87:88], v[83:84]
	v_fma_f64 v[89:90], -v[83:84], v[87:88], 1.0
	v_fma_f64 v[87:88], v[87:88], v[89:90], v[87:88]
	v_fma_f64 v[89:90], -v[83:84], v[87:88], 1.0
	v_fma_f64 v[87:88], v[87:88], v[89:90], v[87:88]
	v_mul_f64 v[89:90], v[91:92], v[87:88]
	v_fma_f64 v[83:84], -v[83:84], v[89:90], v[91:92]
	v_div_fmas_f64 v[83:84], v[83:84], v[87:88], v[89:90]
	v_div_fixup_f64 v[87:88], v[83:84], v[81:82], 1.0
                                        ; implicit-def: $vgpr81_vgpr82
	v_mul_f64 v[85:86], v[85:86], v[87:88]
	v_xor_b32_e32 v88, 0x80000000, v88
.LBB39_41:
	s_andn2_saveexec_b64 s[2:3], s[2:3]
	s_cbranch_execz .LBB39_43
; %bb.42:
	v_div_scale_f64 v[85:86], s[6:7], v[81:82], v[81:82], v[83:84]
	v_rcp_f64_e32 v[87:88], v[85:86]
	v_fma_f64 v[89:90], -v[85:86], v[87:88], 1.0
	v_fma_f64 v[87:88], v[87:88], v[89:90], v[87:88]
	v_div_scale_f64 v[89:90], vcc, v[83:84], v[81:82], v[83:84]
	v_fma_f64 v[91:92], -v[85:86], v[87:88], 1.0
	v_fma_f64 v[87:88], v[87:88], v[91:92], v[87:88]
	v_mul_f64 v[91:92], v[89:90], v[87:88]
	v_fma_f64 v[85:86], -v[85:86], v[91:92], v[89:90]
	v_div_fmas_f64 v[85:86], v[85:86], v[87:88], v[91:92]
	v_div_fixup_f64 v[87:88], v[85:86], v[81:82], v[83:84]
	v_fma_f64 v[81:82], v[83:84], v[87:88], v[81:82]
	v_div_scale_f64 v[83:84], s[6:7], v[81:82], v[81:82], 1.0
	v_div_scale_f64 v[91:92], vcc, 1.0, v[81:82], 1.0
	v_rcp_f64_e32 v[85:86], v[83:84]
	v_fma_f64 v[89:90], -v[83:84], v[85:86], 1.0
	v_fma_f64 v[85:86], v[85:86], v[89:90], v[85:86]
	v_fma_f64 v[89:90], -v[83:84], v[85:86], 1.0
	v_fma_f64 v[85:86], v[85:86], v[89:90], v[85:86]
	v_mul_f64 v[89:90], v[91:92], v[85:86]
	v_fma_f64 v[83:84], -v[83:84], v[89:90], v[91:92]
	v_div_fmas_f64 v[83:84], v[83:84], v[85:86], v[89:90]
	v_div_fixup_f64 v[85:86], v[83:84], v[81:82], 1.0
	v_mul_f64 v[87:88], v[87:88], -v[85:86]
.LBB39_43:
	s_or_b64 exec, exec, s[2:3]
	ds_write2_b64 v127, v[85:86], v[87:88] offset1:1
.LBB39_44:
	s_or_b64 exec, exec, s[4:5]
	s_waitcnt lgkmcnt(0)
	s_barrier
	ds_read2_b64 v[81:84], v127 offset1:1
	v_cmp_lt_u32_e32 vcc, 4, v0
	s_waitcnt lgkmcnt(0)
	buffer_store_dword v81, off, s[20:23], 0 offset:216 ; 4-byte Folded Spill
	s_nop 0
	buffer_store_dword v82, off, s[20:23], 0 offset:220 ; 4-byte Folded Spill
	buffer_store_dword v83, off, s[20:23], 0 offset:224 ; 4-byte Folded Spill
	;; [unrolled: 1-line block ×3, first 2 shown]
	s_and_saveexec_b64 s[2:3], vcc
	s_cbranch_execz .LBB39_46
; %bb.45:
	buffer_load_dword v83, off, s[20:23], 0 offset:216 ; 4-byte Folded Reload
	buffer_load_dword v84, off, s[20:23], 0 offset:220 ; 4-byte Folded Reload
	;; [unrolled: 1-line block ×4, first 2 shown]
	s_waitcnt vmcnt(2)
	v_mul_f64 v[81:82], v[83:84], v[63:64]
	s_waitcnt vmcnt(0)
	v_mul_f64 v[63:64], v[85:86], v[63:64]
	v_fma_f64 v[81:82], v[85:86], v[61:62], v[81:82]
	v_fma_f64 v[61:62], v[83:84], v[61:62], -v[63:64]
	ds_read2_b64 v[83:86], v125 offset0:10 offset1:11
	s_waitcnt lgkmcnt(0)
	v_mul_f64 v[63:64], v[85:86], v[81:82]
	v_fma_f64 v[63:64], v[83:84], v[61:62], -v[63:64]
	v_mul_f64 v[83:84], v[83:84], v[81:82]
	v_add_f64 v[57:58], v[57:58], -v[63:64]
	v_fma_f64 v[83:84], v[85:86], v[61:62], v[83:84]
	v_add_f64 v[59:60], v[59:60], -v[83:84]
	ds_read2_b64 v[83:86], v125 offset0:12 offset1:13
	s_waitcnt lgkmcnt(0)
	v_mul_f64 v[63:64], v[85:86], v[81:82]
	v_fma_f64 v[63:64], v[83:84], v[61:62], -v[63:64]
	v_mul_f64 v[83:84], v[83:84], v[81:82]
	v_add_f64 v[49:50], v[49:50], -v[63:64]
	v_fma_f64 v[83:84], v[85:86], v[61:62], v[83:84]
	v_add_f64 v[51:52], v[51:52], -v[83:84]
	;; [unrolled: 8-line block ×14, first 2 shown]
	ds_read2_b64 v[83:86], v125 offset0:38 offset1:39
	s_waitcnt lgkmcnt(0)
	v_mul_f64 v[63:64], v[85:86], v[81:82]
	v_fma_f64 v[63:64], v[83:84], v[61:62], -v[63:64]
	v_mul_f64 v[83:84], v[83:84], v[81:82]
	v_add_f64 v[53:54], v[53:54], -v[63:64]
	v_fma_f64 v[83:84], v[85:86], v[61:62], v[83:84]
	v_mov_b32_e32 v63, v81
	v_mov_b32_e32 v64, v82
	v_add_f64 v[55:56], v[55:56], -v[83:84]
.LBB39_46:
	s_or_b64 exec, exec, s[2:3]
	v_cmp_eq_u32_e32 vcc, 5, v0
	s_waitcnt vmcnt(0)
	s_barrier
	s_and_saveexec_b64 s[4:5], vcc
	s_cbranch_execz .LBB39_53
; %bb.47:
	ds_write2_b64 v127, v[57:58], v[59:60] offset1:1
	ds_write2_b64 v125, v[49:50], v[51:52] offset0:12 offset1:13
	ds_write2_b64 v125, v[45:46], v[47:48] offset0:14 offset1:15
	;; [unrolled: 1-line block ×14, first 2 shown]
	ds_read2_b64 v[81:84], v127 offset1:1
	s_waitcnt lgkmcnt(0)
	v_cmp_neq_f64_e32 vcc, 0, v[81:82]
	v_cmp_neq_f64_e64 s[2:3], 0, v[83:84]
	s_or_b64 s[2:3], vcc, s[2:3]
	s_and_b64 exec, exec, s[2:3]
	s_cbranch_execz .LBB39_53
; %bb.48:
	v_cmp_ngt_f64_e64 s[2:3], |v[81:82]|, |v[83:84]|
                                        ; implicit-def: $vgpr85_vgpr86
	s_and_saveexec_b64 s[6:7], s[2:3]
	s_xor_b64 s[2:3], exec, s[6:7]
                                        ; implicit-def: $vgpr87_vgpr88
	s_cbranch_execz .LBB39_50
; %bb.49:
	v_div_scale_f64 v[85:86], s[6:7], v[83:84], v[83:84], v[81:82]
	v_rcp_f64_e32 v[87:88], v[85:86]
	v_fma_f64 v[89:90], -v[85:86], v[87:88], 1.0
	v_fma_f64 v[87:88], v[87:88], v[89:90], v[87:88]
	v_div_scale_f64 v[89:90], vcc, v[81:82], v[83:84], v[81:82]
	v_fma_f64 v[91:92], -v[85:86], v[87:88], 1.0
	v_fma_f64 v[87:88], v[87:88], v[91:92], v[87:88]
	v_mul_f64 v[91:92], v[89:90], v[87:88]
	v_fma_f64 v[85:86], -v[85:86], v[91:92], v[89:90]
	v_div_fmas_f64 v[85:86], v[85:86], v[87:88], v[91:92]
	v_div_fixup_f64 v[85:86], v[85:86], v[83:84], v[81:82]
	v_fma_f64 v[81:82], v[81:82], v[85:86], v[83:84]
	v_div_scale_f64 v[83:84], s[6:7], v[81:82], v[81:82], 1.0
	v_div_scale_f64 v[91:92], vcc, 1.0, v[81:82], 1.0
	v_rcp_f64_e32 v[87:88], v[83:84]
	v_fma_f64 v[89:90], -v[83:84], v[87:88], 1.0
	v_fma_f64 v[87:88], v[87:88], v[89:90], v[87:88]
	v_fma_f64 v[89:90], -v[83:84], v[87:88], 1.0
	v_fma_f64 v[87:88], v[87:88], v[89:90], v[87:88]
	v_mul_f64 v[89:90], v[91:92], v[87:88]
	v_fma_f64 v[83:84], -v[83:84], v[89:90], v[91:92]
	v_div_fmas_f64 v[83:84], v[83:84], v[87:88], v[89:90]
	v_div_fixup_f64 v[87:88], v[83:84], v[81:82], 1.0
                                        ; implicit-def: $vgpr81_vgpr82
	v_mul_f64 v[85:86], v[85:86], v[87:88]
	v_xor_b32_e32 v88, 0x80000000, v88
.LBB39_50:
	s_andn2_saveexec_b64 s[2:3], s[2:3]
	s_cbranch_execz .LBB39_52
; %bb.51:
	v_div_scale_f64 v[85:86], s[6:7], v[81:82], v[81:82], v[83:84]
	v_rcp_f64_e32 v[87:88], v[85:86]
	v_fma_f64 v[89:90], -v[85:86], v[87:88], 1.0
	v_fma_f64 v[87:88], v[87:88], v[89:90], v[87:88]
	v_div_scale_f64 v[89:90], vcc, v[83:84], v[81:82], v[83:84]
	v_fma_f64 v[91:92], -v[85:86], v[87:88], 1.0
	v_fma_f64 v[87:88], v[87:88], v[91:92], v[87:88]
	v_mul_f64 v[91:92], v[89:90], v[87:88]
	v_fma_f64 v[85:86], -v[85:86], v[91:92], v[89:90]
	v_div_fmas_f64 v[85:86], v[85:86], v[87:88], v[91:92]
	v_div_fixup_f64 v[87:88], v[85:86], v[81:82], v[83:84]
	v_fma_f64 v[81:82], v[83:84], v[87:88], v[81:82]
	v_div_scale_f64 v[83:84], s[6:7], v[81:82], v[81:82], 1.0
	v_div_scale_f64 v[91:92], vcc, 1.0, v[81:82], 1.0
	v_rcp_f64_e32 v[85:86], v[83:84]
	v_fma_f64 v[89:90], -v[83:84], v[85:86], 1.0
	v_fma_f64 v[85:86], v[85:86], v[89:90], v[85:86]
	v_fma_f64 v[89:90], -v[83:84], v[85:86], 1.0
	v_fma_f64 v[85:86], v[85:86], v[89:90], v[85:86]
	v_mul_f64 v[89:90], v[91:92], v[85:86]
	v_fma_f64 v[83:84], -v[83:84], v[89:90], v[91:92]
	v_div_fmas_f64 v[83:84], v[83:84], v[85:86], v[89:90]
	v_div_fixup_f64 v[85:86], v[83:84], v[81:82], 1.0
	v_mul_f64 v[87:88], v[87:88], -v[85:86]
.LBB39_52:
	s_or_b64 exec, exec, s[2:3]
	ds_write2_b64 v127, v[85:86], v[87:88] offset1:1
.LBB39_53:
	s_or_b64 exec, exec, s[4:5]
	s_waitcnt lgkmcnt(0)
	s_barrier
	ds_read2_b64 v[81:84], v127 offset1:1
	v_cmp_lt_u32_e32 vcc, 5, v0
	s_waitcnt lgkmcnt(0)
	buffer_store_dword v81, off, s[20:23], 0 offset:232 ; 4-byte Folded Spill
	s_nop 0
	buffer_store_dword v82, off, s[20:23], 0 offset:236 ; 4-byte Folded Spill
	buffer_store_dword v83, off, s[20:23], 0 offset:240 ; 4-byte Folded Spill
	;; [unrolled: 1-line block ×3, first 2 shown]
	s_and_saveexec_b64 s[2:3], vcc
	s_cbranch_execz .LBB39_55
; %bb.54:
	buffer_load_dword v83, off, s[20:23], 0 offset:232 ; 4-byte Folded Reload
	buffer_load_dword v84, off, s[20:23], 0 offset:236 ; 4-byte Folded Reload
	buffer_load_dword v85, off, s[20:23], 0 offset:240 ; 4-byte Folded Reload
	buffer_load_dword v86, off, s[20:23], 0 offset:244 ; 4-byte Folded Reload
	s_waitcnt vmcnt(2)
	v_mul_f64 v[81:82], v[83:84], v[59:60]
	s_waitcnt vmcnt(0)
	v_mul_f64 v[59:60], v[85:86], v[59:60]
	v_fma_f64 v[81:82], v[85:86], v[57:58], v[81:82]
	v_fma_f64 v[57:58], v[83:84], v[57:58], -v[59:60]
	ds_read2_b64 v[83:86], v125 offset0:12 offset1:13
	s_waitcnt lgkmcnt(0)
	v_mul_f64 v[59:60], v[85:86], v[81:82]
	v_fma_f64 v[59:60], v[83:84], v[57:58], -v[59:60]
	v_mul_f64 v[83:84], v[83:84], v[81:82]
	v_add_f64 v[49:50], v[49:50], -v[59:60]
	v_fma_f64 v[83:84], v[85:86], v[57:58], v[83:84]
	v_add_f64 v[51:52], v[51:52], -v[83:84]
	ds_read2_b64 v[83:86], v125 offset0:14 offset1:15
	s_waitcnt lgkmcnt(0)
	v_mul_f64 v[59:60], v[85:86], v[81:82]
	v_fma_f64 v[59:60], v[83:84], v[57:58], -v[59:60]
	v_mul_f64 v[83:84], v[83:84], v[81:82]
	v_add_f64 v[45:46], v[45:46], -v[59:60]
	v_fma_f64 v[83:84], v[85:86], v[57:58], v[83:84]
	v_add_f64 v[47:48], v[47:48], -v[83:84]
	;; [unrolled: 8-line block ×13, first 2 shown]
	ds_read2_b64 v[83:86], v125 offset0:38 offset1:39
	s_waitcnt lgkmcnt(0)
	v_mul_f64 v[59:60], v[85:86], v[81:82]
	v_fma_f64 v[59:60], v[83:84], v[57:58], -v[59:60]
	v_mul_f64 v[83:84], v[83:84], v[81:82]
	v_add_f64 v[53:54], v[53:54], -v[59:60]
	v_fma_f64 v[83:84], v[85:86], v[57:58], v[83:84]
	v_mov_b32_e32 v59, v81
	v_mov_b32_e32 v60, v82
	v_add_f64 v[55:56], v[55:56], -v[83:84]
.LBB39_55:
	s_or_b64 exec, exec, s[2:3]
	v_cmp_eq_u32_e32 vcc, 6, v0
	s_waitcnt vmcnt(0)
	s_barrier
	s_and_saveexec_b64 s[4:5], vcc
	s_cbranch_execz .LBB39_62
; %bb.56:
	ds_write2_b64 v127, v[49:50], v[51:52] offset1:1
	ds_write2_b64 v125, v[45:46], v[47:48] offset0:14 offset1:15
	ds_write2_b64 v125, v[41:42], v[43:44] offset0:16 offset1:17
	;; [unrolled: 1-line block ×13, first 2 shown]
	ds_read2_b64 v[81:84], v127 offset1:1
	s_waitcnt lgkmcnt(0)
	v_cmp_neq_f64_e32 vcc, 0, v[81:82]
	v_cmp_neq_f64_e64 s[2:3], 0, v[83:84]
	s_or_b64 s[2:3], vcc, s[2:3]
	s_and_b64 exec, exec, s[2:3]
	s_cbranch_execz .LBB39_62
; %bb.57:
	v_cmp_ngt_f64_e64 s[2:3], |v[81:82]|, |v[83:84]|
                                        ; implicit-def: $vgpr85_vgpr86
	s_and_saveexec_b64 s[6:7], s[2:3]
	s_xor_b64 s[2:3], exec, s[6:7]
                                        ; implicit-def: $vgpr87_vgpr88
	s_cbranch_execz .LBB39_59
; %bb.58:
	v_div_scale_f64 v[85:86], s[6:7], v[83:84], v[83:84], v[81:82]
	v_rcp_f64_e32 v[87:88], v[85:86]
	v_fma_f64 v[89:90], -v[85:86], v[87:88], 1.0
	v_fma_f64 v[87:88], v[87:88], v[89:90], v[87:88]
	v_div_scale_f64 v[89:90], vcc, v[81:82], v[83:84], v[81:82]
	v_fma_f64 v[91:92], -v[85:86], v[87:88], 1.0
	v_fma_f64 v[87:88], v[87:88], v[91:92], v[87:88]
	v_mul_f64 v[91:92], v[89:90], v[87:88]
	v_fma_f64 v[85:86], -v[85:86], v[91:92], v[89:90]
	v_div_fmas_f64 v[85:86], v[85:86], v[87:88], v[91:92]
	v_div_fixup_f64 v[85:86], v[85:86], v[83:84], v[81:82]
	v_fma_f64 v[81:82], v[81:82], v[85:86], v[83:84]
	v_div_scale_f64 v[83:84], s[6:7], v[81:82], v[81:82], 1.0
	v_div_scale_f64 v[91:92], vcc, 1.0, v[81:82], 1.0
	v_rcp_f64_e32 v[87:88], v[83:84]
	v_fma_f64 v[89:90], -v[83:84], v[87:88], 1.0
	v_fma_f64 v[87:88], v[87:88], v[89:90], v[87:88]
	v_fma_f64 v[89:90], -v[83:84], v[87:88], 1.0
	v_fma_f64 v[87:88], v[87:88], v[89:90], v[87:88]
	v_mul_f64 v[89:90], v[91:92], v[87:88]
	v_fma_f64 v[83:84], -v[83:84], v[89:90], v[91:92]
	v_div_fmas_f64 v[83:84], v[83:84], v[87:88], v[89:90]
	v_div_fixup_f64 v[87:88], v[83:84], v[81:82], 1.0
                                        ; implicit-def: $vgpr81_vgpr82
	v_mul_f64 v[85:86], v[85:86], v[87:88]
	v_xor_b32_e32 v88, 0x80000000, v88
.LBB39_59:
	s_andn2_saveexec_b64 s[2:3], s[2:3]
	s_cbranch_execz .LBB39_61
; %bb.60:
	v_div_scale_f64 v[85:86], s[6:7], v[81:82], v[81:82], v[83:84]
	v_rcp_f64_e32 v[87:88], v[85:86]
	v_fma_f64 v[89:90], -v[85:86], v[87:88], 1.0
	v_fma_f64 v[87:88], v[87:88], v[89:90], v[87:88]
	v_div_scale_f64 v[89:90], vcc, v[83:84], v[81:82], v[83:84]
	v_fma_f64 v[91:92], -v[85:86], v[87:88], 1.0
	v_fma_f64 v[87:88], v[87:88], v[91:92], v[87:88]
	v_mul_f64 v[91:92], v[89:90], v[87:88]
	v_fma_f64 v[85:86], -v[85:86], v[91:92], v[89:90]
	v_div_fmas_f64 v[85:86], v[85:86], v[87:88], v[91:92]
	v_div_fixup_f64 v[87:88], v[85:86], v[81:82], v[83:84]
	v_fma_f64 v[81:82], v[83:84], v[87:88], v[81:82]
	v_div_scale_f64 v[83:84], s[6:7], v[81:82], v[81:82], 1.0
	v_div_scale_f64 v[91:92], vcc, 1.0, v[81:82], 1.0
	v_rcp_f64_e32 v[85:86], v[83:84]
	v_fma_f64 v[89:90], -v[83:84], v[85:86], 1.0
	v_fma_f64 v[85:86], v[85:86], v[89:90], v[85:86]
	v_fma_f64 v[89:90], -v[83:84], v[85:86], 1.0
	v_fma_f64 v[85:86], v[85:86], v[89:90], v[85:86]
	v_mul_f64 v[89:90], v[91:92], v[85:86]
	v_fma_f64 v[83:84], -v[83:84], v[89:90], v[91:92]
	v_div_fmas_f64 v[83:84], v[83:84], v[85:86], v[89:90]
	v_div_fixup_f64 v[85:86], v[83:84], v[81:82], 1.0
	v_mul_f64 v[87:88], v[87:88], -v[85:86]
.LBB39_61:
	s_or_b64 exec, exec, s[2:3]
	ds_write2_b64 v127, v[85:86], v[87:88] offset1:1
.LBB39_62:
	s_or_b64 exec, exec, s[4:5]
	s_waitcnt lgkmcnt(0)
	s_barrier
	ds_read2_b64 v[81:84], v127 offset1:1
	v_cmp_lt_u32_e32 vcc, 6, v0
	s_waitcnt lgkmcnt(0)
	buffer_store_dword v81, off, s[20:23], 0 offset:248 ; 4-byte Folded Spill
	s_nop 0
	buffer_store_dword v82, off, s[20:23], 0 offset:252 ; 4-byte Folded Spill
	buffer_store_dword v83, off, s[20:23], 0 offset:256 ; 4-byte Folded Spill
	;; [unrolled: 1-line block ×3, first 2 shown]
	s_and_saveexec_b64 s[2:3], vcc
	s_cbranch_execz .LBB39_64
; %bb.63:
	buffer_load_dword v83, off, s[20:23], 0 offset:248 ; 4-byte Folded Reload
	buffer_load_dword v84, off, s[20:23], 0 offset:252 ; 4-byte Folded Reload
	;; [unrolled: 1-line block ×4, first 2 shown]
	s_waitcnt vmcnt(2)
	v_mul_f64 v[81:82], v[83:84], v[51:52]
	s_waitcnt vmcnt(0)
	v_mul_f64 v[51:52], v[85:86], v[51:52]
	v_fma_f64 v[81:82], v[85:86], v[49:50], v[81:82]
	v_fma_f64 v[49:50], v[83:84], v[49:50], -v[51:52]
	ds_read2_b64 v[83:86], v125 offset0:14 offset1:15
	s_waitcnt lgkmcnt(0)
	v_mul_f64 v[51:52], v[85:86], v[81:82]
	v_fma_f64 v[51:52], v[83:84], v[49:50], -v[51:52]
	v_mul_f64 v[83:84], v[83:84], v[81:82]
	v_add_f64 v[45:46], v[45:46], -v[51:52]
	v_fma_f64 v[83:84], v[85:86], v[49:50], v[83:84]
	v_add_f64 v[47:48], v[47:48], -v[83:84]
	ds_read2_b64 v[83:86], v125 offset0:16 offset1:17
	s_waitcnt lgkmcnt(0)
	v_mul_f64 v[51:52], v[85:86], v[81:82]
	v_fma_f64 v[51:52], v[83:84], v[49:50], -v[51:52]
	v_mul_f64 v[83:84], v[83:84], v[81:82]
	v_add_f64 v[41:42], v[41:42], -v[51:52]
	v_fma_f64 v[83:84], v[85:86], v[49:50], v[83:84]
	v_add_f64 v[43:44], v[43:44], -v[83:84]
	;; [unrolled: 8-line block ×12, first 2 shown]
	ds_read2_b64 v[83:86], v125 offset0:38 offset1:39
	s_waitcnt lgkmcnt(0)
	v_mul_f64 v[51:52], v[85:86], v[81:82]
	v_fma_f64 v[51:52], v[83:84], v[49:50], -v[51:52]
	v_mul_f64 v[83:84], v[83:84], v[81:82]
	v_add_f64 v[53:54], v[53:54], -v[51:52]
	v_fma_f64 v[83:84], v[85:86], v[49:50], v[83:84]
	v_mov_b32_e32 v51, v81
	v_mov_b32_e32 v52, v82
	v_add_f64 v[55:56], v[55:56], -v[83:84]
.LBB39_64:
	s_or_b64 exec, exec, s[2:3]
	v_cmp_eq_u32_e32 vcc, 7, v0
	s_waitcnt vmcnt(0)
	s_barrier
	s_and_saveexec_b64 s[4:5], vcc
	s_cbranch_execz .LBB39_71
; %bb.65:
	ds_write2_b64 v127, v[45:46], v[47:48] offset1:1
	ds_write2_b64 v125, v[41:42], v[43:44] offset0:16 offset1:17
	ds_write2_b64 v125, v[37:38], v[39:40] offset0:18 offset1:19
	;; [unrolled: 1-line block ×12, first 2 shown]
	ds_read2_b64 v[81:84], v127 offset1:1
	s_waitcnt lgkmcnt(0)
	v_cmp_neq_f64_e32 vcc, 0, v[81:82]
	v_cmp_neq_f64_e64 s[2:3], 0, v[83:84]
	s_or_b64 s[2:3], vcc, s[2:3]
	s_and_b64 exec, exec, s[2:3]
	s_cbranch_execz .LBB39_71
; %bb.66:
	v_cmp_ngt_f64_e64 s[2:3], |v[81:82]|, |v[83:84]|
                                        ; implicit-def: $vgpr85_vgpr86
	s_and_saveexec_b64 s[6:7], s[2:3]
	s_xor_b64 s[2:3], exec, s[6:7]
                                        ; implicit-def: $vgpr87_vgpr88
	s_cbranch_execz .LBB39_68
; %bb.67:
	v_div_scale_f64 v[85:86], s[6:7], v[83:84], v[83:84], v[81:82]
	v_rcp_f64_e32 v[87:88], v[85:86]
	v_fma_f64 v[89:90], -v[85:86], v[87:88], 1.0
	v_fma_f64 v[87:88], v[87:88], v[89:90], v[87:88]
	v_div_scale_f64 v[89:90], vcc, v[81:82], v[83:84], v[81:82]
	v_fma_f64 v[91:92], -v[85:86], v[87:88], 1.0
	v_fma_f64 v[87:88], v[87:88], v[91:92], v[87:88]
	v_mul_f64 v[91:92], v[89:90], v[87:88]
	v_fma_f64 v[85:86], -v[85:86], v[91:92], v[89:90]
	v_div_fmas_f64 v[85:86], v[85:86], v[87:88], v[91:92]
	v_div_fixup_f64 v[85:86], v[85:86], v[83:84], v[81:82]
	v_fma_f64 v[81:82], v[81:82], v[85:86], v[83:84]
	v_div_scale_f64 v[83:84], s[6:7], v[81:82], v[81:82], 1.0
	v_div_scale_f64 v[91:92], vcc, 1.0, v[81:82], 1.0
	v_rcp_f64_e32 v[87:88], v[83:84]
	v_fma_f64 v[89:90], -v[83:84], v[87:88], 1.0
	v_fma_f64 v[87:88], v[87:88], v[89:90], v[87:88]
	v_fma_f64 v[89:90], -v[83:84], v[87:88], 1.0
	v_fma_f64 v[87:88], v[87:88], v[89:90], v[87:88]
	v_mul_f64 v[89:90], v[91:92], v[87:88]
	v_fma_f64 v[83:84], -v[83:84], v[89:90], v[91:92]
	v_div_fmas_f64 v[83:84], v[83:84], v[87:88], v[89:90]
	v_div_fixup_f64 v[87:88], v[83:84], v[81:82], 1.0
                                        ; implicit-def: $vgpr81_vgpr82
	v_mul_f64 v[85:86], v[85:86], v[87:88]
	v_xor_b32_e32 v88, 0x80000000, v88
.LBB39_68:
	s_andn2_saveexec_b64 s[2:3], s[2:3]
	s_cbranch_execz .LBB39_70
; %bb.69:
	v_div_scale_f64 v[85:86], s[6:7], v[81:82], v[81:82], v[83:84]
	v_rcp_f64_e32 v[87:88], v[85:86]
	v_fma_f64 v[89:90], -v[85:86], v[87:88], 1.0
	v_fma_f64 v[87:88], v[87:88], v[89:90], v[87:88]
	v_div_scale_f64 v[89:90], vcc, v[83:84], v[81:82], v[83:84]
	v_fma_f64 v[91:92], -v[85:86], v[87:88], 1.0
	v_fma_f64 v[87:88], v[87:88], v[91:92], v[87:88]
	v_mul_f64 v[91:92], v[89:90], v[87:88]
	v_fma_f64 v[85:86], -v[85:86], v[91:92], v[89:90]
	v_div_fmas_f64 v[85:86], v[85:86], v[87:88], v[91:92]
	v_div_fixup_f64 v[87:88], v[85:86], v[81:82], v[83:84]
	v_fma_f64 v[81:82], v[83:84], v[87:88], v[81:82]
	v_div_scale_f64 v[83:84], s[6:7], v[81:82], v[81:82], 1.0
	v_div_scale_f64 v[91:92], vcc, 1.0, v[81:82], 1.0
	v_rcp_f64_e32 v[85:86], v[83:84]
	v_fma_f64 v[89:90], -v[83:84], v[85:86], 1.0
	v_fma_f64 v[85:86], v[85:86], v[89:90], v[85:86]
	v_fma_f64 v[89:90], -v[83:84], v[85:86], 1.0
	v_fma_f64 v[85:86], v[85:86], v[89:90], v[85:86]
	v_mul_f64 v[89:90], v[91:92], v[85:86]
	v_fma_f64 v[83:84], -v[83:84], v[89:90], v[91:92]
	v_div_fmas_f64 v[83:84], v[83:84], v[85:86], v[89:90]
	v_div_fixup_f64 v[85:86], v[83:84], v[81:82], 1.0
	v_mul_f64 v[87:88], v[87:88], -v[85:86]
.LBB39_70:
	s_or_b64 exec, exec, s[2:3]
	ds_write2_b64 v127, v[85:86], v[87:88] offset1:1
.LBB39_71:
	s_or_b64 exec, exec, s[4:5]
	s_waitcnt lgkmcnt(0)
	s_barrier
	ds_read2_b64 v[81:84], v127 offset1:1
	v_cmp_lt_u32_e32 vcc, 7, v0
	s_waitcnt lgkmcnt(0)
	buffer_store_dword v81, off, s[20:23], 0 offset:264 ; 4-byte Folded Spill
	s_nop 0
	buffer_store_dword v82, off, s[20:23], 0 offset:268 ; 4-byte Folded Spill
	buffer_store_dword v83, off, s[20:23], 0 offset:272 ; 4-byte Folded Spill
	;; [unrolled: 1-line block ×3, first 2 shown]
	s_and_saveexec_b64 s[2:3], vcc
	s_cbranch_execz .LBB39_73
; %bb.72:
	buffer_load_dword v83, off, s[20:23], 0 offset:264 ; 4-byte Folded Reload
	buffer_load_dword v84, off, s[20:23], 0 offset:268 ; 4-byte Folded Reload
	buffer_load_dword v85, off, s[20:23], 0 offset:272 ; 4-byte Folded Reload
	buffer_load_dword v86, off, s[20:23], 0 offset:276 ; 4-byte Folded Reload
	s_waitcnt vmcnt(2)
	v_mul_f64 v[81:82], v[83:84], v[47:48]
	s_waitcnt vmcnt(0)
	v_mul_f64 v[47:48], v[85:86], v[47:48]
	v_fma_f64 v[81:82], v[85:86], v[45:46], v[81:82]
	v_fma_f64 v[45:46], v[83:84], v[45:46], -v[47:48]
	ds_read2_b64 v[83:86], v125 offset0:16 offset1:17
	s_waitcnt lgkmcnt(0)
	v_mul_f64 v[47:48], v[85:86], v[81:82]
	v_fma_f64 v[47:48], v[83:84], v[45:46], -v[47:48]
	v_mul_f64 v[83:84], v[83:84], v[81:82]
	v_add_f64 v[41:42], v[41:42], -v[47:48]
	v_fma_f64 v[83:84], v[85:86], v[45:46], v[83:84]
	v_add_f64 v[43:44], v[43:44], -v[83:84]
	ds_read2_b64 v[83:86], v125 offset0:18 offset1:19
	s_waitcnt lgkmcnt(0)
	v_mul_f64 v[47:48], v[85:86], v[81:82]
	v_fma_f64 v[47:48], v[83:84], v[45:46], -v[47:48]
	v_mul_f64 v[83:84], v[83:84], v[81:82]
	v_add_f64 v[37:38], v[37:38], -v[47:48]
	v_fma_f64 v[83:84], v[85:86], v[45:46], v[83:84]
	v_add_f64 v[39:40], v[39:40], -v[83:84]
	;; [unrolled: 8-line block ×11, first 2 shown]
	ds_read2_b64 v[83:86], v125 offset0:38 offset1:39
	s_waitcnt lgkmcnt(0)
	v_mul_f64 v[47:48], v[85:86], v[81:82]
	v_fma_f64 v[47:48], v[83:84], v[45:46], -v[47:48]
	v_mul_f64 v[83:84], v[83:84], v[81:82]
	v_add_f64 v[53:54], v[53:54], -v[47:48]
	v_fma_f64 v[83:84], v[85:86], v[45:46], v[83:84]
	v_mov_b32_e32 v47, v81
	v_mov_b32_e32 v48, v82
	v_add_f64 v[55:56], v[55:56], -v[83:84]
.LBB39_73:
	s_or_b64 exec, exec, s[2:3]
	v_cmp_eq_u32_e32 vcc, 8, v0
	s_waitcnt vmcnt(0)
	s_barrier
	s_and_saveexec_b64 s[4:5], vcc
	s_cbranch_execz .LBB39_80
; %bb.74:
	ds_write2_b64 v127, v[41:42], v[43:44] offset1:1
	ds_write2_b64 v125, v[37:38], v[39:40] offset0:18 offset1:19
	ds_write2_b64 v125, v[33:34], v[35:36] offset0:20 offset1:21
	;; [unrolled: 1-line block ×11, first 2 shown]
	ds_read2_b64 v[81:84], v127 offset1:1
	s_waitcnt lgkmcnt(0)
	v_cmp_neq_f64_e32 vcc, 0, v[81:82]
	v_cmp_neq_f64_e64 s[2:3], 0, v[83:84]
	s_or_b64 s[2:3], vcc, s[2:3]
	s_and_b64 exec, exec, s[2:3]
	s_cbranch_execz .LBB39_80
; %bb.75:
	v_cmp_ngt_f64_e64 s[2:3], |v[81:82]|, |v[83:84]|
                                        ; implicit-def: $vgpr85_vgpr86
	s_and_saveexec_b64 s[6:7], s[2:3]
	s_xor_b64 s[2:3], exec, s[6:7]
                                        ; implicit-def: $vgpr87_vgpr88
	s_cbranch_execz .LBB39_77
; %bb.76:
	v_div_scale_f64 v[85:86], s[6:7], v[83:84], v[83:84], v[81:82]
	v_rcp_f64_e32 v[87:88], v[85:86]
	v_fma_f64 v[89:90], -v[85:86], v[87:88], 1.0
	v_fma_f64 v[87:88], v[87:88], v[89:90], v[87:88]
	v_div_scale_f64 v[89:90], vcc, v[81:82], v[83:84], v[81:82]
	v_fma_f64 v[91:92], -v[85:86], v[87:88], 1.0
	v_fma_f64 v[87:88], v[87:88], v[91:92], v[87:88]
	v_mul_f64 v[91:92], v[89:90], v[87:88]
	v_fma_f64 v[85:86], -v[85:86], v[91:92], v[89:90]
	v_div_fmas_f64 v[85:86], v[85:86], v[87:88], v[91:92]
	v_div_fixup_f64 v[85:86], v[85:86], v[83:84], v[81:82]
	v_fma_f64 v[81:82], v[81:82], v[85:86], v[83:84]
	v_div_scale_f64 v[83:84], s[6:7], v[81:82], v[81:82], 1.0
	v_div_scale_f64 v[91:92], vcc, 1.0, v[81:82], 1.0
	v_rcp_f64_e32 v[87:88], v[83:84]
	v_fma_f64 v[89:90], -v[83:84], v[87:88], 1.0
	v_fma_f64 v[87:88], v[87:88], v[89:90], v[87:88]
	v_fma_f64 v[89:90], -v[83:84], v[87:88], 1.0
	v_fma_f64 v[87:88], v[87:88], v[89:90], v[87:88]
	v_mul_f64 v[89:90], v[91:92], v[87:88]
	v_fma_f64 v[83:84], -v[83:84], v[89:90], v[91:92]
	v_div_fmas_f64 v[83:84], v[83:84], v[87:88], v[89:90]
	v_div_fixup_f64 v[87:88], v[83:84], v[81:82], 1.0
                                        ; implicit-def: $vgpr81_vgpr82
	v_mul_f64 v[85:86], v[85:86], v[87:88]
	v_xor_b32_e32 v88, 0x80000000, v88
.LBB39_77:
	s_andn2_saveexec_b64 s[2:3], s[2:3]
	s_cbranch_execz .LBB39_79
; %bb.78:
	v_div_scale_f64 v[85:86], s[6:7], v[81:82], v[81:82], v[83:84]
	v_rcp_f64_e32 v[87:88], v[85:86]
	v_fma_f64 v[89:90], -v[85:86], v[87:88], 1.0
	v_fma_f64 v[87:88], v[87:88], v[89:90], v[87:88]
	v_div_scale_f64 v[89:90], vcc, v[83:84], v[81:82], v[83:84]
	v_fma_f64 v[91:92], -v[85:86], v[87:88], 1.0
	v_fma_f64 v[87:88], v[87:88], v[91:92], v[87:88]
	v_mul_f64 v[91:92], v[89:90], v[87:88]
	v_fma_f64 v[85:86], -v[85:86], v[91:92], v[89:90]
	v_div_fmas_f64 v[85:86], v[85:86], v[87:88], v[91:92]
	v_div_fixup_f64 v[87:88], v[85:86], v[81:82], v[83:84]
	v_fma_f64 v[81:82], v[83:84], v[87:88], v[81:82]
	v_div_scale_f64 v[83:84], s[6:7], v[81:82], v[81:82], 1.0
	v_div_scale_f64 v[91:92], vcc, 1.0, v[81:82], 1.0
	v_rcp_f64_e32 v[85:86], v[83:84]
	v_fma_f64 v[89:90], -v[83:84], v[85:86], 1.0
	v_fma_f64 v[85:86], v[85:86], v[89:90], v[85:86]
	v_fma_f64 v[89:90], -v[83:84], v[85:86], 1.0
	v_fma_f64 v[85:86], v[85:86], v[89:90], v[85:86]
	v_mul_f64 v[89:90], v[91:92], v[85:86]
	v_fma_f64 v[83:84], -v[83:84], v[89:90], v[91:92]
	v_div_fmas_f64 v[83:84], v[83:84], v[85:86], v[89:90]
	v_div_fixup_f64 v[85:86], v[83:84], v[81:82], 1.0
	v_mul_f64 v[87:88], v[87:88], -v[85:86]
.LBB39_79:
	s_or_b64 exec, exec, s[2:3]
	ds_write2_b64 v127, v[85:86], v[87:88] offset1:1
.LBB39_80:
	s_or_b64 exec, exec, s[4:5]
	s_waitcnt lgkmcnt(0)
	s_barrier
	ds_read2_b64 v[81:84], v127 offset1:1
	v_cmp_lt_u32_e32 vcc, 8, v0
	s_waitcnt lgkmcnt(0)
	buffer_store_dword v81, off, s[20:23], 0 offset:280 ; 4-byte Folded Spill
	s_nop 0
	buffer_store_dword v82, off, s[20:23], 0 offset:284 ; 4-byte Folded Spill
	buffer_store_dword v83, off, s[20:23], 0 offset:288 ; 4-byte Folded Spill
	;; [unrolled: 1-line block ×3, first 2 shown]
	s_and_saveexec_b64 s[2:3], vcc
	s_cbranch_execz .LBB39_82
; %bb.81:
	buffer_load_dword v83, off, s[20:23], 0 offset:280 ; 4-byte Folded Reload
	buffer_load_dword v84, off, s[20:23], 0 offset:284 ; 4-byte Folded Reload
	;; [unrolled: 1-line block ×4, first 2 shown]
	s_waitcnt vmcnt(2)
	v_mul_f64 v[81:82], v[83:84], v[43:44]
	s_waitcnt vmcnt(0)
	v_mul_f64 v[43:44], v[85:86], v[43:44]
	v_fma_f64 v[81:82], v[85:86], v[41:42], v[81:82]
	v_fma_f64 v[41:42], v[83:84], v[41:42], -v[43:44]
	ds_read2_b64 v[83:86], v125 offset0:18 offset1:19
	s_waitcnt lgkmcnt(0)
	v_mul_f64 v[43:44], v[85:86], v[81:82]
	v_fma_f64 v[43:44], v[83:84], v[41:42], -v[43:44]
	v_mul_f64 v[83:84], v[83:84], v[81:82]
	v_add_f64 v[37:38], v[37:38], -v[43:44]
	v_fma_f64 v[83:84], v[85:86], v[41:42], v[83:84]
	v_add_f64 v[39:40], v[39:40], -v[83:84]
	ds_read2_b64 v[83:86], v125 offset0:20 offset1:21
	s_waitcnt lgkmcnt(0)
	v_mul_f64 v[43:44], v[85:86], v[81:82]
	v_fma_f64 v[43:44], v[83:84], v[41:42], -v[43:44]
	v_mul_f64 v[83:84], v[83:84], v[81:82]
	v_add_f64 v[33:34], v[33:34], -v[43:44]
	v_fma_f64 v[83:84], v[85:86], v[41:42], v[83:84]
	v_add_f64 v[35:36], v[35:36], -v[83:84]
	ds_read2_b64 v[83:86], v125 offset0:22 offset1:23
	s_waitcnt lgkmcnt(0)
	v_mul_f64 v[43:44], v[85:86], v[81:82]
	v_fma_f64 v[43:44], v[83:84], v[41:42], -v[43:44]
	v_mul_f64 v[83:84], v[83:84], v[81:82]
	v_add_f64 v[29:30], v[29:30], -v[43:44]
	v_fma_f64 v[83:84], v[85:86], v[41:42], v[83:84]
	v_add_f64 v[31:32], v[31:32], -v[83:84]
	ds_read2_b64 v[83:86], v125 offset0:24 offset1:25
	s_waitcnt lgkmcnt(0)
	v_mul_f64 v[43:44], v[85:86], v[81:82]
	v_fma_f64 v[43:44], v[83:84], v[41:42], -v[43:44]
	v_mul_f64 v[83:84], v[83:84], v[81:82]
	v_add_f64 v[25:26], v[25:26], -v[43:44]
	v_fma_f64 v[83:84], v[85:86], v[41:42], v[83:84]
	v_add_f64 v[27:28], v[27:28], -v[83:84]
	ds_read2_b64 v[83:86], v125 offset0:26 offset1:27
	s_waitcnt lgkmcnt(0)
	v_mul_f64 v[43:44], v[85:86], v[81:82]
	v_fma_f64 v[43:44], v[83:84], v[41:42], -v[43:44]
	v_mul_f64 v[83:84], v[83:84], v[81:82]
	v_add_f64 v[21:22], v[21:22], -v[43:44]
	v_fma_f64 v[83:84], v[85:86], v[41:42], v[83:84]
	v_add_f64 v[23:24], v[23:24], -v[83:84]
	ds_read2_b64 v[83:86], v125 offset0:28 offset1:29
	s_waitcnt lgkmcnt(0)
	v_mul_f64 v[43:44], v[85:86], v[81:82]
	v_fma_f64 v[43:44], v[83:84], v[41:42], -v[43:44]
	v_mul_f64 v[83:84], v[83:84], v[81:82]
	v_add_f64 v[17:18], v[17:18], -v[43:44]
	v_fma_f64 v[83:84], v[85:86], v[41:42], v[83:84]
	v_add_f64 v[19:20], v[19:20], -v[83:84]
	ds_read2_b64 v[83:86], v125 offset0:30 offset1:31
	s_waitcnt lgkmcnt(0)
	v_mul_f64 v[43:44], v[85:86], v[81:82]
	v_fma_f64 v[43:44], v[83:84], v[41:42], -v[43:44]
	v_mul_f64 v[83:84], v[83:84], v[81:82]
	v_add_f64 v[13:14], v[13:14], -v[43:44]
	v_fma_f64 v[83:84], v[85:86], v[41:42], v[83:84]
	v_add_f64 v[15:16], v[15:16], -v[83:84]
	ds_read2_b64 v[83:86], v125 offset0:32 offset1:33
	s_waitcnt lgkmcnt(0)
	v_mul_f64 v[43:44], v[85:86], v[81:82]
	v_fma_f64 v[43:44], v[83:84], v[41:42], -v[43:44]
	v_mul_f64 v[83:84], v[83:84], v[81:82]
	v_add_f64 v[9:10], v[9:10], -v[43:44]
	v_fma_f64 v[83:84], v[85:86], v[41:42], v[83:84]
	v_add_f64 v[11:12], v[11:12], -v[83:84]
	ds_read2_b64 v[83:86], v125 offset0:34 offset1:35
	s_waitcnt lgkmcnt(0)
	v_mul_f64 v[43:44], v[85:86], v[81:82]
	v_fma_f64 v[43:44], v[83:84], v[41:42], -v[43:44]
	v_mul_f64 v[83:84], v[83:84], v[81:82]
	v_add_f64 v[5:6], v[5:6], -v[43:44]
	v_fma_f64 v[83:84], v[85:86], v[41:42], v[83:84]
	v_add_f64 v[7:8], v[7:8], -v[83:84]
	ds_read2_b64 v[83:86], v125 offset0:36 offset1:37
	s_waitcnt lgkmcnt(0)
	v_mul_f64 v[43:44], v[85:86], v[81:82]
	v_fma_f64 v[43:44], v[83:84], v[41:42], -v[43:44]
	v_mul_f64 v[83:84], v[83:84], v[81:82]
	v_add_f64 v[1:2], v[1:2], -v[43:44]
	v_fma_f64 v[83:84], v[85:86], v[41:42], v[83:84]
	v_add_f64 v[3:4], v[3:4], -v[83:84]
	ds_read2_b64 v[83:86], v125 offset0:38 offset1:39
	s_waitcnt lgkmcnt(0)
	v_mul_f64 v[43:44], v[85:86], v[81:82]
	v_fma_f64 v[43:44], v[83:84], v[41:42], -v[43:44]
	v_mul_f64 v[83:84], v[83:84], v[81:82]
	v_add_f64 v[53:54], v[53:54], -v[43:44]
	v_fma_f64 v[83:84], v[85:86], v[41:42], v[83:84]
	v_mov_b32_e32 v43, v81
	v_mov_b32_e32 v44, v82
	v_add_f64 v[55:56], v[55:56], -v[83:84]
.LBB39_82:
	s_or_b64 exec, exec, s[2:3]
	v_cmp_eq_u32_e32 vcc, 9, v0
	s_waitcnt vmcnt(0)
	s_barrier
	s_and_saveexec_b64 s[4:5], vcc
	s_cbranch_execz .LBB39_89
; %bb.83:
	ds_write2_b64 v127, v[37:38], v[39:40] offset1:1
	ds_write2_b64 v125, v[33:34], v[35:36] offset0:20 offset1:21
	ds_write2_b64 v125, v[29:30], v[31:32] offset0:22 offset1:23
	;; [unrolled: 1-line block ×10, first 2 shown]
	ds_read2_b64 v[81:84], v127 offset1:1
	s_waitcnt lgkmcnt(0)
	v_cmp_neq_f64_e32 vcc, 0, v[81:82]
	v_cmp_neq_f64_e64 s[2:3], 0, v[83:84]
	s_or_b64 s[2:3], vcc, s[2:3]
	s_and_b64 exec, exec, s[2:3]
	s_cbranch_execz .LBB39_89
; %bb.84:
	v_cmp_ngt_f64_e64 s[2:3], |v[81:82]|, |v[83:84]|
                                        ; implicit-def: $vgpr85_vgpr86
	s_and_saveexec_b64 s[6:7], s[2:3]
	s_xor_b64 s[2:3], exec, s[6:7]
                                        ; implicit-def: $vgpr87_vgpr88
	s_cbranch_execz .LBB39_86
; %bb.85:
	v_div_scale_f64 v[85:86], s[6:7], v[83:84], v[83:84], v[81:82]
	v_rcp_f64_e32 v[87:88], v[85:86]
	v_fma_f64 v[89:90], -v[85:86], v[87:88], 1.0
	v_fma_f64 v[87:88], v[87:88], v[89:90], v[87:88]
	v_div_scale_f64 v[89:90], vcc, v[81:82], v[83:84], v[81:82]
	v_fma_f64 v[91:92], -v[85:86], v[87:88], 1.0
	v_fma_f64 v[87:88], v[87:88], v[91:92], v[87:88]
	v_mul_f64 v[91:92], v[89:90], v[87:88]
	v_fma_f64 v[85:86], -v[85:86], v[91:92], v[89:90]
	v_div_fmas_f64 v[85:86], v[85:86], v[87:88], v[91:92]
	v_div_fixup_f64 v[85:86], v[85:86], v[83:84], v[81:82]
	v_fma_f64 v[81:82], v[81:82], v[85:86], v[83:84]
	v_div_scale_f64 v[83:84], s[6:7], v[81:82], v[81:82], 1.0
	v_div_scale_f64 v[91:92], vcc, 1.0, v[81:82], 1.0
	v_rcp_f64_e32 v[87:88], v[83:84]
	v_fma_f64 v[89:90], -v[83:84], v[87:88], 1.0
	v_fma_f64 v[87:88], v[87:88], v[89:90], v[87:88]
	v_fma_f64 v[89:90], -v[83:84], v[87:88], 1.0
	v_fma_f64 v[87:88], v[87:88], v[89:90], v[87:88]
	v_mul_f64 v[89:90], v[91:92], v[87:88]
	v_fma_f64 v[83:84], -v[83:84], v[89:90], v[91:92]
	v_div_fmas_f64 v[83:84], v[83:84], v[87:88], v[89:90]
	v_div_fixup_f64 v[87:88], v[83:84], v[81:82], 1.0
                                        ; implicit-def: $vgpr81_vgpr82
	v_mul_f64 v[85:86], v[85:86], v[87:88]
	v_xor_b32_e32 v88, 0x80000000, v88
.LBB39_86:
	s_andn2_saveexec_b64 s[2:3], s[2:3]
	s_cbranch_execz .LBB39_88
; %bb.87:
	v_div_scale_f64 v[85:86], s[6:7], v[81:82], v[81:82], v[83:84]
	v_rcp_f64_e32 v[87:88], v[85:86]
	v_fma_f64 v[89:90], -v[85:86], v[87:88], 1.0
	v_fma_f64 v[87:88], v[87:88], v[89:90], v[87:88]
	v_div_scale_f64 v[89:90], vcc, v[83:84], v[81:82], v[83:84]
	v_fma_f64 v[91:92], -v[85:86], v[87:88], 1.0
	v_fma_f64 v[87:88], v[87:88], v[91:92], v[87:88]
	v_mul_f64 v[91:92], v[89:90], v[87:88]
	v_fma_f64 v[85:86], -v[85:86], v[91:92], v[89:90]
	v_div_fmas_f64 v[85:86], v[85:86], v[87:88], v[91:92]
	v_div_fixup_f64 v[87:88], v[85:86], v[81:82], v[83:84]
	v_fma_f64 v[81:82], v[83:84], v[87:88], v[81:82]
	v_div_scale_f64 v[83:84], s[6:7], v[81:82], v[81:82], 1.0
	v_div_scale_f64 v[91:92], vcc, 1.0, v[81:82], 1.0
	v_rcp_f64_e32 v[85:86], v[83:84]
	v_fma_f64 v[89:90], -v[83:84], v[85:86], 1.0
	v_fma_f64 v[85:86], v[85:86], v[89:90], v[85:86]
	v_fma_f64 v[89:90], -v[83:84], v[85:86], 1.0
	v_fma_f64 v[85:86], v[85:86], v[89:90], v[85:86]
	v_mul_f64 v[89:90], v[91:92], v[85:86]
	v_fma_f64 v[83:84], -v[83:84], v[89:90], v[91:92]
	v_div_fmas_f64 v[83:84], v[83:84], v[85:86], v[89:90]
	v_div_fixup_f64 v[85:86], v[83:84], v[81:82], 1.0
	v_mul_f64 v[87:88], v[87:88], -v[85:86]
.LBB39_88:
	s_or_b64 exec, exec, s[2:3]
	ds_write2_b64 v127, v[85:86], v[87:88] offset1:1
.LBB39_89:
	s_or_b64 exec, exec, s[4:5]
	s_waitcnt lgkmcnt(0)
	s_barrier
	ds_read2_b64 v[81:84], v127 offset1:1
	v_cmp_lt_u32_e32 vcc, 9, v0
	s_waitcnt lgkmcnt(0)
	buffer_store_dword v81, off, s[20:23], 0 offset:296 ; 4-byte Folded Spill
	s_nop 0
	buffer_store_dword v82, off, s[20:23], 0 offset:300 ; 4-byte Folded Spill
	buffer_store_dword v83, off, s[20:23], 0 offset:304 ; 4-byte Folded Spill
	;; [unrolled: 1-line block ×3, first 2 shown]
	s_and_saveexec_b64 s[2:3], vcc
	s_cbranch_execz .LBB39_91
; %bb.90:
	buffer_load_dword v83, off, s[20:23], 0 offset:296 ; 4-byte Folded Reload
	buffer_load_dword v84, off, s[20:23], 0 offset:300 ; 4-byte Folded Reload
	;; [unrolled: 1-line block ×4, first 2 shown]
	s_waitcnt vmcnt(2)
	v_mul_f64 v[81:82], v[83:84], v[39:40]
	s_waitcnt vmcnt(0)
	v_mul_f64 v[39:40], v[85:86], v[39:40]
	v_fma_f64 v[81:82], v[85:86], v[37:38], v[81:82]
	v_fma_f64 v[37:38], v[83:84], v[37:38], -v[39:40]
	ds_read2_b64 v[83:86], v125 offset0:20 offset1:21
	s_waitcnt lgkmcnt(0)
	v_mul_f64 v[39:40], v[85:86], v[81:82]
	v_fma_f64 v[39:40], v[83:84], v[37:38], -v[39:40]
	v_mul_f64 v[83:84], v[83:84], v[81:82]
	v_add_f64 v[33:34], v[33:34], -v[39:40]
	v_fma_f64 v[83:84], v[85:86], v[37:38], v[83:84]
	v_add_f64 v[35:36], v[35:36], -v[83:84]
	ds_read2_b64 v[83:86], v125 offset0:22 offset1:23
	s_waitcnt lgkmcnt(0)
	v_mul_f64 v[39:40], v[85:86], v[81:82]
	v_fma_f64 v[39:40], v[83:84], v[37:38], -v[39:40]
	v_mul_f64 v[83:84], v[83:84], v[81:82]
	v_add_f64 v[29:30], v[29:30], -v[39:40]
	v_fma_f64 v[83:84], v[85:86], v[37:38], v[83:84]
	v_add_f64 v[31:32], v[31:32], -v[83:84]
	;; [unrolled: 8-line block ×9, first 2 shown]
	ds_read2_b64 v[83:86], v125 offset0:38 offset1:39
	s_waitcnt lgkmcnt(0)
	v_mul_f64 v[39:40], v[85:86], v[81:82]
	v_fma_f64 v[39:40], v[83:84], v[37:38], -v[39:40]
	v_mul_f64 v[83:84], v[83:84], v[81:82]
	v_add_f64 v[53:54], v[53:54], -v[39:40]
	v_fma_f64 v[83:84], v[85:86], v[37:38], v[83:84]
	v_mov_b32_e32 v39, v81
	v_mov_b32_e32 v40, v82
	v_add_f64 v[55:56], v[55:56], -v[83:84]
.LBB39_91:
	s_or_b64 exec, exec, s[2:3]
	v_cmp_eq_u32_e32 vcc, 10, v0
	s_waitcnt vmcnt(0)
	s_barrier
	s_and_saveexec_b64 s[4:5], vcc
	s_cbranch_execz .LBB39_98
; %bb.92:
	ds_write2_b64 v127, v[33:34], v[35:36] offset1:1
	ds_write2_b64 v125, v[29:30], v[31:32] offset0:22 offset1:23
	ds_write2_b64 v125, v[25:26], v[27:28] offset0:24 offset1:25
	;; [unrolled: 1-line block ×9, first 2 shown]
	ds_read2_b64 v[81:84], v127 offset1:1
	s_waitcnt lgkmcnt(0)
	v_cmp_neq_f64_e32 vcc, 0, v[81:82]
	v_cmp_neq_f64_e64 s[2:3], 0, v[83:84]
	s_or_b64 s[2:3], vcc, s[2:3]
	s_and_b64 exec, exec, s[2:3]
	s_cbranch_execz .LBB39_98
; %bb.93:
	v_cmp_ngt_f64_e64 s[2:3], |v[81:82]|, |v[83:84]|
                                        ; implicit-def: $vgpr85_vgpr86
	s_and_saveexec_b64 s[6:7], s[2:3]
	s_xor_b64 s[2:3], exec, s[6:7]
                                        ; implicit-def: $vgpr87_vgpr88
	s_cbranch_execz .LBB39_95
; %bb.94:
	v_div_scale_f64 v[85:86], s[6:7], v[83:84], v[83:84], v[81:82]
	v_rcp_f64_e32 v[87:88], v[85:86]
	v_fma_f64 v[89:90], -v[85:86], v[87:88], 1.0
	v_fma_f64 v[87:88], v[87:88], v[89:90], v[87:88]
	v_div_scale_f64 v[89:90], vcc, v[81:82], v[83:84], v[81:82]
	v_fma_f64 v[91:92], -v[85:86], v[87:88], 1.0
	v_fma_f64 v[87:88], v[87:88], v[91:92], v[87:88]
	v_mul_f64 v[91:92], v[89:90], v[87:88]
	v_fma_f64 v[85:86], -v[85:86], v[91:92], v[89:90]
	v_div_fmas_f64 v[85:86], v[85:86], v[87:88], v[91:92]
	v_div_fixup_f64 v[85:86], v[85:86], v[83:84], v[81:82]
	v_fma_f64 v[81:82], v[81:82], v[85:86], v[83:84]
	v_div_scale_f64 v[83:84], s[6:7], v[81:82], v[81:82], 1.0
	v_div_scale_f64 v[91:92], vcc, 1.0, v[81:82], 1.0
	v_rcp_f64_e32 v[87:88], v[83:84]
	v_fma_f64 v[89:90], -v[83:84], v[87:88], 1.0
	v_fma_f64 v[87:88], v[87:88], v[89:90], v[87:88]
	v_fma_f64 v[89:90], -v[83:84], v[87:88], 1.0
	v_fma_f64 v[87:88], v[87:88], v[89:90], v[87:88]
	v_mul_f64 v[89:90], v[91:92], v[87:88]
	v_fma_f64 v[83:84], -v[83:84], v[89:90], v[91:92]
	v_div_fmas_f64 v[83:84], v[83:84], v[87:88], v[89:90]
	v_div_fixup_f64 v[87:88], v[83:84], v[81:82], 1.0
                                        ; implicit-def: $vgpr81_vgpr82
	v_mul_f64 v[85:86], v[85:86], v[87:88]
	v_xor_b32_e32 v88, 0x80000000, v88
.LBB39_95:
	s_andn2_saveexec_b64 s[2:3], s[2:3]
	s_cbranch_execz .LBB39_97
; %bb.96:
	v_div_scale_f64 v[85:86], s[6:7], v[81:82], v[81:82], v[83:84]
	v_rcp_f64_e32 v[87:88], v[85:86]
	v_fma_f64 v[89:90], -v[85:86], v[87:88], 1.0
	v_fma_f64 v[87:88], v[87:88], v[89:90], v[87:88]
	v_div_scale_f64 v[89:90], vcc, v[83:84], v[81:82], v[83:84]
	v_fma_f64 v[91:92], -v[85:86], v[87:88], 1.0
	v_fma_f64 v[87:88], v[87:88], v[91:92], v[87:88]
	v_mul_f64 v[91:92], v[89:90], v[87:88]
	v_fma_f64 v[85:86], -v[85:86], v[91:92], v[89:90]
	v_div_fmas_f64 v[85:86], v[85:86], v[87:88], v[91:92]
	v_div_fixup_f64 v[87:88], v[85:86], v[81:82], v[83:84]
	v_fma_f64 v[81:82], v[83:84], v[87:88], v[81:82]
	v_div_scale_f64 v[83:84], s[6:7], v[81:82], v[81:82], 1.0
	v_div_scale_f64 v[91:92], vcc, 1.0, v[81:82], 1.0
	v_rcp_f64_e32 v[85:86], v[83:84]
	v_fma_f64 v[89:90], -v[83:84], v[85:86], 1.0
	v_fma_f64 v[85:86], v[85:86], v[89:90], v[85:86]
	v_fma_f64 v[89:90], -v[83:84], v[85:86], 1.0
	v_fma_f64 v[85:86], v[85:86], v[89:90], v[85:86]
	v_mul_f64 v[89:90], v[91:92], v[85:86]
	v_fma_f64 v[83:84], -v[83:84], v[89:90], v[91:92]
	v_div_fmas_f64 v[83:84], v[83:84], v[85:86], v[89:90]
	v_div_fixup_f64 v[85:86], v[83:84], v[81:82], 1.0
	v_mul_f64 v[87:88], v[87:88], -v[85:86]
.LBB39_97:
	s_or_b64 exec, exec, s[2:3]
	ds_write2_b64 v127, v[85:86], v[87:88] offset1:1
.LBB39_98:
	s_or_b64 exec, exec, s[4:5]
	s_waitcnt lgkmcnt(0)
	s_barrier
	ds_read2_b64 v[81:84], v127 offset1:1
	v_cmp_lt_u32_e32 vcc, 10, v0
	s_waitcnt lgkmcnt(0)
	buffer_store_dword v81, off, s[20:23], 0 offset:312 ; 4-byte Folded Spill
	s_nop 0
	buffer_store_dword v82, off, s[20:23], 0 offset:316 ; 4-byte Folded Spill
	buffer_store_dword v83, off, s[20:23], 0 offset:320 ; 4-byte Folded Spill
	;; [unrolled: 1-line block ×3, first 2 shown]
	s_and_saveexec_b64 s[2:3], vcc
	s_cbranch_execz .LBB39_100
; %bb.99:
	buffer_load_dword v83, off, s[20:23], 0 offset:312 ; 4-byte Folded Reload
	buffer_load_dword v84, off, s[20:23], 0 offset:316 ; 4-byte Folded Reload
	;; [unrolled: 1-line block ×4, first 2 shown]
	s_waitcnt vmcnt(2)
	v_mul_f64 v[81:82], v[83:84], v[35:36]
	s_waitcnt vmcnt(0)
	v_mul_f64 v[35:36], v[85:86], v[35:36]
	v_fma_f64 v[81:82], v[85:86], v[33:34], v[81:82]
	v_fma_f64 v[33:34], v[83:84], v[33:34], -v[35:36]
	ds_read2_b64 v[83:86], v125 offset0:22 offset1:23
	s_waitcnt lgkmcnt(0)
	v_mul_f64 v[35:36], v[85:86], v[81:82]
	v_fma_f64 v[35:36], v[83:84], v[33:34], -v[35:36]
	v_mul_f64 v[83:84], v[83:84], v[81:82]
	v_add_f64 v[29:30], v[29:30], -v[35:36]
	v_fma_f64 v[83:84], v[85:86], v[33:34], v[83:84]
	v_add_f64 v[31:32], v[31:32], -v[83:84]
	ds_read2_b64 v[83:86], v125 offset0:24 offset1:25
	s_waitcnt lgkmcnt(0)
	v_mul_f64 v[35:36], v[85:86], v[81:82]
	v_fma_f64 v[35:36], v[83:84], v[33:34], -v[35:36]
	v_mul_f64 v[83:84], v[83:84], v[81:82]
	v_add_f64 v[25:26], v[25:26], -v[35:36]
	v_fma_f64 v[83:84], v[85:86], v[33:34], v[83:84]
	v_add_f64 v[27:28], v[27:28], -v[83:84]
	;; [unrolled: 8-line block ×8, first 2 shown]
	ds_read2_b64 v[83:86], v125 offset0:38 offset1:39
	s_waitcnt lgkmcnt(0)
	v_mul_f64 v[35:36], v[85:86], v[81:82]
	v_fma_f64 v[35:36], v[83:84], v[33:34], -v[35:36]
	v_mul_f64 v[83:84], v[83:84], v[81:82]
	v_add_f64 v[53:54], v[53:54], -v[35:36]
	v_fma_f64 v[83:84], v[85:86], v[33:34], v[83:84]
	v_mov_b32_e32 v35, v81
	v_mov_b32_e32 v36, v82
	v_add_f64 v[55:56], v[55:56], -v[83:84]
.LBB39_100:
	s_or_b64 exec, exec, s[2:3]
	v_cmp_eq_u32_e32 vcc, 11, v0
	s_waitcnt vmcnt(0)
	s_barrier
	s_and_saveexec_b64 s[4:5], vcc
	s_cbranch_execz .LBB39_107
; %bb.101:
	ds_write2_b64 v127, v[29:30], v[31:32] offset1:1
	ds_write2_b64 v125, v[25:26], v[27:28] offset0:24 offset1:25
	ds_write2_b64 v125, v[21:22], v[23:24] offset0:26 offset1:27
	;; [unrolled: 1-line block ×8, first 2 shown]
	ds_read2_b64 v[81:84], v127 offset1:1
	s_waitcnt lgkmcnt(0)
	v_cmp_neq_f64_e32 vcc, 0, v[81:82]
	v_cmp_neq_f64_e64 s[2:3], 0, v[83:84]
	s_or_b64 s[2:3], vcc, s[2:3]
	s_and_b64 exec, exec, s[2:3]
	s_cbranch_execz .LBB39_107
; %bb.102:
	v_cmp_ngt_f64_e64 s[2:3], |v[81:82]|, |v[83:84]|
                                        ; implicit-def: $vgpr85_vgpr86
	s_and_saveexec_b64 s[6:7], s[2:3]
	s_xor_b64 s[2:3], exec, s[6:7]
                                        ; implicit-def: $vgpr87_vgpr88
	s_cbranch_execz .LBB39_104
; %bb.103:
	v_div_scale_f64 v[85:86], s[6:7], v[83:84], v[83:84], v[81:82]
	v_rcp_f64_e32 v[87:88], v[85:86]
	v_fma_f64 v[89:90], -v[85:86], v[87:88], 1.0
	v_fma_f64 v[87:88], v[87:88], v[89:90], v[87:88]
	v_div_scale_f64 v[89:90], vcc, v[81:82], v[83:84], v[81:82]
	v_fma_f64 v[91:92], -v[85:86], v[87:88], 1.0
	v_fma_f64 v[87:88], v[87:88], v[91:92], v[87:88]
	v_mul_f64 v[91:92], v[89:90], v[87:88]
	v_fma_f64 v[85:86], -v[85:86], v[91:92], v[89:90]
	v_div_fmas_f64 v[85:86], v[85:86], v[87:88], v[91:92]
	v_div_fixup_f64 v[85:86], v[85:86], v[83:84], v[81:82]
	v_fma_f64 v[81:82], v[81:82], v[85:86], v[83:84]
	v_div_scale_f64 v[83:84], s[6:7], v[81:82], v[81:82], 1.0
	v_div_scale_f64 v[91:92], vcc, 1.0, v[81:82], 1.0
	v_rcp_f64_e32 v[87:88], v[83:84]
	v_fma_f64 v[89:90], -v[83:84], v[87:88], 1.0
	v_fma_f64 v[87:88], v[87:88], v[89:90], v[87:88]
	v_fma_f64 v[89:90], -v[83:84], v[87:88], 1.0
	v_fma_f64 v[87:88], v[87:88], v[89:90], v[87:88]
	v_mul_f64 v[89:90], v[91:92], v[87:88]
	v_fma_f64 v[83:84], -v[83:84], v[89:90], v[91:92]
	v_div_fmas_f64 v[83:84], v[83:84], v[87:88], v[89:90]
	v_div_fixup_f64 v[87:88], v[83:84], v[81:82], 1.0
                                        ; implicit-def: $vgpr81_vgpr82
	v_mul_f64 v[85:86], v[85:86], v[87:88]
	v_xor_b32_e32 v88, 0x80000000, v88
.LBB39_104:
	s_andn2_saveexec_b64 s[2:3], s[2:3]
	s_cbranch_execz .LBB39_106
; %bb.105:
	v_div_scale_f64 v[85:86], s[6:7], v[81:82], v[81:82], v[83:84]
	v_rcp_f64_e32 v[87:88], v[85:86]
	v_fma_f64 v[89:90], -v[85:86], v[87:88], 1.0
	v_fma_f64 v[87:88], v[87:88], v[89:90], v[87:88]
	v_div_scale_f64 v[89:90], vcc, v[83:84], v[81:82], v[83:84]
	v_fma_f64 v[91:92], -v[85:86], v[87:88], 1.0
	v_fma_f64 v[87:88], v[87:88], v[91:92], v[87:88]
	v_mul_f64 v[91:92], v[89:90], v[87:88]
	v_fma_f64 v[85:86], -v[85:86], v[91:92], v[89:90]
	v_div_fmas_f64 v[85:86], v[85:86], v[87:88], v[91:92]
	v_div_fixup_f64 v[87:88], v[85:86], v[81:82], v[83:84]
	v_fma_f64 v[81:82], v[83:84], v[87:88], v[81:82]
	v_div_scale_f64 v[83:84], s[6:7], v[81:82], v[81:82], 1.0
	v_div_scale_f64 v[91:92], vcc, 1.0, v[81:82], 1.0
	v_rcp_f64_e32 v[85:86], v[83:84]
	v_fma_f64 v[89:90], -v[83:84], v[85:86], 1.0
	v_fma_f64 v[85:86], v[85:86], v[89:90], v[85:86]
	v_fma_f64 v[89:90], -v[83:84], v[85:86], 1.0
	v_fma_f64 v[85:86], v[85:86], v[89:90], v[85:86]
	v_mul_f64 v[89:90], v[91:92], v[85:86]
	v_fma_f64 v[83:84], -v[83:84], v[89:90], v[91:92]
	v_div_fmas_f64 v[83:84], v[83:84], v[85:86], v[89:90]
	v_div_fixup_f64 v[85:86], v[83:84], v[81:82], 1.0
	v_mul_f64 v[87:88], v[87:88], -v[85:86]
.LBB39_106:
	s_or_b64 exec, exec, s[2:3]
	ds_write2_b64 v127, v[85:86], v[87:88] offset1:1
.LBB39_107:
	s_or_b64 exec, exec, s[4:5]
	s_waitcnt lgkmcnt(0)
	s_barrier
	ds_read2_b64 v[81:84], v127 offset1:1
	v_cmp_lt_u32_e32 vcc, 11, v0
	s_waitcnt lgkmcnt(0)
	buffer_store_dword v81, off, s[20:23], 0 offset:328 ; 4-byte Folded Spill
	s_nop 0
	buffer_store_dword v82, off, s[20:23], 0 offset:332 ; 4-byte Folded Spill
	buffer_store_dword v83, off, s[20:23], 0 offset:336 ; 4-byte Folded Spill
	;; [unrolled: 1-line block ×3, first 2 shown]
	s_and_saveexec_b64 s[2:3], vcc
	s_cbranch_execz .LBB39_109
; %bb.108:
	buffer_load_dword v81, off, s[20:23], 0 offset:328 ; 4-byte Folded Reload
	buffer_load_dword v82, off, s[20:23], 0 offset:332 ; 4-byte Folded Reload
	buffer_load_dword v83, off, s[20:23], 0 offset:336 ; 4-byte Folded Reload
	buffer_load_dword v84, off, s[20:23], 0 offset:340 ; 4-byte Folded Reload
	ds_read2_b64 v[87:90], v125 offset0:24 offset1:25
	s_waitcnt vmcnt(2)
	v_mul_f64 v[85:86], v[81:82], v[31:32]
	s_waitcnt vmcnt(0)
	v_mul_f64 v[31:32], v[83:84], v[31:32]
	v_fma_f64 v[85:86], v[83:84], v[29:30], v[85:86]
	v_fma_f64 v[29:30], v[81:82], v[29:30], -v[31:32]
	s_waitcnt lgkmcnt(0)
	v_mul_f64 v[31:32], v[89:90], v[85:86]
	v_fma_f64 v[31:32], v[87:88], v[29:30], -v[31:32]
	v_mul_f64 v[87:88], v[87:88], v[85:86]
	v_add_f64 v[25:26], v[25:26], -v[31:32]
	v_fma_f64 v[87:88], v[89:90], v[29:30], v[87:88]
	v_add_f64 v[27:28], v[27:28], -v[87:88]
	ds_read2_b64 v[87:90], v125 offset0:26 offset1:27
	s_waitcnt lgkmcnt(0)
	v_mul_f64 v[31:32], v[89:90], v[85:86]
	v_fma_f64 v[31:32], v[87:88], v[29:30], -v[31:32]
	v_mul_f64 v[87:88], v[87:88], v[85:86]
	v_add_f64 v[21:22], v[21:22], -v[31:32]
	v_fma_f64 v[87:88], v[89:90], v[29:30], v[87:88]
	v_add_f64 v[23:24], v[23:24], -v[87:88]
	ds_read2_b64 v[87:90], v125 offset0:28 offset1:29
	;; [unrolled: 8-line block ×7, first 2 shown]
	s_waitcnt lgkmcnt(0)
	v_mul_f64 v[31:32], v[89:90], v[85:86]
	v_fma_f64 v[31:32], v[87:88], v[29:30], -v[31:32]
	v_mul_f64 v[87:88], v[87:88], v[85:86]
	v_add_f64 v[53:54], v[53:54], -v[31:32]
	v_fma_f64 v[87:88], v[89:90], v[29:30], v[87:88]
	v_mov_b32_e32 v31, v85
	v_mov_b32_e32 v32, v86
	v_add_f64 v[55:56], v[55:56], -v[87:88]
.LBB39_109:
	s_or_b64 exec, exec, s[2:3]
	v_cmp_eq_u32_e32 vcc, 12, v0
	s_waitcnt vmcnt(0)
	s_barrier
	s_and_saveexec_b64 s[4:5], vcc
	s_cbranch_execz .LBB39_116
; %bb.110:
	ds_write2_b64 v127, v[25:26], v[27:28] offset1:1
	ds_write2_b64 v125, v[21:22], v[23:24] offset0:26 offset1:27
	ds_write2_b64 v125, v[17:18], v[19:20] offset0:28 offset1:29
	;; [unrolled: 1-line block ×7, first 2 shown]
	ds_read2_b64 v[85:88], v127 offset1:1
	s_waitcnt lgkmcnt(0)
	v_cmp_neq_f64_e32 vcc, 0, v[85:86]
	v_cmp_neq_f64_e64 s[2:3], 0, v[87:88]
	s_or_b64 s[2:3], vcc, s[2:3]
	s_and_b64 exec, exec, s[2:3]
	s_cbranch_execz .LBB39_116
; %bb.111:
	v_cmp_ngt_f64_e64 s[2:3], |v[85:86]|, |v[87:88]|
                                        ; implicit-def: $vgpr89_vgpr90
	s_and_saveexec_b64 s[6:7], s[2:3]
	s_xor_b64 s[2:3], exec, s[6:7]
                                        ; implicit-def: $vgpr91_vgpr92
	s_cbranch_execz .LBB39_113
; %bb.112:
	v_div_scale_f64 v[89:90], s[6:7], v[87:88], v[87:88], v[85:86]
	v_rcp_f64_e32 v[91:92], v[89:90]
	v_fma_f64 v[93:94], -v[89:90], v[91:92], 1.0
	v_fma_f64 v[91:92], v[91:92], v[93:94], v[91:92]
	v_div_scale_f64 v[93:94], vcc, v[85:86], v[87:88], v[85:86]
	v_fma_f64 v[95:96], -v[89:90], v[91:92], 1.0
	v_fma_f64 v[91:92], v[91:92], v[95:96], v[91:92]
	v_mul_f64 v[95:96], v[93:94], v[91:92]
	v_fma_f64 v[89:90], -v[89:90], v[95:96], v[93:94]
	v_div_fmas_f64 v[89:90], v[89:90], v[91:92], v[95:96]
	v_div_fixup_f64 v[89:90], v[89:90], v[87:88], v[85:86]
	v_fma_f64 v[85:86], v[85:86], v[89:90], v[87:88]
	v_div_scale_f64 v[87:88], s[6:7], v[85:86], v[85:86], 1.0
	v_div_scale_f64 v[95:96], vcc, 1.0, v[85:86], 1.0
	v_rcp_f64_e32 v[91:92], v[87:88]
	v_fma_f64 v[93:94], -v[87:88], v[91:92], 1.0
	v_fma_f64 v[91:92], v[91:92], v[93:94], v[91:92]
	v_fma_f64 v[93:94], -v[87:88], v[91:92], 1.0
	v_fma_f64 v[91:92], v[91:92], v[93:94], v[91:92]
	v_mul_f64 v[93:94], v[95:96], v[91:92]
	v_fma_f64 v[87:88], -v[87:88], v[93:94], v[95:96]
	v_div_fmas_f64 v[87:88], v[87:88], v[91:92], v[93:94]
	v_div_fixup_f64 v[91:92], v[87:88], v[85:86], 1.0
                                        ; implicit-def: $vgpr85_vgpr86
	v_mul_f64 v[89:90], v[89:90], v[91:92]
	v_xor_b32_e32 v92, 0x80000000, v92
.LBB39_113:
	s_andn2_saveexec_b64 s[2:3], s[2:3]
	s_cbranch_execz .LBB39_115
; %bb.114:
	v_div_scale_f64 v[89:90], s[6:7], v[85:86], v[85:86], v[87:88]
	v_rcp_f64_e32 v[91:92], v[89:90]
	v_fma_f64 v[93:94], -v[89:90], v[91:92], 1.0
	v_fma_f64 v[91:92], v[91:92], v[93:94], v[91:92]
	v_div_scale_f64 v[93:94], vcc, v[87:88], v[85:86], v[87:88]
	v_fma_f64 v[95:96], -v[89:90], v[91:92], 1.0
	v_fma_f64 v[91:92], v[91:92], v[95:96], v[91:92]
	v_mul_f64 v[95:96], v[93:94], v[91:92]
	v_fma_f64 v[89:90], -v[89:90], v[95:96], v[93:94]
	v_div_fmas_f64 v[89:90], v[89:90], v[91:92], v[95:96]
	v_div_fixup_f64 v[91:92], v[89:90], v[85:86], v[87:88]
	v_fma_f64 v[85:86], v[87:88], v[91:92], v[85:86]
	v_div_scale_f64 v[87:88], s[6:7], v[85:86], v[85:86], 1.0
	v_div_scale_f64 v[95:96], vcc, 1.0, v[85:86], 1.0
	v_rcp_f64_e32 v[89:90], v[87:88]
	v_fma_f64 v[93:94], -v[87:88], v[89:90], 1.0
	v_fma_f64 v[89:90], v[89:90], v[93:94], v[89:90]
	v_fma_f64 v[93:94], -v[87:88], v[89:90], 1.0
	v_fma_f64 v[89:90], v[89:90], v[93:94], v[89:90]
	v_mul_f64 v[93:94], v[95:96], v[89:90]
	v_fma_f64 v[87:88], -v[87:88], v[93:94], v[95:96]
	v_div_fmas_f64 v[87:88], v[87:88], v[89:90], v[93:94]
	v_div_fixup_f64 v[89:90], v[87:88], v[85:86], 1.0
	v_mul_f64 v[91:92], v[91:92], -v[89:90]
.LBB39_115:
	s_or_b64 exec, exec, s[2:3]
	ds_write2_b64 v127, v[89:90], v[91:92] offset1:1
.LBB39_116:
	s_or_b64 exec, exec, s[4:5]
	s_waitcnt lgkmcnt(0)
	s_barrier
	ds_read2_b64 v[77:80], v127 offset1:1
	v_cmp_lt_u32_e32 vcc, 12, v0
	s_and_saveexec_b64 s[2:3], vcc
	s_cbranch_execz .LBB39_118
; %bb.117:
	s_waitcnt lgkmcnt(0)
	v_mul_f64 v[89:90], v[77:78], v[27:28]
	v_mul_f64 v[27:28], v[79:80], v[27:28]
	ds_read2_b64 v[91:94], v125 offset0:26 offset1:27
	v_fma_f64 v[89:90], v[79:80], v[25:26], v[89:90]
	v_fma_f64 v[25:26], v[77:78], v[25:26], -v[27:28]
	s_waitcnt lgkmcnt(0)
	v_mul_f64 v[27:28], v[93:94], v[89:90]
	v_fma_f64 v[27:28], v[91:92], v[25:26], -v[27:28]
	v_mul_f64 v[91:92], v[91:92], v[89:90]
	v_add_f64 v[21:22], v[21:22], -v[27:28]
	v_fma_f64 v[91:92], v[93:94], v[25:26], v[91:92]
	v_add_f64 v[23:24], v[23:24], -v[91:92]
	ds_read2_b64 v[91:94], v125 offset0:28 offset1:29
	s_waitcnt lgkmcnt(0)
	v_mul_f64 v[27:28], v[93:94], v[89:90]
	v_fma_f64 v[27:28], v[91:92], v[25:26], -v[27:28]
	v_mul_f64 v[91:92], v[91:92], v[89:90]
	v_add_f64 v[17:18], v[17:18], -v[27:28]
	v_fma_f64 v[91:92], v[93:94], v[25:26], v[91:92]
	v_add_f64 v[19:20], v[19:20], -v[91:92]
	ds_read2_b64 v[91:94], v125 offset0:30 offset1:31
	;; [unrolled: 8-line block ×6, first 2 shown]
	s_waitcnt lgkmcnt(0)
	v_mul_f64 v[27:28], v[93:94], v[89:90]
	v_fma_f64 v[27:28], v[91:92], v[25:26], -v[27:28]
	v_mul_f64 v[91:92], v[91:92], v[89:90]
	v_add_f64 v[53:54], v[53:54], -v[27:28]
	v_fma_f64 v[91:92], v[93:94], v[25:26], v[91:92]
	v_mov_b32_e32 v27, v89
	v_mov_b32_e32 v28, v90
	v_add_f64 v[55:56], v[55:56], -v[91:92]
.LBB39_118:
	s_or_b64 exec, exec, s[2:3]
	v_cmp_eq_u32_e32 vcc, 13, v0
	s_waitcnt lgkmcnt(0)
	s_barrier
	s_and_saveexec_b64 s[4:5], vcc
	s_cbranch_execz .LBB39_125
; %bb.119:
	ds_write2_b64 v127, v[21:22], v[23:24] offset1:1
	ds_write2_b64 v125, v[17:18], v[19:20] offset0:28 offset1:29
	ds_write2_b64 v125, v[13:14], v[15:16] offset0:30 offset1:31
	ds_write2_b64 v125, v[9:10], v[11:12] offset0:32 offset1:33
	ds_write2_b64 v125, v[5:6], v[7:8] offset0:34 offset1:35
	ds_write2_b64 v125, v[1:2], v[3:4] offset0:36 offset1:37
	ds_write2_b64 v125, v[53:54], v[55:56] offset0:38 offset1:39
	ds_read2_b64 v[89:92], v127 offset1:1
	s_waitcnt lgkmcnt(0)
	v_cmp_neq_f64_e32 vcc, 0, v[89:90]
	v_cmp_neq_f64_e64 s[2:3], 0, v[91:92]
	s_or_b64 s[2:3], vcc, s[2:3]
	s_and_b64 exec, exec, s[2:3]
	s_cbranch_execz .LBB39_125
; %bb.120:
	v_cmp_ngt_f64_e64 s[2:3], |v[89:90]|, |v[91:92]|
                                        ; implicit-def: $vgpr93_vgpr94
	s_and_saveexec_b64 s[6:7], s[2:3]
	s_xor_b64 s[2:3], exec, s[6:7]
                                        ; implicit-def: $vgpr95_vgpr96
	s_cbranch_execz .LBB39_122
; %bb.121:
	v_div_scale_f64 v[93:94], s[6:7], v[91:92], v[91:92], v[89:90]
	v_rcp_f64_e32 v[95:96], v[93:94]
	v_fma_f64 v[97:98], -v[93:94], v[95:96], 1.0
	v_fma_f64 v[95:96], v[95:96], v[97:98], v[95:96]
	v_div_scale_f64 v[97:98], vcc, v[89:90], v[91:92], v[89:90]
	v_fma_f64 v[99:100], -v[93:94], v[95:96], 1.0
	v_fma_f64 v[95:96], v[95:96], v[99:100], v[95:96]
	v_mul_f64 v[99:100], v[97:98], v[95:96]
	v_fma_f64 v[93:94], -v[93:94], v[99:100], v[97:98]
	v_div_fmas_f64 v[93:94], v[93:94], v[95:96], v[99:100]
	v_div_fixup_f64 v[93:94], v[93:94], v[91:92], v[89:90]
	v_fma_f64 v[89:90], v[89:90], v[93:94], v[91:92]
	v_div_scale_f64 v[91:92], s[6:7], v[89:90], v[89:90], 1.0
	v_div_scale_f64 v[99:100], vcc, 1.0, v[89:90], 1.0
	v_rcp_f64_e32 v[95:96], v[91:92]
	v_fma_f64 v[97:98], -v[91:92], v[95:96], 1.0
	v_fma_f64 v[95:96], v[95:96], v[97:98], v[95:96]
	v_fma_f64 v[97:98], -v[91:92], v[95:96], 1.0
	v_fma_f64 v[95:96], v[95:96], v[97:98], v[95:96]
	v_mul_f64 v[97:98], v[99:100], v[95:96]
	v_fma_f64 v[91:92], -v[91:92], v[97:98], v[99:100]
	v_div_fmas_f64 v[91:92], v[91:92], v[95:96], v[97:98]
	v_div_fixup_f64 v[95:96], v[91:92], v[89:90], 1.0
                                        ; implicit-def: $vgpr89_vgpr90
	v_mul_f64 v[93:94], v[93:94], v[95:96]
	v_xor_b32_e32 v96, 0x80000000, v96
.LBB39_122:
	s_andn2_saveexec_b64 s[2:3], s[2:3]
	s_cbranch_execz .LBB39_124
; %bb.123:
	v_div_scale_f64 v[93:94], s[6:7], v[89:90], v[89:90], v[91:92]
	v_rcp_f64_e32 v[95:96], v[93:94]
	v_fma_f64 v[97:98], -v[93:94], v[95:96], 1.0
	v_fma_f64 v[95:96], v[95:96], v[97:98], v[95:96]
	v_div_scale_f64 v[97:98], vcc, v[91:92], v[89:90], v[91:92]
	v_fma_f64 v[99:100], -v[93:94], v[95:96], 1.0
	v_fma_f64 v[95:96], v[95:96], v[99:100], v[95:96]
	v_mul_f64 v[99:100], v[97:98], v[95:96]
	v_fma_f64 v[93:94], -v[93:94], v[99:100], v[97:98]
	v_div_fmas_f64 v[93:94], v[93:94], v[95:96], v[99:100]
	v_div_fixup_f64 v[95:96], v[93:94], v[89:90], v[91:92]
	v_fma_f64 v[89:90], v[91:92], v[95:96], v[89:90]
	v_div_scale_f64 v[91:92], s[6:7], v[89:90], v[89:90], 1.0
	v_div_scale_f64 v[99:100], vcc, 1.0, v[89:90], 1.0
	v_rcp_f64_e32 v[93:94], v[91:92]
	v_fma_f64 v[97:98], -v[91:92], v[93:94], 1.0
	v_fma_f64 v[93:94], v[93:94], v[97:98], v[93:94]
	v_fma_f64 v[97:98], -v[91:92], v[93:94], 1.0
	v_fma_f64 v[93:94], v[93:94], v[97:98], v[93:94]
	v_mul_f64 v[97:98], v[99:100], v[93:94]
	v_fma_f64 v[91:92], -v[91:92], v[97:98], v[99:100]
	v_div_fmas_f64 v[91:92], v[91:92], v[93:94], v[97:98]
	v_div_fixup_f64 v[93:94], v[91:92], v[89:90], 1.0
	v_mul_f64 v[95:96], v[95:96], -v[93:94]
.LBB39_124:
	s_or_b64 exec, exec, s[2:3]
	ds_write2_b64 v127, v[93:94], v[95:96] offset1:1
.LBB39_125:
	s_or_b64 exec, exec, s[4:5]
	s_waitcnt lgkmcnt(0)
	s_barrier
	ds_read2_b64 v[87:90], v127 offset1:1
	v_cmp_lt_u32_e32 vcc, 13, v0
	s_and_saveexec_b64 s[2:3], vcc
	s_cbranch_execz .LBB39_127
; %bb.126:
	s_waitcnt lgkmcnt(0)
	v_mul_f64 v[93:94], v[87:88], v[23:24]
	v_mul_f64 v[23:24], v[89:90], v[23:24]
	ds_read2_b64 v[95:98], v125 offset0:28 offset1:29
	v_fma_f64 v[93:94], v[89:90], v[21:22], v[93:94]
	v_fma_f64 v[21:22], v[87:88], v[21:22], -v[23:24]
	s_waitcnt lgkmcnt(0)
	v_mul_f64 v[23:24], v[97:98], v[93:94]
	v_fma_f64 v[23:24], v[95:96], v[21:22], -v[23:24]
	v_mul_f64 v[95:96], v[95:96], v[93:94]
	v_add_f64 v[17:18], v[17:18], -v[23:24]
	v_fma_f64 v[95:96], v[97:98], v[21:22], v[95:96]
	v_add_f64 v[19:20], v[19:20], -v[95:96]
	ds_read2_b64 v[95:98], v125 offset0:30 offset1:31
	s_waitcnt lgkmcnt(0)
	v_mul_f64 v[23:24], v[97:98], v[93:94]
	v_fma_f64 v[23:24], v[95:96], v[21:22], -v[23:24]
	v_mul_f64 v[95:96], v[95:96], v[93:94]
	v_add_f64 v[13:14], v[13:14], -v[23:24]
	v_fma_f64 v[95:96], v[97:98], v[21:22], v[95:96]
	v_add_f64 v[15:16], v[15:16], -v[95:96]
	ds_read2_b64 v[95:98], v125 offset0:32 offset1:33
	;; [unrolled: 8-line block ×5, first 2 shown]
	s_waitcnt lgkmcnt(0)
	v_mul_f64 v[23:24], v[97:98], v[93:94]
	v_fma_f64 v[23:24], v[95:96], v[21:22], -v[23:24]
	v_mul_f64 v[95:96], v[95:96], v[93:94]
	v_add_f64 v[53:54], v[53:54], -v[23:24]
	v_fma_f64 v[95:96], v[97:98], v[21:22], v[95:96]
	v_mov_b32_e32 v23, v93
	v_mov_b32_e32 v24, v94
	v_add_f64 v[55:56], v[55:56], -v[95:96]
.LBB39_127:
	s_or_b64 exec, exec, s[2:3]
	v_cmp_eq_u32_e32 vcc, 14, v0
	s_waitcnt lgkmcnt(0)
	s_barrier
	s_and_saveexec_b64 s[4:5], vcc
	s_cbranch_execz .LBB39_134
; %bb.128:
	ds_write2_b64 v127, v[17:18], v[19:20] offset1:1
	ds_write2_b64 v125, v[13:14], v[15:16] offset0:30 offset1:31
	ds_write2_b64 v125, v[9:10], v[11:12] offset0:32 offset1:33
	;; [unrolled: 1-line block ×5, first 2 shown]
	ds_read2_b64 v[93:96], v127 offset1:1
	s_waitcnt lgkmcnt(0)
	v_cmp_neq_f64_e32 vcc, 0, v[93:94]
	v_cmp_neq_f64_e64 s[2:3], 0, v[95:96]
	s_or_b64 s[2:3], vcc, s[2:3]
	s_and_b64 exec, exec, s[2:3]
	s_cbranch_execz .LBB39_134
; %bb.129:
	v_cmp_ngt_f64_e64 s[2:3], |v[93:94]|, |v[95:96]|
                                        ; implicit-def: $vgpr97_vgpr98
	s_and_saveexec_b64 s[6:7], s[2:3]
	s_xor_b64 s[2:3], exec, s[6:7]
                                        ; implicit-def: $vgpr99_vgpr100
	s_cbranch_execz .LBB39_131
; %bb.130:
	v_div_scale_f64 v[97:98], s[6:7], v[95:96], v[95:96], v[93:94]
	v_rcp_f64_e32 v[99:100], v[97:98]
	v_fma_f64 v[101:102], -v[97:98], v[99:100], 1.0
	v_fma_f64 v[99:100], v[99:100], v[101:102], v[99:100]
	v_div_scale_f64 v[101:102], vcc, v[93:94], v[95:96], v[93:94]
	v_fma_f64 v[103:104], -v[97:98], v[99:100], 1.0
	v_fma_f64 v[99:100], v[99:100], v[103:104], v[99:100]
	v_mul_f64 v[103:104], v[101:102], v[99:100]
	v_fma_f64 v[97:98], -v[97:98], v[103:104], v[101:102]
	v_div_fmas_f64 v[97:98], v[97:98], v[99:100], v[103:104]
	v_div_fixup_f64 v[97:98], v[97:98], v[95:96], v[93:94]
	v_fma_f64 v[93:94], v[93:94], v[97:98], v[95:96]
	v_div_scale_f64 v[95:96], s[6:7], v[93:94], v[93:94], 1.0
	v_div_scale_f64 v[103:104], vcc, 1.0, v[93:94], 1.0
	v_rcp_f64_e32 v[99:100], v[95:96]
	v_fma_f64 v[101:102], -v[95:96], v[99:100], 1.0
	v_fma_f64 v[99:100], v[99:100], v[101:102], v[99:100]
	v_fma_f64 v[101:102], -v[95:96], v[99:100], 1.0
	v_fma_f64 v[99:100], v[99:100], v[101:102], v[99:100]
	v_mul_f64 v[101:102], v[103:104], v[99:100]
	v_fma_f64 v[95:96], -v[95:96], v[101:102], v[103:104]
	v_div_fmas_f64 v[95:96], v[95:96], v[99:100], v[101:102]
	v_div_fixup_f64 v[99:100], v[95:96], v[93:94], 1.0
                                        ; implicit-def: $vgpr93_vgpr94
	v_mul_f64 v[97:98], v[97:98], v[99:100]
	v_xor_b32_e32 v100, 0x80000000, v100
.LBB39_131:
	s_andn2_saveexec_b64 s[2:3], s[2:3]
	s_cbranch_execz .LBB39_133
; %bb.132:
	v_div_scale_f64 v[97:98], s[6:7], v[93:94], v[93:94], v[95:96]
	v_rcp_f64_e32 v[99:100], v[97:98]
	v_fma_f64 v[101:102], -v[97:98], v[99:100], 1.0
	v_fma_f64 v[99:100], v[99:100], v[101:102], v[99:100]
	v_div_scale_f64 v[101:102], vcc, v[95:96], v[93:94], v[95:96]
	v_fma_f64 v[103:104], -v[97:98], v[99:100], 1.0
	v_fma_f64 v[99:100], v[99:100], v[103:104], v[99:100]
	v_mul_f64 v[103:104], v[101:102], v[99:100]
	v_fma_f64 v[97:98], -v[97:98], v[103:104], v[101:102]
	v_div_fmas_f64 v[97:98], v[97:98], v[99:100], v[103:104]
	v_div_fixup_f64 v[99:100], v[97:98], v[93:94], v[95:96]
	v_fma_f64 v[93:94], v[95:96], v[99:100], v[93:94]
	v_div_scale_f64 v[95:96], s[6:7], v[93:94], v[93:94], 1.0
	v_div_scale_f64 v[103:104], vcc, 1.0, v[93:94], 1.0
	v_rcp_f64_e32 v[97:98], v[95:96]
	v_fma_f64 v[101:102], -v[95:96], v[97:98], 1.0
	v_fma_f64 v[97:98], v[97:98], v[101:102], v[97:98]
	v_fma_f64 v[101:102], -v[95:96], v[97:98], 1.0
	v_fma_f64 v[97:98], v[97:98], v[101:102], v[97:98]
	v_mul_f64 v[101:102], v[103:104], v[97:98]
	v_fma_f64 v[95:96], -v[95:96], v[101:102], v[103:104]
	v_div_fmas_f64 v[95:96], v[95:96], v[97:98], v[101:102]
	v_div_fixup_f64 v[97:98], v[95:96], v[93:94], 1.0
	v_mul_f64 v[99:100], v[99:100], -v[97:98]
.LBB39_133:
	s_or_b64 exec, exec, s[2:3]
	ds_write2_b64 v127, v[97:98], v[99:100] offset1:1
.LBB39_134:
	s_or_b64 exec, exec, s[4:5]
	s_waitcnt lgkmcnt(0)
	s_barrier
	ds_read2_b64 v[93:96], v127 offset1:1
	v_cmp_lt_u32_e32 vcc, 14, v0
	s_and_saveexec_b64 s[2:3], vcc
	s_cbranch_execz .LBB39_136
; %bb.135:
	s_waitcnt lgkmcnt(0)
	v_mul_f64 v[97:98], v[93:94], v[19:20]
	v_mul_f64 v[19:20], v[95:96], v[19:20]
	v_fma_f64 v[101:102], v[95:96], v[17:18], v[97:98]
	ds_read2_b64 v[97:100], v125 offset0:30 offset1:31
	v_fma_f64 v[17:18], v[93:94], v[17:18], -v[19:20]
	s_waitcnt lgkmcnt(0)
	v_mul_f64 v[19:20], v[99:100], v[101:102]
	v_fma_f64 v[19:20], v[97:98], v[17:18], -v[19:20]
	v_mul_f64 v[97:98], v[97:98], v[101:102]
	v_add_f64 v[13:14], v[13:14], -v[19:20]
	v_fma_f64 v[97:98], v[99:100], v[17:18], v[97:98]
	v_add_f64 v[15:16], v[15:16], -v[97:98]
	ds_read2_b64 v[97:100], v125 offset0:32 offset1:33
	s_waitcnt lgkmcnt(0)
	v_mul_f64 v[19:20], v[99:100], v[101:102]
	v_fma_f64 v[19:20], v[97:98], v[17:18], -v[19:20]
	v_mul_f64 v[97:98], v[97:98], v[101:102]
	v_add_f64 v[9:10], v[9:10], -v[19:20]
	v_fma_f64 v[97:98], v[99:100], v[17:18], v[97:98]
	v_add_f64 v[11:12], v[11:12], -v[97:98]
	ds_read2_b64 v[97:100], v125 offset0:34 offset1:35
	s_waitcnt lgkmcnt(0)
	v_mul_f64 v[19:20], v[99:100], v[101:102]
	v_fma_f64 v[19:20], v[97:98], v[17:18], -v[19:20]
	v_mul_f64 v[97:98], v[97:98], v[101:102]
	v_add_f64 v[5:6], v[5:6], -v[19:20]
	v_fma_f64 v[97:98], v[99:100], v[17:18], v[97:98]
	v_add_f64 v[7:8], v[7:8], -v[97:98]
	ds_read2_b64 v[97:100], v125 offset0:36 offset1:37
	s_waitcnt lgkmcnt(0)
	v_mul_f64 v[19:20], v[99:100], v[101:102]
	v_fma_f64 v[19:20], v[97:98], v[17:18], -v[19:20]
	v_mul_f64 v[97:98], v[97:98], v[101:102]
	v_add_f64 v[1:2], v[1:2], -v[19:20]
	v_fma_f64 v[97:98], v[99:100], v[17:18], v[97:98]
	v_add_f64 v[3:4], v[3:4], -v[97:98]
	ds_read2_b64 v[97:100], v125 offset0:38 offset1:39
	s_waitcnt lgkmcnt(0)
	v_mul_f64 v[19:20], v[99:100], v[101:102]
	v_fma_f64 v[19:20], v[97:98], v[17:18], -v[19:20]
	v_mul_f64 v[97:98], v[97:98], v[101:102]
	v_add_f64 v[53:54], v[53:54], -v[19:20]
	v_fma_f64 v[97:98], v[99:100], v[17:18], v[97:98]
	v_mov_b32_e32 v19, v101
	v_mov_b32_e32 v20, v102
	v_add_f64 v[55:56], v[55:56], -v[97:98]
.LBB39_136:
	s_or_b64 exec, exec, s[2:3]
	v_cmp_eq_u32_e32 vcc, 15, v0
	s_waitcnt lgkmcnt(0)
	s_barrier
	s_and_saveexec_b64 s[4:5], vcc
	s_cbranch_execz .LBB39_143
; %bb.137:
	ds_write2_b64 v127, v[13:14], v[15:16] offset1:1
	ds_write2_b64 v125, v[9:10], v[11:12] offset0:32 offset1:33
	ds_write2_b64 v125, v[5:6], v[7:8] offset0:34 offset1:35
	;; [unrolled: 1-line block ×4, first 2 shown]
	ds_read2_b64 v[97:100], v127 offset1:1
	s_waitcnt lgkmcnt(0)
	v_cmp_neq_f64_e32 vcc, 0, v[97:98]
	v_cmp_neq_f64_e64 s[2:3], 0, v[99:100]
	s_or_b64 s[2:3], vcc, s[2:3]
	s_and_b64 exec, exec, s[2:3]
	s_cbranch_execz .LBB39_143
; %bb.138:
	v_cmp_ngt_f64_e64 s[2:3], |v[97:98]|, |v[99:100]|
                                        ; implicit-def: $vgpr101_vgpr102
	s_and_saveexec_b64 s[6:7], s[2:3]
	s_xor_b64 s[2:3], exec, s[6:7]
                                        ; implicit-def: $vgpr103_vgpr104
	s_cbranch_execz .LBB39_140
; %bb.139:
	v_div_scale_f64 v[101:102], s[6:7], v[99:100], v[99:100], v[97:98]
	v_rcp_f64_e32 v[103:104], v[101:102]
	v_fma_f64 v[105:106], -v[101:102], v[103:104], 1.0
	v_fma_f64 v[103:104], v[103:104], v[105:106], v[103:104]
	v_div_scale_f64 v[105:106], vcc, v[97:98], v[99:100], v[97:98]
	v_fma_f64 v[107:108], -v[101:102], v[103:104], 1.0
	v_fma_f64 v[103:104], v[103:104], v[107:108], v[103:104]
	v_mul_f64 v[107:108], v[105:106], v[103:104]
	v_fma_f64 v[101:102], -v[101:102], v[107:108], v[105:106]
	v_div_fmas_f64 v[101:102], v[101:102], v[103:104], v[107:108]
	v_div_fixup_f64 v[101:102], v[101:102], v[99:100], v[97:98]
	v_fma_f64 v[97:98], v[97:98], v[101:102], v[99:100]
	v_div_scale_f64 v[99:100], s[6:7], v[97:98], v[97:98], 1.0
	v_div_scale_f64 v[107:108], vcc, 1.0, v[97:98], 1.0
	v_rcp_f64_e32 v[103:104], v[99:100]
	v_fma_f64 v[105:106], -v[99:100], v[103:104], 1.0
	v_fma_f64 v[103:104], v[103:104], v[105:106], v[103:104]
	v_fma_f64 v[105:106], -v[99:100], v[103:104], 1.0
	v_fma_f64 v[103:104], v[103:104], v[105:106], v[103:104]
	v_mul_f64 v[105:106], v[107:108], v[103:104]
	v_fma_f64 v[99:100], -v[99:100], v[105:106], v[107:108]
	v_div_fmas_f64 v[99:100], v[99:100], v[103:104], v[105:106]
	v_div_fixup_f64 v[103:104], v[99:100], v[97:98], 1.0
                                        ; implicit-def: $vgpr97_vgpr98
	v_mul_f64 v[101:102], v[101:102], v[103:104]
	v_xor_b32_e32 v104, 0x80000000, v104
.LBB39_140:
	s_andn2_saveexec_b64 s[2:3], s[2:3]
	s_cbranch_execz .LBB39_142
; %bb.141:
	v_div_scale_f64 v[101:102], s[6:7], v[97:98], v[97:98], v[99:100]
	v_rcp_f64_e32 v[103:104], v[101:102]
	v_fma_f64 v[105:106], -v[101:102], v[103:104], 1.0
	v_fma_f64 v[103:104], v[103:104], v[105:106], v[103:104]
	v_div_scale_f64 v[105:106], vcc, v[99:100], v[97:98], v[99:100]
	v_fma_f64 v[107:108], -v[101:102], v[103:104], 1.0
	v_fma_f64 v[103:104], v[103:104], v[107:108], v[103:104]
	v_mul_f64 v[107:108], v[105:106], v[103:104]
	v_fma_f64 v[101:102], -v[101:102], v[107:108], v[105:106]
	v_div_fmas_f64 v[101:102], v[101:102], v[103:104], v[107:108]
	v_div_fixup_f64 v[103:104], v[101:102], v[97:98], v[99:100]
	v_fma_f64 v[97:98], v[99:100], v[103:104], v[97:98]
	v_div_scale_f64 v[99:100], s[6:7], v[97:98], v[97:98], 1.0
	v_div_scale_f64 v[107:108], vcc, 1.0, v[97:98], 1.0
	v_rcp_f64_e32 v[101:102], v[99:100]
	v_fma_f64 v[105:106], -v[99:100], v[101:102], 1.0
	v_fma_f64 v[101:102], v[101:102], v[105:106], v[101:102]
	v_fma_f64 v[105:106], -v[99:100], v[101:102], 1.0
	v_fma_f64 v[101:102], v[101:102], v[105:106], v[101:102]
	v_mul_f64 v[105:106], v[107:108], v[101:102]
	v_fma_f64 v[99:100], -v[99:100], v[105:106], v[107:108]
	v_div_fmas_f64 v[99:100], v[99:100], v[101:102], v[105:106]
	v_div_fixup_f64 v[101:102], v[99:100], v[97:98], 1.0
	v_mul_f64 v[103:104], v[103:104], -v[101:102]
.LBB39_142:
	s_or_b64 exec, exec, s[2:3]
	ds_write2_b64 v127, v[101:102], v[103:104] offset1:1
.LBB39_143:
	s_or_b64 exec, exec, s[4:5]
	s_waitcnt lgkmcnt(0)
	s_barrier
	ds_read2_b64 v[97:100], v127 offset1:1
	v_cmp_lt_u32_e32 vcc, 15, v0
	s_and_saveexec_b64 s[2:3], vcc
	s_cbranch_execz .LBB39_145
; %bb.144:
	s_waitcnt lgkmcnt(0)
	v_mul_f64 v[101:102], v[97:98], v[15:16]
	v_mul_f64 v[15:16], v[99:100], v[15:16]
	v_fma_f64 v[105:106], v[99:100], v[13:14], v[101:102]
	ds_read2_b64 v[101:104], v125 offset0:32 offset1:33
	v_fma_f64 v[13:14], v[97:98], v[13:14], -v[15:16]
	s_waitcnt lgkmcnt(0)
	v_mul_f64 v[15:16], v[103:104], v[105:106]
	v_fma_f64 v[15:16], v[101:102], v[13:14], -v[15:16]
	v_mul_f64 v[101:102], v[101:102], v[105:106]
	v_add_f64 v[9:10], v[9:10], -v[15:16]
	v_fma_f64 v[101:102], v[103:104], v[13:14], v[101:102]
	v_add_f64 v[11:12], v[11:12], -v[101:102]
	ds_read2_b64 v[101:104], v125 offset0:34 offset1:35
	s_waitcnt lgkmcnt(0)
	v_mul_f64 v[15:16], v[103:104], v[105:106]
	v_fma_f64 v[15:16], v[101:102], v[13:14], -v[15:16]
	v_mul_f64 v[101:102], v[101:102], v[105:106]
	v_add_f64 v[5:6], v[5:6], -v[15:16]
	v_fma_f64 v[101:102], v[103:104], v[13:14], v[101:102]
	v_add_f64 v[7:8], v[7:8], -v[101:102]
	ds_read2_b64 v[101:104], v125 offset0:36 offset1:37
	;; [unrolled: 8-line block ×3, first 2 shown]
	s_waitcnt lgkmcnt(0)
	v_mul_f64 v[15:16], v[103:104], v[105:106]
	v_fma_f64 v[15:16], v[101:102], v[13:14], -v[15:16]
	v_mul_f64 v[101:102], v[101:102], v[105:106]
	v_add_f64 v[53:54], v[53:54], -v[15:16]
	v_fma_f64 v[101:102], v[103:104], v[13:14], v[101:102]
	v_mov_b32_e32 v15, v105
	v_mov_b32_e32 v16, v106
	v_add_f64 v[55:56], v[55:56], -v[101:102]
.LBB39_145:
	s_or_b64 exec, exec, s[2:3]
	v_cmp_eq_u32_e32 vcc, 16, v0
	s_waitcnt lgkmcnt(0)
	s_barrier
	s_and_saveexec_b64 s[4:5], vcc
	s_cbranch_execz .LBB39_152
; %bb.146:
	ds_write2_b64 v127, v[9:10], v[11:12] offset1:1
	ds_write2_b64 v125, v[5:6], v[7:8] offset0:34 offset1:35
	ds_write2_b64 v125, v[1:2], v[3:4] offset0:36 offset1:37
	;; [unrolled: 1-line block ×3, first 2 shown]
	ds_read2_b64 v[101:104], v127 offset1:1
	s_waitcnt lgkmcnt(0)
	v_cmp_neq_f64_e32 vcc, 0, v[101:102]
	v_cmp_neq_f64_e64 s[2:3], 0, v[103:104]
	s_or_b64 s[2:3], vcc, s[2:3]
	s_and_b64 exec, exec, s[2:3]
	s_cbranch_execz .LBB39_152
; %bb.147:
	v_cmp_ngt_f64_e64 s[2:3], |v[101:102]|, |v[103:104]|
                                        ; implicit-def: $vgpr105_vgpr106
	s_and_saveexec_b64 s[6:7], s[2:3]
	s_xor_b64 s[2:3], exec, s[6:7]
                                        ; implicit-def: $vgpr107_vgpr108
	s_cbranch_execz .LBB39_149
; %bb.148:
	v_div_scale_f64 v[105:106], s[6:7], v[103:104], v[103:104], v[101:102]
	v_rcp_f64_e32 v[107:108], v[105:106]
	v_fma_f64 v[109:110], -v[105:106], v[107:108], 1.0
	v_fma_f64 v[107:108], v[107:108], v[109:110], v[107:108]
	v_div_scale_f64 v[109:110], vcc, v[101:102], v[103:104], v[101:102]
	v_fma_f64 v[111:112], -v[105:106], v[107:108], 1.0
	v_fma_f64 v[107:108], v[107:108], v[111:112], v[107:108]
	v_mul_f64 v[111:112], v[109:110], v[107:108]
	v_fma_f64 v[105:106], -v[105:106], v[111:112], v[109:110]
	v_div_fmas_f64 v[105:106], v[105:106], v[107:108], v[111:112]
	v_div_fixup_f64 v[105:106], v[105:106], v[103:104], v[101:102]
	v_fma_f64 v[101:102], v[101:102], v[105:106], v[103:104]
	v_div_scale_f64 v[103:104], s[6:7], v[101:102], v[101:102], 1.0
	v_div_scale_f64 v[111:112], vcc, 1.0, v[101:102], 1.0
	v_rcp_f64_e32 v[107:108], v[103:104]
	v_fma_f64 v[109:110], -v[103:104], v[107:108], 1.0
	v_fma_f64 v[107:108], v[107:108], v[109:110], v[107:108]
	v_fma_f64 v[109:110], -v[103:104], v[107:108], 1.0
	v_fma_f64 v[107:108], v[107:108], v[109:110], v[107:108]
	v_mul_f64 v[109:110], v[111:112], v[107:108]
	v_fma_f64 v[103:104], -v[103:104], v[109:110], v[111:112]
	v_div_fmas_f64 v[103:104], v[103:104], v[107:108], v[109:110]
	v_div_fixup_f64 v[107:108], v[103:104], v[101:102], 1.0
                                        ; implicit-def: $vgpr101_vgpr102
	v_mul_f64 v[105:106], v[105:106], v[107:108]
	v_xor_b32_e32 v108, 0x80000000, v108
.LBB39_149:
	s_andn2_saveexec_b64 s[2:3], s[2:3]
	s_cbranch_execz .LBB39_151
; %bb.150:
	v_div_scale_f64 v[105:106], s[6:7], v[101:102], v[101:102], v[103:104]
	v_rcp_f64_e32 v[107:108], v[105:106]
	v_fma_f64 v[109:110], -v[105:106], v[107:108], 1.0
	v_fma_f64 v[107:108], v[107:108], v[109:110], v[107:108]
	v_div_scale_f64 v[109:110], vcc, v[103:104], v[101:102], v[103:104]
	v_fma_f64 v[111:112], -v[105:106], v[107:108], 1.0
	v_fma_f64 v[107:108], v[107:108], v[111:112], v[107:108]
	v_mul_f64 v[111:112], v[109:110], v[107:108]
	v_fma_f64 v[105:106], -v[105:106], v[111:112], v[109:110]
	v_div_fmas_f64 v[105:106], v[105:106], v[107:108], v[111:112]
	v_div_fixup_f64 v[107:108], v[105:106], v[101:102], v[103:104]
	v_fma_f64 v[101:102], v[103:104], v[107:108], v[101:102]
	v_div_scale_f64 v[103:104], s[6:7], v[101:102], v[101:102], 1.0
	v_div_scale_f64 v[111:112], vcc, 1.0, v[101:102], 1.0
	v_rcp_f64_e32 v[105:106], v[103:104]
	v_fma_f64 v[109:110], -v[103:104], v[105:106], 1.0
	v_fma_f64 v[105:106], v[105:106], v[109:110], v[105:106]
	v_fma_f64 v[109:110], -v[103:104], v[105:106], 1.0
	v_fma_f64 v[105:106], v[105:106], v[109:110], v[105:106]
	v_mul_f64 v[109:110], v[111:112], v[105:106]
	v_fma_f64 v[103:104], -v[103:104], v[109:110], v[111:112]
	v_div_fmas_f64 v[103:104], v[103:104], v[105:106], v[109:110]
	v_div_fixup_f64 v[105:106], v[103:104], v[101:102], 1.0
	v_mul_f64 v[107:108], v[107:108], -v[105:106]
.LBB39_151:
	s_or_b64 exec, exec, s[2:3]
	ds_write2_b64 v127, v[105:106], v[107:108] offset1:1
.LBB39_152:
	s_or_b64 exec, exec, s[4:5]
	s_waitcnt lgkmcnt(0)
	s_barrier
	ds_read2_b64 v[101:104], v127 offset1:1
	v_cmp_lt_u32_e32 vcc, 16, v0
	s_and_saveexec_b64 s[2:3], vcc
	s_cbranch_execz .LBB39_154
; %bb.153:
	s_waitcnt lgkmcnt(0)
	v_mul_f64 v[105:106], v[101:102], v[11:12]
	v_mul_f64 v[11:12], v[103:104], v[11:12]
	v_fma_f64 v[109:110], v[103:104], v[9:10], v[105:106]
	ds_read2_b64 v[105:108], v125 offset0:34 offset1:35
	v_fma_f64 v[9:10], v[101:102], v[9:10], -v[11:12]
	s_waitcnt lgkmcnt(0)
	v_mul_f64 v[11:12], v[107:108], v[109:110]
	v_fma_f64 v[11:12], v[105:106], v[9:10], -v[11:12]
	v_mul_f64 v[105:106], v[105:106], v[109:110]
	v_add_f64 v[5:6], v[5:6], -v[11:12]
	v_fma_f64 v[105:106], v[107:108], v[9:10], v[105:106]
	v_add_f64 v[7:8], v[7:8], -v[105:106]
	ds_read2_b64 v[105:108], v125 offset0:36 offset1:37
	s_waitcnt lgkmcnt(0)
	v_mul_f64 v[11:12], v[107:108], v[109:110]
	v_fma_f64 v[11:12], v[105:106], v[9:10], -v[11:12]
	v_mul_f64 v[105:106], v[105:106], v[109:110]
	v_add_f64 v[1:2], v[1:2], -v[11:12]
	v_fma_f64 v[105:106], v[107:108], v[9:10], v[105:106]
	v_add_f64 v[3:4], v[3:4], -v[105:106]
	ds_read2_b64 v[105:108], v125 offset0:38 offset1:39
	s_waitcnt lgkmcnt(0)
	v_mul_f64 v[11:12], v[107:108], v[109:110]
	v_fma_f64 v[11:12], v[105:106], v[9:10], -v[11:12]
	v_mul_f64 v[105:106], v[105:106], v[109:110]
	v_add_f64 v[53:54], v[53:54], -v[11:12]
	v_fma_f64 v[105:106], v[107:108], v[9:10], v[105:106]
	v_mov_b32_e32 v11, v109
	v_mov_b32_e32 v12, v110
	v_add_f64 v[55:56], v[55:56], -v[105:106]
.LBB39_154:
	s_or_b64 exec, exec, s[2:3]
	v_cmp_eq_u32_e32 vcc, 17, v0
	s_waitcnt lgkmcnt(0)
	s_barrier
	s_and_saveexec_b64 s[4:5], vcc
	s_cbranch_execz .LBB39_161
; %bb.155:
	ds_write2_b64 v127, v[5:6], v[7:8] offset1:1
	ds_write2_b64 v125, v[1:2], v[3:4] offset0:36 offset1:37
	ds_write2_b64 v125, v[53:54], v[55:56] offset0:38 offset1:39
	ds_read2_b64 v[105:108], v127 offset1:1
	s_waitcnt lgkmcnt(0)
	v_cmp_neq_f64_e32 vcc, 0, v[105:106]
	v_cmp_neq_f64_e64 s[2:3], 0, v[107:108]
	s_or_b64 s[2:3], vcc, s[2:3]
	s_and_b64 exec, exec, s[2:3]
	s_cbranch_execz .LBB39_161
; %bb.156:
	v_cmp_ngt_f64_e64 s[2:3], |v[105:106]|, |v[107:108]|
                                        ; implicit-def: $vgpr109_vgpr110
	s_and_saveexec_b64 s[6:7], s[2:3]
	s_xor_b64 s[2:3], exec, s[6:7]
                                        ; implicit-def: $vgpr111_vgpr112
	s_cbranch_execz .LBB39_158
; %bb.157:
	v_div_scale_f64 v[109:110], s[6:7], v[107:108], v[107:108], v[105:106]
	v_rcp_f64_e32 v[111:112], v[109:110]
	v_fma_f64 v[113:114], -v[109:110], v[111:112], 1.0
	v_fma_f64 v[111:112], v[111:112], v[113:114], v[111:112]
	v_div_scale_f64 v[113:114], vcc, v[105:106], v[107:108], v[105:106]
	v_fma_f64 v[115:116], -v[109:110], v[111:112], 1.0
	v_fma_f64 v[111:112], v[111:112], v[115:116], v[111:112]
	v_mul_f64 v[115:116], v[113:114], v[111:112]
	v_fma_f64 v[109:110], -v[109:110], v[115:116], v[113:114]
	v_div_fmas_f64 v[109:110], v[109:110], v[111:112], v[115:116]
	v_div_fixup_f64 v[109:110], v[109:110], v[107:108], v[105:106]
	v_fma_f64 v[105:106], v[105:106], v[109:110], v[107:108]
	v_div_scale_f64 v[107:108], s[6:7], v[105:106], v[105:106], 1.0
	v_div_scale_f64 v[115:116], vcc, 1.0, v[105:106], 1.0
	v_rcp_f64_e32 v[111:112], v[107:108]
	v_fma_f64 v[113:114], -v[107:108], v[111:112], 1.0
	v_fma_f64 v[111:112], v[111:112], v[113:114], v[111:112]
	v_fma_f64 v[113:114], -v[107:108], v[111:112], 1.0
	v_fma_f64 v[111:112], v[111:112], v[113:114], v[111:112]
	v_mul_f64 v[113:114], v[115:116], v[111:112]
	v_fma_f64 v[107:108], -v[107:108], v[113:114], v[115:116]
	v_div_fmas_f64 v[107:108], v[107:108], v[111:112], v[113:114]
	v_div_fixup_f64 v[111:112], v[107:108], v[105:106], 1.0
                                        ; implicit-def: $vgpr105_vgpr106
	v_mul_f64 v[109:110], v[109:110], v[111:112]
	v_xor_b32_e32 v112, 0x80000000, v112
.LBB39_158:
	s_andn2_saveexec_b64 s[2:3], s[2:3]
	s_cbranch_execz .LBB39_160
; %bb.159:
	v_div_scale_f64 v[109:110], s[6:7], v[105:106], v[105:106], v[107:108]
	v_rcp_f64_e32 v[111:112], v[109:110]
	v_fma_f64 v[113:114], -v[109:110], v[111:112], 1.0
	v_fma_f64 v[111:112], v[111:112], v[113:114], v[111:112]
	v_div_scale_f64 v[113:114], vcc, v[107:108], v[105:106], v[107:108]
	v_fma_f64 v[115:116], -v[109:110], v[111:112], 1.0
	v_fma_f64 v[111:112], v[111:112], v[115:116], v[111:112]
	v_mul_f64 v[115:116], v[113:114], v[111:112]
	v_fma_f64 v[109:110], -v[109:110], v[115:116], v[113:114]
	v_div_fmas_f64 v[109:110], v[109:110], v[111:112], v[115:116]
	v_div_fixup_f64 v[111:112], v[109:110], v[105:106], v[107:108]
	v_fma_f64 v[105:106], v[107:108], v[111:112], v[105:106]
	v_div_scale_f64 v[107:108], s[6:7], v[105:106], v[105:106], 1.0
	v_div_scale_f64 v[115:116], vcc, 1.0, v[105:106], 1.0
	v_rcp_f64_e32 v[109:110], v[107:108]
	v_fma_f64 v[113:114], -v[107:108], v[109:110], 1.0
	v_fma_f64 v[109:110], v[109:110], v[113:114], v[109:110]
	v_fma_f64 v[113:114], -v[107:108], v[109:110], 1.0
	v_fma_f64 v[109:110], v[109:110], v[113:114], v[109:110]
	v_mul_f64 v[113:114], v[115:116], v[109:110]
	v_fma_f64 v[107:108], -v[107:108], v[113:114], v[115:116]
	v_div_fmas_f64 v[107:108], v[107:108], v[109:110], v[113:114]
	v_div_fixup_f64 v[109:110], v[107:108], v[105:106], 1.0
	v_mul_f64 v[111:112], v[111:112], -v[109:110]
.LBB39_160:
	s_or_b64 exec, exec, s[2:3]
	ds_write2_b64 v127, v[109:110], v[111:112] offset1:1
.LBB39_161:
	s_or_b64 exec, exec, s[4:5]
	s_waitcnt lgkmcnt(0)
	s_barrier
	ds_read2_b64 v[109:112], v127 offset1:1
	v_cmp_lt_u32_e32 vcc, 17, v0
	s_and_saveexec_b64 s[2:3], vcc
	s_cbranch_execz .LBB39_163
; %bb.162:
	s_waitcnt lgkmcnt(0)
	v_mul_f64 v[105:106], v[109:110], v[7:8]
	v_mul_f64 v[7:8], v[111:112], v[7:8]
	v_fma_f64 v[113:114], v[111:112], v[5:6], v[105:106]
	ds_read2_b64 v[105:108], v125 offset0:36 offset1:37
	v_fma_f64 v[5:6], v[109:110], v[5:6], -v[7:8]
	s_waitcnt lgkmcnt(0)
	v_mul_f64 v[7:8], v[107:108], v[113:114]
	v_fma_f64 v[7:8], v[105:106], v[5:6], -v[7:8]
	v_mul_f64 v[105:106], v[105:106], v[113:114]
	v_add_f64 v[1:2], v[1:2], -v[7:8]
	v_fma_f64 v[105:106], v[107:108], v[5:6], v[105:106]
	v_add_f64 v[3:4], v[3:4], -v[105:106]
	ds_read2_b64 v[105:108], v125 offset0:38 offset1:39
	s_waitcnt lgkmcnt(0)
	v_mul_f64 v[7:8], v[107:108], v[113:114]
	v_fma_f64 v[7:8], v[105:106], v[5:6], -v[7:8]
	v_mul_f64 v[105:106], v[105:106], v[113:114]
	v_add_f64 v[53:54], v[53:54], -v[7:8]
	v_fma_f64 v[105:106], v[107:108], v[5:6], v[105:106]
	v_mov_b32_e32 v7, v113
	v_mov_b32_e32 v8, v114
	v_add_f64 v[55:56], v[55:56], -v[105:106]
.LBB39_163:
	s_or_b64 exec, exec, s[2:3]
	v_cmp_eq_u32_e32 vcc, 18, v0
	s_waitcnt lgkmcnt(0)
	s_barrier
	s_and_saveexec_b64 s[4:5], vcc
	s_cbranch_execz .LBB39_170
; %bb.164:
	ds_write2_b64 v127, v[1:2], v[3:4] offset1:1
	ds_write2_b64 v125, v[53:54], v[55:56] offset0:38 offset1:39
	ds_read2_b64 v[105:108], v127 offset1:1
	s_waitcnt lgkmcnt(0)
	v_cmp_neq_f64_e32 vcc, 0, v[105:106]
	v_cmp_neq_f64_e64 s[2:3], 0, v[107:108]
	s_or_b64 s[2:3], vcc, s[2:3]
	s_and_b64 exec, exec, s[2:3]
	s_cbranch_execz .LBB39_170
; %bb.165:
	v_cmp_ngt_f64_e64 s[2:3], |v[105:106]|, |v[107:108]|
                                        ; implicit-def: $vgpr113_vgpr114
	s_and_saveexec_b64 s[6:7], s[2:3]
	s_xor_b64 s[2:3], exec, s[6:7]
                                        ; implicit-def: $vgpr115_vgpr116
	s_cbranch_execz .LBB39_167
; %bb.166:
	v_div_scale_f64 v[113:114], s[6:7], v[107:108], v[107:108], v[105:106]
	v_mov_b32_e32 v81, v119
	v_mov_b32_e32 v82, v120
	v_rcp_f64_e32 v[115:116], v[113:114]
	v_fma_f64 v[117:118], -v[113:114], v[115:116], 1.0
	v_fma_f64 v[115:116], v[115:116], v[117:118], v[115:116]
	v_div_scale_f64 v[117:118], vcc, v[105:106], v[107:108], v[105:106]
	v_fma_f64 v[119:120], -v[113:114], v[115:116], 1.0
	v_fma_f64 v[115:116], v[115:116], v[119:120], v[115:116]
	v_mul_f64 v[119:120], v[117:118], v[115:116]
	v_fma_f64 v[113:114], -v[113:114], v[119:120], v[117:118]
	v_div_fmas_f64 v[113:114], v[113:114], v[115:116], v[119:120]
	v_div_fixup_f64 v[113:114], v[113:114], v[107:108], v[105:106]
	v_fma_f64 v[105:106], v[105:106], v[113:114], v[107:108]
	v_div_scale_f64 v[107:108], s[6:7], v[105:106], v[105:106], 1.0
	v_div_scale_f64 v[119:120], vcc, 1.0, v[105:106], 1.0
	v_rcp_f64_e32 v[115:116], v[107:108]
	v_fma_f64 v[117:118], -v[107:108], v[115:116], 1.0
	v_fma_f64 v[115:116], v[115:116], v[117:118], v[115:116]
	v_fma_f64 v[117:118], -v[107:108], v[115:116], 1.0
	v_fma_f64 v[115:116], v[115:116], v[117:118], v[115:116]
	v_mul_f64 v[117:118], v[119:120], v[115:116]
	v_fma_f64 v[107:108], -v[107:108], v[117:118], v[119:120]
	v_mov_b32_e32 v120, v82
	v_mov_b32_e32 v119, v81
	v_div_fmas_f64 v[107:108], v[107:108], v[115:116], v[117:118]
	v_div_fixup_f64 v[115:116], v[107:108], v[105:106], 1.0
                                        ; implicit-def: $vgpr105_vgpr106
	v_mul_f64 v[113:114], v[113:114], v[115:116]
	v_xor_b32_e32 v116, 0x80000000, v116
.LBB39_167:
	s_andn2_saveexec_b64 s[2:3], s[2:3]
	s_cbranch_execz .LBB39_169
; %bb.168:
	v_div_scale_f64 v[113:114], s[6:7], v[105:106], v[105:106], v[107:108]
	v_mov_b32_e32 v81, v119
	v_mov_b32_e32 v82, v120
	v_rcp_f64_e32 v[115:116], v[113:114]
	v_fma_f64 v[117:118], -v[113:114], v[115:116], 1.0
	v_fma_f64 v[115:116], v[115:116], v[117:118], v[115:116]
	v_div_scale_f64 v[117:118], vcc, v[107:108], v[105:106], v[107:108]
	v_fma_f64 v[119:120], -v[113:114], v[115:116], 1.0
	v_fma_f64 v[115:116], v[115:116], v[119:120], v[115:116]
	v_mul_f64 v[119:120], v[117:118], v[115:116]
	v_fma_f64 v[113:114], -v[113:114], v[119:120], v[117:118]
	v_div_fmas_f64 v[113:114], v[113:114], v[115:116], v[119:120]
	v_div_fixup_f64 v[115:116], v[113:114], v[105:106], v[107:108]
	v_fma_f64 v[105:106], v[107:108], v[115:116], v[105:106]
	v_div_scale_f64 v[107:108], s[6:7], v[105:106], v[105:106], 1.0
	v_div_scale_f64 v[119:120], vcc, 1.0, v[105:106], 1.0
	v_rcp_f64_e32 v[113:114], v[107:108]
	v_fma_f64 v[117:118], -v[107:108], v[113:114], 1.0
	v_fma_f64 v[113:114], v[113:114], v[117:118], v[113:114]
	v_fma_f64 v[117:118], -v[107:108], v[113:114], 1.0
	v_fma_f64 v[113:114], v[113:114], v[117:118], v[113:114]
	v_mul_f64 v[117:118], v[119:120], v[113:114]
	v_fma_f64 v[107:108], -v[107:108], v[117:118], v[119:120]
	v_mov_b32_e32 v120, v82
	v_mov_b32_e32 v119, v81
	v_div_fmas_f64 v[107:108], v[107:108], v[113:114], v[117:118]
	v_div_fixup_f64 v[113:114], v[107:108], v[105:106], 1.0
	v_mul_f64 v[115:116], v[115:116], -v[113:114]
.LBB39_169:
	s_or_b64 exec, exec, s[2:3]
	ds_write2_b64 v127, v[113:114], v[115:116] offset1:1
.LBB39_170:
	s_or_b64 exec, exec, s[4:5]
	s_waitcnt lgkmcnt(0)
	s_barrier
	ds_read2_b64 v[113:116], v127 offset1:1
	v_cmp_lt_u32_e32 vcc, 18, v0
	s_and_saveexec_b64 s[2:3], vcc
	s_cbranch_execz .LBB39_172
; %bb.171:
	s_waitcnt lgkmcnt(0)
	v_mul_f64 v[105:106], v[113:114], v[3:4]
	v_mul_f64 v[3:4], v[115:116], v[3:4]
	v_fma_f64 v[117:118], v[115:116], v[1:2], v[105:106]
	ds_read2_b64 v[105:108], v125 offset0:38 offset1:39
	v_fma_f64 v[1:2], v[113:114], v[1:2], -v[3:4]
	s_waitcnt lgkmcnt(0)
	v_mul_f64 v[3:4], v[107:108], v[117:118]
	v_fma_f64 v[3:4], v[105:106], v[1:2], -v[3:4]
	v_mul_f64 v[105:106], v[105:106], v[117:118]
	v_add_f64 v[53:54], v[53:54], -v[3:4]
	v_fma_f64 v[105:106], v[107:108], v[1:2], v[105:106]
	v_mov_b32_e32 v3, v117
	v_mov_b32_e32 v4, v118
	v_add_f64 v[55:56], v[55:56], -v[105:106]
.LBB39_172:
	s_or_b64 exec, exec, s[2:3]
	v_cmp_eq_u32_e32 vcc, 19, v0
	s_waitcnt lgkmcnt(0)
	s_barrier
	s_and_saveexec_b64 s[4:5], vcc
	s_cbranch_execz .LBB39_179
; %bb.173:
	v_cmp_neq_f64_e32 vcc, 0, v[53:54]
	v_cmp_neq_f64_e64 s[2:3], 0, v[55:56]
	ds_write2_b64 v127, v[53:54], v[55:56] offset1:1
	s_or_b64 s[2:3], vcc, s[2:3]
	s_and_b64 exec, exec, s[2:3]
	s_cbranch_execz .LBB39_179
; %bb.174:
	v_cmp_ngt_f64_e64 s[2:3], |v[53:54]|, |v[55:56]|
                                        ; implicit-def: $vgpr105_vgpr106
	s_and_saveexec_b64 s[6:7], s[2:3]
	s_xor_b64 s[2:3], exec, s[6:7]
                                        ; implicit-def: $vgpr107_vgpr108
	s_cbranch_execz .LBB39_176
; %bb.175:
	v_div_scale_f64 v[105:106], s[6:7], v[55:56], v[55:56], v[53:54]
	v_mov_b32_e32 v85, v119
	v_mov_b32_e32 v86, v120
	;; [unrolled: 1-line block ×6, first 2 shown]
	v_rcp_f64_e32 v[107:108], v[105:106]
	v_fma_f64 v[117:118], -v[105:106], v[107:108], 1.0
	v_fma_f64 v[107:108], v[107:108], v[117:118], v[107:108]
	v_div_scale_f64 v[117:118], vcc, v[53:54], v[55:56], v[53:54]
	v_fma_f64 v[119:120], -v[105:106], v[107:108], 1.0
	v_fma_f64 v[107:108], v[107:108], v[119:120], v[107:108]
	v_mul_f64 v[119:120], v[117:118], v[107:108]
	v_fma_f64 v[105:106], -v[105:106], v[119:120], v[117:118]
	v_div_fmas_f64 v[105:106], v[105:106], v[107:108], v[119:120]
	v_div_fixup_f64 v[105:106], v[105:106], v[55:56], v[53:54]
	v_fma_f64 v[107:108], v[53:54], v[105:106], v[55:56]
	v_div_scale_f64 v[117:118], s[6:7], v[107:108], v[107:108], 1.0
	v_div_scale_f64 v[121:122], vcc, 1.0, v[107:108], 1.0
	v_rcp_f64_e32 v[119:120], v[117:118]
	v_fma_f64 v[125:126], -v[117:118], v[119:120], 1.0
	v_fma_f64 v[119:120], v[119:120], v[125:126], v[119:120]
	v_fma_f64 v[125:126], -v[117:118], v[119:120], 1.0
	v_fma_f64 v[119:120], v[119:120], v[125:126], v[119:120]
	v_mul_f64 v[123:124], v[121:122], v[119:120]
	v_fma_f64 v[117:118], -v[117:118], v[123:124], v[121:122]
	v_mov_b32_e32 v122, v82
	v_mov_b32_e32 v121, v81
	v_div_fmas_f64 v[117:118], v[117:118], v[119:120], v[123:124]
	v_mov_b32_e32 v120, v86
	v_mov_b32_e32 v124, v84
	;; [unrolled: 1-line block ×4, first 2 shown]
	v_div_fixup_f64 v[107:108], v[117:118], v[107:108], 1.0
	v_mul_f64 v[105:106], v[105:106], v[107:108]
	v_xor_b32_e32 v108, 0x80000000, v108
.LBB39_176:
	s_andn2_saveexec_b64 s[2:3], s[2:3]
	s_cbranch_execz .LBB39_178
; %bb.177:
	v_div_scale_f64 v[105:106], s[6:7], v[53:54], v[53:54], v[55:56]
	v_mov_b32_e32 v83, v119
	v_mov_b32_e32 v84, v120
	;; [unrolled: 1-line block ×6, first 2 shown]
	v_rcp_f64_e32 v[107:108], v[105:106]
	v_fma_f64 v[117:118], -v[105:106], v[107:108], 1.0
	v_fma_f64 v[107:108], v[107:108], v[117:118], v[107:108]
	v_div_scale_f64 v[117:118], vcc, v[55:56], v[53:54], v[55:56]
	v_fma_f64 v[119:120], -v[105:106], v[107:108], 1.0
	v_fma_f64 v[107:108], v[107:108], v[119:120], v[107:108]
	v_mul_f64 v[119:120], v[117:118], v[107:108]
	v_fma_f64 v[105:106], -v[105:106], v[119:120], v[117:118]
	v_div_fmas_f64 v[105:106], v[105:106], v[107:108], v[119:120]
	v_div_fixup_f64 v[107:108], v[105:106], v[53:54], v[55:56]
	v_fma_f64 v[105:106], v[55:56], v[107:108], v[53:54]
	v_div_scale_f64 v[117:118], s[6:7], v[105:106], v[105:106], 1.0
	v_div_scale_f64 v[123:124], vcc, 1.0, v[105:106], 1.0
	v_rcp_f64_e32 v[119:120], v[117:118]
	v_fma_f64 v[121:122], -v[117:118], v[119:120], 1.0
	v_fma_f64 v[119:120], v[119:120], v[121:122], v[119:120]
	v_fma_f64 v[121:122], -v[117:118], v[119:120], 1.0
	v_fma_f64 v[119:120], v[119:120], v[121:122], v[119:120]
	v_mul_f64 v[121:122], v[123:124], v[119:120]
	v_fma_f64 v[117:118], -v[117:118], v[121:122], v[123:124]
	v_mov_b32_e32 v124, v82
	v_mov_b32_e32 v123, v81
	v_div_fmas_f64 v[117:118], v[117:118], v[119:120], v[121:122]
	v_mov_b32_e32 v120, v84
	v_mov_b32_e32 v121, v125
	;; [unrolled: 1-line block ×4, first 2 shown]
	v_div_fixup_f64 v[105:106], v[117:118], v[105:106], 1.0
	v_mul_f64 v[107:108], v[107:108], -v[105:106]
.LBB39_178:
	s_or_b64 exec, exec, s[2:3]
	ds_write2_b64 v127, v[105:106], v[107:108] offset1:1
.LBB39_179:
	s_or_b64 exec, exec, s[4:5]
	s_waitcnt lgkmcnt(0)
	s_barrier
	ds_read2_b64 v[105:108], v127 offset1:1
	s_waitcnt lgkmcnt(0)
	s_barrier
	s_and_saveexec_b64 s[2:3], s[0:1]
	s_cbranch_execz .LBB39_182
; %bb.180:
	buffer_load_dword v81, off, s[20:23], 0 offset:152 ; 4-byte Folded Reload
	buffer_load_dword v82, off, s[20:23], 0 offset:156 ; 4-byte Folded Reload
	;; [unrolled: 1-line block ×4, first 2 shown]
	s_waitcnt vmcnt(2)
	v_cmp_eq_f64_e32 vcc, 0, v[81:82]
	s_waitcnt vmcnt(0)
	v_cmp_eq_f64_e64 s[0:1], 0, v[83:84]
	buffer_load_dword v81, off, s[20:23], 0 offset:168 ; 4-byte Folded Reload
	buffer_load_dword v82, off, s[20:23], 0 offset:172 ; 4-byte Folded Reload
	;; [unrolled: 1-line block ×4, first 2 shown]
	s_and_b64 s[4:5], vcc, s[0:1]
	v_cndmask_b32_e64 v117, 0, 1, s[4:5]
	s_waitcnt vmcnt(2)
	v_cmp_neq_f64_e32 vcc, 0, v[81:82]
	s_waitcnt vmcnt(0)
	v_cmp_neq_f64_e64 s[0:1], 0, v[83:84]
	buffer_load_dword v81, off, s[20:23], 0 offset:184 ; 4-byte Folded Reload
	buffer_load_dword v82, off, s[20:23], 0 offset:188 ; 4-byte Folded Reload
	;; [unrolled: 1-line block ×4, first 2 shown]
	s_or_b64 s[0:1], vcc, s[0:1]
	s_or_b64 vcc, s[0:1], s[4:5]
	v_cndmask_b32_e32 v117, 2, v117, vcc
	s_waitcnt vmcnt(2)
	v_cmp_eq_f64_e32 vcc, 0, v[81:82]
	s_waitcnt vmcnt(0)
	v_cmp_eq_f64_e64 s[0:1], 0, v[83:84]
	buffer_load_dword v81, off, s[20:23], 0 offset:200 ; 4-byte Folded Reload
	buffer_load_dword v82, off, s[20:23], 0 offset:204 ; 4-byte Folded Reload
	buffer_load_dword v83, off, s[20:23], 0 offset:208 ; 4-byte Folded Reload
	buffer_load_dword v84, off, s[20:23], 0 offset:212 ; 4-byte Folded Reload
	s_and_b64 s[0:1], vcc, s[0:1]
	v_cmp_eq_u32_e32 vcc, 0, v117
	s_and_b64 s[0:1], s[0:1], vcc
	v_cndmask_b32_e64 v117, v117, 3, s[0:1]
	s_waitcnt vmcnt(2)
	v_cmp_eq_f64_e32 vcc, 0, v[81:82]
	s_waitcnt vmcnt(0)
	v_cmp_eq_f64_e64 s[0:1], 0, v[83:84]
	buffer_load_dword v81, off, s[20:23], 0 offset:216 ; 4-byte Folded Reload
	buffer_load_dword v82, off, s[20:23], 0 offset:220 ; 4-byte Folded Reload
	buffer_load_dword v83, off, s[20:23], 0 offset:224 ; 4-byte Folded Reload
	buffer_load_dword v84, off, s[20:23], 0 offset:228 ; 4-byte Folded Reload
	s_and_b64 s[0:1], vcc, s[0:1]
	v_cmp_eq_u32_e32 vcc, 0, v117
	s_and_b64 s[0:1], s[0:1], vcc
	v_cndmask_b32_e64 v117, v117, 4, s[0:1]
	;; [unrolled: 12-line block ×9, first 2 shown]
	s_waitcnt vmcnt(2)
	v_cmp_eq_f64_e32 vcc, 0, v[81:82]
	s_waitcnt vmcnt(0)
	v_cmp_eq_f64_e64 s[0:1], 0, v[83:84]
	v_mov_b32_e32 v84, s11
	s_and_b64 s[0:1], vcc, s[0:1]
	v_cmp_eq_u32_e32 vcc, 0, v117
	s_and_b64 s[0:1], s[0:1], vcc
	v_cndmask_b32_e64 v81, v117, 12, s[0:1]
	v_cmp_eq_f64_e32 vcc, 0, v[77:78]
	v_cmp_eq_f64_e64 s[0:1], 0, v[79:80]
	s_and_b64 s[0:1], vcc, s[0:1]
	v_cmp_eq_u32_e32 vcc, 0, v81
	s_and_b64 s[0:1], s[0:1], vcc
	v_cndmask_b32_e64 v81, v81, 13, s[0:1]
	v_cmp_eq_f64_e32 vcc, 0, v[87:88]
	v_cmp_eq_f64_e64 s[0:1], 0, v[89:90]
	;; [unrolled: 6-line block ×8, first 2 shown]
	s_and_b64 s[0:1], vcc, s[0:1]
	v_cmp_eq_u32_e32 vcc, 0, v81
	s_and_b64 s[0:1], s[0:1], vcc
	v_cndmask_b32_e64 v83, v81, 20, s[0:1]
	buffer_load_dword v81, off, s[20:23], 0 offset:344 ; 4-byte Folded Reload
	buffer_load_dword v82, off, s[20:23], 0 offset:348 ; 4-byte Folded Reload
	v_cmp_ne_u32_e64 s[0:1], 0, v83
	s_waitcnt vmcnt(0)
	v_lshlrev_b64 v[81:82], 2, v[81:82]
	v_add_co_u32_e32 v81, vcc, s10, v81
	v_addc_co_u32_e32 v82, vcc, v84, v82, vcc
	global_load_dword v84, v[81:82], off
	s_waitcnt vmcnt(0)
	v_cmp_eq_u32_e32 vcc, 0, v84
	s_and_b64 s[0:1], vcc, s[0:1]
	s_and_b64 exec, exec, s[0:1]
	s_cbranch_execz .LBB39_182
; %bb.181:
	v_add_u32_e32 v83, s13, v83
	global_store_dword v[81:82], v83, off
.LBB39_182:
	s_or_b64 exec, exec, s[2:3]
	buffer_load_dword v81, off, s[20:23], 0 offset:144 ; 4-byte Folded Reload
	buffer_load_dword v82, off, s[20:23], 0 offset:148 ; 4-byte Folded Reload
	buffer_load_dword v77, off, s[20:23], 0 ; 4-byte Folded Reload
	buffer_load_dword v78, off, s[20:23], 0 offset:4 ; 4-byte Folded Reload
	buffer_load_dword v79, off, s[20:23], 0 offset:8 ; 4-byte Folded Reload
	;; [unrolled: 1-line block ×3, first 2 shown]
	v_cmp_lt_u32_e32 vcc, 19, v0
	s_waitcnt vmcnt(0)
	global_store_dwordx4 v[81:82], v[77:80], off
	buffer_load_dword v81, off, s[20:23], 0 offset:136 ; 4-byte Folded Reload
	s_nop 0
	buffer_load_dword v82, off, s[20:23], 0 offset:140 ; 4-byte Folded Reload
	v_mul_f64 v[77:78], v[105:106], v[55:56]
	v_mul_f64 v[79:80], v[107:108], v[55:56]
	s_waitcnt vmcnt(0)
	global_store_dwordx4 v[81:82], v[73:76], off
	global_store_dwordx4 v[121:122], v[69:72], off
	;; [unrolled: 1-line block ×4, first 2 shown]
	buffer_load_dword v61, off, s[20:23], 0 offset:16 ; 4-byte Folded Reload
	s_nop 0
	buffer_load_dword v62, off, s[20:23], 0 offset:20 ; 4-byte Folded Reload
	v_fma_f64 v[69:70], v[107:108], v[53:54], v[77:78]
	v_fma_f64 v[65:66], v[105:106], v[53:54], -v[79:80]
	s_waitcnt vmcnt(0)
	global_store_dwordx4 v[61:62], v[57:60], off
	buffer_load_dword v57, off, s[20:23], 0 offset:24 ; 4-byte Folded Reload
	s_nop 0
	buffer_load_dword v58, off, s[20:23], 0 offset:28 ; 4-byte Folded Reload
	s_waitcnt vmcnt(0)
	global_store_dwordx4 v[57:58], v[49:52], off
	buffer_load_dword v49, off, s[20:23], 0 offset:32 ; 4-byte Folded Reload
	s_nop 0
	buffer_load_dword v50, off, s[20:23], 0 offset:36 ; 4-byte Folded Reload
	;; [unrolled: 5-line block ×3, first 2 shown]
	v_cndmask_b32_e32 v48, v56, v70, vcc
	v_cndmask_b32_e32 v47, v55, v69, vcc
	;; [unrolled: 1-line block ×4, first 2 shown]
	s_waitcnt vmcnt(0)
	global_store_dwordx4 v[49:50], v[41:44], off
	buffer_load_dword v41, off, s[20:23], 0 offset:48 ; 4-byte Folded Reload
	s_nop 0
	buffer_load_dword v42, off, s[20:23], 0 offset:52 ; 4-byte Folded Reload
	s_waitcnt vmcnt(0)
	global_store_dwordx4 v[41:42], v[37:40], off
	buffer_load_dword v37, off, s[20:23], 0 offset:56 ; 4-byte Folded Reload
	s_nop 0
	buffer_load_dword v38, off, s[20:23], 0 offset:60 ; 4-byte Folded Reload
	;; [unrolled: 5-line block ×11, first 2 shown]
	s_waitcnt vmcnt(0)
	global_store_dwordx4 v[0:1], v[45:48], off
.LBB39_183:
	s_endpgm
	.section	.rodata,"a",@progbits
	.p2align	6, 0x0
	.amdhsa_kernel _ZN9rocsolver6v33100L23getf2_npvt_small_kernelILi20E19rocblas_complex_numIdEiiPS3_EEvT1_T3_lS5_lPT2_S5_S5_
		.amdhsa_group_segment_fixed_size 0
		.amdhsa_private_segment_fixed_size 356
		.amdhsa_kernarg_size 312
		.amdhsa_user_sgpr_count 6
		.amdhsa_user_sgpr_private_segment_buffer 1
		.amdhsa_user_sgpr_dispatch_ptr 0
		.amdhsa_user_sgpr_queue_ptr 0
		.amdhsa_user_sgpr_kernarg_segment_ptr 1
		.amdhsa_user_sgpr_dispatch_id 0
		.amdhsa_user_sgpr_flat_scratch_init 0
		.amdhsa_user_sgpr_private_segment_size 0
		.amdhsa_uses_dynamic_stack 0
		.amdhsa_system_sgpr_private_segment_wavefront_offset 1
		.amdhsa_system_sgpr_workgroup_id_x 1
		.amdhsa_system_sgpr_workgroup_id_y 1
		.amdhsa_system_sgpr_workgroup_id_z 0
		.amdhsa_system_sgpr_workgroup_info 0
		.amdhsa_system_vgpr_workitem_id 1
		.amdhsa_next_free_vgpr 128
		.amdhsa_next_free_sgpr 24
		.amdhsa_reserve_vcc 1
		.amdhsa_reserve_flat_scratch 0
		.amdhsa_float_round_mode_32 0
		.amdhsa_float_round_mode_16_64 0
		.amdhsa_float_denorm_mode_32 3
		.amdhsa_float_denorm_mode_16_64 3
		.amdhsa_dx10_clamp 1
		.amdhsa_ieee_mode 1
		.amdhsa_fp16_overflow 0
		.amdhsa_exception_fp_ieee_invalid_op 0
		.amdhsa_exception_fp_denorm_src 0
		.amdhsa_exception_fp_ieee_div_zero 0
		.amdhsa_exception_fp_ieee_overflow 0
		.amdhsa_exception_fp_ieee_underflow 0
		.amdhsa_exception_fp_ieee_inexact 0
		.amdhsa_exception_int_div_zero 0
	.end_amdhsa_kernel
	.section	.text._ZN9rocsolver6v33100L23getf2_npvt_small_kernelILi20E19rocblas_complex_numIdEiiPS3_EEvT1_T3_lS5_lPT2_S5_S5_,"axG",@progbits,_ZN9rocsolver6v33100L23getf2_npvt_small_kernelILi20E19rocblas_complex_numIdEiiPS3_EEvT1_T3_lS5_lPT2_S5_S5_,comdat
.Lfunc_end39:
	.size	_ZN9rocsolver6v33100L23getf2_npvt_small_kernelILi20E19rocblas_complex_numIdEiiPS3_EEvT1_T3_lS5_lPT2_S5_S5_, .Lfunc_end39-_ZN9rocsolver6v33100L23getf2_npvt_small_kernelILi20E19rocblas_complex_numIdEiiPS3_EEvT1_T3_lS5_lPT2_S5_S5_
                                        ; -- End function
	.set _ZN9rocsolver6v33100L23getf2_npvt_small_kernelILi20E19rocblas_complex_numIdEiiPS3_EEvT1_T3_lS5_lPT2_S5_S5_.num_vgpr, 128
	.set _ZN9rocsolver6v33100L23getf2_npvt_small_kernelILi20E19rocblas_complex_numIdEiiPS3_EEvT1_T3_lS5_lPT2_S5_S5_.num_agpr, 0
	.set _ZN9rocsolver6v33100L23getf2_npvt_small_kernelILi20E19rocblas_complex_numIdEiiPS3_EEvT1_T3_lS5_lPT2_S5_S5_.numbered_sgpr, 24
	.set _ZN9rocsolver6v33100L23getf2_npvt_small_kernelILi20E19rocblas_complex_numIdEiiPS3_EEvT1_T3_lS5_lPT2_S5_S5_.num_named_barrier, 0
	.set _ZN9rocsolver6v33100L23getf2_npvt_small_kernelILi20E19rocblas_complex_numIdEiiPS3_EEvT1_T3_lS5_lPT2_S5_S5_.private_seg_size, 356
	.set _ZN9rocsolver6v33100L23getf2_npvt_small_kernelILi20E19rocblas_complex_numIdEiiPS3_EEvT1_T3_lS5_lPT2_S5_S5_.uses_vcc, 1
	.set _ZN9rocsolver6v33100L23getf2_npvt_small_kernelILi20E19rocblas_complex_numIdEiiPS3_EEvT1_T3_lS5_lPT2_S5_S5_.uses_flat_scratch, 0
	.set _ZN9rocsolver6v33100L23getf2_npvt_small_kernelILi20E19rocblas_complex_numIdEiiPS3_EEvT1_T3_lS5_lPT2_S5_S5_.has_dyn_sized_stack, 0
	.set _ZN9rocsolver6v33100L23getf2_npvt_small_kernelILi20E19rocblas_complex_numIdEiiPS3_EEvT1_T3_lS5_lPT2_S5_S5_.has_recursion, 0
	.set _ZN9rocsolver6v33100L23getf2_npvt_small_kernelILi20E19rocblas_complex_numIdEiiPS3_EEvT1_T3_lS5_lPT2_S5_S5_.has_indirect_call, 0
	.section	.AMDGPU.csdata,"",@progbits
; Kernel info:
; codeLenInByte = 28324
; TotalNumSgprs: 28
; NumVgprs: 128
; ScratchSize: 356
; MemoryBound: 1
; FloatMode: 240
; IeeeMode: 1
; LDSByteSize: 0 bytes/workgroup (compile time only)
; SGPRBlocks: 3
; VGPRBlocks: 31
; NumSGPRsForWavesPerEU: 28
; NumVGPRsForWavesPerEU: 128
; Occupancy: 2
; WaveLimiterHint : 0
; COMPUTE_PGM_RSRC2:SCRATCH_EN: 1
; COMPUTE_PGM_RSRC2:USER_SGPR: 6
; COMPUTE_PGM_RSRC2:TRAP_HANDLER: 0
; COMPUTE_PGM_RSRC2:TGID_X_EN: 1
; COMPUTE_PGM_RSRC2:TGID_Y_EN: 1
; COMPUTE_PGM_RSRC2:TGID_Z_EN: 0
; COMPUTE_PGM_RSRC2:TIDIG_COMP_CNT: 1
	.section	.text._ZN9rocsolver6v33100L18getf2_small_kernelILi21E19rocblas_complex_numIdEiiPS3_EEvT1_T3_lS5_lPS5_llPT2_S5_S5_S7_l,"axG",@progbits,_ZN9rocsolver6v33100L18getf2_small_kernelILi21E19rocblas_complex_numIdEiiPS3_EEvT1_T3_lS5_lPS5_llPT2_S5_S5_S7_l,comdat
	.globl	_ZN9rocsolver6v33100L18getf2_small_kernelILi21E19rocblas_complex_numIdEiiPS3_EEvT1_T3_lS5_lPS5_llPT2_S5_S5_S7_l ; -- Begin function _ZN9rocsolver6v33100L18getf2_small_kernelILi21E19rocblas_complex_numIdEiiPS3_EEvT1_T3_lS5_lPS5_llPT2_S5_S5_S7_l
	.p2align	8
	.type	_ZN9rocsolver6v33100L18getf2_small_kernelILi21E19rocblas_complex_numIdEiiPS3_EEvT1_T3_lS5_lPS5_llPT2_S5_S5_S7_l,@function
_ZN9rocsolver6v33100L18getf2_small_kernelILi21E19rocblas_complex_numIdEiiPS3_EEvT1_T3_lS5_lPS5_llPT2_S5_S5_S7_l: ; @_ZN9rocsolver6v33100L18getf2_small_kernelILi21E19rocblas_complex_numIdEiiPS3_EEvT1_T3_lS5_lPS5_llPT2_S5_S5_S7_l
; %bb.0:
	s_load_dword s0, s[4:5], 0x6c
	s_load_dwordx2 s[16:17], s[4:5], 0x48
	s_waitcnt lgkmcnt(0)
	s_lshr_b32 s0, s0, 16
	s_mul_i32 s7, s7, s0
	v_add_u32_e32 v90, s7, v1
	v_cmp_gt_i32_e32 vcc, s16, v90
	s_and_saveexec_b64 s[0:1], vcc
	s_cbranch_execz .LBB40_442
; %bb.1:
	s_load_dwordx4 s[0:3], s[4:5], 0x50
	v_mov_b32_e32 v92, 0
	v_ashrrev_i32_e32 v91, 31, v90
	v_mov_b32_e32 v93, 0
	s_waitcnt lgkmcnt(0)
	s_cmp_eq_u64 s[0:1], 0
	s_cselect_b64 s[18:19], -1, 0
	s_and_b64 vcc, exec, s[18:19]
	s_cbranch_vccnz .LBB40_3
; %bb.2:
	v_mul_lo_u32 v4, s3, v90
	v_mul_lo_u32 v5, s2, v91
	v_mad_u64_u32 v[2:3], s[2:3], s2, v90, 0
	v_add3_u32 v3, v3, v5, v4
	v_lshlrev_b64 v[2:3], 2, v[2:3]
	v_mov_b32_e32 v4, s1
	v_add_co_u32_e32 v92, vcc, s0, v2
	v_addc_co_u32_e32 v93, vcc, v4, v3, vcc
.LBB40_3:
	s_load_dwordx8 s[8:15], s[4:5], 0x20
	s_load_dwordx4 s[0:3], s[4:5], 0x8
	v_lshlrev_b32_e32 v96, 4, v0
	s_waitcnt lgkmcnt(0)
	v_mul_lo_u32 v4, s9, v90
	v_mul_lo_u32 v5, s8, v91
	v_mad_u64_u32 v[2:3], s[6:7], s8, v90, 0
	s_load_dword s6, s[4:5], 0x18
	s_load_dword s22, s[4:5], 0x0
	v_mov_b32_e32 v6, s1
	v_add3_u32 v3, v3, v5, v4
	v_lshlrev_b64 v[2:3], 4, v[2:3]
	s_waitcnt lgkmcnt(0)
	s_add_i32 s16, s6, s6
	v_add_co_u32_e32 v2, vcc, s0, v2
	v_addc_co_u32_e32 v3, vcc, v6, v3, vcc
	s_lshl_b64 s[0:1], s[2:3], 4
	v_mov_b32_e32 v4, s1
	v_add_co_u32_e32 v97, vcc, s0, v2
	v_add_u32_e32 v2, s16, v0
	v_addc_co_u32_e32 v98, vcc, v3, v4, vcc
	v_ashrrev_i32_e32 v3, 31, v2
	v_lshlrev_b64 v[3:4], 4, v[2:3]
	v_add_u32_e32 v5, s6, v2
	v_ashrrev_i32_e32 v6, 31, v5
	v_add_co_u32_e32 v3, vcc, v97, v3
	v_lshlrev_b64 v[6:7], 4, v[5:6]
	v_add_u32_e32 v8, s6, v5
	v_addc_co_u32_e32 v4, vcc, v98, v4, vcc
	v_ashrrev_i32_e32 v9, 31, v8
	v_add_co_u32_e32 v6, vcc, v97, v6
	v_lshlrev_b64 v[9:10], 4, v[8:9]
	v_add_u32_e32 v11, s6, v8
	v_addc_co_u32_e32 v7, vcc, v98, v7, vcc
	;; [unrolled: 5-line block ×7, first 2 shown]
	v_ashrrev_i32_e32 v27, 31, v26
	v_add_co_u32_e32 v24, vcc, v97, v24
	v_lshlrev_b64 v[27:28], 4, v[26:27]
	v_addc_co_u32_e32 v25, vcc, v98, v25, vcc
	v_add_co_u32_e32 v27, vcc, v97, v27
	v_add_u32_e32 v29, s6, v26
	v_addc_co_u32_e32 v28, vcc, v98, v28, vcc
	v_ashrrev_i32_e32 v30, 31, v29
	v_lshlrev_b64 v[30:31], 4, v[29:30]
	v_add_co_u32_e32 v32, vcc, v97, v96
	v_add_u32_e32 v34, s6, v29
	v_addc_co_u32_e32 v33, vcc, 0, v98, vcc
	v_ashrrev_i32_e32 v35, 31, v34
	v_add_co_u32_e32 v30, vcc, v97, v30
	v_lshlrev_b64 v[35:36], 4, v[34:35]
	v_addc_co_u32_e32 v31, vcc, v98, v31, vcc
	v_add_u32_e32 v34, s6, v34
	v_add_co_u32_e32 v82, vcc, v97, v35
	v_ashrrev_i32_e32 v35, 31, v34
	v_addc_co_u32_e32 v83, vcc, v98, v36, vcc
	v_lshlrev_b64 v[35:36], 4, v[34:35]
	v_add_u32_e32 v34, s6, v34
	v_add_co_u32_e32 v84, vcc, v97, v35
	v_ashrrev_i32_e32 v35, 31, v34
	v_addc_co_u32_e32 v85, vcc, v98, v36, vcc
	v_lshlrev_b64 v[35:36], 4, v[34:35]
	;; [unrolled: 5-line block ×7, first 2 shown]
	v_add_u32_e32 v34, s6, v34
	v_add_co_u32_e32 v103, vcc, v97, v35
	v_ashrrev_i32_e32 v35, 31, v34
	v_lshlrev_b64 v[34:35], 4, v[34:35]
	v_addc_co_u32_e32 v104, vcc, v98, v36, vcc
	v_add_co_u32_e32 v105, vcc, v97, v34
	s_ashr_i32 s7, s6, 31
	v_addc_co_u32_e32 v106, vcc, v98, v35, vcc
	s_lshl_b64 s[2:3], s[6:7], 4
	v_mov_b32_e32 v2, s3
	v_add_co_u32_e32 v34, vcc, s2, v32
	v_addc_co_u32_e32 v35, vcc, v33, v2, vcc
	global_load_dwordx4 v[78:81], v[32:33], off
	global_load_dwordx4 v[74:77], v[34:35], off
	;; [unrolled: 1-line block ×3, first 2 shown]
                                        ; kill: killed $vgpr32 killed $vgpr33
                                        ; kill: killed $vgpr3 killed $vgpr4
                                        ; kill: killed $vgpr34 killed $vgpr35
	global_load_dwordx4 v[66:69], v[6:7], off
	global_load_dwordx4 v[62:65], v[9:10], off
	;; [unrolled: 1-line block ×9, first 2 shown]
	s_nop 0
	global_load_dwordx4 v[30:33], v[82:83], off
	global_load_dwordx4 v[26:29], v[84:85], off
	;; [unrolled: 1-line block ×9, first 2 shown]
	s_max_i32 s0, s22, 21
	v_mul_lo_u32 v94, s0, v1
	s_load_dwordx2 s[4:5], s[4:5], 0x40
	s_cmp_lt_i32 s22, 2
	v_lshl_add_u32 v1, v94, 4, 0
	v_add_u32_e32 v86, v1, v96
	v_lshlrev_b32_e32 v100, 4, v94
	v_mov_b32_e32 v94, 0
	s_waitcnt vmcnt(20)
	ds_write2_b64 v86, v[78:79], v[80:81] offset1:1
	s_waitcnt vmcnt(0) lgkmcnt(0)
	s_barrier
	ds_read2_b64 v[86:89], v1 offset1:1
	s_cbranch_scc1 .LBB40_6
; %bb.4:
	v_add3_u32 v95, v100, 0, 16
	s_mov_b32 s7, 1
	v_mov_b32_e32 v94, 0
.LBB40_5:                               ; =>This Inner Loop Header: Depth=1
	s_waitcnt lgkmcnt(0)
	v_cmp_gt_f64_e32 vcc, 0, v[88:89]
	v_cmp_gt_f64_e64 s[0:1], 0, v[86:87]
	ds_read2_b64 v[101:104], v95 offset1:1
	v_xor_b32_e32 v96, 0x80000000, v87
	v_xor_b32_e32 v99, 0x80000000, v89
	v_mov_b32_e32 v105, v86
	v_mov_b32_e32 v107, v88
	s_waitcnt lgkmcnt(0)
	v_mov_b32_e32 v109, v103
	v_cndmask_b32_e32 v108, v89, v99, vcc
	v_cndmask_b32_e64 v106, v87, v96, s[0:1]
	v_cmp_gt_f64_e32 vcc, 0, v[103:104]
	v_cmp_gt_f64_e64 s[0:1], 0, v[101:102]
	v_xor_b32_e32 v96, 0x80000000, v102
	v_xor_b32_e32 v99, 0x80000000, v104
	v_add_f64 v[105:106], v[105:106], v[107:108]
	v_mov_b32_e32 v107, v101
	v_add_u32_e32 v95, 16, v95
	v_cndmask_b32_e32 v110, v104, v99, vcc
	v_cndmask_b32_e64 v108, v102, v96, s[0:1]
	v_add_f64 v[107:108], v[107:108], v[109:110]
	v_mov_b32_e32 v96, s7
	s_add_i32 s7, s7, 1
	s_cmp_eq_u32 s22, s7
	v_cmp_lt_f64_e32 vcc, v[105:106], v[107:108]
	v_cndmask_b32_e32 v87, v87, v102, vcc
	v_cndmask_b32_e32 v86, v86, v101, vcc
	;; [unrolled: 1-line block ×5, first 2 shown]
	s_cbranch_scc0 .LBB40_5
.LBB40_6:
	s_waitcnt lgkmcnt(0)
	v_cmp_neq_f64_e32 vcc, 0, v[86:87]
	v_cmp_neq_f64_e64 s[0:1], 0, v[88:89]
	v_mov_b32_e32 v99, 1
	v_mov_b32_e32 v101, 1
	s_or_b64 s[8:9], vcc, s[0:1]
	s_and_saveexec_b64 s[0:1], s[8:9]
	s_cbranch_execz .LBB40_12
; %bb.7:
	v_cmp_ngt_f64_e64 s[8:9], |v[86:87]|, |v[88:89]|
	s_and_saveexec_b64 s[20:21], s[8:9]
	s_xor_b64 s[8:9], exec, s[20:21]
	s_cbranch_execz .LBB40_9
; %bb.8:
	v_div_scale_f64 v[95:96], s[20:21], v[88:89], v[88:89], v[86:87]
	v_rcp_f64_e32 v[101:102], v[95:96]
	v_fma_f64 v[103:104], -v[95:96], v[101:102], 1.0
	v_fma_f64 v[101:102], v[101:102], v[103:104], v[101:102]
	v_div_scale_f64 v[103:104], vcc, v[86:87], v[88:89], v[86:87]
	v_fma_f64 v[105:106], -v[95:96], v[101:102], 1.0
	v_fma_f64 v[101:102], v[101:102], v[105:106], v[101:102]
	v_mul_f64 v[105:106], v[103:104], v[101:102]
	v_fma_f64 v[95:96], -v[95:96], v[105:106], v[103:104]
	v_div_fmas_f64 v[95:96], v[95:96], v[101:102], v[105:106]
	v_div_fixup_f64 v[95:96], v[95:96], v[88:89], v[86:87]
	v_fma_f64 v[86:87], v[86:87], v[95:96], v[88:89]
	v_div_scale_f64 v[88:89], s[20:21], v[86:87], v[86:87], 1.0
	v_div_scale_f64 v[105:106], vcc, 1.0, v[86:87], 1.0
	v_rcp_f64_e32 v[101:102], v[88:89]
	v_fma_f64 v[103:104], -v[88:89], v[101:102], 1.0
	v_fma_f64 v[101:102], v[101:102], v[103:104], v[101:102]
	v_fma_f64 v[103:104], -v[88:89], v[101:102], 1.0
	v_fma_f64 v[101:102], v[101:102], v[103:104], v[101:102]
	v_mul_f64 v[103:104], v[105:106], v[101:102]
	v_fma_f64 v[88:89], -v[88:89], v[103:104], v[105:106]
	v_div_fmas_f64 v[88:89], v[88:89], v[101:102], v[103:104]
	v_div_fixup_f64 v[88:89], v[88:89], v[86:87], 1.0
	v_mul_f64 v[86:87], v[95:96], v[88:89]
	v_xor_b32_e32 v89, 0x80000000, v89
.LBB40_9:
	s_andn2_saveexec_b64 s[8:9], s[8:9]
	s_cbranch_execz .LBB40_11
; %bb.10:
	v_div_scale_f64 v[95:96], s[20:21], v[86:87], v[86:87], v[88:89]
	v_rcp_f64_e32 v[101:102], v[95:96]
	v_fma_f64 v[103:104], -v[95:96], v[101:102], 1.0
	v_fma_f64 v[101:102], v[101:102], v[103:104], v[101:102]
	v_div_scale_f64 v[103:104], vcc, v[88:89], v[86:87], v[88:89]
	v_fma_f64 v[105:106], -v[95:96], v[101:102], 1.0
	v_fma_f64 v[101:102], v[101:102], v[105:106], v[101:102]
	v_mul_f64 v[105:106], v[103:104], v[101:102]
	v_fma_f64 v[95:96], -v[95:96], v[105:106], v[103:104]
	v_div_fmas_f64 v[95:96], v[95:96], v[101:102], v[105:106]
	v_div_fixup_f64 v[95:96], v[95:96], v[86:87], v[88:89]
	v_fma_f64 v[86:87], v[88:89], v[95:96], v[86:87]
	v_div_scale_f64 v[88:89], s[20:21], v[86:87], v[86:87], 1.0
	v_div_scale_f64 v[105:106], vcc, 1.0, v[86:87], 1.0
	v_rcp_f64_e32 v[101:102], v[88:89]
	v_fma_f64 v[103:104], -v[88:89], v[101:102], 1.0
	v_fma_f64 v[101:102], v[101:102], v[103:104], v[101:102]
	v_fma_f64 v[103:104], -v[88:89], v[101:102], 1.0
	v_fma_f64 v[101:102], v[101:102], v[103:104], v[101:102]
	v_mul_f64 v[103:104], v[105:106], v[101:102]
	v_fma_f64 v[88:89], -v[88:89], v[103:104], v[105:106]
	v_div_fmas_f64 v[88:89], v[88:89], v[101:102], v[103:104]
	v_div_fixup_f64 v[86:87], v[88:89], v[86:87], 1.0
	v_mul_f64 v[88:89], v[95:96], -v[86:87]
.LBB40_11:
	s_or_b64 exec, exec, s[8:9]
	v_mov_b32_e32 v101, 0
	v_mov_b32_e32 v99, 2
.LBB40_12:
	s_or_b64 exec, exec, s[0:1]
	v_cmp_ne_u32_e32 vcc, v0, v94
	s_and_saveexec_b64 s[0:1], vcc
	s_xor_b64 s[0:1], exec, s[0:1]
	s_cbranch_execz .LBB40_18
; %bb.13:
	v_cmp_eq_u32_e32 vcc, 0, v0
	s_and_saveexec_b64 s[8:9], vcc
	s_cbranch_execz .LBB40_17
; %bb.14:
	v_cmp_ne_u32_e32 vcc, 0, v94
	s_xor_b64 s[20:21], s[18:19], -1
	s_and_b64 s[24:25], s[20:21], vcc
	s_and_saveexec_b64 s[20:21], s[24:25]
	s_cbranch_execz .LBB40_16
; %bb.15:
	v_ashrrev_i32_e32 v95, 31, v94
	v_lshlrev_b64 v[95:96], 2, v[94:95]
	v_add_co_u32_e32 v95, vcc, v92, v95
	v_addc_co_u32_e32 v96, vcc, v93, v96, vcc
	global_load_dword v0, v[95:96], off
	global_load_dword v102, v[92:93], off
	s_waitcnt vmcnt(1)
	global_store_dword v[92:93], v0, off
	s_waitcnt vmcnt(1)
	global_store_dword v[95:96], v102, off
.LBB40_16:
	s_or_b64 exec, exec, s[20:21]
	v_mov_b32_e32 v0, v94
.LBB40_17:
	s_or_b64 exec, exec, s[8:9]
.LBB40_18:
	s_or_saveexec_b64 s[0:1], s[0:1]
	v_mov_b32_e32 v96, v0
	s_xor_b64 exec, exec, s[0:1]
	s_cbranch_execz .LBB40_20
; %bb.19:
	v_mov_b32_e32 v96, 0
	ds_write2_b64 v1, v[74:75], v[76:77] offset0:2 offset1:3
	ds_write2_b64 v1, v[70:71], v[72:73] offset0:4 offset1:5
	;; [unrolled: 1-line block ×20, first 2 shown]
.LBB40_20:
	s_or_b64 exec, exec, s[0:1]
	v_cmp_lt_i32_e32 vcc, 0, v96
	s_waitcnt vmcnt(0) lgkmcnt(0)
	s_barrier
	s_and_saveexec_b64 s[0:1], vcc
	s_cbranch_execz .LBB40_22
; %bb.21:
	v_mul_f64 v[94:95], v[88:89], v[80:81]
	v_mul_f64 v[80:81], v[86:87], v[80:81]
	v_fma_f64 v[94:95], v[86:87], v[78:79], -v[94:95]
	v_fma_f64 v[80:81], v[88:89], v[78:79], v[80:81]
	ds_read2_b64 v[86:89], v1 offset0:2 offset1:3
	s_waitcnt lgkmcnt(0)
	v_mul_f64 v[78:79], v[88:89], v[80:81]
	v_fma_f64 v[78:79], v[86:87], v[94:95], -v[78:79]
	v_mul_f64 v[86:87], v[86:87], v[80:81]
	v_add_f64 v[74:75], v[74:75], -v[78:79]
	v_fma_f64 v[86:87], v[88:89], v[94:95], v[86:87]
	v_add_f64 v[76:77], v[76:77], -v[86:87]
	ds_read2_b64 v[86:89], v1 offset0:4 offset1:5
	s_waitcnt lgkmcnt(0)
	v_mul_f64 v[78:79], v[88:89], v[80:81]
	v_fma_f64 v[78:79], v[86:87], v[94:95], -v[78:79]
	v_mul_f64 v[86:87], v[86:87], v[80:81]
	v_add_f64 v[70:71], v[70:71], -v[78:79]
	v_fma_f64 v[86:87], v[88:89], v[94:95], v[86:87]
	v_add_f64 v[72:73], v[72:73], -v[86:87]
	;; [unrolled: 8-line block ×19, first 2 shown]
	ds_read2_b64 v[86:89], v1 offset0:40 offset1:41
	s_waitcnt lgkmcnt(0)
	v_mul_f64 v[78:79], v[88:89], v[80:81]
	v_fma_f64 v[78:79], v[86:87], v[94:95], -v[78:79]
	v_mul_f64 v[86:87], v[86:87], v[80:81]
	v_add_f64 v[82:83], v[82:83], -v[78:79]
	v_fma_f64 v[86:87], v[88:89], v[94:95], v[86:87]
	v_mov_b32_e32 v78, v94
	v_mov_b32_e32 v79, v95
	v_add_f64 v[84:85], v[84:85], -v[86:87]
.LBB40_22:
	s_or_b64 exec, exec, s[0:1]
	v_lshl_add_u32 v86, v96, 4, v1
	s_barrier
	ds_write2_b64 v86, v[74:75], v[76:77] offset1:1
	s_waitcnt lgkmcnt(0)
	s_barrier
	ds_read2_b64 v[86:89], v1 offset0:2 offset1:3
	s_cmp_lt_i32 s22, 3
	v_mov_b32_e32 v94, 1
	s_cbranch_scc1 .LBB40_25
; %bb.23:
	v_add3_u32 v95, v100, 0, 32
	s_mov_b32 s7, 2
	v_mov_b32_e32 v94, 1
.LBB40_24:                              ; =>This Inner Loop Header: Depth=1
	s_waitcnt lgkmcnt(0)
	v_cmp_gt_f64_e32 vcc, 0, v[88:89]
	v_cmp_gt_f64_e64 s[0:1], 0, v[86:87]
	ds_read2_b64 v[102:105], v95 offset1:1
	v_xor_b32_e32 v107, 0x80000000, v87
	v_xor_b32_e32 v109, 0x80000000, v89
	v_mov_b32_e32 v106, v86
	v_mov_b32_e32 v108, v88
	s_waitcnt lgkmcnt(0)
	v_xor_b32_e32 v111, 0x80000000, v105
	v_cndmask_b32_e32 v109, v89, v109, vcc
	v_cndmask_b32_e64 v107, v87, v107, s[0:1]
	v_cmp_gt_f64_e32 vcc, 0, v[104:105]
	v_cmp_gt_f64_e64 s[0:1], 0, v[102:103]
	v_add_f64 v[106:107], v[106:107], v[108:109]
	v_xor_b32_e32 v109, 0x80000000, v103
	v_mov_b32_e32 v108, v102
	v_mov_b32_e32 v110, v104
	v_add_u32_e32 v95, 16, v95
	v_cndmask_b32_e32 v111, v105, v111, vcc
	v_cndmask_b32_e64 v109, v103, v109, s[0:1]
	v_add_f64 v[108:109], v[108:109], v[110:111]
	v_mov_b32_e32 v110, s7
	s_add_i32 s7, s7, 1
	s_cmp_lg_u32 s22, s7
	v_cmp_lt_f64_e32 vcc, v[106:107], v[108:109]
	v_cndmask_b32_e32 v87, v87, v103, vcc
	v_cndmask_b32_e32 v86, v86, v102, vcc
	;; [unrolled: 1-line block ×5, first 2 shown]
	s_cbranch_scc1 .LBB40_24
.LBB40_25:
	s_waitcnt lgkmcnt(0)
	v_cmp_neq_f64_e32 vcc, 0, v[86:87]
	v_cmp_neq_f64_e64 s[0:1], 0, v[88:89]
	s_or_b64 s[8:9], vcc, s[0:1]
	s_and_saveexec_b64 s[0:1], s[8:9]
	s_cbranch_execz .LBB40_31
; %bb.26:
	v_cmp_ngt_f64_e64 s[8:9], |v[86:87]|, |v[88:89]|
	s_and_saveexec_b64 s[20:21], s[8:9]
	s_xor_b64 s[8:9], exec, s[20:21]
	s_cbranch_execz .LBB40_28
; %bb.27:
	v_div_scale_f64 v[102:103], s[20:21], v[88:89], v[88:89], v[86:87]
	v_rcp_f64_e32 v[104:105], v[102:103]
	v_fma_f64 v[106:107], -v[102:103], v[104:105], 1.0
	v_fma_f64 v[104:105], v[104:105], v[106:107], v[104:105]
	v_div_scale_f64 v[106:107], vcc, v[86:87], v[88:89], v[86:87]
	v_fma_f64 v[108:109], -v[102:103], v[104:105], 1.0
	v_fma_f64 v[104:105], v[104:105], v[108:109], v[104:105]
	v_mul_f64 v[108:109], v[106:107], v[104:105]
	v_fma_f64 v[102:103], -v[102:103], v[108:109], v[106:107]
	v_div_fmas_f64 v[102:103], v[102:103], v[104:105], v[108:109]
	v_div_fixup_f64 v[102:103], v[102:103], v[88:89], v[86:87]
	v_fma_f64 v[86:87], v[86:87], v[102:103], v[88:89]
	v_div_scale_f64 v[88:89], s[20:21], v[86:87], v[86:87], 1.0
	v_div_scale_f64 v[108:109], vcc, 1.0, v[86:87], 1.0
	v_rcp_f64_e32 v[104:105], v[88:89]
	v_fma_f64 v[106:107], -v[88:89], v[104:105], 1.0
	v_fma_f64 v[104:105], v[104:105], v[106:107], v[104:105]
	v_fma_f64 v[106:107], -v[88:89], v[104:105], 1.0
	v_fma_f64 v[104:105], v[104:105], v[106:107], v[104:105]
	v_mul_f64 v[106:107], v[108:109], v[104:105]
	v_fma_f64 v[88:89], -v[88:89], v[106:107], v[108:109]
	v_div_fmas_f64 v[88:89], v[88:89], v[104:105], v[106:107]
	v_div_fixup_f64 v[88:89], v[88:89], v[86:87], 1.0
	v_mul_f64 v[86:87], v[102:103], v[88:89]
	v_xor_b32_e32 v89, 0x80000000, v89
.LBB40_28:
	s_andn2_saveexec_b64 s[8:9], s[8:9]
	s_cbranch_execz .LBB40_30
; %bb.29:
	v_div_scale_f64 v[102:103], s[20:21], v[86:87], v[86:87], v[88:89]
	v_rcp_f64_e32 v[104:105], v[102:103]
	v_fma_f64 v[106:107], -v[102:103], v[104:105], 1.0
	v_fma_f64 v[104:105], v[104:105], v[106:107], v[104:105]
	v_div_scale_f64 v[106:107], vcc, v[88:89], v[86:87], v[88:89]
	v_fma_f64 v[108:109], -v[102:103], v[104:105], 1.0
	v_fma_f64 v[104:105], v[104:105], v[108:109], v[104:105]
	v_mul_f64 v[108:109], v[106:107], v[104:105]
	v_fma_f64 v[102:103], -v[102:103], v[108:109], v[106:107]
	v_div_fmas_f64 v[102:103], v[102:103], v[104:105], v[108:109]
	v_div_fixup_f64 v[102:103], v[102:103], v[86:87], v[88:89]
	v_fma_f64 v[86:87], v[88:89], v[102:103], v[86:87]
	v_div_scale_f64 v[88:89], s[20:21], v[86:87], v[86:87], 1.0
	v_div_scale_f64 v[108:109], vcc, 1.0, v[86:87], 1.0
	v_rcp_f64_e32 v[104:105], v[88:89]
	v_fma_f64 v[106:107], -v[88:89], v[104:105], 1.0
	v_fma_f64 v[104:105], v[104:105], v[106:107], v[104:105]
	v_fma_f64 v[106:107], -v[88:89], v[104:105], 1.0
	v_fma_f64 v[104:105], v[104:105], v[106:107], v[104:105]
	v_mul_f64 v[106:107], v[108:109], v[104:105]
	v_fma_f64 v[88:89], -v[88:89], v[106:107], v[108:109]
	v_div_fmas_f64 v[88:89], v[88:89], v[104:105], v[106:107]
	v_div_fixup_f64 v[86:87], v[88:89], v[86:87], 1.0
	v_mul_f64 v[88:89], v[102:103], -v[86:87]
.LBB40_30:
	s_or_b64 exec, exec, s[8:9]
	v_mov_b32_e32 v99, v101
.LBB40_31:
	s_or_b64 exec, exec, s[0:1]
	v_cmp_ne_u32_e32 vcc, v96, v94
	s_and_saveexec_b64 s[0:1], vcc
	s_xor_b64 s[0:1], exec, s[0:1]
	s_cbranch_execz .LBB40_37
; %bb.32:
	v_cmp_eq_u32_e32 vcc, 1, v96
	s_and_saveexec_b64 s[8:9], vcc
	s_cbranch_execz .LBB40_36
; %bb.33:
	v_cmp_ne_u32_e32 vcc, 1, v94
	s_xor_b64 s[20:21], s[18:19], -1
	s_and_b64 s[24:25], s[20:21], vcc
	s_and_saveexec_b64 s[20:21], s[24:25]
	s_cbranch_execz .LBB40_35
; %bb.34:
	v_ashrrev_i32_e32 v95, 31, v94
	v_lshlrev_b64 v[95:96], 2, v[94:95]
	v_add_co_u32_e32 v95, vcc, v92, v95
	v_addc_co_u32_e32 v96, vcc, v93, v96, vcc
	global_load_dword v0, v[95:96], off
	global_load_dword v101, v[92:93], off offset:4
	s_waitcnt vmcnt(1)
	global_store_dword v[92:93], v0, off offset:4
	s_waitcnt vmcnt(1)
	global_store_dword v[95:96], v101, off
.LBB40_35:
	s_or_b64 exec, exec, s[20:21]
	v_mov_b32_e32 v96, v94
	v_mov_b32_e32 v0, v94
.LBB40_36:
	s_or_b64 exec, exec, s[8:9]
.LBB40_37:
	s_andn2_saveexec_b64 s[0:1], s[0:1]
	s_cbranch_execz .LBB40_39
; %bb.38:
	v_mov_b32_e32 v96, 1
	ds_write2_b64 v1, v[70:71], v[72:73] offset0:4 offset1:5
	ds_write2_b64 v1, v[66:67], v[68:69] offset0:6 offset1:7
	;; [unrolled: 1-line block ×19, first 2 shown]
.LBB40_39:
	s_or_b64 exec, exec, s[0:1]
	v_cmp_lt_i32_e32 vcc, 1, v96
	s_waitcnt vmcnt(0) lgkmcnt(0)
	s_barrier
	s_and_saveexec_b64 s[0:1], vcc
	s_cbranch_execz .LBB40_41
; %bb.40:
	v_mul_f64 v[94:95], v[88:89], v[76:77]
	v_mul_f64 v[76:77], v[86:87], v[76:77]
	v_fma_f64 v[94:95], v[86:87], v[74:75], -v[94:95]
	v_fma_f64 v[76:77], v[88:89], v[74:75], v[76:77]
	ds_read2_b64 v[86:89], v1 offset0:4 offset1:5
	s_waitcnt lgkmcnt(0)
	v_mul_f64 v[74:75], v[88:89], v[76:77]
	v_fma_f64 v[74:75], v[86:87], v[94:95], -v[74:75]
	v_mul_f64 v[86:87], v[86:87], v[76:77]
	v_add_f64 v[70:71], v[70:71], -v[74:75]
	v_fma_f64 v[86:87], v[88:89], v[94:95], v[86:87]
	v_add_f64 v[72:73], v[72:73], -v[86:87]
	ds_read2_b64 v[86:89], v1 offset0:6 offset1:7
	s_waitcnt lgkmcnt(0)
	v_mul_f64 v[74:75], v[88:89], v[76:77]
	v_fma_f64 v[74:75], v[86:87], v[94:95], -v[74:75]
	v_mul_f64 v[86:87], v[86:87], v[76:77]
	v_add_f64 v[66:67], v[66:67], -v[74:75]
	v_fma_f64 v[86:87], v[88:89], v[94:95], v[86:87]
	v_add_f64 v[68:69], v[68:69], -v[86:87]
	;; [unrolled: 8-line block ×18, first 2 shown]
	ds_read2_b64 v[86:89], v1 offset0:40 offset1:41
	s_waitcnt lgkmcnt(0)
	v_mul_f64 v[74:75], v[88:89], v[76:77]
	v_fma_f64 v[74:75], v[86:87], v[94:95], -v[74:75]
	v_mul_f64 v[86:87], v[86:87], v[76:77]
	v_add_f64 v[82:83], v[82:83], -v[74:75]
	v_fma_f64 v[86:87], v[88:89], v[94:95], v[86:87]
	v_mov_b32_e32 v74, v94
	v_mov_b32_e32 v75, v95
	v_add_f64 v[84:85], v[84:85], -v[86:87]
.LBB40_41:
	s_or_b64 exec, exec, s[0:1]
	v_lshl_add_u32 v86, v96, 4, v1
	s_barrier
	ds_write2_b64 v86, v[70:71], v[72:73] offset1:1
	s_waitcnt lgkmcnt(0)
	s_barrier
	ds_read2_b64 v[86:89], v1 offset0:4 offset1:5
	s_cmp_lt_i32 s22, 4
	v_mov_b32_e32 v94, 2
	s_cbranch_scc1 .LBB40_44
; %bb.42:
	v_add3_u32 v95, v100, 0, 48
	s_mov_b32 s7, 3
	v_mov_b32_e32 v94, 2
.LBB40_43:                              ; =>This Inner Loop Header: Depth=1
	s_waitcnt lgkmcnt(0)
	v_cmp_gt_f64_e32 vcc, 0, v[88:89]
	v_cmp_gt_f64_e64 s[0:1], 0, v[86:87]
	ds_read2_b64 v[101:104], v95 offset1:1
	v_xor_b32_e32 v106, 0x80000000, v87
	v_xor_b32_e32 v108, 0x80000000, v89
	v_mov_b32_e32 v105, v86
	v_mov_b32_e32 v107, v88
	s_waitcnt lgkmcnt(0)
	v_xor_b32_e32 v110, 0x80000000, v104
	v_cndmask_b32_e32 v108, v89, v108, vcc
	v_cndmask_b32_e64 v106, v87, v106, s[0:1]
	v_cmp_gt_f64_e32 vcc, 0, v[103:104]
	v_cmp_gt_f64_e64 s[0:1], 0, v[101:102]
	v_add_f64 v[105:106], v[105:106], v[107:108]
	v_xor_b32_e32 v108, 0x80000000, v102
	v_mov_b32_e32 v107, v101
	v_mov_b32_e32 v109, v103
	v_add_u32_e32 v95, 16, v95
	v_cndmask_b32_e32 v110, v104, v110, vcc
	v_cndmask_b32_e64 v108, v102, v108, s[0:1]
	v_add_f64 v[107:108], v[107:108], v[109:110]
	v_mov_b32_e32 v109, s7
	s_add_i32 s7, s7, 1
	s_cmp_lg_u32 s22, s7
	v_cmp_lt_f64_e32 vcc, v[105:106], v[107:108]
	v_cndmask_b32_e32 v87, v87, v102, vcc
	v_cndmask_b32_e32 v86, v86, v101, vcc
	;; [unrolled: 1-line block ×5, first 2 shown]
	s_cbranch_scc1 .LBB40_43
.LBB40_44:
	s_waitcnt lgkmcnt(0)
	v_cmp_eq_f64_e32 vcc, 0, v[86:87]
	v_cmp_eq_f64_e64 s[0:1], 0, v[88:89]
	s_and_b64 s[0:1], vcc, s[0:1]
	s_and_saveexec_b64 s[8:9], s[0:1]
	s_xor_b64 s[0:1], exec, s[8:9]
; %bb.45:
	v_cmp_ne_u32_e32 vcc, 0, v99
	v_cndmask_b32_e32 v99, 3, v99, vcc
; %bb.46:
	s_andn2_saveexec_b64 s[0:1], s[0:1]
	s_cbranch_execz .LBB40_52
; %bb.47:
	v_cmp_ngt_f64_e64 s[8:9], |v[86:87]|, |v[88:89]|
	s_and_saveexec_b64 s[20:21], s[8:9]
	s_xor_b64 s[8:9], exec, s[20:21]
	s_cbranch_execz .LBB40_49
; %bb.48:
	v_div_scale_f64 v[101:102], s[20:21], v[88:89], v[88:89], v[86:87]
	v_rcp_f64_e32 v[103:104], v[101:102]
	v_fma_f64 v[105:106], -v[101:102], v[103:104], 1.0
	v_fma_f64 v[103:104], v[103:104], v[105:106], v[103:104]
	v_div_scale_f64 v[105:106], vcc, v[86:87], v[88:89], v[86:87]
	v_fma_f64 v[107:108], -v[101:102], v[103:104], 1.0
	v_fma_f64 v[103:104], v[103:104], v[107:108], v[103:104]
	v_mul_f64 v[107:108], v[105:106], v[103:104]
	v_fma_f64 v[101:102], -v[101:102], v[107:108], v[105:106]
	v_div_fmas_f64 v[101:102], v[101:102], v[103:104], v[107:108]
	v_div_fixup_f64 v[101:102], v[101:102], v[88:89], v[86:87]
	v_fma_f64 v[86:87], v[86:87], v[101:102], v[88:89]
	v_div_scale_f64 v[88:89], s[20:21], v[86:87], v[86:87], 1.0
	v_div_scale_f64 v[107:108], vcc, 1.0, v[86:87], 1.0
	v_rcp_f64_e32 v[103:104], v[88:89]
	v_fma_f64 v[105:106], -v[88:89], v[103:104], 1.0
	v_fma_f64 v[103:104], v[103:104], v[105:106], v[103:104]
	v_fma_f64 v[105:106], -v[88:89], v[103:104], 1.0
	v_fma_f64 v[103:104], v[103:104], v[105:106], v[103:104]
	v_mul_f64 v[105:106], v[107:108], v[103:104]
	v_fma_f64 v[88:89], -v[88:89], v[105:106], v[107:108]
	v_div_fmas_f64 v[88:89], v[88:89], v[103:104], v[105:106]
	v_div_fixup_f64 v[88:89], v[88:89], v[86:87], 1.0
	v_mul_f64 v[86:87], v[101:102], v[88:89]
	v_xor_b32_e32 v89, 0x80000000, v89
.LBB40_49:
	s_andn2_saveexec_b64 s[8:9], s[8:9]
	s_cbranch_execz .LBB40_51
; %bb.50:
	v_div_scale_f64 v[101:102], s[20:21], v[86:87], v[86:87], v[88:89]
	v_rcp_f64_e32 v[103:104], v[101:102]
	v_fma_f64 v[105:106], -v[101:102], v[103:104], 1.0
	v_fma_f64 v[103:104], v[103:104], v[105:106], v[103:104]
	v_div_scale_f64 v[105:106], vcc, v[88:89], v[86:87], v[88:89]
	v_fma_f64 v[107:108], -v[101:102], v[103:104], 1.0
	v_fma_f64 v[103:104], v[103:104], v[107:108], v[103:104]
	v_mul_f64 v[107:108], v[105:106], v[103:104]
	v_fma_f64 v[101:102], -v[101:102], v[107:108], v[105:106]
	v_div_fmas_f64 v[101:102], v[101:102], v[103:104], v[107:108]
	v_div_fixup_f64 v[101:102], v[101:102], v[86:87], v[88:89]
	v_fma_f64 v[86:87], v[88:89], v[101:102], v[86:87]
	v_div_scale_f64 v[88:89], s[20:21], v[86:87], v[86:87], 1.0
	v_div_scale_f64 v[107:108], vcc, 1.0, v[86:87], 1.0
	v_rcp_f64_e32 v[103:104], v[88:89]
	v_fma_f64 v[105:106], -v[88:89], v[103:104], 1.0
	v_fma_f64 v[103:104], v[103:104], v[105:106], v[103:104]
	v_fma_f64 v[105:106], -v[88:89], v[103:104], 1.0
	v_fma_f64 v[103:104], v[103:104], v[105:106], v[103:104]
	v_mul_f64 v[105:106], v[107:108], v[103:104]
	v_fma_f64 v[88:89], -v[88:89], v[105:106], v[107:108]
	v_div_fmas_f64 v[88:89], v[88:89], v[103:104], v[105:106]
	v_div_fixup_f64 v[86:87], v[88:89], v[86:87], 1.0
	v_mul_f64 v[88:89], v[101:102], -v[86:87]
.LBB40_51:
	s_or_b64 exec, exec, s[8:9]
.LBB40_52:
	s_or_b64 exec, exec, s[0:1]
	v_cmp_ne_u32_e32 vcc, v96, v94
	s_and_saveexec_b64 s[0:1], vcc
	s_xor_b64 s[0:1], exec, s[0:1]
	s_cbranch_execz .LBB40_58
; %bb.53:
	v_cmp_eq_u32_e32 vcc, 2, v96
	s_and_saveexec_b64 s[8:9], vcc
	s_cbranch_execz .LBB40_57
; %bb.54:
	v_cmp_ne_u32_e32 vcc, 2, v94
	s_xor_b64 s[20:21], s[18:19], -1
	s_and_b64 s[24:25], s[20:21], vcc
	s_and_saveexec_b64 s[20:21], s[24:25]
	s_cbranch_execz .LBB40_56
; %bb.55:
	v_ashrrev_i32_e32 v95, 31, v94
	v_lshlrev_b64 v[95:96], 2, v[94:95]
	v_add_co_u32_e32 v95, vcc, v92, v95
	v_addc_co_u32_e32 v96, vcc, v93, v96, vcc
	global_load_dword v0, v[95:96], off
	global_load_dword v101, v[92:93], off offset:8
	s_waitcnt vmcnt(1)
	global_store_dword v[92:93], v0, off offset:8
	s_waitcnt vmcnt(1)
	global_store_dword v[95:96], v101, off
.LBB40_56:
	s_or_b64 exec, exec, s[20:21]
	v_mov_b32_e32 v96, v94
	v_mov_b32_e32 v0, v94
.LBB40_57:
	s_or_b64 exec, exec, s[8:9]
.LBB40_58:
	s_andn2_saveexec_b64 s[0:1], s[0:1]
	s_cbranch_execz .LBB40_60
; %bb.59:
	v_mov_b32_e32 v96, 2
	ds_write2_b64 v1, v[66:67], v[68:69] offset0:6 offset1:7
	ds_write2_b64 v1, v[62:63], v[64:65] offset0:8 offset1:9
	;; [unrolled: 1-line block ×18, first 2 shown]
.LBB40_60:
	s_or_b64 exec, exec, s[0:1]
	v_cmp_lt_i32_e32 vcc, 2, v96
	s_waitcnt vmcnt(0) lgkmcnt(0)
	s_barrier
	s_and_saveexec_b64 s[0:1], vcc
	s_cbranch_execz .LBB40_62
; %bb.61:
	v_mul_f64 v[94:95], v[88:89], v[72:73]
	v_mul_f64 v[72:73], v[86:87], v[72:73]
	v_fma_f64 v[94:95], v[86:87], v[70:71], -v[94:95]
	v_fma_f64 v[72:73], v[88:89], v[70:71], v[72:73]
	ds_read2_b64 v[86:89], v1 offset0:6 offset1:7
	s_waitcnt lgkmcnt(0)
	v_mul_f64 v[70:71], v[88:89], v[72:73]
	v_fma_f64 v[70:71], v[86:87], v[94:95], -v[70:71]
	v_mul_f64 v[86:87], v[86:87], v[72:73]
	v_add_f64 v[66:67], v[66:67], -v[70:71]
	v_fma_f64 v[86:87], v[88:89], v[94:95], v[86:87]
	v_add_f64 v[68:69], v[68:69], -v[86:87]
	ds_read2_b64 v[86:89], v1 offset0:8 offset1:9
	s_waitcnt lgkmcnt(0)
	v_mul_f64 v[70:71], v[88:89], v[72:73]
	v_fma_f64 v[70:71], v[86:87], v[94:95], -v[70:71]
	v_mul_f64 v[86:87], v[86:87], v[72:73]
	v_add_f64 v[62:63], v[62:63], -v[70:71]
	v_fma_f64 v[86:87], v[88:89], v[94:95], v[86:87]
	v_add_f64 v[64:65], v[64:65], -v[86:87]
	;; [unrolled: 8-line block ×17, first 2 shown]
	ds_read2_b64 v[86:89], v1 offset0:40 offset1:41
	s_waitcnt lgkmcnt(0)
	v_mul_f64 v[70:71], v[88:89], v[72:73]
	v_fma_f64 v[70:71], v[86:87], v[94:95], -v[70:71]
	v_mul_f64 v[86:87], v[86:87], v[72:73]
	v_add_f64 v[82:83], v[82:83], -v[70:71]
	v_fma_f64 v[86:87], v[88:89], v[94:95], v[86:87]
	v_mov_b32_e32 v70, v94
	v_mov_b32_e32 v71, v95
	v_add_f64 v[84:85], v[84:85], -v[86:87]
.LBB40_62:
	s_or_b64 exec, exec, s[0:1]
	v_lshl_add_u32 v86, v96, 4, v1
	s_barrier
	ds_write2_b64 v86, v[66:67], v[68:69] offset1:1
	s_waitcnt lgkmcnt(0)
	s_barrier
	ds_read2_b64 v[86:89], v1 offset0:6 offset1:7
	s_mov_b32 s7, 4
	s_cmp_lt_i32 s22, 5
	v_mov_b32_e32 v94, 3
	s_cbranch_scc1 .LBB40_65
; %bb.63:
	v_add3_u32 v95, v100, 0, 64
	v_mov_b32_e32 v94, 3
.LBB40_64:                              ; =>This Inner Loop Header: Depth=1
	s_waitcnt lgkmcnt(0)
	v_cmp_gt_f64_e32 vcc, 0, v[88:89]
	v_cmp_gt_f64_e64 s[0:1], 0, v[86:87]
	ds_read2_b64 v[100:103], v95 offset1:1
	v_xor_b32_e32 v105, 0x80000000, v87
	v_xor_b32_e32 v107, 0x80000000, v89
	v_mov_b32_e32 v104, v86
	v_mov_b32_e32 v106, v88
	s_waitcnt lgkmcnt(0)
	v_xor_b32_e32 v109, 0x80000000, v103
	v_cndmask_b32_e32 v107, v89, v107, vcc
	v_cndmask_b32_e64 v105, v87, v105, s[0:1]
	v_cmp_gt_f64_e32 vcc, 0, v[102:103]
	v_cmp_gt_f64_e64 s[0:1], 0, v[100:101]
	v_add_f64 v[104:105], v[104:105], v[106:107]
	v_xor_b32_e32 v107, 0x80000000, v101
	v_mov_b32_e32 v106, v100
	v_mov_b32_e32 v108, v102
	v_add_u32_e32 v95, 16, v95
	v_cndmask_b32_e32 v109, v103, v109, vcc
	v_cndmask_b32_e64 v107, v101, v107, s[0:1]
	v_add_f64 v[106:107], v[106:107], v[108:109]
	v_mov_b32_e32 v108, s7
	s_add_i32 s7, s7, 1
	s_cmp_lg_u32 s22, s7
	v_cmp_lt_f64_e32 vcc, v[104:105], v[106:107]
	v_cndmask_b32_e32 v87, v87, v101, vcc
	v_cndmask_b32_e32 v86, v86, v100, vcc
	;; [unrolled: 1-line block ×5, first 2 shown]
	s_cbranch_scc1 .LBB40_64
.LBB40_65:
	s_waitcnt lgkmcnt(0)
	v_cmp_eq_f64_e32 vcc, 0, v[86:87]
	v_cmp_eq_f64_e64 s[0:1], 0, v[88:89]
	s_and_b64 s[0:1], vcc, s[0:1]
	s_and_saveexec_b64 s[8:9], s[0:1]
	s_xor_b64 s[0:1], exec, s[8:9]
; %bb.66:
	v_cmp_ne_u32_e32 vcc, 0, v99
	v_cndmask_b32_e32 v99, 4, v99, vcc
; %bb.67:
	s_andn2_saveexec_b64 s[0:1], s[0:1]
	s_cbranch_execz .LBB40_73
; %bb.68:
	v_cmp_ngt_f64_e64 s[8:9], |v[86:87]|, |v[88:89]|
	s_and_saveexec_b64 s[20:21], s[8:9]
	s_xor_b64 s[8:9], exec, s[20:21]
	s_cbranch_execz .LBB40_70
; %bb.69:
	v_div_scale_f64 v[100:101], s[20:21], v[88:89], v[88:89], v[86:87]
	v_rcp_f64_e32 v[102:103], v[100:101]
	v_fma_f64 v[104:105], -v[100:101], v[102:103], 1.0
	v_fma_f64 v[102:103], v[102:103], v[104:105], v[102:103]
	v_div_scale_f64 v[104:105], vcc, v[86:87], v[88:89], v[86:87]
	v_fma_f64 v[106:107], -v[100:101], v[102:103], 1.0
	v_fma_f64 v[102:103], v[102:103], v[106:107], v[102:103]
	v_mul_f64 v[106:107], v[104:105], v[102:103]
	v_fma_f64 v[100:101], -v[100:101], v[106:107], v[104:105]
	v_div_fmas_f64 v[100:101], v[100:101], v[102:103], v[106:107]
	v_div_fixup_f64 v[100:101], v[100:101], v[88:89], v[86:87]
	v_fma_f64 v[86:87], v[86:87], v[100:101], v[88:89]
	v_div_scale_f64 v[88:89], s[20:21], v[86:87], v[86:87], 1.0
	v_div_scale_f64 v[106:107], vcc, 1.0, v[86:87], 1.0
	v_rcp_f64_e32 v[102:103], v[88:89]
	v_fma_f64 v[104:105], -v[88:89], v[102:103], 1.0
	v_fma_f64 v[102:103], v[102:103], v[104:105], v[102:103]
	v_fma_f64 v[104:105], -v[88:89], v[102:103], 1.0
	v_fma_f64 v[102:103], v[102:103], v[104:105], v[102:103]
	v_mul_f64 v[104:105], v[106:107], v[102:103]
	v_fma_f64 v[88:89], -v[88:89], v[104:105], v[106:107]
	v_div_fmas_f64 v[88:89], v[88:89], v[102:103], v[104:105]
	v_div_fixup_f64 v[88:89], v[88:89], v[86:87], 1.0
	v_mul_f64 v[86:87], v[100:101], v[88:89]
	v_xor_b32_e32 v89, 0x80000000, v89
.LBB40_70:
	s_andn2_saveexec_b64 s[8:9], s[8:9]
	s_cbranch_execz .LBB40_72
; %bb.71:
	v_div_scale_f64 v[100:101], s[20:21], v[86:87], v[86:87], v[88:89]
	v_rcp_f64_e32 v[102:103], v[100:101]
	v_fma_f64 v[104:105], -v[100:101], v[102:103], 1.0
	v_fma_f64 v[102:103], v[102:103], v[104:105], v[102:103]
	v_div_scale_f64 v[104:105], vcc, v[88:89], v[86:87], v[88:89]
	v_fma_f64 v[106:107], -v[100:101], v[102:103], 1.0
	v_fma_f64 v[102:103], v[102:103], v[106:107], v[102:103]
	v_mul_f64 v[106:107], v[104:105], v[102:103]
	v_fma_f64 v[100:101], -v[100:101], v[106:107], v[104:105]
	v_div_fmas_f64 v[100:101], v[100:101], v[102:103], v[106:107]
	v_div_fixup_f64 v[100:101], v[100:101], v[86:87], v[88:89]
	v_fma_f64 v[86:87], v[88:89], v[100:101], v[86:87]
	v_div_scale_f64 v[88:89], s[20:21], v[86:87], v[86:87], 1.0
	v_div_scale_f64 v[106:107], vcc, 1.0, v[86:87], 1.0
	v_rcp_f64_e32 v[102:103], v[88:89]
	v_fma_f64 v[104:105], -v[88:89], v[102:103], 1.0
	v_fma_f64 v[102:103], v[102:103], v[104:105], v[102:103]
	v_fma_f64 v[104:105], -v[88:89], v[102:103], 1.0
	v_fma_f64 v[102:103], v[102:103], v[104:105], v[102:103]
	v_mul_f64 v[104:105], v[106:107], v[102:103]
	v_fma_f64 v[88:89], -v[88:89], v[104:105], v[106:107]
	v_div_fmas_f64 v[88:89], v[88:89], v[102:103], v[104:105]
	v_div_fixup_f64 v[86:87], v[88:89], v[86:87], 1.0
	v_mul_f64 v[88:89], v[100:101], -v[86:87]
.LBB40_72:
	s_or_b64 exec, exec, s[8:9]
.LBB40_73:
	s_or_b64 exec, exec, s[0:1]
	v_cmp_ne_u32_e32 vcc, v96, v94
	s_and_saveexec_b64 s[0:1], vcc
	s_xor_b64 s[0:1], exec, s[0:1]
	s_cbranch_execz .LBB40_79
; %bb.74:
	v_cmp_eq_u32_e32 vcc, 3, v96
	s_and_saveexec_b64 s[8:9], vcc
	s_cbranch_execz .LBB40_78
; %bb.75:
	v_cmp_ne_u32_e32 vcc, 3, v94
	s_xor_b64 s[20:21], s[18:19], -1
	s_and_b64 s[24:25], s[20:21], vcc
	s_and_saveexec_b64 s[20:21], s[24:25]
	s_cbranch_execz .LBB40_77
; %bb.76:
	v_ashrrev_i32_e32 v95, 31, v94
	v_lshlrev_b64 v[95:96], 2, v[94:95]
	v_add_co_u32_e32 v95, vcc, v92, v95
	v_addc_co_u32_e32 v96, vcc, v93, v96, vcc
	global_load_dword v0, v[95:96], off
	global_load_dword v100, v[92:93], off offset:12
	s_waitcnt vmcnt(1)
	global_store_dword v[92:93], v0, off offset:12
	s_waitcnt vmcnt(1)
	global_store_dword v[95:96], v100, off
.LBB40_77:
	s_or_b64 exec, exec, s[20:21]
	v_mov_b32_e32 v96, v94
	v_mov_b32_e32 v0, v94
.LBB40_78:
	s_or_b64 exec, exec, s[8:9]
.LBB40_79:
	s_andn2_saveexec_b64 s[0:1], s[0:1]
	s_cbranch_execz .LBB40_81
; %bb.80:
	v_mov_b32_e32 v96, 3
	ds_write2_b64 v1, v[62:63], v[64:65] offset0:8 offset1:9
	ds_write2_b64 v1, v[58:59], v[60:61] offset0:10 offset1:11
	;; [unrolled: 1-line block ×17, first 2 shown]
.LBB40_81:
	s_or_b64 exec, exec, s[0:1]
	v_cmp_lt_i32_e32 vcc, 3, v96
	s_waitcnt vmcnt(0) lgkmcnt(0)
	s_barrier
	s_and_saveexec_b64 s[0:1], vcc
	s_cbranch_execz .LBB40_83
; %bb.82:
	v_mul_f64 v[94:95], v[88:89], v[68:69]
	v_mul_f64 v[68:69], v[86:87], v[68:69]
	v_fma_f64 v[94:95], v[86:87], v[66:67], -v[94:95]
	v_fma_f64 v[68:69], v[88:89], v[66:67], v[68:69]
	ds_read2_b64 v[86:89], v1 offset0:8 offset1:9
	s_waitcnt lgkmcnt(0)
	v_mul_f64 v[66:67], v[88:89], v[68:69]
	v_fma_f64 v[66:67], v[86:87], v[94:95], -v[66:67]
	v_mul_f64 v[86:87], v[86:87], v[68:69]
	v_add_f64 v[62:63], v[62:63], -v[66:67]
	v_fma_f64 v[86:87], v[88:89], v[94:95], v[86:87]
	v_add_f64 v[64:65], v[64:65], -v[86:87]
	ds_read2_b64 v[86:89], v1 offset0:10 offset1:11
	s_waitcnt lgkmcnt(0)
	v_mul_f64 v[66:67], v[88:89], v[68:69]
	v_fma_f64 v[66:67], v[86:87], v[94:95], -v[66:67]
	v_mul_f64 v[86:87], v[86:87], v[68:69]
	v_add_f64 v[58:59], v[58:59], -v[66:67]
	v_fma_f64 v[86:87], v[88:89], v[94:95], v[86:87]
	v_add_f64 v[60:61], v[60:61], -v[86:87]
	;; [unrolled: 8-line block ×16, first 2 shown]
	ds_read2_b64 v[86:89], v1 offset0:40 offset1:41
	s_waitcnt lgkmcnt(0)
	v_mul_f64 v[66:67], v[88:89], v[68:69]
	v_fma_f64 v[66:67], v[86:87], v[94:95], -v[66:67]
	v_mul_f64 v[86:87], v[86:87], v[68:69]
	v_add_f64 v[82:83], v[82:83], -v[66:67]
	v_fma_f64 v[86:87], v[88:89], v[94:95], v[86:87]
	v_mov_b32_e32 v66, v94
	v_mov_b32_e32 v67, v95
	v_add_f64 v[84:85], v[84:85], -v[86:87]
.LBB40_83:
	s_or_b64 exec, exec, s[0:1]
	v_lshl_add_u32 v86, v96, 4, v1
	s_barrier
	ds_write2_b64 v86, v[62:63], v[64:65] offset1:1
	s_waitcnt lgkmcnt(0)
	s_barrier
	ds_read2_b64 v[86:89], v1 offset0:8 offset1:9
	s_cmp_lt_i32 s22, 6
	v_mov_b32_e32 v94, 4
	s_cbranch_scc1 .LBB40_86
; %bb.84:
	v_mov_b32_e32 v94, 4
	v_add_u32_e32 v95, 0x50, v1
	s_mov_b32 s7, 5
.LBB40_85:                              ; =>This Inner Loop Header: Depth=1
	s_waitcnt lgkmcnt(0)
	v_cmp_gt_f64_e32 vcc, 0, v[88:89]
	v_cmp_gt_f64_e64 s[0:1], 0, v[86:87]
	ds_read2_b64 v[100:103], v95 offset1:1
	v_xor_b32_e32 v105, 0x80000000, v87
	v_xor_b32_e32 v107, 0x80000000, v89
	v_mov_b32_e32 v104, v86
	v_mov_b32_e32 v106, v88
	s_waitcnt lgkmcnt(0)
	v_xor_b32_e32 v109, 0x80000000, v103
	v_cndmask_b32_e32 v107, v89, v107, vcc
	v_cndmask_b32_e64 v105, v87, v105, s[0:1]
	v_cmp_gt_f64_e32 vcc, 0, v[102:103]
	v_cmp_gt_f64_e64 s[0:1], 0, v[100:101]
	v_add_f64 v[104:105], v[104:105], v[106:107]
	v_xor_b32_e32 v107, 0x80000000, v101
	v_mov_b32_e32 v106, v100
	v_mov_b32_e32 v108, v102
	v_add_u32_e32 v95, 16, v95
	v_cndmask_b32_e32 v109, v103, v109, vcc
	v_cndmask_b32_e64 v107, v101, v107, s[0:1]
	v_add_f64 v[106:107], v[106:107], v[108:109]
	v_mov_b32_e32 v108, s7
	s_add_i32 s7, s7, 1
	s_cmp_lg_u32 s22, s7
	v_cmp_lt_f64_e32 vcc, v[104:105], v[106:107]
	v_cndmask_b32_e32 v87, v87, v101, vcc
	v_cndmask_b32_e32 v86, v86, v100, vcc
	v_cndmask_b32_e32 v89, v89, v103, vcc
	v_cndmask_b32_e32 v88, v88, v102, vcc
	v_cndmask_b32_e32 v94, v94, v108, vcc
	s_cbranch_scc1 .LBB40_85
.LBB40_86:
	s_waitcnt lgkmcnt(0)
	v_cmp_eq_f64_e32 vcc, 0, v[86:87]
	v_cmp_eq_f64_e64 s[0:1], 0, v[88:89]
	s_and_b64 s[0:1], vcc, s[0:1]
	s_and_saveexec_b64 s[8:9], s[0:1]
	s_xor_b64 s[0:1], exec, s[8:9]
; %bb.87:
	v_cmp_ne_u32_e32 vcc, 0, v99
	v_cndmask_b32_e32 v99, 5, v99, vcc
; %bb.88:
	s_andn2_saveexec_b64 s[0:1], s[0:1]
	s_cbranch_execz .LBB40_94
; %bb.89:
	v_cmp_ngt_f64_e64 s[8:9], |v[86:87]|, |v[88:89]|
	s_and_saveexec_b64 s[20:21], s[8:9]
	s_xor_b64 s[8:9], exec, s[20:21]
	s_cbranch_execz .LBB40_91
; %bb.90:
	v_div_scale_f64 v[100:101], s[20:21], v[88:89], v[88:89], v[86:87]
	v_rcp_f64_e32 v[102:103], v[100:101]
	v_fma_f64 v[104:105], -v[100:101], v[102:103], 1.0
	v_fma_f64 v[102:103], v[102:103], v[104:105], v[102:103]
	v_div_scale_f64 v[104:105], vcc, v[86:87], v[88:89], v[86:87]
	v_fma_f64 v[106:107], -v[100:101], v[102:103], 1.0
	v_fma_f64 v[102:103], v[102:103], v[106:107], v[102:103]
	v_mul_f64 v[106:107], v[104:105], v[102:103]
	v_fma_f64 v[100:101], -v[100:101], v[106:107], v[104:105]
	v_div_fmas_f64 v[100:101], v[100:101], v[102:103], v[106:107]
	v_div_fixup_f64 v[100:101], v[100:101], v[88:89], v[86:87]
	v_fma_f64 v[86:87], v[86:87], v[100:101], v[88:89]
	v_div_scale_f64 v[88:89], s[20:21], v[86:87], v[86:87], 1.0
	v_div_scale_f64 v[106:107], vcc, 1.0, v[86:87], 1.0
	v_rcp_f64_e32 v[102:103], v[88:89]
	v_fma_f64 v[104:105], -v[88:89], v[102:103], 1.0
	v_fma_f64 v[102:103], v[102:103], v[104:105], v[102:103]
	v_fma_f64 v[104:105], -v[88:89], v[102:103], 1.0
	v_fma_f64 v[102:103], v[102:103], v[104:105], v[102:103]
	v_mul_f64 v[104:105], v[106:107], v[102:103]
	v_fma_f64 v[88:89], -v[88:89], v[104:105], v[106:107]
	v_div_fmas_f64 v[88:89], v[88:89], v[102:103], v[104:105]
	v_div_fixup_f64 v[88:89], v[88:89], v[86:87], 1.0
	v_mul_f64 v[86:87], v[100:101], v[88:89]
	v_xor_b32_e32 v89, 0x80000000, v89
.LBB40_91:
	s_andn2_saveexec_b64 s[8:9], s[8:9]
	s_cbranch_execz .LBB40_93
; %bb.92:
	v_div_scale_f64 v[100:101], s[20:21], v[86:87], v[86:87], v[88:89]
	v_rcp_f64_e32 v[102:103], v[100:101]
	v_fma_f64 v[104:105], -v[100:101], v[102:103], 1.0
	v_fma_f64 v[102:103], v[102:103], v[104:105], v[102:103]
	v_div_scale_f64 v[104:105], vcc, v[88:89], v[86:87], v[88:89]
	v_fma_f64 v[106:107], -v[100:101], v[102:103], 1.0
	v_fma_f64 v[102:103], v[102:103], v[106:107], v[102:103]
	v_mul_f64 v[106:107], v[104:105], v[102:103]
	v_fma_f64 v[100:101], -v[100:101], v[106:107], v[104:105]
	v_div_fmas_f64 v[100:101], v[100:101], v[102:103], v[106:107]
	v_div_fixup_f64 v[100:101], v[100:101], v[86:87], v[88:89]
	v_fma_f64 v[86:87], v[88:89], v[100:101], v[86:87]
	v_div_scale_f64 v[88:89], s[20:21], v[86:87], v[86:87], 1.0
	v_div_scale_f64 v[106:107], vcc, 1.0, v[86:87], 1.0
	v_rcp_f64_e32 v[102:103], v[88:89]
	v_fma_f64 v[104:105], -v[88:89], v[102:103], 1.0
	v_fma_f64 v[102:103], v[102:103], v[104:105], v[102:103]
	v_fma_f64 v[104:105], -v[88:89], v[102:103], 1.0
	v_fma_f64 v[102:103], v[102:103], v[104:105], v[102:103]
	v_mul_f64 v[104:105], v[106:107], v[102:103]
	v_fma_f64 v[88:89], -v[88:89], v[104:105], v[106:107]
	v_div_fmas_f64 v[88:89], v[88:89], v[102:103], v[104:105]
	v_div_fixup_f64 v[86:87], v[88:89], v[86:87], 1.0
	v_mul_f64 v[88:89], v[100:101], -v[86:87]
.LBB40_93:
	s_or_b64 exec, exec, s[8:9]
.LBB40_94:
	s_or_b64 exec, exec, s[0:1]
	v_cmp_ne_u32_e32 vcc, v96, v94
	s_and_saveexec_b64 s[0:1], vcc
	s_xor_b64 s[0:1], exec, s[0:1]
	s_cbranch_execz .LBB40_100
; %bb.95:
	v_cmp_eq_u32_e32 vcc, 4, v96
	s_and_saveexec_b64 s[8:9], vcc
	s_cbranch_execz .LBB40_99
; %bb.96:
	v_cmp_ne_u32_e32 vcc, 4, v94
	s_xor_b64 s[20:21], s[18:19], -1
	s_and_b64 s[24:25], s[20:21], vcc
	s_and_saveexec_b64 s[20:21], s[24:25]
	s_cbranch_execz .LBB40_98
; %bb.97:
	v_ashrrev_i32_e32 v95, 31, v94
	v_lshlrev_b64 v[95:96], 2, v[94:95]
	v_add_co_u32_e32 v95, vcc, v92, v95
	v_addc_co_u32_e32 v96, vcc, v93, v96, vcc
	global_load_dword v0, v[95:96], off
	global_load_dword v100, v[92:93], off offset:16
	s_waitcnt vmcnt(1)
	global_store_dword v[92:93], v0, off offset:16
	s_waitcnt vmcnt(1)
	global_store_dword v[95:96], v100, off
.LBB40_98:
	s_or_b64 exec, exec, s[20:21]
	v_mov_b32_e32 v96, v94
	v_mov_b32_e32 v0, v94
.LBB40_99:
	s_or_b64 exec, exec, s[8:9]
.LBB40_100:
	s_andn2_saveexec_b64 s[0:1], s[0:1]
	s_cbranch_execz .LBB40_102
; %bb.101:
	v_mov_b32_e32 v96, 4
	ds_write2_b64 v1, v[58:59], v[60:61] offset0:10 offset1:11
	ds_write2_b64 v1, v[54:55], v[56:57] offset0:12 offset1:13
	;; [unrolled: 1-line block ×16, first 2 shown]
.LBB40_102:
	s_or_b64 exec, exec, s[0:1]
	v_cmp_lt_i32_e32 vcc, 4, v96
	s_waitcnt vmcnt(0) lgkmcnt(0)
	s_barrier
	s_and_saveexec_b64 s[0:1], vcc
	s_cbranch_execz .LBB40_104
; %bb.103:
	v_mul_f64 v[94:95], v[86:87], v[64:65]
	v_mul_f64 v[64:65], v[88:89], v[64:65]
	v_fma_f64 v[94:95], v[88:89], v[62:63], v[94:95]
	v_fma_f64 v[62:63], v[86:87], v[62:63], -v[64:65]
	ds_read2_b64 v[86:89], v1 offset0:10 offset1:11
	s_waitcnt lgkmcnt(0)
	v_mul_f64 v[64:65], v[88:89], v[94:95]
	v_fma_f64 v[64:65], v[86:87], v[62:63], -v[64:65]
	v_mul_f64 v[86:87], v[86:87], v[94:95]
	v_add_f64 v[58:59], v[58:59], -v[64:65]
	v_fma_f64 v[86:87], v[88:89], v[62:63], v[86:87]
	v_add_f64 v[60:61], v[60:61], -v[86:87]
	ds_read2_b64 v[86:89], v1 offset0:12 offset1:13
	s_waitcnt lgkmcnt(0)
	v_mul_f64 v[64:65], v[88:89], v[94:95]
	v_fma_f64 v[64:65], v[86:87], v[62:63], -v[64:65]
	v_mul_f64 v[86:87], v[86:87], v[94:95]
	v_add_f64 v[54:55], v[54:55], -v[64:65]
	v_fma_f64 v[86:87], v[88:89], v[62:63], v[86:87]
	v_add_f64 v[56:57], v[56:57], -v[86:87]
	;; [unrolled: 8-line block ×15, first 2 shown]
	ds_read2_b64 v[86:89], v1 offset0:40 offset1:41
	s_waitcnt lgkmcnt(0)
	v_mul_f64 v[64:65], v[88:89], v[94:95]
	v_fma_f64 v[64:65], v[86:87], v[62:63], -v[64:65]
	v_mul_f64 v[86:87], v[86:87], v[94:95]
	v_add_f64 v[82:83], v[82:83], -v[64:65]
	v_fma_f64 v[86:87], v[88:89], v[62:63], v[86:87]
	v_mov_b32_e32 v64, v94
	v_mov_b32_e32 v65, v95
	v_add_f64 v[84:85], v[84:85], -v[86:87]
.LBB40_104:
	s_or_b64 exec, exec, s[0:1]
	v_lshl_add_u32 v86, v96, 4, v1
	s_barrier
	ds_write2_b64 v86, v[58:59], v[60:61] offset1:1
	s_waitcnt lgkmcnt(0)
	s_barrier
	ds_read2_b64 v[86:89], v1 offset0:10 offset1:11
	s_cmp_lt_i32 s22, 7
	v_mov_b32_e32 v94, 5
	s_cbranch_scc1 .LBB40_107
; %bb.105:
	v_add_u32_e32 v95, 0x60, v1
	s_mov_b32 s7, 6
	v_mov_b32_e32 v94, 5
.LBB40_106:                             ; =>This Inner Loop Header: Depth=1
	s_waitcnt lgkmcnt(0)
	v_cmp_gt_f64_e32 vcc, 0, v[88:89]
	v_cmp_gt_f64_e64 s[0:1], 0, v[86:87]
	ds_read2_b64 v[100:103], v95 offset1:1
	v_xor_b32_e32 v105, 0x80000000, v87
	v_xor_b32_e32 v107, 0x80000000, v89
	v_mov_b32_e32 v104, v86
	v_mov_b32_e32 v106, v88
	s_waitcnt lgkmcnt(0)
	v_xor_b32_e32 v109, 0x80000000, v103
	v_cndmask_b32_e32 v107, v89, v107, vcc
	v_cndmask_b32_e64 v105, v87, v105, s[0:1]
	v_cmp_gt_f64_e32 vcc, 0, v[102:103]
	v_cmp_gt_f64_e64 s[0:1], 0, v[100:101]
	v_add_f64 v[104:105], v[104:105], v[106:107]
	v_xor_b32_e32 v107, 0x80000000, v101
	v_mov_b32_e32 v106, v100
	v_mov_b32_e32 v108, v102
	v_add_u32_e32 v95, 16, v95
	v_cndmask_b32_e32 v109, v103, v109, vcc
	v_cndmask_b32_e64 v107, v101, v107, s[0:1]
	v_add_f64 v[106:107], v[106:107], v[108:109]
	v_mov_b32_e32 v108, s7
	s_add_i32 s7, s7, 1
	s_cmp_lg_u32 s22, s7
	v_cmp_lt_f64_e32 vcc, v[104:105], v[106:107]
	v_cndmask_b32_e32 v87, v87, v101, vcc
	v_cndmask_b32_e32 v86, v86, v100, vcc
	;; [unrolled: 1-line block ×5, first 2 shown]
	s_cbranch_scc1 .LBB40_106
.LBB40_107:
	s_waitcnt lgkmcnt(0)
	v_cmp_eq_f64_e32 vcc, 0, v[86:87]
	v_cmp_eq_f64_e64 s[0:1], 0, v[88:89]
	s_and_b64 s[0:1], vcc, s[0:1]
	s_and_saveexec_b64 s[8:9], s[0:1]
	s_xor_b64 s[0:1], exec, s[8:9]
; %bb.108:
	v_cmp_ne_u32_e32 vcc, 0, v99
	v_cndmask_b32_e32 v99, 6, v99, vcc
; %bb.109:
	s_andn2_saveexec_b64 s[0:1], s[0:1]
	s_cbranch_execz .LBB40_115
; %bb.110:
	v_cmp_ngt_f64_e64 s[8:9], |v[86:87]|, |v[88:89]|
	s_and_saveexec_b64 s[20:21], s[8:9]
	s_xor_b64 s[8:9], exec, s[20:21]
	s_cbranch_execz .LBB40_112
; %bb.111:
	v_div_scale_f64 v[100:101], s[20:21], v[88:89], v[88:89], v[86:87]
	v_rcp_f64_e32 v[102:103], v[100:101]
	v_fma_f64 v[104:105], -v[100:101], v[102:103], 1.0
	v_fma_f64 v[102:103], v[102:103], v[104:105], v[102:103]
	v_div_scale_f64 v[104:105], vcc, v[86:87], v[88:89], v[86:87]
	v_fma_f64 v[106:107], -v[100:101], v[102:103], 1.0
	v_fma_f64 v[102:103], v[102:103], v[106:107], v[102:103]
	v_mul_f64 v[106:107], v[104:105], v[102:103]
	v_fma_f64 v[100:101], -v[100:101], v[106:107], v[104:105]
	v_div_fmas_f64 v[100:101], v[100:101], v[102:103], v[106:107]
	v_div_fixup_f64 v[100:101], v[100:101], v[88:89], v[86:87]
	v_fma_f64 v[86:87], v[86:87], v[100:101], v[88:89]
	v_div_scale_f64 v[88:89], s[20:21], v[86:87], v[86:87], 1.0
	v_div_scale_f64 v[106:107], vcc, 1.0, v[86:87], 1.0
	v_rcp_f64_e32 v[102:103], v[88:89]
	v_fma_f64 v[104:105], -v[88:89], v[102:103], 1.0
	v_fma_f64 v[102:103], v[102:103], v[104:105], v[102:103]
	v_fma_f64 v[104:105], -v[88:89], v[102:103], 1.0
	v_fma_f64 v[102:103], v[102:103], v[104:105], v[102:103]
	v_mul_f64 v[104:105], v[106:107], v[102:103]
	v_fma_f64 v[88:89], -v[88:89], v[104:105], v[106:107]
	v_div_fmas_f64 v[88:89], v[88:89], v[102:103], v[104:105]
	v_div_fixup_f64 v[88:89], v[88:89], v[86:87], 1.0
	v_mul_f64 v[86:87], v[100:101], v[88:89]
	v_xor_b32_e32 v89, 0x80000000, v89
.LBB40_112:
	s_andn2_saveexec_b64 s[8:9], s[8:9]
	s_cbranch_execz .LBB40_114
; %bb.113:
	v_div_scale_f64 v[100:101], s[20:21], v[86:87], v[86:87], v[88:89]
	v_rcp_f64_e32 v[102:103], v[100:101]
	v_fma_f64 v[104:105], -v[100:101], v[102:103], 1.0
	v_fma_f64 v[102:103], v[102:103], v[104:105], v[102:103]
	v_div_scale_f64 v[104:105], vcc, v[88:89], v[86:87], v[88:89]
	v_fma_f64 v[106:107], -v[100:101], v[102:103], 1.0
	v_fma_f64 v[102:103], v[102:103], v[106:107], v[102:103]
	v_mul_f64 v[106:107], v[104:105], v[102:103]
	v_fma_f64 v[100:101], -v[100:101], v[106:107], v[104:105]
	v_div_fmas_f64 v[100:101], v[100:101], v[102:103], v[106:107]
	v_div_fixup_f64 v[100:101], v[100:101], v[86:87], v[88:89]
	v_fma_f64 v[86:87], v[88:89], v[100:101], v[86:87]
	v_div_scale_f64 v[88:89], s[20:21], v[86:87], v[86:87], 1.0
	v_div_scale_f64 v[106:107], vcc, 1.0, v[86:87], 1.0
	v_rcp_f64_e32 v[102:103], v[88:89]
	v_fma_f64 v[104:105], -v[88:89], v[102:103], 1.0
	v_fma_f64 v[102:103], v[102:103], v[104:105], v[102:103]
	v_fma_f64 v[104:105], -v[88:89], v[102:103], 1.0
	v_fma_f64 v[102:103], v[102:103], v[104:105], v[102:103]
	v_mul_f64 v[104:105], v[106:107], v[102:103]
	v_fma_f64 v[88:89], -v[88:89], v[104:105], v[106:107]
	v_div_fmas_f64 v[88:89], v[88:89], v[102:103], v[104:105]
	v_div_fixup_f64 v[86:87], v[88:89], v[86:87], 1.0
	v_mul_f64 v[88:89], v[100:101], -v[86:87]
.LBB40_114:
	s_or_b64 exec, exec, s[8:9]
.LBB40_115:
	s_or_b64 exec, exec, s[0:1]
	v_cmp_ne_u32_e32 vcc, v96, v94
	s_and_saveexec_b64 s[0:1], vcc
	s_xor_b64 s[0:1], exec, s[0:1]
	s_cbranch_execz .LBB40_121
; %bb.116:
	v_cmp_eq_u32_e32 vcc, 5, v96
	s_and_saveexec_b64 s[8:9], vcc
	s_cbranch_execz .LBB40_120
; %bb.117:
	v_cmp_ne_u32_e32 vcc, 5, v94
	s_xor_b64 s[20:21], s[18:19], -1
	s_and_b64 s[24:25], s[20:21], vcc
	s_and_saveexec_b64 s[20:21], s[24:25]
	s_cbranch_execz .LBB40_119
; %bb.118:
	v_ashrrev_i32_e32 v95, 31, v94
	v_lshlrev_b64 v[95:96], 2, v[94:95]
	v_add_co_u32_e32 v95, vcc, v92, v95
	v_addc_co_u32_e32 v96, vcc, v93, v96, vcc
	global_load_dword v0, v[95:96], off
	global_load_dword v100, v[92:93], off offset:20
	s_waitcnt vmcnt(1)
	global_store_dword v[92:93], v0, off offset:20
	s_waitcnt vmcnt(1)
	global_store_dword v[95:96], v100, off
.LBB40_119:
	s_or_b64 exec, exec, s[20:21]
	v_mov_b32_e32 v96, v94
	v_mov_b32_e32 v0, v94
.LBB40_120:
	s_or_b64 exec, exec, s[8:9]
.LBB40_121:
	s_andn2_saveexec_b64 s[0:1], s[0:1]
	s_cbranch_execz .LBB40_123
; %bb.122:
	v_mov_b32_e32 v96, 5
	ds_write2_b64 v1, v[54:55], v[56:57] offset0:12 offset1:13
	ds_write2_b64 v1, v[50:51], v[52:53] offset0:14 offset1:15
	;; [unrolled: 1-line block ×15, first 2 shown]
.LBB40_123:
	s_or_b64 exec, exec, s[0:1]
	v_cmp_lt_i32_e32 vcc, 5, v96
	s_waitcnt vmcnt(0) lgkmcnt(0)
	s_barrier
	s_and_saveexec_b64 s[0:1], vcc
	s_cbranch_execz .LBB40_125
; %bb.124:
	v_mul_f64 v[94:95], v[86:87], v[60:61]
	v_mul_f64 v[60:61], v[88:89], v[60:61]
	v_fma_f64 v[94:95], v[88:89], v[58:59], v[94:95]
	v_fma_f64 v[58:59], v[86:87], v[58:59], -v[60:61]
	ds_read2_b64 v[86:89], v1 offset0:12 offset1:13
	s_waitcnt lgkmcnt(0)
	v_mul_f64 v[60:61], v[88:89], v[94:95]
	v_fma_f64 v[60:61], v[86:87], v[58:59], -v[60:61]
	v_mul_f64 v[86:87], v[86:87], v[94:95]
	v_add_f64 v[54:55], v[54:55], -v[60:61]
	v_fma_f64 v[86:87], v[88:89], v[58:59], v[86:87]
	v_add_f64 v[56:57], v[56:57], -v[86:87]
	ds_read2_b64 v[86:89], v1 offset0:14 offset1:15
	s_waitcnt lgkmcnt(0)
	v_mul_f64 v[60:61], v[88:89], v[94:95]
	v_fma_f64 v[60:61], v[86:87], v[58:59], -v[60:61]
	v_mul_f64 v[86:87], v[86:87], v[94:95]
	v_add_f64 v[50:51], v[50:51], -v[60:61]
	v_fma_f64 v[86:87], v[88:89], v[58:59], v[86:87]
	v_add_f64 v[52:53], v[52:53], -v[86:87]
	;; [unrolled: 8-line block ×14, first 2 shown]
	ds_read2_b64 v[86:89], v1 offset0:40 offset1:41
	s_waitcnt lgkmcnt(0)
	v_mul_f64 v[60:61], v[88:89], v[94:95]
	v_fma_f64 v[60:61], v[86:87], v[58:59], -v[60:61]
	v_mul_f64 v[86:87], v[86:87], v[94:95]
	v_add_f64 v[82:83], v[82:83], -v[60:61]
	v_fma_f64 v[86:87], v[88:89], v[58:59], v[86:87]
	v_mov_b32_e32 v60, v94
	v_mov_b32_e32 v61, v95
	v_add_f64 v[84:85], v[84:85], -v[86:87]
.LBB40_125:
	s_or_b64 exec, exec, s[0:1]
	v_lshl_add_u32 v86, v96, 4, v1
	s_barrier
	ds_write2_b64 v86, v[54:55], v[56:57] offset1:1
	s_waitcnt lgkmcnt(0)
	s_barrier
	ds_read2_b64 v[86:89], v1 offset0:12 offset1:13
	s_cmp_lt_i32 s22, 8
	v_mov_b32_e32 v94, 6
	s_cbranch_scc1 .LBB40_128
; %bb.126:
	v_add_u32_e32 v95, 0x70, v1
	s_mov_b32 s7, 7
	v_mov_b32_e32 v94, 6
.LBB40_127:                             ; =>This Inner Loop Header: Depth=1
	s_waitcnt lgkmcnt(0)
	v_cmp_gt_f64_e32 vcc, 0, v[88:89]
	v_cmp_gt_f64_e64 s[0:1], 0, v[86:87]
	ds_read2_b64 v[100:103], v95 offset1:1
	v_xor_b32_e32 v105, 0x80000000, v87
	v_xor_b32_e32 v107, 0x80000000, v89
	v_mov_b32_e32 v104, v86
	v_mov_b32_e32 v106, v88
	s_waitcnt lgkmcnt(0)
	v_xor_b32_e32 v109, 0x80000000, v103
	v_cndmask_b32_e32 v107, v89, v107, vcc
	v_cndmask_b32_e64 v105, v87, v105, s[0:1]
	v_cmp_gt_f64_e32 vcc, 0, v[102:103]
	v_cmp_gt_f64_e64 s[0:1], 0, v[100:101]
	v_add_f64 v[104:105], v[104:105], v[106:107]
	v_xor_b32_e32 v107, 0x80000000, v101
	v_mov_b32_e32 v106, v100
	v_mov_b32_e32 v108, v102
	v_add_u32_e32 v95, 16, v95
	v_cndmask_b32_e32 v109, v103, v109, vcc
	v_cndmask_b32_e64 v107, v101, v107, s[0:1]
	v_add_f64 v[106:107], v[106:107], v[108:109]
	v_mov_b32_e32 v108, s7
	s_add_i32 s7, s7, 1
	s_cmp_lg_u32 s22, s7
	v_cmp_lt_f64_e32 vcc, v[104:105], v[106:107]
	v_cndmask_b32_e32 v87, v87, v101, vcc
	v_cndmask_b32_e32 v86, v86, v100, vcc
	;; [unrolled: 1-line block ×5, first 2 shown]
	s_cbranch_scc1 .LBB40_127
.LBB40_128:
	s_waitcnt lgkmcnt(0)
	v_cmp_eq_f64_e32 vcc, 0, v[86:87]
	v_cmp_eq_f64_e64 s[0:1], 0, v[88:89]
	s_and_b64 s[0:1], vcc, s[0:1]
	s_and_saveexec_b64 s[8:9], s[0:1]
	s_xor_b64 s[0:1], exec, s[8:9]
; %bb.129:
	v_cmp_ne_u32_e32 vcc, 0, v99
	v_cndmask_b32_e32 v99, 7, v99, vcc
; %bb.130:
	s_andn2_saveexec_b64 s[0:1], s[0:1]
	s_cbranch_execz .LBB40_136
; %bb.131:
	v_cmp_ngt_f64_e64 s[8:9], |v[86:87]|, |v[88:89]|
	s_and_saveexec_b64 s[20:21], s[8:9]
	s_xor_b64 s[8:9], exec, s[20:21]
	s_cbranch_execz .LBB40_133
; %bb.132:
	v_div_scale_f64 v[100:101], s[20:21], v[88:89], v[88:89], v[86:87]
	v_rcp_f64_e32 v[102:103], v[100:101]
	v_fma_f64 v[104:105], -v[100:101], v[102:103], 1.0
	v_fma_f64 v[102:103], v[102:103], v[104:105], v[102:103]
	v_div_scale_f64 v[104:105], vcc, v[86:87], v[88:89], v[86:87]
	v_fma_f64 v[106:107], -v[100:101], v[102:103], 1.0
	v_fma_f64 v[102:103], v[102:103], v[106:107], v[102:103]
	v_mul_f64 v[106:107], v[104:105], v[102:103]
	v_fma_f64 v[100:101], -v[100:101], v[106:107], v[104:105]
	v_div_fmas_f64 v[100:101], v[100:101], v[102:103], v[106:107]
	v_div_fixup_f64 v[100:101], v[100:101], v[88:89], v[86:87]
	v_fma_f64 v[86:87], v[86:87], v[100:101], v[88:89]
	v_div_scale_f64 v[88:89], s[20:21], v[86:87], v[86:87], 1.0
	v_div_scale_f64 v[106:107], vcc, 1.0, v[86:87], 1.0
	v_rcp_f64_e32 v[102:103], v[88:89]
	v_fma_f64 v[104:105], -v[88:89], v[102:103], 1.0
	v_fma_f64 v[102:103], v[102:103], v[104:105], v[102:103]
	v_fma_f64 v[104:105], -v[88:89], v[102:103], 1.0
	v_fma_f64 v[102:103], v[102:103], v[104:105], v[102:103]
	v_mul_f64 v[104:105], v[106:107], v[102:103]
	v_fma_f64 v[88:89], -v[88:89], v[104:105], v[106:107]
	v_div_fmas_f64 v[88:89], v[88:89], v[102:103], v[104:105]
	v_div_fixup_f64 v[88:89], v[88:89], v[86:87], 1.0
	v_mul_f64 v[86:87], v[100:101], v[88:89]
	v_xor_b32_e32 v89, 0x80000000, v89
.LBB40_133:
	s_andn2_saveexec_b64 s[8:9], s[8:9]
	s_cbranch_execz .LBB40_135
; %bb.134:
	v_div_scale_f64 v[100:101], s[20:21], v[86:87], v[86:87], v[88:89]
	v_rcp_f64_e32 v[102:103], v[100:101]
	v_fma_f64 v[104:105], -v[100:101], v[102:103], 1.0
	v_fma_f64 v[102:103], v[102:103], v[104:105], v[102:103]
	v_div_scale_f64 v[104:105], vcc, v[88:89], v[86:87], v[88:89]
	v_fma_f64 v[106:107], -v[100:101], v[102:103], 1.0
	v_fma_f64 v[102:103], v[102:103], v[106:107], v[102:103]
	v_mul_f64 v[106:107], v[104:105], v[102:103]
	v_fma_f64 v[100:101], -v[100:101], v[106:107], v[104:105]
	v_div_fmas_f64 v[100:101], v[100:101], v[102:103], v[106:107]
	v_div_fixup_f64 v[100:101], v[100:101], v[86:87], v[88:89]
	v_fma_f64 v[86:87], v[88:89], v[100:101], v[86:87]
	v_div_scale_f64 v[88:89], s[20:21], v[86:87], v[86:87], 1.0
	v_div_scale_f64 v[106:107], vcc, 1.0, v[86:87], 1.0
	v_rcp_f64_e32 v[102:103], v[88:89]
	v_fma_f64 v[104:105], -v[88:89], v[102:103], 1.0
	v_fma_f64 v[102:103], v[102:103], v[104:105], v[102:103]
	v_fma_f64 v[104:105], -v[88:89], v[102:103], 1.0
	v_fma_f64 v[102:103], v[102:103], v[104:105], v[102:103]
	v_mul_f64 v[104:105], v[106:107], v[102:103]
	v_fma_f64 v[88:89], -v[88:89], v[104:105], v[106:107]
	v_div_fmas_f64 v[88:89], v[88:89], v[102:103], v[104:105]
	v_div_fixup_f64 v[86:87], v[88:89], v[86:87], 1.0
	v_mul_f64 v[88:89], v[100:101], -v[86:87]
.LBB40_135:
	s_or_b64 exec, exec, s[8:9]
.LBB40_136:
	s_or_b64 exec, exec, s[0:1]
	v_cmp_ne_u32_e32 vcc, v96, v94
	s_and_saveexec_b64 s[0:1], vcc
	s_xor_b64 s[0:1], exec, s[0:1]
	s_cbranch_execz .LBB40_142
; %bb.137:
	v_cmp_eq_u32_e32 vcc, 6, v96
	s_and_saveexec_b64 s[8:9], vcc
	s_cbranch_execz .LBB40_141
; %bb.138:
	v_cmp_ne_u32_e32 vcc, 6, v94
	s_xor_b64 s[20:21], s[18:19], -1
	s_and_b64 s[24:25], s[20:21], vcc
	s_and_saveexec_b64 s[20:21], s[24:25]
	s_cbranch_execz .LBB40_140
; %bb.139:
	v_ashrrev_i32_e32 v95, 31, v94
	v_lshlrev_b64 v[95:96], 2, v[94:95]
	v_add_co_u32_e32 v95, vcc, v92, v95
	v_addc_co_u32_e32 v96, vcc, v93, v96, vcc
	global_load_dword v0, v[95:96], off
	global_load_dword v100, v[92:93], off offset:24
	s_waitcnt vmcnt(1)
	global_store_dword v[92:93], v0, off offset:24
	s_waitcnt vmcnt(1)
	global_store_dword v[95:96], v100, off
.LBB40_140:
	s_or_b64 exec, exec, s[20:21]
	v_mov_b32_e32 v96, v94
	v_mov_b32_e32 v0, v94
.LBB40_141:
	s_or_b64 exec, exec, s[8:9]
.LBB40_142:
	s_andn2_saveexec_b64 s[0:1], s[0:1]
	s_cbranch_execz .LBB40_144
; %bb.143:
	v_mov_b32_e32 v96, 6
	ds_write2_b64 v1, v[50:51], v[52:53] offset0:14 offset1:15
	ds_write2_b64 v1, v[46:47], v[48:49] offset0:16 offset1:17
	;; [unrolled: 1-line block ×14, first 2 shown]
.LBB40_144:
	s_or_b64 exec, exec, s[0:1]
	v_cmp_lt_i32_e32 vcc, 6, v96
	s_waitcnt vmcnt(0) lgkmcnt(0)
	s_barrier
	s_and_saveexec_b64 s[0:1], vcc
	s_cbranch_execz .LBB40_146
; %bb.145:
	v_mul_f64 v[94:95], v[86:87], v[56:57]
	v_mul_f64 v[56:57], v[88:89], v[56:57]
	v_fma_f64 v[94:95], v[88:89], v[54:55], v[94:95]
	v_fma_f64 v[54:55], v[86:87], v[54:55], -v[56:57]
	ds_read2_b64 v[86:89], v1 offset0:14 offset1:15
	s_waitcnt lgkmcnt(0)
	v_mul_f64 v[56:57], v[88:89], v[94:95]
	v_fma_f64 v[56:57], v[86:87], v[54:55], -v[56:57]
	v_mul_f64 v[86:87], v[86:87], v[94:95]
	v_add_f64 v[50:51], v[50:51], -v[56:57]
	v_fma_f64 v[86:87], v[88:89], v[54:55], v[86:87]
	v_add_f64 v[52:53], v[52:53], -v[86:87]
	ds_read2_b64 v[86:89], v1 offset0:16 offset1:17
	s_waitcnt lgkmcnt(0)
	v_mul_f64 v[56:57], v[88:89], v[94:95]
	v_fma_f64 v[56:57], v[86:87], v[54:55], -v[56:57]
	v_mul_f64 v[86:87], v[86:87], v[94:95]
	v_add_f64 v[46:47], v[46:47], -v[56:57]
	v_fma_f64 v[86:87], v[88:89], v[54:55], v[86:87]
	v_add_f64 v[48:49], v[48:49], -v[86:87]
	;; [unrolled: 8-line block ×13, first 2 shown]
	ds_read2_b64 v[86:89], v1 offset0:40 offset1:41
	s_waitcnt lgkmcnt(0)
	v_mul_f64 v[56:57], v[88:89], v[94:95]
	v_fma_f64 v[56:57], v[86:87], v[54:55], -v[56:57]
	v_mul_f64 v[86:87], v[86:87], v[94:95]
	v_add_f64 v[82:83], v[82:83], -v[56:57]
	v_fma_f64 v[86:87], v[88:89], v[54:55], v[86:87]
	v_mov_b32_e32 v56, v94
	v_mov_b32_e32 v57, v95
	v_add_f64 v[84:85], v[84:85], -v[86:87]
.LBB40_146:
	s_or_b64 exec, exec, s[0:1]
	v_lshl_add_u32 v86, v96, 4, v1
	s_barrier
	ds_write2_b64 v86, v[50:51], v[52:53] offset1:1
	s_waitcnt lgkmcnt(0)
	s_barrier
	ds_read2_b64 v[86:89], v1 offset0:14 offset1:15
	s_cmp_lt_i32 s22, 9
	v_mov_b32_e32 v94, 7
	s_cbranch_scc1 .LBB40_149
; %bb.147:
	v_add_u32_e32 v95, 0x80, v1
	s_mov_b32 s7, 8
	v_mov_b32_e32 v94, 7
.LBB40_148:                             ; =>This Inner Loop Header: Depth=1
	s_waitcnt lgkmcnt(0)
	v_cmp_gt_f64_e32 vcc, 0, v[88:89]
	v_cmp_gt_f64_e64 s[0:1], 0, v[86:87]
	ds_read2_b64 v[100:103], v95 offset1:1
	v_xor_b32_e32 v105, 0x80000000, v87
	v_xor_b32_e32 v107, 0x80000000, v89
	v_mov_b32_e32 v104, v86
	v_mov_b32_e32 v106, v88
	s_waitcnt lgkmcnt(0)
	v_xor_b32_e32 v109, 0x80000000, v103
	v_cndmask_b32_e32 v107, v89, v107, vcc
	v_cndmask_b32_e64 v105, v87, v105, s[0:1]
	v_cmp_gt_f64_e32 vcc, 0, v[102:103]
	v_cmp_gt_f64_e64 s[0:1], 0, v[100:101]
	v_add_f64 v[104:105], v[104:105], v[106:107]
	v_xor_b32_e32 v107, 0x80000000, v101
	v_mov_b32_e32 v106, v100
	v_mov_b32_e32 v108, v102
	v_add_u32_e32 v95, 16, v95
	v_cndmask_b32_e32 v109, v103, v109, vcc
	v_cndmask_b32_e64 v107, v101, v107, s[0:1]
	v_add_f64 v[106:107], v[106:107], v[108:109]
	v_mov_b32_e32 v108, s7
	s_add_i32 s7, s7, 1
	s_cmp_lg_u32 s22, s7
	v_cmp_lt_f64_e32 vcc, v[104:105], v[106:107]
	v_cndmask_b32_e32 v87, v87, v101, vcc
	v_cndmask_b32_e32 v86, v86, v100, vcc
	;; [unrolled: 1-line block ×5, first 2 shown]
	s_cbranch_scc1 .LBB40_148
.LBB40_149:
	s_waitcnt lgkmcnt(0)
	v_cmp_eq_f64_e32 vcc, 0, v[86:87]
	v_cmp_eq_f64_e64 s[0:1], 0, v[88:89]
	s_and_b64 s[0:1], vcc, s[0:1]
	s_and_saveexec_b64 s[8:9], s[0:1]
	s_xor_b64 s[0:1], exec, s[8:9]
; %bb.150:
	v_cmp_ne_u32_e32 vcc, 0, v99
	v_cndmask_b32_e32 v99, 8, v99, vcc
; %bb.151:
	s_andn2_saveexec_b64 s[0:1], s[0:1]
	s_cbranch_execz .LBB40_157
; %bb.152:
	v_cmp_ngt_f64_e64 s[8:9], |v[86:87]|, |v[88:89]|
	s_and_saveexec_b64 s[20:21], s[8:9]
	s_xor_b64 s[8:9], exec, s[20:21]
	s_cbranch_execz .LBB40_154
; %bb.153:
	v_div_scale_f64 v[100:101], s[20:21], v[88:89], v[88:89], v[86:87]
	v_rcp_f64_e32 v[102:103], v[100:101]
	v_fma_f64 v[104:105], -v[100:101], v[102:103], 1.0
	v_fma_f64 v[102:103], v[102:103], v[104:105], v[102:103]
	v_div_scale_f64 v[104:105], vcc, v[86:87], v[88:89], v[86:87]
	v_fma_f64 v[106:107], -v[100:101], v[102:103], 1.0
	v_fma_f64 v[102:103], v[102:103], v[106:107], v[102:103]
	v_mul_f64 v[106:107], v[104:105], v[102:103]
	v_fma_f64 v[100:101], -v[100:101], v[106:107], v[104:105]
	v_div_fmas_f64 v[100:101], v[100:101], v[102:103], v[106:107]
	v_div_fixup_f64 v[100:101], v[100:101], v[88:89], v[86:87]
	v_fma_f64 v[86:87], v[86:87], v[100:101], v[88:89]
	v_div_scale_f64 v[88:89], s[20:21], v[86:87], v[86:87], 1.0
	v_div_scale_f64 v[106:107], vcc, 1.0, v[86:87], 1.0
	v_rcp_f64_e32 v[102:103], v[88:89]
	v_fma_f64 v[104:105], -v[88:89], v[102:103], 1.0
	v_fma_f64 v[102:103], v[102:103], v[104:105], v[102:103]
	v_fma_f64 v[104:105], -v[88:89], v[102:103], 1.0
	v_fma_f64 v[102:103], v[102:103], v[104:105], v[102:103]
	v_mul_f64 v[104:105], v[106:107], v[102:103]
	v_fma_f64 v[88:89], -v[88:89], v[104:105], v[106:107]
	v_div_fmas_f64 v[88:89], v[88:89], v[102:103], v[104:105]
	v_div_fixup_f64 v[88:89], v[88:89], v[86:87], 1.0
	v_mul_f64 v[86:87], v[100:101], v[88:89]
	v_xor_b32_e32 v89, 0x80000000, v89
.LBB40_154:
	s_andn2_saveexec_b64 s[8:9], s[8:9]
	s_cbranch_execz .LBB40_156
; %bb.155:
	v_div_scale_f64 v[100:101], s[20:21], v[86:87], v[86:87], v[88:89]
	v_rcp_f64_e32 v[102:103], v[100:101]
	v_fma_f64 v[104:105], -v[100:101], v[102:103], 1.0
	v_fma_f64 v[102:103], v[102:103], v[104:105], v[102:103]
	v_div_scale_f64 v[104:105], vcc, v[88:89], v[86:87], v[88:89]
	v_fma_f64 v[106:107], -v[100:101], v[102:103], 1.0
	v_fma_f64 v[102:103], v[102:103], v[106:107], v[102:103]
	v_mul_f64 v[106:107], v[104:105], v[102:103]
	v_fma_f64 v[100:101], -v[100:101], v[106:107], v[104:105]
	v_div_fmas_f64 v[100:101], v[100:101], v[102:103], v[106:107]
	v_div_fixup_f64 v[100:101], v[100:101], v[86:87], v[88:89]
	v_fma_f64 v[86:87], v[88:89], v[100:101], v[86:87]
	v_div_scale_f64 v[88:89], s[20:21], v[86:87], v[86:87], 1.0
	v_div_scale_f64 v[106:107], vcc, 1.0, v[86:87], 1.0
	v_rcp_f64_e32 v[102:103], v[88:89]
	v_fma_f64 v[104:105], -v[88:89], v[102:103], 1.0
	v_fma_f64 v[102:103], v[102:103], v[104:105], v[102:103]
	v_fma_f64 v[104:105], -v[88:89], v[102:103], 1.0
	v_fma_f64 v[102:103], v[102:103], v[104:105], v[102:103]
	v_mul_f64 v[104:105], v[106:107], v[102:103]
	v_fma_f64 v[88:89], -v[88:89], v[104:105], v[106:107]
	v_div_fmas_f64 v[88:89], v[88:89], v[102:103], v[104:105]
	v_div_fixup_f64 v[86:87], v[88:89], v[86:87], 1.0
	v_mul_f64 v[88:89], v[100:101], -v[86:87]
.LBB40_156:
	s_or_b64 exec, exec, s[8:9]
.LBB40_157:
	s_or_b64 exec, exec, s[0:1]
	v_cmp_ne_u32_e32 vcc, v96, v94
	s_and_saveexec_b64 s[0:1], vcc
	s_xor_b64 s[0:1], exec, s[0:1]
	s_cbranch_execz .LBB40_163
; %bb.158:
	v_cmp_eq_u32_e32 vcc, 7, v96
	s_and_saveexec_b64 s[8:9], vcc
	s_cbranch_execz .LBB40_162
; %bb.159:
	v_cmp_ne_u32_e32 vcc, 7, v94
	s_xor_b64 s[20:21], s[18:19], -1
	s_and_b64 s[24:25], s[20:21], vcc
	s_and_saveexec_b64 s[20:21], s[24:25]
	s_cbranch_execz .LBB40_161
; %bb.160:
	v_ashrrev_i32_e32 v95, 31, v94
	v_lshlrev_b64 v[95:96], 2, v[94:95]
	v_add_co_u32_e32 v95, vcc, v92, v95
	v_addc_co_u32_e32 v96, vcc, v93, v96, vcc
	global_load_dword v0, v[95:96], off
	global_load_dword v100, v[92:93], off offset:28
	s_waitcnt vmcnt(1)
	global_store_dword v[92:93], v0, off offset:28
	s_waitcnt vmcnt(1)
	global_store_dword v[95:96], v100, off
.LBB40_161:
	s_or_b64 exec, exec, s[20:21]
	v_mov_b32_e32 v96, v94
	v_mov_b32_e32 v0, v94
.LBB40_162:
	s_or_b64 exec, exec, s[8:9]
.LBB40_163:
	s_andn2_saveexec_b64 s[0:1], s[0:1]
	s_cbranch_execz .LBB40_165
; %bb.164:
	v_mov_b32_e32 v96, 7
	ds_write2_b64 v1, v[46:47], v[48:49] offset0:16 offset1:17
	ds_write2_b64 v1, v[42:43], v[44:45] offset0:18 offset1:19
	;; [unrolled: 1-line block ×13, first 2 shown]
.LBB40_165:
	s_or_b64 exec, exec, s[0:1]
	v_cmp_lt_i32_e32 vcc, 7, v96
	s_waitcnt vmcnt(0) lgkmcnt(0)
	s_barrier
	s_and_saveexec_b64 s[0:1], vcc
	s_cbranch_execz .LBB40_167
; %bb.166:
	v_mul_f64 v[94:95], v[86:87], v[52:53]
	v_mul_f64 v[52:53], v[88:89], v[52:53]
	v_fma_f64 v[94:95], v[88:89], v[50:51], v[94:95]
	v_fma_f64 v[50:51], v[86:87], v[50:51], -v[52:53]
	ds_read2_b64 v[86:89], v1 offset0:16 offset1:17
	s_waitcnt lgkmcnt(0)
	v_mul_f64 v[52:53], v[88:89], v[94:95]
	v_fma_f64 v[52:53], v[86:87], v[50:51], -v[52:53]
	v_mul_f64 v[86:87], v[86:87], v[94:95]
	v_add_f64 v[46:47], v[46:47], -v[52:53]
	v_fma_f64 v[86:87], v[88:89], v[50:51], v[86:87]
	v_add_f64 v[48:49], v[48:49], -v[86:87]
	ds_read2_b64 v[86:89], v1 offset0:18 offset1:19
	s_waitcnt lgkmcnt(0)
	v_mul_f64 v[52:53], v[88:89], v[94:95]
	v_fma_f64 v[52:53], v[86:87], v[50:51], -v[52:53]
	v_mul_f64 v[86:87], v[86:87], v[94:95]
	v_add_f64 v[42:43], v[42:43], -v[52:53]
	v_fma_f64 v[86:87], v[88:89], v[50:51], v[86:87]
	v_add_f64 v[44:45], v[44:45], -v[86:87]
	;; [unrolled: 8-line block ×12, first 2 shown]
	ds_read2_b64 v[86:89], v1 offset0:40 offset1:41
	s_waitcnt lgkmcnt(0)
	v_mul_f64 v[52:53], v[88:89], v[94:95]
	v_fma_f64 v[52:53], v[86:87], v[50:51], -v[52:53]
	v_mul_f64 v[86:87], v[86:87], v[94:95]
	v_add_f64 v[82:83], v[82:83], -v[52:53]
	v_fma_f64 v[86:87], v[88:89], v[50:51], v[86:87]
	v_mov_b32_e32 v52, v94
	v_mov_b32_e32 v53, v95
	v_add_f64 v[84:85], v[84:85], -v[86:87]
.LBB40_167:
	s_or_b64 exec, exec, s[0:1]
	v_lshl_add_u32 v86, v96, 4, v1
	s_barrier
	ds_write2_b64 v86, v[46:47], v[48:49] offset1:1
	s_waitcnt lgkmcnt(0)
	s_barrier
	ds_read2_b64 v[86:89], v1 offset0:16 offset1:17
	s_cmp_lt_i32 s22, 10
	v_mov_b32_e32 v94, 8
	s_cbranch_scc1 .LBB40_170
; %bb.168:
	v_add_u32_e32 v95, 0x90, v1
	s_mov_b32 s7, 9
	v_mov_b32_e32 v94, 8
.LBB40_169:                             ; =>This Inner Loop Header: Depth=1
	s_waitcnt lgkmcnt(0)
	v_cmp_gt_f64_e32 vcc, 0, v[88:89]
	v_cmp_gt_f64_e64 s[0:1], 0, v[86:87]
	ds_read2_b64 v[100:103], v95 offset1:1
	v_xor_b32_e32 v105, 0x80000000, v87
	v_xor_b32_e32 v107, 0x80000000, v89
	v_mov_b32_e32 v104, v86
	v_mov_b32_e32 v106, v88
	s_waitcnt lgkmcnt(0)
	v_xor_b32_e32 v109, 0x80000000, v103
	v_cndmask_b32_e32 v107, v89, v107, vcc
	v_cndmask_b32_e64 v105, v87, v105, s[0:1]
	v_cmp_gt_f64_e32 vcc, 0, v[102:103]
	v_cmp_gt_f64_e64 s[0:1], 0, v[100:101]
	v_add_f64 v[104:105], v[104:105], v[106:107]
	v_xor_b32_e32 v107, 0x80000000, v101
	v_mov_b32_e32 v106, v100
	v_mov_b32_e32 v108, v102
	v_add_u32_e32 v95, 16, v95
	v_cndmask_b32_e32 v109, v103, v109, vcc
	v_cndmask_b32_e64 v107, v101, v107, s[0:1]
	v_add_f64 v[106:107], v[106:107], v[108:109]
	v_mov_b32_e32 v108, s7
	s_add_i32 s7, s7, 1
	s_cmp_lg_u32 s22, s7
	v_cmp_lt_f64_e32 vcc, v[104:105], v[106:107]
	v_cndmask_b32_e32 v87, v87, v101, vcc
	v_cndmask_b32_e32 v86, v86, v100, vcc
	;; [unrolled: 1-line block ×5, first 2 shown]
	s_cbranch_scc1 .LBB40_169
.LBB40_170:
	s_waitcnt lgkmcnt(0)
	v_cmp_eq_f64_e32 vcc, 0, v[86:87]
	v_cmp_eq_f64_e64 s[0:1], 0, v[88:89]
	s_and_b64 s[0:1], vcc, s[0:1]
	s_and_saveexec_b64 s[8:9], s[0:1]
	s_xor_b64 s[0:1], exec, s[8:9]
; %bb.171:
	v_cmp_ne_u32_e32 vcc, 0, v99
	v_cndmask_b32_e32 v99, 9, v99, vcc
; %bb.172:
	s_andn2_saveexec_b64 s[0:1], s[0:1]
	s_cbranch_execz .LBB40_178
; %bb.173:
	v_cmp_ngt_f64_e64 s[8:9], |v[86:87]|, |v[88:89]|
	s_and_saveexec_b64 s[20:21], s[8:9]
	s_xor_b64 s[8:9], exec, s[20:21]
	s_cbranch_execz .LBB40_175
; %bb.174:
	v_div_scale_f64 v[100:101], s[20:21], v[88:89], v[88:89], v[86:87]
	v_rcp_f64_e32 v[102:103], v[100:101]
	v_fma_f64 v[104:105], -v[100:101], v[102:103], 1.0
	v_fma_f64 v[102:103], v[102:103], v[104:105], v[102:103]
	v_div_scale_f64 v[104:105], vcc, v[86:87], v[88:89], v[86:87]
	v_fma_f64 v[106:107], -v[100:101], v[102:103], 1.0
	v_fma_f64 v[102:103], v[102:103], v[106:107], v[102:103]
	v_mul_f64 v[106:107], v[104:105], v[102:103]
	v_fma_f64 v[100:101], -v[100:101], v[106:107], v[104:105]
	v_div_fmas_f64 v[100:101], v[100:101], v[102:103], v[106:107]
	v_div_fixup_f64 v[100:101], v[100:101], v[88:89], v[86:87]
	v_fma_f64 v[86:87], v[86:87], v[100:101], v[88:89]
	v_div_scale_f64 v[88:89], s[20:21], v[86:87], v[86:87], 1.0
	v_div_scale_f64 v[106:107], vcc, 1.0, v[86:87], 1.0
	v_rcp_f64_e32 v[102:103], v[88:89]
	v_fma_f64 v[104:105], -v[88:89], v[102:103], 1.0
	v_fma_f64 v[102:103], v[102:103], v[104:105], v[102:103]
	v_fma_f64 v[104:105], -v[88:89], v[102:103], 1.0
	v_fma_f64 v[102:103], v[102:103], v[104:105], v[102:103]
	v_mul_f64 v[104:105], v[106:107], v[102:103]
	v_fma_f64 v[88:89], -v[88:89], v[104:105], v[106:107]
	v_div_fmas_f64 v[88:89], v[88:89], v[102:103], v[104:105]
	v_div_fixup_f64 v[88:89], v[88:89], v[86:87], 1.0
	v_mul_f64 v[86:87], v[100:101], v[88:89]
	v_xor_b32_e32 v89, 0x80000000, v89
.LBB40_175:
	s_andn2_saveexec_b64 s[8:9], s[8:9]
	s_cbranch_execz .LBB40_177
; %bb.176:
	v_div_scale_f64 v[100:101], s[20:21], v[86:87], v[86:87], v[88:89]
	v_rcp_f64_e32 v[102:103], v[100:101]
	v_fma_f64 v[104:105], -v[100:101], v[102:103], 1.0
	v_fma_f64 v[102:103], v[102:103], v[104:105], v[102:103]
	v_div_scale_f64 v[104:105], vcc, v[88:89], v[86:87], v[88:89]
	v_fma_f64 v[106:107], -v[100:101], v[102:103], 1.0
	v_fma_f64 v[102:103], v[102:103], v[106:107], v[102:103]
	v_mul_f64 v[106:107], v[104:105], v[102:103]
	v_fma_f64 v[100:101], -v[100:101], v[106:107], v[104:105]
	v_div_fmas_f64 v[100:101], v[100:101], v[102:103], v[106:107]
	v_div_fixup_f64 v[100:101], v[100:101], v[86:87], v[88:89]
	v_fma_f64 v[86:87], v[88:89], v[100:101], v[86:87]
	v_div_scale_f64 v[88:89], s[20:21], v[86:87], v[86:87], 1.0
	v_div_scale_f64 v[106:107], vcc, 1.0, v[86:87], 1.0
	v_rcp_f64_e32 v[102:103], v[88:89]
	v_fma_f64 v[104:105], -v[88:89], v[102:103], 1.0
	v_fma_f64 v[102:103], v[102:103], v[104:105], v[102:103]
	v_fma_f64 v[104:105], -v[88:89], v[102:103], 1.0
	v_fma_f64 v[102:103], v[102:103], v[104:105], v[102:103]
	v_mul_f64 v[104:105], v[106:107], v[102:103]
	v_fma_f64 v[88:89], -v[88:89], v[104:105], v[106:107]
	v_div_fmas_f64 v[88:89], v[88:89], v[102:103], v[104:105]
	v_div_fixup_f64 v[86:87], v[88:89], v[86:87], 1.0
	v_mul_f64 v[88:89], v[100:101], -v[86:87]
.LBB40_177:
	s_or_b64 exec, exec, s[8:9]
.LBB40_178:
	s_or_b64 exec, exec, s[0:1]
	v_cmp_ne_u32_e32 vcc, v96, v94
	s_and_saveexec_b64 s[0:1], vcc
	s_xor_b64 s[0:1], exec, s[0:1]
	s_cbranch_execz .LBB40_184
; %bb.179:
	v_cmp_eq_u32_e32 vcc, 8, v96
	s_and_saveexec_b64 s[8:9], vcc
	s_cbranch_execz .LBB40_183
; %bb.180:
	v_cmp_ne_u32_e32 vcc, 8, v94
	s_xor_b64 s[20:21], s[18:19], -1
	s_and_b64 s[24:25], s[20:21], vcc
	s_and_saveexec_b64 s[20:21], s[24:25]
	s_cbranch_execz .LBB40_182
; %bb.181:
	v_ashrrev_i32_e32 v95, 31, v94
	v_lshlrev_b64 v[95:96], 2, v[94:95]
	v_add_co_u32_e32 v95, vcc, v92, v95
	v_addc_co_u32_e32 v96, vcc, v93, v96, vcc
	global_load_dword v0, v[95:96], off
	global_load_dword v100, v[92:93], off offset:32
	s_waitcnt vmcnt(1)
	global_store_dword v[92:93], v0, off offset:32
	s_waitcnt vmcnt(1)
	global_store_dword v[95:96], v100, off
.LBB40_182:
	s_or_b64 exec, exec, s[20:21]
	v_mov_b32_e32 v96, v94
	v_mov_b32_e32 v0, v94
.LBB40_183:
	s_or_b64 exec, exec, s[8:9]
.LBB40_184:
	s_andn2_saveexec_b64 s[0:1], s[0:1]
	s_cbranch_execz .LBB40_186
; %bb.185:
	v_mov_b32_e32 v96, 8
	ds_write2_b64 v1, v[42:43], v[44:45] offset0:18 offset1:19
	ds_write2_b64 v1, v[38:39], v[40:41] offset0:20 offset1:21
	ds_write2_b64 v1, v[34:35], v[36:37] offset0:22 offset1:23
	ds_write2_b64 v1, v[30:31], v[32:33] offset0:24 offset1:25
	ds_write2_b64 v1, v[26:27], v[28:29] offset0:26 offset1:27
	ds_write2_b64 v1, v[22:23], v[24:25] offset0:28 offset1:29
	ds_write2_b64 v1, v[18:19], v[20:21] offset0:30 offset1:31
	ds_write2_b64 v1, v[14:15], v[16:17] offset0:32 offset1:33
	ds_write2_b64 v1, v[10:11], v[12:13] offset0:34 offset1:35
	ds_write2_b64 v1, v[6:7], v[8:9] offset0:36 offset1:37
	ds_write2_b64 v1, v[2:3], v[4:5] offset0:38 offset1:39
	ds_write2_b64 v1, v[82:83], v[84:85] offset0:40 offset1:41
.LBB40_186:
	s_or_b64 exec, exec, s[0:1]
	v_cmp_lt_i32_e32 vcc, 8, v96
	s_waitcnt vmcnt(0) lgkmcnt(0)
	s_barrier
	s_and_saveexec_b64 s[0:1], vcc
	s_cbranch_execz .LBB40_188
; %bb.187:
	v_mul_f64 v[94:95], v[86:87], v[48:49]
	v_mul_f64 v[48:49], v[88:89], v[48:49]
	v_fma_f64 v[94:95], v[88:89], v[46:47], v[94:95]
	v_fma_f64 v[46:47], v[86:87], v[46:47], -v[48:49]
	ds_read2_b64 v[86:89], v1 offset0:18 offset1:19
	s_waitcnt lgkmcnt(0)
	v_mul_f64 v[48:49], v[88:89], v[94:95]
	v_fma_f64 v[48:49], v[86:87], v[46:47], -v[48:49]
	v_mul_f64 v[86:87], v[86:87], v[94:95]
	v_add_f64 v[42:43], v[42:43], -v[48:49]
	v_fma_f64 v[86:87], v[88:89], v[46:47], v[86:87]
	v_add_f64 v[44:45], v[44:45], -v[86:87]
	ds_read2_b64 v[86:89], v1 offset0:20 offset1:21
	s_waitcnt lgkmcnt(0)
	v_mul_f64 v[48:49], v[88:89], v[94:95]
	v_fma_f64 v[48:49], v[86:87], v[46:47], -v[48:49]
	v_mul_f64 v[86:87], v[86:87], v[94:95]
	v_add_f64 v[38:39], v[38:39], -v[48:49]
	v_fma_f64 v[86:87], v[88:89], v[46:47], v[86:87]
	v_add_f64 v[40:41], v[40:41], -v[86:87]
	;; [unrolled: 8-line block ×11, first 2 shown]
	ds_read2_b64 v[86:89], v1 offset0:40 offset1:41
	s_waitcnt lgkmcnt(0)
	v_mul_f64 v[48:49], v[88:89], v[94:95]
	v_fma_f64 v[48:49], v[86:87], v[46:47], -v[48:49]
	v_mul_f64 v[86:87], v[86:87], v[94:95]
	v_add_f64 v[82:83], v[82:83], -v[48:49]
	v_fma_f64 v[86:87], v[88:89], v[46:47], v[86:87]
	v_mov_b32_e32 v48, v94
	v_mov_b32_e32 v49, v95
	v_add_f64 v[84:85], v[84:85], -v[86:87]
.LBB40_188:
	s_or_b64 exec, exec, s[0:1]
	v_lshl_add_u32 v86, v96, 4, v1
	s_barrier
	ds_write2_b64 v86, v[42:43], v[44:45] offset1:1
	s_waitcnt lgkmcnt(0)
	s_barrier
	ds_read2_b64 v[86:89], v1 offset0:18 offset1:19
	s_cmp_lt_i32 s22, 11
	v_mov_b32_e32 v94, 9
	s_cbranch_scc1 .LBB40_191
; %bb.189:
	v_add_u32_e32 v95, 0xa0, v1
	s_mov_b32 s7, 10
	v_mov_b32_e32 v94, 9
.LBB40_190:                             ; =>This Inner Loop Header: Depth=1
	s_waitcnt lgkmcnt(0)
	v_cmp_gt_f64_e32 vcc, 0, v[88:89]
	v_cmp_gt_f64_e64 s[0:1], 0, v[86:87]
	ds_read2_b64 v[100:103], v95 offset1:1
	v_xor_b32_e32 v105, 0x80000000, v87
	v_xor_b32_e32 v107, 0x80000000, v89
	v_mov_b32_e32 v104, v86
	v_mov_b32_e32 v106, v88
	s_waitcnt lgkmcnt(0)
	v_xor_b32_e32 v109, 0x80000000, v103
	v_cndmask_b32_e32 v107, v89, v107, vcc
	v_cndmask_b32_e64 v105, v87, v105, s[0:1]
	v_cmp_gt_f64_e32 vcc, 0, v[102:103]
	v_cmp_gt_f64_e64 s[0:1], 0, v[100:101]
	v_add_f64 v[104:105], v[104:105], v[106:107]
	v_xor_b32_e32 v107, 0x80000000, v101
	v_mov_b32_e32 v106, v100
	v_mov_b32_e32 v108, v102
	v_add_u32_e32 v95, 16, v95
	v_cndmask_b32_e32 v109, v103, v109, vcc
	v_cndmask_b32_e64 v107, v101, v107, s[0:1]
	v_add_f64 v[106:107], v[106:107], v[108:109]
	v_mov_b32_e32 v108, s7
	s_add_i32 s7, s7, 1
	s_cmp_lg_u32 s22, s7
	v_cmp_lt_f64_e32 vcc, v[104:105], v[106:107]
	v_cndmask_b32_e32 v87, v87, v101, vcc
	v_cndmask_b32_e32 v86, v86, v100, vcc
	;; [unrolled: 1-line block ×5, first 2 shown]
	s_cbranch_scc1 .LBB40_190
.LBB40_191:
	s_waitcnt lgkmcnt(0)
	v_cmp_eq_f64_e32 vcc, 0, v[86:87]
	v_cmp_eq_f64_e64 s[0:1], 0, v[88:89]
	s_and_b64 s[0:1], vcc, s[0:1]
	s_and_saveexec_b64 s[8:9], s[0:1]
	s_xor_b64 s[0:1], exec, s[8:9]
; %bb.192:
	v_cmp_ne_u32_e32 vcc, 0, v99
	v_cndmask_b32_e32 v99, 10, v99, vcc
; %bb.193:
	s_andn2_saveexec_b64 s[0:1], s[0:1]
	s_cbranch_execz .LBB40_199
; %bb.194:
	v_cmp_ngt_f64_e64 s[8:9], |v[86:87]|, |v[88:89]|
	s_and_saveexec_b64 s[20:21], s[8:9]
	s_xor_b64 s[8:9], exec, s[20:21]
	s_cbranch_execz .LBB40_196
; %bb.195:
	v_div_scale_f64 v[100:101], s[20:21], v[88:89], v[88:89], v[86:87]
	v_rcp_f64_e32 v[102:103], v[100:101]
	v_fma_f64 v[104:105], -v[100:101], v[102:103], 1.0
	v_fma_f64 v[102:103], v[102:103], v[104:105], v[102:103]
	v_div_scale_f64 v[104:105], vcc, v[86:87], v[88:89], v[86:87]
	v_fma_f64 v[106:107], -v[100:101], v[102:103], 1.0
	v_fma_f64 v[102:103], v[102:103], v[106:107], v[102:103]
	v_mul_f64 v[106:107], v[104:105], v[102:103]
	v_fma_f64 v[100:101], -v[100:101], v[106:107], v[104:105]
	v_div_fmas_f64 v[100:101], v[100:101], v[102:103], v[106:107]
	v_div_fixup_f64 v[100:101], v[100:101], v[88:89], v[86:87]
	v_fma_f64 v[86:87], v[86:87], v[100:101], v[88:89]
	v_div_scale_f64 v[88:89], s[20:21], v[86:87], v[86:87], 1.0
	v_div_scale_f64 v[106:107], vcc, 1.0, v[86:87], 1.0
	v_rcp_f64_e32 v[102:103], v[88:89]
	v_fma_f64 v[104:105], -v[88:89], v[102:103], 1.0
	v_fma_f64 v[102:103], v[102:103], v[104:105], v[102:103]
	v_fma_f64 v[104:105], -v[88:89], v[102:103], 1.0
	v_fma_f64 v[102:103], v[102:103], v[104:105], v[102:103]
	v_mul_f64 v[104:105], v[106:107], v[102:103]
	v_fma_f64 v[88:89], -v[88:89], v[104:105], v[106:107]
	v_div_fmas_f64 v[88:89], v[88:89], v[102:103], v[104:105]
	v_div_fixup_f64 v[88:89], v[88:89], v[86:87], 1.0
	v_mul_f64 v[86:87], v[100:101], v[88:89]
	v_xor_b32_e32 v89, 0x80000000, v89
.LBB40_196:
	s_andn2_saveexec_b64 s[8:9], s[8:9]
	s_cbranch_execz .LBB40_198
; %bb.197:
	v_div_scale_f64 v[100:101], s[20:21], v[86:87], v[86:87], v[88:89]
	v_rcp_f64_e32 v[102:103], v[100:101]
	v_fma_f64 v[104:105], -v[100:101], v[102:103], 1.0
	v_fma_f64 v[102:103], v[102:103], v[104:105], v[102:103]
	v_div_scale_f64 v[104:105], vcc, v[88:89], v[86:87], v[88:89]
	v_fma_f64 v[106:107], -v[100:101], v[102:103], 1.0
	v_fma_f64 v[102:103], v[102:103], v[106:107], v[102:103]
	v_mul_f64 v[106:107], v[104:105], v[102:103]
	v_fma_f64 v[100:101], -v[100:101], v[106:107], v[104:105]
	v_div_fmas_f64 v[100:101], v[100:101], v[102:103], v[106:107]
	v_div_fixup_f64 v[100:101], v[100:101], v[86:87], v[88:89]
	v_fma_f64 v[86:87], v[88:89], v[100:101], v[86:87]
	v_div_scale_f64 v[88:89], s[20:21], v[86:87], v[86:87], 1.0
	v_div_scale_f64 v[106:107], vcc, 1.0, v[86:87], 1.0
	v_rcp_f64_e32 v[102:103], v[88:89]
	v_fma_f64 v[104:105], -v[88:89], v[102:103], 1.0
	v_fma_f64 v[102:103], v[102:103], v[104:105], v[102:103]
	v_fma_f64 v[104:105], -v[88:89], v[102:103], 1.0
	v_fma_f64 v[102:103], v[102:103], v[104:105], v[102:103]
	v_mul_f64 v[104:105], v[106:107], v[102:103]
	v_fma_f64 v[88:89], -v[88:89], v[104:105], v[106:107]
	v_div_fmas_f64 v[88:89], v[88:89], v[102:103], v[104:105]
	v_div_fixup_f64 v[86:87], v[88:89], v[86:87], 1.0
	v_mul_f64 v[88:89], v[100:101], -v[86:87]
.LBB40_198:
	s_or_b64 exec, exec, s[8:9]
.LBB40_199:
	s_or_b64 exec, exec, s[0:1]
	v_cmp_ne_u32_e32 vcc, v96, v94
	s_and_saveexec_b64 s[0:1], vcc
	s_xor_b64 s[0:1], exec, s[0:1]
	s_cbranch_execz .LBB40_205
; %bb.200:
	v_cmp_eq_u32_e32 vcc, 9, v96
	s_and_saveexec_b64 s[8:9], vcc
	s_cbranch_execz .LBB40_204
; %bb.201:
	v_cmp_ne_u32_e32 vcc, 9, v94
	s_xor_b64 s[20:21], s[18:19], -1
	s_and_b64 s[24:25], s[20:21], vcc
	s_and_saveexec_b64 s[20:21], s[24:25]
	s_cbranch_execz .LBB40_203
; %bb.202:
	v_ashrrev_i32_e32 v95, 31, v94
	v_lshlrev_b64 v[95:96], 2, v[94:95]
	v_add_co_u32_e32 v95, vcc, v92, v95
	v_addc_co_u32_e32 v96, vcc, v93, v96, vcc
	global_load_dword v0, v[95:96], off
	global_load_dword v100, v[92:93], off offset:36
	s_waitcnt vmcnt(1)
	global_store_dword v[92:93], v0, off offset:36
	s_waitcnt vmcnt(1)
	global_store_dword v[95:96], v100, off
.LBB40_203:
	s_or_b64 exec, exec, s[20:21]
	v_mov_b32_e32 v96, v94
	v_mov_b32_e32 v0, v94
.LBB40_204:
	s_or_b64 exec, exec, s[8:9]
.LBB40_205:
	s_andn2_saveexec_b64 s[0:1], s[0:1]
	s_cbranch_execz .LBB40_207
; %bb.206:
	v_mov_b32_e32 v96, 9
	ds_write2_b64 v1, v[38:39], v[40:41] offset0:20 offset1:21
	ds_write2_b64 v1, v[34:35], v[36:37] offset0:22 offset1:23
	;; [unrolled: 1-line block ×11, first 2 shown]
.LBB40_207:
	s_or_b64 exec, exec, s[0:1]
	v_cmp_lt_i32_e32 vcc, 9, v96
	s_waitcnt vmcnt(0) lgkmcnt(0)
	s_barrier
	s_and_saveexec_b64 s[0:1], vcc
	s_cbranch_execz .LBB40_209
; %bb.208:
	v_mul_f64 v[94:95], v[86:87], v[44:45]
	v_mul_f64 v[44:45], v[88:89], v[44:45]
	v_fma_f64 v[94:95], v[88:89], v[42:43], v[94:95]
	v_fma_f64 v[42:43], v[86:87], v[42:43], -v[44:45]
	ds_read2_b64 v[86:89], v1 offset0:20 offset1:21
	s_waitcnt lgkmcnt(0)
	v_mul_f64 v[44:45], v[88:89], v[94:95]
	v_fma_f64 v[44:45], v[86:87], v[42:43], -v[44:45]
	v_mul_f64 v[86:87], v[86:87], v[94:95]
	v_add_f64 v[38:39], v[38:39], -v[44:45]
	v_fma_f64 v[86:87], v[88:89], v[42:43], v[86:87]
	v_add_f64 v[40:41], v[40:41], -v[86:87]
	ds_read2_b64 v[86:89], v1 offset0:22 offset1:23
	s_waitcnt lgkmcnt(0)
	v_mul_f64 v[44:45], v[88:89], v[94:95]
	v_fma_f64 v[44:45], v[86:87], v[42:43], -v[44:45]
	v_mul_f64 v[86:87], v[86:87], v[94:95]
	v_add_f64 v[34:35], v[34:35], -v[44:45]
	v_fma_f64 v[86:87], v[88:89], v[42:43], v[86:87]
	v_add_f64 v[36:37], v[36:37], -v[86:87]
	;; [unrolled: 8-line block ×10, first 2 shown]
	ds_read2_b64 v[86:89], v1 offset0:40 offset1:41
	s_waitcnt lgkmcnt(0)
	v_mul_f64 v[44:45], v[88:89], v[94:95]
	v_fma_f64 v[44:45], v[86:87], v[42:43], -v[44:45]
	v_mul_f64 v[86:87], v[86:87], v[94:95]
	v_add_f64 v[82:83], v[82:83], -v[44:45]
	v_fma_f64 v[86:87], v[88:89], v[42:43], v[86:87]
	v_mov_b32_e32 v44, v94
	v_mov_b32_e32 v45, v95
	v_add_f64 v[84:85], v[84:85], -v[86:87]
.LBB40_209:
	s_or_b64 exec, exec, s[0:1]
	v_lshl_add_u32 v86, v96, 4, v1
	s_barrier
	ds_write2_b64 v86, v[38:39], v[40:41] offset1:1
	s_waitcnt lgkmcnt(0)
	s_barrier
	ds_read2_b64 v[86:89], v1 offset0:20 offset1:21
	s_cmp_lt_i32 s22, 12
	v_mov_b32_e32 v94, 10
	s_cbranch_scc1 .LBB40_212
; %bb.210:
	v_add_u32_e32 v95, 0xb0, v1
	s_mov_b32 s7, 11
	v_mov_b32_e32 v94, 10
.LBB40_211:                             ; =>This Inner Loop Header: Depth=1
	s_waitcnt lgkmcnt(0)
	v_cmp_gt_f64_e32 vcc, 0, v[88:89]
	v_cmp_gt_f64_e64 s[0:1], 0, v[86:87]
	ds_read2_b64 v[100:103], v95 offset1:1
	v_xor_b32_e32 v105, 0x80000000, v87
	v_xor_b32_e32 v107, 0x80000000, v89
	v_mov_b32_e32 v104, v86
	v_mov_b32_e32 v106, v88
	s_waitcnt lgkmcnt(0)
	v_xor_b32_e32 v109, 0x80000000, v103
	v_cndmask_b32_e32 v107, v89, v107, vcc
	v_cndmask_b32_e64 v105, v87, v105, s[0:1]
	v_cmp_gt_f64_e32 vcc, 0, v[102:103]
	v_cmp_gt_f64_e64 s[0:1], 0, v[100:101]
	v_add_f64 v[104:105], v[104:105], v[106:107]
	v_xor_b32_e32 v107, 0x80000000, v101
	v_mov_b32_e32 v106, v100
	v_mov_b32_e32 v108, v102
	v_add_u32_e32 v95, 16, v95
	v_cndmask_b32_e32 v109, v103, v109, vcc
	v_cndmask_b32_e64 v107, v101, v107, s[0:1]
	v_add_f64 v[106:107], v[106:107], v[108:109]
	v_mov_b32_e32 v108, s7
	s_add_i32 s7, s7, 1
	s_cmp_lg_u32 s22, s7
	v_cmp_lt_f64_e32 vcc, v[104:105], v[106:107]
	v_cndmask_b32_e32 v87, v87, v101, vcc
	v_cndmask_b32_e32 v86, v86, v100, vcc
	;; [unrolled: 1-line block ×5, first 2 shown]
	s_cbranch_scc1 .LBB40_211
.LBB40_212:
	s_waitcnt lgkmcnt(0)
	v_cmp_eq_f64_e32 vcc, 0, v[86:87]
	v_cmp_eq_f64_e64 s[0:1], 0, v[88:89]
	s_and_b64 s[0:1], vcc, s[0:1]
	s_and_saveexec_b64 s[8:9], s[0:1]
	s_xor_b64 s[0:1], exec, s[8:9]
; %bb.213:
	v_cmp_ne_u32_e32 vcc, 0, v99
	v_cndmask_b32_e32 v99, 11, v99, vcc
; %bb.214:
	s_andn2_saveexec_b64 s[0:1], s[0:1]
	s_cbranch_execz .LBB40_220
; %bb.215:
	v_cmp_ngt_f64_e64 s[8:9], |v[86:87]|, |v[88:89]|
	s_and_saveexec_b64 s[20:21], s[8:9]
	s_xor_b64 s[8:9], exec, s[20:21]
	s_cbranch_execz .LBB40_217
; %bb.216:
	v_div_scale_f64 v[100:101], s[20:21], v[88:89], v[88:89], v[86:87]
	v_rcp_f64_e32 v[102:103], v[100:101]
	v_fma_f64 v[104:105], -v[100:101], v[102:103], 1.0
	v_fma_f64 v[102:103], v[102:103], v[104:105], v[102:103]
	v_div_scale_f64 v[104:105], vcc, v[86:87], v[88:89], v[86:87]
	v_fma_f64 v[106:107], -v[100:101], v[102:103], 1.0
	v_fma_f64 v[102:103], v[102:103], v[106:107], v[102:103]
	v_mul_f64 v[106:107], v[104:105], v[102:103]
	v_fma_f64 v[100:101], -v[100:101], v[106:107], v[104:105]
	v_div_fmas_f64 v[100:101], v[100:101], v[102:103], v[106:107]
	v_div_fixup_f64 v[100:101], v[100:101], v[88:89], v[86:87]
	v_fma_f64 v[86:87], v[86:87], v[100:101], v[88:89]
	v_div_scale_f64 v[88:89], s[20:21], v[86:87], v[86:87], 1.0
	v_div_scale_f64 v[106:107], vcc, 1.0, v[86:87], 1.0
	v_rcp_f64_e32 v[102:103], v[88:89]
	v_fma_f64 v[104:105], -v[88:89], v[102:103], 1.0
	v_fma_f64 v[102:103], v[102:103], v[104:105], v[102:103]
	v_fma_f64 v[104:105], -v[88:89], v[102:103], 1.0
	v_fma_f64 v[102:103], v[102:103], v[104:105], v[102:103]
	v_mul_f64 v[104:105], v[106:107], v[102:103]
	v_fma_f64 v[88:89], -v[88:89], v[104:105], v[106:107]
	v_div_fmas_f64 v[88:89], v[88:89], v[102:103], v[104:105]
	v_div_fixup_f64 v[88:89], v[88:89], v[86:87], 1.0
	v_mul_f64 v[86:87], v[100:101], v[88:89]
	v_xor_b32_e32 v89, 0x80000000, v89
.LBB40_217:
	s_andn2_saveexec_b64 s[8:9], s[8:9]
	s_cbranch_execz .LBB40_219
; %bb.218:
	v_div_scale_f64 v[100:101], s[20:21], v[86:87], v[86:87], v[88:89]
	v_rcp_f64_e32 v[102:103], v[100:101]
	v_fma_f64 v[104:105], -v[100:101], v[102:103], 1.0
	v_fma_f64 v[102:103], v[102:103], v[104:105], v[102:103]
	v_div_scale_f64 v[104:105], vcc, v[88:89], v[86:87], v[88:89]
	v_fma_f64 v[106:107], -v[100:101], v[102:103], 1.0
	v_fma_f64 v[102:103], v[102:103], v[106:107], v[102:103]
	v_mul_f64 v[106:107], v[104:105], v[102:103]
	v_fma_f64 v[100:101], -v[100:101], v[106:107], v[104:105]
	v_div_fmas_f64 v[100:101], v[100:101], v[102:103], v[106:107]
	v_div_fixup_f64 v[100:101], v[100:101], v[86:87], v[88:89]
	v_fma_f64 v[86:87], v[88:89], v[100:101], v[86:87]
	v_div_scale_f64 v[88:89], s[20:21], v[86:87], v[86:87], 1.0
	v_div_scale_f64 v[106:107], vcc, 1.0, v[86:87], 1.0
	v_rcp_f64_e32 v[102:103], v[88:89]
	v_fma_f64 v[104:105], -v[88:89], v[102:103], 1.0
	v_fma_f64 v[102:103], v[102:103], v[104:105], v[102:103]
	v_fma_f64 v[104:105], -v[88:89], v[102:103], 1.0
	v_fma_f64 v[102:103], v[102:103], v[104:105], v[102:103]
	v_mul_f64 v[104:105], v[106:107], v[102:103]
	v_fma_f64 v[88:89], -v[88:89], v[104:105], v[106:107]
	v_div_fmas_f64 v[88:89], v[88:89], v[102:103], v[104:105]
	v_div_fixup_f64 v[86:87], v[88:89], v[86:87], 1.0
	v_mul_f64 v[88:89], v[100:101], -v[86:87]
.LBB40_219:
	s_or_b64 exec, exec, s[8:9]
.LBB40_220:
	s_or_b64 exec, exec, s[0:1]
	v_cmp_ne_u32_e32 vcc, v96, v94
	s_and_saveexec_b64 s[0:1], vcc
	s_xor_b64 s[0:1], exec, s[0:1]
	s_cbranch_execz .LBB40_226
; %bb.221:
	v_cmp_eq_u32_e32 vcc, 10, v96
	s_and_saveexec_b64 s[8:9], vcc
	s_cbranch_execz .LBB40_225
; %bb.222:
	v_cmp_ne_u32_e32 vcc, 10, v94
	s_xor_b64 s[20:21], s[18:19], -1
	s_and_b64 s[24:25], s[20:21], vcc
	s_and_saveexec_b64 s[20:21], s[24:25]
	s_cbranch_execz .LBB40_224
; %bb.223:
	v_ashrrev_i32_e32 v95, 31, v94
	v_lshlrev_b64 v[95:96], 2, v[94:95]
	v_add_co_u32_e32 v95, vcc, v92, v95
	v_addc_co_u32_e32 v96, vcc, v93, v96, vcc
	global_load_dword v0, v[95:96], off
	global_load_dword v100, v[92:93], off offset:40
	s_waitcnt vmcnt(1)
	global_store_dword v[92:93], v0, off offset:40
	s_waitcnt vmcnt(1)
	global_store_dword v[95:96], v100, off
.LBB40_224:
	s_or_b64 exec, exec, s[20:21]
	v_mov_b32_e32 v96, v94
	v_mov_b32_e32 v0, v94
.LBB40_225:
	s_or_b64 exec, exec, s[8:9]
.LBB40_226:
	s_andn2_saveexec_b64 s[0:1], s[0:1]
	s_cbranch_execz .LBB40_228
; %bb.227:
	v_mov_b32_e32 v96, 10
	ds_write2_b64 v1, v[34:35], v[36:37] offset0:22 offset1:23
	ds_write2_b64 v1, v[30:31], v[32:33] offset0:24 offset1:25
	;; [unrolled: 1-line block ×10, first 2 shown]
.LBB40_228:
	s_or_b64 exec, exec, s[0:1]
	v_cmp_lt_i32_e32 vcc, 10, v96
	s_waitcnt vmcnt(0) lgkmcnt(0)
	s_barrier
	s_and_saveexec_b64 s[0:1], vcc
	s_cbranch_execz .LBB40_230
; %bb.229:
	v_mul_f64 v[94:95], v[86:87], v[40:41]
	v_mul_f64 v[40:41], v[88:89], v[40:41]
	v_fma_f64 v[94:95], v[88:89], v[38:39], v[94:95]
	v_fma_f64 v[38:39], v[86:87], v[38:39], -v[40:41]
	ds_read2_b64 v[86:89], v1 offset0:22 offset1:23
	s_waitcnt lgkmcnt(0)
	v_mul_f64 v[40:41], v[88:89], v[94:95]
	v_fma_f64 v[40:41], v[86:87], v[38:39], -v[40:41]
	v_mul_f64 v[86:87], v[86:87], v[94:95]
	v_add_f64 v[34:35], v[34:35], -v[40:41]
	v_fma_f64 v[86:87], v[88:89], v[38:39], v[86:87]
	v_add_f64 v[36:37], v[36:37], -v[86:87]
	ds_read2_b64 v[86:89], v1 offset0:24 offset1:25
	s_waitcnt lgkmcnt(0)
	v_mul_f64 v[40:41], v[88:89], v[94:95]
	v_fma_f64 v[40:41], v[86:87], v[38:39], -v[40:41]
	v_mul_f64 v[86:87], v[86:87], v[94:95]
	v_add_f64 v[30:31], v[30:31], -v[40:41]
	v_fma_f64 v[86:87], v[88:89], v[38:39], v[86:87]
	v_add_f64 v[32:33], v[32:33], -v[86:87]
	;; [unrolled: 8-line block ×9, first 2 shown]
	ds_read2_b64 v[86:89], v1 offset0:40 offset1:41
	s_waitcnt lgkmcnt(0)
	v_mul_f64 v[40:41], v[88:89], v[94:95]
	v_fma_f64 v[40:41], v[86:87], v[38:39], -v[40:41]
	v_mul_f64 v[86:87], v[86:87], v[94:95]
	v_add_f64 v[82:83], v[82:83], -v[40:41]
	v_fma_f64 v[86:87], v[88:89], v[38:39], v[86:87]
	v_mov_b32_e32 v40, v94
	v_mov_b32_e32 v41, v95
	v_add_f64 v[84:85], v[84:85], -v[86:87]
.LBB40_230:
	s_or_b64 exec, exec, s[0:1]
	v_lshl_add_u32 v86, v96, 4, v1
	s_barrier
	ds_write2_b64 v86, v[34:35], v[36:37] offset1:1
	s_waitcnt lgkmcnt(0)
	s_barrier
	ds_read2_b64 v[86:89], v1 offset0:22 offset1:23
	s_cmp_lt_i32 s22, 13
	v_mov_b32_e32 v94, 11
	s_cbranch_scc1 .LBB40_233
; %bb.231:
	v_add_u32_e32 v95, 0xc0, v1
	s_mov_b32 s7, 12
	v_mov_b32_e32 v94, 11
.LBB40_232:                             ; =>This Inner Loop Header: Depth=1
	s_waitcnt lgkmcnt(0)
	v_cmp_gt_f64_e32 vcc, 0, v[88:89]
	v_cmp_gt_f64_e64 s[0:1], 0, v[86:87]
	ds_read2_b64 v[100:103], v95 offset1:1
	v_xor_b32_e32 v105, 0x80000000, v87
	v_xor_b32_e32 v107, 0x80000000, v89
	v_mov_b32_e32 v104, v86
	v_mov_b32_e32 v106, v88
	s_waitcnt lgkmcnt(0)
	v_xor_b32_e32 v109, 0x80000000, v103
	v_cndmask_b32_e32 v107, v89, v107, vcc
	v_cndmask_b32_e64 v105, v87, v105, s[0:1]
	v_cmp_gt_f64_e32 vcc, 0, v[102:103]
	v_cmp_gt_f64_e64 s[0:1], 0, v[100:101]
	v_add_f64 v[104:105], v[104:105], v[106:107]
	v_xor_b32_e32 v107, 0x80000000, v101
	v_mov_b32_e32 v106, v100
	v_mov_b32_e32 v108, v102
	v_add_u32_e32 v95, 16, v95
	v_cndmask_b32_e32 v109, v103, v109, vcc
	v_cndmask_b32_e64 v107, v101, v107, s[0:1]
	v_add_f64 v[106:107], v[106:107], v[108:109]
	v_mov_b32_e32 v108, s7
	s_add_i32 s7, s7, 1
	s_cmp_lg_u32 s22, s7
	v_cmp_lt_f64_e32 vcc, v[104:105], v[106:107]
	v_cndmask_b32_e32 v87, v87, v101, vcc
	v_cndmask_b32_e32 v86, v86, v100, vcc
	;; [unrolled: 1-line block ×5, first 2 shown]
	s_cbranch_scc1 .LBB40_232
.LBB40_233:
	s_waitcnt lgkmcnt(0)
	v_cmp_eq_f64_e32 vcc, 0, v[86:87]
	v_cmp_eq_f64_e64 s[0:1], 0, v[88:89]
	s_and_b64 s[0:1], vcc, s[0:1]
	s_and_saveexec_b64 s[8:9], s[0:1]
	s_xor_b64 s[0:1], exec, s[8:9]
; %bb.234:
	v_cmp_ne_u32_e32 vcc, 0, v99
	v_cndmask_b32_e32 v99, 12, v99, vcc
; %bb.235:
	s_andn2_saveexec_b64 s[0:1], s[0:1]
	s_cbranch_execz .LBB40_241
; %bb.236:
	v_cmp_ngt_f64_e64 s[8:9], |v[86:87]|, |v[88:89]|
	s_and_saveexec_b64 s[20:21], s[8:9]
	s_xor_b64 s[8:9], exec, s[20:21]
	s_cbranch_execz .LBB40_238
; %bb.237:
	v_div_scale_f64 v[100:101], s[20:21], v[88:89], v[88:89], v[86:87]
	v_rcp_f64_e32 v[102:103], v[100:101]
	v_fma_f64 v[104:105], -v[100:101], v[102:103], 1.0
	v_fma_f64 v[102:103], v[102:103], v[104:105], v[102:103]
	v_div_scale_f64 v[104:105], vcc, v[86:87], v[88:89], v[86:87]
	v_fma_f64 v[106:107], -v[100:101], v[102:103], 1.0
	v_fma_f64 v[102:103], v[102:103], v[106:107], v[102:103]
	v_mul_f64 v[106:107], v[104:105], v[102:103]
	v_fma_f64 v[100:101], -v[100:101], v[106:107], v[104:105]
	v_div_fmas_f64 v[100:101], v[100:101], v[102:103], v[106:107]
	v_div_fixup_f64 v[100:101], v[100:101], v[88:89], v[86:87]
	v_fma_f64 v[86:87], v[86:87], v[100:101], v[88:89]
	v_div_scale_f64 v[88:89], s[20:21], v[86:87], v[86:87], 1.0
	v_div_scale_f64 v[106:107], vcc, 1.0, v[86:87], 1.0
	v_rcp_f64_e32 v[102:103], v[88:89]
	v_fma_f64 v[104:105], -v[88:89], v[102:103], 1.0
	v_fma_f64 v[102:103], v[102:103], v[104:105], v[102:103]
	v_fma_f64 v[104:105], -v[88:89], v[102:103], 1.0
	v_fma_f64 v[102:103], v[102:103], v[104:105], v[102:103]
	v_mul_f64 v[104:105], v[106:107], v[102:103]
	v_fma_f64 v[88:89], -v[88:89], v[104:105], v[106:107]
	v_div_fmas_f64 v[88:89], v[88:89], v[102:103], v[104:105]
	v_div_fixup_f64 v[88:89], v[88:89], v[86:87], 1.0
	v_mul_f64 v[86:87], v[100:101], v[88:89]
	v_xor_b32_e32 v89, 0x80000000, v89
.LBB40_238:
	s_andn2_saveexec_b64 s[8:9], s[8:9]
	s_cbranch_execz .LBB40_240
; %bb.239:
	v_div_scale_f64 v[100:101], s[20:21], v[86:87], v[86:87], v[88:89]
	v_rcp_f64_e32 v[102:103], v[100:101]
	v_fma_f64 v[104:105], -v[100:101], v[102:103], 1.0
	v_fma_f64 v[102:103], v[102:103], v[104:105], v[102:103]
	v_div_scale_f64 v[104:105], vcc, v[88:89], v[86:87], v[88:89]
	v_fma_f64 v[106:107], -v[100:101], v[102:103], 1.0
	v_fma_f64 v[102:103], v[102:103], v[106:107], v[102:103]
	v_mul_f64 v[106:107], v[104:105], v[102:103]
	v_fma_f64 v[100:101], -v[100:101], v[106:107], v[104:105]
	v_div_fmas_f64 v[100:101], v[100:101], v[102:103], v[106:107]
	v_div_fixup_f64 v[100:101], v[100:101], v[86:87], v[88:89]
	v_fma_f64 v[86:87], v[88:89], v[100:101], v[86:87]
	v_div_scale_f64 v[88:89], s[20:21], v[86:87], v[86:87], 1.0
	v_div_scale_f64 v[106:107], vcc, 1.0, v[86:87], 1.0
	v_rcp_f64_e32 v[102:103], v[88:89]
	v_fma_f64 v[104:105], -v[88:89], v[102:103], 1.0
	v_fma_f64 v[102:103], v[102:103], v[104:105], v[102:103]
	v_fma_f64 v[104:105], -v[88:89], v[102:103], 1.0
	v_fma_f64 v[102:103], v[102:103], v[104:105], v[102:103]
	v_mul_f64 v[104:105], v[106:107], v[102:103]
	v_fma_f64 v[88:89], -v[88:89], v[104:105], v[106:107]
	v_div_fmas_f64 v[88:89], v[88:89], v[102:103], v[104:105]
	v_div_fixup_f64 v[86:87], v[88:89], v[86:87], 1.0
	v_mul_f64 v[88:89], v[100:101], -v[86:87]
.LBB40_240:
	s_or_b64 exec, exec, s[8:9]
.LBB40_241:
	s_or_b64 exec, exec, s[0:1]
	v_cmp_ne_u32_e32 vcc, v96, v94
	s_and_saveexec_b64 s[0:1], vcc
	s_xor_b64 s[0:1], exec, s[0:1]
	s_cbranch_execz .LBB40_247
; %bb.242:
	v_cmp_eq_u32_e32 vcc, 11, v96
	s_and_saveexec_b64 s[8:9], vcc
	s_cbranch_execz .LBB40_246
; %bb.243:
	v_cmp_ne_u32_e32 vcc, 11, v94
	s_xor_b64 s[20:21], s[18:19], -1
	s_and_b64 s[24:25], s[20:21], vcc
	s_and_saveexec_b64 s[20:21], s[24:25]
	s_cbranch_execz .LBB40_245
; %bb.244:
	v_ashrrev_i32_e32 v95, 31, v94
	v_lshlrev_b64 v[95:96], 2, v[94:95]
	v_add_co_u32_e32 v95, vcc, v92, v95
	v_addc_co_u32_e32 v96, vcc, v93, v96, vcc
	global_load_dword v0, v[95:96], off
	global_load_dword v100, v[92:93], off offset:44
	s_waitcnt vmcnt(1)
	global_store_dword v[92:93], v0, off offset:44
	s_waitcnt vmcnt(1)
	global_store_dword v[95:96], v100, off
.LBB40_245:
	s_or_b64 exec, exec, s[20:21]
	v_mov_b32_e32 v96, v94
	v_mov_b32_e32 v0, v94
.LBB40_246:
	s_or_b64 exec, exec, s[8:9]
.LBB40_247:
	s_andn2_saveexec_b64 s[0:1], s[0:1]
	s_cbranch_execz .LBB40_249
; %bb.248:
	v_mov_b32_e32 v96, 11
	ds_write2_b64 v1, v[30:31], v[32:33] offset0:24 offset1:25
	ds_write2_b64 v1, v[26:27], v[28:29] offset0:26 offset1:27
	;; [unrolled: 1-line block ×9, first 2 shown]
.LBB40_249:
	s_or_b64 exec, exec, s[0:1]
	v_cmp_lt_i32_e32 vcc, 11, v96
	s_waitcnt vmcnt(0) lgkmcnt(0)
	s_barrier
	s_and_saveexec_b64 s[0:1], vcc
	s_cbranch_execz .LBB40_251
; %bb.250:
	v_mul_f64 v[94:95], v[86:87], v[36:37]
	v_mul_f64 v[36:37], v[88:89], v[36:37]
	v_fma_f64 v[94:95], v[88:89], v[34:35], v[94:95]
	v_fma_f64 v[34:35], v[86:87], v[34:35], -v[36:37]
	ds_read2_b64 v[86:89], v1 offset0:24 offset1:25
	s_waitcnt lgkmcnt(0)
	v_mul_f64 v[36:37], v[88:89], v[94:95]
	v_fma_f64 v[36:37], v[86:87], v[34:35], -v[36:37]
	v_mul_f64 v[86:87], v[86:87], v[94:95]
	v_add_f64 v[30:31], v[30:31], -v[36:37]
	v_fma_f64 v[86:87], v[88:89], v[34:35], v[86:87]
	v_add_f64 v[32:33], v[32:33], -v[86:87]
	ds_read2_b64 v[86:89], v1 offset0:26 offset1:27
	s_waitcnt lgkmcnt(0)
	v_mul_f64 v[36:37], v[88:89], v[94:95]
	v_fma_f64 v[36:37], v[86:87], v[34:35], -v[36:37]
	v_mul_f64 v[86:87], v[86:87], v[94:95]
	v_add_f64 v[26:27], v[26:27], -v[36:37]
	v_fma_f64 v[86:87], v[88:89], v[34:35], v[86:87]
	v_add_f64 v[28:29], v[28:29], -v[86:87]
	;; [unrolled: 8-line block ×8, first 2 shown]
	ds_read2_b64 v[86:89], v1 offset0:40 offset1:41
	s_waitcnt lgkmcnt(0)
	v_mul_f64 v[36:37], v[88:89], v[94:95]
	v_fma_f64 v[36:37], v[86:87], v[34:35], -v[36:37]
	v_mul_f64 v[86:87], v[86:87], v[94:95]
	v_add_f64 v[82:83], v[82:83], -v[36:37]
	v_fma_f64 v[86:87], v[88:89], v[34:35], v[86:87]
	v_mov_b32_e32 v36, v94
	v_mov_b32_e32 v37, v95
	v_add_f64 v[84:85], v[84:85], -v[86:87]
.LBB40_251:
	s_or_b64 exec, exec, s[0:1]
	v_lshl_add_u32 v86, v96, 4, v1
	s_barrier
	ds_write2_b64 v86, v[30:31], v[32:33] offset1:1
	s_waitcnt lgkmcnt(0)
	s_barrier
	ds_read2_b64 v[86:89], v1 offset0:24 offset1:25
	s_cmp_lt_i32 s22, 14
	v_mov_b32_e32 v94, 12
	s_cbranch_scc1 .LBB40_254
; %bb.252:
	v_add_u32_e32 v95, 0xd0, v1
	s_mov_b32 s7, 13
	v_mov_b32_e32 v94, 12
.LBB40_253:                             ; =>This Inner Loop Header: Depth=1
	s_waitcnt lgkmcnt(0)
	v_cmp_gt_f64_e32 vcc, 0, v[88:89]
	v_cmp_gt_f64_e64 s[0:1], 0, v[86:87]
	ds_read2_b64 v[100:103], v95 offset1:1
	v_xor_b32_e32 v105, 0x80000000, v87
	v_xor_b32_e32 v107, 0x80000000, v89
	v_mov_b32_e32 v104, v86
	v_mov_b32_e32 v106, v88
	s_waitcnt lgkmcnt(0)
	v_xor_b32_e32 v109, 0x80000000, v103
	v_cndmask_b32_e32 v107, v89, v107, vcc
	v_cndmask_b32_e64 v105, v87, v105, s[0:1]
	v_cmp_gt_f64_e32 vcc, 0, v[102:103]
	v_cmp_gt_f64_e64 s[0:1], 0, v[100:101]
	v_add_f64 v[104:105], v[104:105], v[106:107]
	v_xor_b32_e32 v107, 0x80000000, v101
	v_mov_b32_e32 v106, v100
	v_mov_b32_e32 v108, v102
	v_add_u32_e32 v95, 16, v95
	v_cndmask_b32_e32 v109, v103, v109, vcc
	v_cndmask_b32_e64 v107, v101, v107, s[0:1]
	v_add_f64 v[106:107], v[106:107], v[108:109]
	v_mov_b32_e32 v108, s7
	s_add_i32 s7, s7, 1
	s_cmp_lg_u32 s22, s7
	v_cmp_lt_f64_e32 vcc, v[104:105], v[106:107]
	v_cndmask_b32_e32 v87, v87, v101, vcc
	v_cndmask_b32_e32 v86, v86, v100, vcc
	;; [unrolled: 1-line block ×5, first 2 shown]
	s_cbranch_scc1 .LBB40_253
.LBB40_254:
	s_waitcnt lgkmcnt(0)
	v_cmp_eq_f64_e32 vcc, 0, v[86:87]
	v_cmp_eq_f64_e64 s[0:1], 0, v[88:89]
	s_and_b64 s[0:1], vcc, s[0:1]
	s_and_saveexec_b64 s[8:9], s[0:1]
	s_xor_b64 s[0:1], exec, s[8:9]
; %bb.255:
	v_cmp_ne_u32_e32 vcc, 0, v99
	v_cndmask_b32_e32 v99, 13, v99, vcc
; %bb.256:
	s_andn2_saveexec_b64 s[0:1], s[0:1]
	s_cbranch_execz .LBB40_262
; %bb.257:
	v_cmp_ngt_f64_e64 s[8:9], |v[86:87]|, |v[88:89]|
	s_and_saveexec_b64 s[20:21], s[8:9]
	s_xor_b64 s[8:9], exec, s[20:21]
	s_cbranch_execz .LBB40_259
; %bb.258:
	v_div_scale_f64 v[100:101], s[20:21], v[88:89], v[88:89], v[86:87]
	v_rcp_f64_e32 v[102:103], v[100:101]
	v_fma_f64 v[104:105], -v[100:101], v[102:103], 1.0
	v_fma_f64 v[102:103], v[102:103], v[104:105], v[102:103]
	v_div_scale_f64 v[104:105], vcc, v[86:87], v[88:89], v[86:87]
	v_fma_f64 v[106:107], -v[100:101], v[102:103], 1.0
	v_fma_f64 v[102:103], v[102:103], v[106:107], v[102:103]
	v_mul_f64 v[106:107], v[104:105], v[102:103]
	v_fma_f64 v[100:101], -v[100:101], v[106:107], v[104:105]
	v_div_fmas_f64 v[100:101], v[100:101], v[102:103], v[106:107]
	v_div_fixup_f64 v[100:101], v[100:101], v[88:89], v[86:87]
	v_fma_f64 v[86:87], v[86:87], v[100:101], v[88:89]
	v_div_scale_f64 v[88:89], s[20:21], v[86:87], v[86:87], 1.0
	v_div_scale_f64 v[106:107], vcc, 1.0, v[86:87], 1.0
	v_rcp_f64_e32 v[102:103], v[88:89]
	v_fma_f64 v[104:105], -v[88:89], v[102:103], 1.0
	v_fma_f64 v[102:103], v[102:103], v[104:105], v[102:103]
	v_fma_f64 v[104:105], -v[88:89], v[102:103], 1.0
	v_fma_f64 v[102:103], v[102:103], v[104:105], v[102:103]
	v_mul_f64 v[104:105], v[106:107], v[102:103]
	v_fma_f64 v[88:89], -v[88:89], v[104:105], v[106:107]
	v_div_fmas_f64 v[88:89], v[88:89], v[102:103], v[104:105]
	v_div_fixup_f64 v[88:89], v[88:89], v[86:87], 1.0
	v_mul_f64 v[86:87], v[100:101], v[88:89]
	v_xor_b32_e32 v89, 0x80000000, v89
.LBB40_259:
	s_andn2_saveexec_b64 s[8:9], s[8:9]
	s_cbranch_execz .LBB40_261
; %bb.260:
	v_div_scale_f64 v[100:101], s[20:21], v[86:87], v[86:87], v[88:89]
	v_rcp_f64_e32 v[102:103], v[100:101]
	v_fma_f64 v[104:105], -v[100:101], v[102:103], 1.0
	v_fma_f64 v[102:103], v[102:103], v[104:105], v[102:103]
	v_div_scale_f64 v[104:105], vcc, v[88:89], v[86:87], v[88:89]
	v_fma_f64 v[106:107], -v[100:101], v[102:103], 1.0
	v_fma_f64 v[102:103], v[102:103], v[106:107], v[102:103]
	v_mul_f64 v[106:107], v[104:105], v[102:103]
	v_fma_f64 v[100:101], -v[100:101], v[106:107], v[104:105]
	v_div_fmas_f64 v[100:101], v[100:101], v[102:103], v[106:107]
	v_div_fixup_f64 v[100:101], v[100:101], v[86:87], v[88:89]
	v_fma_f64 v[86:87], v[88:89], v[100:101], v[86:87]
	v_div_scale_f64 v[88:89], s[20:21], v[86:87], v[86:87], 1.0
	v_div_scale_f64 v[106:107], vcc, 1.0, v[86:87], 1.0
	v_rcp_f64_e32 v[102:103], v[88:89]
	v_fma_f64 v[104:105], -v[88:89], v[102:103], 1.0
	v_fma_f64 v[102:103], v[102:103], v[104:105], v[102:103]
	v_fma_f64 v[104:105], -v[88:89], v[102:103], 1.0
	v_fma_f64 v[102:103], v[102:103], v[104:105], v[102:103]
	v_mul_f64 v[104:105], v[106:107], v[102:103]
	v_fma_f64 v[88:89], -v[88:89], v[104:105], v[106:107]
	v_div_fmas_f64 v[88:89], v[88:89], v[102:103], v[104:105]
	v_div_fixup_f64 v[86:87], v[88:89], v[86:87], 1.0
	v_mul_f64 v[88:89], v[100:101], -v[86:87]
.LBB40_261:
	s_or_b64 exec, exec, s[8:9]
.LBB40_262:
	s_or_b64 exec, exec, s[0:1]
	v_cmp_ne_u32_e32 vcc, v96, v94
	s_and_saveexec_b64 s[0:1], vcc
	s_xor_b64 s[0:1], exec, s[0:1]
	s_cbranch_execz .LBB40_268
; %bb.263:
	v_cmp_eq_u32_e32 vcc, 12, v96
	s_and_saveexec_b64 s[8:9], vcc
	s_cbranch_execz .LBB40_267
; %bb.264:
	v_cmp_ne_u32_e32 vcc, 12, v94
	s_xor_b64 s[20:21], s[18:19], -1
	s_and_b64 s[24:25], s[20:21], vcc
	s_and_saveexec_b64 s[20:21], s[24:25]
	s_cbranch_execz .LBB40_266
; %bb.265:
	v_ashrrev_i32_e32 v95, 31, v94
	v_lshlrev_b64 v[95:96], 2, v[94:95]
	v_add_co_u32_e32 v95, vcc, v92, v95
	v_addc_co_u32_e32 v96, vcc, v93, v96, vcc
	global_load_dword v0, v[95:96], off
	global_load_dword v100, v[92:93], off offset:48
	s_waitcnt vmcnt(1)
	global_store_dword v[92:93], v0, off offset:48
	s_waitcnt vmcnt(1)
	global_store_dword v[95:96], v100, off
.LBB40_266:
	s_or_b64 exec, exec, s[20:21]
	v_mov_b32_e32 v96, v94
	v_mov_b32_e32 v0, v94
.LBB40_267:
	s_or_b64 exec, exec, s[8:9]
.LBB40_268:
	s_andn2_saveexec_b64 s[0:1], s[0:1]
	s_cbranch_execz .LBB40_270
; %bb.269:
	v_mov_b32_e32 v96, 12
	ds_write2_b64 v1, v[26:27], v[28:29] offset0:26 offset1:27
	ds_write2_b64 v1, v[22:23], v[24:25] offset0:28 offset1:29
	;; [unrolled: 1-line block ×8, first 2 shown]
.LBB40_270:
	s_or_b64 exec, exec, s[0:1]
	v_cmp_lt_i32_e32 vcc, 12, v96
	s_waitcnt vmcnt(0) lgkmcnt(0)
	s_barrier
	s_and_saveexec_b64 s[0:1], vcc
	s_cbranch_execz .LBB40_272
; %bb.271:
	v_mul_f64 v[94:95], v[86:87], v[32:33]
	v_mul_f64 v[32:33], v[88:89], v[32:33]
	v_fma_f64 v[94:95], v[88:89], v[30:31], v[94:95]
	v_fma_f64 v[30:31], v[86:87], v[30:31], -v[32:33]
	ds_read2_b64 v[86:89], v1 offset0:26 offset1:27
	s_waitcnt lgkmcnt(0)
	v_mul_f64 v[32:33], v[88:89], v[94:95]
	v_fma_f64 v[32:33], v[86:87], v[30:31], -v[32:33]
	v_mul_f64 v[86:87], v[86:87], v[94:95]
	v_add_f64 v[26:27], v[26:27], -v[32:33]
	v_fma_f64 v[86:87], v[88:89], v[30:31], v[86:87]
	v_add_f64 v[28:29], v[28:29], -v[86:87]
	ds_read2_b64 v[86:89], v1 offset0:28 offset1:29
	s_waitcnt lgkmcnt(0)
	v_mul_f64 v[32:33], v[88:89], v[94:95]
	v_fma_f64 v[32:33], v[86:87], v[30:31], -v[32:33]
	v_mul_f64 v[86:87], v[86:87], v[94:95]
	v_add_f64 v[22:23], v[22:23], -v[32:33]
	v_fma_f64 v[86:87], v[88:89], v[30:31], v[86:87]
	v_add_f64 v[24:25], v[24:25], -v[86:87]
	;; [unrolled: 8-line block ×7, first 2 shown]
	ds_read2_b64 v[86:89], v1 offset0:40 offset1:41
	s_waitcnt lgkmcnt(0)
	v_mul_f64 v[32:33], v[88:89], v[94:95]
	v_fma_f64 v[32:33], v[86:87], v[30:31], -v[32:33]
	v_mul_f64 v[86:87], v[86:87], v[94:95]
	v_add_f64 v[82:83], v[82:83], -v[32:33]
	v_fma_f64 v[86:87], v[88:89], v[30:31], v[86:87]
	v_mov_b32_e32 v32, v94
	v_mov_b32_e32 v33, v95
	v_add_f64 v[84:85], v[84:85], -v[86:87]
.LBB40_272:
	s_or_b64 exec, exec, s[0:1]
	v_lshl_add_u32 v86, v96, 4, v1
	s_barrier
	ds_write2_b64 v86, v[26:27], v[28:29] offset1:1
	s_waitcnt lgkmcnt(0)
	s_barrier
	ds_read2_b64 v[86:89], v1 offset0:26 offset1:27
	s_cmp_lt_i32 s22, 15
	v_mov_b32_e32 v94, 13
	s_cbranch_scc1 .LBB40_275
; %bb.273:
	v_add_u32_e32 v95, 0xe0, v1
	s_mov_b32 s7, 14
	v_mov_b32_e32 v94, 13
.LBB40_274:                             ; =>This Inner Loop Header: Depth=1
	s_waitcnt lgkmcnt(0)
	v_cmp_gt_f64_e32 vcc, 0, v[88:89]
	v_cmp_gt_f64_e64 s[0:1], 0, v[86:87]
	ds_read2_b64 v[100:103], v95 offset1:1
	v_xor_b32_e32 v105, 0x80000000, v87
	v_xor_b32_e32 v107, 0x80000000, v89
	v_mov_b32_e32 v104, v86
	v_mov_b32_e32 v106, v88
	s_waitcnt lgkmcnt(0)
	v_xor_b32_e32 v109, 0x80000000, v103
	v_cndmask_b32_e32 v107, v89, v107, vcc
	v_cndmask_b32_e64 v105, v87, v105, s[0:1]
	v_cmp_gt_f64_e32 vcc, 0, v[102:103]
	v_cmp_gt_f64_e64 s[0:1], 0, v[100:101]
	v_add_f64 v[104:105], v[104:105], v[106:107]
	v_xor_b32_e32 v107, 0x80000000, v101
	v_mov_b32_e32 v106, v100
	v_mov_b32_e32 v108, v102
	v_add_u32_e32 v95, 16, v95
	v_cndmask_b32_e32 v109, v103, v109, vcc
	v_cndmask_b32_e64 v107, v101, v107, s[0:1]
	v_add_f64 v[106:107], v[106:107], v[108:109]
	v_mov_b32_e32 v108, s7
	s_add_i32 s7, s7, 1
	s_cmp_lg_u32 s22, s7
	v_cmp_lt_f64_e32 vcc, v[104:105], v[106:107]
	v_cndmask_b32_e32 v87, v87, v101, vcc
	v_cndmask_b32_e32 v86, v86, v100, vcc
	;; [unrolled: 1-line block ×5, first 2 shown]
	s_cbranch_scc1 .LBB40_274
.LBB40_275:
	s_waitcnt lgkmcnt(0)
	v_cmp_eq_f64_e32 vcc, 0, v[86:87]
	v_cmp_eq_f64_e64 s[0:1], 0, v[88:89]
	s_and_b64 s[0:1], vcc, s[0:1]
	s_and_saveexec_b64 s[8:9], s[0:1]
	s_xor_b64 s[0:1], exec, s[8:9]
; %bb.276:
	v_cmp_ne_u32_e32 vcc, 0, v99
	v_cndmask_b32_e32 v99, 14, v99, vcc
; %bb.277:
	s_andn2_saveexec_b64 s[0:1], s[0:1]
	s_cbranch_execz .LBB40_283
; %bb.278:
	v_cmp_ngt_f64_e64 s[8:9], |v[86:87]|, |v[88:89]|
	s_and_saveexec_b64 s[20:21], s[8:9]
	s_xor_b64 s[8:9], exec, s[20:21]
	s_cbranch_execz .LBB40_280
; %bb.279:
	v_div_scale_f64 v[100:101], s[20:21], v[88:89], v[88:89], v[86:87]
	v_rcp_f64_e32 v[102:103], v[100:101]
	v_fma_f64 v[104:105], -v[100:101], v[102:103], 1.0
	v_fma_f64 v[102:103], v[102:103], v[104:105], v[102:103]
	v_div_scale_f64 v[104:105], vcc, v[86:87], v[88:89], v[86:87]
	v_fma_f64 v[106:107], -v[100:101], v[102:103], 1.0
	v_fma_f64 v[102:103], v[102:103], v[106:107], v[102:103]
	v_mul_f64 v[106:107], v[104:105], v[102:103]
	v_fma_f64 v[100:101], -v[100:101], v[106:107], v[104:105]
	v_div_fmas_f64 v[100:101], v[100:101], v[102:103], v[106:107]
	v_div_fixup_f64 v[100:101], v[100:101], v[88:89], v[86:87]
	v_fma_f64 v[86:87], v[86:87], v[100:101], v[88:89]
	v_div_scale_f64 v[88:89], s[20:21], v[86:87], v[86:87], 1.0
	v_div_scale_f64 v[106:107], vcc, 1.0, v[86:87], 1.0
	v_rcp_f64_e32 v[102:103], v[88:89]
	v_fma_f64 v[104:105], -v[88:89], v[102:103], 1.0
	v_fma_f64 v[102:103], v[102:103], v[104:105], v[102:103]
	v_fma_f64 v[104:105], -v[88:89], v[102:103], 1.0
	v_fma_f64 v[102:103], v[102:103], v[104:105], v[102:103]
	v_mul_f64 v[104:105], v[106:107], v[102:103]
	v_fma_f64 v[88:89], -v[88:89], v[104:105], v[106:107]
	v_div_fmas_f64 v[88:89], v[88:89], v[102:103], v[104:105]
	v_div_fixup_f64 v[88:89], v[88:89], v[86:87], 1.0
	v_mul_f64 v[86:87], v[100:101], v[88:89]
	v_xor_b32_e32 v89, 0x80000000, v89
.LBB40_280:
	s_andn2_saveexec_b64 s[8:9], s[8:9]
	s_cbranch_execz .LBB40_282
; %bb.281:
	v_div_scale_f64 v[100:101], s[20:21], v[86:87], v[86:87], v[88:89]
	v_rcp_f64_e32 v[102:103], v[100:101]
	v_fma_f64 v[104:105], -v[100:101], v[102:103], 1.0
	v_fma_f64 v[102:103], v[102:103], v[104:105], v[102:103]
	v_div_scale_f64 v[104:105], vcc, v[88:89], v[86:87], v[88:89]
	v_fma_f64 v[106:107], -v[100:101], v[102:103], 1.0
	v_fma_f64 v[102:103], v[102:103], v[106:107], v[102:103]
	v_mul_f64 v[106:107], v[104:105], v[102:103]
	v_fma_f64 v[100:101], -v[100:101], v[106:107], v[104:105]
	v_div_fmas_f64 v[100:101], v[100:101], v[102:103], v[106:107]
	v_div_fixup_f64 v[100:101], v[100:101], v[86:87], v[88:89]
	v_fma_f64 v[86:87], v[88:89], v[100:101], v[86:87]
	v_div_scale_f64 v[88:89], s[20:21], v[86:87], v[86:87], 1.0
	v_div_scale_f64 v[106:107], vcc, 1.0, v[86:87], 1.0
	v_rcp_f64_e32 v[102:103], v[88:89]
	v_fma_f64 v[104:105], -v[88:89], v[102:103], 1.0
	v_fma_f64 v[102:103], v[102:103], v[104:105], v[102:103]
	v_fma_f64 v[104:105], -v[88:89], v[102:103], 1.0
	v_fma_f64 v[102:103], v[102:103], v[104:105], v[102:103]
	v_mul_f64 v[104:105], v[106:107], v[102:103]
	v_fma_f64 v[88:89], -v[88:89], v[104:105], v[106:107]
	v_div_fmas_f64 v[88:89], v[88:89], v[102:103], v[104:105]
	v_div_fixup_f64 v[86:87], v[88:89], v[86:87], 1.0
	v_mul_f64 v[88:89], v[100:101], -v[86:87]
.LBB40_282:
	s_or_b64 exec, exec, s[8:9]
.LBB40_283:
	s_or_b64 exec, exec, s[0:1]
	v_cmp_ne_u32_e32 vcc, v96, v94
	s_and_saveexec_b64 s[0:1], vcc
	s_xor_b64 s[0:1], exec, s[0:1]
	s_cbranch_execz .LBB40_289
; %bb.284:
	v_cmp_eq_u32_e32 vcc, 13, v96
	s_and_saveexec_b64 s[8:9], vcc
	s_cbranch_execz .LBB40_288
; %bb.285:
	v_cmp_ne_u32_e32 vcc, 13, v94
	s_xor_b64 s[20:21], s[18:19], -1
	s_and_b64 s[24:25], s[20:21], vcc
	s_and_saveexec_b64 s[20:21], s[24:25]
	s_cbranch_execz .LBB40_287
; %bb.286:
	v_ashrrev_i32_e32 v95, 31, v94
	v_lshlrev_b64 v[95:96], 2, v[94:95]
	v_add_co_u32_e32 v95, vcc, v92, v95
	v_addc_co_u32_e32 v96, vcc, v93, v96, vcc
	global_load_dword v0, v[95:96], off
	global_load_dword v100, v[92:93], off offset:52
	s_waitcnt vmcnt(1)
	global_store_dword v[92:93], v0, off offset:52
	s_waitcnt vmcnt(1)
	global_store_dword v[95:96], v100, off
.LBB40_287:
	s_or_b64 exec, exec, s[20:21]
	v_mov_b32_e32 v96, v94
	v_mov_b32_e32 v0, v94
.LBB40_288:
	s_or_b64 exec, exec, s[8:9]
.LBB40_289:
	s_andn2_saveexec_b64 s[0:1], s[0:1]
	s_cbranch_execz .LBB40_291
; %bb.290:
	v_mov_b32_e32 v96, 13
	ds_write2_b64 v1, v[22:23], v[24:25] offset0:28 offset1:29
	ds_write2_b64 v1, v[18:19], v[20:21] offset0:30 offset1:31
	ds_write2_b64 v1, v[14:15], v[16:17] offset0:32 offset1:33
	ds_write2_b64 v1, v[10:11], v[12:13] offset0:34 offset1:35
	ds_write2_b64 v1, v[6:7], v[8:9] offset0:36 offset1:37
	ds_write2_b64 v1, v[2:3], v[4:5] offset0:38 offset1:39
	ds_write2_b64 v1, v[82:83], v[84:85] offset0:40 offset1:41
.LBB40_291:
	s_or_b64 exec, exec, s[0:1]
	v_cmp_lt_i32_e32 vcc, 13, v96
	s_waitcnt vmcnt(0) lgkmcnt(0)
	s_barrier
	s_and_saveexec_b64 s[0:1], vcc
	s_cbranch_execz .LBB40_293
; %bb.292:
	v_mul_f64 v[94:95], v[86:87], v[28:29]
	v_mul_f64 v[28:29], v[88:89], v[28:29]
	v_fma_f64 v[94:95], v[88:89], v[26:27], v[94:95]
	v_fma_f64 v[26:27], v[86:87], v[26:27], -v[28:29]
	ds_read2_b64 v[86:89], v1 offset0:28 offset1:29
	s_waitcnt lgkmcnt(0)
	v_mul_f64 v[28:29], v[88:89], v[94:95]
	v_fma_f64 v[28:29], v[86:87], v[26:27], -v[28:29]
	v_mul_f64 v[86:87], v[86:87], v[94:95]
	v_add_f64 v[22:23], v[22:23], -v[28:29]
	v_fma_f64 v[86:87], v[88:89], v[26:27], v[86:87]
	v_add_f64 v[24:25], v[24:25], -v[86:87]
	ds_read2_b64 v[86:89], v1 offset0:30 offset1:31
	s_waitcnt lgkmcnt(0)
	v_mul_f64 v[28:29], v[88:89], v[94:95]
	v_fma_f64 v[28:29], v[86:87], v[26:27], -v[28:29]
	v_mul_f64 v[86:87], v[86:87], v[94:95]
	v_add_f64 v[18:19], v[18:19], -v[28:29]
	v_fma_f64 v[86:87], v[88:89], v[26:27], v[86:87]
	v_add_f64 v[20:21], v[20:21], -v[86:87]
	;; [unrolled: 8-line block ×6, first 2 shown]
	ds_read2_b64 v[86:89], v1 offset0:40 offset1:41
	s_waitcnt lgkmcnt(0)
	v_mul_f64 v[28:29], v[88:89], v[94:95]
	v_fma_f64 v[28:29], v[86:87], v[26:27], -v[28:29]
	v_mul_f64 v[86:87], v[86:87], v[94:95]
	v_add_f64 v[82:83], v[82:83], -v[28:29]
	v_fma_f64 v[86:87], v[88:89], v[26:27], v[86:87]
	v_mov_b32_e32 v28, v94
	v_mov_b32_e32 v29, v95
	v_add_f64 v[84:85], v[84:85], -v[86:87]
.LBB40_293:
	s_or_b64 exec, exec, s[0:1]
	v_lshl_add_u32 v86, v96, 4, v1
	s_barrier
	ds_write2_b64 v86, v[22:23], v[24:25] offset1:1
	s_waitcnt lgkmcnt(0)
	s_barrier
	ds_read2_b64 v[86:89], v1 offset0:28 offset1:29
	s_cmp_lt_i32 s22, 16
	v_mov_b32_e32 v94, 14
	s_cbranch_scc1 .LBB40_296
; %bb.294:
	v_add_u32_e32 v95, 0xf0, v1
	s_mov_b32 s7, 15
	v_mov_b32_e32 v94, 14
.LBB40_295:                             ; =>This Inner Loop Header: Depth=1
	s_waitcnt lgkmcnt(0)
	v_cmp_gt_f64_e32 vcc, 0, v[88:89]
	v_cmp_gt_f64_e64 s[0:1], 0, v[86:87]
	ds_read2_b64 v[100:103], v95 offset1:1
	v_xor_b32_e32 v105, 0x80000000, v87
	v_xor_b32_e32 v107, 0x80000000, v89
	v_mov_b32_e32 v104, v86
	v_mov_b32_e32 v106, v88
	s_waitcnt lgkmcnt(0)
	v_xor_b32_e32 v109, 0x80000000, v103
	v_cndmask_b32_e32 v107, v89, v107, vcc
	v_cndmask_b32_e64 v105, v87, v105, s[0:1]
	v_cmp_gt_f64_e32 vcc, 0, v[102:103]
	v_cmp_gt_f64_e64 s[0:1], 0, v[100:101]
	v_add_f64 v[104:105], v[104:105], v[106:107]
	v_xor_b32_e32 v107, 0x80000000, v101
	v_mov_b32_e32 v106, v100
	v_mov_b32_e32 v108, v102
	v_add_u32_e32 v95, 16, v95
	v_cndmask_b32_e32 v109, v103, v109, vcc
	v_cndmask_b32_e64 v107, v101, v107, s[0:1]
	v_add_f64 v[106:107], v[106:107], v[108:109]
	v_mov_b32_e32 v108, s7
	s_add_i32 s7, s7, 1
	s_cmp_lg_u32 s22, s7
	v_cmp_lt_f64_e32 vcc, v[104:105], v[106:107]
	v_cndmask_b32_e32 v87, v87, v101, vcc
	v_cndmask_b32_e32 v86, v86, v100, vcc
	v_cndmask_b32_e32 v89, v89, v103, vcc
	v_cndmask_b32_e32 v88, v88, v102, vcc
	v_cndmask_b32_e32 v94, v94, v108, vcc
	s_cbranch_scc1 .LBB40_295
.LBB40_296:
	s_waitcnt lgkmcnt(0)
	v_cmp_eq_f64_e32 vcc, 0, v[86:87]
	v_cmp_eq_f64_e64 s[0:1], 0, v[88:89]
	s_and_b64 s[0:1], vcc, s[0:1]
	s_and_saveexec_b64 s[8:9], s[0:1]
	s_xor_b64 s[0:1], exec, s[8:9]
; %bb.297:
	v_cmp_ne_u32_e32 vcc, 0, v99
	v_cndmask_b32_e32 v99, 15, v99, vcc
; %bb.298:
	s_andn2_saveexec_b64 s[0:1], s[0:1]
	s_cbranch_execz .LBB40_304
; %bb.299:
	v_cmp_ngt_f64_e64 s[8:9], |v[86:87]|, |v[88:89]|
	s_and_saveexec_b64 s[20:21], s[8:9]
	s_xor_b64 s[8:9], exec, s[20:21]
	s_cbranch_execz .LBB40_301
; %bb.300:
	v_div_scale_f64 v[100:101], s[20:21], v[88:89], v[88:89], v[86:87]
	v_rcp_f64_e32 v[102:103], v[100:101]
	v_fma_f64 v[104:105], -v[100:101], v[102:103], 1.0
	v_fma_f64 v[102:103], v[102:103], v[104:105], v[102:103]
	v_div_scale_f64 v[104:105], vcc, v[86:87], v[88:89], v[86:87]
	v_fma_f64 v[106:107], -v[100:101], v[102:103], 1.0
	v_fma_f64 v[102:103], v[102:103], v[106:107], v[102:103]
	v_mul_f64 v[106:107], v[104:105], v[102:103]
	v_fma_f64 v[100:101], -v[100:101], v[106:107], v[104:105]
	v_div_fmas_f64 v[100:101], v[100:101], v[102:103], v[106:107]
	v_div_fixup_f64 v[100:101], v[100:101], v[88:89], v[86:87]
	v_fma_f64 v[86:87], v[86:87], v[100:101], v[88:89]
	v_div_scale_f64 v[88:89], s[20:21], v[86:87], v[86:87], 1.0
	v_div_scale_f64 v[106:107], vcc, 1.0, v[86:87], 1.0
	v_rcp_f64_e32 v[102:103], v[88:89]
	v_fma_f64 v[104:105], -v[88:89], v[102:103], 1.0
	v_fma_f64 v[102:103], v[102:103], v[104:105], v[102:103]
	v_fma_f64 v[104:105], -v[88:89], v[102:103], 1.0
	v_fma_f64 v[102:103], v[102:103], v[104:105], v[102:103]
	v_mul_f64 v[104:105], v[106:107], v[102:103]
	v_fma_f64 v[88:89], -v[88:89], v[104:105], v[106:107]
	v_div_fmas_f64 v[88:89], v[88:89], v[102:103], v[104:105]
	v_div_fixup_f64 v[88:89], v[88:89], v[86:87], 1.0
	v_mul_f64 v[86:87], v[100:101], v[88:89]
	v_xor_b32_e32 v89, 0x80000000, v89
.LBB40_301:
	s_andn2_saveexec_b64 s[8:9], s[8:9]
	s_cbranch_execz .LBB40_303
; %bb.302:
	v_div_scale_f64 v[100:101], s[20:21], v[86:87], v[86:87], v[88:89]
	v_rcp_f64_e32 v[102:103], v[100:101]
	v_fma_f64 v[104:105], -v[100:101], v[102:103], 1.0
	v_fma_f64 v[102:103], v[102:103], v[104:105], v[102:103]
	v_div_scale_f64 v[104:105], vcc, v[88:89], v[86:87], v[88:89]
	v_fma_f64 v[106:107], -v[100:101], v[102:103], 1.0
	v_fma_f64 v[102:103], v[102:103], v[106:107], v[102:103]
	v_mul_f64 v[106:107], v[104:105], v[102:103]
	v_fma_f64 v[100:101], -v[100:101], v[106:107], v[104:105]
	v_div_fmas_f64 v[100:101], v[100:101], v[102:103], v[106:107]
	v_div_fixup_f64 v[100:101], v[100:101], v[86:87], v[88:89]
	v_fma_f64 v[86:87], v[88:89], v[100:101], v[86:87]
	v_div_scale_f64 v[88:89], s[20:21], v[86:87], v[86:87], 1.0
	v_div_scale_f64 v[106:107], vcc, 1.0, v[86:87], 1.0
	v_rcp_f64_e32 v[102:103], v[88:89]
	v_fma_f64 v[104:105], -v[88:89], v[102:103], 1.0
	v_fma_f64 v[102:103], v[102:103], v[104:105], v[102:103]
	v_fma_f64 v[104:105], -v[88:89], v[102:103], 1.0
	v_fma_f64 v[102:103], v[102:103], v[104:105], v[102:103]
	v_mul_f64 v[104:105], v[106:107], v[102:103]
	v_fma_f64 v[88:89], -v[88:89], v[104:105], v[106:107]
	v_div_fmas_f64 v[88:89], v[88:89], v[102:103], v[104:105]
	v_div_fixup_f64 v[86:87], v[88:89], v[86:87], 1.0
	v_mul_f64 v[88:89], v[100:101], -v[86:87]
.LBB40_303:
	s_or_b64 exec, exec, s[8:9]
.LBB40_304:
	s_or_b64 exec, exec, s[0:1]
	v_cmp_ne_u32_e32 vcc, v96, v94
	s_and_saveexec_b64 s[0:1], vcc
	s_xor_b64 s[0:1], exec, s[0:1]
	s_cbranch_execz .LBB40_310
; %bb.305:
	v_cmp_eq_u32_e32 vcc, 14, v96
	s_and_saveexec_b64 s[8:9], vcc
	s_cbranch_execz .LBB40_309
; %bb.306:
	v_cmp_ne_u32_e32 vcc, 14, v94
	s_xor_b64 s[20:21], s[18:19], -1
	s_and_b64 s[24:25], s[20:21], vcc
	s_and_saveexec_b64 s[20:21], s[24:25]
	s_cbranch_execz .LBB40_308
; %bb.307:
	v_ashrrev_i32_e32 v95, 31, v94
	v_lshlrev_b64 v[95:96], 2, v[94:95]
	v_add_co_u32_e32 v95, vcc, v92, v95
	v_addc_co_u32_e32 v96, vcc, v93, v96, vcc
	global_load_dword v0, v[95:96], off
	global_load_dword v100, v[92:93], off offset:56
	s_waitcnt vmcnt(1)
	global_store_dword v[92:93], v0, off offset:56
	s_waitcnt vmcnt(1)
	global_store_dword v[95:96], v100, off
.LBB40_308:
	s_or_b64 exec, exec, s[20:21]
	v_mov_b32_e32 v96, v94
	v_mov_b32_e32 v0, v94
.LBB40_309:
	s_or_b64 exec, exec, s[8:9]
.LBB40_310:
	s_andn2_saveexec_b64 s[0:1], s[0:1]
	s_cbranch_execz .LBB40_312
; %bb.311:
	v_mov_b32_e32 v96, 14
	ds_write2_b64 v1, v[18:19], v[20:21] offset0:30 offset1:31
	ds_write2_b64 v1, v[14:15], v[16:17] offset0:32 offset1:33
	;; [unrolled: 1-line block ×6, first 2 shown]
.LBB40_312:
	s_or_b64 exec, exec, s[0:1]
	v_cmp_lt_i32_e32 vcc, 14, v96
	s_waitcnt vmcnt(0) lgkmcnt(0)
	s_barrier
	s_and_saveexec_b64 s[0:1], vcc
	s_cbranch_execz .LBB40_314
; %bb.313:
	v_mul_f64 v[94:95], v[86:87], v[24:25]
	v_mul_f64 v[24:25], v[88:89], v[24:25]
	v_fma_f64 v[94:95], v[88:89], v[22:23], v[94:95]
	v_fma_f64 v[22:23], v[86:87], v[22:23], -v[24:25]
	ds_read2_b64 v[86:89], v1 offset0:30 offset1:31
	s_waitcnt lgkmcnt(0)
	v_mul_f64 v[24:25], v[88:89], v[94:95]
	v_fma_f64 v[24:25], v[86:87], v[22:23], -v[24:25]
	v_mul_f64 v[86:87], v[86:87], v[94:95]
	v_add_f64 v[18:19], v[18:19], -v[24:25]
	v_fma_f64 v[86:87], v[88:89], v[22:23], v[86:87]
	v_add_f64 v[20:21], v[20:21], -v[86:87]
	ds_read2_b64 v[86:89], v1 offset0:32 offset1:33
	s_waitcnt lgkmcnt(0)
	v_mul_f64 v[24:25], v[88:89], v[94:95]
	v_fma_f64 v[24:25], v[86:87], v[22:23], -v[24:25]
	v_mul_f64 v[86:87], v[86:87], v[94:95]
	v_add_f64 v[14:15], v[14:15], -v[24:25]
	v_fma_f64 v[86:87], v[88:89], v[22:23], v[86:87]
	v_add_f64 v[16:17], v[16:17], -v[86:87]
	;; [unrolled: 8-line block ×5, first 2 shown]
	ds_read2_b64 v[86:89], v1 offset0:40 offset1:41
	s_waitcnt lgkmcnt(0)
	v_mul_f64 v[24:25], v[88:89], v[94:95]
	v_fma_f64 v[24:25], v[86:87], v[22:23], -v[24:25]
	v_mul_f64 v[86:87], v[86:87], v[94:95]
	v_add_f64 v[82:83], v[82:83], -v[24:25]
	v_fma_f64 v[86:87], v[88:89], v[22:23], v[86:87]
	v_mov_b32_e32 v24, v94
	v_mov_b32_e32 v25, v95
	v_add_f64 v[84:85], v[84:85], -v[86:87]
.LBB40_314:
	s_or_b64 exec, exec, s[0:1]
	v_lshl_add_u32 v86, v96, 4, v1
	s_barrier
	ds_write2_b64 v86, v[18:19], v[20:21] offset1:1
	s_waitcnt lgkmcnt(0)
	s_barrier
	ds_read2_b64 v[86:89], v1 offset0:30 offset1:31
	s_cmp_lt_i32 s22, 17
	v_mov_b32_e32 v94, 15
	s_cbranch_scc1 .LBB40_317
; %bb.315:
	v_add_u32_e32 v95, 0x100, v1
	s_mov_b32 s7, 16
	v_mov_b32_e32 v94, 15
.LBB40_316:                             ; =>This Inner Loop Header: Depth=1
	s_waitcnt lgkmcnt(0)
	v_cmp_gt_f64_e32 vcc, 0, v[88:89]
	v_cmp_gt_f64_e64 s[0:1], 0, v[86:87]
	ds_read2_b64 v[100:103], v95 offset1:1
	v_xor_b32_e32 v105, 0x80000000, v87
	v_xor_b32_e32 v107, 0x80000000, v89
	v_mov_b32_e32 v104, v86
	v_mov_b32_e32 v106, v88
	s_waitcnt lgkmcnt(0)
	v_xor_b32_e32 v109, 0x80000000, v103
	v_cndmask_b32_e32 v107, v89, v107, vcc
	v_cndmask_b32_e64 v105, v87, v105, s[0:1]
	v_cmp_gt_f64_e32 vcc, 0, v[102:103]
	v_cmp_gt_f64_e64 s[0:1], 0, v[100:101]
	v_add_f64 v[104:105], v[104:105], v[106:107]
	v_xor_b32_e32 v107, 0x80000000, v101
	v_mov_b32_e32 v106, v100
	v_mov_b32_e32 v108, v102
	v_add_u32_e32 v95, 16, v95
	v_cndmask_b32_e32 v109, v103, v109, vcc
	v_cndmask_b32_e64 v107, v101, v107, s[0:1]
	v_add_f64 v[106:107], v[106:107], v[108:109]
	v_mov_b32_e32 v108, s7
	s_add_i32 s7, s7, 1
	s_cmp_lg_u32 s22, s7
	v_cmp_lt_f64_e32 vcc, v[104:105], v[106:107]
	v_cndmask_b32_e32 v87, v87, v101, vcc
	v_cndmask_b32_e32 v86, v86, v100, vcc
	;; [unrolled: 1-line block ×5, first 2 shown]
	s_cbranch_scc1 .LBB40_316
.LBB40_317:
	s_waitcnt lgkmcnt(0)
	v_cmp_eq_f64_e32 vcc, 0, v[86:87]
	v_cmp_eq_f64_e64 s[0:1], 0, v[88:89]
	s_and_b64 s[0:1], vcc, s[0:1]
	s_and_saveexec_b64 s[8:9], s[0:1]
	s_xor_b64 s[0:1], exec, s[8:9]
; %bb.318:
	v_cmp_ne_u32_e32 vcc, 0, v99
	v_cndmask_b32_e32 v99, 16, v99, vcc
; %bb.319:
	s_andn2_saveexec_b64 s[0:1], s[0:1]
	s_cbranch_execz .LBB40_325
; %bb.320:
	v_cmp_ngt_f64_e64 s[8:9], |v[86:87]|, |v[88:89]|
	s_and_saveexec_b64 s[20:21], s[8:9]
	s_xor_b64 s[8:9], exec, s[20:21]
	s_cbranch_execz .LBB40_322
; %bb.321:
	v_div_scale_f64 v[100:101], s[20:21], v[88:89], v[88:89], v[86:87]
	v_rcp_f64_e32 v[102:103], v[100:101]
	v_fma_f64 v[104:105], -v[100:101], v[102:103], 1.0
	v_fma_f64 v[102:103], v[102:103], v[104:105], v[102:103]
	v_div_scale_f64 v[104:105], vcc, v[86:87], v[88:89], v[86:87]
	v_fma_f64 v[106:107], -v[100:101], v[102:103], 1.0
	v_fma_f64 v[102:103], v[102:103], v[106:107], v[102:103]
	v_mul_f64 v[106:107], v[104:105], v[102:103]
	v_fma_f64 v[100:101], -v[100:101], v[106:107], v[104:105]
	v_div_fmas_f64 v[100:101], v[100:101], v[102:103], v[106:107]
	v_div_fixup_f64 v[100:101], v[100:101], v[88:89], v[86:87]
	v_fma_f64 v[86:87], v[86:87], v[100:101], v[88:89]
	v_div_scale_f64 v[88:89], s[20:21], v[86:87], v[86:87], 1.0
	v_div_scale_f64 v[106:107], vcc, 1.0, v[86:87], 1.0
	v_rcp_f64_e32 v[102:103], v[88:89]
	v_fma_f64 v[104:105], -v[88:89], v[102:103], 1.0
	v_fma_f64 v[102:103], v[102:103], v[104:105], v[102:103]
	v_fma_f64 v[104:105], -v[88:89], v[102:103], 1.0
	v_fma_f64 v[102:103], v[102:103], v[104:105], v[102:103]
	v_mul_f64 v[104:105], v[106:107], v[102:103]
	v_fma_f64 v[88:89], -v[88:89], v[104:105], v[106:107]
	v_div_fmas_f64 v[88:89], v[88:89], v[102:103], v[104:105]
	v_div_fixup_f64 v[88:89], v[88:89], v[86:87], 1.0
	v_mul_f64 v[86:87], v[100:101], v[88:89]
	v_xor_b32_e32 v89, 0x80000000, v89
.LBB40_322:
	s_andn2_saveexec_b64 s[8:9], s[8:9]
	s_cbranch_execz .LBB40_324
; %bb.323:
	v_div_scale_f64 v[100:101], s[20:21], v[86:87], v[86:87], v[88:89]
	v_rcp_f64_e32 v[102:103], v[100:101]
	v_fma_f64 v[104:105], -v[100:101], v[102:103], 1.0
	v_fma_f64 v[102:103], v[102:103], v[104:105], v[102:103]
	v_div_scale_f64 v[104:105], vcc, v[88:89], v[86:87], v[88:89]
	v_fma_f64 v[106:107], -v[100:101], v[102:103], 1.0
	v_fma_f64 v[102:103], v[102:103], v[106:107], v[102:103]
	v_mul_f64 v[106:107], v[104:105], v[102:103]
	v_fma_f64 v[100:101], -v[100:101], v[106:107], v[104:105]
	v_div_fmas_f64 v[100:101], v[100:101], v[102:103], v[106:107]
	v_div_fixup_f64 v[100:101], v[100:101], v[86:87], v[88:89]
	v_fma_f64 v[86:87], v[88:89], v[100:101], v[86:87]
	v_div_scale_f64 v[88:89], s[20:21], v[86:87], v[86:87], 1.0
	v_div_scale_f64 v[106:107], vcc, 1.0, v[86:87], 1.0
	v_rcp_f64_e32 v[102:103], v[88:89]
	v_fma_f64 v[104:105], -v[88:89], v[102:103], 1.0
	v_fma_f64 v[102:103], v[102:103], v[104:105], v[102:103]
	v_fma_f64 v[104:105], -v[88:89], v[102:103], 1.0
	v_fma_f64 v[102:103], v[102:103], v[104:105], v[102:103]
	v_mul_f64 v[104:105], v[106:107], v[102:103]
	v_fma_f64 v[88:89], -v[88:89], v[104:105], v[106:107]
	v_div_fmas_f64 v[88:89], v[88:89], v[102:103], v[104:105]
	v_div_fixup_f64 v[86:87], v[88:89], v[86:87], 1.0
	v_mul_f64 v[88:89], v[100:101], -v[86:87]
.LBB40_324:
	s_or_b64 exec, exec, s[8:9]
.LBB40_325:
	s_or_b64 exec, exec, s[0:1]
	v_cmp_ne_u32_e32 vcc, v96, v94
	s_and_saveexec_b64 s[0:1], vcc
	s_xor_b64 s[0:1], exec, s[0:1]
	s_cbranch_execz .LBB40_331
; %bb.326:
	v_cmp_eq_u32_e32 vcc, 15, v96
	s_and_saveexec_b64 s[8:9], vcc
	s_cbranch_execz .LBB40_330
; %bb.327:
	v_cmp_ne_u32_e32 vcc, 15, v94
	s_xor_b64 s[20:21], s[18:19], -1
	s_and_b64 s[24:25], s[20:21], vcc
	s_and_saveexec_b64 s[20:21], s[24:25]
	s_cbranch_execz .LBB40_329
; %bb.328:
	v_ashrrev_i32_e32 v95, 31, v94
	v_lshlrev_b64 v[95:96], 2, v[94:95]
	v_add_co_u32_e32 v95, vcc, v92, v95
	v_addc_co_u32_e32 v96, vcc, v93, v96, vcc
	global_load_dword v0, v[95:96], off
	global_load_dword v100, v[92:93], off offset:60
	s_waitcnt vmcnt(1)
	global_store_dword v[92:93], v0, off offset:60
	s_waitcnt vmcnt(1)
	global_store_dword v[95:96], v100, off
.LBB40_329:
	s_or_b64 exec, exec, s[20:21]
	v_mov_b32_e32 v96, v94
	v_mov_b32_e32 v0, v94
.LBB40_330:
	s_or_b64 exec, exec, s[8:9]
.LBB40_331:
	s_andn2_saveexec_b64 s[0:1], s[0:1]
	s_cbranch_execz .LBB40_333
; %bb.332:
	v_mov_b32_e32 v96, 15
	ds_write2_b64 v1, v[14:15], v[16:17] offset0:32 offset1:33
	ds_write2_b64 v1, v[10:11], v[12:13] offset0:34 offset1:35
	;; [unrolled: 1-line block ×5, first 2 shown]
.LBB40_333:
	s_or_b64 exec, exec, s[0:1]
	v_cmp_lt_i32_e32 vcc, 15, v96
	s_waitcnt vmcnt(0) lgkmcnt(0)
	s_barrier
	s_and_saveexec_b64 s[0:1], vcc
	s_cbranch_execz .LBB40_335
; %bb.334:
	v_mul_f64 v[94:95], v[86:87], v[20:21]
	v_mul_f64 v[20:21], v[88:89], v[20:21]
	v_fma_f64 v[94:95], v[88:89], v[18:19], v[94:95]
	v_fma_f64 v[18:19], v[86:87], v[18:19], -v[20:21]
	ds_read2_b64 v[86:89], v1 offset0:32 offset1:33
	s_waitcnt lgkmcnt(0)
	v_mul_f64 v[20:21], v[88:89], v[94:95]
	v_fma_f64 v[20:21], v[86:87], v[18:19], -v[20:21]
	v_mul_f64 v[86:87], v[86:87], v[94:95]
	v_add_f64 v[14:15], v[14:15], -v[20:21]
	v_fma_f64 v[86:87], v[88:89], v[18:19], v[86:87]
	v_add_f64 v[16:17], v[16:17], -v[86:87]
	ds_read2_b64 v[86:89], v1 offset0:34 offset1:35
	s_waitcnt lgkmcnt(0)
	v_mul_f64 v[20:21], v[88:89], v[94:95]
	v_fma_f64 v[20:21], v[86:87], v[18:19], -v[20:21]
	v_mul_f64 v[86:87], v[86:87], v[94:95]
	v_add_f64 v[10:11], v[10:11], -v[20:21]
	v_fma_f64 v[86:87], v[88:89], v[18:19], v[86:87]
	v_add_f64 v[12:13], v[12:13], -v[86:87]
	;; [unrolled: 8-line block ×4, first 2 shown]
	ds_read2_b64 v[86:89], v1 offset0:40 offset1:41
	s_waitcnt lgkmcnt(0)
	v_mul_f64 v[20:21], v[88:89], v[94:95]
	v_fma_f64 v[20:21], v[86:87], v[18:19], -v[20:21]
	v_mul_f64 v[86:87], v[86:87], v[94:95]
	v_add_f64 v[82:83], v[82:83], -v[20:21]
	v_fma_f64 v[86:87], v[88:89], v[18:19], v[86:87]
	v_mov_b32_e32 v20, v94
	v_mov_b32_e32 v21, v95
	v_add_f64 v[84:85], v[84:85], -v[86:87]
.LBB40_335:
	s_or_b64 exec, exec, s[0:1]
	v_lshl_add_u32 v86, v96, 4, v1
	s_barrier
	ds_write2_b64 v86, v[14:15], v[16:17] offset1:1
	s_waitcnt lgkmcnt(0)
	s_barrier
	ds_read2_b64 v[86:89], v1 offset0:32 offset1:33
	s_cmp_lt_i32 s22, 18
	v_mov_b32_e32 v94, 16
	s_cbranch_scc1 .LBB40_338
; %bb.336:
	v_add_u32_e32 v95, 0x110, v1
	s_mov_b32 s7, 17
	v_mov_b32_e32 v94, 16
.LBB40_337:                             ; =>This Inner Loop Header: Depth=1
	s_waitcnt lgkmcnt(0)
	v_cmp_gt_f64_e32 vcc, 0, v[88:89]
	v_cmp_gt_f64_e64 s[0:1], 0, v[86:87]
	ds_read2_b64 v[100:103], v95 offset1:1
	v_xor_b32_e32 v105, 0x80000000, v87
	v_xor_b32_e32 v107, 0x80000000, v89
	v_mov_b32_e32 v104, v86
	v_mov_b32_e32 v106, v88
	s_waitcnt lgkmcnt(0)
	v_xor_b32_e32 v109, 0x80000000, v103
	v_cndmask_b32_e32 v107, v89, v107, vcc
	v_cndmask_b32_e64 v105, v87, v105, s[0:1]
	v_cmp_gt_f64_e32 vcc, 0, v[102:103]
	v_cmp_gt_f64_e64 s[0:1], 0, v[100:101]
	v_add_f64 v[104:105], v[104:105], v[106:107]
	v_xor_b32_e32 v107, 0x80000000, v101
	v_mov_b32_e32 v106, v100
	v_mov_b32_e32 v108, v102
	v_add_u32_e32 v95, 16, v95
	v_cndmask_b32_e32 v109, v103, v109, vcc
	v_cndmask_b32_e64 v107, v101, v107, s[0:1]
	v_add_f64 v[106:107], v[106:107], v[108:109]
	v_mov_b32_e32 v108, s7
	s_add_i32 s7, s7, 1
	s_cmp_lg_u32 s22, s7
	v_cmp_lt_f64_e32 vcc, v[104:105], v[106:107]
	v_cndmask_b32_e32 v87, v87, v101, vcc
	v_cndmask_b32_e32 v86, v86, v100, vcc
	;; [unrolled: 1-line block ×5, first 2 shown]
	s_cbranch_scc1 .LBB40_337
.LBB40_338:
	s_waitcnt lgkmcnt(0)
	v_cmp_eq_f64_e32 vcc, 0, v[86:87]
	v_cmp_eq_f64_e64 s[0:1], 0, v[88:89]
	s_and_b64 s[0:1], vcc, s[0:1]
	s_and_saveexec_b64 s[8:9], s[0:1]
	s_xor_b64 s[0:1], exec, s[8:9]
; %bb.339:
	v_cmp_ne_u32_e32 vcc, 0, v99
	v_cndmask_b32_e32 v99, 17, v99, vcc
; %bb.340:
	s_andn2_saveexec_b64 s[0:1], s[0:1]
	s_cbranch_execz .LBB40_346
; %bb.341:
	v_cmp_ngt_f64_e64 s[8:9], |v[86:87]|, |v[88:89]|
	s_and_saveexec_b64 s[20:21], s[8:9]
	s_xor_b64 s[8:9], exec, s[20:21]
	s_cbranch_execz .LBB40_343
; %bb.342:
	v_div_scale_f64 v[100:101], s[20:21], v[88:89], v[88:89], v[86:87]
	v_rcp_f64_e32 v[102:103], v[100:101]
	v_fma_f64 v[104:105], -v[100:101], v[102:103], 1.0
	v_fma_f64 v[102:103], v[102:103], v[104:105], v[102:103]
	v_div_scale_f64 v[104:105], vcc, v[86:87], v[88:89], v[86:87]
	v_fma_f64 v[106:107], -v[100:101], v[102:103], 1.0
	v_fma_f64 v[102:103], v[102:103], v[106:107], v[102:103]
	v_mul_f64 v[106:107], v[104:105], v[102:103]
	v_fma_f64 v[100:101], -v[100:101], v[106:107], v[104:105]
	v_div_fmas_f64 v[100:101], v[100:101], v[102:103], v[106:107]
	v_div_fixup_f64 v[100:101], v[100:101], v[88:89], v[86:87]
	v_fma_f64 v[86:87], v[86:87], v[100:101], v[88:89]
	v_div_scale_f64 v[88:89], s[20:21], v[86:87], v[86:87], 1.0
	v_div_scale_f64 v[106:107], vcc, 1.0, v[86:87], 1.0
	v_rcp_f64_e32 v[102:103], v[88:89]
	v_fma_f64 v[104:105], -v[88:89], v[102:103], 1.0
	v_fma_f64 v[102:103], v[102:103], v[104:105], v[102:103]
	v_fma_f64 v[104:105], -v[88:89], v[102:103], 1.0
	v_fma_f64 v[102:103], v[102:103], v[104:105], v[102:103]
	v_mul_f64 v[104:105], v[106:107], v[102:103]
	v_fma_f64 v[88:89], -v[88:89], v[104:105], v[106:107]
	v_div_fmas_f64 v[88:89], v[88:89], v[102:103], v[104:105]
	v_div_fixup_f64 v[88:89], v[88:89], v[86:87], 1.0
	v_mul_f64 v[86:87], v[100:101], v[88:89]
	v_xor_b32_e32 v89, 0x80000000, v89
.LBB40_343:
	s_andn2_saveexec_b64 s[8:9], s[8:9]
	s_cbranch_execz .LBB40_345
; %bb.344:
	v_div_scale_f64 v[100:101], s[20:21], v[86:87], v[86:87], v[88:89]
	v_rcp_f64_e32 v[102:103], v[100:101]
	v_fma_f64 v[104:105], -v[100:101], v[102:103], 1.0
	v_fma_f64 v[102:103], v[102:103], v[104:105], v[102:103]
	v_div_scale_f64 v[104:105], vcc, v[88:89], v[86:87], v[88:89]
	v_fma_f64 v[106:107], -v[100:101], v[102:103], 1.0
	v_fma_f64 v[102:103], v[102:103], v[106:107], v[102:103]
	v_mul_f64 v[106:107], v[104:105], v[102:103]
	v_fma_f64 v[100:101], -v[100:101], v[106:107], v[104:105]
	v_div_fmas_f64 v[100:101], v[100:101], v[102:103], v[106:107]
	v_div_fixup_f64 v[100:101], v[100:101], v[86:87], v[88:89]
	v_fma_f64 v[86:87], v[88:89], v[100:101], v[86:87]
	v_div_scale_f64 v[88:89], s[20:21], v[86:87], v[86:87], 1.0
	v_div_scale_f64 v[106:107], vcc, 1.0, v[86:87], 1.0
	v_rcp_f64_e32 v[102:103], v[88:89]
	v_fma_f64 v[104:105], -v[88:89], v[102:103], 1.0
	v_fma_f64 v[102:103], v[102:103], v[104:105], v[102:103]
	v_fma_f64 v[104:105], -v[88:89], v[102:103], 1.0
	v_fma_f64 v[102:103], v[102:103], v[104:105], v[102:103]
	v_mul_f64 v[104:105], v[106:107], v[102:103]
	v_fma_f64 v[88:89], -v[88:89], v[104:105], v[106:107]
	v_div_fmas_f64 v[88:89], v[88:89], v[102:103], v[104:105]
	v_div_fixup_f64 v[86:87], v[88:89], v[86:87], 1.0
	v_mul_f64 v[88:89], v[100:101], -v[86:87]
.LBB40_345:
	s_or_b64 exec, exec, s[8:9]
.LBB40_346:
	s_or_b64 exec, exec, s[0:1]
	v_cmp_ne_u32_e32 vcc, v96, v94
	s_and_saveexec_b64 s[0:1], vcc
	s_xor_b64 s[0:1], exec, s[0:1]
	s_cbranch_execz .LBB40_352
; %bb.347:
	v_cmp_eq_u32_e32 vcc, 16, v96
	s_and_saveexec_b64 s[8:9], vcc
	s_cbranch_execz .LBB40_351
; %bb.348:
	v_cmp_ne_u32_e32 vcc, 16, v94
	s_xor_b64 s[20:21], s[18:19], -1
	s_and_b64 s[24:25], s[20:21], vcc
	s_and_saveexec_b64 s[20:21], s[24:25]
	s_cbranch_execz .LBB40_350
; %bb.349:
	v_ashrrev_i32_e32 v95, 31, v94
	v_lshlrev_b64 v[95:96], 2, v[94:95]
	v_add_co_u32_e32 v95, vcc, v92, v95
	v_addc_co_u32_e32 v96, vcc, v93, v96, vcc
	global_load_dword v0, v[95:96], off
	global_load_dword v100, v[92:93], off offset:64
	s_waitcnt vmcnt(1)
	global_store_dword v[92:93], v0, off offset:64
	s_waitcnt vmcnt(1)
	global_store_dword v[95:96], v100, off
.LBB40_350:
	s_or_b64 exec, exec, s[20:21]
	v_mov_b32_e32 v96, v94
	v_mov_b32_e32 v0, v94
.LBB40_351:
	s_or_b64 exec, exec, s[8:9]
.LBB40_352:
	s_andn2_saveexec_b64 s[0:1], s[0:1]
	s_cbranch_execz .LBB40_354
; %bb.353:
	v_mov_b32_e32 v96, 16
	ds_write2_b64 v1, v[10:11], v[12:13] offset0:34 offset1:35
	ds_write2_b64 v1, v[6:7], v[8:9] offset0:36 offset1:37
	;; [unrolled: 1-line block ×4, first 2 shown]
.LBB40_354:
	s_or_b64 exec, exec, s[0:1]
	v_cmp_lt_i32_e32 vcc, 16, v96
	s_waitcnt vmcnt(0) lgkmcnt(0)
	s_barrier
	s_and_saveexec_b64 s[0:1], vcc
	s_cbranch_execz .LBB40_356
; %bb.355:
	v_mul_f64 v[94:95], v[86:87], v[16:17]
	v_mul_f64 v[16:17], v[88:89], v[16:17]
	ds_read2_b64 v[100:103], v1 offset0:34 offset1:35
	ds_read2_b64 v[104:107], v1 offset0:36 offset1:37
	;; [unrolled: 1-line block ×4, first 2 shown]
	v_fma_f64 v[88:89], v[88:89], v[14:15], v[94:95]
	v_fma_f64 v[14:15], v[86:87], v[14:15], -v[16:17]
	s_waitcnt lgkmcnt(3)
	v_mul_f64 v[16:17], v[102:103], v[88:89]
	v_mul_f64 v[86:87], v[100:101], v[88:89]
	s_waitcnt lgkmcnt(2)
	v_mul_f64 v[94:95], v[106:107], v[88:89]
	v_mul_f64 v[116:117], v[104:105], v[88:89]
	;; [unrolled: 3-line block ×4, first 2 shown]
	v_fma_f64 v[16:17], v[100:101], v[14:15], -v[16:17]
	v_fma_f64 v[86:87], v[102:103], v[14:15], v[86:87]
	v_fma_f64 v[94:95], v[104:105], v[14:15], -v[94:95]
	v_fma_f64 v[100:101], v[106:107], v[14:15], v[116:117]
	;; [unrolled: 2-line block ×4, first 2 shown]
	v_add_f64 v[10:11], v[10:11], -v[16:17]
	v_add_f64 v[12:13], v[12:13], -v[86:87]
	;; [unrolled: 1-line block ×8, first 2 shown]
	v_mov_b32_e32 v16, v88
	v_mov_b32_e32 v17, v89
.LBB40_356:
	s_or_b64 exec, exec, s[0:1]
	v_lshl_add_u32 v86, v96, 4, v1
	s_barrier
	ds_write2_b64 v86, v[10:11], v[12:13] offset1:1
	s_waitcnt lgkmcnt(0)
	s_barrier
	ds_read2_b64 v[86:89], v1 offset0:34 offset1:35
	s_cmp_lt_i32 s22, 19
	v_mov_b32_e32 v94, 17
	s_cbranch_scc1 .LBB40_359
; %bb.357:
	v_add_u32_e32 v95, 0x120, v1
	s_mov_b32 s7, 18
	v_mov_b32_e32 v94, 17
.LBB40_358:                             ; =>This Inner Loop Header: Depth=1
	s_waitcnt lgkmcnt(0)
	v_cmp_gt_f64_e32 vcc, 0, v[88:89]
	v_cmp_gt_f64_e64 s[0:1], 0, v[86:87]
	ds_read2_b64 v[100:103], v95 offset1:1
	v_xor_b32_e32 v105, 0x80000000, v87
	v_xor_b32_e32 v107, 0x80000000, v89
	v_mov_b32_e32 v104, v86
	v_mov_b32_e32 v106, v88
	s_waitcnt lgkmcnt(0)
	v_xor_b32_e32 v109, 0x80000000, v103
	v_cndmask_b32_e32 v107, v89, v107, vcc
	v_cndmask_b32_e64 v105, v87, v105, s[0:1]
	v_cmp_gt_f64_e32 vcc, 0, v[102:103]
	v_cmp_gt_f64_e64 s[0:1], 0, v[100:101]
	v_add_f64 v[104:105], v[104:105], v[106:107]
	v_xor_b32_e32 v107, 0x80000000, v101
	v_mov_b32_e32 v106, v100
	v_mov_b32_e32 v108, v102
	v_add_u32_e32 v95, 16, v95
	v_cndmask_b32_e32 v109, v103, v109, vcc
	v_cndmask_b32_e64 v107, v101, v107, s[0:1]
	v_add_f64 v[106:107], v[106:107], v[108:109]
	v_mov_b32_e32 v108, s7
	s_add_i32 s7, s7, 1
	s_cmp_lg_u32 s22, s7
	v_cmp_lt_f64_e32 vcc, v[104:105], v[106:107]
	v_cndmask_b32_e32 v87, v87, v101, vcc
	v_cndmask_b32_e32 v86, v86, v100, vcc
	;; [unrolled: 1-line block ×5, first 2 shown]
	s_cbranch_scc1 .LBB40_358
.LBB40_359:
	s_waitcnt lgkmcnt(0)
	v_cmp_eq_f64_e32 vcc, 0, v[86:87]
	v_cmp_eq_f64_e64 s[0:1], 0, v[88:89]
	s_and_b64 s[0:1], vcc, s[0:1]
	s_and_saveexec_b64 s[8:9], s[0:1]
	s_xor_b64 s[0:1], exec, s[8:9]
; %bb.360:
	v_cmp_ne_u32_e32 vcc, 0, v99
	v_cndmask_b32_e32 v99, 18, v99, vcc
; %bb.361:
	s_andn2_saveexec_b64 s[0:1], s[0:1]
	s_cbranch_execz .LBB40_367
; %bb.362:
	v_cmp_ngt_f64_e64 s[8:9], |v[86:87]|, |v[88:89]|
	s_and_saveexec_b64 s[20:21], s[8:9]
	s_xor_b64 s[8:9], exec, s[20:21]
	s_cbranch_execz .LBB40_364
; %bb.363:
	v_div_scale_f64 v[100:101], s[20:21], v[88:89], v[88:89], v[86:87]
	v_rcp_f64_e32 v[102:103], v[100:101]
	v_fma_f64 v[104:105], -v[100:101], v[102:103], 1.0
	v_fma_f64 v[102:103], v[102:103], v[104:105], v[102:103]
	v_div_scale_f64 v[104:105], vcc, v[86:87], v[88:89], v[86:87]
	v_fma_f64 v[106:107], -v[100:101], v[102:103], 1.0
	v_fma_f64 v[102:103], v[102:103], v[106:107], v[102:103]
	v_mul_f64 v[106:107], v[104:105], v[102:103]
	v_fma_f64 v[100:101], -v[100:101], v[106:107], v[104:105]
	v_div_fmas_f64 v[100:101], v[100:101], v[102:103], v[106:107]
	v_div_fixup_f64 v[100:101], v[100:101], v[88:89], v[86:87]
	v_fma_f64 v[86:87], v[86:87], v[100:101], v[88:89]
	v_div_scale_f64 v[88:89], s[20:21], v[86:87], v[86:87], 1.0
	v_div_scale_f64 v[106:107], vcc, 1.0, v[86:87], 1.0
	v_rcp_f64_e32 v[102:103], v[88:89]
	v_fma_f64 v[104:105], -v[88:89], v[102:103], 1.0
	v_fma_f64 v[102:103], v[102:103], v[104:105], v[102:103]
	v_fma_f64 v[104:105], -v[88:89], v[102:103], 1.0
	v_fma_f64 v[102:103], v[102:103], v[104:105], v[102:103]
	v_mul_f64 v[104:105], v[106:107], v[102:103]
	v_fma_f64 v[88:89], -v[88:89], v[104:105], v[106:107]
	v_div_fmas_f64 v[88:89], v[88:89], v[102:103], v[104:105]
	v_div_fixup_f64 v[88:89], v[88:89], v[86:87], 1.0
	v_mul_f64 v[86:87], v[100:101], v[88:89]
	v_xor_b32_e32 v89, 0x80000000, v89
.LBB40_364:
	s_andn2_saveexec_b64 s[8:9], s[8:9]
	s_cbranch_execz .LBB40_366
; %bb.365:
	v_div_scale_f64 v[100:101], s[20:21], v[86:87], v[86:87], v[88:89]
	v_rcp_f64_e32 v[102:103], v[100:101]
	v_fma_f64 v[104:105], -v[100:101], v[102:103], 1.0
	v_fma_f64 v[102:103], v[102:103], v[104:105], v[102:103]
	v_div_scale_f64 v[104:105], vcc, v[88:89], v[86:87], v[88:89]
	v_fma_f64 v[106:107], -v[100:101], v[102:103], 1.0
	v_fma_f64 v[102:103], v[102:103], v[106:107], v[102:103]
	v_mul_f64 v[106:107], v[104:105], v[102:103]
	v_fma_f64 v[100:101], -v[100:101], v[106:107], v[104:105]
	v_div_fmas_f64 v[100:101], v[100:101], v[102:103], v[106:107]
	v_div_fixup_f64 v[100:101], v[100:101], v[86:87], v[88:89]
	v_fma_f64 v[86:87], v[88:89], v[100:101], v[86:87]
	v_div_scale_f64 v[88:89], s[20:21], v[86:87], v[86:87], 1.0
	v_div_scale_f64 v[106:107], vcc, 1.0, v[86:87], 1.0
	v_rcp_f64_e32 v[102:103], v[88:89]
	v_fma_f64 v[104:105], -v[88:89], v[102:103], 1.0
	v_fma_f64 v[102:103], v[102:103], v[104:105], v[102:103]
	v_fma_f64 v[104:105], -v[88:89], v[102:103], 1.0
	v_fma_f64 v[102:103], v[102:103], v[104:105], v[102:103]
	v_mul_f64 v[104:105], v[106:107], v[102:103]
	v_fma_f64 v[88:89], -v[88:89], v[104:105], v[106:107]
	v_div_fmas_f64 v[88:89], v[88:89], v[102:103], v[104:105]
	v_div_fixup_f64 v[86:87], v[88:89], v[86:87], 1.0
	v_mul_f64 v[88:89], v[100:101], -v[86:87]
.LBB40_366:
	s_or_b64 exec, exec, s[8:9]
.LBB40_367:
	s_or_b64 exec, exec, s[0:1]
	v_cmp_ne_u32_e32 vcc, v96, v94
	s_and_saveexec_b64 s[0:1], vcc
	s_xor_b64 s[0:1], exec, s[0:1]
	s_cbranch_execz .LBB40_373
; %bb.368:
	v_cmp_eq_u32_e32 vcc, 17, v96
	s_and_saveexec_b64 s[8:9], vcc
	s_cbranch_execz .LBB40_372
; %bb.369:
	v_cmp_ne_u32_e32 vcc, 17, v94
	s_xor_b64 s[20:21], s[18:19], -1
	s_and_b64 s[24:25], s[20:21], vcc
	s_and_saveexec_b64 s[20:21], s[24:25]
	s_cbranch_execz .LBB40_371
; %bb.370:
	v_ashrrev_i32_e32 v95, 31, v94
	v_lshlrev_b64 v[95:96], 2, v[94:95]
	v_add_co_u32_e32 v95, vcc, v92, v95
	v_addc_co_u32_e32 v96, vcc, v93, v96, vcc
	global_load_dword v0, v[95:96], off
	global_load_dword v100, v[92:93], off offset:68
	s_waitcnt vmcnt(1)
	global_store_dword v[92:93], v0, off offset:68
	s_waitcnt vmcnt(1)
	global_store_dword v[95:96], v100, off
.LBB40_371:
	s_or_b64 exec, exec, s[20:21]
	v_mov_b32_e32 v96, v94
	v_mov_b32_e32 v0, v94
.LBB40_372:
	s_or_b64 exec, exec, s[8:9]
.LBB40_373:
	s_andn2_saveexec_b64 s[0:1], s[0:1]
	s_cbranch_execz .LBB40_375
; %bb.374:
	v_mov_b32_e32 v96, 17
	ds_write2_b64 v1, v[6:7], v[8:9] offset0:36 offset1:37
	ds_write2_b64 v1, v[2:3], v[4:5] offset0:38 offset1:39
	;; [unrolled: 1-line block ×3, first 2 shown]
.LBB40_375:
	s_or_b64 exec, exec, s[0:1]
	v_cmp_lt_i32_e32 vcc, 17, v96
	s_waitcnt vmcnt(0) lgkmcnt(0)
	s_barrier
	s_and_saveexec_b64 s[0:1], vcc
	s_cbranch_execz .LBB40_377
; %bb.376:
	v_mul_f64 v[94:95], v[86:87], v[12:13]
	v_mul_f64 v[12:13], v[88:89], v[12:13]
	ds_read2_b64 v[100:103], v1 offset0:36 offset1:37
	ds_read2_b64 v[104:107], v1 offset0:38 offset1:39
	;; [unrolled: 1-line block ×3, first 2 shown]
	v_fma_f64 v[88:89], v[88:89], v[10:11], v[94:95]
	v_fma_f64 v[10:11], v[86:87], v[10:11], -v[12:13]
	s_waitcnt lgkmcnt(2)
	v_mul_f64 v[12:13], v[102:103], v[88:89]
	v_mul_f64 v[86:87], v[100:101], v[88:89]
	s_waitcnt lgkmcnt(1)
	v_mul_f64 v[94:95], v[106:107], v[88:89]
	v_mul_f64 v[112:113], v[104:105], v[88:89]
	;; [unrolled: 3-line block ×3, first 2 shown]
	v_fma_f64 v[12:13], v[100:101], v[10:11], -v[12:13]
	v_fma_f64 v[86:87], v[102:103], v[10:11], v[86:87]
	v_fma_f64 v[94:95], v[104:105], v[10:11], -v[94:95]
	v_fma_f64 v[100:101], v[106:107], v[10:11], v[112:113]
	;; [unrolled: 2-line block ×3, first 2 shown]
	v_add_f64 v[6:7], v[6:7], -v[12:13]
	v_add_f64 v[8:9], v[8:9], -v[86:87]
	;; [unrolled: 1-line block ×6, first 2 shown]
	v_mov_b32_e32 v12, v88
	v_mov_b32_e32 v13, v89
.LBB40_377:
	s_or_b64 exec, exec, s[0:1]
	v_lshl_add_u32 v86, v96, 4, v1
	s_barrier
	ds_write2_b64 v86, v[6:7], v[8:9] offset1:1
	s_waitcnt lgkmcnt(0)
	s_barrier
	ds_read2_b64 v[86:89], v1 offset0:36 offset1:37
	s_cmp_lt_i32 s22, 20
	v_mov_b32_e32 v94, 18
	s_cbranch_scc1 .LBB40_380
; %bb.378:
	v_add_u32_e32 v95, 0x130, v1
	s_mov_b32 s7, 19
	v_mov_b32_e32 v94, 18
.LBB40_379:                             ; =>This Inner Loop Header: Depth=1
	s_waitcnt lgkmcnt(0)
	v_cmp_gt_f64_e32 vcc, 0, v[88:89]
	v_cmp_gt_f64_e64 s[0:1], 0, v[86:87]
	ds_read2_b64 v[100:103], v95 offset1:1
	v_xor_b32_e32 v105, 0x80000000, v87
	v_xor_b32_e32 v107, 0x80000000, v89
	v_mov_b32_e32 v104, v86
	v_mov_b32_e32 v106, v88
	s_waitcnt lgkmcnt(0)
	v_xor_b32_e32 v109, 0x80000000, v103
	v_cndmask_b32_e32 v107, v89, v107, vcc
	v_cndmask_b32_e64 v105, v87, v105, s[0:1]
	v_cmp_gt_f64_e32 vcc, 0, v[102:103]
	v_cmp_gt_f64_e64 s[0:1], 0, v[100:101]
	v_add_f64 v[104:105], v[104:105], v[106:107]
	v_xor_b32_e32 v107, 0x80000000, v101
	v_mov_b32_e32 v106, v100
	v_mov_b32_e32 v108, v102
	v_add_u32_e32 v95, 16, v95
	v_cndmask_b32_e32 v109, v103, v109, vcc
	v_cndmask_b32_e64 v107, v101, v107, s[0:1]
	v_add_f64 v[106:107], v[106:107], v[108:109]
	v_mov_b32_e32 v108, s7
	s_add_i32 s7, s7, 1
	s_cmp_lg_u32 s22, s7
	v_cmp_lt_f64_e32 vcc, v[104:105], v[106:107]
	v_cndmask_b32_e32 v87, v87, v101, vcc
	v_cndmask_b32_e32 v86, v86, v100, vcc
	;; [unrolled: 1-line block ×5, first 2 shown]
	s_cbranch_scc1 .LBB40_379
.LBB40_380:
	s_waitcnt lgkmcnt(0)
	v_cmp_eq_f64_e32 vcc, 0, v[86:87]
	v_cmp_eq_f64_e64 s[0:1], 0, v[88:89]
	s_and_b64 s[0:1], vcc, s[0:1]
	s_and_saveexec_b64 s[8:9], s[0:1]
	s_xor_b64 s[0:1], exec, s[8:9]
; %bb.381:
	v_cmp_ne_u32_e32 vcc, 0, v99
	v_cndmask_b32_e32 v99, 19, v99, vcc
; %bb.382:
	s_andn2_saveexec_b64 s[0:1], s[0:1]
	s_cbranch_execz .LBB40_388
; %bb.383:
	v_cmp_ngt_f64_e64 s[8:9], |v[86:87]|, |v[88:89]|
	s_and_saveexec_b64 s[20:21], s[8:9]
	s_xor_b64 s[8:9], exec, s[20:21]
	s_cbranch_execz .LBB40_385
; %bb.384:
	v_div_scale_f64 v[100:101], s[20:21], v[88:89], v[88:89], v[86:87]
	v_rcp_f64_e32 v[102:103], v[100:101]
	v_fma_f64 v[104:105], -v[100:101], v[102:103], 1.0
	v_fma_f64 v[102:103], v[102:103], v[104:105], v[102:103]
	v_div_scale_f64 v[104:105], vcc, v[86:87], v[88:89], v[86:87]
	v_fma_f64 v[106:107], -v[100:101], v[102:103], 1.0
	v_fma_f64 v[102:103], v[102:103], v[106:107], v[102:103]
	v_mul_f64 v[106:107], v[104:105], v[102:103]
	v_fma_f64 v[100:101], -v[100:101], v[106:107], v[104:105]
	v_div_fmas_f64 v[100:101], v[100:101], v[102:103], v[106:107]
	v_div_fixup_f64 v[100:101], v[100:101], v[88:89], v[86:87]
	v_fma_f64 v[86:87], v[86:87], v[100:101], v[88:89]
	v_div_scale_f64 v[88:89], s[20:21], v[86:87], v[86:87], 1.0
	v_div_scale_f64 v[106:107], vcc, 1.0, v[86:87], 1.0
	v_rcp_f64_e32 v[102:103], v[88:89]
	v_fma_f64 v[104:105], -v[88:89], v[102:103], 1.0
	v_fma_f64 v[102:103], v[102:103], v[104:105], v[102:103]
	v_fma_f64 v[104:105], -v[88:89], v[102:103], 1.0
	v_fma_f64 v[102:103], v[102:103], v[104:105], v[102:103]
	v_mul_f64 v[104:105], v[106:107], v[102:103]
	v_fma_f64 v[88:89], -v[88:89], v[104:105], v[106:107]
	v_div_fmas_f64 v[88:89], v[88:89], v[102:103], v[104:105]
	v_div_fixup_f64 v[88:89], v[88:89], v[86:87], 1.0
	v_mul_f64 v[86:87], v[100:101], v[88:89]
	v_xor_b32_e32 v89, 0x80000000, v89
.LBB40_385:
	s_andn2_saveexec_b64 s[8:9], s[8:9]
	s_cbranch_execz .LBB40_387
; %bb.386:
	v_div_scale_f64 v[100:101], s[20:21], v[86:87], v[86:87], v[88:89]
	v_rcp_f64_e32 v[102:103], v[100:101]
	v_fma_f64 v[104:105], -v[100:101], v[102:103], 1.0
	v_fma_f64 v[102:103], v[102:103], v[104:105], v[102:103]
	v_div_scale_f64 v[104:105], vcc, v[88:89], v[86:87], v[88:89]
	v_fma_f64 v[106:107], -v[100:101], v[102:103], 1.0
	v_fma_f64 v[102:103], v[102:103], v[106:107], v[102:103]
	v_mul_f64 v[106:107], v[104:105], v[102:103]
	v_fma_f64 v[100:101], -v[100:101], v[106:107], v[104:105]
	v_div_fmas_f64 v[100:101], v[100:101], v[102:103], v[106:107]
	v_div_fixup_f64 v[100:101], v[100:101], v[86:87], v[88:89]
	v_fma_f64 v[86:87], v[88:89], v[100:101], v[86:87]
	v_div_scale_f64 v[88:89], s[20:21], v[86:87], v[86:87], 1.0
	v_div_scale_f64 v[106:107], vcc, 1.0, v[86:87], 1.0
	v_rcp_f64_e32 v[102:103], v[88:89]
	v_fma_f64 v[104:105], -v[88:89], v[102:103], 1.0
	v_fma_f64 v[102:103], v[102:103], v[104:105], v[102:103]
	v_fma_f64 v[104:105], -v[88:89], v[102:103], 1.0
	v_fma_f64 v[102:103], v[102:103], v[104:105], v[102:103]
	v_mul_f64 v[104:105], v[106:107], v[102:103]
	v_fma_f64 v[88:89], -v[88:89], v[104:105], v[106:107]
	v_div_fmas_f64 v[88:89], v[88:89], v[102:103], v[104:105]
	v_div_fixup_f64 v[86:87], v[88:89], v[86:87], 1.0
	v_mul_f64 v[88:89], v[100:101], -v[86:87]
.LBB40_387:
	s_or_b64 exec, exec, s[8:9]
.LBB40_388:
	s_or_b64 exec, exec, s[0:1]
	v_cmp_ne_u32_e32 vcc, v96, v94
	s_and_saveexec_b64 s[0:1], vcc
	s_xor_b64 s[0:1], exec, s[0:1]
	s_cbranch_execz .LBB40_394
; %bb.389:
	v_cmp_eq_u32_e32 vcc, 18, v96
	s_and_saveexec_b64 s[8:9], vcc
	s_cbranch_execz .LBB40_393
; %bb.390:
	v_cmp_ne_u32_e32 vcc, 18, v94
	s_xor_b64 s[20:21], s[18:19], -1
	s_and_b64 s[24:25], s[20:21], vcc
	s_and_saveexec_b64 s[20:21], s[24:25]
	s_cbranch_execz .LBB40_392
; %bb.391:
	v_ashrrev_i32_e32 v95, 31, v94
	v_lshlrev_b64 v[95:96], 2, v[94:95]
	v_add_co_u32_e32 v95, vcc, v92, v95
	v_addc_co_u32_e32 v96, vcc, v93, v96, vcc
	global_load_dword v0, v[95:96], off
	global_load_dword v100, v[92:93], off offset:72
	s_waitcnt vmcnt(1)
	global_store_dword v[92:93], v0, off offset:72
	s_waitcnt vmcnt(1)
	global_store_dword v[95:96], v100, off
.LBB40_392:
	s_or_b64 exec, exec, s[20:21]
	v_mov_b32_e32 v96, v94
	v_mov_b32_e32 v0, v94
.LBB40_393:
	s_or_b64 exec, exec, s[8:9]
.LBB40_394:
	s_andn2_saveexec_b64 s[0:1], s[0:1]
	s_cbranch_execz .LBB40_396
; %bb.395:
	v_mov_b32_e32 v96, 18
	ds_write2_b64 v1, v[2:3], v[4:5] offset0:38 offset1:39
	ds_write2_b64 v1, v[82:83], v[84:85] offset0:40 offset1:41
.LBB40_396:
	s_or_b64 exec, exec, s[0:1]
	v_cmp_lt_i32_e32 vcc, 18, v96
	s_waitcnt vmcnt(0) lgkmcnt(0)
	s_barrier
	s_and_saveexec_b64 s[0:1], vcc
	s_cbranch_execz .LBB40_398
; %bb.397:
	v_mul_f64 v[94:95], v[86:87], v[8:9]
	v_mul_f64 v[8:9], v[88:89], v[8:9]
	ds_read2_b64 v[100:103], v1 offset0:38 offset1:39
	ds_read2_b64 v[104:107], v1 offset0:40 offset1:41
	v_fma_f64 v[88:89], v[88:89], v[6:7], v[94:95]
	v_fma_f64 v[6:7], v[86:87], v[6:7], -v[8:9]
	s_waitcnt lgkmcnt(1)
	v_mul_f64 v[8:9], v[102:103], v[88:89]
	v_mul_f64 v[86:87], v[100:101], v[88:89]
	s_waitcnt lgkmcnt(0)
	v_mul_f64 v[94:95], v[106:107], v[88:89]
	v_mul_f64 v[108:109], v[104:105], v[88:89]
	v_fma_f64 v[8:9], v[100:101], v[6:7], -v[8:9]
	v_fma_f64 v[86:87], v[102:103], v[6:7], v[86:87]
	v_fma_f64 v[94:95], v[104:105], v[6:7], -v[94:95]
	v_fma_f64 v[100:101], v[106:107], v[6:7], v[108:109]
	v_add_f64 v[2:3], v[2:3], -v[8:9]
	v_add_f64 v[4:5], v[4:5], -v[86:87]
	;; [unrolled: 1-line block ×4, first 2 shown]
	v_mov_b32_e32 v8, v88
	v_mov_b32_e32 v9, v89
.LBB40_398:
	s_or_b64 exec, exec, s[0:1]
	v_lshl_add_u32 v86, v96, 4, v1
	s_barrier
	ds_write2_b64 v86, v[2:3], v[4:5] offset1:1
	s_waitcnt lgkmcnt(0)
	s_barrier
	ds_read2_b64 v[86:89], v1 offset0:38 offset1:39
	s_cmp_lt_i32 s22, 21
	v_mov_b32_e32 v94, 19
	s_cbranch_scc1 .LBB40_401
; %bb.399:
	v_add_u32_e32 v95, 0x140, v1
	s_mov_b32 s7, 20
	v_mov_b32_e32 v94, 19
.LBB40_400:                             ; =>This Inner Loop Header: Depth=1
	s_waitcnt lgkmcnt(0)
	v_cmp_gt_f64_e32 vcc, 0, v[88:89]
	v_cmp_gt_f64_e64 s[0:1], 0, v[86:87]
	ds_read2_b64 v[100:103], v95 offset1:1
	v_xor_b32_e32 v105, 0x80000000, v87
	v_xor_b32_e32 v107, 0x80000000, v89
	v_mov_b32_e32 v104, v86
	v_mov_b32_e32 v106, v88
	s_waitcnt lgkmcnt(0)
	v_xor_b32_e32 v109, 0x80000000, v103
	v_cndmask_b32_e32 v107, v89, v107, vcc
	v_cndmask_b32_e64 v105, v87, v105, s[0:1]
	v_cmp_gt_f64_e32 vcc, 0, v[102:103]
	v_cmp_gt_f64_e64 s[0:1], 0, v[100:101]
	v_add_f64 v[104:105], v[104:105], v[106:107]
	v_xor_b32_e32 v107, 0x80000000, v101
	v_mov_b32_e32 v106, v100
	v_mov_b32_e32 v108, v102
	v_add_u32_e32 v95, 16, v95
	v_cndmask_b32_e32 v109, v103, v109, vcc
	v_cndmask_b32_e64 v107, v101, v107, s[0:1]
	v_add_f64 v[106:107], v[106:107], v[108:109]
	v_mov_b32_e32 v108, s7
	s_add_i32 s7, s7, 1
	s_cmp_lg_u32 s22, s7
	v_cmp_lt_f64_e32 vcc, v[104:105], v[106:107]
	v_cndmask_b32_e32 v87, v87, v101, vcc
	v_cndmask_b32_e32 v86, v86, v100, vcc
	;; [unrolled: 1-line block ×5, first 2 shown]
	s_cbranch_scc1 .LBB40_400
.LBB40_401:
	s_waitcnt lgkmcnt(0)
	v_cmp_eq_f64_e32 vcc, 0, v[86:87]
	v_cmp_eq_f64_e64 s[0:1], 0, v[88:89]
	s_and_b64 s[0:1], vcc, s[0:1]
	s_and_saveexec_b64 s[8:9], s[0:1]
	s_xor_b64 s[0:1], exec, s[8:9]
; %bb.402:
	v_cmp_ne_u32_e32 vcc, 0, v99
	v_cndmask_b32_e32 v99, 20, v99, vcc
; %bb.403:
	s_andn2_saveexec_b64 s[0:1], s[0:1]
	s_cbranch_execz .LBB40_409
; %bb.404:
	v_cmp_ngt_f64_e64 s[8:9], |v[86:87]|, |v[88:89]|
	s_and_saveexec_b64 s[20:21], s[8:9]
	s_xor_b64 s[8:9], exec, s[20:21]
	s_cbranch_execz .LBB40_406
; %bb.405:
	v_div_scale_f64 v[100:101], s[20:21], v[88:89], v[88:89], v[86:87]
	v_rcp_f64_e32 v[102:103], v[100:101]
	v_fma_f64 v[104:105], -v[100:101], v[102:103], 1.0
	v_fma_f64 v[102:103], v[102:103], v[104:105], v[102:103]
	v_div_scale_f64 v[104:105], vcc, v[86:87], v[88:89], v[86:87]
	v_fma_f64 v[106:107], -v[100:101], v[102:103], 1.0
	v_fma_f64 v[102:103], v[102:103], v[106:107], v[102:103]
	v_mul_f64 v[106:107], v[104:105], v[102:103]
	v_fma_f64 v[100:101], -v[100:101], v[106:107], v[104:105]
	v_div_fmas_f64 v[100:101], v[100:101], v[102:103], v[106:107]
	v_div_fixup_f64 v[100:101], v[100:101], v[88:89], v[86:87]
	v_fma_f64 v[86:87], v[86:87], v[100:101], v[88:89]
	v_div_scale_f64 v[88:89], s[20:21], v[86:87], v[86:87], 1.0
	v_div_scale_f64 v[106:107], vcc, 1.0, v[86:87], 1.0
	v_rcp_f64_e32 v[102:103], v[88:89]
	v_fma_f64 v[104:105], -v[88:89], v[102:103], 1.0
	v_fma_f64 v[102:103], v[102:103], v[104:105], v[102:103]
	v_fma_f64 v[104:105], -v[88:89], v[102:103], 1.0
	v_fma_f64 v[102:103], v[102:103], v[104:105], v[102:103]
	v_mul_f64 v[104:105], v[106:107], v[102:103]
	v_fma_f64 v[88:89], -v[88:89], v[104:105], v[106:107]
	v_div_fmas_f64 v[88:89], v[88:89], v[102:103], v[104:105]
	v_div_fixup_f64 v[88:89], v[88:89], v[86:87], 1.0
	v_mul_f64 v[86:87], v[100:101], v[88:89]
	v_xor_b32_e32 v89, 0x80000000, v89
.LBB40_406:
	s_andn2_saveexec_b64 s[8:9], s[8:9]
	s_cbranch_execz .LBB40_408
; %bb.407:
	v_div_scale_f64 v[100:101], s[20:21], v[86:87], v[86:87], v[88:89]
	v_rcp_f64_e32 v[102:103], v[100:101]
	v_fma_f64 v[104:105], -v[100:101], v[102:103], 1.0
	v_fma_f64 v[102:103], v[102:103], v[104:105], v[102:103]
	v_div_scale_f64 v[104:105], vcc, v[88:89], v[86:87], v[88:89]
	v_fma_f64 v[106:107], -v[100:101], v[102:103], 1.0
	v_fma_f64 v[102:103], v[102:103], v[106:107], v[102:103]
	v_mul_f64 v[106:107], v[104:105], v[102:103]
	v_fma_f64 v[100:101], -v[100:101], v[106:107], v[104:105]
	v_div_fmas_f64 v[100:101], v[100:101], v[102:103], v[106:107]
	v_div_fixup_f64 v[100:101], v[100:101], v[86:87], v[88:89]
	v_fma_f64 v[86:87], v[88:89], v[100:101], v[86:87]
	v_div_scale_f64 v[88:89], s[20:21], v[86:87], v[86:87], 1.0
	v_div_scale_f64 v[106:107], vcc, 1.0, v[86:87], 1.0
	v_rcp_f64_e32 v[102:103], v[88:89]
	v_fma_f64 v[104:105], -v[88:89], v[102:103], 1.0
	v_fma_f64 v[102:103], v[102:103], v[104:105], v[102:103]
	v_fma_f64 v[104:105], -v[88:89], v[102:103], 1.0
	v_fma_f64 v[102:103], v[102:103], v[104:105], v[102:103]
	v_mul_f64 v[104:105], v[106:107], v[102:103]
	v_fma_f64 v[88:89], -v[88:89], v[104:105], v[106:107]
	v_div_fmas_f64 v[88:89], v[88:89], v[102:103], v[104:105]
	v_div_fixup_f64 v[86:87], v[88:89], v[86:87], 1.0
	v_mul_f64 v[88:89], v[100:101], -v[86:87]
.LBB40_408:
	s_or_b64 exec, exec, s[8:9]
.LBB40_409:
	s_or_b64 exec, exec, s[0:1]
	v_cmp_ne_u32_e32 vcc, v96, v94
	s_and_saveexec_b64 s[0:1], vcc
	s_xor_b64 s[0:1], exec, s[0:1]
	s_cbranch_execz .LBB40_415
; %bb.410:
	v_cmp_eq_u32_e32 vcc, 19, v96
	s_and_saveexec_b64 s[8:9], vcc
	s_cbranch_execz .LBB40_414
; %bb.411:
	v_cmp_ne_u32_e32 vcc, 19, v94
	s_xor_b64 s[20:21], s[18:19], -1
	s_and_b64 s[24:25], s[20:21], vcc
	s_and_saveexec_b64 s[20:21], s[24:25]
	s_cbranch_execz .LBB40_413
; %bb.412:
	v_ashrrev_i32_e32 v95, 31, v94
	v_lshlrev_b64 v[95:96], 2, v[94:95]
	v_add_co_u32_e32 v95, vcc, v92, v95
	v_addc_co_u32_e32 v96, vcc, v93, v96, vcc
	global_load_dword v0, v[95:96], off
	global_load_dword v100, v[92:93], off offset:76
	s_waitcnt vmcnt(1)
	global_store_dword v[92:93], v0, off offset:76
	s_waitcnt vmcnt(1)
	global_store_dword v[95:96], v100, off
.LBB40_413:
	s_or_b64 exec, exec, s[20:21]
	v_mov_b32_e32 v96, v94
	v_mov_b32_e32 v0, v94
.LBB40_414:
	s_or_b64 exec, exec, s[8:9]
.LBB40_415:
	s_andn2_saveexec_b64 s[0:1], s[0:1]
; %bb.416:
	v_mov_b32_e32 v96, 19
	ds_write2_b64 v1, v[82:83], v[84:85] offset0:40 offset1:41
; %bb.417:
	s_or_b64 exec, exec, s[0:1]
	v_cmp_lt_i32_e32 vcc, 19, v96
	s_waitcnt vmcnt(0) lgkmcnt(0)
	s_barrier
	s_and_saveexec_b64 s[0:1], vcc
	s_cbranch_execz .LBB40_419
; %bb.418:
	v_mul_f64 v[94:95], v[86:87], v[4:5]
	v_mul_f64 v[4:5], v[88:89], v[4:5]
	ds_read2_b64 v[100:103], v1 offset0:40 offset1:41
	v_fma_f64 v[88:89], v[88:89], v[2:3], v[94:95]
	v_fma_f64 v[2:3], v[86:87], v[2:3], -v[4:5]
	s_waitcnt lgkmcnt(0)
	v_mul_f64 v[4:5], v[102:103], v[88:89]
	v_mul_f64 v[86:87], v[100:101], v[88:89]
	v_fma_f64 v[4:5], v[100:101], v[2:3], -v[4:5]
	v_fma_f64 v[86:87], v[102:103], v[2:3], v[86:87]
	v_add_f64 v[82:83], v[82:83], -v[4:5]
	v_add_f64 v[84:85], v[84:85], -v[86:87]
	v_mov_b32_e32 v4, v88
	v_mov_b32_e32 v5, v89
.LBB40_419:
	s_or_b64 exec, exec, s[0:1]
	v_lshl_add_u32 v86, v96, 4, v1
	s_barrier
	ds_write2_b64 v86, v[82:83], v[84:85] offset1:1
	s_waitcnt lgkmcnt(0)
	s_barrier
	ds_read2_b64 v[86:89], v1 offset0:40 offset1:41
	s_cmp_lt_i32 s22, 22
	v_mov_b32_e32 v94, 20
	s_cbranch_scc1 .LBB40_422
; %bb.420:
	v_add_u32_e32 v1, 0x150, v1
	s_mov_b32 s7, 21
	v_mov_b32_e32 v94, 20
.LBB40_421:                             ; =>This Inner Loop Header: Depth=1
	s_waitcnt lgkmcnt(0)
	v_cmp_gt_f64_e32 vcc, 0, v[88:89]
	v_cmp_gt_f64_e64 s[0:1], 0, v[86:87]
	ds_read2_b64 v[100:103], v1 offset1:1
	v_xor_b32_e32 v95, 0x80000000, v87
	v_xor_b32_e32 v107, 0x80000000, v89
	v_mov_b32_e32 v104, v86
	v_mov_b32_e32 v106, v88
	s_waitcnt lgkmcnt(0)
	v_xor_b32_e32 v109, 0x80000000, v103
	v_cndmask_b32_e32 v107, v89, v107, vcc
	v_cndmask_b32_e64 v105, v87, v95, s[0:1]
	v_cmp_gt_f64_e32 vcc, 0, v[102:103]
	v_cmp_gt_f64_e64 s[0:1], 0, v[100:101]
	v_xor_b32_e32 v95, 0x80000000, v101
	v_add_f64 v[104:105], v[104:105], v[106:107]
	v_mov_b32_e32 v106, v100
	v_mov_b32_e32 v108, v102
	v_add_u32_e32 v1, 16, v1
	v_cndmask_b32_e32 v109, v103, v109, vcc
	v_cndmask_b32_e64 v107, v101, v95, s[0:1]
	v_add_f64 v[106:107], v[106:107], v[108:109]
	v_mov_b32_e32 v95, s7
	s_add_i32 s7, s7, 1
	s_cmp_lg_u32 s22, s7
	v_cmp_lt_f64_e32 vcc, v[104:105], v[106:107]
	v_cndmask_b32_e32 v87, v87, v101, vcc
	v_cndmask_b32_e32 v86, v86, v100, vcc
	;; [unrolled: 1-line block ×5, first 2 shown]
	s_cbranch_scc1 .LBB40_421
.LBB40_422:
	s_waitcnt lgkmcnt(0)
	v_cmp_eq_f64_e32 vcc, 0, v[86:87]
	v_cmp_eq_f64_e64 s[0:1], 0, v[88:89]
	s_and_b64 s[0:1], vcc, s[0:1]
	s_and_saveexec_b64 s[8:9], s[0:1]
	s_xor_b64 s[0:1], exec, s[8:9]
; %bb.423:
	v_cmp_ne_u32_e32 vcc, 0, v99
	v_cndmask_b32_e32 v99, 21, v99, vcc
; %bb.424:
	s_andn2_saveexec_b64 s[0:1], s[0:1]
	s_cbranch_execz .LBB40_430
; %bb.425:
	v_cmp_ngt_f64_e64 s[8:9], |v[86:87]|, |v[88:89]|
	s_and_saveexec_b64 s[20:21], s[8:9]
	s_xor_b64 s[8:9], exec, s[20:21]
	s_cbranch_execz .LBB40_427
; %bb.426:
	v_div_scale_f64 v[100:101], s[20:21], v[88:89], v[88:89], v[86:87]
	v_rcp_f64_e32 v[102:103], v[100:101]
	v_fma_f64 v[104:105], -v[100:101], v[102:103], 1.0
	v_fma_f64 v[102:103], v[102:103], v[104:105], v[102:103]
	v_div_scale_f64 v[104:105], vcc, v[86:87], v[88:89], v[86:87]
	v_fma_f64 v[106:107], -v[100:101], v[102:103], 1.0
	v_fma_f64 v[102:103], v[102:103], v[106:107], v[102:103]
	v_mul_f64 v[106:107], v[104:105], v[102:103]
	v_fma_f64 v[100:101], -v[100:101], v[106:107], v[104:105]
	v_div_fmas_f64 v[100:101], v[100:101], v[102:103], v[106:107]
	v_div_fixup_f64 v[100:101], v[100:101], v[88:89], v[86:87]
	v_fma_f64 v[86:87], v[86:87], v[100:101], v[88:89]
	v_div_scale_f64 v[88:89], s[20:21], v[86:87], v[86:87], 1.0
	v_div_scale_f64 v[106:107], vcc, 1.0, v[86:87], 1.0
	v_rcp_f64_e32 v[102:103], v[88:89]
	v_fma_f64 v[104:105], -v[88:89], v[102:103], 1.0
	v_fma_f64 v[102:103], v[102:103], v[104:105], v[102:103]
	v_fma_f64 v[104:105], -v[88:89], v[102:103], 1.0
	v_fma_f64 v[102:103], v[102:103], v[104:105], v[102:103]
	v_mul_f64 v[104:105], v[106:107], v[102:103]
	v_fma_f64 v[88:89], -v[88:89], v[104:105], v[106:107]
	v_div_fmas_f64 v[88:89], v[88:89], v[102:103], v[104:105]
	v_div_fixup_f64 v[88:89], v[88:89], v[86:87], 1.0
	v_mul_f64 v[86:87], v[100:101], v[88:89]
	v_xor_b32_e32 v89, 0x80000000, v89
.LBB40_427:
	s_andn2_saveexec_b64 s[8:9], s[8:9]
	s_cbranch_execz .LBB40_429
; %bb.428:
	v_div_scale_f64 v[100:101], s[20:21], v[86:87], v[86:87], v[88:89]
	v_rcp_f64_e32 v[102:103], v[100:101]
	v_fma_f64 v[104:105], -v[100:101], v[102:103], 1.0
	v_fma_f64 v[102:103], v[102:103], v[104:105], v[102:103]
	v_div_scale_f64 v[104:105], vcc, v[88:89], v[86:87], v[88:89]
	v_fma_f64 v[106:107], -v[100:101], v[102:103], 1.0
	v_fma_f64 v[102:103], v[102:103], v[106:107], v[102:103]
	v_mul_f64 v[106:107], v[104:105], v[102:103]
	v_fma_f64 v[100:101], -v[100:101], v[106:107], v[104:105]
	v_div_fmas_f64 v[100:101], v[100:101], v[102:103], v[106:107]
	v_div_fixup_f64 v[100:101], v[100:101], v[86:87], v[88:89]
	v_fma_f64 v[86:87], v[88:89], v[100:101], v[86:87]
	v_div_scale_f64 v[88:89], s[20:21], v[86:87], v[86:87], 1.0
	v_div_scale_f64 v[106:107], vcc, 1.0, v[86:87], 1.0
	v_rcp_f64_e32 v[102:103], v[88:89]
	v_fma_f64 v[104:105], -v[88:89], v[102:103], 1.0
	v_fma_f64 v[102:103], v[102:103], v[104:105], v[102:103]
	v_fma_f64 v[104:105], -v[88:89], v[102:103], 1.0
	v_fma_f64 v[102:103], v[102:103], v[104:105], v[102:103]
	v_mul_f64 v[104:105], v[106:107], v[102:103]
	v_fma_f64 v[88:89], -v[88:89], v[104:105], v[106:107]
	v_div_fmas_f64 v[88:89], v[88:89], v[102:103], v[104:105]
	v_div_fixup_f64 v[86:87], v[88:89], v[86:87], 1.0
	v_mul_f64 v[88:89], v[100:101], -v[86:87]
.LBB40_429:
	s_or_b64 exec, exec, s[8:9]
.LBB40_430:
	s_or_b64 exec, exec, s[0:1]
	v_cmp_ne_u32_e32 vcc, v96, v94
	v_mov_b32_e32 v95, 20
	s_and_saveexec_b64 s[0:1], vcc
	s_cbranch_execz .LBB40_436
; %bb.431:
	v_cmp_eq_u32_e32 vcc, 20, v96
	s_and_saveexec_b64 s[8:9], vcc
	s_cbranch_execz .LBB40_435
; %bb.432:
	v_cmp_ne_u32_e32 vcc, 20, v94
	s_xor_b64 s[18:19], s[18:19], -1
	s_and_b64 s[20:21], s[18:19], vcc
	s_and_saveexec_b64 s[18:19], s[20:21]
	s_cbranch_execz .LBB40_434
; %bb.433:
	v_ashrrev_i32_e32 v95, 31, v94
	v_lshlrev_b64 v[0:1], 2, v[94:95]
	v_add_co_u32_e32 v0, vcc, v92, v0
	v_addc_co_u32_e32 v1, vcc, v93, v1, vcc
	global_load_dword v95, v[0:1], off
	global_load_dword v96, v[92:93], off offset:80
	s_waitcnt vmcnt(1)
	global_store_dword v[92:93], v95, off offset:80
	s_waitcnt vmcnt(1)
	global_store_dword v[0:1], v96, off
.LBB40_434:
	s_or_b64 exec, exec, s[18:19]
	v_mov_b32_e32 v96, v94
	v_mov_b32_e32 v0, v94
.LBB40_435:
	s_or_b64 exec, exec, s[8:9]
	v_mov_b32_e32 v95, v96
.LBB40_436:
	s_or_b64 exec, exec, s[0:1]
	v_cmp_gt_i32_e32 vcc, 21, v95
	v_ashrrev_i32_e32 v96, 31, v95
	s_waitcnt vmcnt(0)
	s_barrier
	s_barrier
	s_and_saveexec_b64 s[0:1], vcc
	s_cbranch_execz .LBB40_438
; %bb.437:
	v_mul_lo_u32 v1, s15, v90
	v_mul_lo_u32 v94, s14, v91
	v_mad_u64_u32 v[92:93], s[8:9], s14, v90, 0
	s_lshl_b64 s[8:9], s[12:13], 2
	v_add3_u32 v0, v0, s17, 1
	v_add3_u32 v93, v93, v94, v1
	v_lshlrev_b64 v[92:93], 2, v[92:93]
	v_mov_b32_e32 v1, s11
	v_add_co_u32_e32 v92, vcc, s10, v92
	v_addc_co_u32_e32 v1, vcc, v1, v93, vcc
	v_mov_b32_e32 v93, s9
	v_add_co_u32_e32 v94, vcc, s8, v92
	v_addc_co_u32_e32 v1, vcc, v1, v93, vcc
	v_lshlrev_b64 v[92:93], 2, v[95:96]
	v_add_co_u32_e32 v92, vcc, v94, v92
	v_addc_co_u32_e32 v93, vcc, v1, v93, vcc
	global_store_dword v[92:93], v0, off
.LBB40_438:
	s_or_b64 exec, exec, s[0:1]
	v_cmp_eq_u32_e32 vcc, 0, v95
	s_and_saveexec_b64 s[8:9], vcc
	s_cbranch_execz .LBB40_441
; %bb.439:
	v_lshlrev_b64 v[0:1], 2, v[90:91]
	v_mov_b32_e32 v90, s5
	v_add_co_u32_e32 v0, vcc, s4, v0
	v_addc_co_u32_e32 v1, vcc, v90, v1, vcc
	global_load_dword v90, v[0:1], off
	v_cmp_ne_u32_e64 s[0:1], 0, v99
	s_waitcnt vmcnt(0)
	v_cmp_eq_u32_e32 vcc, 0, v90
	s_and_b64 s[0:1], vcc, s[0:1]
	s_and_b64 exec, exec, s[0:1]
	s_cbranch_execz .LBB40_441
; %bb.440:
	v_add_u32_e32 v90, s17, v99
	global_store_dword v[0:1], v90, off
.LBB40_441:
	s_or_b64 exec, exec, s[8:9]
	v_mul_f64 v[0:1], v[86:87], v[84:85]
	v_mul_f64 v[90:91], v[88:89], v[84:85]
	v_lshlrev_b64 v[92:93], 4, v[95:96]
	v_mov_b32_e32 v94, s3
	v_fma_f64 v[0:1], v[88:89], v[82:83], v[0:1]
	v_fma_f64 v[86:87], v[86:87], v[82:83], -v[90:91]
	v_add_co_u32_e32 v88, vcc, v97, v92
	v_addc_co_u32_e32 v89, vcc, v98, v93, vcc
	v_cmp_lt_i32_e32 vcc, 20, v95
	global_store_dwordx4 v[88:89], v[78:81], off
	s_nop 0
	v_cndmask_b32_e32 v81, v85, v1, vcc
	v_cndmask_b32_e32 v80, v84, v0, vcc
	;; [unrolled: 1-line block ×4, first 2 shown]
	v_add_co_u32_e32 v0, vcc, s2, v88
	v_addc_co_u32_e32 v1, vcc, v89, v94, vcc
	global_store_dwordx4 v[0:1], v[74:77], off
	v_add_u32_e32 v0, s16, v95
	v_ashrrev_i32_e32 v1, 31, v0
	v_lshlrev_b64 v[74:75], 4, v[0:1]
	v_add_u32_e32 v0, s6, v0
	v_add_co_u32_e32 v74, vcc, v97, v74
	v_addc_co_u32_e32 v75, vcc, v98, v75, vcc
	v_ashrrev_i32_e32 v1, 31, v0
	global_store_dwordx4 v[74:75], v[70:73], off
	s_nop 0
	v_lshlrev_b64 v[70:71], 4, v[0:1]
	v_add_u32_e32 v0, s6, v0
	v_add_co_u32_e32 v70, vcc, v97, v70
	v_addc_co_u32_e32 v71, vcc, v98, v71, vcc
	v_ashrrev_i32_e32 v1, 31, v0
	global_store_dwordx4 v[70:71], v[66:69], off
	s_nop 0
	;; [unrolled: 7-line block ×17, first 2 shown]
	v_lshlrev_b64 v[6:7], 4, v[0:1]
	v_add_u32_e32 v0, s6, v0
	v_ashrrev_i32_e32 v1, 31, v0
	v_add_co_u32_e32 v6, vcc, v97, v6
	v_lshlrev_b64 v[0:1], 4, v[0:1]
	v_addc_co_u32_e32 v7, vcc, v98, v7, vcc
	v_add_co_u32_e32 v0, vcc, v97, v0
	v_addc_co_u32_e32 v1, vcc, v98, v1, vcc
	global_store_dwordx4 v[6:7], v[2:5], off
	global_store_dwordx4 v[0:1], v[78:81], off
.LBB40_442:
	s_endpgm
	.section	.rodata,"a",@progbits
	.p2align	6, 0x0
	.amdhsa_kernel _ZN9rocsolver6v33100L18getf2_small_kernelILi21E19rocblas_complex_numIdEiiPS3_EEvT1_T3_lS5_lPS5_llPT2_S5_S5_S7_l
		.amdhsa_group_segment_fixed_size 0
		.amdhsa_private_segment_fixed_size 0
		.amdhsa_kernarg_size 352
		.amdhsa_user_sgpr_count 6
		.amdhsa_user_sgpr_private_segment_buffer 1
		.amdhsa_user_sgpr_dispatch_ptr 0
		.amdhsa_user_sgpr_queue_ptr 0
		.amdhsa_user_sgpr_kernarg_segment_ptr 1
		.amdhsa_user_sgpr_dispatch_id 0
		.amdhsa_user_sgpr_flat_scratch_init 0
		.amdhsa_user_sgpr_private_segment_size 0
		.amdhsa_uses_dynamic_stack 0
		.amdhsa_system_sgpr_private_segment_wavefront_offset 0
		.amdhsa_system_sgpr_workgroup_id_x 1
		.amdhsa_system_sgpr_workgroup_id_y 1
		.amdhsa_system_sgpr_workgroup_id_z 0
		.amdhsa_system_sgpr_workgroup_info 0
		.amdhsa_system_vgpr_workitem_id 1
		.amdhsa_next_free_vgpr 126
		.amdhsa_next_free_sgpr 26
		.amdhsa_reserve_vcc 1
		.amdhsa_reserve_flat_scratch 0
		.amdhsa_float_round_mode_32 0
		.amdhsa_float_round_mode_16_64 0
		.amdhsa_float_denorm_mode_32 3
		.amdhsa_float_denorm_mode_16_64 3
		.amdhsa_dx10_clamp 1
		.amdhsa_ieee_mode 1
		.amdhsa_fp16_overflow 0
		.amdhsa_exception_fp_ieee_invalid_op 0
		.amdhsa_exception_fp_denorm_src 0
		.amdhsa_exception_fp_ieee_div_zero 0
		.amdhsa_exception_fp_ieee_overflow 0
		.amdhsa_exception_fp_ieee_underflow 0
		.amdhsa_exception_fp_ieee_inexact 0
		.amdhsa_exception_int_div_zero 0
	.end_amdhsa_kernel
	.section	.text._ZN9rocsolver6v33100L18getf2_small_kernelILi21E19rocblas_complex_numIdEiiPS3_EEvT1_T3_lS5_lPS5_llPT2_S5_S5_S7_l,"axG",@progbits,_ZN9rocsolver6v33100L18getf2_small_kernelILi21E19rocblas_complex_numIdEiiPS3_EEvT1_T3_lS5_lPS5_llPT2_S5_S5_S7_l,comdat
.Lfunc_end40:
	.size	_ZN9rocsolver6v33100L18getf2_small_kernelILi21E19rocblas_complex_numIdEiiPS3_EEvT1_T3_lS5_lPS5_llPT2_S5_S5_S7_l, .Lfunc_end40-_ZN9rocsolver6v33100L18getf2_small_kernelILi21E19rocblas_complex_numIdEiiPS3_EEvT1_T3_lS5_lPS5_llPT2_S5_S5_S7_l
                                        ; -- End function
	.set _ZN9rocsolver6v33100L18getf2_small_kernelILi21E19rocblas_complex_numIdEiiPS3_EEvT1_T3_lS5_lPS5_llPT2_S5_S5_S7_l.num_vgpr, 126
	.set _ZN9rocsolver6v33100L18getf2_small_kernelILi21E19rocblas_complex_numIdEiiPS3_EEvT1_T3_lS5_lPS5_llPT2_S5_S5_S7_l.num_agpr, 0
	.set _ZN9rocsolver6v33100L18getf2_small_kernelILi21E19rocblas_complex_numIdEiiPS3_EEvT1_T3_lS5_lPS5_llPT2_S5_S5_S7_l.numbered_sgpr, 26
	.set _ZN9rocsolver6v33100L18getf2_small_kernelILi21E19rocblas_complex_numIdEiiPS3_EEvT1_T3_lS5_lPS5_llPT2_S5_S5_S7_l.num_named_barrier, 0
	.set _ZN9rocsolver6v33100L18getf2_small_kernelILi21E19rocblas_complex_numIdEiiPS3_EEvT1_T3_lS5_lPS5_llPT2_S5_S5_S7_l.private_seg_size, 0
	.set _ZN9rocsolver6v33100L18getf2_small_kernelILi21E19rocblas_complex_numIdEiiPS3_EEvT1_T3_lS5_lPS5_llPT2_S5_S5_S7_l.uses_vcc, 1
	.set _ZN9rocsolver6v33100L18getf2_small_kernelILi21E19rocblas_complex_numIdEiiPS3_EEvT1_T3_lS5_lPS5_llPT2_S5_S5_S7_l.uses_flat_scratch, 0
	.set _ZN9rocsolver6v33100L18getf2_small_kernelILi21E19rocblas_complex_numIdEiiPS3_EEvT1_T3_lS5_lPS5_llPT2_S5_S5_S7_l.has_dyn_sized_stack, 0
	.set _ZN9rocsolver6v33100L18getf2_small_kernelILi21E19rocblas_complex_numIdEiiPS3_EEvT1_T3_lS5_lPS5_llPT2_S5_S5_S7_l.has_recursion, 0
	.set _ZN9rocsolver6v33100L18getf2_small_kernelILi21E19rocblas_complex_numIdEiiPS3_EEvT1_T3_lS5_lPS5_llPT2_S5_S5_S7_l.has_indirect_call, 0
	.section	.AMDGPU.csdata,"",@progbits
; Kernel info:
; codeLenInByte = 34944
; TotalNumSgprs: 30
; NumVgprs: 126
; ScratchSize: 0
; MemoryBound: 0
; FloatMode: 240
; IeeeMode: 1
; LDSByteSize: 0 bytes/workgroup (compile time only)
; SGPRBlocks: 3
; VGPRBlocks: 31
; NumSGPRsForWavesPerEU: 30
; NumVGPRsForWavesPerEU: 126
; Occupancy: 2
; WaveLimiterHint : 0
; COMPUTE_PGM_RSRC2:SCRATCH_EN: 0
; COMPUTE_PGM_RSRC2:USER_SGPR: 6
; COMPUTE_PGM_RSRC2:TRAP_HANDLER: 0
; COMPUTE_PGM_RSRC2:TGID_X_EN: 1
; COMPUTE_PGM_RSRC2:TGID_Y_EN: 1
; COMPUTE_PGM_RSRC2:TGID_Z_EN: 0
; COMPUTE_PGM_RSRC2:TIDIG_COMP_CNT: 1
	.section	.text._ZN9rocsolver6v33100L23getf2_npvt_small_kernelILi21E19rocblas_complex_numIdEiiPS3_EEvT1_T3_lS5_lPT2_S5_S5_,"axG",@progbits,_ZN9rocsolver6v33100L23getf2_npvt_small_kernelILi21E19rocblas_complex_numIdEiiPS3_EEvT1_T3_lS5_lPT2_S5_S5_,comdat
	.globl	_ZN9rocsolver6v33100L23getf2_npvt_small_kernelILi21E19rocblas_complex_numIdEiiPS3_EEvT1_T3_lS5_lPT2_S5_S5_ ; -- Begin function _ZN9rocsolver6v33100L23getf2_npvt_small_kernelILi21E19rocblas_complex_numIdEiiPS3_EEvT1_T3_lS5_lPT2_S5_S5_
	.p2align	8
	.type	_ZN9rocsolver6v33100L23getf2_npvt_small_kernelILi21E19rocblas_complex_numIdEiiPS3_EEvT1_T3_lS5_lPT2_S5_S5_,@function
_ZN9rocsolver6v33100L23getf2_npvt_small_kernelILi21E19rocblas_complex_numIdEiiPS3_EEvT1_T3_lS5_lPT2_S5_S5_: ; @_ZN9rocsolver6v33100L23getf2_npvt_small_kernelILi21E19rocblas_complex_numIdEiiPS3_EEvT1_T3_lS5_lPT2_S5_S5_
; %bb.0:
	s_mov_b64 s[22:23], s[2:3]
	s_mov_b64 s[20:21], s[0:1]
	s_load_dword s0, s[4:5], 0x44
	s_load_dwordx2 s[12:13], s[4:5], 0x30
	s_add_u32 s20, s20, s8
	s_addc_u32 s21, s21, 0
	s_waitcnt lgkmcnt(0)
	s_lshr_b32 s2, s0, 16
	s_mul_i32 s7, s7, s2
	v_add_u32_e32 v2, s7, v1
	v_cmp_gt_i32_e32 vcc, s12, v2
	s_and_saveexec_b64 s[0:1], vcc
	s_cbranch_execz .LBB41_192
; %bb.1:
	s_load_dwordx4 s[8:11], s[4:5], 0x20
	s_load_dwordx4 s[16:19], s[4:5], 0x8
	v_ashrrev_i32_e32 v3, 31, v2
	s_mulk_i32 s2, 0x150
	s_waitcnt lgkmcnt(0)
	v_mul_lo_u32 v4, s9, v2
	v_mul_lo_u32 v5, s8, v3
	buffer_store_dword v2, off, s[20:23], 0 offset:376 ; 4-byte Folded Spill
	s_nop 0
	buffer_store_dword v3, off, s[20:23], 0 offset:380 ; 4-byte Folded Spill
	v_mov_b32_e32 v6, s17
	v_mad_u64_u32 v[2:3], s[0:1], s8, v2, 0
	s_load_dword s0, s[4:5], 0x18
	s_lshl_b64 s[4:5], s[18:19], 4
	v_add3_u32 v3, v3, v5, v4
	v_lshlrev_b64 v[2:3], 4, v[2:3]
	v_mov_b32_e32 v4, s5
	v_add_co_u32_e32 v2, vcc, s16, v2
	v_addc_co_u32_e32 v3, vcc, v6, v3, vcc
	v_add_co_u32_e32 v2, vcc, s4, v2
	s_waitcnt lgkmcnt(0)
	s_add_i32 s1, s0, s0
	v_addc_co_u32_e32 v3, vcc, v3, v4, vcc
	v_add_u32_e32 v4, s1, v0
	v_ashrrev_i32_e32 v5, 31, v4
	v_lshlrev_b64 v[5:6], 4, v[4:5]
	v_add_u32_e32 v4, s0, v4
	v_add_co_u32_e32 v7, vcc, v2, v5
	v_ashrrev_i32_e32 v5, 31, v4
	v_addc_co_u32_e32 v8, vcc, v3, v6, vcc
	v_lshlrev_b64 v[5:6], 4, v[4:5]
	v_add_u32_e32 v4, s0, v4
	v_add_co_u32_e32 v9, vcc, v2, v5
	v_ashrrev_i32_e32 v5, 31, v4
	v_addc_co_u32_e32 v10, vcc, v3, v6, vcc
	;; [unrolled: 5-line block ×17, first 2 shown]
	v_lshlrev_b64 v[5:6], 4, v[4:5]
	v_add_u32_e32 v4, s0, v4
	v_add_co_u32_e32 v93, vcc, v2, v5
	v_ashrrev_i32_e32 v5, 31, v4
	v_lshlrev_b64 v[4:5], 4, v[4:5]
	v_addc_co_u32_e32 v94, vcc, v3, v6, vcc
	v_add_co_u32_e32 v95, vcc, v2, v4
	v_addc_co_u32_e32 v96, vcc, v3, v5, vcc
	v_lshlrev_b32_e32 v4, 4, v0
	v_add_co_u32_e32 v4, vcc, v2, v4
	s_ashr_i32 s1, s0, 31
	v_addc_co_u32_e32 v5, vcc, 0, v3, vcc
	s_lshl_b64 s[0:1], s[0:1], 4
	v_mov_b32_e32 v2, s1
	v_add_co_u32_e32 v29, vcc, s0, v4
	v_addc_co_u32_e32 v30, vcc, v5, v2, vcc
	buffer_store_dword v4, off, s[20:23], 0 offset:168 ; 4-byte Folded Spill
	s_nop 0
	buffer_store_dword v5, off, s[20:23], 0 offset:172 ; 4-byte Folded Spill
	s_movk_i32 s0, 0x150
	s_add_i32 s1, s2, 0
	v_mad_u32_u24 v125, v1, s0, 0
	v_lshl_add_u32 v127, v1, 4, s1
	v_cmp_ne_u32_e64 s[2:3], 0, v0
	v_cmp_eq_u32_e64 s[0:1], 0, v0
	global_load_dwordx4 v[1:4], v[4:5], off
	s_waitcnt vmcnt(0)
	buffer_store_dword v1, off, s[20:23], 0 ; 4-byte Folded Spill
	s_nop 0
	buffer_store_dword v2, off, s[20:23], 0 offset:4 ; 4-byte Folded Spill
	buffer_store_dword v3, off, s[20:23], 0 offset:8 ; 4-byte Folded Spill
	;; [unrolled: 1-line block ×4, first 2 shown]
	s_nop 0
	buffer_store_dword v30, off, s[20:23], 0 offset:180 ; 4-byte Folded Spill
	global_load_dwordx4 v[77:80], v[29:30], off
	s_nop 0
	buffer_store_dword v7, off, s[20:23], 0 offset:16 ; 4-byte Folded Spill
	s_nop 0
	buffer_store_dword v8, off, s[20:23], 0 offset:20 ; 4-byte Folded Spill
	global_load_dwordx4 v[73:76], v[7:8], off
	s_nop 0
	buffer_store_dword v9, off, s[20:23], 0 offset:24 ; 4-byte Folded Spill
	s_nop 0
	buffer_store_dword v10, off, s[20:23], 0 offset:28 ; 4-byte Folded Spill
	global_load_dwordx4 v[69:72], v[9:10], off
	s_nop 0
	buffer_store_dword v11, off, s[20:23], 0 offset:32 ; 4-byte Folded Spill
	s_nop 0
	buffer_store_dword v12, off, s[20:23], 0 offset:36 ; 4-byte Folded Spill
	global_load_dwordx4 v[65:68], v[11:12], off
	s_nop 0
	buffer_store_dword v13, off, s[20:23], 0 offset:40 ; 4-byte Folded Spill
	s_nop 0
	buffer_store_dword v14, off, s[20:23], 0 offset:44 ; 4-byte Folded Spill
	global_load_dwordx4 v[61:64], v[13:14], off
	s_nop 0
	buffer_store_dword v15, off, s[20:23], 0 offset:48 ; 4-byte Folded Spill
	s_nop 0
	buffer_store_dword v16, off, s[20:23], 0 offset:52 ; 4-byte Folded Spill
	global_load_dwordx4 v[53:56], v[15:16], off
	s_nop 0
	buffer_store_dword v17, off, s[20:23], 0 offset:56 ; 4-byte Folded Spill
	s_nop 0
	buffer_store_dword v18, off, s[20:23], 0 offset:60 ; 4-byte Folded Spill
	global_load_dwordx4 v[49:52], v[17:18], off
	s_nop 0
	buffer_store_dword v19, off, s[20:23], 0 offset:64 ; 4-byte Folded Spill
	s_nop 0
	buffer_store_dword v20, off, s[20:23], 0 offset:68 ; 4-byte Folded Spill
	global_load_dwordx4 v[45:48], v[19:20], off
	s_nop 0
	buffer_store_dword v21, off, s[20:23], 0 offset:72 ; 4-byte Folded Spill
	s_nop 0
	buffer_store_dword v22, off, s[20:23], 0 offset:76 ; 4-byte Folded Spill
	global_load_dwordx4 v[41:44], v[21:22], off
	s_nop 0
	buffer_store_dword v23, off, s[20:23], 0 offset:80 ; 4-byte Folded Spill
	s_nop 0
	buffer_store_dword v24, off, s[20:23], 0 offset:84 ; 4-byte Folded Spill
	global_load_dwordx4 v[37:40], v[23:24], off
	s_nop 0
	buffer_store_dword v25, off, s[20:23], 0 offset:88 ; 4-byte Folded Spill
	s_nop 0
	buffer_store_dword v26, off, s[20:23], 0 offset:92 ; 4-byte Folded Spill
	global_load_dwordx4 v[33:36], v[25:26], off
	s_nop 0
	buffer_store_dword v27, off, s[20:23], 0 offset:96 ; 4-byte Folded Spill
	s_nop 0
	buffer_store_dword v28, off, s[20:23], 0 offset:100 ; 4-byte Folded Spill
	global_load_dwordx4 v[29:32], v[27:28], off
	s_nop 0
	buffer_store_dword v57, off, s[20:23], 0 offset:104 ; 4-byte Folded Spill
	s_nop 0
	buffer_store_dword v58, off, s[20:23], 0 offset:108 ; 4-byte Folded Spill
	global_load_dwordx4 v[25:28], v[57:58], off
	s_nop 0
	buffer_store_dword v59, off, s[20:23], 0 offset:112 ; 4-byte Folded Spill
	s_nop 0
	buffer_store_dword v60, off, s[20:23], 0 offset:116 ; 4-byte Folded Spill
	global_load_dwordx4 v[21:24], v[59:60], off
	s_nop 0
	buffer_store_dword v85, off, s[20:23], 0 offset:120 ; 4-byte Folded Spill
	s_nop 0
	buffer_store_dword v86, off, s[20:23], 0 offset:124 ; 4-byte Folded Spill
	global_load_dwordx4 v[17:20], v[85:86], off
	s_nop 0
	buffer_store_dword v87, off, s[20:23], 0 offset:128 ; 4-byte Folded Spill
	s_nop 0
	buffer_store_dword v88, off, s[20:23], 0 offset:132 ; 4-byte Folded Spill
	global_load_dwordx4 v[13:16], v[87:88], off
	s_nop 0
	buffer_store_dword v89, off, s[20:23], 0 offset:136 ; 4-byte Folded Spill
	s_nop 0
	buffer_store_dword v90, off, s[20:23], 0 offset:140 ; 4-byte Folded Spill
	global_load_dwordx4 v[9:12], v[89:90], off
	s_nop 0
	buffer_store_dword v91, off, s[20:23], 0 offset:144 ; 4-byte Folded Spill
	s_nop 0
	buffer_store_dword v92, off, s[20:23], 0 offset:148 ; 4-byte Folded Spill
	global_load_dwordx4 v[5:8], v[91:92], off
	s_nop 0
	buffer_store_dword v93, off, s[20:23], 0 offset:152 ; 4-byte Folded Spill
	s_nop 0
	buffer_store_dword v94, off, s[20:23], 0 offset:156 ; 4-byte Folded Spill
	global_load_dwordx4 v[1:4], v[93:94], off
	s_nop 0
	buffer_store_dword v95, off, s[20:23], 0 offset:160 ; 4-byte Folded Spill
	s_nop 0
	buffer_store_dword v96, off, s[20:23], 0 offset:164 ; 4-byte Folded Spill
	global_load_dwordx4 v[57:60], v[95:96], off
	s_and_saveexec_b64 s[6:7], s[0:1]
	s_cbranch_execz .LBB41_8
; %bb.2:
	buffer_load_dword v81, off, s[20:23], 0 ; 4-byte Folded Reload
	buffer_load_dword v82, off, s[20:23], 0 offset:4 ; 4-byte Folded Reload
	buffer_load_dword v83, off, s[20:23], 0 offset:8 ; 4-byte Folded Reload
	;; [unrolled: 1-line block ×3, first 2 shown]
	s_waitcnt vmcnt(0)
	ds_write2_b64 v127, v[81:82], v[83:84] offset1:1
	ds_write2_b64 v125, v[77:78], v[79:80] offset0:2 offset1:3
	ds_write2_b64 v125, v[73:74], v[75:76] offset0:4 offset1:5
	;; [unrolled: 1-line block ×20, first 2 shown]
	ds_read2_b64 v[85:88], v127 offset1:1
	s_waitcnt lgkmcnt(0)
	v_cmp_neq_f64_e32 vcc, 0, v[85:86]
	v_cmp_neq_f64_e64 s[4:5], 0, v[87:88]
	s_or_b64 s[4:5], vcc, s[4:5]
	s_and_b64 exec, exec, s[4:5]
	s_cbranch_execz .LBB41_8
; %bb.3:
	v_cmp_ngt_f64_e64 s[4:5], |v[85:86]|, |v[87:88]|
                                        ; implicit-def: $vgpr89_vgpr90
	s_and_saveexec_b64 s[8:9], s[4:5]
	s_xor_b64 s[4:5], exec, s[8:9]
                                        ; implicit-def: $vgpr91_vgpr92
	s_cbranch_execz .LBB41_5
; %bb.4:
	v_div_scale_f64 v[89:90], s[8:9], v[87:88], v[87:88], v[85:86]
	v_rcp_f64_e32 v[91:92], v[89:90]
	v_fma_f64 v[93:94], -v[89:90], v[91:92], 1.0
	v_fma_f64 v[91:92], v[91:92], v[93:94], v[91:92]
	v_div_scale_f64 v[93:94], vcc, v[85:86], v[87:88], v[85:86]
	v_fma_f64 v[95:96], -v[89:90], v[91:92], 1.0
	v_fma_f64 v[91:92], v[91:92], v[95:96], v[91:92]
	v_mul_f64 v[95:96], v[93:94], v[91:92]
	v_fma_f64 v[89:90], -v[89:90], v[95:96], v[93:94]
	v_div_fmas_f64 v[89:90], v[89:90], v[91:92], v[95:96]
	v_div_fixup_f64 v[89:90], v[89:90], v[87:88], v[85:86]
	v_fma_f64 v[85:86], v[85:86], v[89:90], v[87:88]
	v_div_scale_f64 v[87:88], s[8:9], v[85:86], v[85:86], 1.0
	v_div_scale_f64 v[95:96], vcc, 1.0, v[85:86], 1.0
	v_rcp_f64_e32 v[91:92], v[87:88]
	v_fma_f64 v[93:94], -v[87:88], v[91:92], 1.0
	v_fma_f64 v[91:92], v[91:92], v[93:94], v[91:92]
	v_fma_f64 v[93:94], -v[87:88], v[91:92], 1.0
	v_fma_f64 v[91:92], v[91:92], v[93:94], v[91:92]
	v_mul_f64 v[93:94], v[95:96], v[91:92]
	v_fma_f64 v[87:88], -v[87:88], v[93:94], v[95:96]
	v_div_fmas_f64 v[87:88], v[87:88], v[91:92], v[93:94]
	v_div_fixup_f64 v[91:92], v[87:88], v[85:86], 1.0
                                        ; implicit-def: $vgpr85_vgpr86
	v_mul_f64 v[89:90], v[89:90], v[91:92]
	v_xor_b32_e32 v92, 0x80000000, v92
.LBB41_5:
	s_andn2_saveexec_b64 s[4:5], s[4:5]
	s_cbranch_execz .LBB41_7
; %bb.6:
	v_div_scale_f64 v[89:90], s[8:9], v[85:86], v[85:86], v[87:88]
	v_rcp_f64_e32 v[91:92], v[89:90]
	v_fma_f64 v[93:94], -v[89:90], v[91:92], 1.0
	v_fma_f64 v[91:92], v[91:92], v[93:94], v[91:92]
	v_div_scale_f64 v[93:94], vcc, v[87:88], v[85:86], v[87:88]
	v_fma_f64 v[95:96], -v[89:90], v[91:92], 1.0
	v_fma_f64 v[91:92], v[91:92], v[95:96], v[91:92]
	v_mul_f64 v[95:96], v[93:94], v[91:92]
	v_fma_f64 v[89:90], -v[89:90], v[95:96], v[93:94]
	v_div_fmas_f64 v[89:90], v[89:90], v[91:92], v[95:96]
	v_div_fixup_f64 v[91:92], v[89:90], v[85:86], v[87:88]
	v_fma_f64 v[85:86], v[87:88], v[91:92], v[85:86]
	v_div_scale_f64 v[87:88], s[8:9], v[85:86], v[85:86], 1.0
	v_div_scale_f64 v[95:96], vcc, 1.0, v[85:86], 1.0
	v_rcp_f64_e32 v[89:90], v[87:88]
	v_fma_f64 v[93:94], -v[87:88], v[89:90], 1.0
	v_fma_f64 v[89:90], v[89:90], v[93:94], v[89:90]
	v_fma_f64 v[93:94], -v[87:88], v[89:90], 1.0
	v_fma_f64 v[89:90], v[89:90], v[93:94], v[89:90]
	v_mul_f64 v[93:94], v[95:96], v[89:90]
	v_fma_f64 v[87:88], -v[87:88], v[93:94], v[95:96]
	v_div_fmas_f64 v[87:88], v[87:88], v[89:90], v[93:94]
	v_div_fixup_f64 v[89:90], v[87:88], v[85:86], 1.0
	v_mul_f64 v[91:92], v[91:92], -v[89:90]
.LBB41_7:
	s_or_b64 exec, exec, s[4:5]
	ds_write2_b64 v127, v[89:90], v[91:92] offset1:1
.LBB41_8:
	s_or_b64 exec, exec, s[6:7]
	s_waitcnt vmcnt(0) lgkmcnt(0)
	s_barrier
	ds_read2_b64 v[85:88], v127 offset1:1
	s_waitcnt lgkmcnt(0)
	buffer_store_dword v85, off, s[20:23], 0 offset:184 ; 4-byte Folded Spill
	s_nop 0
	buffer_store_dword v86, off, s[20:23], 0 offset:188 ; 4-byte Folded Spill
	buffer_store_dword v87, off, s[20:23], 0 offset:192 ; 4-byte Folded Spill
	;; [unrolled: 1-line block ×3, first 2 shown]
	s_and_saveexec_b64 s[4:5], s[2:3]
	s_cbranch_execz .LBB41_10
; %bb.9:
	buffer_load_dword v87, off, s[20:23], 0 offset:184 ; 4-byte Folded Reload
	buffer_load_dword v88, off, s[20:23], 0 offset:188 ; 4-byte Folded Reload
	;; [unrolled: 1-line block ×4, first 2 shown]
	buffer_load_dword v81, off, s[20:23], 0 ; 4-byte Folded Reload
	buffer_load_dword v82, off, s[20:23], 0 offset:4 ; 4-byte Folded Reload
	buffer_load_dword v83, off, s[20:23], 0 offset:8 ; 4-byte Folded Reload
	buffer_load_dword v84, off, s[20:23], 0 offset:12 ; 4-byte Folded Reload
	s_waitcnt vmcnt(0)
	v_mul_f64 v[85:86], v[89:90], v[83:84]
	v_mul_f64 v[83:84], v[87:88], v[83:84]
	v_fma_f64 v[85:86], v[87:88], v[81:82], -v[85:86]
	v_fma_f64 v[83:84], v[89:90], v[81:82], v[83:84]
	ds_read2_b64 v[87:90], v125 offset0:2 offset1:3
	s_waitcnt lgkmcnt(0)
	v_mul_f64 v[81:82], v[89:90], v[83:84]
	v_fma_f64 v[81:82], v[87:88], v[85:86], -v[81:82]
	v_mul_f64 v[87:88], v[87:88], v[83:84]
	v_add_f64 v[77:78], v[77:78], -v[81:82]
	v_fma_f64 v[87:88], v[89:90], v[85:86], v[87:88]
	v_add_f64 v[79:80], v[79:80], -v[87:88]
	ds_read2_b64 v[87:90], v125 offset0:4 offset1:5
	s_waitcnt lgkmcnt(0)
	v_mul_f64 v[81:82], v[89:90], v[83:84]
	v_fma_f64 v[81:82], v[87:88], v[85:86], -v[81:82]
	v_mul_f64 v[87:88], v[87:88], v[83:84]
	v_add_f64 v[73:74], v[73:74], -v[81:82]
	v_fma_f64 v[87:88], v[89:90], v[85:86], v[87:88]
	v_add_f64 v[75:76], v[75:76], -v[87:88]
	;; [unrolled: 8-line block ×19, first 2 shown]
	ds_read2_b64 v[87:90], v125 offset0:40 offset1:41
	s_waitcnt lgkmcnt(0)
	v_mul_f64 v[81:82], v[89:90], v[83:84]
	v_fma_f64 v[81:82], v[87:88], v[85:86], -v[81:82]
	v_mul_f64 v[87:88], v[87:88], v[83:84]
	v_add_f64 v[57:58], v[57:58], -v[81:82]
	v_fma_f64 v[87:88], v[89:90], v[85:86], v[87:88]
	v_mov_b32_e32 v81, v85
	v_mov_b32_e32 v82, v86
	buffer_store_dword v81, off, s[20:23], 0 ; 4-byte Folded Spill
	s_nop 0
	buffer_store_dword v82, off, s[20:23], 0 offset:4 ; 4-byte Folded Spill
	buffer_store_dword v83, off, s[20:23], 0 offset:8 ; 4-byte Folded Spill
	buffer_store_dword v84, off, s[20:23], 0 offset:12 ; 4-byte Folded Spill
	v_add_f64 v[59:60], v[59:60], -v[87:88]
.LBB41_10:
	s_or_b64 exec, exec, s[4:5]
	v_cmp_eq_u32_e32 vcc, 1, v0
	s_waitcnt vmcnt(0)
	s_barrier
	s_and_saveexec_b64 s[4:5], vcc
	s_cbranch_execz .LBB41_17
; %bb.11:
	ds_write2_b64 v127, v[77:78], v[79:80] offset1:1
	ds_write2_b64 v125, v[73:74], v[75:76] offset0:4 offset1:5
	ds_write2_b64 v125, v[69:70], v[71:72] offset0:6 offset1:7
	;; [unrolled: 1-line block ×19, first 2 shown]
	ds_read2_b64 v[85:88], v127 offset1:1
	s_waitcnt lgkmcnt(0)
	v_cmp_neq_f64_e32 vcc, 0, v[85:86]
	v_cmp_neq_f64_e64 s[2:3], 0, v[87:88]
	s_or_b64 s[2:3], vcc, s[2:3]
	s_and_b64 exec, exec, s[2:3]
	s_cbranch_execz .LBB41_17
; %bb.12:
	v_cmp_ngt_f64_e64 s[2:3], |v[85:86]|, |v[87:88]|
                                        ; implicit-def: $vgpr89_vgpr90
	s_and_saveexec_b64 s[6:7], s[2:3]
	s_xor_b64 s[2:3], exec, s[6:7]
                                        ; implicit-def: $vgpr91_vgpr92
	s_cbranch_execz .LBB41_14
; %bb.13:
	v_div_scale_f64 v[89:90], s[6:7], v[87:88], v[87:88], v[85:86]
	v_rcp_f64_e32 v[91:92], v[89:90]
	v_fma_f64 v[93:94], -v[89:90], v[91:92], 1.0
	v_fma_f64 v[91:92], v[91:92], v[93:94], v[91:92]
	v_div_scale_f64 v[93:94], vcc, v[85:86], v[87:88], v[85:86]
	v_fma_f64 v[95:96], -v[89:90], v[91:92], 1.0
	v_fma_f64 v[91:92], v[91:92], v[95:96], v[91:92]
	v_mul_f64 v[95:96], v[93:94], v[91:92]
	v_fma_f64 v[89:90], -v[89:90], v[95:96], v[93:94]
	v_div_fmas_f64 v[89:90], v[89:90], v[91:92], v[95:96]
	v_div_fixup_f64 v[89:90], v[89:90], v[87:88], v[85:86]
	v_fma_f64 v[85:86], v[85:86], v[89:90], v[87:88]
	v_div_scale_f64 v[87:88], s[6:7], v[85:86], v[85:86], 1.0
	v_div_scale_f64 v[95:96], vcc, 1.0, v[85:86], 1.0
	v_rcp_f64_e32 v[91:92], v[87:88]
	v_fma_f64 v[93:94], -v[87:88], v[91:92], 1.0
	v_fma_f64 v[91:92], v[91:92], v[93:94], v[91:92]
	v_fma_f64 v[93:94], -v[87:88], v[91:92], 1.0
	v_fma_f64 v[91:92], v[91:92], v[93:94], v[91:92]
	v_mul_f64 v[93:94], v[95:96], v[91:92]
	v_fma_f64 v[87:88], -v[87:88], v[93:94], v[95:96]
	v_div_fmas_f64 v[87:88], v[87:88], v[91:92], v[93:94]
	v_div_fixup_f64 v[91:92], v[87:88], v[85:86], 1.0
                                        ; implicit-def: $vgpr85_vgpr86
	v_mul_f64 v[89:90], v[89:90], v[91:92]
	v_xor_b32_e32 v92, 0x80000000, v92
.LBB41_14:
	s_andn2_saveexec_b64 s[2:3], s[2:3]
	s_cbranch_execz .LBB41_16
; %bb.15:
	v_div_scale_f64 v[89:90], s[6:7], v[85:86], v[85:86], v[87:88]
	v_rcp_f64_e32 v[91:92], v[89:90]
	v_fma_f64 v[93:94], -v[89:90], v[91:92], 1.0
	v_fma_f64 v[91:92], v[91:92], v[93:94], v[91:92]
	v_div_scale_f64 v[93:94], vcc, v[87:88], v[85:86], v[87:88]
	v_fma_f64 v[95:96], -v[89:90], v[91:92], 1.0
	v_fma_f64 v[91:92], v[91:92], v[95:96], v[91:92]
	v_mul_f64 v[95:96], v[93:94], v[91:92]
	v_fma_f64 v[89:90], -v[89:90], v[95:96], v[93:94]
	v_div_fmas_f64 v[89:90], v[89:90], v[91:92], v[95:96]
	v_div_fixup_f64 v[91:92], v[89:90], v[85:86], v[87:88]
	v_fma_f64 v[85:86], v[87:88], v[91:92], v[85:86]
	v_div_scale_f64 v[87:88], s[6:7], v[85:86], v[85:86], 1.0
	v_div_scale_f64 v[95:96], vcc, 1.0, v[85:86], 1.0
	v_rcp_f64_e32 v[89:90], v[87:88]
	v_fma_f64 v[93:94], -v[87:88], v[89:90], 1.0
	v_fma_f64 v[89:90], v[89:90], v[93:94], v[89:90]
	v_fma_f64 v[93:94], -v[87:88], v[89:90], 1.0
	v_fma_f64 v[89:90], v[89:90], v[93:94], v[89:90]
	v_mul_f64 v[93:94], v[95:96], v[89:90]
	v_fma_f64 v[87:88], -v[87:88], v[93:94], v[95:96]
	v_div_fmas_f64 v[87:88], v[87:88], v[89:90], v[93:94]
	v_div_fixup_f64 v[89:90], v[87:88], v[85:86], 1.0
	v_mul_f64 v[91:92], v[91:92], -v[89:90]
.LBB41_16:
	s_or_b64 exec, exec, s[2:3]
	ds_write2_b64 v127, v[89:90], v[91:92] offset1:1
.LBB41_17:
	s_or_b64 exec, exec, s[4:5]
	s_waitcnt lgkmcnt(0)
	s_barrier
	ds_read2_b64 v[85:88], v127 offset1:1
	v_cmp_lt_u32_e32 vcc, 1, v0
	s_waitcnt lgkmcnt(0)
	buffer_store_dword v85, off, s[20:23], 0 offset:200 ; 4-byte Folded Spill
	s_nop 0
	buffer_store_dword v86, off, s[20:23], 0 offset:204 ; 4-byte Folded Spill
	buffer_store_dword v87, off, s[20:23], 0 offset:208 ; 4-byte Folded Spill
	;; [unrolled: 1-line block ×3, first 2 shown]
	s_and_saveexec_b64 s[2:3], vcc
	s_cbranch_execz .LBB41_19
; %bb.18:
	buffer_load_dword v87, off, s[20:23], 0 offset:200 ; 4-byte Folded Reload
	buffer_load_dword v88, off, s[20:23], 0 offset:204 ; 4-byte Folded Reload
	;; [unrolled: 1-line block ×4, first 2 shown]
	s_waitcnt vmcnt(0)
	v_mul_f64 v[85:86], v[89:90], v[79:80]
	v_mul_f64 v[79:80], v[87:88], v[79:80]
	v_fma_f64 v[85:86], v[87:88], v[77:78], -v[85:86]
	v_fma_f64 v[79:80], v[89:90], v[77:78], v[79:80]
	ds_read2_b64 v[87:90], v125 offset0:4 offset1:5
	s_waitcnt lgkmcnt(0)
	v_mul_f64 v[77:78], v[89:90], v[79:80]
	v_fma_f64 v[77:78], v[87:88], v[85:86], -v[77:78]
	v_mul_f64 v[87:88], v[87:88], v[79:80]
	v_add_f64 v[73:74], v[73:74], -v[77:78]
	v_fma_f64 v[87:88], v[89:90], v[85:86], v[87:88]
	v_add_f64 v[75:76], v[75:76], -v[87:88]
	ds_read2_b64 v[87:90], v125 offset0:6 offset1:7
	s_waitcnt lgkmcnt(0)
	v_mul_f64 v[77:78], v[89:90], v[79:80]
	v_fma_f64 v[77:78], v[87:88], v[85:86], -v[77:78]
	v_mul_f64 v[87:88], v[87:88], v[79:80]
	v_add_f64 v[69:70], v[69:70], -v[77:78]
	v_fma_f64 v[87:88], v[89:90], v[85:86], v[87:88]
	v_add_f64 v[71:72], v[71:72], -v[87:88]
	;; [unrolled: 8-line block ×18, first 2 shown]
	ds_read2_b64 v[87:90], v125 offset0:40 offset1:41
	s_waitcnt lgkmcnt(0)
	v_mul_f64 v[77:78], v[89:90], v[79:80]
	v_fma_f64 v[77:78], v[87:88], v[85:86], -v[77:78]
	v_mul_f64 v[87:88], v[87:88], v[79:80]
	v_add_f64 v[57:58], v[57:58], -v[77:78]
	v_fma_f64 v[87:88], v[89:90], v[85:86], v[87:88]
	v_mov_b32_e32 v77, v85
	v_mov_b32_e32 v78, v86
	v_add_f64 v[59:60], v[59:60], -v[87:88]
.LBB41_19:
	s_or_b64 exec, exec, s[2:3]
	v_cmp_eq_u32_e32 vcc, 2, v0
	s_waitcnt vmcnt(0)
	s_barrier
	s_and_saveexec_b64 s[4:5], vcc
	s_cbranch_execz .LBB41_26
; %bb.20:
	ds_write2_b64 v127, v[73:74], v[75:76] offset1:1
	ds_write2_b64 v125, v[69:70], v[71:72] offset0:6 offset1:7
	ds_write2_b64 v125, v[65:66], v[67:68] offset0:8 offset1:9
	;; [unrolled: 1-line block ×18, first 2 shown]
	ds_read2_b64 v[85:88], v127 offset1:1
	s_waitcnt lgkmcnt(0)
	v_cmp_neq_f64_e32 vcc, 0, v[85:86]
	v_cmp_neq_f64_e64 s[2:3], 0, v[87:88]
	s_or_b64 s[2:3], vcc, s[2:3]
	s_and_b64 exec, exec, s[2:3]
	s_cbranch_execz .LBB41_26
; %bb.21:
	v_cmp_ngt_f64_e64 s[2:3], |v[85:86]|, |v[87:88]|
                                        ; implicit-def: $vgpr89_vgpr90
	s_and_saveexec_b64 s[6:7], s[2:3]
	s_xor_b64 s[2:3], exec, s[6:7]
                                        ; implicit-def: $vgpr91_vgpr92
	s_cbranch_execz .LBB41_23
; %bb.22:
	v_div_scale_f64 v[89:90], s[6:7], v[87:88], v[87:88], v[85:86]
	v_rcp_f64_e32 v[91:92], v[89:90]
	v_fma_f64 v[93:94], -v[89:90], v[91:92], 1.0
	v_fma_f64 v[91:92], v[91:92], v[93:94], v[91:92]
	v_div_scale_f64 v[93:94], vcc, v[85:86], v[87:88], v[85:86]
	v_fma_f64 v[95:96], -v[89:90], v[91:92], 1.0
	v_fma_f64 v[91:92], v[91:92], v[95:96], v[91:92]
	v_mul_f64 v[95:96], v[93:94], v[91:92]
	v_fma_f64 v[89:90], -v[89:90], v[95:96], v[93:94]
	v_div_fmas_f64 v[89:90], v[89:90], v[91:92], v[95:96]
	v_div_fixup_f64 v[89:90], v[89:90], v[87:88], v[85:86]
	v_fma_f64 v[85:86], v[85:86], v[89:90], v[87:88]
	v_div_scale_f64 v[87:88], s[6:7], v[85:86], v[85:86], 1.0
	v_div_scale_f64 v[95:96], vcc, 1.0, v[85:86], 1.0
	v_rcp_f64_e32 v[91:92], v[87:88]
	v_fma_f64 v[93:94], -v[87:88], v[91:92], 1.0
	v_fma_f64 v[91:92], v[91:92], v[93:94], v[91:92]
	v_fma_f64 v[93:94], -v[87:88], v[91:92], 1.0
	v_fma_f64 v[91:92], v[91:92], v[93:94], v[91:92]
	v_mul_f64 v[93:94], v[95:96], v[91:92]
	v_fma_f64 v[87:88], -v[87:88], v[93:94], v[95:96]
	v_div_fmas_f64 v[87:88], v[87:88], v[91:92], v[93:94]
	v_div_fixup_f64 v[91:92], v[87:88], v[85:86], 1.0
                                        ; implicit-def: $vgpr85_vgpr86
	v_mul_f64 v[89:90], v[89:90], v[91:92]
	v_xor_b32_e32 v92, 0x80000000, v92
.LBB41_23:
	s_andn2_saveexec_b64 s[2:3], s[2:3]
	s_cbranch_execz .LBB41_25
; %bb.24:
	v_div_scale_f64 v[89:90], s[6:7], v[85:86], v[85:86], v[87:88]
	v_rcp_f64_e32 v[91:92], v[89:90]
	v_fma_f64 v[93:94], -v[89:90], v[91:92], 1.0
	v_fma_f64 v[91:92], v[91:92], v[93:94], v[91:92]
	v_div_scale_f64 v[93:94], vcc, v[87:88], v[85:86], v[87:88]
	v_fma_f64 v[95:96], -v[89:90], v[91:92], 1.0
	v_fma_f64 v[91:92], v[91:92], v[95:96], v[91:92]
	v_mul_f64 v[95:96], v[93:94], v[91:92]
	v_fma_f64 v[89:90], -v[89:90], v[95:96], v[93:94]
	v_div_fmas_f64 v[89:90], v[89:90], v[91:92], v[95:96]
	v_div_fixup_f64 v[91:92], v[89:90], v[85:86], v[87:88]
	v_fma_f64 v[85:86], v[87:88], v[91:92], v[85:86]
	v_div_scale_f64 v[87:88], s[6:7], v[85:86], v[85:86], 1.0
	v_div_scale_f64 v[95:96], vcc, 1.0, v[85:86], 1.0
	v_rcp_f64_e32 v[89:90], v[87:88]
	v_fma_f64 v[93:94], -v[87:88], v[89:90], 1.0
	v_fma_f64 v[89:90], v[89:90], v[93:94], v[89:90]
	v_fma_f64 v[93:94], -v[87:88], v[89:90], 1.0
	v_fma_f64 v[89:90], v[89:90], v[93:94], v[89:90]
	v_mul_f64 v[93:94], v[95:96], v[89:90]
	v_fma_f64 v[87:88], -v[87:88], v[93:94], v[95:96]
	v_div_fmas_f64 v[87:88], v[87:88], v[89:90], v[93:94]
	v_div_fixup_f64 v[89:90], v[87:88], v[85:86], 1.0
	v_mul_f64 v[91:92], v[91:92], -v[89:90]
.LBB41_25:
	s_or_b64 exec, exec, s[2:3]
	ds_write2_b64 v127, v[89:90], v[91:92] offset1:1
.LBB41_26:
	s_or_b64 exec, exec, s[4:5]
	s_waitcnt lgkmcnt(0)
	s_barrier
	ds_read2_b64 v[85:88], v127 offset1:1
	v_cmp_lt_u32_e32 vcc, 2, v0
	s_waitcnt lgkmcnt(0)
	buffer_store_dword v85, off, s[20:23], 0 offset:216 ; 4-byte Folded Spill
	s_nop 0
	buffer_store_dword v86, off, s[20:23], 0 offset:220 ; 4-byte Folded Spill
	buffer_store_dword v87, off, s[20:23], 0 offset:224 ; 4-byte Folded Spill
	;; [unrolled: 1-line block ×3, first 2 shown]
	s_and_saveexec_b64 s[2:3], vcc
	s_cbranch_execz .LBB41_28
; %bb.27:
	buffer_load_dword v87, off, s[20:23], 0 offset:216 ; 4-byte Folded Reload
	buffer_load_dword v88, off, s[20:23], 0 offset:220 ; 4-byte Folded Reload
	;; [unrolled: 1-line block ×4, first 2 shown]
	s_waitcnt vmcnt(0)
	v_mul_f64 v[85:86], v[89:90], v[75:76]
	v_mul_f64 v[75:76], v[87:88], v[75:76]
	v_fma_f64 v[85:86], v[87:88], v[73:74], -v[85:86]
	v_fma_f64 v[75:76], v[89:90], v[73:74], v[75:76]
	ds_read2_b64 v[87:90], v125 offset0:6 offset1:7
	s_waitcnt lgkmcnt(0)
	v_mul_f64 v[73:74], v[89:90], v[75:76]
	v_fma_f64 v[73:74], v[87:88], v[85:86], -v[73:74]
	v_mul_f64 v[87:88], v[87:88], v[75:76]
	v_add_f64 v[69:70], v[69:70], -v[73:74]
	v_fma_f64 v[87:88], v[89:90], v[85:86], v[87:88]
	v_add_f64 v[71:72], v[71:72], -v[87:88]
	ds_read2_b64 v[87:90], v125 offset0:8 offset1:9
	s_waitcnt lgkmcnt(0)
	v_mul_f64 v[73:74], v[89:90], v[75:76]
	v_fma_f64 v[73:74], v[87:88], v[85:86], -v[73:74]
	v_mul_f64 v[87:88], v[87:88], v[75:76]
	v_add_f64 v[65:66], v[65:66], -v[73:74]
	v_fma_f64 v[87:88], v[89:90], v[85:86], v[87:88]
	v_add_f64 v[67:68], v[67:68], -v[87:88]
	ds_read2_b64 v[87:90], v125 offset0:10 offset1:11
	s_waitcnt lgkmcnt(0)
	v_mul_f64 v[73:74], v[89:90], v[75:76]
	v_fma_f64 v[73:74], v[87:88], v[85:86], -v[73:74]
	v_mul_f64 v[87:88], v[87:88], v[75:76]
	v_add_f64 v[61:62], v[61:62], -v[73:74]
	v_fma_f64 v[87:88], v[89:90], v[85:86], v[87:88]
	v_add_f64 v[63:64], v[63:64], -v[87:88]
	ds_read2_b64 v[87:90], v125 offset0:12 offset1:13
	s_waitcnt lgkmcnt(0)
	v_mul_f64 v[73:74], v[89:90], v[75:76]
	v_fma_f64 v[73:74], v[87:88], v[85:86], -v[73:74]
	v_mul_f64 v[87:88], v[87:88], v[75:76]
	v_add_f64 v[53:54], v[53:54], -v[73:74]
	v_fma_f64 v[87:88], v[89:90], v[85:86], v[87:88]
	v_add_f64 v[55:56], v[55:56], -v[87:88]
	ds_read2_b64 v[87:90], v125 offset0:14 offset1:15
	s_waitcnt lgkmcnt(0)
	v_mul_f64 v[73:74], v[89:90], v[75:76]
	v_fma_f64 v[73:74], v[87:88], v[85:86], -v[73:74]
	v_mul_f64 v[87:88], v[87:88], v[75:76]
	v_add_f64 v[49:50], v[49:50], -v[73:74]
	v_fma_f64 v[87:88], v[89:90], v[85:86], v[87:88]
	v_add_f64 v[51:52], v[51:52], -v[87:88]
	ds_read2_b64 v[87:90], v125 offset0:16 offset1:17
	s_waitcnt lgkmcnt(0)
	v_mul_f64 v[73:74], v[89:90], v[75:76]
	v_fma_f64 v[73:74], v[87:88], v[85:86], -v[73:74]
	v_mul_f64 v[87:88], v[87:88], v[75:76]
	v_add_f64 v[45:46], v[45:46], -v[73:74]
	v_fma_f64 v[87:88], v[89:90], v[85:86], v[87:88]
	v_add_f64 v[47:48], v[47:48], -v[87:88]
	ds_read2_b64 v[87:90], v125 offset0:18 offset1:19
	s_waitcnt lgkmcnt(0)
	v_mul_f64 v[73:74], v[89:90], v[75:76]
	v_fma_f64 v[73:74], v[87:88], v[85:86], -v[73:74]
	v_mul_f64 v[87:88], v[87:88], v[75:76]
	v_add_f64 v[41:42], v[41:42], -v[73:74]
	v_fma_f64 v[87:88], v[89:90], v[85:86], v[87:88]
	v_add_f64 v[43:44], v[43:44], -v[87:88]
	ds_read2_b64 v[87:90], v125 offset0:20 offset1:21
	s_waitcnt lgkmcnt(0)
	v_mul_f64 v[73:74], v[89:90], v[75:76]
	v_fma_f64 v[73:74], v[87:88], v[85:86], -v[73:74]
	v_mul_f64 v[87:88], v[87:88], v[75:76]
	v_add_f64 v[37:38], v[37:38], -v[73:74]
	v_fma_f64 v[87:88], v[89:90], v[85:86], v[87:88]
	v_add_f64 v[39:40], v[39:40], -v[87:88]
	ds_read2_b64 v[87:90], v125 offset0:22 offset1:23
	s_waitcnt lgkmcnt(0)
	v_mul_f64 v[73:74], v[89:90], v[75:76]
	v_fma_f64 v[73:74], v[87:88], v[85:86], -v[73:74]
	v_mul_f64 v[87:88], v[87:88], v[75:76]
	v_add_f64 v[33:34], v[33:34], -v[73:74]
	v_fma_f64 v[87:88], v[89:90], v[85:86], v[87:88]
	v_add_f64 v[35:36], v[35:36], -v[87:88]
	ds_read2_b64 v[87:90], v125 offset0:24 offset1:25
	s_waitcnt lgkmcnt(0)
	v_mul_f64 v[73:74], v[89:90], v[75:76]
	v_fma_f64 v[73:74], v[87:88], v[85:86], -v[73:74]
	v_mul_f64 v[87:88], v[87:88], v[75:76]
	v_add_f64 v[29:30], v[29:30], -v[73:74]
	v_fma_f64 v[87:88], v[89:90], v[85:86], v[87:88]
	v_add_f64 v[31:32], v[31:32], -v[87:88]
	ds_read2_b64 v[87:90], v125 offset0:26 offset1:27
	s_waitcnt lgkmcnt(0)
	v_mul_f64 v[73:74], v[89:90], v[75:76]
	v_fma_f64 v[73:74], v[87:88], v[85:86], -v[73:74]
	v_mul_f64 v[87:88], v[87:88], v[75:76]
	v_add_f64 v[25:26], v[25:26], -v[73:74]
	v_fma_f64 v[87:88], v[89:90], v[85:86], v[87:88]
	v_add_f64 v[27:28], v[27:28], -v[87:88]
	ds_read2_b64 v[87:90], v125 offset0:28 offset1:29
	s_waitcnt lgkmcnt(0)
	v_mul_f64 v[73:74], v[89:90], v[75:76]
	v_fma_f64 v[73:74], v[87:88], v[85:86], -v[73:74]
	v_mul_f64 v[87:88], v[87:88], v[75:76]
	v_add_f64 v[21:22], v[21:22], -v[73:74]
	v_fma_f64 v[87:88], v[89:90], v[85:86], v[87:88]
	v_add_f64 v[23:24], v[23:24], -v[87:88]
	ds_read2_b64 v[87:90], v125 offset0:30 offset1:31
	s_waitcnt lgkmcnt(0)
	v_mul_f64 v[73:74], v[89:90], v[75:76]
	v_fma_f64 v[73:74], v[87:88], v[85:86], -v[73:74]
	v_mul_f64 v[87:88], v[87:88], v[75:76]
	v_add_f64 v[17:18], v[17:18], -v[73:74]
	v_fma_f64 v[87:88], v[89:90], v[85:86], v[87:88]
	v_add_f64 v[19:20], v[19:20], -v[87:88]
	ds_read2_b64 v[87:90], v125 offset0:32 offset1:33
	s_waitcnt lgkmcnt(0)
	v_mul_f64 v[73:74], v[89:90], v[75:76]
	v_fma_f64 v[73:74], v[87:88], v[85:86], -v[73:74]
	v_mul_f64 v[87:88], v[87:88], v[75:76]
	v_add_f64 v[13:14], v[13:14], -v[73:74]
	v_fma_f64 v[87:88], v[89:90], v[85:86], v[87:88]
	v_add_f64 v[15:16], v[15:16], -v[87:88]
	ds_read2_b64 v[87:90], v125 offset0:34 offset1:35
	s_waitcnt lgkmcnt(0)
	v_mul_f64 v[73:74], v[89:90], v[75:76]
	v_fma_f64 v[73:74], v[87:88], v[85:86], -v[73:74]
	v_mul_f64 v[87:88], v[87:88], v[75:76]
	v_add_f64 v[9:10], v[9:10], -v[73:74]
	v_fma_f64 v[87:88], v[89:90], v[85:86], v[87:88]
	v_add_f64 v[11:12], v[11:12], -v[87:88]
	ds_read2_b64 v[87:90], v125 offset0:36 offset1:37
	s_waitcnt lgkmcnt(0)
	v_mul_f64 v[73:74], v[89:90], v[75:76]
	v_fma_f64 v[73:74], v[87:88], v[85:86], -v[73:74]
	v_mul_f64 v[87:88], v[87:88], v[75:76]
	v_add_f64 v[5:6], v[5:6], -v[73:74]
	v_fma_f64 v[87:88], v[89:90], v[85:86], v[87:88]
	v_add_f64 v[7:8], v[7:8], -v[87:88]
	ds_read2_b64 v[87:90], v125 offset0:38 offset1:39
	s_waitcnt lgkmcnt(0)
	v_mul_f64 v[73:74], v[89:90], v[75:76]
	v_fma_f64 v[73:74], v[87:88], v[85:86], -v[73:74]
	v_mul_f64 v[87:88], v[87:88], v[75:76]
	v_add_f64 v[1:2], v[1:2], -v[73:74]
	v_fma_f64 v[87:88], v[89:90], v[85:86], v[87:88]
	v_add_f64 v[3:4], v[3:4], -v[87:88]
	ds_read2_b64 v[87:90], v125 offset0:40 offset1:41
	s_waitcnt lgkmcnt(0)
	v_mul_f64 v[73:74], v[89:90], v[75:76]
	v_fma_f64 v[73:74], v[87:88], v[85:86], -v[73:74]
	v_mul_f64 v[87:88], v[87:88], v[75:76]
	v_add_f64 v[57:58], v[57:58], -v[73:74]
	v_fma_f64 v[87:88], v[89:90], v[85:86], v[87:88]
	v_mov_b32_e32 v73, v85
	v_mov_b32_e32 v74, v86
	v_add_f64 v[59:60], v[59:60], -v[87:88]
.LBB41_28:
	s_or_b64 exec, exec, s[2:3]
	v_cmp_eq_u32_e32 vcc, 3, v0
	s_waitcnt vmcnt(0)
	s_barrier
	s_and_saveexec_b64 s[4:5], vcc
	s_cbranch_execz .LBB41_35
; %bb.29:
	ds_write2_b64 v127, v[69:70], v[71:72] offset1:1
	ds_write2_b64 v125, v[65:66], v[67:68] offset0:8 offset1:9
	ds_write2_b64 v125, v[61:62], v[63:64] offset0:10 offset1:11
	;; [unrolled: 1-line block ×17, first 2 shown]
	ds_read2_b64 v[85:88], v127 offset1:1
	s_waitcnt lgkmcnt(0)
	v_cmp_neq_f64_e32 vcc, 0, v[85:86]
	v_cmp_neq_f64_e64 s[2:3], 0, v[87:88]
	s_or_b64 s[2:3], vcc, s[2:3]
	s_and_b64 exec, exec, s[2:3]
	s_cbranch_execz .LBB41_35
; %bb.30:
	v_cmp_ngt_f64_e64 s[2:3], |v[85:86]|, |v[87:88]|
                                        ; implicit-def: $vgpr89_vgpr90
	s_and_saveexec_b64 s[6:7], s[2:3]
	s_xor_b64 s[2:3], exec, s[6:7]
                                        ; implicit-def: $vgpr91_vgpr92
	s_cbranch_execz .LBB41_32
; %bb.31:
	v_div_scale_f64 v[89:90], s[6:7], v[87:88], v[87:88], v[85:86]
	v_rcp_f64_e32 v[91:92], v[89:90]
	v_fma_f64 v[93:94], -v[89:90], v[91:92], 1.0
	v_fma_f64 v[91:92], v[91:92], v[93:94], v[91:92]
	v_div_scale_f64 v[93:94], vcc, v[85:86], v[87:88], v[85:86]
	v_fma_f64 v[95:96], -v[89:90], v[91:92], 1.0
	v_fma_f64 v[91:92], v[91:92], v[95:96], v[91:92]
	v_mul_f64 v[95:96], v[93:94], v[91:92]
	v_fma_f64 v[89:90], -v[89:90], v[95:96], v[93:94]
	v_div_fmas_f64 v[89:90], v[89:90], v[91:92], v[95:96]
	v_div_fixup_f64 v[89:90], v[89:90], v[87:88], v[85:86]
	v_fma_f64 v[85:86], v[85:86], v[89:90], v[87:88]
	v_div_scale_f64 v[87:88], s[6:7], v[85:86], v[85:86], 1.0
	v_div_scale_f64 v[95:96], vcc, 1.0, v[85:86], 1.0
	v_rcp_f64_e32 v[91:92], v[87:88]
	v_fma_f64 v[93:94], -v[87:88], v[91:92], 1.0
	v_fma_f64 v[91:92], v[91:92], v[93:94], v[91:92]
	v_fma_f64 v[93:94], -v[87:88], v[91:92], 1.0
	v_fma_f64 v[91:92], v[91:92], v[93:94], v[91:92]
	v_mul_f64 v[93:94], v[95:96], v[91:92]
	v_fma_f64 v[87:88], -v[87:88], v[93:94], v[95:96]
	v_div_fmas_f64 v[87:88], v[87:88], v[91:92], v[93:94]
	v_div_fixup_f64 v[91:92], v[87:88], v[85:86], 1.0
                                        ; implicit-def: $vgpr85_vgpr86
	v_mul_f64 v[89:90], v[89:90], v[91:92]
	v_xor_b32_e32 v92, 0x80000000, v92
.LBB41_32:
	s_andn2_saveexec_b64 s[2:3], s[2:3]
	s_cbranch_execz .LBB41_34
; %bb.33:
	v_div_scale_f64 v[89:90], s[6:7], v[85:86], v[85:86], v[87:88]
	v_rcp_f64_e32 v[91:92], v[89:90]
	v_fma_f64 v[93:94], -v[89:90], v[91:92], 1.0
	v_fma_f64 v[91:92], v[91:92], v[93:94], v[91:92]
	v_div_scale_f64 v[93:94], vcc, v[87:88], v[85:86], v[87:88]
	v_fma_f64 v[95:96], -v[89:90], v[91:92], 1.0
	v_fma_f64 v[91:92], v[91:92], v[95:96], v[91:92]
	v_mul_f64 v[95:96], v[93:94], v[91:92]
	v_fma_f64 v[89:90], -v[89:90], v[95:96], v[93:94]
	v_div_fmas_f64 v[89:90], v[89:90], v[91:92], v[95:96]
	v_div_fixup_f64 v[91:92], v[89:90], v[85:86], v[87:88]
	v_fma_f64 v[85:86], v[87:88], v[91:92], v[85:86]
	v_div_scale_f64 v[87:88], s[6:7], v[85:86], v[85:86], 1.0
	v_div_scale_f64 v[95:96], vcc, 1.0, v[85:86], 1.0
	v_rcp_f64_e32 v[89:90], v[87:88]
	v_fma_f64 v[93:94], -v[87:88], v[89:90], 1.0
	v_fma_f64 v[89:90], v[89:90], v[93:94], v[89:90]
	v_fma_f64 v[93:94], -v[87:88], v[89:90], 1.0
	v_fma_f64 v[89:90], v[89:90], v[93:94], v[89:90]
	v_mul_f64 v[93:94], v[95:96], v[89:90]
	v_fma_f64 v[87:88], -v[87:88], v[93:94], v[95:96]
	v_div_fmas_f64 v[87:88], v[87:88], v[89:90], v[93:94]
	v_div_fixup_f64 v[89:90], v[87:88], v[85:86], 1.0
	v_mul_f64 v[91:92], v[91:92], -v[89:90]
.LBB41_34:
	s_or_b64 exec, exec, s[2:3]
	ds_write2_b64 v127, v[89:90], v[91:92] offset1:1
.LBB41_35:
	s_or_b64 exec, exec, s[4:5]
	s_waitcnt lgkmcnt(0)
	s_barrier
	ds_read2_b64 v[85:88], v127 offset1:1
	v_cmp_lt_u32_e32 vcc, 3, v0
	s_waitcnt lgkmcnt(0)
	buffer_store_dword v85, off, s[20:23], 0 offset:232 ; 4-byte Folded Spill
	s_nop 0
	buffer_store_dword v86, off, s[20:23], 0 offset:236 ; 4-byte Folded Spill
	buffer_store_dword v87, off, s[20:23], 0 offset:240 ; 4-byte Folded Spill
	;; [unrolled: 1-line block ×3, first 2 shown]
	s_and_saveexec_b64 s[2:3], vcc
	s_cbranch_execz .LBB41_37
; %bb.36:
	buffer_load_dword v87, off, s[20:23], 0 offset:232 ; 4-byte Folded Reload
	buffer_load_dword v88, off, s[20:23], 0 offset:236 ; 4-byte Folded Reload
	;; [unrolled: 1-line block ×4, first 2 shown]
	s_waitcnt vmcnt(0)
	v_mul_f64 v[85:86], v[89:90], v[71:72]
	v_mul_f64 v[71:72], v[87:88], v[71:72]
	v_fma_f64 v[85:86], v[87:88], v[69:70], -v[85:86]
	v_fma_f64 v[71:72], v[89:90], v[69:70], v[71:72]
	ds_read2_b64 v[87:90], v125 offset0:8 offset1:9
	s_waitcnt lgkmcnt(0)
	v_mul_f64 v[69:70], v[89:90], v[71:72]
	v_fma_f64 v[69:70], v[87:88], v[85:86], -v[69:70]
	v_mul_f64 v[87:88], v[87:88], v[71:72]
	v_add_f64 v[65:66], v[65:66], -v[69:70]
	v_fma_f64 v[87:88], v[89:90], v[85:86], v[87:88]
	v_add_f64 v[67:68], v[67:68], -v[87:88]
	ds_read2_b64 v[87:90], v125 offset0:10 offset1:11
	s_waitcnt lgkmcnt(0)
	v_mul_f64 v[69:70], v[89:90], v[71:72]
	v_fma_f64 v[69:70], v[87:88], v[85:86], -v[69:70]
	v_mul_f64 v[87:88], v[87:88], v[71:72]
	v_add_f64 v[61:62], v[61:62], -v[69:70]
	v_fma_f64 v[87:88], v[89:90], v[85:86], v[87:88]
	v_add_f64 v[63:64], v[63:64], -v[87:88]
	;; [unrolled: 8-line block ×16, first 2 shown]
	ds_read2_b64 v[87:90], v125 offset0:40 offset1:41
	s_waitcnt lgkmcnt(0)
	v_mul_f64 v[69:70], v[89:90], v[71:72]
	v_fma_f64 v[69:70], v[87:88], v[85:86], -v[69:70]
	v_mul_f64 v[87:88], v[87:88], v[71:72]
	v_add_f64 v[57:58], v[57:58], -v[69:70]
	v_fma_f64 v[87:88], v[89:90], v[85:86], v[87:88]
	v_mov_b32_e32 v69, v85
	v_mov_b32_e32 v70, v86
	v_add_f64 v[59:60], v[59:60], -v[87:88]
.LBB41_37:
	s_or_b64 exec, exec, s[2:3]
	v_cmp_eq_u32_e32 vcc, 4, v0
	s_waitcnt vmcnt(0)
	s_barrier
	s_and_saveexec_b64 s[4:5], vcc
	s_cbranch_execz .LBB41_44
; %bb.38:
	ds_write2_b64 v127, v[65:66], v[67:68] offset1:1
	ds_write2_b64 v125, v[61:62], v[63:64] offset0:10 offset1:11
	ds_write2_b64 v125, v[53:54], v[55:56] offset0:12 offset1:13
	;; [unrolled: 1-line block ×16, first 2 shown]
	ds_read2_b64 v[85:88], v127 offset1:1
	s_waitcnt lgkmcnt(0)
	v_cmp_neq_f64_e32 vcc, 0, v[85:86]
	v_cmp_neq_f64_e64 s[2:3], 0, v[87:88]
	s_or_b64 s[2:3], vcc, s[2:3]
	s_and_b64 exec, exec, s[2:3]
	s_cbranch_execz .LBB41_44
; %bb.39:
	v_cmp_ngt_f64_e64 s[2:3], |v[85:86]|, |v[87:88]|
                                        ; implicit-def: $vgpr89_vgpr90
	s_and_saveexec_b64 s[6:7], s[2:3]
	s_xor_b64 s[2:3], exec, s[6:7]
                                        ; implicit-def: $vgpr91_vgpr92
	s_cbranch_execz .LBB41_41
; %bb.40:
	v_div_scale_f64 v[89:90], s[6:7], v[87:88], v[87:88], v[85:86]
	v_rcp_f64_e32 v[91:92], v[89:90]
	v_fma_f64 v[93:94], -v[89:90], v[91:92], 1.0
	v_fma_f64 v[91:92], v[91:92], v[93:94], v[91:92]
	v_div_scale_f64 v[93:94], vcc, v[85:86], v[87:88], v[85:86]
	v_fma_f64 v[95:96], -v[89:90], v[91:92], 1.0
	v_fma_f64 v[91:92], v[91:92], v[95:96], v[91:92]
	v_mul_f64 v[95:96], v[93:94], v[91:92]
	v_fma_f64 v[89:90], -v[89:90], v[95:96], v[93:94]
	v_div_fmas_f64 v[89:90], v[89:90], v[91:92], v[95:96]
	v_div_fixup_f64 v[89:90], v[89:90], v[87:88], v[85:86]
	v_fma_f64 v[85:86], v[85:86], v[89:90], v[87:88]
	v_div_scale_f64 v[87:88], s[6:7], v[85:86], v[85:86], 1.0
	v_div_scale_f64 v[95:96], vcc, 1.0, v[85:86], 1.0
	v_rcp_f64_e32 v[91:92], v[87:88]
	v_fma_f64 v[93:94], -v[87:88], v[91:92], 1.0
	v_fma_f64 v[91:92], v[91:92], v[93:94], v[91:92]
	v_fma_f64 v[93:94], -v[87:88], v[91:92], 1.0
	v_fma_f64 v[91:92], v[91:92], v[93:94], v[91:92]
	v_mul_f64 v[93:94], v[95:96], v[91:92]
	v_fma_f64 v[87:88], -v[87:88], v[93:94], v[95:96]
	v_div_fmas_f64 v[87:88], v[87:88], v[91:92], v[93:94]
	v_div_fixup_f64 v[91:92], v[87:88], v[85:86], 1.0
                                        ; implicit-def: $vgpr85_vgpr86
	v_mul_f64 v[89:90], v[89:90], v[91:92]
	v_xor_b32_e32 v92, 0x80000000, v92
.LBB41_41:
	s_andn2_saveexec_b64 s[2:3], s[2:3]
	s_cbranch_execz .LBB41_43
; %bb.42:
	v_div_scale_f64 v[89:90], s[6:7], v[85:86], v[85:86], v[87:88]
	v_rcp_f64_e32 v[91:92], v[89:90]
	v_fma_f64 v[93:94], -v[89:90], v[91:92], 1.0
	v_fma_f64 v[91:92], v[91:92], v[93:94], v[91:92]
	v_div_scale_f64 v[93:94], vcc, v[87:88], v[85:86], v[87:88]
	v_fma_f64 v[95:96], -v[89:90], v[91:92], 1.0
	v_fma_f64 v[91:92], v[91:92], v[95:96], v[91:92]
	v_mul_f64 v[95:96], v[93:94], v[91:92]
	v_fma_f64 v[89:90], -v[89:90], v[95:96], v[93:94]
	v_div_fmas_f64 v[89:90], v[89:90], v[91:92], v[95:96]
	v_div_fixup_f64 v[91:92], v[89:90], v[85:86], v[87:88]
	v_fma_f64 v[85:86], v[87:88], v[91:92], v[85:86]
	v_div_scale_f64 v[87:88], s[6:7], v[85:86], v[85:86], 1.0
	v_div_scale_f64 v[95:96], vcc, 1.0, v[85:86], 1.0
	v_rcp_f64_e32 v[89:90], v[87:88]
	v_fma_f64 v[93:94], -v[87:88], v[89:90], 1.0
	v_fma_f64 v[89:90], v[89:90], v[93:94], v[89:90]
	v_fma_f64 v[93:94], -v[87:88], v[89:90], 1.0
	v_fma_f64 v[89:90], v[89:90], v[93:94], v[89:90]
	v_mul_f64 v[93:94], v[95:96], v[89:90]
	v_fma_f64 v[87:88], -v[87:88], v[93:94], v[95:96]
	v_div_fmas_f64 v[87:88], v[87:88], v[89:90], v[93:94]
	v_div_fixup_f64 v[89:90], v[87:88], v[85:86], 1.0
	v_mul_f64 v[91:92], v[91:92], -v[89:90]
.LBB41_43:
	s_or_b64 exec, exec, s[2:3]
	ds_write2_b64 v127, v[89:90], v[91:92] offset1:1
.LBB41_44:
	s_or_b64 exec, exec, s[4:5]
	s_waitcnt lgkmcnt(0)
	s_barrier
	ds_read2_b64 v[85:88], v127 offset1:1
	v_cmp_lt_u32_e32 vcc, 4, v0
	s_waitcnt lgkmcnt(0)
	buffer_store_dword v85, off, s[20:23], 0 offset:248 ; 4-byte Folded Spill
	s_nop 0
	buffer_store_dword v86, off, s[20:23], 0 offset:252 ; 4-byte Folded Spill
	buffer_store_dword v87, off, s[20:23], 0 offset:256 ; 4-byte Folded Spill
	;; [unrolled: 1-line block ×3, first 2 shown]
	s_and_saveexec_b64 s[2:3], vcc
	s_cbranch_execz .LBB41_46
; %bb.45:
	buffer_load_dword v87, off, s[20:23], 0 offset:248 ; 4-byte Folded Reload
	buffer_load_dword v88, off, s[20:23], 0 offset:252 ; 4-byte Folded Reload
	;; [unrolled: 1-line block ×4, first 2 shown]
	s_waitcnt vmcnt(2)
	v_mul_f64 v[85:86], v[87:88], v[67:68]
	s_waitcnt vmcnt(0)
	v_mul_f64 v[67:68], v[89:90], v[67:68]
	v_fma_f64 v[85:86], v[89:90], v[65:66], v[85:86]
	v_fma_f64 v[65:66], v[87:88], v[65:66], -v[67:68]
	ds_read2_b64 v[87:90], v125 offset0:10 offset1:11
	s_waitcnt lgkmcnt(0)
	v_mul_f64 v[67:68], v[89:90], v[85:86]
	v_fma_f64 v[67:68], v[87:88], v[65:66], -v[67:68]
	v_mul_f64 v[87:88], v[87:88], v[85:86]
	v_add_f64 v[61:62], v[61:62], -v[67:68]
	v_fma_f64 v[87:88], v[89:90], v[65:66], v[87:88]
	v_add_f64 v[63:64], v[63:64], -v[87:88]
	ds_read2_b64 v[87:90], v125 offset0:12 offset1:13
	s_waitcnt lgkmcnt(0)
	v_mul_f64 v[67:68], v[89:90], v[85:86]
	v_fma_f64 v[67:68], v[87:88], v[65:66], -v[67:68]
	v_mul_f64 v[87:88], v[87:88], v[85:86]
	v_add_f64 v[53:54], v[53:54], -v[67:68]
	v_fma_f64 v[87:88], v[89:90], v[65:66], v[87:88]
	v_add_f64 v[55:56], v[55:56], -v[87:88]
	ds_read2_b64 v[87:90], v125 offset0:14 offset1:15
	s_waitcnt lgkmcnt(0)
	v_mul_f64 v[67:68], v[89:90], v[85:86]
	v_fma_f64 v[67:68], v[87:88], v[65:66], -v[67:68]
	v_mul_f64 v[87:88], v[87:88], v[85:86]
	v_add_f64 v[49:50], v[49:50], -v[67:68]
	v_fma_f64 v[87:88], v[89:90], v[65:66], v[87:88]
	v_add_f64 v[51:52], v[51:52], -v[87:88]
	ds_read2_b64 v[87:90], v125 offset0:16 offset1:17
	s_waitcnt lgkmcnt(0)
	v_mul_f64 v[67:68], v[89:90], v[85:86]
	v_fma_f64 v[67:68], v[87:88], v[65:66], -v[67:68]
	v_mul_f64 v[87:88], v[87:88], v[85:86]
	v_add_f64 v[45:46], v[45:46], -v[67:68]
	v_fma_f64 v[87:88], v[89:90], v[65:66], v[87:88]
	v_add_f64 v[47:48], v[47:48], -v[87:88]
	ds_read2_b64 v[87:90], v125 offset0:18 offset1:19
	s_waitcnt lgkmcnt(0)
	v_mul_f64 v[67:68], v[89:90], v[85:86]
	v_fma_f64 v[67:68], v[87:88], v[65:66], -v[67:68]
	v_mul_f64 v[87:88], v[87:88], v[85:86]
	v_add_f64 v[41:42], v[41:42], -v[67:68]
	v_fma_f64 v[87:88], v[89:90], v[65:66], v[87:88]
	v_add_f64 v[43:44], v[43:44], -v[87:88]
	ds_read2_b64 v[87:90], v125 offset0:20 offset1:21
	s_waitcnt lgkmcnt(0)
	v_mul_f64 v[67:68], v[89:90], v[85:86]
	v_fma_f64 v[67:68], v[87:88], v[65:66], -v[67:68]
	v_mul_f64 v[87:88], v[87:88], v[85:86]
	v_add_f64 v[37:38], v[37:38], -v[67:68]
	v_fma_f64 v[87:88], v[89:90], v[65:66], v[87:88]
	v_add_f64 v[39:40], v[39:40], -v[87:88]
	ds_read2_b64 v[87:90], v125 offset0:22 offset1:23
	s_waitcnt lgkmcnt(0)
	v_mul_f64 v[67:68], v[89:90], v[85:86]
	v_fma_f64 v[67:68], v[87:88], v[65:66], -v[67:68]
	v_mul_f64 v[87:88], v[87:88], v[85:86]
	v_add_f64 v[33:34], v[33:34], -v[67:68]
	v_fma_f64 v[87:88], v[89:90], v[65:66], v[87:88]
	v_add_f64 v[35:36], v[35:36], -v[87:88]
	ds_read2_b64 v[87:90], v125 offset0:24 offset1:25
	s_waitcnt lgkmcnt(0)
	v_mul_f64 v[67:68], v[89:90], v[85:86]
	v_fma_f64 v[67:68], v[87:88], v[65:66], -v[67:68]
	v_mul_f64 v[87:88], v[87:88], v[85:86]
	v_add_f64 v[29:30], v[29:30], -v[67:68]
	v_fma_f64 v[87:88], v[89:90], v[65:66], v[87:88]
	v_add_f64 v[31:32], v[31:32], -v[87:88]
	ds_read2_b64 v[87:90], v125 offset0:26 offset1:27
	s_waitcnt lgkmcnt(0)
	v_mul_f64 v[67:68], v[89:90], v[85:86]
	v_fma_f64 v[67:68], v[87:88], v[65:66], -v[67:68]
	v_mul_f64 v[87:88], v[87:88], v[85:86]
	v_add_f64 v[25:26], v[25:26], -v[67:68]
	v_fma_f64 v[87:88], v[89:90], v[65:66], v[87:88]
	v_add_f64 v[27:28], v[27:28], -v[87:88]
	ds_read2_b64 v[87:90], v125 offset0:28 offset1:29
	s_waitcnt lgkmcnt(0)
	v_mul_f64 v[67:68], v[89:90], v[85:86]
	v_fma_f64 v[67:68], v[87:88], v[65:66], -v[67:68]
	v_mul_f64 v[87:88], v[87:88], v[85:86]
	v_add_f64 v[21:22], v[21:22], -v[67:68]
	v_fma_f64 v[87:88], v[89:90], v[65:66], v[87:88]
	v_add_f64 v[23:24], v[23:24], -v[87:88]
	ds_read2_b64 v[87:90], v125 offset0:30 offset1:31
	s_waitcnt lgkmcnt(0)
	v_mul_f64 v[67:68], v[89:90], v[85:86]
	v_fma_f64 v[67:68], v[87:88], v[65:66], -v[67:68]
	v_mul_f64 v[87:88], v[87:88], v[85:86]
	v_add_f64 v[17:18], v[17:18], -v[67:68]
	v_fma_f64 v[87:88], v[89:90], v[65:66], v[87:88]
	v_add_f64 v[19:20], v[19:20], -v[87:88]
	ds_read2_b64 v[87:90], v125 offset0:32 offset1:33
	s_waitcnt lgkmcnt(0)
	v_mul_f64 v[67:68], v[89:90], v[85:86]
	v_fma_f64 v[67:68], v[87:88], v[65:66], -v[67:68]
	v_mul_f64 v[87:88], v[87:88], v[85:86]
	v_add_f64 v[13:14], v[13:14], -v[67:68]
	v_fma_f64 v[87:88], v[89:90], v[65:66], v[87:88]
	v_add_f64 v[15:16], v[15:16], -v[87:88]
	ds_read2_b64 v[87:90], v125 offset0:34 offset1:35
	s_waitcnt lgkmcnt(0)
	v_mul_f64 v[67:68], v[89:90], v[85:86]
	v_fma_f64 v[67:68], v[87:88], v[65:66], -v[67:68]
	v_mul_f64 v[87:88], v[87:88], v[85:86]
	v_add_f64 v[9:10], v[9:10], -v[67:68]
	v_fma_f64 v[87:88], v[89:90], v[65:66], v[87:88]
	v_add_f64 v[11:12], v[11:12], -v[87:88]
	ds_read2_b64 v[87:90], v125 offset0:36 offset1:37
	s_waitcnt lgkmcnt(0)
	v_mul_f64 v[67:68], v[89:90], v[85:86]
	v_fma_f64 v[67:68], v[87:88], v[65:66], -v[67:68]
	v_mul_f64 v[87:88], v[87:88], v[85:86]
	v_add_f64 v[5:6], v[5:6], -v[67:68]
	v_fma_f64 v[87:88], v[89:90], v[65:66], v[87:88]
	v_add_f64 v[7:8], v[7:8], -v[87:88]
	ds_read2_b64 v[87:90], v125 offset0:38 offset1:39
	s_waitcnt lgkmcnt(0)
	v_mul_f64 v[67:68], v[89:90], v[85:86]
	v_fma_f64 v[67:68], v[87:88], v[65:66], -v[67:68]
	v_mul_f64 v[87:88], v[87:88], v[85:86]
	v_add_f64 v[1:2], v[1:2], -v[67:68]
	v_fma_f64 v[87:88], v[89:90], v[65:66], v[87:88]
	v_add_f64 v[3:4], v[3:4], -v[87:88]
	ds_read2_b64 v[87:90], v125 offset0:40 offset1:41
	s_waitcnt lgkmcnt(0)
	v_mul_f64 v[67:68], v[89:90], v[85:86]
	v_fma_f64 v[67:68], v[87:88], v[65:66], -v[67:68]
	v_mul_f64 v[87:88], v[87:88], v[85:86]
	v_add_f64 v[57:58], v[57:58], -v[67:68]
	v_fma_f64 v[87:88], v[89:90], v[65:66], v[87:88]
	v_mov_b32_e32 v67, v85
	v_mov_b32_e32 v68, v86
	v_add_f64 v[59:60], v[59:60], -v[87:88]
.LBB41_46:
	s_or_b64 exec, exec, s[2:3]
	v_cmp_eq_u32_e32 vcc, 5, v0
	s_waitcnt vmcnt(0)
	s_barrier
	s_and_saveexec_b64 s[4:5], vcc
	s_cbranch_execz .LBB41_53
; %bb.47:
	ds_write2_b64 v127, v[61:62], v[63:64] offset1:1
	ds_write2_b64 v125, v[53:54], v[55:56] offset0:12 offset1:13
	ds_write2_b64 v125, v[49:50], v[51:52] offset0:14 offset1:15
	;; [unrolled: 1-line block ×15, first 2 shown]
	ds_read2_b64 v[85:88], v127 offset1:1
	s_waitcnt lgkmcnt(0)
	v_cmp_neq_f64_e32 vcc, 0, v[85:86]
	v_cmp_neq_f64_e64 s[2:3], 0, v[87:88]
	s_or_b64 s[2:3], vcc, s[2:3]
	s_and_b64 exec, exec, s[2:3]
	s_cbranch_execz .LBB41_53
; %bb.48:
	v_cmp_ngt_f64_e64 s[2:3], |v[85:86]|, |v[87:88]|
                                        ; implicit-def: $vgpr89_vgpr90
	s_and_saveexec_b64 s[6:7], s[2:3]
	s_xor_b64 s[2:3], exec, s[6:7]
                                        ; implicit-def: $vgpr91_vgpr92
	s_cbranch_execz .LBB41_50
; %bb.49:
	v_div_scale_f64 v[89:90], s[6:7], v[87:88], v[87:88], v[85:86]
	v_rcp_f64_e32 v[91:92], v[89:90]
	v_fma_f64 v[93:94], -v[89:90], v[91:92], 1.0
	v_fma_f64 v[91:92], v[91:92], v[93:94], v[91:92]
	v_div_scale_f64 v[93:94], vcc, v[85:86], v[87:88], v[85:86]
	v_fma_f64 v[95:96], -v[89:90], v[91:92], 1.0
	v_fma_f64 v[91:92], v[91:92], v[95:96], v[91:92]
	v_mul_f64 v[95:96], v[93:94], v[91:92]
	v_fma_f64 v[89:90], -v[89:90], v[95:96], v[93:94]
	v_div_fmas_f64 v[89:90], v[89:90], v[91:92], v[95:96]
	v_div_fixup_f64 v[89:90], v[89:90], v[87:88], v[85:86]
	v_fma_f64 v[85:86], v[85:86], v[89:90], v[87:88]
	v_div_scale_f64 v[87:88], s[6:7], v[85:86], v[85:86], 1.0
	v_div_scale_f64 v[95:96], vcc, 1.0, v[85:86], 1.0
	v_rcp_f64_e32 v[91:92], v[87:88]
	v_fma_f64 v[93:94], -v[87:88], v[91:92], 1.0
	v_fma_f64 v[91:92], v[91:92], v[93:94], v[91:92]
	v_fma_f64 v[93:94], -v[87:88], v[91:92], 1.0
	v_fma_f64 v[91:92], v[91:92], v[93:94], v[91:92]
	v_mul_f64 v[93:94], v[95:96], v[91:92]
	v_fma_f64 v[87:88], -v[87:88], v[93:94], v[95:96]
	v_div_fmas_f64 v[87:88], v[87:88], v[91:92], v[93:94]
	v_div_fixup_f64 v[91:92], v[87:88], v[85:86], 1.0
                                        ; implicit-def: $vgpr85_vgpr86
	v_mul_f64 v[89:90], v[89:90], v[91:92]
	v_xor_b32_e32 v92, 0x80000000, v92
.LBB41_50:
	s_andn2_saveexec_b64 s[2:3], s[2:3]
	s_cbranch_execz .LBB41_52
; %bb.51:
	v_div_scale_f64 v[89:90], s[6:7], v[85:86], v[85:86], v[87:88]
	v_rcp_f64_e32 v[91:92], v[89:90]
	v_fma_f64 v[93:94], -v[89:90], v[91:92], 1.0
	v_fma_f64 v[91:92], v[91:92], v[93:94], v[91:92]
	v_div_scale_f64 v[93:94], vcc, v[87:88], v[85:86], v[87:88]
	v_fma_f64 v[95:96], -v[89:90], v[91:92], 1.0
	v_fma_f64 v[91:92], v[91:92], v[95:96], v[91:92]
	v_mul_f64 v[95:96], v[93:94], v[91:92]
	v_fma_f64 v[89:90], -v[89:90], v[95:96], v[93:94]
	v_div_fmas_f64 v[89:90], v[89:90], v[91:92], v[95:96]
	v_div_fixup_f64 v[91:92], v[89:90], v[85:86], v[87:88]
	v_fma_f64 v[85:86], v[87:88], v[91:92], v[85:86]
	v_div_scale_f64 v[87:88], s[6:7], v[85:86], v[85:86], 1.0
	v_div_scale_f64 v[95:96], vcc, 1.0, v[85:86], 1.0
	v_rcp_f64_e32 v[89:90], v[87:88]
	v_fma_f64 v[93:94], -v[87:88], v[89:90], 1.0
	v_fma_f64 v[89:90], v[89:90], v[93:94], v[89:90]
	v_fma_f64 v[93:94], -v[87:88], v[89:90], 1.0
	v_fma_f64 v[89:90], v[89:90], v[93:94], v[89:90]
	v_mul_f64 v[93:94], v[95:96], v[89:90]
	v_fma_f64 v[87:88], -v[87:88], v[93:94], v[95:96]
	v_div_fmas_f64 v[87:88], v[87:88], v[89:90], v[93:94]
	v_div_fixup_f64 v[89:90], v[87:88], v[85:86], 1.0
	v_mul_f64 v[91:92], v[91:92], -v[89:90]
.LBB41_52:
	s_or_b64 exec, exec, s[2:3]
	ds_write2_b64 v127, v[89:90], v[91:92] offset1:1
.LBB41_53:
	s_or_b64 exec, exec, s[4:5]
	s_waitcnt lgkmcnt(0)
	s_barrier
	ds_read2_b64 v[85:88], v127 offset1:1
	v_cmp_lt_u32_e32 vcc, 5, v0
	s_waitcnt lgkmcnt(0)
	buffer_store_dword v85, off, s[20:23], 0 offset:264 ; 4-byte Folded Spill
	s_nop 0
	buffer_store_dword v86, off, s[20:23], 0 offset:268 ; 4-byte Folded Spill
	buffer_store_dword v87, off, s[20:23], 0 offset:272 ; 4-byte Folded Spill
	;; [unrolled: 1-line block ×3, first 2 shown]
	s_and_saveexec_b64 s[2:3], vcc
	s_cbranch_execz .LBB41_55
; %bb.54:
	buffer_load_dword v87, off, s[20:23], 0 offset:264 ; 4-byte Folded Reload
	buffer_load_dword v88, off, s[20:23], 0 offset:268 ; 4-byte Folded Reload
	;; [unrolled: 1-line block ×4, first 2 shown]
	s_waitcnt vmcnt(2)
	v_mul_f64 v[85:86], v[87:88], v[63:64]
	s_waitcnt vmcnt(0)
	v_mul_f64 v[63:64], v[89:90], v[63:64]
	v_fma_f64 v[85:86], v[89:90], v[61:62], v[85:86]
	v_fma_f64 v[61:62], v[87:88], v[61:62], -v[63:64]
	ds_read2_b64 v[87:90], v125 offset0:12 offset1:13
	s_waitcnt lgkmcnt(0)
	v_mul_f64 v[63:64], v[89:90], v[85:86]
	v_fma_f64 v[63:64], v[87:88], v[61:62], -v[63:64]
	v_mul_f64 v[87:88], v[87:88], v[85:86]
	v_add_f64 v[53:54], v[53:54], -v[63:64]
	v_fma_f64 v[87:88], v[89:90], v[61:62], v[87:88]
	v_add_f64 v[55:56], v[55:56], -v[87:88]
	ds_read2_b64 v[87:90], v125 offset0:14 offset1:15
	s_waitcnt lgkmcnt(0)
	v_mul_f64 v[63:64], v[89:90], v[85:86]
	v_fma_f64 v[63:64], v[87:88], v[61:62], -v[63:64]
	v_mul_f64 v[87:88], v[87:88], v[85:86]
	v_add_f64 v[49:50], v[49:50], -v[63:64]
	v_fma_f64 v[87:88], v[89:90], v[61:62], v[87:88]
	v_add_f64 v[51:52], v[51:52], -v[87:88]
	;; [unrolled: 8-line block ×14, first 2 shown]
	ds_read2_b64 v[87:90], v125 offset0:40 offset1:41
	s_waitcnt lgkmcnt(0)
	v_mul_f64 v[63:64], v[89:90], v[85:86]
	v_fma_f64 v[63:64], v[87:88], v[61:62], -v[63:64]
	v_mul_f64 v[87:88], v[87:88], v[85:86]
	v_add_f64 v[57:58], v[57:58], -v[63:64]
	v_fma_f64 v[87:88], v[89:90], v[61:62], v[87:88]
	v_mov_b32_e32 v63, v85
	v_mov_b32_e32 v64, v86
	v_add_f64 v[59:60], v[59:60], -v[87:88]
.LBB41_55:
	s_or_b64 exec, exec, s[2:3]
	v_cmp_eq_u32_e32 vcc, 6, v0
	s_waitcnt vmcnt(0)
	s_barrier
	s_and_saveexec_b64 s[4:5], vcc
	s_cbranch_execz .LBB41_62
; %bb.56:
	ds_write2_b64 v127, v[53:54], v[55:56] offset1:1
	ds_write2_b64 v125, v[49:50], v[51:52] offset0:14 offset1:15
	ds_write2_b64 v125, v[45:46], v[47:48] offset0:16 offset1:17
	;; [unrolled: 1-line block ×14, first 2 shown]
	ds_read2_b64 v[85:88], v127 offset1:1
	s_waitcnt lgkmcnt(0)
	v_cmp_neq_f64_e32 vcc, 0, v[85:86]
	v_cmp_neq_f64_e64 s[2:3], 0, v[87:88]
	s_or_b64 s[2:3], vcc, s[2:3]
	s_and_b64 exec, exec, s[2:3]
	s_cbranch_execz .LBB41_62
; %bb.57:
	v_cmp_ngt_f64_e64 s[2:3], |v[85:86]|, |v[87:88]|
                                        ; implicit-def: $vgpr89_vgpr90
	s_and_saveexec_b64 s[6:7], s[2:3]
	s_xor_b64 s[2:3], exec, s[6:7]
                                        ; implicit-def: $vgpr91_vgpr92
	s_cbranch_execz .LBB41_59
; %bb.58:
	v_div_scale_f64 v[89:90], s[6:7], v[87:88], v[87:88], v[85:86]
	v_rcp_f64_e32 v[91:92], v[89:90]
	v_fma_f64 v[93:94], -v[89:90], v[91:92], 1.0
	v_fma_f64 v[91:92], v[91:92], v[93:94], v[91:92]
	v_div_scale_f64 v[93:94], vcc, v[85:86], v[87:88], v[85:86]
	v_fma_f64 v[95:96], -v[89:90], v[91:92], 1.0
	v_fma_f64 v[91:92], v[91:92], v[95:96], v[91:92]
	v_mul_f64 v[95:96], v[93:94], v[91:92]
	v_fma_f64 v[89:90], -v[89:90], v[95:96], v[93:94]
	v_div_fmas_f64 v[89:90], v[89:90], v[91:92], v[95:96]
	v_div_fixup_f64 v[89:90], v[89:90], v[87:88], v[85:86]
	v_fma_f64 v[85:86], v[85:86], v[89:90], v[87:88]
	v_div_scale_f64 v[87:88], s[6:7], v[85:86], v[85:86], 1.0
	v_div_scale_f64 v[95:96], vcc, 1.0, v[85:86], 1.0
	v_rcp_f64_e32 v[91:92], v[87:88]
	v_fma_f64 v[93:94], -v[87:88], v[91:92], 1.0
	v_fma_f64 v[91:92], v[91:92], v[93:94], v[91:92]
	v_fma_f64 v[93:94], -v[87:88], v[91:92], 1.0
	v_fma_f64 v[91:92], v[91:92], v[93:94], v[91:92]
	v_mul_f64 v[93:94], v[95:96], v[91:92]
	v_fma_f64 v[87:88], -v[87:88], v[93:94], v[95:96]
	v_div_fmas_f64 v[87:88], v[87:88], v[91:92], v[93:94]
	v_div_fixup_f64 v[91:92], v[87:88], v[85:86], 1.0
                                        ; implicit-def: $vgpr85_vgpr86
	v_mul_f64 v[89:90], v[89:90], v[91:92]
	v_xor_b32_e32 v92, 0x80000000, v92
.LBB41_59:
	s_andn2_saveexec_b64 s[2:3], s[2:3]
	s_cbranch_execz .LBB41_61
; %bb.60:
	v_div_scale_f64 v[89:90], s[6:7], v[85:86], v[85:86], v[87:88]
	v_rcp_f64_e32 v[91:92], v[89:90]
	v_fma_f64 v[93:94], -v[89:90], v[91:92], 1.0
	v_fma_f64 v[91:92], v[91:92], v[93:94], v[91:92]
	v_div_scale_f64 v[93:94], vcc, v[87:88], v[85:86], v[87:88]
	v_fma_f64 v[95:96], -v[89:90], v[91:92], 1.0
	v_fma_f64 v[91:92], v[91:92], v[95:96], v[91:92]
	v_mul_f64 v[95:96], v[93:94], v[91:92]
	v_fma_f64 v[89:90], -v[89:90], v[95:96], v[93:94]
	v_div_fmas_f64 v[89:90], v[89:90], v[91:92], v[95:96]
	v_div_fixup_f64 v[91:92], v[89:90], v[85:86], v[87:88]
	v_fma_f64 v[85:86], v[87:88], v[91:92], v[85:86]
	v_div_scale_f64 v[87:88], s[6:7], v[85:86], v[85:86], 1.0
	v_div_scale_f64 v[95:96], vcc, 1.0, v[85:86], 1.0
	v_rcp_f64_e32 v[89:90], v[87:88]
	v_fma_f64 v[93:94], -v[87:88], v[89:90], 1.0
	v_fma_f64 v[89:90], v[89:90], v[93:94], v[89:90]
	v_fma_f64 v[93:94], -v[87:88], v[89:90], 1.0
	v_fma_f64 v[89:90], v[89:90], v[93:94], v[89:90]
	v_mul_f64 v[93:94], v[95:96], v[89:90]
	v_fma_f64 v[87:88], -v[87:88], v[93:94], v[95:96]
	v_div_fmas_f64 v[87:88], v[87:88], v[89:90], v[93:94]
	v_div_fixup_f64 v[89:90], v[87:88], v[85:86], 1.0
	v_mul_f64 v[91:92], v[91:92], -v[89:90]
.LBB41_61:
	s_or_b64 exec, exec, s[2:3]
	ds_write2_b64 v127, v[89:90], v[91:92] offset1:1
.LBB41_62:
	s_or_b64 exec, exec, s[4:5]
	s_waitcnt lgkmcnt(0)
	s_barrier
	ds_read2_b64 v[85:88], v127 offset1:1
	v_cmp_lt_u32_e32 vcc, 6, v0
	s_waitcnt lgkmcnt(0)
	buffer_store_dword v85, off, s[20:23], 0 offset:280 ; 4-byte Folded Spill
	s_nop 0
	buffer_store_dword v86, off, s[20:23], 0 offset:284 ; 4-byte Folded Spill
	buffer_store_dword v87, off, s[20:23], 0 offset:288 ; 4-byte Folded Spill
	;; [unrolled: 1-line block ×3, first 2 shown]
	s_and_saveexec_b64 s[2:3], vcc
	s_cbranch_execz .LBB41_64
; %bb.63:
	buffer_load_dword v87, off, s[20:23], 0 offset:280 ; 4-byte Folded Reload
	buffer_load_dword v88, off, s[20:23], 0 offset:284 ; 4-byte Folded Reload
	;; [unrolled: 1-line block ×4, first 2 shown]
	s_waitcnt vmcnt(2)
	v_mul_f64 v[85:86], v[87:88], v[55:56]
	s_waitcnt vmcnt(0)
	v_mul_f64 v[55:56], v[89:90], v[55:56]
	v_fma_f64 v[85:86], v[89:90], v[53:54], v[85:86]
	v_fma_f64 v[53:54], v[87:88], v[53:54], -v[55:56]
	ds_read2_b64 v[87:90], v125 offset0:14 offset1:15
	s_waitcnt lgkmcnt(0)
	v_mul_f64 v[55:56], v[89:90], v[85:86]
	v_fma_f64 v[55:56], v[87:88], v[53:54], -v[55:56]
	v_mul_f64 v[87:88], v[87:88], v[85:86]
	v_add_f64 v[49:50], v[49:50], -v[55:56]
	v_fma_f64 v[87:88], v[89:90], v[53:54], v[87:88]
	v_add_f64 v[51:52], v[51:52], -v[87:88]
	ds_read2_b64 v[87:90], v125 offset0:16 offset1:17
	s_waitcnt lgkmcnt(0)
	v_mul_f64 v[55:56], v[89:90], v[85:86]
	v_fma_f64 v[55:56], v[87:88], v[53:54], -v[55:56]
	v_mul_f64 v[87:88], v[87:88], v[85:86]
	v_add_f64 v[45:46], v[45:46], -v[55:56]
	v_fma_f64 v[87:88], v[89:90], v[53:54], v[87:88]
	v_add_f64 v[47:48], v[47:48], -v[87:88]
	;; [unrolled: 8-line block ×13, first 2 shown]
	ds_read2_b64 v[87:90], v125 offset0:40 offset1:41
	s_waitcnt lgkmcnt(0)
	v_mul_f64 v[55:56], v[89:90], v[85:86]
	v_fma_f64 v[55:56], v[87:88], v[53:54], -v[55:56]
	v_mul_f64 v[87:88], v[87:88], v[85:86]
	v_add_f64 v[57:58], v[57:58], -v[55:56]
	v_fma_f64 v[87:88], v[89:90], v[53:54], v[87:88]
	v_mov_b32_e32 v55, v85
	v_mov_b32_e32 v56, v86
	v_add_f64 v[59:60], v[59:60], -v[87:88]
.LBB41_64:
	s_or_b64 exec, exec, s[2:3]
	v_cmp_eq_u32_e32 vcc, 7, v0
	s_waitcnt vmcnt(0)
	s_barrier
	s_and_saveexec_b64 s[4:5], vcc
	s_cbranch_execz .LBB41_71
; %bb.65:
	ds_write2_b64 v127, v[49:50], v[51:52] offset1:1
	ds_write2_b64 v125, v[45:46], v[47:48] offset0:16 offset1:17
	ds_write2_b64 v125, v[41:42], v[43:44] offset0:18 offset1:19
	;; [unrolled: 1-line block ×13, first 2 shown]
	ds_read2_b64 v[85:88], v127 offset1:1
	s_waitcnt lgkmcnt(0)
	v_cmp_neq_f64_e32 vcc, 0, v[85:86]
	v_cmp_neq_f64_e64 s[2:3], 0, v[87:88]
	s_or_b64 s[2:3], vcc, s[2:3]
	s_and_b64 exec, exec, s[2:3]
	s_cbranch_execz .LBB41_71
; %bb.66:
	v_cmp_ngt_f64_e64 s[2:3], |v[85:86]|, |v[87:88]|
                                        ; implicit-def: $vgpr89_vgpr90
	s_and_saveexec_b64 s[6:7], s[2:3]
	s_xor_b64 s[2:3], exec, s[6:7]
                                        ; implicit-def: $vgpr91_vgpr92
	s_cbranch_execz .LBB41_68
; %bb.67:
	v_div_scale_f64 v[89:90], s[6:7], v[87:88], v[87:88], v[85:86]
	v_rcp_f64_e32 v[91:92], v[89:90]
	v_fma_f64 v[93:94], -v[89:90], v[91:92], 1.0
	v_fma_f64 v[91:92], v[91:92], v[93:94], v[91:92]
	v_div_scale_f64 v[93:94], vcc, v[85:86], v[87:88], v[85:86]
	v_fma_f64 v[95:96], -v[89:90], v[91:92], 1.0
	v_fma_f64 v[91:92], v[91:92], v[95:96], v[91:92]
	v_mul_f64 v[95:96], v[93:94], v[91:92]
	v_fma_f64 v[89:90], -v[89:90], v[95:96], v[93:94]
	v_div_fmas_f64 v[89:90], v[89:90], v[91:92], v[95:96]
	v_div_fixup_f64 v[89:90], v[89:90], v[87:88], v[85:86]
	v_fma_f64 v[85:86], v[85:86], v[89:90], v[87:88]
	v_div_scale_f64 v[87:88], s[6:7], v[85:86], v[85:86], 1.0
	v_div_scale_f64 v[95:96], vcc, 1.0, v[85:86], 1.0
	v_rcp_f64_e32 v[91:92], v[87:88]
	v_fma_f64 v[93:94], -v[87:88], v[91:92], 1.0
	v_fma_f64 v[91:92], v[91:92], v[93:94], v[91:92]
	v_fma_f64 v[93:94], -v[87:88], v[91:92], 1.0
	v_fma_f64 v[91:92], v[91:92], v[93:94], v[91:92]
	v_mul_f64 v[93:94], v[95:96], v[91:92]
	v_fma_f64 v[87:88], -v[87:88], v[93:94], v[95:96]
	v_div_fmas_f64 v[87:88], v[87:88], v[91:92], v[93:94]
	v_div_fixup_f64 v[91:92], v[87:88], v[85:86], 1.0
                                        ; implicit-def: $vgpr85_vgpr86
	v_mul_f64 v[89:90], v[89:90], v[91:92]
	v_xor_b32_e32 v92, 0x80000000, v92
.LBB41_68:
	s_andn2_saveexec_b64 s[2:3], s[2:3]
	s_cbranch_execz .LBB41_70
; %bb.69:
	v_div_scale_f64 v[89:90], s[6:7], v[85:86], v[85:86], v[87:88]
	v_rcp_f64_e32 v[91:92], v[89:90]
	v_fma_f64 v[93:94], -v[89:90], v[91:92], 1.0
	v_fma_f64 v[91:92], v[91:92], v[93:94], v[91:92]
	v_div_scale_f64 v[93:94], vcc, v[87:88], v[85:86], v[87:88]
	v_fma_f64 v[95:96], -v[89:90], v[91:92], 1.0
	v_fma_f64 v[91:92], v[91:92], v[95:96], v[91:92]
	v_mul_f64 v[95:96], v[93:94], v[91:92]
	v_fma_f64 v[89:90], -v[89:90], v[95:96], v[93:94]
	v_div_fmas_f64 v[89:90], v[89:90], v[91:92], v[95:96]
	v_div_fixup_f64 v[91:92], v[89:90], v[85:86], v[87:88]
	v_fma_f64 v[85:86], v[87:88], v[91:92], v[85:86]
	v_div_scale_f64 v[87:88], s[6:7], v[85:86], v[85:86], 1.0
	v_div_scale_f64 v[95:96], vcc, 1.0, v[85:86], 1.0
	v_rcp_f64_e32 v[89:90], v[87:88]
	v_fma_f64 v[93:94], -v[87:88], v[89:90], 1.0
	v_fma_f64 v[89:90], v[89:90], v[93:94], v[89:90]
	v_fma_f64 v[93:94], -v[87:88], v[89:90], 1.0
	v_fma_f64 v[89:90], v[89:90], v[93:94], v[89:90]
	v_mul_f64 v[93:94], v[95:96], v[89:90]
	v_fma_f64 v[87:88], -v[87:88], v[93:94], v[95:96]
	v_div_fmas_f64 v[87:88], v[87:88], v[89:90], v[93:94]
	v_div_fixup_f64 v[89:90], v[87:88], v[85:86], 1.0
	v_mul_f64 v[91:92], v[91:92], -v[89:90]
.LBB41_70:
	s_or_b64 exec, exec, s[2:3]
	ds_write2_b64 v127, v[89:90], v[91:92] offset1:1
.LBB41_71:
	s_or_b64 exec, exec, s[4:5]
	s_waitcnt lgkmcnt(0)
	s_barrier
	ds_read2_b64 v[85:88], v127 offset1:1
	v_cmp_lt_u32_e32 vcc, 7, v0
	s_waitcnt lgkmcnt(0)
	buffer_store_dword v85, off, s[20:23], 0 offset:296 ; 4-byte Folded Spill
	s_nop 0
	buffer_store_dword v86, off, s[20:23], 0 offset:300 ; 4-byte Folded Spill
	buffer_store_dword v87, off, s[20:23], 0 offset:304 ; 4-byte Folded Spill
	;; [unrolled: 1-line block ×3, first 2 shown]
	s_and_saveexec_b64 s[2:3], vcc
	s_cbranch_execz .LBB41_73
; %bb.72:
	buffer_load_dword v87, off, s[20:23], 0 offset:296 ; 4-byte Folded Reload
	buffer_load_dword v88, off, s[20:23], 0 offset:300 ; 4-byte Folded Reload
	buffer_load_dword v89, off, s[20:23], 0 offset:304 ; 4-byte Folded Reload
	buffer_load_dword v90, off, s[20:23], 0 offset:308 ; 4-byte Folded Reload
	s_waitcnt vmcnt(2)
	v_mul_f64 v[85:86], v[87:88], v[51:52]
	s_waitcnt vmcnt(0)
	v_mul_f64 v[51:52], v[89:90], v[51:52]
	v_fma_f64 v[85:86], v[89:90], v[49:50], v[85:86]
	v_fma_f64 v[49:50], v[87:88], v[49:50], -v[51:52]
	ds_read2_b64 v[87:90], v125 offset0:16 offset1:17
	s_waitcnt lgkmcnt(0)
	v_mul_f64 v[51:52], v[89:90], v[85:86]
	v_fma_f64 v[51:52], v[87:88], v[49:50], -v[51:52]
	v_mul_f64 v[87:88], v[87:88], v[85:86]
	v_add_f64 v[45:46], v[45:46], -v[51:52]
	v_fma_f64 v[87:88], v[89:90], v[49:50], v[87:88]
	v_add_f64 v[47:48], v[47:48], -v[87:88]
	ds_read2_b64 v[87:90], v125 offset0:18 offset1:19
	s_waitcnt lgkmcnt(0)
	v_mul_f64 v[51:52], v[89:90], v[85:86]
	v_fma_f64 v[51:52], v[87:88], v[49:50], -v[51:52]
	v_mul_f64 v[87:88], v[87:88], v[85:86]
	v_add_f64 v[41:42], v[41:42], -v[51:52]
	v_fma_f64 v[87:88], v[89:90], v[49:50], v[87:88]
	v_add_f64 v[43:44], v[43:44], -v[87:88]
	ds_read2_b64 v[87:90], v125 offset0:20 offset1:21
	s_waitcnt lgkmcnt(0)
	v_mul_f64 v[51:52], v[89:90], v[85:86]
	v_fma_f64 v[51:52], v[87:88], v[49:50], -v[51:52]
	v_mul_f64 v[87:88], v[87:88], v[85:86]
	v_add_f64 v[37:38], v[37:38], -v[51:52]
	v_fma_f64 v[87:88], v[89:90], v[49:50], v[87:88]
	v_add_f64 v[39:40], v[39:40], -v[87:88]
	ds_read2_b64 v[87:90], v125 offset0:22 offset1:23
	s_waitcnt lgkmcnt(0)
	v_mul_f64 v[51:52], v[89:90], v[85:86]
	v_fma_f64 v[51:52], v[87:88], v[49:50], -v[51:52]
	v_mul_f64 v[87:88], v[87:88], v[85:86]
	v_add_f64 v[33:34], v[33:34], -v[51:52]
	v_fma_f64 v[87:88], v[89:90], v[49:50], v[87:88]
	v_add_f64 v[35:36], v[35:36], -v[87:88]
	ds_read2_b64 v[87:90], v125 offset0:24 offset1:25
	s_waitcnt lgkmcnt(0)
	v_mul_f64 v[51:52], v[89:90], v[85:86]
	v_fma_f64 v[51:52], v[87:88], v[49:50], -v[51:52]
	v_mul_f64 v[87:88], v[87:88], v[85:86]
	v_add_f64 v[29:30], v[29:30], -v[51:52]
	v_fma_f64 v[87:88], v[89:90], v[49:50], v[87:88]
	v_add_f64 v[31:32], v[31:32], -v[87:88]
	ds_read2_b64 v[87:90], v125 offset0:26 offset1:27
	s_waitcnt lgkmcnt(0)
	v_mul_f64 v[51:52], v[89:90], v[85:86]
	v_fma_f64 v[51:52], v[87:88], v[49:50], -v[51:52]
	v_mul_f64 v[87:88], v[87:88], v[85:86]
	v_add_f64 v[25:26], v[25:26], -v[51:52]
	v_fma_f64 v[87:88], v[89:90], v[49:50], v[87:88]
	v_add_f64 v[27:28], v[27:28], -v[87:88]
	ds_read2_b64 v[87:90], v125 offset0:28 offset1:29
	s_waitcnt lgkmcnt(0)
	v_mul_f64 v[51:52], v[89:90], v[85:86]
	v_fma_f64 v[51:52], v[87:88], v[49:50], -v[51:52]
	v_mul_f64 v[87:88], v[87:88], v[85:86]
	v_add_f64 v[21:22], v[21:22], -v[51:52]
	v_fma_f64 v[87:88], v[89:90], v[49:50], v[87:88]
	v_add_f64 v[23:24], v[23:24], -v[87:88]
	ds_read2_b64 v[87:90], v125 offset0:30 offset1:31
	s_waitcnt lgkmcnt(0)
	v_mul_f64 v[51:52], v[89:90], v[85:86]
	v_fma_f64 v[51:52], v[87:88], v[49:50], -v[51:52]
	v_mul_f64 v[87:88], v[87:88], v[85:86]
	v_add_f64 v[17:18], v[17:18], -v[51:52]
	v_fma_f64 v[87:88], v[89:90], v[49:50], v[87:88]
	v_add_f64 v[19:20], v[19:20], -v[87:88]
	ds_read2_b64 v[87:90], v125 offset0:32 offset1:33
	s_waitcnt lgkmcnt(0)
	v_mul_f64 v[51:52], v[89:90], v[85:86]
	v_fma_f64 v[51:52], v[87:88], v[49:50], -v[51:52]
	v_mul_f64 v[87:88], v[87:88], v[85:86]
	v_add_f64 v[13:14], v[13:14], -v[51:52]
	v_fma_f64 v[87:88], v[89:90], v[49:50], v[87:88]
	v_add_f64 v[15:16], v[15:16], -v[87:88]
	ds_read2_b64 v[87:90], v125 offset0:34 offset1:35
	s_waitcnt lgkmcnt(0)
	v_mul_f64 v[51:52], v[89:90], v[85:86]
	v_fma_f64 v[51:52], v[87:88], v[49:50], -v[51:52]
	v_mul_f64 v[87:88], v[87:88], v[85:86]
	v_add_f64 v[9:10], v[9:10], -v[51:52]
	v_fma_f64 v[87:88], v[89:90], v[49:50], v[87:88]
	v_add_f64 v[11:12], v[11:12], -v[87:88]
	ds_read2_b64 v[87:90], v125 offset0:36 offset1:37
	s_waitcnt lgkmcnt(0)
	v_mul_f64 v[51:52], v[89:90], v[85:86]
	v_fma_f64 v[51:52], v[87:88], v[49:50], -v[51:52]
	v_mul_f64 v[87:88], v[87:88], v[85:86]
	v_add_f64 v[5:6], v[5:6], -v[51:52]
	v_fma_f64 v[87:88], v[89:90], v[49:50], v[87:88]
	v_add_f64 v[7:8], v[7:8], -v[87:88]
	ds_read2_b64 v[87:90], v125 offset0:38 offset1:39
	s_waitcnt lgkmcnt(0)
	v_mul_f64 v[51:52], v[89:90], v[85:86]
	v_fma_f64 v[51:52], v[87:88], v[49:50], -v[51:52]
	v_mul_f64 v[87:88], v[87:88], v[85:86]
	v_add_f64 v[1:2], v[1:2], -v[51:52]
	v_fma_f64 v[87:88], v[89:90], v[49:50], v[87:88]
	v_add_f64 v[3:4], v[3:4], -v[87:88]
	ds_read2_b64 v[87:90], v125 offset0:40 offset1:41
	s_waitcnt lgkmcnt(0)
	v_mul_f64 v[51:52], v[89:90], v[85:86]
	v_fma_f64 v[51:52], v[87:88], v[49:50], -v[51:52]
	v_mul_f64 v[87:88], v[87:88], v[85:86]
	v_add_f64 v[57:58], v[57:58], -v[51:52]
	v_fma_f64 v[87:88], v[89:90], v[49:50], v[87:88]
	v_mov_b32_e32 v51, v85
	v_mov_b32_e32 v52, v86
	v_add_f64 v[59:60], v[59:60], -v[87:88]
.LBB41_73:
	s_or_b64 exec, exec, s[2:3]
	v_cmp_eq_u32_e32 vcc, 8, v0
	s_waitcnt vmcnt(0)
	s_barrier
	s_and_saveexec_b64 s[4:5], vcc
	s_cbranch_execz .LBB41_80
; %bb.74:
	ds_write2_b64 v127, v[45:46], v[47:48] offset1:1
	ds_write2_b64 v125, v[41:42], v[43:44] offset0:18 offset1:19
	ds_write2_b64 v125, v[37:38], v[39:40] offset0:20 offset1:21
	;; [unrolled: 1-line block ×12, first 2 shown]
	ds_read2_b64 v[85:88], v127 offset1:1
	s_waitcnt lgkmcnt(0)
	v_cmp_neq_f64_e32 vcc, 0, v[85:86]
	v_cmp_neq_f64_e64 s[2:3], 0, v[87:88]
	s_or_b64 s[2:3], vcc, s[2:3]
	s_and_b64 exec, exec, s[2:3]
	s_cbranch_execz .LBB41_80
; %bb.75:
	v_cmp_ngt_f64_e64 s[2:3], |v[85:86]|, |v[87:88]|
                                        ; implicit-def: $vgpr89_vgpr90
	s_and_saveexec_b64 s[6:7], s[2:3]
	s_xor_b64 s[2:3], exec, s[6:7]
                                        ; implicit-def: $vgpr91_vgpr92
	s_cbranch_execz .LBB41_77
; %bb.76:
	v_div_scale_f64 v[89:90], s[6:7], v[87:88], v[87:88], v[85:86]
	v_rcp_f64_e32 v[91:92], v[89:90]
	v_fma_f64 v[93:94], -v[89:90], v[91:92], 1.0
	v_fma_f64 v[91:92], v[91:92], v[93:94], v[91:92]
	v_div_scale_f64 v[93:94], vcc, v[85:86], v[87:88], v[85:86]
	v_fma_f64 v[95:96], -v[89:90], v[91:92], 1.0
	v_fma_f64 v[91:92], v[91:92], v[95:96], v[91:92]
	v_mul_f64 v[95:96], v[93:94], v[91:92]
	v_fma_f64 v[89:90], -v[89:90], v[95:96], v[93:94]
	v_div_fmas_f64 v[89:90], v[89:90], v[91:92], v[95:96]
	v_div_fixup_f64 v[89:90], v[89:90], v[87:88], v[85:86]
	v_fma_f64 v[85:86], v[85:86], v[89:90], v[87:88]
	v_div_scale_f64 v[87:88], s[6:7], v[85:86], v[85:86], 1.0
	v_div_scale_f64 v[95:96], vcc, 1.0, v[85:86], 1.0
	v_rcp_f64_e32 v[91:92], v[87:88]
	v_fma_f64 v[93:94], -v[87:88], v[91:92], 1.0
	v_fma_f64 v[91:92], v[91:92], v[93:94], v[91:92]
	v_fma_f64 v[93:94], -v[87:88], v[91:92], 1.0
	v_fma_f64 v[91:92], v[91:92], v[93:94], v[91:92]
	v_mul_f64 v[93:94], v[95:96], v[91:92]
	v_fma_f64 v[87:88], -v[87:88], v[93:94], v[95:96]
	v_div_fmas_f64 v[87:88], v[87:88], v[91:92], v[93:94]
	v_div_fixup_f64 v[91:92], v[87:88], v[85:86], 1.0
                                        ; implicit-def: $vgpr85_vgpr86
	v_mul_f64 v[89:90], v[89:90], v[91:92]
	v_xor_b32_e32 v92, 0x80000000, v92
.LBB41_77:
	s_andn2_saveexec_b64 s[2:3], s[2:3]
	s_cbranch_execz .LBB41_79
; %bb.78:
	v_div_scale_f64 v[89:90], s[6:7], v[85:86], v[85:86], v[87:88]
	v_rcp_f64_e32 v[91:92], v[89:90]
	v_fma_f64 v[93:94], -v[89:90], v[91:92], 1.0
	v_fma_f64 v[91:92], v[91:92], v[93:94], v[91:92]
	v_div_scale_f64 v[93:94], vcc, v[87:88], v[85:86], v[87:88]
	v_fma_f64 v[95:96], -v[89:90], v[91:92], 1.0
	v_fma_f64 v[91:92], v[91:92], v[95:96], v[91:92]
	v_mul_f64 v[95:96], v[93:94], v[91:92]
	v_fma_f64 v[89:90], -v[89:90], v[95:96], v[93:94]
	v_div_fmas_f64 v[89:90], v[89:90], v[91:92], v[95:96]
	v_div_fixup_f64 v[91:92], v[89:90], v[85:86], v[87:88]
	v_fma_f64 v[85:86], v[87:88], v[91:92], v[85:86]
	v_div_scale_f64 v[87:88], s[6:7], v[85:86], v[85:86], 1.0
	v_div_scale_f64 v[95:96], vcc, 1.0, v[85:86], 1.0
	v_rcp_f64_e32 v[89:90], v[87:88]
	v_fma_f64 v[93:94], -v[87:88], v[89:90], 1.0
	v_fma_f64 v[89:90], v[89:90], v[93:94], v[89:90]
	v_fma_f64 v[93:94], -v[87:88], v[89:90], 1.0
	v_fma_f64 v[89:90], v[89:90], v[93:94], v[89:90]
	v_mul_f64 v[93:94], v[95:96], v[89:90]
	v_fma_f64 v[87:88], -v[87:88], v[93:94], v[95:96]
	v_div_fmas_f64 v[87:88], v[87:88], v[89:90], v[93:94]
	v_div_fixup_f64 v[89:90], v[87:88], v[85:86], 1.0
	v_mul_f64 v[91:92], v[91:92], -v[89:90]
.LBB41_79:
	s_or_b64 exec, exec, s[2:3]
	ds_write2_b64 v127, v[89:90], v[91:92] offset1:1
.LBB41_80:
	s_or_b64 exec, exec, s[4:5]
	s_waitcnt lgkmcnt(0)
	s_barrier
	ds_read2_b64 v[85:88], v127 offset1:1
	v_cmp_lt_u32_e32 vcc, 8, v0
	s_waitcnt lgkmcnt(0)
	buffer_store_dword v85, off, s[20:23], 0 offset:312 ; 4-byte Folded Spill
	s_nop 0
	buffer_store_dword v86, off, s[20:23], 0 offset:316 ; 4-byte Folded Spill
	buffer_store_dword v87, off, s[20:23], 0 offset:320 ; 4-byte Folded Spill
	;; [unrolled: 1-line block ×3, first 2 shown]
	s_and_saveexec_b64 s[2:3], vcc
	s_cbranch_execz .LBB41_82
; %bb.81:
	buffer_load_dword v87, off, s[20:23], 0 offset:312 ; 4-byte Folded Reload
	buffer_load_dword v88, off, s[20:23], 0 offset:316 ; 4-byte Folded Reload
	;; [unrolled: 1-line block ×4, first 2 shown]
	s_waitcnt vmcnt(2)
	v_mul_f64 v[85:86], v[87:88], v[47:48]
	s_waitcnt vmcnt(0)
	v_mul_f64 v[47:48], v[89:90], v[47:48]
	v_fma_f64 v[85:86], v[89:90], v[45:46], v[85:86]
	v_fma_f64 v[45:46], v[87:88], v[45:46], -v[47:48]
	ds_read2_b64 v[87:90], v125 offset0:18 offset1:19
	s_waitcnt lgkmcnt(0)
	v_mul_f64 v[47:48], v[89:90], v[85:86]
	v_fma_f64 v[47:48], v[87:88], v[45:46], -v[47:48]
	v_mul_f64 v[87:88], v[87:88], v[85:86]
	v_add_f64 v[41:42], v[41:42], -v[47:48]
	v_fma_f64 v[87:88], v[89:90], v[45:46], v[87:88]
	v_add_f64 v[43:44], v[43:44], -v[87:88]
	ds_read2_b64 v[87:90], v125 offset0:20 offset1:21
	s_waitcnt lgkmcnt(0)
	v_mul_f64 v[47:48], v[89:90], v[85:86]
	v_fma_f64 v[47:48], v[87:88], v[45:46], -v[47:48]
	v_mul_f64 v[87:88], v[87:88], v[85:86]
	v_add_f64 v[37:38], v[37:38], -v[47:48]
	v_fma_f64 v[87:88], v[89:90], v[45:46], v[87:88]
	v_add_f64 v[39:40], v[39:40], -v[87:88]
	;; [unrolled: 8-line block ×11, first 2 shown]
	ds_read2_b64 v[87:90], v125 offset0:40 offset1:41
	s_waitcnt lgkmcnt(0)
	v_mul_f64 v[47:48], v[89:90], v[85:86]
	v_fma_f64 v[47:48], v[87:88], v[45:46], -v[47:48]
	v_mul_f64 v[87:88], v[87:88], v[85:86]
	v_add_f64 v[57:58], v[57:58], -v[47:48]
	v_fma_f64 v[87:88], v[89:90], v[45:46], v[87:88]
	v_mov_b32_e32 v47, v85
	v_mov_b32_e32 v48, v86
	v_add_f64 v[59:60], v[59:60], -v[87:88]
.LBB41_82:
	s_or_b64 exec, exec, s[2:3]
	v_cmp_eq_u32_e32 vcc, 9, v0
	s_waitcnt vmcnt(0)
	s_barrier
	s_and_saveexec_b64 s[4:5], vcc
	s_cbranch_execz .LBB41_89
; %bb.83:
	ds_write2_b64 v127, v[41:42], v[43:44] offset1:1
	ds_write2_b64 v125, v[37:38], v[39:40] offset0:20 offset1:21
	ds_write2_b64 v125, v[33:34], v[35:36] offset0:22 offset1:23
	;; [unrolled: 1-line block ×11, first 2 shown]
	ds_read2_b64 v[85:88], v127 offset1:1
	s_waitcnt lgkmcnt(0)
	v_cmp_neq_f64_e32 vcc, 0, v[85:86]
	v_cmp_neq_f64_e64 s[2:3], 0, v[87:88]
	s_or_b64 s[2:3], vcc, s[2:3]
	s_and_b64 exec, exec, s[2:3]
	s_cbranch_execz .LBB41_89
; %bb.84:
	v_cmp_ngt_f64_e64 s[2:3], |v[85:86]|, |v[87:88]|
                                        ; implicit-def: $vgpr89_vgpr90
	s_and_saveexec_b64 s[6:7], s[2:3]
	s_xor_b64 s[2:3], exec, s[6:7]
                                        ; implicit-def: $vgpr91_vgpr92
	s_cbranch_execz .LBB41_86
; %bb.85:
	v_div_scale_f64 v[89:90], s[6:7], v[87:88], v[87:88], v[85:86]
	v_rcp_f64_e32 v[91:92], v[89:90]
	v_fma_f64 v[93:94], -v[89:90], v[91:92], 1.0
	v_fma_f64 v[91:92], v[91:92], v[93:94], v[91:92]
	v_div_scale_f64 v[93:94], vcc, v[85:86], v[87:88], v[85:86]
	v_fma_f64 v[95:96], -v[89:90], v[91:92], 1.0
	v_fma_f64 v[91:92], v[91:92], v[95:96], v[91:92]
	v_mul_f64 v[95:96], v[93:94], v[91:92]
	v_fma_f64 v[89:90], -v[89:90], v[95:96], v[93:94]
	v_div_fmas_f64 v[89:90], v[89:90], v[91:92], v[95:96]
	v_div_fixup_f64 v[89:90], v[89:90], v[87:88], v[85:86]
	v_fma_f64 v[85:86], v[85:86], v[89:90], v[87:88]
	v_div_scale_f64 v[87:88], s[6:7], v[85:86], v[85:86], 1.0
	v_div_scale_f64 v[95:96], vcc, 1.0, v[85:86], 1.0
	v_rcp_f64_e32 v[91:92], v[87:88]
	v_fma_f64 v[93:94], -v[87:88], v[91:92], 1.0
	v_fma_f64 v[91:92], v[91:92], v[93:94], v[91:92]
	v_fma_f64 v[93:94], -v[87:88], v[91:92], 1.0
	v_fma_f64 v[91:92], v[91:92], v[93:94], v[91:92]
	v_mul_f64 v[93:94], v[95:96], v[91:92]
	v_fma_f64 v[87:88], -v[87:88], v[93:94], v[95:96]
	v_div_fmas_f64 v[87:88], v[87:88], v[91:92], v[93:94]
	v_div_fixup_f64 v[91:92], v[87:88], v[85:86], 1.0
                                        ; implicit-def: $vgpr85_vgpr86
	v_mul_f64 v[89:90], v[89:90], v[91:92]
	v_xor_b32_e32 v92, 0x80000000, v92
.LBB41_86:
	s_andn2_saveexec_b64 s[2:3], s[2:3]
	s_cbranch_execz .LBB41_88
; %bb.87:
	v_div_scale_f64 v[89:90], s[6:7], v[85:86], v[85:86], v[87:88]
	v_rcp_f64_e32 v[91:92], v[89:90]
	v_fma_f64 v[93:94], -v[89:90], v[91:92], 1.0
	v_fma_f64 v[91:92], v[91:92], v[93:94], v[91:92]
	v_div_scale_f64 v[93:94], vcc, v[87:88], v[85:86], v[87:88]
	v_fma_f64 v[95:96], -v[89:90], v[91:92], 1.0
	v_fma_f64 v[91:92], v[91:92], v[95:96], v[91:92]
	v_mul_f64 v[95:96], v[93:94], v[91:92]
	v_fma_f64 v[89:90], -v[89:90], v[95:96], v[93:94]
	v_div_fmas_f64 v[89:90], v[89:90], v[91:92], v[95:96]
	v_div_fixup_f64 v[91:92], v[89:90], v[85:86], v[87:88]
	v_fma_f64 v[85:86], v[87:88], v[91:92], v[85:86]
	v_div_scale_f64 v[87:88], s[6:7], v[85:86], v[85:86], 1.0
	v_div_scale_f64 v[95:96], vcc, 1.0, v[85:86], 1.0
	v_rcp_f64_e32 v[89:90], v[87:88]
	v_fma_f64 v[93:94], -v[87:88], v[89:90], 1.0
	v_fma_f64 v[89:90], v[89:90], v[93:94], v[89:90]
	v_fma_f64 v[93:94], -v[87:88], v[89:90], 1.0
	v_fma_f64 v[89:90], v[89:90], v[93:94], v[89:90]
	v_mul_f64 v[93:94], v[95:96], v[89:90]
	v_fma_f64 v[87:88], -v[87:88], v[93:94], v[95:96]
	v_div_fmas_f64 v[87:88], v[87:88], v[89:90], v[93:94]
	v_div_fixup_f64 v[89:90], v[87:88], v[85:86], 1.0
	v_mul_f64 v[91:92], v[91:92], -v[89:90]
.LBB41_88:
	s_or_b64 exec, exec, s[2:3]
	ds_write2_b64 v127, v[89:90], v[91:92] offset1:1
.LBB41_89:
	s_or_b64 exec, exec, s[4:5]
	s_waitcnt lgkmcnt(0)
	s_barrier
	ds_read2_b64 v[85:88], v127 offset1:1
	v_cmp_lt_u32_e32 vcc, 9, v0
	s_waitcnt lgkmcnt(0)
	buffer_store_dword v85, off, s[20:23], 0 offset:328 ; 4-byte Folded Spill
	s_nop 0
	buffer_store_dword v86, off, s[20:23], 0 offset:332 ; 4-byte Folded Spill
	buffer_store_dword v87, off, s[20:23], 0 offset:336 ; 4-byte Folded Spill
	;; [unrolled: 1-line block ×3, first 2 shown]
	s_and_saveexec_b64 s[2:3], vcc
	s_cbranch_execz .LBB41_91
; %bb.90:
	buffer_load_dword v87, off, s[20:23], 0 offset:328 ; 4-byte Folded Reload
	buffer_load_dword v88, off, s[20:23], 0 offset:332 ; 4-byte Folded Reload
	;; [unrolled: 1-line block ×4, first 2 shown]
	s_waitcnt vmcnt(2)
	v_mul_f64 v[85:86], v[87:88], v[43:44]
	s_waitcnt vmcnt(0)
	v_mul_f64 v[43:44], v[89:90], v[43:44]
	v_fma_f64 v[85:86], v[89:90], v[41:42], v[85:86]
	v_fma_f64 v[41:42], v[87:88], v[41:42], -v[43:44]
	ds_read2_b64 v[87:90], v125 offset0:20 offset1:21
	s_waitcnt lgkmcnt(0)
	v_mul_f64 v[43:44], v[89:90], v[85:86]
	v_fma_f64 v[43:44], v[87:88], v[41:42], -v[43:44]
	v_mul_f64 v[87:88], v[87:88], v[85:86]
	v_add_f64 v[37:38], v[37:38], -v[43:44]
	v_fma_f64 v[87:88], v[89:90], v[41:42], v[87:88]
	v_add_f64 v[39:40], v[39:40], -v[87:88]
	ds_read2_b64 v[87:90], v125 offset0:22 offset1:23
	s_waitcnt lgkmcnt(0)
	v_mul_f64 v[43:44], v[89:90], v[85:86]
	v_fma_f64 v[43:44], v[87:88], v[41:42], -v[43:44]
	v_mul_f64 v[87:88], v[87:88], v[85:86]
	v_add_f64 v[33:34], v[33:34], -v[43:44]
	v_fma_f64 v[87:88], v[89:90], v[41:42], v[87:88]
	v_add_f64 v[35:36], v[35:36], -v[87:88]
	;; [unrolled: 8-line block ×10, first 2 shown]
	ds_read2_b64 v[87:90], v125 offset0:40 offset1:41
	s_waitcnt lgkmcnt(0)
	v_mul_f64 v[43:44], v[89:90], v[85:86]
	v_fma_f64 v[43:44], v[87:88], v[41:42], -v[43:44]
	v_mul_f64 v[87:88], v[87:88], v[85:86]
	v_add_f64 v[57:58], v[57:58], -v[43:44]
	v_fma_f64 v[87:88], v[89:90], v[41:42], v[87:88]
	v_mov_b32_e32 v43, v85
	v_mov_b32_e32 v44, v86
	v_add_f64 v[59:60], v[59:60], -v[87:88]
.LBB41_91:
	s_or_b64 exec, exec, s[2:3]
	v_cmp_eq_u32_e32 vcc, 10, v0
	s_waitcnt vmcnt(0)
	s_barrier
	s_and_saveexec_b64 s[4:5], vcc
	s_cbranch_execz .LBB41_98
; %bb.92:
	ds_write2_b64 v127, v[37:38], v[39:40] offset1:1
	ds_write2_b64 v125, v[33:34], v[35:36] offset0:22 offset1:23
	ds_write2_b64 v125, v[29:30], v[31:32] offset0:24 offset1:25
	ds_write2_b64 v125, v[25:26], v[27:28] offset0:26 offset1:27
	ds_write2_b64 v125, v[21:22], v[23:24] offset0:28 offset1:29
	ds_write2_b64 v125, v[17:18], v[19:20] offset0:30 offset1:31
	ds_write2_b64 v125, v[13:14], v[15:16] offset0:32 offset1:33
	ds_write2_b64 v125, v[9:10], v[11:12] offset0:34 offset1:35
	ds_write2_b64 v125, v[5:6], v[7:8] offset0:36 offset1:37
	ds_write2_b64 v125, v[1:2], v[3:4] offset0:38 offset1:39
	ds_write2_b64 v125, v[57:58], v[59:60] offset0:40 offset1:41
	ds_read2_b64 v[85:88], v127 offset1:1
	s_waitcnt lgkmcnt(0)
	v_cmp_neq_f64_e32 vcc, 0, v[85:86]
	v_cmp_neq_f64_e64 s[2:3], 0, v[87:88]
	s_or_b64 s[2:3], vcc, s[2:3]
	s_and_b64 exec, exec, s[2:3]
	s_cbranch_execz .LBB41_98
; %bb.93:
	v_cmp_ngt_f64_e64 s[2:3], |v[85:86]|, |v[87:88]|
                                        ; implicit-def: $vgpr89_vgpr90
	s_and_saveexec_b64 s[6:7], s[2:3]
	s_xor_b64 s[2:3], exec, s[6:7]
                                        ; implicit-def: $vgpr91_vgpr92
	s_cbranch_execz .LBB41_95
; %bb.94:
	v_div_scale_f64 v[89:90], s[6:7], v[87:88], v[87:88], v[85:86]
	v_rcp_f64_e32 v[91:92], v[89:90]
	v_fma_f64 v[93:94], -v[89:90], v[91:92], 1.0
	v_fma_f64 v[91:92], v[91:92], v[93:94], v[91:92]
	v_div_scale_f64 v[93:94], vcc, v[85:86], v[87:88], v[85:86]
	v_fma_f64 v[95:96], -v[89:90], v[91:92], 1.0
	v_fma_f64 v[91:92], v[91:92], v[95:96], v[91:92]
	v_mul_f64 v[95:96], v[93:94], v[91:92]
	v_fma_f64 v[89:90], -v[89:90], v[95:96], v[93:94]
	v_div_fmas_f64 v[89:90], v[89:90], v[91:92], v[95:96]
	v_div_fixup_f64 v[89:90], v[89:90], v[87:88], v[85:86]
	v_fma_f64 v[85:86], v[85:86], v[89:90], v[87:88]
	v_div_scale_f64 v[87:88], s[6:7], v[85:86], v[85:86], 1.0
	v_div_scale_f64 v[95:96], vcc, 1.0, v[85:86], 1.0
	v_rcp_f64_e32 v[91:92], v[87:88]
	v_fma_f64 v[93:94], -v[87:88], v[91:92], 1.0
	v_fma_f64 v[91:92], v[91:92], v[93:94], v[91:92]
	v_fma_f64 v[93:94], -v[87:88], v[91:92], 1.0
	v_fma_f64 v[91:92], v[91:92], v[93:94], v[91:92]
	v_mul_f64 v[93:94], v[95:96], v[91:92]
	v_fma_f64 v[87:88], -v[87:88], v[93:94], v[95:96]
	v_div_fmas_f64 v[87:88], v[87:88], v[91:92], v[93:94]
	v_div_fixup_f64 v[91:92], v[87:88], v[85:86], 1.0
                                        ; implicit-def: $vgpr85_vgpr86
	v_mul_f64 v[89:90], v[89:90], v[91:92]
	v_xor_b32_e32 v92, 0x80000000, v92
.LBB41_95:
	s_andn2_saveexec_b64 s[2:3], s[2:3]
	s_cbranch_execz .LBB41_97
; %bb.96:
	v_div_scale_f64 v[89:90], s[6:7], v[85:86], v[85:86], v[87:88]
	v_rcp_f64_e32 v[91:92], v[89:90]
	v_fma_f64 v[93:94], -v[89:90], v[91:92], 1.0
	v_fma_f64 v[91:92], v[91:92], v[93:94], v[91:92]
	v_div_scale_f64 v[93:94], vcc, v[87:88], v[85:86], v[87:88]
	v_fma_f64 v[95:96], -v[89:90], v[91:92], 1.0
	v_fma_f64 v[91:92], v[91:92], v[95:96], v[91:92]
	v_mul_f64 v[95:96], v[93:94], v[91:92]
	v_fma_f64 v[89:90], -v[89:90], v[95:96], v[93:94]
	v_div_fmas_f64 v[89:90], v[89:90], v[91:92], v[95:96]
	v_div_fixup_f64 v[91:92], v[89:90], v[85:86], v[87:88]
	v_fma_f64 v[85:86], v[87:88], v[91:92], v[85:86]
	v_div_scale_f64 v[87:88], s[6:7], v[85:86], v[85:86], 1.0
	v_div_scale_f64 v[95:96], vcc, 1.0, v[85:86], 1.0
	v_rcp_f64_e32 v[89:90], v[87:88]
	v_fma_f64 v[93:94], -v[87:88], v[89:90], 1.0
	v_fma_f64 v[89:90], v[89:90], v[93:94], v[89:90]
	v_fma_f64 v[93:94], -v[87:88], v[89:90], 1.0
	v_fma_f64 v[89:90], v[89:90], v[93:94], v[89:90]
	v_mul_f64 v[93:94], v[95:96], v[89:90]
	v_fma_f64 v[87:88], -v[87:88], v[93:94], v[95:96]
	v_div_fmas_f64 v[87:88], v[87:88], v[89:90], v[93:94]
	v_div_fixup_f64 v[89:90], v[87:88], v[85:86], 1.0
	v_mul_f64 v[91:92], v[91:92], -v[89:90]
.LBB41_97:
	s_or_b64 exec, exec, s[2:3]
	ds_write2_b64 v127, v[89:90], v[91:92] offset1:1
.LBB41_98:
	s_or_b64 exec, exec, s[4:5]
	s_waitcnt lgkmcnt(0)
	s_barrier
	ds_read2_b64 v[85:88], v127 offset1:1
	v_cmp_lt_u32_e32 vcc, 10, v0
	s_waitcnt lgkmcnt(0)
	buffer_store_dword v85, off, s[20:23], 0 offset:344 ; 4-byte Folded Spill
	s_nop 0
	buffer_store_dword v86, off, s[20:23], 0 offset:348 ; 4-byte Folded Spill
	buffer_store_dword v87, off, s[20:23], 0 offset:352 ; 4-byte Folded Spill
	;; [unrolled: 1-line block ×3, first 2 shown]
	s_and_saveexec_b64 s[2:3], vcc
	s_cbranch_execz .LBB41_100
; %bb.99:
	buffer_load_dword v87, off, s[20:23], 0 offset:344 ; 4-byte Folded Reload
	buffer_load_dword v88, off, s[20:23], 0 offset:348 ; 4-byte Folded Reload
	;; [unrolled: 1-line block ×4, first 2 shown]
	s_waitcnt vmcnt(2)
	v_mul_f64 v[85:86], v[87:88], v[39:40]
	s_waitcnt vmcnt(0)
	v_mul_f64 v[39:40], v[89:90], v[39:40]
	v_fma_f64 v[85:86], v[89:90], v[37:38], v[85:86]
	v_fma_f64 v[37:38], v[87:88], v[37:38], -v[39:40]
	ds_read2_b64 v[87:90], v125 offset0:22 offset1:23
	s_waitcnt lgkmcnt(0)
	v_mul_f64 v[39:40], v[89:90], v[85:86]
	v_fma_f64 v[39:40], v[87:88], v[37:38], -v[39:40]
	v_mul_f64 v[87:88], v[87:88], v[85:86]
	v_add_f64 v[33:34], v[33:34], -v[39:40]
	v_fma_f64 v[87:88], v[89:90], v[37:38], v[87:88]
	v_add_f64 v[35:36], v[35:36], -v[87:88]
	ds_read2_b64 v[87:90], v125 offset0:24 offset1:25
	s_waitcnt lgkmcnt(0)
	v_mul_f64 v[39:40], v[89:90], v[85:86]
	v_fma_f64 v[39:40], v[87:88], v[37:38], -v[39:40]
	v_mul_f64 v[87:88], v[87:88], v[85:86]
	v_add_f64 v[29:30], v[29:30], -v[39:40]
	v_fma_f64 v[87:88], v[89:90], v[37:38], v[87:88]
	v_add_f64 v[31:32], v[31:32], -v[87:88]
	;; [unrolled: 8-line block ×9, first 2 shown]
	ds_read2_b64 v[87:90], v125 offset0:40 offset1:41
	s_waitcnt lgkmcnt(0)
	v_mul_f64 v[39:40], v[89:90], v[85:86]
	v_fma_f64 v[39:40], v[87:88], v[37:38], -v[39:40]
	v_mul_f64 v[87:88], v[87:88], v[85:86]
	v_add_f64 v[57:58], v[57:58], -v[39:40]
	v_fma_f64 v[87:88], v[89:90], v[37:38], v[87:88]
	v_mov_b32_e32 v39, v85
	v_mov_b32_e32 v40, v86
	v_add_f64 v[59:60], v[59:60], -v[87:88]
.LBB41_100:
	s_or_b64 exec, exec, s[2:3]
	v_cmp_eq_u32_e32 vcc, 11, v0
	s_waitcnt vmcnt(0)
	s_barrier
	s_and_saveexec_b64 s[4:5], vcc
	s_cbranch_execz .LBB41_107
; %bb.101:
	ds_write2_b64 v127, v[33:34], v[35:36] offset1:1
	ds_write2_b64 v125, v[29:30], v[31:32] offset0:24 offset1:25
	ds_write2_b64 v125, v[25:26], v[27:28] offset0:26 offset1:27
	;; [unrolled: 1-line block ×9, first 2 shown]
	ds_read2_b64 v[85:88], v127 offset1:1
	s_waitcnt lgkmcnt(0)
	v_cmp_neq_f64_e32 vcc, 0, v[85:86]
	v_cmp_neq_f64_e64 s[2:3], 0, v[87:88]
	s_or_b64 s[2:3], vcc, s[2:3]
	s_and_b64 exec, exec, s[2:3]
	s_cbranch_execz .LBB41_107
; %bb.102:
	v_cmp_ngt_f64_e64 s[2:3], |v[85:86]|, |v[87:88]|
                                        ; implicit-def: $vgpr89_vgpr90
	s_and_saveexec_b64 s[6:7], s[2:3]
	s_xor_b64 s[2:3], exec, s[6:7]
                                        ; implicit-def: $vgpr91_vgpr92
	s_cbranch_execz .LBB41_104
; %bb.103:
	v_div_scale_f64 v[89:90], s[6:7], v[87:88], v[87:88], v[85:86]
	v_rcp_f64_e32 v[91:92], v[89:90]
	v_fma_f64 v[93:94], -v[89:90], v[91:92], 1.0
	v_fma_f64 v[91:92], v[91:92], v[93:94], v[91:92]
	v_div_scale_f64 v[93:94], vcc, v[85:86], v[87:88], v[85:86]
	v_fma_f64 v[95:96], -v[89:90], v[91:92], 1.0
	v_fma_f64 v[91:92], v[91:92], v[95:96], v[91:92]
	v_mul_f64 v[95:96], v[93:94], v[91:92]
	v_fma_f64 v[89:90], -v[89:90], v[95:96], v[93:94]
	v_div_fmas_f64 v[89:90], v[89:90], v[91:92], v[95:96]
	v_div_fixup_f64 v[89:90], v[89:90], v[87:88], v[85:86]
	v_fma_f64 v[85:86], v[85:86], v[89:90], v[87:88]
	v_div_scale_f64 v[87:88], s[6:7], v[85:86], v[85:86], 1.0
	v_div_scale_f64 v[95:96], vcc, 1.0, v[85:86], 1.0
	v_rcp_f64_e32 v[91:92], v[87:88]
	v_fma_f64 v[93:94], -v[87:88], v[91:92], 1.0
	v_fma_f64 v[91:92], v[91:92], v[93:94], v[91:92]
	v_fma_f64 v[93:94], -v[87:88], v[91:92], 1.0
	v_fma_f64 v[91:92], v[91:92], v[93:94], v[91:92]
	v_mul_f64 v[93:94], v[95:96], v[91:92]
	v_fma_f64 v[87:88], -v[87:88], v[93:94], v[95:96]
	v_div_fmas_f64 v[87:88], v[87:88], v[91:92], v[93:94]
	v_div_fixup_f64 v[91:92], v[87:88], v[85:86], 1.0
                                        ; implicit-def: $vgpr85_vgpr86
	v_mul_f64 v[89:90], v[89:90], v[91:92]
	v_xor_b32_e32 v92, 0x80000000, v92
.LBB41_104:
	s_andn2_saveexec_b64 s[2:3], s[2:3]
	s_cbranch_execz .LBB41_106
; %bb.105:
	v_div_scale_f64 v[89:90], s[6:7], v[85:86], v[85:86], v[87:88]
	v_rcp_f64_e32 v[91:92], v[89:90]
	v_fma_f64 v[93:94], -v[89:90], v[91:92], 1.0
	v_fma_f64 v[91:92], v[91:92], v[93:94], v[91:92]
	v_div_scale_f64 v[93:94], vcc, v[87:88], v[85:86], v[87:88]
	v_fma_f64 v[95:96], -v[89:90], v[91:92], 1.0
	v_fma_f64 v[91:92], v[91:92], v[95:96], v[91:92]
	v_mul_f64 v[95:96], v[93:94], v[91:92]
	v_fma_f64 v[89:90], -v[89:90], v[95:96], v[93:94]
	v_div_fmas_f64 v[89:90], v[89:90], v[91:92], v[95:96]
	v_div_fixup_f64 v[91:92], v[89:90], v[85:86], v[87:88]
	v_fma_f64 v[85:86], v[87:88], v[91:92], v[85:86]
	v_div_scale_f64 v[87:88], s[6:7], v[85:86], v[85:86], 1.0
	v_div_scale_f64 v[95:96], vcc, 1.0, v[85:86], 1.0
	v_rcp_f64_e32 v[89:90], v[87:88]
	v_fma_f64 v[93:94], -v[87:88], v[89:90], 1.0
	v_fma_f64 v[89:90], v[89:90], v[93:94], v[89:90]
	v_fma_f64 v[93:94], -v[87:88], v[89:90], 1.0
	v_fma_f64 v[89:90], v[89:90], v[93:94], v[89:90]
	v_mul_f64 v[93:94], v[95:96], v[89:90]
	v_fma_f64 v[87:88], -v[87:88], v[93:94], v[95:96]
	v_div_fmas_f64 v[87:88], v[87:88], v[89:90], v[93:94]
	v_div_fixup_f64 v[89:90], v[87:88], v[85:86], 1.0
	v_mul_f64 v[91:92], v[91:92], -v[89:90]
.LBB41_106:
	s_or_b64 exec, exec, s[2:3]
	ds_write2_b64 v127, v[89:90], v[91:92] offset1:1
.LBB41_107:
	s_or_b64 exec, exec, s[4:5]
	s_waitcnt lgkmcnt(0)
	s_barrier
	ds_read2_b64 v[85:88], v127 offset1:1
	v_cmp_lt_u32_e32 vcc, 11, v0
	s_waitcnt lgkmcnt(0)
	buffer_store_dword v85, off, s[20:23], 0 offset:360 ; 4-byte Folded Spill
	s_nop 0
	buffer_store_dword v86, off, s[20:23], 0 offset:364 ; 4-byte Folded Spill
	buffer_store_dword v87, off, s[20:23], 0 offset:368 ; 4-byte Folded Spill
	;; [unrolled: 1-line block ×3, first 2 shown]
	s_and_saveexec_b64 s[2:3], vcc
	s_cbranch_execz .LBB41_109
; %bb.108:
	buffer_load_dword v87, off, s[20:23], 0 offset:360 ; 4-byte Folded Reload
	buffer_load_dword v88, off, s[20:23], 0 offset:364 ; 4-byte Folded Reload
	;; [unrolled: 1-line block ×4, first 2 shown]
	ds_read2_b64 v[93:96], v125 offset0:24 offset1:25
	s_waitcnt vmcnt(2)
	v_mul_f64 v[85:86], v[87:88], v[35:36]
	s_waitcnt vmcnt(0)
	v_mul_f64 v[35:36], v[89:90], v[35:36]
	v_fma_f64 v[85:86], v[89:90], v[33:34], v[85:86]
	v_fma_f64 v[33:34], v[87:88], v[33:34], -v[35:36]
	s_waitcnt lgkmcnt(0)
	v_mul_f64 v[35:36], v[95:96], v[85:86]
	v_mul_f64 v[87:88], v[93:94], v[85:86]
	v_fma_f64 v[35:36], v[93:94], v[33:34], -v[35:36]
	v_fma_f64 v[87:88], v[95:96], v[33:34], v[87:88]
	ds_read2_b64 v[93:96], v125 offset0:26 offset1:27
	v_add_f64 v[29:30], v[29:30], -v[35:36]
	v_add_f64 v[31:32], v[31:32], -v[87:88]
	s_waitcnt lgkmcnt(0)
	v_mul_f64 v[35:36], v[95:96], v[85:86]
	v_mul_f64 v[87:88], v[93:94], v[85:86]
	v_fma_f64 v[35:36], v[93:94], v[33:34], -v[35:36]
	v_fma_f64 v[87:88], v[95:96], v[33:34], v[87:88]
	ds_read2_b64 v[93:96], v125 offset0:28 offset1:29
	v_add_f64 v[25:26], v[25:26], -v[35:36]
	v_add_f64 v[27:28], v[27:28], -v[87:88]
	;; [unrolled: 8-line block ×8, first 2 shown]
	s_waitcnt lgkmcnt(0)
	v_mul_f64 v[35:36], v[95:96], v[85:86]
	v_mul_f64 v[87:88], v[93:94], v[85:86]
	v_fma_f64 v[35:36], v[93:94], v[33:34], -v[35:36]
	v_fma_f64 v[87:88], v[95:96], v[33:34], v[87:88]
	v_add_f64 v[57:58], v[57:58], -v[35:36]
	v_add_f64 v[59:60], v[59:60], -v[87:88]
	v_mov_b32_e32 v35, v85
	v_mov_b32_e32 v36, v86
.LBB41_109:
	s_or_b64 exec, exec, s[2:3]
	v_cmp_eq_u32_e32 vcc, 12, v0
	s_waitcnt vmcnt(0)
	s_barrier
	s_and_saveexec_b64 s[4:5], vcc
	s_cbranch_execz .LBB41_116
; %bb.110:
	ds_write2_b64 v127, v[29:30], v[31:32] offset1:1
	ds_write2_b64 v125, v[25:26], v[27:28] offset0:26 offset1:27
	ds_write2_b64 v125, v[21:22], v[23:24] offset0:28 offset1:29
	ds_write2_b64 v125, v[17:18], v[19:20] offset0:30 offset1:31
	ds_write2_b64 v125, v[13:14], v[15:16] offset0:32 offset1:33
	ds_write2_b64 v125, v[9:10], v[11:12] offset0:34 offset1:35
	ds_write2_b64 v125, v[5:6], v[7:8] offset0:36 offset1:37
	ds_write2_b64 v125, v[1:2], v[3:4] offset0:38 offset1:39
	ds_write2_b64 v125, v[57:58], v[59:60] offset0:40 offset1:41
	ds_read2_b64 v[85:88], v127 offset1:1
	s_waitcnt lgkmcnt(0)
	v_cmp_neq_f64_e32 vcc, 0, v[85:86]
	v_cmp_neq_f64_e64 s[2:3], 0, v[87:88]
	s_or_b64 s[2:3], vcc, s[2:3]
	s_and_b64 exec, exec, s[2:3]
	s_cbranch_execz .LBB41_116
; %bb.111:
	v_cmp_ngt_f64_e64 s[2:3], |v[85:86]|, |v[87:88]|
                                        ; implicit-def: $vgpr93_vgpr94
	s_and_saveexec_b64 s[6:7], s[2:3]
	s_xor_b64 s[2:3], exec, s[6:7]
                                        ; implicit-def: $vgpr95_vgpr96
	s_cbranch_execz .LBB41_113
; %bb.112:
	v_div_scale_f64 v[93:94], s[6:7], v[87:88], v[87:88], v[85:86]
	v_rcp_f64_e32 v[95:96], v[93:94]
	v_fma_f64 v[97:98], -v[93:94], v[95:96], 1.0
	v_fma_f64 v[95:96], v[95:96], v[97:98], v[95:96]
	v_div_scale_f64 v[97:98], vcc, v[85:86], v[87:88], v[85:86]
	v_fma_f64 v[99:100], -v[93:94], v[95:96], 1.0
	v_fma_f64 v[95:96], v[95:96], v[99:100], v[95:96]
	v_mul_f64 v[99:100], v[97:98], v[95:96]
	v_fma_f64 v[93:94], -v[93:94], v[99:100], v[97:98]
	v_div_fmas_f64 v[93:94], v[93:94], v[95:96], v[99:100]
	v_div_fixup_f64 v[93:94], v[93:94], v[87:88], v[85:86]
	v_fma_f64 v[85:86], v[85:86], v[93:94], v[87:88]
	v_div_scale_f64 v[87:88], s[6:7], v[85:86], v[85:86], 1.0
	v_div_scale_f64 v[99:100], vcc, 1.0, v[85:86], 1.0
	v_rcp_f64_e32 v[95:96], v[87:88]
	v_fma_f64 v[97:98], -v[87:88], v[95:96], 1.0
	v_fma_f64 v[95:96], v[95:96], v[97:98], v[95:96]
	v_fma_f64 v[97:98], -v[87:88], v[95:96], 1.0
	v_fma_f64 v[95:96], v[95:96], v[97:98], v[95:96]
	v_mul_f64 v[97:98], v[99:100], v[95:96]
	v_fma_f64 v[87:88], -v[87:88], v[97:98], v[99:100]
	v_div_fmas_f64 v[87:88], v[87:88], v[95:96], v[97:98]
	v_div_fixup_f64 v[95:96], v[87:88], v[85:86], 1.0
                                        ; implicit-def: $vgpr85_vgpr86
	v_mul_f64 v[93:94], v[93:94], v[95:96]
	v_xor_b32_e32 v96, 0x80000000, v96
.LBB41_113:
	s_andn2_saveexec_b64 s[2:3], s[2:3]
	s_cbranch_execz .LBB41_115
; %bb.114:
	v_div_scale_f64 v[93:94], s[6:7], v[85:86], v[85:86], v[87:88]
	v_rcp_f64_e32 v[95:96], v[93:94]
	v_fma_f64 v[97:98], -v[93:94], v[95:96], 1.0
	v_fma_f64 v[95:96], v[95:96], v[97:98], v[95:96]
	v_div_scale_f64 v[97:98], vcc, v[87:88], v[85:86], v[87:88]
	v_fma_f64 v[99:100], -v[93:94], v[95:96], 1.0
	v_fma_f64 v[95:96], v[95:96], v[99:100], v[95:96]
	v_mul_f64 v[99:100], v[97:98], v[95:96]
	v_fma_f64 v[93:94], -v[93:94], v[99:100], v[97:98]
	v_div_fmas_f64 v[93:94], v[93:94], v[95:96], v[99:100]
	v_div_fixup_f64 v[95:96], v[93:94], v[85:86], v[87:88]
	v_fma_f64 v[85:86], v[87:88], v[95:96], v[85:86]
	v_div_scale_f64 v[87:88], s[6:7], v[85:86], v[85:86], 1.0
	v_div_scale_f64 v[99:100], vcc, 1.0, v[85:86], 1.0
	v_rcp_f64_e32 v[93:94], v[87:88]
	v_fma_f64 v[97:98], -v[87:88], v[93:94], 1.0
	v_fma_f64 v[93:94], v[93:94], v[97:98], v[93:94]
	v_fma_f64 v[97:98], -v[87:88], v[93:94], 1.0
	v_fma_f64 v[93:94], v[93:94], v[97:98], v[93:94]
	v_mul_f64 v[97:98], v[99:100], v[93:94]
	v_fma_f64 v[87:88], -v[87:88], v[97:98], v[99:100]
	v_div_fmas_f64 v[87:88], v[87:88], v[93:94], v[97:98]
	v_div_fixup_f64 v[93:94], v[87:88], v[85:86], 1.0
	v_mul_f64 v[95:96], v[95:96], -v[93:94]
.LBB41_115:
	s_or_b64 exec, exec, s[2:3]
	ds_write2_b64 v127, v[93:94], v[95:96] offset1:1
.LBB41_116:
	s_or_b64 exec, exec, s[4:5]
	s_waitcnt lgkmcnt(0)
	s_barrier
	ds_read2_b64 v[93:96], v127 offset1:1
	v_cmp_lt_u32_e32 vcc, 12, v0
	s_and_saveexec_b64 s[2:3], vcc
	s_cbranch_execz .LBB41_118
; %bb.117:
	s_waitcnt lgkmcnt(0)
	v_mul_f64 v[85:86], v[93:94], v[31:32]
	v_mul_f64 v[31:32], v[95:96], v[31:32]
	ds_read2_b64 v[97:100], v125 offset0:26 offset1:27
	v_fma_f64 v[85:86], v[95:96], v[29:30], v[85:86]
	v_fma_f64 v[29:30], v[93:94], v[29:30], -v[31:32]
	s_waitcnt lgkmcnt(0)
	v_mul_f64 v[31:32], v[99:100], v[85:86]
	v_mul_f64 v[87:88], v[97:98], v[85:86]
	v_fma_f64 v[31:32], v[97:98], v[29:30], -v[31:32]
	v_fma_f64 v[87:88], v[99:100], v[29:30], v[87:88]
	ds_read2_b64 v[97:100], v125 offset0:28 offset1:29
	v_add_f64 v[25:26], v[25:26], -v[31:32]
	v_add_f64 v[27:28], v[27:28], -v[87:88]
	s_waitcnt lgkmcnt(0)
	v_mul_f64 v[31:32], v[99:100], v[85:86]
	v_mul_f64 v[87:88], v[97:98], v[85:86]
	v_fma_f64 v[31:32], v[97:98], v[29:30], -v[31:32]
	v_fma_f64 v[87:88], v[99:100], v[29:30], v[87:88]
	ds_read2_b64 v[97:100], v125 offset0:30 offset1:31
	v_add_f64 v[21:22], v[21:22], -v[31:32]
	v_add_f64 v[23:24], v[23:24], -v[87:88]
	;; [unrolled: 8-line block ×7, first 2 shown]
	s_waitcnt lgkmcnt(0)
	v_mul_f64 v[31:32], v[99:100], v[85:86]
	v_mul_f64 v[87:88], v[97:98], v[85:86]
	v_fma_f64 v[31:32], v[97:98], v[29:30], -v[31:32]
	v_fma_f64 v[87:88], v[99:100], v[29:30], v[87:88]
	v_add_f64 v[57:58], v[57:58], -v[31:32]
	v_add_f64 v[59:60], v[59:60], -v[87:88]
	v_mov_b32_e32 v31, v85
	v_mov_b32_e32 v32, v86
.LBB41_118:
	s_or_b64 exec, exec, s[2:3]
	v_cmp_eq_u32_e32 vcc, 13, v0
	s_waitcnt lgkmcnt(0)
	s_barrier
	s_and_saveexec_b64 s[4:5], vcc
	s_cbranch_execz .LBB41_125
; %bb.119:
	ds_write2_b64 v127, v[25:26], v[27:28] offset1:1
	ds_write2_b64 v125, v[21:22], v[23:24] offset0:28 offset1:29
	ds_write2_b64 v125, v[17:18], v[19:20] offset0:30 offset1:31
	ds_write2_b64 v125, v[13:14], v[15:16] offset0:32 offset1:33
	ds_write2_b64 v125, v[9:10], v[11:12] offset0:34 offset1:35
	ds_write2_b64 v125, v[5:6], v[7:8] offset0:36 offset1:37
	ds_write2_b64 v125, v[1:2], v[3:4] offset0:38 offset1:39
	ds_write2_b64 v125, v[57:58], v[59:60] offset0:40 offset1:41
	ds_read2_b64 v[85:88], v127 offset1:1
	s_waitcnt lgkmcnt(0)
	v_cmp_neq_f64_e32 vcc, 0, v[85:86]
	v_cmp_neq_f64_e64 s[2:3], 0, v[87:88]
	s_or_b64 s[2:3], vcc, s[2:3]
	s_and_b64 exec, exec, s[2:3]
	s_cbranch_execz .LBB41_125
; %bb.120:
	v_cmp_ngt_f64_e64 s[2:3], |v[85:86]|, |v[87:88]|
                                        ; implicit-def: $vgpr97_vgpr98
	s_and_saveexec_b64 s[6:7], s[2:3]
	s_xor_b64 s[2:3], exec, s[6:7]
                                        ; implicit-def: $vgpr99_vgpr100
	s_cbranch_execz .LBB41_122
; %bb.121:
	v_div_scale_f64 v[97:98], s[6:7], v[87:88], v[87:88], v[85:86]
	v_rcp_f64_e32 v[99:100], v[97:98]
	v_fma_f64 v[101:102], -v[97:98], v[99:100], 1.0
	v_fma_f64 v[99:100], v[99:100], v[101:102], v[99:100]
	v_div_scale_f64 v[101:102], vcc, v[85:86], v[87:88], v[85:86]
	v_fma_f64 v[103:104], -v[97:98], v[99:100], 1.0
	v_fma_f64 v[99:100], v[99:100], v[103:104], v[99:100]
	v_mul_f64 v[103:104], v[101:102], v[99:100]
	v_fma_f64 v[97:98], -v[97:98], v[103:104], v[101:102]
	v_div_fmas_f64 v[97:98], v[97:98], v[99:100], v[103:104]
	v_div_fixup_f64 v[97:98], v[97:98], v[87:88], v[85:86]
	v_fma_f64 v[85:86], v[85:86], v[97:98], v[87:88]
	v_div_scale_f64 v[87:88], s[6:7], v[85:86], v[85:86], 1.0
	v_div_scale_f64 v[103:104], vcc, 1.0, v[85:86], 1.0
	v_rcp_f64_e32 v[99:100], v[87:88]
	v_fma_f64 v[101:102], -v[87:88], v[99:100], 1.0
	v_fma_f64 v[99:100], v[99:100], v[101:102], v[99:100]
	v_fma_f64 v[101:102], -v[87:88], v[99:100], 1.0
	v_fma_f64 v[99:100], v[99:100], v[101:102], v[99:100]
	v_mul_f64 v[101:102], v[103:104], v[99:100]
	v_fma_f64 v[87:88], -v[87:88], v[101:102], v[103:104]
	v_div_fmas_f64 v[87:88], v[87:88], v[99:100], v[101:102]
	v_div_fixup_f64 v[99:100], v[87:88], v[85:86], 1.0
                                        ; implicit-def: $vgpr85_vgpr86
	v_mul_f64 v[97:98], v[97:98], v[99:100]
	v_xor_b32_e32 v100, 0x80000000, v100
.LBB41_122:
	s_andn2_saveexec_b64 s[2:3], s[2:3]
	s_cbranch_execz .LBB41_124
; %bb.123:
	v_div_scale_f64 v[97:98], s[6:7], v[85:86], v[85:86], v[87:88]
	v_rcp_f64_e32 v[99:100], v[97:98]
	v_fma_f64 v[101:102], -v[97:98], v[99:100], 1.0
	v_fma_f64 v[99:100], v[99:100], v[101:102], v[99:100]
	v_div_scale_f64 v[101:102], vcc, v[87:88], v[85:86], v[87:88]
	v_fma_f64 v[103:104], -v[97:98], v[99:100], 1.0
	v_fma_f64 v[99:100], v[99:100], v[103:104], v[99:100]
	v_mul_f64 v[103:104], v[101:102], v[99:100]
	v_fma_f64 v[97:98], -v[97:98], v[103:104], v[101:102]
	v_div_fmas_f64 v[97:98], v[97:98], v[99:100], v[103:104]
	v_div_fixup_f64 v[99:100], v[97:98], v[85:86], v[87:88]
	v_fma_f64 v[85:86], v[87:88], v[99:100], v[85:86]
	v_div_scale_f64 v[87:88], s[6:7], v[85:86], v[85:86], 1.0
	v_div_scale_f64 v[103:104], vcc, 1.0, v[85:86], 1.0
	v_rcp_f64_e32 v[97:98], v[87:88]
	v_fma_f64 v[101:102], -v[87:88], v[97:98], 1.0
	v_fma_f64 v[97:98], v[97:98], v[101:102], v[97:98]
	v_fma_f64 v[101:102], -v[87:88], v[97:98], 1.0
	v_fma_f64 v[97:98], v[97:98], v[101:102], v[97:98]
	v_mul_f64 v[101:102], v[103:104], v[97:98]
	v_fma_f64 v[87:88], -v[87:88], v[101:102], v[103:104]
	v_div_fmas_f64 v[87:88], v[87:88], v[97:98], v[101:102]
	v_div_fixup_f64 v[97:98], v[87:88], v[85:86], 1.0
	v_mul_f64 v[99:100], v[99:100], -v[97:98]
.LBB41_124:
	s_or_b64 exec, exec, s[2:3]
	ds_write2_b64 v127, v[97:98], v[99:100] offset1:1
.LBB41_125:
	s_or_b64 exec, exec, s[4:5]
	s_waitcnt lgkmcnt(0)
	s_barrier
	ds_read2_b64 v[81:84], v127 offset1:1
	v_cmp_lt_u32_e32 vcc, 13, v0
	s_and_saveexec_b64 s[2:3], vcc
	s_cbranch_execz .LBB41_127
; %bb.126:
	s_waitcnt lgkmcnt(0)
	v_mul_f64 v[85:86], v[81:82], v[27:28]
	v_mul_f64 v[27:28], v[83:84], v[27:28]
	ds_read2_b64 v[101:104], v125 offset0:28 offset1:29
	v_fma_f64 v[85:86], v[83:84], v[25:26], v[85:86]
	v_fma_f64 v[25:26], v[81:82], v[25:26], -v[27:28]
	s_waitcnt lgkmcnt(0)
	v_mul_f64 v[27:28], v[103:104], v[85:86]
	v_mul_f64 v[87:88], v[101:102], v[85:86]
	v_fma_f64 v[27:28], v[101:102], v[25:26], -v[27:28]
	v_fma_f64 v[87:88], v[103:104], v[25:26], v[87:88]
	ds_read2_b64 v[101:104], v125 offset0:30 offset1:31
	v_add_f64 v[21:22], v[21:22], -v[27:28]
	v_add_f64 v[23:24], v[23:24], -v[87:88]
	s_waitcnt lgkmcnt(0)
	v_mul_f64 v[27:28], v[103:104], v[85:86]
	v_mul_f64 v[87:88], v[101:102], v[85:86]
	v_fma_f64 v[27:28], v[101:102], v[25:26], -v[27:28]
	v_fma_f64 v[87:88], v[103:104], v[25:26], v[87:88]
	ds_read2_b64 v[101:104], v125 offset0:32 offset1:33
	v_add_f64 v[17:18], v[17:18], -v[27:28]
	v_add_f64 v[19:20], v[19:20], -v[87:88]
	s_waitcnt lgkmcnt(0)
	v_mul_f64 v[27:28], v[103:104], v[85:86]
	v_mul_f64 v[87:88], v[101:102], v[85:86]
	v_fma_f64 v[27:28], v[101:102], v[25:26], -v[27:28]
	v_fma_f64 v[87:88], v[103:104], v[25:26], v[87:88]
	ds_read2_b64 v[101:104], v125 offset0:34 offset1:35
	v_add_f64 v[13:14], v[13:14], -v[27:28]
	v_add_f64 v[15:16], v[15:16], -v[87:88]
	s_waitcnt lgkmcnt(0)
	v_mul_f64 v[27:28], v[103:104], v[85:86]
	v_mul_f64 v[87:88], v[101:102], v[85:86]
	v_fma_f64 v[27:28], v[101:102], v[25:26], -v[27:28]
	v_fma_f64 v[87:88], v[103:104], v[25:26], v[87:88]
	ds_read2_b64 v[101:104], v125 offset0:36 offset1:37
	v_add_f64 v[9:10], v[9:10], -v[27:28]
	v_add_f64 v[11:12], v[11:12], -v[87:88]
	s_waitcnt lgkmcnt(0)
	v_mul_f64 v[27:28], v[103:104], v[85:86]
	v_mul_f64 v[87:88], v[101:102], v[85:86]
	v_fma_f64 v[27:28], v[101:102], v[25:26], -v[27:28]
	v_fma_f64 v[87:88], v[103:104], v[25:26], v[87:88]
	ds_read2_b64 v[101:104], v125 offset0:38 offset1:39
	v_add_f64 v[5:6], v[5:6], -v[27:28]
	v_add_f64 v[7:8], v[7:8], -v[87:88]
	s_waitcnt lgkmcnt(0)
	v_mul_f64 v[27:28], v[103:104], v[85:86]
	v_mul_f64 v[87:88], v[101:102], v[85:86]
	v_fma_f64 v[27:28], v[101:102], v[25:26], -v[27:28]
	v_fma_f64 v[87:88], v[103:104], v[25:26], v[87:88]
	ds_read2_b64 v[101:104], v125 offset0:40 offset1:41
	v_add_f64 v[1:2], v[1:2], -v[27:28]
	v_add_f64 v[3:4], v[3:4], -v[87:88]
	s_waitcnt lgkmcnt(0)
	v_mul_f64 v[27:28], v[103:104], v[85:86]
	v_mul_f64 v[87:88], v[101:102], v[85:86]
	v_fma_f64 v[27:28], v[101:102], v[25:26], -v[27:28]
	v_fma_f64 v[87:88], v[103:104], v[25:26], v[87:88]
	v_add_f64 v[57:58], v[57:58], -v[27:28]
	v_add_f64 v[59:60], v[59:60], -v[87:88]
	v_mov_b32_e32 v27, v85
	v_mov_b32_e32 v28, v86
.LBB41_127:
	s_or_b64 exec, exec, s[2:3]
	v_cmp_eq_u32_e32 vcc, 14, v0
	s_waitcnt lgkmcnt(0)
	s_barrier
	s_and_saveexec_b64 s[4:5], vcc
	s_cbranch_execz .LBB41_134
; %bb.128:
	ds_write2_b64 v127, v[21:22], v[23:24] offset1:1
	ds_write2_b64 v125, v[17:18], v[19:20] offset0:30 offset1:31
	ds_write2_b64 v125, v[13:14], v[15:16] offset0:32 offset1:33
	;; [unrolled: 1-line block ×6, first 2 shown]
	ds_read2_b64 v[85:88], v127 offset1:1
	s_waitcnt lgkmcnt(0)
	v_cmp_neq_f64_e32 vcc, 0, v[85:86]
	v_cmp_neq_f64_e64 s[2:3], 0, v[87:88]
	s_or_b64 s[2:3], vcc, s[2:3]
	s_and_b64 exec, exec, s[2:3]
	s_cbranch_execz .LBB41_134
; %bb.129:
	v_cmp_ngt_f64_e64 s[2:3], |v[85:86]|, |v[87:88]|
                                        ; implicit-def: $vgpr101_vgpr102
	s_and_saveexec_b64 s[6:7], s[2:3]
	s_xor_b64 s[2:3], exec, s[6:7]
                                        ; implicit-def: $vgpr103_vgpr104
	s_cbranch_execz .LBB41_131
; %bb.130:
	v_div_scale_f64 v[101:102], s[6:7], v[87:88], v[87:88], v[85:86]
	v_rcp_f64_e32 v[103:104], v[101:102]
	v_fma_f64 v[105:106], -v[101:102], v[103:104], 1.0
	v_fma_f64 v[103:104], v[103:104], v[105:106], v[103:104]
	v_div_scale_f64 v[105:106], vcc, v[85:86], v[87:88], v[85:86]
	v_fma_f64 v[107:108], -v[101:102], v[103:104], 1.0
	v_fma_f64 v[103:104], v[103:104], v[107:108], v[103:104]
	v_mul_f64 v[107:108], v[105:106], v[103:104]
	v_fma_f64 v[101:102], -v[101:102], v[107:108], v[105:106]
	v_div_fmas_f64 v[101:102], v[101:102], v[103:104], v[107:108]
	v_div_fixup_f64 v[101:102], v[101:102], v[87:88], v[85:86]
	v_fma_f64 v[85:86], v[85:86], v[101:102], v[87:88]
	v_div_scale_f64 v[87:88], s[6:7], v[85:86], v[85:86], 1.0
	v_div_scale_f64 v[107:108], vcc, 1.0, v[85:86], 1.0
	v_rcp_f64_e32 v[103:104], v[87:88]
	v_fma_f64 v[105:106], -v[87:88], v[103:104], 1.0
	v_fma_f64 v[103:104], v[103:104], v[105:106], v[103:104]
	v_fma_f64 v[105:106], -v[87:88], v[103:104], 1.0
	v_fma_f64 v[103:104], v[103:104], v[105:106], v[103:104]
	v_mul_f64 v[105:106], v[107:108], v[103:104]
	v_fma_f64 v[87:88], -v[87:88], v[105:106], v[107:108]
	v_div_fmas_f64 v[87:88], v[87:88], v[103:104], v[105:106]
	v_div_fixup_f64 v[103:104], v[87:88], v[85:86], 1.0
                                        ; implicit-def: $vgpr85_vgpr86
	v_mul_f64 v[101:102], v[101:102], v[103:104]
	v_xor_b32_e32 v104, 0x80000000, v104
.LBB41_131:
	s_andn2_saveexec_b64 s[2:3], s[2:3]
	s_cbranch_execz .LBB41_133
; %bb.132:
	v_div_scale_f64 v[101:102], s[6:7], v[85:86], v[85:86], v[87:88]
	v_rcp_f64_e32 v[103:104], v[101:102]
	v_fma_f64 v[105:106], -v[101:102], v[103:104], 1.0
	v_fma_f64 v[103:104], v[103:104], v[105:106], v[103:104]
	v_div_scale_f64 v[105:106], vcc, v[87:88], v[85:86], v[87:88]
	v_fma_f64 v[107:108], -v[101:102], v[103:104], 1.0
	v_fma_f64 v[103:104], v[103:104], v[107:108], v[103:104]
	v_mul_f64 v[107:108], v[105:106], v[103:104]
	v_fma_f64 v[101:102], -v[101:102], v[107:108], v[105:106]
	v_div_fmas_f64 v[101:102], v[101:102], v[103:104], v[107:108]
	v_div_fixup_f64 v[103:104], v[101:102], v[85:86], v[87:88]
	v_fma_f64 v[85:86], v[87:88], v[103:104], v[85:86]
	v_div_scale_f64 v[87:88], s[6:7], v[85:86], v[85:86], 1.0
	v_div_scale_f64 v[107:108], vcc, 1.0, v[85:86], 1.0
	v_rcp_f64_e32 v[101:102], v[87:88]
	v_fma_f64 v[105:106], -v[87:88], v[101:102], 1.0
	v_fma_f64 v[101:102], v[101:102], v[105:106], v[101:102]
	v_fma_f64 v[105:106], -v[87:88], v[101:102], 1.0
	v_fma_f64 v[101:102], v[101:102], v[105:106], v[101:102]
	v_mul_f64 v[105:106], v[107:108], v[101:102]
	v_fma_f64 v[87:88], -v[87:88], v[105:106], v[107:108]
	v_div_fmas_f64 v[87:88], v[87:88], v[101:102], v[105:106]
	v_div_fixup_f64 v[101:102], v[87:88], v[85:86], 1.0
	v_mul_f64 v[103:104], v[103:104], -v[101:102]
.LBB41_133:
	s_or_b64 exec, exec, s[2:3]
	ds_write2_b64 v127, v[101:102], v[103:104] offset1:1
.LBB41_134:
	s_or_b64 exec, exec, s[4:5]
	s_waitcnt lgkmcnt(0)
	s_barrier
	ds_read2_b64 v[101:104], v127 offset1:1
	v_cmp_lt_u32_e32 vcc, 14, v0
	s_and_saveexec_b64 s[2:3], vcc
	s_cbranch_execz .LBB41_136
; %bb.135:
	s_waitcnt lgkmcnt(0)
	v_mul_f64 v[85:86], v[101:102], v[23:24]
	v_mul_f64 v[23:24], v[103:104], v[23:24]
	ds_read2_b64 v[105:108], v125 offset0:30 offset1:31
	v_fma_f64 v[85:86], v[103:104], v[21:22], v[85:86]
	v_fma_f64 v[21:22], v[101:102], v[21:22], -v[23:24]
	s_waitcnt lgkmcnt(0)
	v_mul_f64 v[23:24], v[107:108], v[85:86]
	v_mul_f64 v[87:88], v[105:106], v[85:86]
	v_fma_f64 v[23:24], v[105:106], v[21:22], -v[23:24]
	v_fma_f64 v[87:88], v[107:108], v[21:22], v[87:88]
	ds_read2_b64 v[105:108], v125 offset0:32 offset1:33
	v_add_f64 v[17:18], v[17:18], -v[23:24]
	v_add_f64 v[19:20], v[19:20], -v[87:88]
	s_waitcnt lgkmcnt(0)
	v_mul_f64 v[23:24], v[107:108], v[85:86]
	v_mul_f64 v[87:88], v[105:106], v[85:86]
	v_fma_f64 v[23:24], v[105:106], v[21:22], -v[23:24]
	v_fma_f64 v[87:88], v[107:108], v[21:22], v[87:88]
	ds_read2_b64 v[105:108], v125 offset0:34 offset1:35
	v_add_f64 v[13:14], v[13:14], -v[23:24]
	v_add_f64 v[15:16], v[15:16], -v[87:88]
	;; [unrolled: 8-line block ×5, first 2 shown]
	s_waitcnt lgkmcnt(0)
	v_mul_f64 v[23:24], v[107:108], v[85:86]
	v_mul_f64 v[87:88], v[105:106], v[85:86]
	v_fma_f64 v[23:24], v[105:106], v[21:22], -v[23:24]
	v_fma_f64 v[87:88], v[107:108], v[21:22], v[87:88]
	v_add_f64 v[57:58], v[57:58], -v[23:24]
	v_add_f64 v[59:60], v[59:60], -v[87:88]
	v_mov_b32_e32 v23, v85
	v_mov_b32_e32 v24, v86
.LBB41_136:
	s_or_b64 exec, exec, s[2:3]
	v_cmp_eq_u32_e32 vcc, 15, v0
	s_waitcnt lgkmcnt(0)
	s_barrier
	s_and_saveexec_b64 s[4:5], vcc
	s_cbranch_execz .LBB41_143
; %bb.137:
	ds_write2_b64 v127, v[17:18], v[19:20] offset1:1
	ds_write2_b64 v125, v[13:14], v[15:16] offset0:32 offset1:33
	ds_write2_b64 v125, v[9:10], v[11:12] offset0:34 offset1:35
	;; [unrolled: 1-line block ×5, first 2 shown]
	ds_read2_b64 v[85:88], v127 offset1:1
	s_waitcnt lgkmcnt(0)
	v_cmp_neq_f64_e32 vcc, 0, v[85:86]
	v_cmp_neq_f64_e64 s[2:3], 0, v[87:88]
	s_or_b64 s[2:3], vcc, s[2:3]
	s_and_b64 exec, exec, s[2:3]
	s_cbranch_execz .LBB41_143
; %bb.138:
	v_cmp_ngt_f64_e64 s[2:3], |v[85:86]|, |v[87:88]|
                                        ; implicit-def: $vgpr105_vgpr106
	s_and_saveexec_b64 s[6:7], s[2:3]
	s_xor_b64 s[2:3], exec, s[6:7]
                                        ; implicit-def: $vgpr107_vgpr108
	s_cbranch_execz .LBB41_140
; %bb.139:
	v_div_scale_f64 v[105:106], s[6:7], v[87:88], v[87:88], v[85:86]
	v_rcp_f64_e32 v[107:108], v[105:106]
	v_fma_f64 v[109:110], -v[105:106], v[107:108], 1.0
	v_fma_f64 v[107:108], v[107:108], v[109:110], v[107:108]
	v_div_scale_f64 v[109:110], vcc, v[85:86], v[87:88], v[85:86]
	v_fma_f64 v[111:112], -v[105:106], v[107:108], 1.0
	v_fma_f64 v[107:108], v[107:108], v[111:112], v[107:108]
	v_mul_f64 v[111:112], v[109:110], v[107:108]
	v_fma_f64 v[105:106], -v[105:106], v[111:112], v[109:110]
	v_div_fmas_f64 v[105:106], v[105:106], v[107:108], v[111:112]
	v_div_fixup_f64 v[105:106], v[105:106], v[87:88], v[85:86]
	v_fma_f64 v[85:86], v[85:86], v[105:106], v[87:88]
	v_div_scale_f64 v[87:88], s[6:7], v[85:86], v[85:86], 1.0
	v_div_scale_f64 v[111:112], vcc, 1.0, v[85:86], 1.0
	v_rcp_f64_e32 v[107:108], v[87:88]
	v_fma_f64 v[109:110], -v[87:88], v[107:108], 1.0
	v_fma_f64 v[107:108], v[107:108], v[109:110], v[107:108]
	v_fma_f64 v[109:110], -v[87:88], v[107:108], 1.0
	v_fma_f64 v[107:108], v[107:108], v[109:110], v[107:108]
	v_mul_f64 v[109:110], v[111:112], v[107:108]
	v_fma_f64 v[87:88], -v[87:88], v[109:110], v[111:112]
	v_div_fmas_f64 v[87:88], v[87:88], v[107:108], v[109:110]
	v_div_fixup_f64 v[107:108], v[87:88], v[85:86], 1.0
                                        ; implicit-def: $vgpr85_vgpr86
	v_mul_f64 v[105:106], v[105:106], v[107:108]
	v_xor_b32_e32 v108, 0x80000000, v108
.LBB41_140:
	s_andn2_saveexec_b64 s[2:3], s[2:3]
	s_cbranch_execz .LBB41_142
; %bb.141:
	v_div_scale_f64 v[105:106], s[6:7], v[85:86], v[85:86], v[87:88]
	v_rcp_f64_e32 v[107:108], v[105:106]
	v_fma_f64 v[109:110], -v[105:106], v[107:108], 1.0
	v_fma_f64 v[107:108], v[107:108], v[109:110], v[107:108]
	v_div_scale_f64 v[109:110], vcc, v[87:88], v[85:86], v[87:88]
	v_fma_f64 v[111:112], -v[105:106], v[107:108], 1.0
	v_fma_f64 v[107:108], v[107:108], v[111:112], v[107:108]
	v_mul_f64 v[111:112], v[109:110], v[107:108]
	v_fma_f64 v[105:106], -v[105:106], v[111:112], v[109:110]
	v_div_fmas_f64 v[105:106], v[105:106], v[107:108], v[111:112]
	v_div_fixup_f64 v[107:108], v[105:106], v[85:86], v[87:88]
	v_fma_f64 v[85:86], v[87:88], v[107:108], v[85:86]
	v_div_scale_f64 v[87:88], s[6:7], v[85:86], v[85:86], 1.0
	v_div_scale_f64 v[111:112], vcc, 1.0, v[85:86], 1.0
	v_rcp_f64_e32 v[105:106], v[87:88]
	v_fma_f64 v[109:110], -v[87:88], v[105:106], 1.0
	v_fma_f64 v[105:106], v[105:106], v[109:110], v[105:106]
	v_fma_f64 v[109:110], -v[87:88], v[105:106], 1.0
	v_fma_f64 v[105:106], v[105:106], v[109:110], v[105:106]
	v_mul_f64 v[109:110], v[111:112], v[105:106]
	v_fma_f64 v[87:88], -v[87:88], v[109:110], v[111:112]
	v_div_fmas_f64 v[87:88], v[87:88], v[105:106], v[109:110]
	v_div_fixup_f64 v[105:106], v[87:88], v[85:86], 1.0
	v_mul_f64 v[107:108], v[107:108], -v[105:106]
.LBB41_142:
	s_or_b64 exec, exec, s[2:3]
	ds_write2_b64 v127, v[105:106], v[107:108] offset1:1
.LBB41_143:
	s_or_b64 exec, exec, s[4:5]
	s_waitcnt lgkmcnt(0)
	s_barrier
	ds_read2_b64 v[105:108], v127 offset1:1
	v_cmp_lt_u32_e32 vcc, 15, v0
	s_and_saveexec_b64 s[2:3], vcc
	s_cbranch_execz .LBB41_145
; %bb.144:
	s_waitcnt lgkmcnt(0)
	v_mul_f64 v[85:86], v[105:106], v[19:20]
	v_mul_f64 v[19:20], v[107:108], v[19:20]
	v_fma_f64 v[109:110], v[107:108], v[17:18], v[85:86]
	ds_read2_b64 v[85:88], v125 offset0:32 offset1:33
	v_fma_f64 v[17:18], v[105:106], v[17:18], -v[19:20]
	s_waitcnt lgkmcnt(0)
	v_mul_f64 v[19:20], v[87:88], v[109:110]
	v_fma_f64 v[19:20], v[85:86], v[17:18], -v[19:20]
	v_mul_f64 v[85:86], v[85:86], v[109:110]
	v_add_f64 v[13:14], v[13:14], -v[19:20]
	v_fma_f64 v[85:86], v[87:88], v[17:18], v[85:86]
	v_add_f64 v[15:16], v[15:16], -v[85:86]
	ds_read2_b64 v[85:88], v125 offset0:34 offset1:35
	s_waitcnt lgkmcnt(0)
	v_mul_f64 v[19:20], v[87:88], v[109:110]
	v_fma_f64 v[19:20], v[85:86], v[17:18], -v[19:20]
	v_mul_f64 v[85:86], v[85:86], v[109:110]
	v_add_f64 v[9:10], v[9:10], -v[19:20]
	v_fma_f64 v[85:86], v[87:88], v[17:18], v[85:86]
	v_add_f64 v[11:12], v[11:12], -v[85:86]
	ds_read2_b64 v[85:88], v125 offset0:36 offset1:37
	;; [unrolled: 8-line block ×4, first 2 shown]
	s_waitcnt lgkmcnt(0)
	v_mul_f64 v[19:20], v[87:88], v[109:110]
	v_fma_f64 v[19:20], v[85:86], v[17:18], -v[19:20]
	v_mul_f64 v[85:86], v[85:86], v[109:110]
	v_add_f64 v[57:58], v[57:58], -v[19:20]
	v_fma_f64 v[85:86], v[87:88], v[17:18], v[85:86]
	v_mov_b32_e32 v19, v109
	v_mov_b32_e32 v20, v110
	v_add_f64 v[59:60], v[59:60], -v[85:86]
.LBB41_145:
	s_or_b64 exec, exec, s[2:3]
	v_cmp_eq_u32_e32 vcc, 16, v0
	s_waitcnt lgkmcnt(0)
	s_barrier
	s_and_saveexec_b64 s[4:5], vcc
	s_cbranch_execz .LBB41_152
; %bb.146:
	ds_write2_b64 v127, v[13:14], v[15:16] offset1:1
	ds_write2_b64 v125, v[9:10], v[11:12] offset0:34 offset1:35
	ds_write2_b64 v125, v[5:6], v[7:8] offset0:36 offset1:37
	ds_write2_b64 v125, v[1:2], v[3:4] offset0:38 offset1:39
	ds_write2_b64 v125, v[57:58], v[59:60] offset0:40 offset1:41
	ds_read2_b64 v[85:88], v127 offset1:1
	s_waitcnt lgkmcnt(0)
	v_cmp_neq_f64_e32 vcc, 0, v[85:86]
	v_cmp_neq_f64_e64 s[2:3], 0, v[87:88]
	s_or_b64 s[2:3], vcc, s[2:3]
	s_and_b64 exec, exec, s[2:3]
	s_cbranch_execz .LBB41_152
; %bb.147:
	v_cmp_ngt_f64_e64 s[2:3], |v[85:86]|, |v[87:88]|
                                        ; implicit-def: $vgpr109_vgpr110
	s_and_saveexec_b64 s[6:7], s[2:3]
	s_xor_b64 s[2:3], exec, s[6:7]
                                        ; implicit-def: $vgpr111_vgpr112
	s_cbranch_execz .LBB41_149
; %bb.148:
	v_div_scale_f64 v[109:110], s[6:7], v[87:88], v[87:88], v[85:86]
	v_rcp_f64_e32 v[111:112], v[109:110]
	v_fma_f64 v[113:114], -v[109:110], v[111:112], 1.0
	v_fma_f64 v[111:112], v[111:112], v[113:114], v[111:112]
	v_div_scale_f64 v[113:114], vcc, v[85:86], v[87:88], v[85:86]
	v_fma_f64 v[115:116], -v[109:110], v[111:112], 1.0
	v_fma_f64 v[111:112], v[111:112], v[115:116], v[111:112]
	v_mul_f64 v[115:116], v[113:114], v[111:112]
	v_fma_f64 v[109:110], -v[109:110], v[115:116], v[113:114]
	v_div_fmas_f64 v[109:110], v[109:110], v[111:112], v[115:116]
	v_div_fixup_f64 v[109:110], v[109:110], v[87:88], v[85:86]
	v_fma_f64 v[85:86], v[85:86], v[109:110], v[87:88]
	v_div_scale_f64 v[87:88], s[6:7], v[85:86], v[85:86], 1.0
	v_div_scale_f64 v[115:116], vcc, 1.0, v[85:86], 1.0
	v_rcp_f64_e32 v[111:112], v[87:88]
	v_fma_f64 v[113:114], -v[87:88], v[111:112], 1.0
	v_fma_f64 v[111:112], v[111:112], v[113:114], v[111:112]
	v_fma_f64 v[113:114], -v[87:88], v[111:112], 1.0
	v_fma_f64 v[111:112], v[111:112], v[113:114], v[111:112]
	v_mul_f64 v[113:114], v[115:116], v[111:112]
	v_fma_f64 v[87:88], -v[87:88], v[113:114], v[115:116]
	v_div_fmas_f64 v[87:88], v[87:88], v[111:112], v[113:114]
	v_div_fixup_f64 v[111:112], v[87:88], v[85:86], 1.0
                                        ; implicit-def: $vgpr85_vgpr86
	v_mul_f64 v[109:110], v[109:110], v[111:112]
	v_xor_b32_e32 v112, 0x80000000, v112
.LBB41_149:
	s_andn2_saveexec_b64 s[2:3], s[2:3]
	s_cbranch_execz .LBB41_151
; %bb.150:
	v_div_scale_f64 v[109:110], s[6:7], v[85:86], v[85:86], v[87:88]
	v_rcp_f64_e32 v[111:112], v[109:110]
	v_fma_f64 v[113:114], -v[109:110], v[111:112], 1.0
	v_fma_f64 v[111:112], v[111:112], v[113:114], v[111:112]
	v_div_scale_f64 v[113:114], vcc, v[87:88], v[85:86], v[87:88]
	v_fma_f64 v[115:116], -v[109:110], v[111:112], 1.0
	v_fma_f64 v[111:112], v[111:112], v[115:116], v[111:112]
	v_mul_f64 v[115:116], v[113:114], v[111:112]
	v_fma_f64 v[109:110], -v[109:110], v[115:116], v[113:114]
	v_div_fmas_f64 v[109:110], v[109:110], v[111:112], v[115:116]
	v_div_fixup_f64 v[111:112], v[109:110], v[85:86], v[87:88]
	v_fma_f64 v[85:86], v[87:88], v[111:112], v[85:86]
	v_div_scale_f64 v[87:88], s[6:7], v[85:86], v[85:86], 1.0
	v_div_scale_f64 v[115:116], vcc, 1.0, v[85:86], 1.0
	v_rcp_f64_e32 v[109:110], v[87:88]
	v_fma_f64 v[113:114], -v[87:88], v[109:110], 1.0
	v_fma_f64 v[109:110], v[109:110], v[113:114], v[109:110]
	v_fma_f64 v[113:114], -v[87:88], v[109:110], 1.0
	v_fma_f64 v[109:110], v[109:110], v[113:114], v[109:110]
	v_mul_f64 v[113:114], v[115:116], v[109:110]
	v_fma_f64 v[87:88], -v[87:88], v[113:114], v[115:116]
	v_div_fmas_f64 v[87:88], v[87:88], v[109:110], v[113:114]
	v_div_fixup_f64 v[109:110], v[87:88], v[85:86], 1.0
	v_mul_f64 v[111:112], v[111:112], -v[109:110]
.LBB41_151:
	s_or_b64 exec, exec, s[2:3]
	ds_write2_b64 v127, v[109:110], v[111:112] offset1:1
.LBB41_152:
	s_or_b64 exec, exec, s[4:5]
	s_waitcnt lgkmcnt(0)
	s_barrier
	ds_read2_b64 v[109:112], v127 offset1:1
	v_cmp_lt_u32_e32 vcc, 16, v0
	s_and_saveexec_b64 s[2:3], vcc
	s_cbranch_execz .LBB41_154
; %bb.153:
	s_waitcnt lgkmcnt(0)
	v_mul_f64 v[85:86], v[109:110], v[15:16]
	v_mul_f64 v[15:16], v[111:112], v[15:16]
	v_fma_f64 v[113:114], v[111:112], v[13:14], v[85:86]
	ds_read2_b64 v[85:88], v125 offset0:34 offset1:35
	v_fma_f64 v[13:14], v[109:110], v[13:14], -v[15:16]
	s_waitcnt lgkmcnt(0)
	v_mul_f64 v[15:16], v[87:88], v[113:114]
	v_fma_f64 v[15:16], v[85:86], v[13:14], -v[15:16]
	v_mul_f64 v[85:86], v[85:86], v[113:114]
	v_add_f64 v[9:10], v[9:10], -v[15:16]
	v_fma_f64 v[85:86], v[87:88], v[13:14], v[85:86]
	v_add_f64 v[11:12], v[11:12], -v[85:86]
	ds_read2_b64 v[85:88], v125 offset0:36 offset1:37
	s_waitcnt lgkmcnt(0)
	v_mul_f64 v[15:16], v[87:88], v[113:114]
	v_fma_f64 v[15:16], v[85:86], v[13:14], -v[15:16]
	v_mul_f64 v[85:86], v[85:86], v[113:114]
	v_add_f64 v[5:6], v[5:6], -v[15:16]
	v_fma_f64 v[85:86], v[87:88], v[13:14], v[85:86]
	v_add_f64 v[7:8], v[7:8], -v[85:86]
	ds_read2_b64 v[85:88], v125 offset0:38 offset1:39
	;; [unrolled: 8-line block ×3, first 2 shown]
	s_waitcnt lgkmcnt(0)
	v_mul_f64 v[15:16], v[87:88], v[113:114]
	v_fma_f64 v[15:16], v[85:86], v[13:14], -v[15:16]
	v_mul_f64 v[85:86], v[85:86], v[113:114]
	v_add_f64 v[57:58], v[57:58], -v[15:16]
	v_fma_f64 v[85:86], v[87:88], v[13:14], v[85:86]
	v_mov_b32_e32 v15, v113
	v_mov_b32_e32 v16, v114
	v_add_f64 v[59:60], v[59:60], -v[85:86]
.LBB41_154:
	s_or_b64 exec, exec, s[2:3]
	v_cmp_eq_u32_e32 vcc, 17, v0
	s_waitcnt lgkmcnt(0)
	s_barrier
	s_and_saveexec_b64 s[4:5], vcc
	s_cbranch_execz .LBB41_161
; %bb.155:
	ds_write2_b64 v127, v[9:10], v[11:12] offset1:1
	ds_write2_b64 v125, v[5:6], v[7:8] offset0:36 offset1:37
	ds_write2_b64 v125, v[1:2], v[3:4] offset0:38 offset1:39
	;; [unrolled: 1-line block ×3, first 2 shown]
	ds_read2_b64 v[85:88], v127 offset1:1
	s_waitcnt lgkmcnt(0)
	v_cmp_neq_f64_e32 vcc, 0, v[85:86]
	v_cmp_neq_f64_e64 s[2:3], 0, v[87:88]
	s_or_b64 s[2:3], vcc, s[2:3]
	s_and_b64 exec, exec, s[2:3]
	s_cbranch_execz .LBB41_161
; %bb.156:
	v_cmp_ngt_f64_e64 s[2:3], |v[85:86]|, |v[87:88]|
                                        ; implicit-def: $vgpr113_vgpr114
	s_and_saveexec_b64 s[6:7], s[2:3]
	s_xor_b64 s[2:3], exec, s[6:7]
                                        ; implicit-def: $vgpr115_vgpr116
	s_cbranch_execz .LBB41_158
; %bb.157:
	v_div_scale_f64 v[113:114], s[6:7], v[87:88], v[87:88], v[85:86]
	v_rcp_f64_e32 v[115:116], v[113:114]
	v_fma_f64 v[117:118], -v[113:114], v[115:116], 1.0
	v_fma_f64 v[115:116], v[115:116], v[117:118], v[115:116]
	v_div_scale_f64 v[117:118], vcc, v[85:86], v[87:88], v[85:86]
	v_fma_f64 v[119:120], -v[113:114], v[115:116], 1.0
	v_fma_f64 v[115:116], v[115:116], v[119:120], v[115:116]
	v_mul_f64 v[119:120], v[117:118], v[115:116]
	v_fma_f64 v[113:114], -v[113:114], v[119:120], v[117:118]
	v_div_fmas_f64 v[113:114], v[113:114], v[115:116], v[119:120]
	v_div_fixup_f64 v[113:114], v[113:114], v[87:88], v[85:86]
	v_fma_f64 v[85:86], v[85:86], v[113:114], v[87:88]
	v_div_scale_f64 v[87:88], s[6:7], v[85:86], v[85:86], 1.0
	v_div_scale_f64 v[119:120], vcc, 1.0, v[85:86], 1.0
	v_rcp_f64_e32 v[115:116], v[87:88]
	v_fma_f64 v[117:118], -v[87:88], v[115:116], 1.0
	v_fma_f64 v[115:116], v[115:116], v[117:118], v[115:116]
	v_fma_f64 v[117:118], -v[87:88], v[115:116], 1.0
	v_fma_f64 v[115:116], v[115:116], v[117:118], v[115:116]
	v_mul_f64 v[117:118], v[119:120], v[115:116]
	v_fma_f64 v[87:88], -v[87:88], v[117:118], v[119:120]
	v_div_fmas_f64 v[87:88], v[87:88], v[115:116], v[117:118]
	v_div_fixup_f64 v[115:116], v[87:88], v[85:86], 1.0
                                        ; implicit-def: $vgpr85_vgpr86
	v_mul_f64 v[113:114], v[113:114], v[115:116]
	v_xor_b32_e32 v116, 0x80000000, v116
.LBB41_158:
	s_andn2_saveexec_b64 s[2:3], s[2:3]
	s_cbranch_execz .LBB41_160
; %bb.159:
	v_div_scale_f64 v[113:114], s[6:7], v[85:86], v[85:86], v[87:88]
	v_rcp_f64_e32 v[115:116], v[113:114]
	v_fma_f64 v[117:118], -v[113:114], v[115:116], 1.0
	v_fma_f64 v[115:116], v[115:116], v[117:118], v[115:116]
	v_div_scale_f64 v[117:118], vcc, v[87:88], v[85:86], v[87:88]
	v_fma_f64 v[119:120], -v[113:114], v[115:116], 1.0
	v_fma_f64 v[115:116], v[115:116], v[119:120], v[115:116]
	v_mul_f64 v[119:120], v[117:118], v[115:116]
	v_fma_f64 v[113:114], -v[113:114], v[119:120], v[117:118]
	v_div_fmas_f64 v[113:114], v[113:114], v[115:116], v[119:120]
	v_div_fixup_f64 v[115:116], v[113:114], v[85:86], v[87:88]
	v_fma_f64 v[85:86], v[87:88], v[115:116], v[85:86]
	v_div_scale_f64 v[87:88], s[6:7], v[85:86], v[85:86], 1.0
	v_div_scale_f64 v[119:120], vcc, 1.0, v[85:86], 1.0
	v_rcp_f64_e32 v[113:114], v[87:88]
	v_fma_f64 v[117:118], -v[87:88], v[113:114], 1.0
	v_fma_f64 v[113:114], v[113:114], v[117:118], v[113:114]
	v_fma_f64 v[117:118], -v[87:88], v[113:114], 1.0
	v_fma_f64 v[113:114], v[113:114], v[117:118], v[113:114]
	v_mul_f64 v[117:118], v[119:120], v[113:114]
	v_fma_f64 v[87:88], -v[87:88], v[117:118], v[119:120]
	v_div_fmas_f64 v[87:88], v[87:88], v[113:114], v[117:118]
	v_div_fixup_f64 v[113:114], v[87:88], v[85:86], 1.0
	v_mul_f64 v[115:116], v[115:116], -v[113:114]
.LBB41_160:
	s_or_b64 exec, exec, s[2:3]
	ds_write2_b64 v127, v[113:114], v[115:116] offset1:1
.LBB41_161:
	s_or_b64 exec, exec, s[4:5]
	s_waitcnt lgkmcnt(0)
	s_barrier
	ds_read2_b64 v[113:116], v127 offset1:1
	v_cmp_lt_u32_e32 vcc, 17, v0
	s_and_saveexec_b64 s[2:3], vcc
	s_cbranch_execz .LBB41_163
; %bb.162:
	s_waitcnt lgkmcnt(0)
	v_mul_f64 v[85:86], v[113:114], v[11:12]
	v_mul_f64 v[11:12], v[115:116], v[11:12]
	v_fma_f64 v[117:118], v[115:116], v[9:10], v[85:86]
	ds_read2_b64 v[85:88], v125 offset0:36 offset1:37
	v_fma_f64 v[9:10], v[113:114], v[9:10], -v[11:12]
	s_waitcnt lgkmcnt(0)
	v_mul_f64 v[11:12], v[87:88], v[117:118]
	v_fma_f64 v[11:12], v[85:86], v[9:10], -v[11:12]
	v_mul_f64 v[85:86], v[85:86], v[117:118]
	v_add_f64 v[5:6], v[5:6], -v[11:12]
	v_fma_f64 v[85:86], v[87:88], v[9:10], v[85:86]
	v_add_f64 v[7:8], v[7:8], -v[85:86]
	ds_read2_b64 v[85:88], v125 offset0:38 offset1:39
	s_waitcnt lgkmcnt(0)
	v_mul_f64 v[11:12], v[87:88], v[117:118]
	v_fma_f64 v[11:12], v[85:86], v[9:10], -v[11:12]
	v_mul_f64 v[85:86], v[85:86], v[117:118]
	v_add_f64 v[1:2], v[1:2], -v[11:12]
	v_fma_f64 v[85:86], v[87:88], v[9:10], v[85:86]
	v_add_f64 v[3:4], v[3:4], -v[85:86]
	ds_read2_b64 v[85:88], v125 offset0:40 offset1:41
	s_waitcnt lgkmcnt(0)
	v_mul_f64 v[11:12], v[87:88], v[117:118]
	v_fma_f64 v[11:12], v[85:86], v[9:10], -v[11:12]
	v_mul_f64 v[85:86], v[85:86], v[117:118]
	v_add_f64 v[57:58], v[57:58], -v[11:12]
	v_fma_f64 v[85:86], v[87:88], v[9:10], v[85:86]
	v_mov_b32_e32 v11, v117
	v_mov_b32_e32 v12, v118
	v_add_f64 v[59:60], v[59:60], -v[85:86]
.LBB41_163:
	s_or_b64 exec, exec, s[2:3]
	v_cmp_eq_u32_e32 vcc, 18, v0
	s_waitcnt lgkmcnt(0)
	s_barrier
	s_and_saveexec_b64 s[4:5], vcc
	s_cbranch_execz .LBB41_170
; %bb.164:
	ds_write2_b64 v127, v[5:6], v[7:8] offset1:1
	ds_write2_b64 v125, v[1:2], v[3:4] offset0:38 offset1:39
	ds_write2_b64 v125, v[57:58], v[59:60] offset0:40 offset1:41
	ds_read2_b64 v[85:88], v127 offset1:1
	s_waitcnt lgkmcnt(0)
	v_cmp_neq_f64_e32 vcc, 0, v[85:86]
	v_cmp_neq_f64_e64 s[2:3], 0, v[87:88]
	s_or_b64 s[2:3], vcc, s[2:3]
	s_and_b64 exec, exec, s[2:3]
	s_cbranch_execz .LBB41_170
; %bb.165:
	v_cmp_ngt_f64_e64 s[2:3], |v[85:86]|, |v[87:88]|
                                        ; implicit-def: $vgpr117_vgpr118
	s_and_saveexec_b64 s[6:7], s[2:3]
	s_xor_b64 s[2:3], exec, s[6:7]
                                        ; implicit-def: $vgpr119_vgpr120
	s_cbranch_execz .LBB41_167
; %bb.166:
	v_div_scale_f64 v[117:118], s[6:7], v[87:88], v[87:88], v[85:86]
	v_rcp_f64_e32 v[119:120], v[117:118]
	v_fma_f64 v[121:122], -v[117:118], v[119:120], 1.0
	v_fma_f64 v[119:120], v[119:120], v[121:122], v[119:120]
	v_div_scale_f64 v[121:122], vcc, v[85:86], v[87:88], v[85:86]
	v_fma_f64 v[123:124], -v[117:118], v[119:120], 1.0
	v_fma_f64 v[119:120], v[119:120], v[123:124], v[119:120]
	v_mul_f64 v[123:124], v[121:122], v[119:120]
	v_fma_f64 v[117:118], -v[117:118], v[123:124], v[121:122]
	v_div_fmas_f64 v[117:118], v[117:118], v[119:120], v[123:124]
	v_div_fixup_f64 v[117:118], v[117:118], v[87:88], v[85:86]
	v_fma_f64 v[85:86], v[85:86], v[117:118], v[87:88]
	v_div_scale_f64 v[87:88], s[6:7], v[85:86], v[85:86], 1.0
	v_div_scale_f64 v[123:124], vcc, 1.0, v[85:86], 1.0
	v_rcp_f64_e32 v[119:120], v[87:88]
	v_fma_f64 v[121:122], -v[87:88], v[119:120], 1.0
	v_fma_f64 v[119:120], v[119:120], v[121:122], v[119:120]
	v_fma_f64 v[121:122], -v[87:88], v[119:120], 1.0
	v_fma_f64 v[119:120], v[119:120], v[121:122], v[119:120]
	v_mul_f64 v[121:122], v[123:124], v[119:120]
	v_fma_f64 v[87:88], -v[87:88], v[121:122], v[123:124]
	v_div_fmas_f64 v[87:88], v[87:88], v[119:120], v[121:122]
	v_div_fixup_f64 v[119:120], v[87:88], v[85:86], 1.0
                                        ; implicit-def: $vgpr85_vgpr86
	v_mul_f64 v[117:118], v[117:118], v[119:120]
	v_xor_b32_e32 v120, 0x80000000, v120
.LBB41_167:
	s_andn2_saveexec_b64 s[2:3], s[2:3]
	s_cbranch_execz .LBB41_169
; %bb.168:
	v_div_scale_f64 v[117:118], s[6:7], v[85:86], v[85:86], v[87:88]
	v_rcp_f64_e32 v[119:120], v[117:118]
	v_fma_f64 v[121:122], -v[117:118], v[119:120], 1.0
	v_fma_f64 v[119:120], v[119:120], v[121:122], v[119:120]
	v_div_scale_f64 v[121:122], vcc, v[87:88], v[85:86], v[87:88]
	v_fma_f64 v[123:124], -v[117:118], v[119:120], 1.0
	v_fma_f64 v[119:120], v[119:120], v[123:124], v[119:120]
	v_mul_f64 v[123:124], v[121:122], v[119:120]
	v_fma_f64 v[117:118], -v[117:118], v[123:124], v[121:122]
	v_div_fmas_f64 v[117:118], v[117:118], v[119:120], v[123:124]
	v_div_fixup_f64 v[119:120], v[117:118], v[85:86], v[87:88]
	v_fma_f64 v[85:86], v[87:88], v[119:120], v[85:86]
	v_div_scale_f64 v[87:88], s[6:7], v[85:86], v[85:86], 1.0
	v_div_scale_f64 v[123:124], vcc, 1.0, v[85:86], 1.0
	v_rcp_f64_e32 v[117:118], v[87:88]
	v_fma_f64 v[121:122], -v[87:88], v[117:118], 1.0
	v_fma_f64 v[117:118], v[117:118], v[121:122], v[117:118]
	v_fma_f64 v[121:122], -v[87:88], v[117:118], 1.0
	v_fma_f64 v[117:118], v[117:118], v[121:122], v[117:118]
	v_mul_f64 v[121:122], v[123:124], v[117:118]
	v_fma_f64 v[87:88], -v[87:88], v[121:122], v[123:124]
	v_div_fmas_f64 v[87:88], v[87:88], v[117:118], v[121:122]
	v_div_fixup_f64 v[117:118], v[87:88], v[85:86], 1.0
	v_mul_f64 v[119:120], v[119:120], -v[117:118]
.LBB41_169:
	s_or_b64 exec, exec, s[2:3]
	ds_write2_b64 v127, v[117:118], v[119:120] offset1:1
.LBB41_170:
	s_or_b64 exec, exec, s[4:5]
	s_waitcnt lgkmcnt(0)
	s_barrier
	ds_read2_b64 v[121:124], v127 offset1:1
	v_cmp_lt_u32_e32 vcc, 18, v0
	s_and_saveexec_b64 s[2:3], vcc
	s_cbranch_execz .LBB41_172
; %bb.171:
	s_waitcnt lgkmcnt(0)
	v_mul_f64 v[85:86], v[121:122], v[7:8]
	v_mul_f64 v[7:8], v[123:124], v[7:8]
	v_fma_f64 v[117:118], v[123:124], v[5:6], v[85:86]
	ds_read2_b64 v[85:88], v125 offset0:38 offset1:39
	v_fma_f64 v[5:6], v[121:122], v[5:6], -v[7:8]
	s_waitcnt lgkmcnt(0)
	v_mul_f64 v[7:8], v[87:88], v[117:118]
	v_fma_f64 v[7:8], v[85:86], v[5:6], -v[7:8]
	v_mul_f64 v[85:86], v[85:86], v[117:118]
	v_add_f64 v[1:2], v[1:2], -v[7:8]
	v_fma_f64 v[85:86], v[87:88], v[5:6], v[85:86]
	v_add_f64 v[3:4], v[3:4], -v[85:86]
	ds_read2_b64 v[85:88], v125 offset0:40 offset1:41
	s_waitcnt lgkmcnt(0)
	v_mul_f64 v[7:8], v[87:88], v[117:118]
	v_fma_f64 v[7:8], v[85:86], v[5:6], -v[7:8]
	v_mul_f64 v[85:86], v[85:86], v[117:118]
	v_add_f64 v[57:58], v[57:58], -v[7:8]
	v_fma_f64 v[85:86], v[87:88], v[5:6], v[85:86]
	v_mov_b32_e32 v7, v117
	v_mov_b32_e32 v8, v118
	v_add_f64 v[59:60], v[59:60], -v[85:86]
.LBB41_172:
	s_or_b64 exec, exec, s[2:3]
	v_cmp_eq_u32_e32 vcc, 19, v0
	s_waitcnt lgkmcnt(0)
	s_barrier
	s_and_saveexec_b64 s[4:5], vcc
	s_cbranch_execz .LBB41_179
; %bb.173:
	ds_write2_b64 v127, v[1:2], v[3:4] offset1:1
	ds_write2_b64 v125, v[57:58], v[59:60] offset0:40 offset1:41
	ds_read2_b64 v[85:88], v127 offset1:1
	s_waitcnt lgkmcnt(0)
	v_cmp_neq_f64_e32 vcc, 0, v[85:86]
	v_cmp_neq_f64_e64 s[2:3], 0, v[87:88]
	s_or_b64 s[2:3], vcc, s[2:3]
	s_and_b64 exec, exec, s[2:3]
	s_cbranch_execz .LBB41_179
; %bb.174:
	v_cmp_ngt_f64_e64 s[2:3], |v[85:86]|, |v[87:88]|
                                        ; implicit-def: $vgpr117_vgpr118
	s_and_saveexec_b64 s[6:7], s[2:3]
	s_xor_b64 s[2:3], exec, s[6:7]
                                        ; implicit-def: $vgpr119_vgpr120
	s_cbranch_execz .LBB41_176
; %bb.175:
	v_div_scale_f64 v[117:118], s[6:7], v[87:88], v[87:88], v[85:86]
	v_div_scale_f64 v[91:92], vcc, v[85:86], v[87:88], v[85:86]
	v_rcp_f64_e32 v[119:120], v[117:118]
	v_fma_f64 v[89:90], -v[117:118], v[119:120], 1.0
	v_fma_f64 v[89:90], v[119:120], v[89:90], v[119:120]
	v_fma_f64 v[119:120], -v[117:118], v[89:90], 1.0
	v_fma_f64 v[89:90], v[89:90], v[119:120], v[89:90]
	v_mul_f64 v[119:120], v[91:92], v[89:90]
	v_fma_f64 v[91:92], -v[117:118], v[119:120], v[91:92]
	v_div_fmas_f64 v[89:90], v[91:92], v[89:90], v[119:120]
	v_div_fixup_f64 v[89:90], v[89:90], v[87:88], v[85:86]
	v_fma_f64 v[85:86], v[85:86], v[89:90], v[87:88]
	v_div_scale_f64 v[87:88], s[6:7], v[85:86], v[85:86], 1.0
	v_div_scale_f64 v[119:120], vcc, 1.0, v[85:86], 1.0
	v_rcp_f64_e32 v[91:92], v[87:88]
	v_fma_f64 v[117:118], -v[87:88], v[91:92], 1.0
	v_fma_f64 v[91:92], v[91:92], v[117:118], v[91:92]
	v_fma_f64 v[117:118], -v[87:88], v[91:92], 1.0
	v_fma_f64 v[91:92], v[91:92], v[117:118], v[91:92]
	v_mul_f64 v[117:118], v[119:120], v[91:92]
	v_fma_f64 v[87:88], -v[87:88], v[117:118], v[119:120]
	v_div_fmas_f64 v[87:88], v[87:88], v[91:92], v[117:118]
	v_div_fixup_f64 v[119:120], v[87:88], v[85:86], 1.0
                                        ; implicit-def: $vgpr85_vgpr86
	v_mul_f64 v[117:118], v[89:90], v[119:120]
	v_xor_b32_e32 v120, 0x80000000, v120
.LBB41_176:
	s_andn2_saveexec_b64 s[2:3], s[2:3]
	s_cbranch_execz .LBB41_178
; %bb.177:
	v_div_scale_f64 v[89:90], s[6:7], v[85:86], v[85:86], v[87:88]
	v_rcp_f64_e32 v[91:92], v[89:90]
	v_fma_f64 v[117:118], -v[89:90], v[91:92], 1.0
	v_fma_f64 v[91:92], v[91:92], v[117:118], v[91:92]
	v_div_scale_f64 v[117:118], vcc, v[87:88], v[85:86], v[87:88]
	v_fma_f64 v[119:120], -v[89:90], v[91:92], 1.0
	v_fma_f64 v[91:92], v[91:92], v[119:120], v[91:92]
	v_mul_f64 v[119:120], v[117:118], v[91:92]
	v_fma_f64 v[89:90], -v[89:90], v[119:120], v[117:118]
	v_div_fmas_f64 v[89:90], v[89:90], v[91:92], v[119:120]
	v_div_fixup_f64 v[89:90], v[89:90], v[85:86], v[87:88]
	v_fma_f64 v[85:86], v[87:88], v[89:90], v[85:86]
	v_div_scale_f64 v[87:88], s[6:7], v[85:86], v[85:86], 1.0
	v_div_scale_f64 v[119:120], vcc, 1.0, v[85:86], 1.0
	v_rcp_f64_e32 v[91:92], v[87:88]
	v_fma_f64 v[117:118], -v[87:88], v[91:92], 1.0
	v_fma_f64 v[91:92], v[91:92], v[117:118], v[91:92]
	v_fma_f64 v[117:118], -v[87:88], v[91:92], 1.0
	v_fma_f64 v[91:92], v[91:92], v[117:118], v[91:92]
	v_mul_f64 v[117:118], v[119:120], v[91:92]
	v_fma_f64 v[87:88], -v[87:88], v[117:118], v[119:120]
	v_div_fmas_f64 v[87:88], v[87:88], v[91:92], v[117:118]
	v_div_fixup_f64 v[117:118], v[87:88], v[85:86], 1.0
	v_mul_f64 v[119:120], v[89:90], -v[117:118]
.LBB41_178:
	s_or_b64 exec, exec, s[2:3]
	ds_write2_b64 v127, v[117:118], v[119:120] offset1:1
.LBB41_179:
	s_or_b64 exec, exec, s[4:5]
	s_waitcnt lgkmcnt(0)
	s_barrier
	ds_read2_b64 v[85:88], v127 offset1:1
	v_cmp_lt_u32_e32 vcc, 19, v0
	s_and_saveexec_b64 s[2:3], vcc
	s_cbranch_execz .LBB41_181
; %bb.180:
	s_waitcnt lgkmcnt(0)
	v_mul_f64 v[89:90], v[85:86], v[3:4]
	v_mul_f64 v[3:4], v[87:88], v[3:4]
	ds_read2_b64 v[117:120], v125 offset0:40 offset1:41
	v_fma_f64 v[89:90], v[87:88], v[1:2], v[89:90]
	v_fma_f64 v[1:2], v[85:86], v[1:2], -v[3:4]
	s_waitcnt lgkmcnt(0)
	v_mul_f64 v[3:4], v[119:120], v[89:90]
	v_mul_f64 v[91:92], v[117:118], v[89:90]
	v_fma_f64 v[3:4], v[117:118], v[1:2], -v[3:4]
	v_fma_f64 v[91:92], v[119:120], v[1:2], v[91:92]
	v_add_f64 v[57:58], v[57:58], -v[3:4]
	v_add_f64 v[59:60], v[59:60], -v[91:92]
	v_mov_b32_e32 v3, v89
	v_mov_b32_e32 v4, v90
.LBB41_181:
	s_or_b64 exec, exec, s[2:3]
	v_cmp_eq_u32_e32 vcc, 20, v0
	s_waitcnt lgkmcnt(0)
	s_barrier
	s_and_saveexec_b64 s[4:5], vcc
	s_cbranch_execz .LBB41_188
; %bb.182:
	v_cmp_neq_f64_e32 vcc, 0, v[57:58]
	v_cmp_neq_f64_e64 s[2:3], 0, v[59:60]
	ds_write2_b64 v127, v[57:58], v[59:60] offset1:1
	s_or_b64 s[2:3], vcc, s[2:3]
	s_and_b64 exec, exec, s[2:3]
	s_cbranch_execz .LBB41_188
; %bb.183:
	v_cmp_ngt_f64_e64 s[2:3], |v[57:58]|, |v[59:60]|
                                        ; implicit-def: $vgpr117_vgpr118
	s_and_saveexec_b64 s[6:7], s[2:3]
	s_xor_b64 s[2:3], exec, s[6:7]
                                        ; implicit-def: $vgpr119_vgpr120
	s_cbranch_execz .LBB41_185
; %bb.184:
	v_div_scale_f64 v[89:90], s[6:7], v[59:60], v[59:60], v[57:58]
	v_mov_b32_e32 v100, v96
	v_mov_b32_e32 v99, v95
	;; [unrolled: 1-line block ×4, first 2 shown]
	v_rcp_f64_e32 v[91:92], v[89:90]
	v_fma_f64 v[117:118], -v[89:90], v[91:92], 1.0
	v_fma_f64 v[91:92], v[91:92], v[117:118], v[91:92]
	v_div_scale_f64 v[117:118], vcc, v[57:58], v[59:60], v[57:58]
	v_fma_f64 v[119:120], -v[89:90], v[91:92], 1.0
	v_fma_f64 v[91:92], v[91:92], v[119:120], v[91:92]
	v_mul_f64 v[119:120], v[117:118], v[91:92]
	v_fma_f64 v[89:90], -v[89:90], v[119:120], v[117:118]
	v_div_fmas_f64 v[89:90], v[89:90], v[91:92], v[119:120]
	v_div_fixup_f64 v[89:90], v[89:90], v[59:60], v[57:58]
	v_fma_f64 v[91:92], v[57:58], v[89:90], v[59:60]
	v_div_scale_f64 v[117:118], s[6:7], v[91:92], v[91:92], 1.0
	v_div_scale_f64 v[93:94], vcc, 1.0, v[91:92], 1.0
	v_rcp_f64_e32 v[119:120], v[117:118]
	v_fma_f64 v[125:126], -v[117:118], v[119:120], 1.0
	v_fma_f64 v[119:120], v[119:120], v[125:126], v[119:120]
	v_fma_f64 v[125:126], -v[117:118], v[119:120], 1.0
	v_fma_f64 v[95:96], v[119:120], v[125:126], v[119:120]
	v_mul_f64 v[119:120], v[93:94], v[95:96]
	v_fma_f64 v[93:94], -v[117:118], v[119:120], v[93:94]
	v_div_fmas_f64 v[93:94], v[93:94], v[95:96], v[119:120]
	v_div_fixup_f64 v[119:120], v[93:94], v[91:92], 1.0
	v_mov_b32_e32 v93, v97
	v_mov_b32_e32 v94, v98
	;; [unrolled: 1-line block ×4, first 2 shown]
	v_mul_f64 v[117:118], v[89:90], v[119:120]
	v_xor_b32_e32 v120, 0x80000000, v120
.LBB41_185:
	s_andn2_saveexec_b64 s[2:3], s[2:3]
	s_cbranch_execz .LBB41_187
; %bb.186:
	v_div_scale_f64 v[89:90], s[6:7], v[57:58], v[57:58], v[59:60]
	v_mov_b32_e32 v100, v96
	v_mov_b32_e32 v99, v95
	;; [unrolled: 1-line block ×4, first 2 shown]
	v_rcp_f64_e32 v[91:92], v[89:90]
	v_fma_f64 v[93:94], -v[89:90], v[91:92], 1.0
	v_fma_f64 v[91:92], v[91:92], v[93:94], v[91:92]
	v_div_scale_f64 v[93:94], vcc, v[59:60], v[57:58], v[59:60]
	v_fma_f64 v[95:96], -v[89:90], v[91:92], 1.0
	v_fma_f64 v[91:92], v[91:92], v[95:96], v[91:92]
	v_mul_f64 v[95:96], v[93:94], v[91:92]
	v_fma_f64 v[89:90], -v[89:90], v[95:96], v[93:94]
	v_div_fmas_f64 v[89:90], v[89:90], v[91:92], v[95:96]
	v_div_fixup_f64 v[89:90], v[89:90], v[57:58], v[59:60]
	v_fma_f64 v[91:92], v[59:60], v[89:90], v[57:58]
	v_div_scale_f64 v[93:94], s[6:7], v[91:92], v[91:92], 1.0
	v_div_scale_f64 v[119:120], vcc, 1.0, v[91:92], 1.0
	v_rcp_f64_e32 v[95:96], v[93:94]
	v_fma_f64 v[117:118], -v[93:94], v[95:96], 1.0
	v_fma_f64 v[95:96], v[95:96], v[117:118], v[95:96]
	v_fma_f64 v[117:118], -v[93:94], v[95:96], 1.0
	v_fma_f64 v[95:96], v[95:96], v[117:118], v[95:96]
	v_mul_f64 v[117:118], v[119:120], v[95:96]
	v_fma_f64 v[93:94], -v[93:94], v[117:118], v[119:120]
	v_div_fmas_f64 v[93:94], v[93:94], v[95:96], v[117:118]
	v_div_fixup_f64 v[117:118], v[93:94], v[91:92], 1.0
	v_mov_b32_e32 v93, v97
	v_mov_b32_e32 v94, v98
	;; [unrolled: 1-line block ×4, first 2 shown]
	v_mul_f64 v[119:120], v[89:90], -v[117:118]
.LBB41_187:
	s_or_b64 exec, exec, s[2:3]
	ds_write2_b64 v127, v[117:118], v[119:120] offset1:1
.LBB41_188:
	s_or_b64 exec, exec, s[4:5]
	s_waitcnt lgkmcnt(0)
	s_barrier
	ds_read2_b64 v[117:120], v127 offset1:1
	s_waitcnt lgkmcnt(0)
	s_barrier
	s_and_saveexec_b64 s[2:3], s[0:1]
	s_cbranch_execz .LBB41_191
; %bb.189:
	buffer_load_dword v89, off, s[20:23], 0 offset:184 ; 4-byte Folded Reload
	buffer_load_dword v90, off, s[20:23], 0 offset:188 ; 4-byte Folded Reload
	;; [unrolled: 1-line block ×4, first 2 shown]
	v_mov_b32_e32 v97, v96
	v_mov_b32_e32 v96, v95
	;; [unrolled: 1-line block ×4, first 2 shown]
	s_waitcnt vmcnt(2)
	v_cmp_eq_f64_e32 vcc, 0, v[89:90]
	s_waitcnt vmcnt(0)
	v_cmp_eq_f64_e64 s[0:1], 0, v[91:92]
	buffer_load_dword v90, off, s[20:23], 0 offset:200 ; 4-byte Folded Reload
	buffer_load_dword v91, off, s[20:23], 0 offset:204 ; 4-byte Folded Reload
	;; [unrolled: 1-line block ×4, first 2 shown]
	s_and_b64 s[4:5], vcc, s[0:1]
	v_cndmask_b32_e64 v89, 0, 1, s[4:5]
	s_waitcnt vmcnt(2)
	v_cmp_neq_f64_e32 vcc, 0, v[90:91]
	s_waitcnt vmcnt(0)
	v_cmp_neq_f64_e64 s[0:1], 0, v[92:93]
	buffer_load_dword v90, off, s[20:23], 0 offset:216 ; 4-byte Folded Reload
	buffer_load_dword v91, off, s[20:23], 0 offset:220 ; 4-byte Folded Reload
	;; [unrolled: 1-line block ×4, first 2 shown]
	s_or_b64 s[0:1], vcc, s[0:1]
	s_or_b64 vcc, s[0:1], s[4:5]
	v_cndmask_b32_e32 v89, 2, v89, vcc
	s_waitcnt vmcnt(2)
	v_cmp_eq_f64_e32 vcc, 0, v[90:91]
	s_waitcnt vmcnt(0)
	v_cmp_eq_f64_e64 s[0:1], 0, v[92:93]
	buffer_load_dword v90, off, s[20:23], 0 offset:232 ; 4-byte Folded Reload
	buffer_load_dword v91, off, s[20:23], 0 offset:236 ; 4-byte Folded Reload
	buffer_load_dword v92, off, s[20:23], 0 offset:240 ; 4-byte Folded Reload
	buffer_load_dword v93, off, s[20:23], 0 offset:244 ; 4-byte Folded Reload
	s_and_b64 s[0:1], vcc, s[0:1]
	v_cmp_eq_u32_e32 vcc, 0, v89
	s_and_b64 s[0:1], s[0:1], vcc
	v_cndmask_b32_e64 v89, v89, 3, s[0:1]
	s_waitcnt vmcnt(2)
	v_cmp_eq_f64_e32 vcc, 0, v[90:91]
	s_waitcnt vmcnt(0)
	v_cmp_eq_f64_e64 s[0:1], 0, v[92:93]
	buffer_load_dword v90, off, s[20:23], 0 offset:248 ; 4-byte Folded Reload
	buffer_load_dword v91, off, s[20:23], 0 offset:252 ; 4-byte Folded Reload
	buffer_load_dword v92, off, s[20:23], 0 offset:256 ; 4-byte Folded Reload
	buffer_load_dword v93, off, s[20:23], 0 offset:260 ; 4-byte Folded Reload
	s_and_b64 s[0:1], vcc, s[0:1]
	v_cmp_eq_u32_e32 vcc, 0, v89
	s_and_b64 s[0:1], s[0:1], vcc
	v_cndmask_b32_e64 v89, v89, 4, s[0:1]
	;; [unrolled: 12-line block ×9, first 2 shown]
	s_waitcnt vmcnt(2)
	v_cmp_eq_f64_e32 vcc, 0, v[90:91]
	s_waitcnt vmcnt(0)
	v_cmp_eq_f64_e64 s[0:1], 0, v[92:93]
	s_and_b64 s[0:1], vcc, s[0:1]
	v_cmp_eq_u32_e32 vcc, 0, v89
	s_and_b64 s[0:1], s[0:1], vcc
	v_cndmask_b32_e64 v89, v89, 12, s[0:1]
	v_cmp_eq_f64_e32 vcc, 0, v[94:95]
	v_cmp_eq_f64_e64 s[0:1], 0, v[96:97]
	s_and_b64 s[0:1], vcc, s[0:1]
	v_cmp_eq_u32_e32 vcc, 0, v89
	s_and_b64 s[0:1], s[0:1], vcc
	v_cndmask_b32_e64 v89, v89, 13, s[0:1]
	v_cmp_eq_f64_e32 vcc, 0, v[81:82]
	v_cmp_eq_f64_e64 s[0:1], 0, v[83:84]
	s_and_b64 s[0:1], vcc, s[0:1]
	v_cmp_eq_u32_e32 vcc, 0, v89
	s_and_b64 s[0:1], s[0:1], vcc
	v_cndmask_b32_e64 v89, v89, 14, s[0:1]
	v_cmp_eq_f64_e32 vcc, 0, v[101:102]
	v_cmp_eq_f64_e64 s[0:1], 0, v[103:104]
	s_and_b64 s[0:1], vcc, s[0:1]
	v_cmp_eq_u32_e32 vcc, 0, v89
	s_and_b64 s[0:1], s[0:1], vcc
	v_cndmask_b32_e64 v89, v89, 15, s[0:1]
	v_cmp_eq_f64_e32 vcc, 0, v[105:106]
	v_cmp_eq_f64_e64 s[0:1], 0, v[107:108]
	s_and_b64 s[0:1], vcc, s[0:1]
	v_cmp_eq_u32_e32 vcc, 0, v89
	s_and_b64 s[0:1], s[0:1], vcc
	v_cndmask_b32_e64 v89, v89, 16, s[0:1]
	v_cmp_eq_f64_e32 vcc, 0, v[109:110]
	v_cmp_eq_f64_e64 s[0:1], 0, v[111:112]
	s_and_b64 s[0:1], vcc, s[0:1]
	v_cmp_eq_u32_e32 vcc, 0, v89
	s_and_b64 s[0:1], s[0:1], vcc
	v_cndmask_b32_e64 v89, v89, 17, s[0:1]
	v_cmp_eq_f64_e32 vcc, 0, v[113:114]
	v_cmp_eq_f64_e64 s[0:1], 0, v[115:116]
	s_and_b64 s[0:1], vcc, s[0:1]
	v_cmp_eq_u32_e32 vcc, 0, v89
	s_and_b64 s[0:1], s[0:1], vcc
	v_cndmask_b32_e64 v89, v89, 18, s[0:1]
	v_cmp_eq_f64_e32 vcc, 0, v[121:122]
	v_cmp_eq_f64_e64 s[0:1], 0, v[123:124]
	s_and_b64 s[0:1], vcc, s[0:1]
	v_cmp_eq_u32_e32 vcc, 0, v89
	s_and_b64 s[0:1], s[0:1], vcc
	v_cndmask_b32_e64 v89, v89, 19, s[0:1]
	v_cmp_eq_f64_e32 vcc, 0, v[85:86]
	v_cmp_eq_f64_e64 s[0:1], 0, v[87:88]
	v_mov_b32_e32 v88, s11
	s_and_b64 s[0:1], vcc, s[0:1]
	v_cmp_eq_u32_e32 vcc, 0, v89
	s_and_b64 s[0:1], s[0:1], vcc
	v_cndmask_b32_e64 v85, v89, 20, s[0:1]
	v_cmp_eq_f64_e32 vcc, 0, v[117:118]
	v_cmp_eq_f64_e64 s[0:1], 0, v[119:120]
	s_and_b64 s[0:1], vcc, s[0:1]
	v_cmp_eq_u32_e32 vcc, 0, v85
	s_and_b64 s[0:1], s[0:1], vcc
	v_cndmask_b32_e64 v87, v85, 21, s[0:1]
	buffer_load_dword v85, off, s[20:23], 0 offset:376 ; 4-byte Folded Reload
	buffer_load_dword v86, off, s[20:23], 0 offset:380 ; 4-byte Folded Reload
	v_cmp_ne_u32_e64 s[0:1], 0, v87
	s_waitcnt vmcnt(0)
	v_lshlrev_b64 v[85:86], 2, v[85:86]
	v_add_co_u32_e32 v85, vcc, s10, v85
	v_addc_co_u32_e32 v86, vcc, v88, v86, vcc
	global_load_dword v88, v[85:86], off
	s_waitcnt vmcnt(0)
	v_cmp_eq_u32_e32 vcc, 0, v88
	s_and_b64 s[0:1], vcc, s[0:1]
	s_and_b64 exec, exec, s[0:1]
	s_cbranch_execz .LBB41_191
; %bb.190:
	v_add_u32_e32 v87, s13, v87
	global_store_dword v[85:86], v87, off
.LBB41_191:
	s_or_b64 exec, exec, s[2:3]
	buffer_load_dword v85, off, s[20:23], 0 offset:168 ; 4-byte Folded Reload
	buffer_load_dword v86, off, s[20:23], 0 offset:172 ; 4-byte Folded Reload
	buffer_load_dword v81, off, s[20:23], 0 ; 4-byte Folded Reload
	buffer_load_dword v82, off, s[20:23], 0 offset:4 ; 4-byte Folded Reload
	buffer_load_dword v83, off, s[20:23], 0 offset:8 ; 4-byte Folded Reload
	;; [unrolled: 1-line block ×3, first 2 shown]
	v_cmp_lt_u32_e32 vcc, 20, v0
	s_waitcnt vmcnt(0)
	global_store_dwordx4 v[85:86], v[81:84], off
	buffer_load_dword v81, off, s[20:23], 0 offset:176 ; 4-byte Folded Reload
	s_nop 0
	buffer_load_dword v82, off, s[20:23], 0 offset:180 ; 4-byte Folded Reload
	s_waitcnt vmcnt(0)
	global_store_dwordx4 v[81:82], v[77:80], off
	buffer_load_dword v81, off, s[20:23], 0 offset:16 ; 4-byte Folded Reload
	s_nop 0
	buffer_load_dword v82, off, s[20:23], 0 offset:20 ; 4-byte Folded Reload
	v_mul_f64 v[77:78], v[117:118], v[59:60]
	v_mul_f64 v[79:80], v[119:120], v[59:60]
	s_waitcnt vmcnt(0)
	global_store_dwordx4 v[81:82], v[73:76], off
	buffer_load_dword v75, off, s[20:23], 0 offset:24 ; 4-byte Folded Reload
	s_nop 0
	buffer_load_dword v76, off, s[20:23], 0 offset:28 ; 4-byte Folded Reload
	v_fma_f64 v[73:74], v[119:120], v[57:58], v[77:78]
	s_waitcnt vmcnt(0)
	global_store_dwordx4 v[75:76], v[69:72], off
	buffer_load_dword v71, off, s[20:23], 0 offset:32 ; 4-byte Folded Reload
	s_nop 0
	buffer_load_dword v72, off, s[20:23], 0 offset:36 ; 4-byte Folded Reload
	v_fma_f64 v[69:70], v[117:118], v[57:58], -v[79:80]
	s_waitcnt vmcnt(0)
	global_store_dwordx4 v[71:72], v[65:68], off
	buffer_load_dword v65, off, s[20:23], 0 offset:40 ; 4-byte Folded Reload
	s_nop 0
	buffer_load_dword v66, off, s[20:23], 0 offset:44 ; 4-byte Folded Reload
	s_waitcnt vmcnt(0)
	global_store_dwordx4 v[65:66], v[61:64], off
	buffer_load_dword v61, off, s[20:23], 0 offset:48 ; 4-byte Folded Reload
	s_nop 0
	buffer_load_dword v62, off, s[20:23], 0 offset:52 ; 4-byte Folded Reload
	;; [unrolled: 5-line block ×4, first 2 shown]
	v_cndmask_b32_e32 v52, v60, v74, vcc
	v_cndmask_b32_e32 v51, v59, v73, vcc
	;; [unrolled: 1-line block ×4, first 2 shown]
	s_waitcnt vmcnt(0)
	global_store_dwordx4 v[53:54], v[45:48], off
	buffer_load_dword v45, off, s[20:23], 0 offset:72 ; 4-byte Folded Reload
	s_nop 0
	buffer_load_dword v46, off, s[20:23], 0 offset:76 ; 4-byte Folded Reload
	s_waitcnt vmcnt(0)
	global_store_dwordx4 v[45:46], v[41:44], off
	buffer_load_dword v41, off, s[20:23], 0 offset:80 ; 4-byte Folded Reload
	s_nop 0
	buffer_load_dword v42, off, s[20:23], 0 offset:84 ; 4-byte Folded Reload
	s_waitcnt vmcnt(0)
	global_store_dwordx4 v[41:42], v[37:40], off
	buffer_load_dword v37, off, s[20:23], 0 offset:88 ; 4-byte Folded Reload
	s_nop 0
	buffer_load_dword v38, off, s[20:23], 0 offset:92 ; 4-byte Folded Reload
	s_waitcnt vmcnt(0)
	global_store_dwordx4 v[37:38], v[33:36], off
	buffer_load_dword v33, off, s[20:23], 0 offset:96 ; 4-byte Folded Reload
	s_nop 0
	buffer_load_dword v34, off, s[20:23], 0 offset:100 ; 4-byte Folded Reload
	s_waitcnt vmcnt(0)
	global_store_dwordx4 v[33:34], v[29:32], off
	buffer_load_dword v29, off, s[20:23], 0 offset:104 ; 4-byte Folded Reload
	s_nop 0
	buffer_load_dword v30, off, s[20:23], 0 offset:108 ; 4-byte Folded Reload
	s_waitcnt vmcnt(0)
	global_store_dwordx4 v[29:30], v[25:28], off
	buffer_load_dword v25, off, s[20:23], 0 offset:112 ; 4-byte Folded Reload
	s_nop 0
	buffer_load_dword v26, off, s[20:23], 0 offset:116 ; 4-byte Folded Reload
	s_waitcnt vmcnt(0)
	global_store_dwordx4 v[25:26], v[21:24], off
	buffer_load_dword v21, off, s[20:23], 0 offset:120 ; 4-byte Folded Reload
	s_nop 0
	buffer_load_dword v22, off, s[20:23], 0 offset:124 ; 4-byte Folded Reload
	s_waitcnt vmcnt(0)
	global_store_dwordx4 v[21:22], v[17:20], off
	buffer_load_dword v17, off, s[20:23], 0 offset:128 ; 4-byte Folded Reload
	s_nop 0
	buffer_load_dword v18, off, s[20:23], 0 offset:132 ; 4-byte Folded Reload
	s_waitcnt vmcnt(0)
	global_store_dwordx4 v[17:18], v[13:16], off
	buffer_load_dword v13, off, s[20:23], 0 offset:136 ; 4-byte Folded Reload
	s_nop 0
	buffer_load_dword v14, off, s[20:23], 0 offset:140 ; 4-byte Folded Reload
	s_waitcnt vmcnt(0)
	global_store_dwordx4 v[13:14], v[9:12], off
	buffer_load_dword v9, off, s[20:23], 0 offset:144 ; 4-byte Folded Reload
	s_nop 0
	buffer_load_dword v10, off, s[20:23], 0 offset:148 ; 4-byte Folded Reload
	s_waitcnt vmcnt(0)
	global_store_dwordx4 v[9:10], v[5:8], off
	buffer_load_dword v5, off, s[20:23], 0 offset:152 ; 4-byte Folded Reload
	s_nop 0
	buffer_load_dword v6, off, s[20:23], 0 offset:156 ; 4-byte Folded Reload
	s_waitcnt vmcnt(0)
	global_store_dwordx4 v[5:6], v[1:4], off
	buffer_load_dword v0, off, s[20:23], 0 offset:160 ; 4-byte Folded Reload
	s_nop 0
	buffer_load_dword v1, off, s[20:23], 0 offset:164 ; 4-byte Folded Reload
	s_waitcnt vmcnt(0)
	global_store_dwordx4 v[0:1], v[49:52], off
.LBB41_192:
	s_endpgm
	.section	.rodata,"a",@progbits
	.p2align	6, 0x0
	.amdhsa_kernel _ZN9rocsolver6v33100L23getf2_npvt_small_kernelILi21E19rocblas_complex_numIdEiiPS3_EEvT1_T3_lS5_lPT2_S5_S5_
		.amdhsa_group_segment_fixed_size 0
		.amdhsa_private_segment_fixed_size 388
		.amdhsa_kernarg_size 312
		.amdhsa_user_sgpr_count 6
		.amdhsa_user_sgpr_private_segment_buffer 1
		.amdhsa_user_sgpr_dispatch_ptr 0
		.amdhsa_user_sgpr_queue_ptr 0
		.amdhsa_user_sgpr_kernarg_segment_ptr 1
		.amdhsa_user_sgpr_dispatch_id 0
		.amdhsa_user_sgpr_flat_scratch_init 0
		.amdhsa_user_sgpr_private_segment_size 0
		.amdhsa_uses_dynamic_stack 0
		.amdhsa_system_sgpr_private_segment_wavefront_offset 1
		.amdhsa_system_sgpr_workgroup_id_x 1
		.amdhsa_system_sgpr_workgroup_id_y 1
		.amdhsa_system_sgpr_workgroup_id_z 0
		.amdhsa_system_sgpr_workgroup_info 0
		.amdhsa_system_vgpr_workitem_id 1
		.amdhsa_next_free_vgpr 128
		.amdhsa_next_free_sgpr 24
		.amdhsa_reserve_vcc 1
		.amdhsa_reserve_flat_scratch 0
		.amdhsa_float_round_mode_32 0
		.amdhsa_float_round_mode_16_64 0
		.amdhsa_float_denorm_mode_32 3
		.amdhsa_float_denorm_mode_16_64 3
		.amdhsa_dx10_clamp 1
		.amdhsa_ieee_mode 1
		.amdhsa_fp16_overflow 0
		.amdhsa_exception_fp_ieee_invalid_op 0
		.amdhsa_exception_fp_denorm_src 0
		.amdhsa_exception_fp_ieee_div_zero 0
		.amdhsa_exception_fp_ieee_overflow 0
		.amdhsa_exception_fp_ieee_underflow 0
		.amdhsa_exception_fp_ieee_inexact 0
		.amdhsa_exception_int_div_zero 0
	.end_amdhsa_kernel
	.section	.text._ZN9rocsolver6v33100L23getf2_npvt_small_kernelILi21E19rocblas_complex_numIdEiiPS3_EEvT1_T3_lS5_lPT2_S5_S5_,"axG",@progbits,_ZN9rocsolver6v33100L23getf2_npvt_small_kernelILi21E19rocblas_complex_numIdEiiPS3_EEvT1_T3_lS5_lPT2_S5_S5_,comdat
.Lfunc_end41:
	.size	_ZN9rocsolver6v33100L23getf2_npvt_small_kernelILi21E19rocblas_complex_numIdEiiPS3_EEvT1_T3_lS5_lPT2_S5_S5_, .Lfunc_end41-_ZN9rocsolver6v33100L23getf2_npvt_small_kernelILi21E19rocblas_complex_numIdEiiPS3_EEvT1_T3_lS5_lPT2_S5_S5_
                                        ; -- End function
	.set _ZN9rocsolver6v33100L23getf2_npvt_small_kernelILi21E19rocblas_complex_numIdEiiPS3_EEvT1_T3_lS5_lPT2_S5_S5_.num_vgpr, 128
	.set _ZN9rocsolver6v33100L23getf2_npvt_small_kernelILi21E19rocblas_complex_numIdEiiPS3_EEvT1_T3_lS5_lPT2_S5_S5_.num_agpr, 0
	.set _ZN9rocsolver6v33100L23getf2_npvt_small_kernelILi21E19rocblas_complex_numIdEiiPS3_EEvT1_T3_lS5_lPT2_S5_S5_.numbered_sgpr, 24
	.set _ZN9rocsolver6v33100L23getf2_npvt_small_kernelILi21E19rocblas_complex_numIdEiiPS3_EEvT1_T3_lS5_lPT2_S5_S5_.num_named_barrier, 0
	.set _ZN9rocsolver6v33100L23getf2_npvt_small_kernelILi21E19rocblas_complex_numIdEiiPS3_EEvT1_T3_lS5_lPT2_S5_S5_.private_seg_size, 388
	.set _ZN9rocsolver6v33100L23getf2_npvt_small_kernelILi21E19rocblas_complex_numIdEiiPS3_EEvT1_T3_lS5_lPT2_S5_S5_.uses_vcc, 1
	.set _ZN9rocsolver6v33100L23getf2_npvt_small_kernelILi21E19rocblas_complex_numIdEiiPS3_EEvT1_T3_lS5_lPT2_S5_S5_.uses_flat_scratch, 0
	.set _ZN9rocsolver6v33100L23getf2_npvt_small_kernelILi21E19rocblas_complex_numIdEiiPS3_EEvT1_T3_lS5_lPT2_S5_S5_.has_dyn_sized_stack, 0
	.set _ZN9rocsolver6v33100L23getf2_npvt_small_kernelILi21E19rocblas_complex_numIdEiiPS3_EEvT1_T3_lS5_lPT2_S5_S5_.has_recursion, 0
	.set _ZN9rocsolver6v33100L23getf2_npvt_small_kernelILi21E19rocblas_complex_numIdEiiPS3_EEvT1_T3_lS5_lPT2_S5_S5_.has_indirect_call, 0
	.section	.AMDGPU.csdata,"",@progbits
; Kernel info:
; codeLenInByte = 30456
; TotalNumSgprs: 28
; NumVgprs: 128
; ScratchSize: 388
; MemoryBound: 1
; FloatMode: 240
; IeeeMode: 1
; LDSByteSize: 0 bytes/workgroup (compile time only)
; SGPRBlocks: 3
; VGPRBlocks: 31
; NumSGPRsForWavesPerEU: 28
; NumVGPRsForWavesPerEU: 128
; Occupancy: 2
; WaveLimiterHint : 0
; COMPUTE_PGM_RSRC2:SCRATCH_EN: 1
; COMPUTE_PGM_RSRC2:USER_SGPR: 6
; COMPUTE_PGM_RSRC2:TRAP_HANDLER: 0
; COMPUTE_PGM_RSRC2:TGID_X_EN: 1
; COMPUTE_PGM_RSRC2:TGID_Y_EN: 1
; COMPUTE_PGM_RSRC2:TGID_Z_EN: 0
; COMPUTE_PGM_RSRC2:TIDIG_COMP_CNT: 1
	.section	.text._ZN9rocsolver6v33100L18getf2_small_kernelILi22E19rocblas_complex_numIdEiiPS3_EEvT1_T3_lS5_lPS5_llPT2_S5_S5_S7_l,"axG",@progbits,_ZN9rocsolver6v33100L18getf2_small_kernelILi22E19rocblas_complex_numIdEiiPS3_EEvT1_T3_lS5_lPS5_llPT2_S5_S5_S7_l,comdat
	.globl	_ZN9rocsolver6v33100L18getf2_small_kernelILi22E19rocblas_complex_numIdEiiPS3_EEvT1_T3_lS5_lPS5_llPT2_S5_S5_S7_l ; -- Begin function _ZN9rocsolver6v33100L18getf2_small_kernelILi22E19rocblas_complex_numIdEiiPS3_EEvT1_T3_lS5_lPS5_llPT2_S5_S5_S7_l
	.p2align	8
	.type	_ZN9rocsolver6v33100L18getf2_small_kernelILi22E19rocblas_complex_numIdEiiPS3_EEvT1_T3_lS5_lPS5_llPT2_S5_S5_S7_l,@function
_ZN9rocsolver6v33100L18getf2_small_kernelILi22E19rocblas_complex_numIdEiiPS3_EEvT1_T3_lS5_lPS5_llPT2_S5_S5_S7_l: ; @_ZN9rocsolver6v33100L18getf2_small_kernelILi22E19rocblas_complex_numIdEiiPS3_EEvT1_T3_lS5_lPS5_llPT2_S5_S5_S7_l
; %bb.0:
	s_load_dword s0, s[4:5], 0x6c
	s_load_dwordx2 s[16:17], s[4:5], 0x48
	s_waitcnt lgkmcnt(0)
	s_lshr_b32 s0, s0, 16
	s_mul_i32 s7, s7, s0
	v_add_u32_e32 v94, s7, v1
	v_cmp_gt_i32_e32 vcc, s16, v94
	s_and_saveexec_b64 s[0:1], vcc
	s_cbranch_execz .LBB42_463
; %bb.1:
	s_load_dwordx4 s[0:3], s[4:5], 0x50
	v_mov_b32_e32 v96, 0
	v_ashrrev_i32_e32 v95, 31, v94
	v_mov_b32_e32 v97, 0
	s_waitcnt lgkmcnt(0)
	s_cmp_eq_u64 s[0:1], 0
	s_cselect_b64 s[18:19], -1, 0
	s_and_b64 vcc, exec, s[18:19]
	s_cbranch_vccnz .LBB42_3
; %bb.2:
	v_mul_lo_u32 v4, s3, v94
	v_mul_lo_u32 v5, s2, v95
	v_mad_u64_u32 v[2:3], s[2:3], s2, v94, 0
	v_add3_u32 v3, v3, v5, v4
	v_lshlrev_b64 v[2:3], 2, v[2:3]
	v_mov_b32_e32 v4, s1
	v_add_co_u32_e32 v96, vcc, s0, v2
	v_addc_co_u32_e32 v97, vcc, v4, v3, vcc
.LBB42_3:
	s_load_dwordx8 s[8:15], s[4:5], 0x20
	s_load_dwordx4 s[0:3], s[4:5], 0x8
	v_lshlrev_b32_e32 v100, 4, v0
	s_waitcnt lgkmcnt(0)
	v_mul_lo_u32 v4, s9, v94
	v_mul_lo_u32 v5, s8, v95
	v_mad_u64_u32 v[2:3], s[6:7], s8, v94, 0
	s_load_dword s6, s[4:5], 0x18
	s_load_dword s22, s[4:5], 0x0
	v_mov_b32_e32 v6, s1
	v_add3_u32 v3, v3, v5, v4
	v_lshlrev_b64 v[2:3], 4, v[2:3]
	s_waitcnt lgkmcnt(0)
	s_add_i32 s16, s6, s6
	v_add_co_u32_e32 v2, vcc, s0, v2
	v_addc_co_u32_e32 v3, vcc, v6, v3, vcc
	s_lshl_b64 s[0:1], s[2:3], 4
	v_mov_b32_e32 v4, s1
	v_add_co_u32_e32 v101, vcc, s0, v2
	v_add_u32_e32 v2, s16, v0
	v_addc_co_u32_e32 v102, vcc, v3, v4, vcc
	v_ashrrev_i32_e32 v3, 31, v2
	v_lshlrev_b64 v[3:4], 4, v[2:3]
	v_add_u32_e32 v5, s6, v2
	v_ashrrev_i32_e32 v6, 31, v5
	v_add_co_u32_e32 v3, vcc, v101, v3
	v_lshlrev_b64 v[6:7], 4, v[5:6]
	v_add_u32_e32 v8, s6, v5
	v_addc_co_u32_e32 v4, vcc, v102, v4, vcc
	v_ashrrev_i32_e32 v9, 31, v8
	v_add_co_u32_e32 v6, vcc, v101, v6
	v_lshlrev_b64 v[9:10], 4, v[8:9]
	v_add_u32_e32 v11, s6, v8
	v_addc_co_u32_e32 v7, vcc, v102, v7, vcc
	;; [unrolled: 5-line block ×8, first 2 shown]
	v_ashrrev_i32_e32 v30, 31, v29
	v_add_co_u32_e32 v27, vcc, v101, v27
	v_lshlrev_b64 v[30:31], 4, v[29:30]
	v_addc_co_u32_e32 v28, vcc, v102, v28, vcc
	v_add_co_u32_e32 v30, vcc, v101, v30
	v_add_u32_e32 v32, s6, v29
	v_addc_co_u32_e32 v31, vcc, v102, v31, vcc
	v_ashrrev_i32_e32 v33, 31, v32
	v_lshlrev_b64 v[33:34], 4, v[32:33]
	v_add_co_u32_e32 v35, vcc, v101, v100
	v_add_u32_e32 v37, s6, v32
	v_addc_co_u32_e32 v36, vcc, 0, v102, vcc
	v_ashrrev_i32_e32 v38, 31, v37
	v_add_co_u32_e32 v33, vcc, v101, v33
	v_lshlrev_b64 v[38:39], 4, v[37:38]
	v_addc_co_u32_e32 v34, vcc, v102, v34, vcc
	v_add_u32_e32 v37, s6, v37
	v_add_co_u32_e32 v86, vcc, v101, v38
	v_ashrrev_i32_e32 v38, 31, v37
	v_addc_co_u32_e32 v87, vcc, v102, v39, vcc
	v_lshlrev_b64 v[38:39], 4, v[37:38]
	v_add_u32_e32 v37, s6, v37
	v_add_co_u32_e32 v88, vcc, v101, v38
	v_ashrrev_i32_e32 v38, 31, v37
	v_addc_co_u32_e32 v89, vcc, v102, v39, vcc
	v_lshlrev_b64 v[38:39], 4, v[37:38]
	;; [unrolled: 5-line block ×7, first 2 shown]
	v_add_u32_e32 v37, s6, v37
	v_add_co_u32_e32 v107, vcc, v101, v38
	v_ashrrev_i32_e32 v38, 31, v37
	v_lshlrev_b64 v[37:38], 4, v[37:38]
	v_addc_co_u32_e32 v108, vcc, v102, v39, vcc
	v_add_co_u32_e32 v109, vcc, v101, v37
	s_ashr_i32 s7, s6, 31
	v_addc_co_u32_e32 v110, vcc, v102, v38, vcc
	s_lshl_b64 s[2:3], s[6:7], 4
	v_mov_b32_e32 v2, s3
	v_add_co_u32_e32 v37, vcc, s2, v35
	v_addc_co_u32_e32 v38, vcc, v36, v2, vcc
	global_load_dwordx4 v[82:85], v[35:36], off
	global_load_dwordx4 v[78:81], v[37:38], off
                                        ; kill: killed $vgpr35 killed $vgpr36
                                        ; kill: killed $vgpr37 killed $vgpr38
	global_load_dwordx4 v[74:77], v[3:4], off
	global_load_dwordx4 v[70:73], v[6:7], off
	;; [unrolled: 1-line block ×10, first 2 shown]
	s_nop 0
	global_load_dwordx4 v[34:37], v[33:34], off
	s_nop 0
	global_load_dwordx4 v[30:33], v[86:87], off
	global_load_dwordx4 v[26:29], v[88:89], off
	;; [unrolled: 1-line block ×9, first 2 shown]
	s_max_i32 s0, s22, 22
	v_mul_lo_u32 v98, s0, v1
	s_load_dwordx2 s[4:5], s[4:5], 0x40
	s_cmp_lt_i32 s22, 2
	v_lshl_add_u32 v1, v98, 4, 0
	v_add_u32_e32 v90, v1, v100
	v_lshlrev_b32_e32 v104, 4, v98
	v_mov_b32_e32 v98, 0
	s_waitcnt vmcnt(21)
	ds_write2_b64 v90, v[82:83], v[84:85] offset1:1
	s_waitcnt vmcnt(0) lgkmcnt(0)
	s_barrier
	ds_read2_b64 v[90:93], v1 offset1:1
	s_cbranch_scc1 .LBB42_6
; %bb.4:
	v_add3_u32 v99, v104, 0, 16
	s_mov_b32 s7, 1
	v_mov_b32_e32 v98, 0
.LBB42_5:                               ; =>This Inner Loop Header: Depth=1
	s_waitcnt lgkmcnt(0)
	v_cmp_gt_f64_e32 vcc, 0, v[92:93]
	v_cmp_gt_f64_e64 s[0:1], 0, v[90:91]
	ds_read2_b64 v[105:108], v99 offset1:1
	v_xor_b32_e32 v100, 0x80000000, v91
	v_xor_b32_e32 v103, 0x80000000, v93
	v_mov_b32_e32 v109, v90
	v_mov_b32_e32 v111, v92
	s_waitcnt lgkmcnt(0)
	v_mov_b32_e32 v113, v107
	v_cndmask_b32_e32 v112, v93, v103, vcc
	v_cndmask_b32_e64 v110, v91, v100, s[0:1]
	v_cmp_gt_f64_e32 vcc, 0, v[107:108]
	v_cmp_gt_f64_e64 s[0:1], 0, v[105:106]
	v_xor_b32_e32 v100, 0x80000000, v106
	v_xor_b32_e32 v103, 0x80000000, v108
	v_add_f64 v[109:110], v[109:110], v[111:112]
	v_mov_b32_e32 v111, v105
	v_add_u32_e32 v99, 16, v99
	v_cndmask_b32_e32 v114, v108, v103, vcc
	v_cndmask_b32_e64 v112, v106, v100, s[0:1]
	v_add_f64 v[111:112], v[111:112], v[113:114]
	v_mov_b32_e32 v100, s7
	s_add_i32 s7, s7, 1
	s_cmp_eq_u32 s22, s7
	v_cmp_lt_f64_e32 vcc, v[109:110], v[111:112]
	v_cndmask_b32_e32 v91, v91, v106, vcc
	v_cndmask_b32_e32 v90, v90, v105, vcc
	;; [unrolled: 1-line block ×5, first 2 shown]
	s_cbranch_scc0 .LBB42_5
.LBB42_6:
	s_waitcnt lgkmcnt(0)
	v_cmp_neq_f64_e32 vcc, 0, v[90:91]
	v_cmp_neq_f64_e64 s[0:1], 0, v[92:93]
	v_mov_b32_e32 v103, 1
	v_mov_b32_e32 v105, 1
	s_or_b64 s[8:9], vcc, s[0:1]
	s_and_saveexec_b64 s[0:1], s[8:9]
	s_cbranch_execz .LBB42_12
; %bb.7:
	v_cmp_ngt_f64_e64 s[8:9], |v[90:91]|, |v[92:93]|
	s_and_saveexec_b64 s[20:21], s[8:9]
	s_xor_b64 s[8:9], exec, s[20:21]
	s_cbranch_execz .LBB42_9
; %bb.8:
	v_div_scale_f64 v[99:100], s[20:21], v[92:93], v[92:93], v[90:91]
	v_rcp_f64_e32 v[105:106], v[99:100]
	v_fma_f64 v[107:108], -v[99:100], v[105:106], 1.0
	v_fma_f64 v[105:106], v[105:106], v[107:108], v[105:106]
	v_div_scale_f64 v[107:108], vcc, v[90:91], v[92:93], v[90:91]
	v_fma_f64 v[109:110], -v[99:100], v[105:106], 1.0
	v_fma_f64 v[105:106], v[105:106], v[109:110], v[105:106]
	v_mul_f64 v[109:110], v[107:108], v[105:106]
	v_fma_f64 v[99:100], -v[99:100], v[109:110], v[107:108]
	v_div_fmas_f64 v[99:100], v[99:100], v[105:106], v[109:110]
	v_div_fixup_f64 v[99:100], v[99:100], v[92:93], v[90:91]
	v_fma_f64 v[90:91], v[90:91], v[99:100], v[92:93]
	v_div_scale_f64 v[92:93], s[20:21], v[90:91], v[90:91], 1.0
	v_div_scale_f64 v[109:110], vcc, 1.0, v[90:91], 1.0
	v_rcp_f64_e32 v[105:106], v[92:93]
	v_fma_f64 v[107:108], -v[92:93], v[105:106], 1.0
	v_fma_f64 v[105:106], v[105:106], v[107:108], v[105:106]
	v_fma_f64 v[107:108], -v[92:93], v[105:106], 1.0
	v_fma_f64 v[105:106], v[105:106], v[107:108], v[105:106]
	v_mul_f64 v[107:108], v[109:110], v[105:106]
	v_fma_f64 v[92:93], -v[92:93], v[107:108], v[109:110]
	v_div_fmas_f64 v[92:93], v[92:93], v[105:106], v[107:108]
	v_div_fixup_f64 v[92:93], v[92:93], v[90:91], 1.0
	v_mul_f64 v[90:91], v[99:100], v[92:93]
	v_xor_b32_e32 v93, 0x80000000, v93
.LBB42_9:
	s_andn2_saveexec_b64 s[8:9], s[8:9]
	s_cbranch_execz .LBB42_11
; %bb.10:
	v_div_scale_f64 v[99:100], s[20:21], v[90:91], v[90:91], v[92:93]
	v_rcp_f64_e32 v[105:106], v[99:100]
	v_fma_f64 v[107:108], -v[99:100], v[105:106], 1.0
	v_fma_f64 v[105:106], v[105:106], v[107:108], v[105:106]
	v_div_scale_f64 v[107:108], vcc, v[92:93], v[90:91], v[92:93]
	v_fma_f64 v[109:110], -v[99:100], v[105:106], 1.0
	v_fma_f64 v[105:106], v[105:106], v[109:110], v[105:106]
	v_mul_f64 v[109:110], v[107:108], v[105:106]
	v_fma_f64 v[99:100], -v[99:100], v[109:110], v[107:108]
	v_div_fmas_f64 v[99:100], v[99:100], v[105:106], v[109:110]
	v_div_fixup_f64 v[99:100], v[99:100], v[90:91], v[92:93]
	v_fma_f64 v[90:91], v[92:93], v[99:100], v[90:91]
	v_div_scale_f64 v[92:93], s[20:21], v[90:91], v[90:91], 1.0
	v_div_scale_f64 v[109:110], vcc, 1.0, v[90:91], 1.0
	v_rcp_f64_e32 v[105:106], v[92:93]
	v_fma_f64 v[107:108], -v[92:93], v[105:106], 1.0
	v_fma_f64 v[105:106], v[105:106], v[107:108], v[105:106]
	v_fma_f64 v[107:108], -v[92:93], v[105:106], 1.0
	v_fma_f64 v[105:106], v[105:106], v[107:108], v[105:106]
	v_mul_f64 v[107:108], v[109:110], v[105:106]
	v_fma_f64 v[92:93], -v[92:93], v[107:108], v[109:110]
	v_div_fmas_f64 v[92:93], v[92:93], v[105:106], v[107:108]
	v_div_fixup_f64 v[90:91], v[92:93], v[90:91], 1.0
	v_mul_f64 v[92:93], v[99:100], -v[90:91]
.LBB42_11:
	s_or_b64 exec, exec, s[8:9]
	v_mov_b32_e32 v105, 0
	v_mov_b32_e32 v103, 2
.LBB42_12:
	s_or_b64 exec, exec, s[0:1]
	v_cmp_ne_u32_e32 vcc, v0, v98
	s_and_saveexec_b64 s[0:1], vcc
	s_xor_b64 s[0:1], exec, s[0:1]
	s_cbranch_execz .LBB42_18
; %bb.13:
	v_cmp_eq_u32_e32 vcc, 0, v0
	s_and_saveexec_b64 s[8:9], vcc
	s_cbranch_execz .LBB42_17
; %bb.14:
	v_cmp_ne_u32_e32 vcc, 0, v98
	s_xor_b64 s[20:21], s[18:19], -1
	s_and_b64 s[24:25], s[20:21], vcc
	s_and_saveexec_b64 s[20:21], s[24:25]
	s_cbranch_execz .LBB42_16
; %bb.15:
	v_ashrrev_i32_e32 v99, 31, v98
	v_lshlrev_b64 v[99:100], 2, v[98:99]
	v_add_co_u32_e32 v99, vcc, v96, v99
	v_addc_co_u32_e32 v100, vcc, v97, v100, vcc
	global_load_dword v0, v[99:100], off
	global_load_dword v106, v[96:97], off
	s_waitcnt vmcnt(1)
	global_store_dword v[96:97], v0, off
	s_waitcnt vmcnt(1)
	global_store_dword v[99:100], v106, off
.LBB42_16:
	s_or_b64 exec, exec, s[20:21]
	v_mov_b32_e32 v0, v98
.LBB42_17:
	s_or_b64 exec, exec, s[8:9]
.LBB42_18:
	s_or_saveexec_b64 s[0:1], s[0:1]
	v_mov_b32_e32 v100, v0
	s_xor_b64 exec, exec, s[0:1]
	s_cbranch_execz .LBB42_20
; %bb.19:
	v_mov_b32_e32 v100, 0
	ds_write2_b64 v1, v[78:79], v[80:81] offset0:2 offset1:3
	ds_write2_b64 v1, v[74:75], v[76:77] offset0:4 offset1:5
	;; [unrolled: 1-line block ×21, first 2 shown]
.LBB42_20:
	s_or_b64 exec, exec, s[0:1]
	v_cmp_lt_i32_e32 vcc, 0, v100
	s_waitcnt vmcnt(0) lgkmcnt(0)
	s_barrier
	s_and_saveexec_b64 s[0:1], vcc
	s_cbranch_execz .LBB42_22
; %bb.21:
	v_mul_f64 v[98:99], v[92:93], v[84:85]
	v_mul_f64 v[84:85], v[90:91], v[84:85]
	v_fma_f64 v[98:99], v[90:91], v[82:83], -v[98:99]
	v_fma_f64 v[84:85], v[92:93], v[82:83], v[84:85]
	ds_read2_b64 v[90:93], v1 offset0:2 offset1:3
	s_waitcnt lgkmcnt(0)
	v_mul_f64 v[82:83], v[92:93], v[84:85]
	v_fma_f64 v[82:83], v[90:91], v[98:99], -v[82:83]
	v_mul_f64 v[90:91], v[90:91], v[84:85]
	v_add_f64 v[78:79], v[78:79], -v[82:83]
	v_fma_f64 v[90:91], v[92:93], v[98:99], v[90:91]
	v_add_f64 v[80:81], v[80:81], -v[90:91]
	ds_read2_b64 v[90:93], v1 offset0:4 offset1:5
	s_waitcnt lgkmcnt(0)
	v_mul_f64 v[82:83], v[92:93], v[84:85]
	v_fma_f64 v[82:83], v[90:91], v[98:99], -v[82:83]
	v_mul_f64 v[90:91], v[90:91], v[84:85]
	v_add_f64 v[74:75], v[74:75], -v[82:83]
	v_fma_f64 v[90:91], v[92:93], v[98:99], v[90:91]
	v_add_f64 v[76:77], v[76:77], -v[90:91]
	ds_read2_b64 v[90:93], v1 offset0:6 offset1:7
	s_waitcnt lgkmcnt(0)
	v_mul_f64 v[82:83], v[92:93], v[84:85]
	v_fma_f64 v[82:83], v[90:91], v[98:99], -v[82:83]
	v_mul_f64 v[90:91], v[90:91], v[84:85]
	v_add_f64 v[70:71], v[70:71], -v[82:83]
	v_fma_f64 v[90:91], v[92:93], v[98:99], v[90:91]
	v_add_f64 v[72:73], v[72:73], -v[90:91]
	ds_read2_b64 v[90:93], v1 offset0:8 offset1:9
	s_waitcnt lgkmcnt(0)
	v_mul_f64 v[82:83], v[92:93], v[84:85]
	v_fma_f64 v[82:83], v[90:91], v[98:99], -v[82:83]
	v_mul_f64 v[90:91], v[90:91], v[84:85]
	v_add_f64 v[66:67], v[66:67], -v[82:83]
	v_fma_f64 v[90:91], v[92:93], v[98:99], v[90:91]
	v_add_f64 v[68:69], v[68:69], -v[90:91]
	ds_read2_b64 v[90:93], v1 offset0:10 offset1:11
	s_waitcnt lgkmcnt(0)
	v_mul_f64 v[82:83], v[92:93], v[84:85]
	v_fma_f64 v[82:83], v[90:91], v[98:99], -v[82:83]
	v_mul_f64 v[90:91], v[90:91], v[84:85]
	v_add_f64 v[62:63], v[62:63], -v[82:83]
	v_fma_f64 v[90:91], v[92:93], v[98:99], v[90:91]
	v_add_f64 v[64:65], v[64:65], -v[90:91]
	ds_read2_b64 v[90:93], v1 offset0:12 offset1:13
	s_waitcnt lgkmcnt(0)
	v_mul_f64 v[82:83], v[92:93], v[84:85]
	v_fma_f64 v[82:83], v[90:91], v[98:99], -v[82:83]
	v_mul_f64 v[90:91], v[90:91], v[84:85]
	v_add_f64 v[58:59], v[58:59], -v[82:83]
	v_fma_f64 v[90:91], v[92:93], v[98:99], v[90:91]
	v_add_f64 v[60:61], v[60:61], -v[90:91]
	ds_read2_b64 v[90:93], v1 offset0:14 offset1:15
	s_waitcnt lgkmcnt(0)
	v_mul_f64 v[82:83], v[92:93], v[84:85]
	v_fma_f64 v[82:83], v[90:91], v[98:99], -v[82:83]
	v_mul_f64 v[90:91], v[90:91], v[84:85]
	v_add_f64 v[54:55], v[54:55], -v[82:83]
	v_fma_f64 v[90:91], v[92:93], v[98:99], v[90:91]
	v_add_f64 v[56:57], v[56:57], -v[90:91]
	ds_read2_b64 v[90:93], v1 offset0:16 offset1:17
	s_waitcnt lgkmcnt(0)
	v_mul_f64 v[82:83], v[92:93], v[84:85]
	v_fma_f64 v[82:83], v[90:91], v[98:99], -v[82:83]
	v_mul_f64 v[90:91], v[90:91], v[84:85]
	v_add_f64 v[50:51], v[50:51], -v[82:83]
	v_fma_f64 v[90:91], v[92:93], v[98:99], v[90:91]
	v_add_f64 v[52:53], v[52:53], -v[90:91]
	ds_read2_b64 v[90:93], v1 offset0:18 offset1:19
	s_waitcnt lgkmcnt(0)
	v_mul_f64 v[82:83], v[92:93], v[84:85]
	v_fma_f64 v[82:83], v[90:91], v[98:99], -v[82:83]
	v_mul_f64 v[90:91], v[90:91], v[84:85]
	v_add_f64 v[46:47], v[46:47], -v[82:83]
	v_fma_f64 v[90:91], v[92:93], v[98:99], v[90:91]
	v_add_f64 v[48:49], v[48:49], -v[90:91]
	ds_read2_b64 v[90:93], v1 offset0:20 offset1:21
	s_waitcnt lgkmcnt(0)
	v_mul_f64 v[82:83], v[92:93], v[84:85]
	v_fma_f64 v[82:83], v[90:91], v[98:99], -v[82:83]
	v_mul_f64 v[90:91], v[90:91], v[84:85]
	v_add_f64 v[42:43], v[42:43], -v[82:83]
	v_fma_f64 v[90:91], v[92:93], v[98:99], v[90:91]
	v_add_f64 v[44:45], v[44:45], -v[90:91]
	ds_read2_b64 v[90:93], v1 offset0:22 offset1:23
	s_waitcnt lgkmcnt(0)
	v_mul_f64 v[82:83], v[92:93], v[84:85]
	v_fma_f64 v[82:83], v[90:91], v[98:99], -v[82:83]
	v_mul_f64 v[90:91], v[90:91], v[84:85]
	v_add_f64 v[38:39], v[38:39], -v[82:83]
	v_fma_f64 v[90:91], v[92:93], v[98:99], v[90:91]
	v_add_f64 v[40:41], v[40:41], -v[90:91]
	ds_read2_b64 v[90:93], v1 offset0:24 offset1:25
	s_waitcnt lgkmcnt(0)
	v_mul_f64 v[82:83], v[92:93], v[84:85]
	v_fma_f64 v[82:83], v[90:91], v[98:99], -v[82:83]
	v_mul_f64 v[90:91], v[90:91], v[84:85]
	v_add_f64 v[34:35], v[34:35], -v[82:83]
	v_fma_f64 v[90:91], v[92:93], v[98:99], v[90:91]
	v_add_f64 v[36:37], v[36:37], -v[90:91]
	ds_read2_b64 v[90:93], v1 offset0:26 offset1:27
	s_waitcnt lgkmcnt(0)
	v_mul_f64 v[82:83], v[92:93], v[84:85]
	v_fma_f64 v[82:83], v[90:91], v[98:99], -v[82:83]
	v_mul_f64 v[90:91], v[90:91], v[84:85]
	v_add_f64 v[30:31], v[30:31], -v[82:83]
	v_fma_f64 v[90:91], v[92:93], v[98:99], v[90:91]
	v_add_f64 v[32:33], v[32:33], -v[90:91]
	ds_read2_b64 v[90:93], v1 offset0:28 offset1:29
	s_waitcnt lgkmcnt(0)
	v_mul_f64 v[82:83], v[92:93], v[84:85]
	v_fma_f64 v[82:83], v[90:91], v[98:99], -v[82:83]
	v_mul_f64 v[90:91], v[90:91], v[84:85]
	v_add_f64 v[26:27], v[26:27], -v[82:83]
	v_fma_f64 v[90:91], v[92:93], v[98:99], v[90:91]
	v_add_f64 v[28:29], v[28:29], -v[90:91]
	ds_read2_b64 v[90:93], v1 offset0:30 offset1:31
	s_waitcnt lgkmcnt(0)
	v_mul_f64 v[82:83], v[92:93], v[84:85]
	v_fma_f64 v[82:83], v[90:91], v[98:99], -v[82:83]
	v_mul_f64 v[90:91], v[90:91], v[84:85]
	v_add_f64 v[22:23], v[22:23], -v[82:83]
	v_fma_f64 v[90:91], v[92:93], v[98:99], v[90:91]
	v_add_f64 v[24:25], v[24:25], -v[90:91]
	ds_read2_b64 v[90:93], v1 offset0:32 offset1:33
	s_waitcnt lgkmcnt(0)
	v_mul_f64 v[82:83], v[92:93], v[84:85]
	v_fma_f64 v[82:83], v[90:91], v[98:99], -v[82:83]
	v_mul_f64 v[90:91], v[90:91], v[84:85]
	v_add_f64 v[18:19], v[18:19], -v[82:83]
	v_fma_f64 v[90:91], v[92:93], v[98:99], v[90:91]
	v_add_f64 v[20:21], v[20:21], -v[90:91]
	ds_read2_b64 v[90:93], v1 offset0:34 offset1:35
	s_waitcnt lgkmcnt(0)
	v_mul_f64 v[82:83], v[92:93], v[84:85]
	v_fma_f64 v[82:83], v[90:91], v[98:99], -v[82:83]
	v_mul_f64 v[90:91], v[90:91], v[84:85]
	v_add_f64 v[14:15], v[14:15], -v[82:83]
	v_fma_f64 v[90:91], v[92:93], v[98:99], v[90:91]
	v_add_f64 v[16:17], v[16:17], -v[90:91]
	ds_read2_b64 v[90:93], v1 offset0:36 offset1:37
	s_waitcnt lgkmcnt(0)
	v_mul_f64 v[82:83], v[92:93], v[84:85]
	v_fma_f64 v[82:83], v[90:91], v[98:99], -v[82:83]
	v_mul_f64 v[90:91], v[90:91], v[84:85]
	v_add_f64 v[10:11], v[10:11], -v[82:83]
	v_fma_f64 v[90:91], v[92:93], v[98:99], v[90:91]
	v_add_f64 v[12:13], v[12:13], -v[90:91]
	ds_read2_b64 v[90:93], v1 offset0:38 offset1:39
	s_waitcnt lgkmcnt(0)
	v_mul_f64 v[82:83], v[92:93], v[84:85]
	v_fma_f64 v[82:83], v[90:91], v[98:99], -v[82:83]
	v_mul_f64 v[90:91], v[90:91], v[84:85]
	v_add_f64 v[6:7], v[6:7], -v[82:83]
	v_fma_f64 v[90:91], v[92:93], v[98:99], v[90:91]
	v_add_f64 v[8:9], v[8:9], -v[90:91]
	ds_read2_b64 v[90:93], v1 offset0:40 offset1:41
	s_waitcnt lgkmcnt(0)
	v_mul_f64 v[82:83], v[92:93], v[84:85]
	v_fma_f64 v[82:83], v[90:91], v[98:99], -v[82:83]
	v_mul_f64 v[90:91], v[90:91], v[84:85]
	v_add_f64 v[2:3], v[2:3], -v[82:83]
	v_fma_f64 v[90:91], v[92:93], v[98:99], v[90:91]
	v_add_f64 v[4:5], v[4:5], -v[90:91]
	ds_read2_b64 v[90:93], v1 offset0:42 offset1:43
	s_waitcnt lgkmcnt(0)
	v_mul_f64 v[82:83], v[92:93], v[84:85]
	v_fma_f64 v[82:83], v[90:91], v[98:99], -v[82:83]
	v_mul_f64 v[90:91], v[90:91], v[84:85]
	v_add_f64 v[86:87], v[86:87], -v[82:83]
	v_fma_f64 v[90:91], v[92:93], v[98:99], v[90:91]
	v_mov_b32_e32 v82, v98
	v_mov_b32_e32 v83, v99
	v_add_f64 v[88:89], v[88:89], -v[90:91]
.LBB42_22:
	s_or_b64 exec, exec, s[0:1]
	v_lshl_add_u32 v90, v100, 4, v1
	s_barrier
	ds_write2_b64 v90, v[78:79], v[80:81] offset1:1
	s_waitcnt lgkmcnt(0)
	s_barrier
	ds_read2_b64 v[90:93], v1 offset0:2 offset1:3
	s_cmp_lt_i32 s22, 3
	v_mov_b32_e32 v98, 1
	s_cbranch_scc1 .LBB42_25
; %bb.23:
	v_add3_u32 v99, v104, 0, 32
	s_mov_b32 s7, 2
	v_mov_b32_e32 v98, 1
.LBB42_24:                              ; =>This Inner Loop Header: Depth=1
	s_waitcnt lgkmcnt(0)
	v_cmp_gt_f64_e32 vcc, 0, v[92:93]
	v_cmp_gt_f64_e64 s[0:1], 0, v[90:91]
	ds_read2_b64 v[106:109], v99 offset1:1
	v_xor_b32_e32 v111, 0x80000000, v91
	v_xor_b32_e32 v113, 0x80000000, v93
	v_mov_b32_e32 v110, v90
	v_mov_b32_e32 v112, v92
	s_waitcnt lgkmcnt(0)
	v_xor_b32_e32 v115, 0x80000000, v109
	v_cndmask_b32_e32 v113, v93, v113, vcc
	v_cndmask_b32_e64 v111, v91, v111, s[0:1]
	v_cmp_gt_f64_e32 vcc, 0, v[108:109]
	v_cmp_gt_f64_e64 s[0:1], 0, v[106:107]
	v_add_f64 v[110:111], v[110:111], v[112:113]
	v_xor_b32_e32 v113, 0x80000000, v107
	v_mov_b32_e32 v112, v106
	v_mov_b32_e32 v114, v108
	v_add_u32_e32 v99, 16, v99
	v_cndmask_b32_e32 v115, v109, v115, vcc
	v_cndmask_b32_e64 v113, v107, v113, s[0:1]
	v_add_f64 v[112:113], v[112:113], v[114:115]
	v_mov_b32_e32 v114, s7
	s_add_i32 s7, s7, 1
	s_cmp_lg_u32 s22, s7
	v_cmp_lt_f64_e32 vcc, v[110:111], v[112:113]
	v_cndmask_b32_e32 v91, v91, v107, vcc
	v_cndmask_b32_e32 v90, v90, v106, vcc
	;; [unrolled: 1-line block ×5, first 2 shown]
	s_cbranch_scc1 .LBB42_24
.LBB42_25:
	s_waitcnt lgkmcnt(0)
	v_cmp_neq_f64_e32 vcc, 0, v[90:91]
	v_cmp_neq_f64_e64 s[0:1], 0, v[92:93]
	s_or_b64 s[8:9], vcc, s[0:1]
	s_and_saveexec_b64 s[0:1], s[8:9]
	s_cbranch_execz .LBB42_31
; %bb.26:
	v_cmp_ngt_f64_e64 s[8:9], |v[90:91]|, |v[92:93]|
	s_and_saveexec_b64 s[20:21], s[8:9]
	s_xor_b64 s[8:9], exec, s[20:21]
	s_cbranch_execz .LBB42_28
; %bb.27:
	v_div_scale_f64 v[106:107], s[20:21], v[92:93], v[92:93], v[90:91]
	v_rcp_f64_e32 v[108:109], v[106:107]
	v_fma_f64 v[110:111], -v[106:107], v[108:109], 1.0
	v_fma_f64 v[108:109], v[108:109], v[110:111], v[108:109]
	v_div_scale_f64 v[110:111], vcc, v[90:91], v[92:93], v[90:91]
	v_fma_f64 v[112:113], -v[106:107], v[108:109], 1.0
	v_fma_f64 v[108:109], v[108:109], v[112:113], v[108:109]
	v_mul_f64 v[112:113], v[110:111], v[108:109]
	v_fma_f64 v[106:107], -v[106:107], v[112:113], v[110:111]
	v_div_fmas_f64 v[106:107], v[106:107], v[108:109], v[112:113]
	v_div_fixup_f64 v[106:107], v[106:107], v[92:93], v[90:91]
	v_fma_f64 v[90:91], v[90:91], v[106:107], v[92:93]
	v_div_scale_f64 v[92:93], s[20:21], v[90:91], v[90:91], 1.0
	v_div_scale_f64 v[112:113], vcc, 1.0, v[90:91], 1.0
	v_rcp_f64_e32 v[108:109], v[92:93]
	v_fma_f64 v[110:111], -v[92:93], v[108:109], 1.0
	v_fma_f64 v[108:109], v[108:109], v[110:111], v[108:109]
	v_fma_f64 v[110:111], -v[92:93], v[108:109], 1.0
	v_fma_f64 v[108:109], v[108:109], v[110:111], v[108:109]
	v_mul_f64 v[110:111], v[112:113], v[108:109]
	v_fma_f64 v[92:93], -v[92:93], v[110:111], v[112:113]
	v_div_fmas_f64 v[92:93], v[92:93], v[108:109], v[110:111]
	v_div_fixup_f64 v[92:93], v[92:93], v[90:91], 1.0
	v_mul_f64 v[90:91], v[106:107], v[92:93]
	v_xor_b32_e32 v93, 0x80000000, v93
.LBB42_28:
	s_andn2_saveexec_b64 s[8:9], s[8:9]
	s_cbranch_execz .LBB42_30
; %bb.29:
	v_div_scale_f64 v[106:107], s[20:21], v[90:91], v[90:91], v[92:93]
	v_rcp_f64_e32 v[108:109], v[106:107]
	v_fma_f64 v[110:111], -v[106:107], v[108:109], 1.0
	v_fma_f64 v[108:109], v[108:109], v[110:111], v[108:109]
	v_div_scale_f64 v[110:111], vcc, v[92:93], v[90:91], v[92:93]
	v_fma_f64 v[112:113], -v[106:107], v[108:109], 1.0
	v_fma_f64 v[108:109], v[108:109], v[112:113], v[108:109]
	v_mul_f64 v[112:113], v[110:111], v[108:109]
	v_fma_f64 v[106:107], -v[106:107], v[112:113], v[110:111]
	v_div_fmas_f64 v[106:107], v[106:107], v[108:109], v[112:113]
	v_div_fixup_f64 v[106:107], v[106:107], v[90:91], v[92:93]
	v_fma_f64 v[90:91], v[92:93], v[106:107], v[90:91]
	v_div_scale_f64 v[92:93], s[20:21], v[90:91], v[90:91], 1.0
	v_div_scale_f64 v[112:113], vcc, 1.0, v[90:91], 1.0
	v_rcp_f64_e32 v[108:109], v[92:93]
	v_fma_f64 v[110:111], -v[92:93], v[108:109], 1.0
	v_fma_f64 v[108:109], v[108:109], v[110:111], v[108:109]
	v_fma_f64 v[110:111], -v[92:93], v[108:109], 1.0
	v_fma_f64 v[108:109], v[108:109], v[110:111], v[108:109]
	v_mul_f64 v[110:111], v[112:113], v[108:109]
	v_fma_f64 v[92:93], -v[92:93], v[110:111], v[112:113]
	v_div_fmas_f64 v[92:93], v[92:93], v[108:109], v[110:111]
	v_div_fixup_f64 v[90:91], v[92:93], v[90:91], 1.0
	v_mul_f64 v[92:93], v[106:107], -v[90:91]
.LBB42_30:
	s_or_b64 exec, exec, s[8:9]
	v_mov_b32_e32 v103, v105
.LBB42_31:
	s_or_b64 exec, exec, s[0:1]
	v_cmp_ne_u32_e32 vcc, v100, v98
	s_and_saveexec_b64 s[0:1], vcc
	s_xor_b64 s[0:1], exec, s[0:1]
	s_cbranch_execz .LBB42_37
; %bb.32:
	v_cmp_eq_u32_e32 vcc, 1, v100
	s_and_saveexec_b64 s[8:9], vcc
	s_cbranch_execz .LBB42_36
; %bb.33:
	v_cmp_ne_u32_e32 vcc, 1, v98
	s_xor_b64 s[20:21], s[18:19], -1
	s_and_b64 s[24:25], s[20:21], vcc
	s_and_saveexec_b64 s[20:21], s[24:25]
	s_cbranch_execz .LBB42_35
; %bb.34:
	v_ashrrev_i32_e32 v99, 31, v98
	v_lshlrev_b64 v[99:100], 2, v[98:99]
	v_add_co_u32_e32 v99, vcc, v96, v99
	v_addc_co_u32_e32 v100, vcc, v97, v100, vcc
	global_load_dword v0, v[99:100], off
	global_load_dword v105, v[96:97], off offset:4
	s_waitcnt vmcnt(1)
	global_store_dword v[96:97], v0, off offset:4
	s_waitcnt vmcnt(1)
	global_store_dword v[99:100], v105, off
.LBB42_35:
	s_or_b64 exec, exec, s[20:21]
	v_mov_b32_e32 v100, v98
	v_mov_b32_e32 v0, v98
.LBB42_36:
	s_or_b64 exec, exec, s[8:9]
.LBB42_37:
	s_andn2_saveexec_b64 s[0:1], s[0:1]
	s_cbranch_execz .LBB42_39
; %bb.38:
	v_mov_b32_e32 v100, 1
	ds_write2_b64 v1, v[74:75], v[76:77] offset0:4 offset1:5
	ds_write2_b64 v1, v[70:71], v[72:73] offset0:6 offset1:7
	;; [unrolled: 1-line block ×20, first 2 shown]
.LBB42_39:
	s_or_b64 exec, exec, s[0:1]
	v_cmp_lt_i32_e32 vcc, 1, v100
	s_waitcnt vmcnt(0) lgkmcnt(0)
	s_barrier
	s_and_saveexec_b64 s[0:1], vcc
	s_cbranch_execz .LBB42_41
; %bb.40:
	v_mul_f64 v[98:99], v[92:93], v[80:81]
	v_mul_f64 v[80:81], v[90:91], v[80:81]
	v_fma_f64 v[98:99], v[90:91], v[78:79], -v[98:99]
	v_fma_f64 v[80:81], v[92:93], v[78:79], v[80:81]
	ds_read2_b64 v[90:93], v1 offset0:4 offset1:5
	s_waitcnt lgkmcnt(0)
	v_mul_f64 v[78:79], v[92:93], v[80:81]
	v_fma_f64 v[78:79], v[90:91], v[98:99], -v[78:79]
	v_mul_f64 v[90:91], v[90:91], v[80:81]
	v_add_f64 v[74:75], v[74:75], -v[78:79]
	v_fma_f64 v[90:91], v[92:93], v[98:99], v[90:91]
	v_add_f64 v[76:77], v[76:77], -v[90:91]
	ds_read2_b64 v[90:93], v1 offset0:6 offset1:7
	s_waitcnt lgkmcnt(0)
	v_mul_f64 v[78:79], v[92:93], v[80:81]
	v_fma_f64 v[78:79], v[90:91], v[98:99], -v[78:79]
	v_mul_f64 v[90:91], v[90:91], v[80:81]
	v_add_f64 v[70:71], v[70:71], -v[78:79]
	v_fma_f64 v[90:91], v[92:93], v[98:99], v[90:91]
	v_add_f64 v[72:73], v[72:73], -v[90:91]
	;; [unrolled: 8-line block ×19, first 2 shown]
	ds_read2_b64 v[90:93], v1 offset0:42 offset1:43
	s_waitcnt lgkmcnt(0)
	v_mul_f64 v[78:79], v[92:93], v[80:81]
	v_fma_f64 v[78:79], v[90:91], v[98:99], -v[78:79]
	v_mul_f64 v[90:91], v[90:91], v[80:81]
	v_add_f64 v[86:87], v[86:87], -v[78:79]
	v_fma_f64 v[90:91], v[92:93], v[98:99], v[90:91]
	v_mov_b32_e32 v78, v98
	v_mov_b32_e32 v79, v99
	v_add_f64 v[88:89], v[88:89], -v[90:91]
.LBB42_41:
	s_or_b64 exec, exec, s[0:1]
	v_lshl_add_u32 v90, v100, 4, v1
	s_barrier
	ds_write2_b64 v90, v[74:75], v[76:77] offset1:1
	s_waitcnt lgkmcnt(0)
	s_barrier
	ds_read2_b64 v[90:93], v1 offset0:4 offset1:5
	s_cmp_lt_i32 s22, 4
	v_mov_b32_e32 v98, 2
	s_cbranch_scc1 .LBB42_44
; %bb.42:
	v_add3_u32 v99, v104, 0, 48
	s_mov_b32 s7, 3
	v_mov_b32_e32 v98, 2
.LBB42_43:                              ; =>This Inner Loop Header: Depth=1
	s_waitcnt lgkmcnt(0)
	v_cmp_gt_f64_e32 vcc, 0, v[92:93]
	v_cmp_gt_f64_e64 s[0:1], 0, v[90:91]
	ds_read2_b64 v[105:108], v99 offset1:1
	v_xor_b32_e32 v110, 0x80000000, v91
	v_xor_b32_e32 v112, 0x80000000, v93
	v_mov_b32_e32 v109, v90
	v_mov_b32_e32 v111, v92
	s_waitcnt lgkmcnt(0)
	v_xor_b32_e32 v114, 0x80000000, v108
	v_cndmask_b32_e32 v112, v93, v112, vcc
	v_cndmask_b32_e64 v110, v91, v110, s[0:1]
	v_cmp_gt_f64_e32 vcc, 0, v[107:108]
	v_cmp_gt_f64_e64 s[0:1], 0, v[105:106]
	v_add_f64 v[109:110], v[109:110], v[111:112]
	v_xor_b32_e32 v112, 0x80000000, v106
	v_mov_b32_e32 v111, v105
	v_mov_b32_e32 v113, v107
	v_add_u32_e32 v99, 16, v99
	v_cndmask_b32_e32 v114, v108, v114, vcc
	v_cndmask_b32_e64 v112, v106, v112, s[0:1]
	v_add_f64 v[111:112], v[111:112], v[113:114]
	v_mov_b32_e32 v113, s7
	s_add_i32 s7, s7, 1
	s_cmp_lg_u32 s22, s7
	v_cmp_lt_f64_e32 vcc, v[109:110], v[111:112]
	v_cndmask_b32_e32 v91, v91, v106, vcc
	v_cndmask_b32_e32 v90, v90, v105, vcc
	;; [unrolled: 1-line block ×5, first 2 shown]
	s_cbranch_scc1 .LBB42_43
.LBB42_44:
	s_waitcnt lgkmcnt(0)
	v_cmp_eq_f64_e32 vcc, 0, v[90:91]
	v_cmp_eq_f64_e64 s[0:1], 0, v[92:93]
	s_and_b64 s[0:1], vcc, s[0:1]
	s_and_saveexec_b64 s[8:9], s[0:1]
	s_xor_b64 s[0:1], exec, s[8:9]
; %bb.45:
	v_cmp_ne_u32_e32 vcc, 0, v103
	v_cndmask_b32_e32 v103, 3, v103, vcc
; %bb.46:
	s_andn2_saveexec_b64 s[0:1], s[0:1]
	s_cbranch_execz .LBB42_52
; %bb.47:
	v_cmp_ngt_f64_e64 s[8:9], |v[90:91]|, |v[92:93]|
	s_and_saveexec_b64 s[20:21], s[8:9]
	s_xor_b64 s[8:9], exec, s[20:21]
	s_cbranch_execz .LBB42_49
; %bb.48:
	v_div_scale_f64 v[105:106], s[20:21], v[92:93], v[92:93], v[90:91]
	v_rcp_f64_e32 v[107:108], v[105:106]
	v_fma_f64 v[109:110], -v[105:106], v[107:108], 1.0
	v_fma_f64 v[107:108], v[107:108], v[109:110], v[107:108]
	v_div_scale_f64 v[109:110], vcc, v[90:91], v[92:93], v[90:91]
	v_fma_f64 v[111:112], -v[105:106], v[107:108], 1.0
	v_fma_f64 v[107:108], v[107:108], v[111:112], v[107:108]
	v_mul_f64 v[111:112], v[109:110], v[107:108]
	v_fma_f64 v[105:106], -v[105:106], v[111:112], v[109:110]
	v_div_fmas_f64 v[105:106], v[105:106], v[107:108], v[111:112]
	v_div_fixup_f64 v[105:106], v[105:106], v[92:93], v[90:91]
	v_fma_f64 v[90:91], v[90:91], v[105:106], v[92:93]
	v_div_scale_f64 v[92:93], s[20:21], v[90:91], v[90:91], 1.0
	v_div_scale_f64 v[111:112], vcc, 1.0, v[90:91], 1.0
	v_rcp_f64_e32 v[107:108], v[92:93]
	v_fma_f64 v[109:110], -v[92:93], v[107:108], 1.0
	v_fma_f64 v[107:108], v[107:108], v[109:110], v[107:108]
	v_fma_f64 v[109:110], -v[92:93], v[107:108], 1.0
	v_fma_f64 v[107:108], v[107:108], v[109:110], v[107:108]
	v_mul_f64 v[109:110], v[111:112], v[107:108]
	v_fma_f64 v[92:93], -v[92:93], v[109:110], v[111:112]
	v_div_fmas_f64 v[92:93], v[92:93], v[107:108], v[109:110]
	v_div_fixup_f64 v[92:93], v[92:93], v[90:91], 1.0
	v_mul_f64 v[90:91], v[105:106], v[92:93]
	v_xor_b32_e32 v93, 0x80000000, v93
.LBB42_49:
	s_andn2_saveexec_b64 s[8:9], s[8:9]
	s_cbranch_execz .LBB42_51
; %bb.50:
	v_div_scale_f64 v[105:106], s[20:21], v[90:91], v[90:91], v[92:93]
	v_rcp_f64_e32 v[107:108], v[105:106]
	v_fma_f64 v[109:110], -v[105:106], v[107:108], 1.0
	v_fma_f64 v[107:108], v[107:108], v[109:110], v[107:108]
	v_div_scale_f64 v[109:110], vcc, v[92:93], v[90:91], v[92:93]
	v_fma_f64 v[111:112], -v[105:106], v[107:108], 1.0
	v_fma_f64 v[107:108], v[107:108], v[111:112], v[107:108]
	v_mul_f64 v[111:112], v[109:110], v[107:108]
	v_fma_f64 v[105:106], -v[105:106], v[111:112], v[109:110]
	v_div_fmas_f64 v[105:106], v[105:106], v[107:108], v[111:112]
	v_div_fixup_f64 v[105:106], v[105:106], v[90:91], v[92:93]
	v_fma_f64 v[90:91], v[92:93], v[105:106], v[90:91]
	v_div_scale_f64 v[92:93], s[20:21], v[90:91], v[90:91], 1.0
	v_div_scale_f64 v[111:112], vcc, 1.0, v[90:91], 1.0
	v_rcp_f64_e32 v[107:108], v[92:93]
	v_fma_f64 v[109:110], -v[92:93], v[107:108], 1.0
	v_fma_f64 v[107:108], v[107:108], v[109:110], v[107:108]
	v_fma_f64 v[109:110], -v[92:93], v[107:108], 1.0
	v_fma_f64 v[107:108], v[107:108], v[109:110], v[107:108]
	v_mul_f64 v[109:110], v[111:112], v[107:108]
	v_fma_f64 v[92:93], -v[92:93], v[109:110], v[111:112]
	v_div_fmas_f64 v[92:93], v[92:93], v[107:108], v[109:110]
	v_div_fixup_f64 v[90:91], v[92:93], v[90:91], 1.0
	v_mul_f64 v[92:93], v[105:106], -v[90:91]
.LBB42_51:
	s_or_b64 exec, exec, s[8:9]
.LBB42_52:
	s_or_b64 exec, exec, s[0:1]
	v_cmp_ne_u32_e32 vcc, v100, v98
	s_and_saveexec_b64 s[0:1], vcc
	s_xor_b64 s[0:1], exec, s[0:1]
	s_cbranch_execz .LBB42_58
; %bb.53:
	v_cmp_eq_u32_e32 vcc, 2, v100
	s_and_saveexec_b64 s[8:9], vcc
	s_cbranch_execz .LBB42_57
; %bb.54:
	v_cmp_ne_u32_e32 vcc, 2, v98
	s_xor_b64 s[20:21], s[18:19], -1
	s_and_b64 s[24:25], s[20:21], vcc
	s_and_saveexec_b64 s[20:21], s[24:25]
	s_cbranch_execz .LBB42_56
; %bb.55:
	v_ashrrev_i32_e32 v99, 31, v98
	v_lshlrev_b64 v[99:100], 2, v[98:99]
	v_add_co_u32_e32 v99, vcc, v96, v99
	v_addc_co_u32_e32 v100, vcc, v97, v100, vcc
	global_load_dword v0, v[99:100], off
	global_load_dword v105, v[96:97], off offset:8
	s_waitcnt vmcnt(1)
	global_store_dword v[96:97], v0, off offset:8
	s_waitcnt vmcnt(1)
	global_store_dword v[99:100], v105, off
.LBB42_56:
	s_or_b64 exec, exec, s[20:21]
	v_mov_b32_e32 v100, v98
	v_mov_b32_e32 v0, v98
.LBB42_57:
	s_or_b64 exec, exec, s[8:9]
.LBB42_58:
	s_andn2_saveexec_b64 s[0:1], s[0:1]
	s_cbranch_execz .LBB42_60
; %bb.59:
	v_mov_b32_e32 v100, 2
	ds_write2_b64 v1, v[70:71], v[72:73] offset0:6 offset1:7
	ds_write2_b64 v1, v[66:67], v[68:69] offset0:8 offset1:9
	ds_write2_b64 v1, v[62:63], v[64:65] offset0:10 offset1:11
	ds_write2_b64 v1, v[58:59], v[60:61] offset0:12 offset1:13
	ds_write2_b64 v1, v[54:55], v[56:57] offset0:14 offset1:15
	ds_write2_b64 v1, v[50:51], v[52:53] offset0:16 offset1:17
	ds_write2_b64 v1, v[46:47], v[48:49] offset0:18 offset1:19
	ds_write2_b64 v1, v[42:43], v[44:45] offset0:20 offset1:21
	ds_write2_b64 v1, v[38:39], v[40:41] offset0:22 offset1:23
	ds_write2_b64 v1, v[34:35], v[36:37] offset0:24 offset1:25
	ds_write2_b64 v1, v[30:31], v[32:33] offset0:26 offset1:27
	ds_write2_b64 v1, v[26:27], v[28:29] offset0:28 offset1:29
	ds_write2_b64 v1, v[22:23], v[24:25] offset0:30 offset1:31
	ds_write2_b64 v1, v[18:19], v[20:21] offset0:32 offset1:33
	ds_write2_b64 v1, v[14:15], v[16:17] offset0:34 offset1:35
	ds_write2_b64 v1, v[10:11], v[12:13] offset0:36 offset1:37
	ds_write2_b64 v1, v[6:7], v[8:9] offset0:38 offset1:39
	ds_write2_b64 v1, v[2:3], v[4:5] offset0:40 offset1:41
	ds_write2_b64 v1, v[86:87], v[88:89] offset0:42 offset1:43
.LBB42_60:
	s_or_b64 exec, exec, s[0:1]
	v_cmp_lt_i32_e32 vcc, 2, v100
	s_waitcnt vmcnt(0) lgkmcnt(0)
	s_barrier
	s_and_saveexec_b64 s[0:1], vcc
	s_cbranch_execz .LBB42_62
; %bb.61:
	v_mul_f64 v[98:99], v[92:93], v[76:77]
	v_mul_f64 v[76:77], v[90:91], v[76:77]
	v_fma_f64 v[98:99], v[90:91], v[74:75], -v[98:99]
	v_fma_f64 v[76:77], v[92:93], v[74:75], v[76:77]
	ds_read2_b64 v[90:93], v1 offset0:6 offset1:7
	s_waitcnt lgkmcnt(0)
	v_mul_f64 v[74:75], v[92:93], v[76:77]
	v_fma_f64 v[74:75], v[90:91], v[98:99], -v[74:75]
	v_mul_f64 v[90:91], v[90:91], v[76:77]
	v_add_f64 v[70:71], v[70:71], -v[74:75]
	v_fma_f64 v[90:91], v[92:93], v[98:99], v[90:91]
	v_add_f64 v[72:73], v[72:73], -v[90:91]
	ds_read2_b64 v[90:93], v1 offset0:8 offset1:9
	s_waitcnt lgkmcnt(0)
	v_mul_f64 v[74:75], v[92:93], v[76:77]
	v_fma_f64 v[74:75], v[90:91], v[98:99], -v[74:75]
	v_mul_f64 v[90:91], v[90:91], v[76:77]
	v_add_f64 v[66:67], v[66:67], -v[74:75]
	v_fma_f64 v[90:91], v[92:93], v[98:99], v[90:91]
	v_add_f64 v[68:69], v[68:69], -v[90:91]
	;; [unrolled: 8-line block ×18, first 2 shown]
	ds_read2_b64 v[90:93], v1 offset0:42 offset1:43
	s_waitcnt lgkmcnt(0)
	v_mul_f64 v[74:75], v[92:93], v[76:77]
	v_fma_f64 v[74:75], v[90:91], v[98:99], -v[74:75]
	v_mul_f64 v[90:91], v[90:91], v[76:77]
	v_add_f64 v[86:87], v[86:87], -v[74:75]
	v_fma_f64 v[90:91], v[92:93], v[98:99], v[90:91]
	v_mov_b32_e32 v74, v98
	v_mov_b32_e32 v75, v99
	v_add_f64 v[88:89], v[88:89], -v[90:91]
.LBB42_62:
	s_or_b64 exec, exec, s[0:1]
	v_lshl_add_u32 v90, v100, 4, v1
	s_barrier
	ds_write2_b64 v90, v[70:71], v[72:73] offset1:1
	s_waitcnt lgkmcnt(0)
	s_barrier
	ds_read2_b64 v[90:93], v1 offset0:6 offset1:7
	s_mov_b32 s7, 4
	s_cmp_lt_i32 s22, 5
	v_mov_b32_e32 v98, 3
	s_cbranch_scc1 .LBB42_65
; %bb.63:
	v_add3_u32 v99, v104, 0, 64
	v_mov_b32_e32 v98, 3
.LBB42_64:                              ; =>This Inner Loop Header: Depth=1
	s_waitcnt lgkmcnt(0)
	v_cmp_gt_f64_e32 vcc, 0, v[92:93]
	v_cmp_gt_f64_e64 s[0:1], 0, v[90:91]
	ds_read2_b64 v[104:107], v99 offset1:1
	v_xor_b32_e32 v109, 0x80000000, v91
	v_xor_b32_e32 v111, 0x80000000, v93
	v_mov_b32_e32 v108, v90
	v_mov_b32_e32 v110, v92
	s_waitcnt lgkmcnt(0)
	v_xor_b32_e32 v113, 0x80000000, v107
	v_cndmask_b32_e32 v111, v93, v111, vcc
	v_cndmask_b32_e64 v109, v91, v109, s[0:1]
	v_cmp_gt_f64_e32 vcc, 0, v[106:107]
	v_cmp_gt_f64_e64 s[0:1], 0, v[104:105]
	v_add_f64 v[108:109], v[108:109], v[110:111]
	v_xor_b32_e32 v111, 0x80000000, v105
	v_mov_b32_e32 v110, v104
	v_mov_b32_e32 v112, v106
	v_add_u32_e32 v99, 16, v99
	v_cndmask_b32_e32 v113, v107, v113, vcc
	v_cndmask_b32_e64 v111, v105, v111, s[0:1]
	v_add_f64 v[110:111], v[110:111], v[112:113]
	v_mov_b32_e32 v112, s7
	s_add_i32 s7, s7, 1
	s_cmp_lg_u32 s22, s7
	v_cmp_lt_f64_e32 vcc, v[108:109], v[110:111]
	v_cndmask_b32_e32 v91, v91, v105, vcc
	v_cndmask_b32_e32 v90, v90, v104, vcc
	;; [unrolled: 1-line block ×5, first 2 shown]
	s_cbranch_scc1 .LBB42_64
.LBB42_65:
	s_waitcnt lgkmcnt(0)
	v_cmp_eq_f64_e32 vcc, 0, v[90:91]
	v_cmp_eq_f64_e64 s[0:1], 0, v[92:93]
	s_and_b64 s[0:1], vcc, s[0:1]
	s_and_saveexec_b64 s[8:9], s[0:1]
	s_xor_b64 s[0:1], exec, s[8:9]
; %bb.66:
	v_cmp_ne_u32_e32 vcc, 0, v103
	v_cndmask_b32_e32 v103, 4, v103, vcc
; %bb.67:
	s_andn2_saveexec_b64 s[0:1], s[0:1]
	s_cbranch_execz .LBB42_73
; %bb.68:
	v_cmp_ngt_f64_e64 s[8:9], |v[90:91]|, |v[92:93]|
	s_and_saveexec_b64 s[20:21], s[8:9]
	s_xor_b64 s[8:9], exec, s[20:21]
	s_cbranch_execz .LBB42_70
; %bb.69:
	v_div_scale_f64 v[104:105], s[20:21], v[92:93], v[92:93], v[90:91]
	v_rcp_f64_e32 v[106:107], v[104:105]
	v_fma_f64 v[108:109], -v[104:105], v[106:107], 1.0
	v_fma_f64 v[106:107], v[106:107], v[108:109], v[106:107]
	v_div_scale_f64 v[108:109], vcc, v[90:91], v[92:93], v[90:91]
	v_fma_f64 v[110:111], -v[104:105], v[106:107], 1.0
	v_fma_f64 v[106:107], v[106:107], v[110:111], v[106:107]
	v_mul_f64 v[110:111], v[108:109], v[106:107]
	v_fma_f64 v[104:105], -v[104:105], v[110:111], v[108:109]
	v_div_fmas_f64 v[104:105], v[104:105], v[106:107], v[110:111]
	v_div_fixup_f64 v[104:105], v[104:105], v[92:93], v[90:91]
	v_fma_f64 v[90:91], v[90:91], v[104:105], v[92:93]
	v_div_scale_f64 v[92:93], s[20:21], v[90:91], v[90:91], 1.0
	v_div_scale_f64 v[110:111], vcc, 1.0, v[90:91], 1.0
	v_rcp_f64_e32 v[106:107], v[92:93]
	v_fma_f64 v[108:109], -v[92:93], v[106:107], 1.0
	v_fma_f64 v[106:107], v[106:107], v[108:109], v[106:107]
	v_fma_f64 v[108:109], -v[92:93], v[106:107], 1.0
	v_fma_f64 v[106:107], v[106:107], v[108:109], v[106:107]
	v_mul_f64 v[108:109], v[110:111], v[106:107]
	v_fma_f64 v[92:93], -v[92:93], v[108:109], v[110:111]
	v_div_fmas_f64 v[92:93], v[92:93], v[106:107], v[108:109]
	v_div_fixup_f64 v[92:93], v[92:93], v[90:91], 1.0
	v_mul_f64 v[90:91], v[104:105], v[92:93]
	v_xor_b32_e32 v93, 0x80000000, v93
.LBB42_70:
	s_andn2_saveexec_b64 s[8:9], s[8:9]
	s_cbranch_execz .LBB42_72
; %bb.71:
	v_div_scale_f64 v[104:105], s[20:21], v[90:91], v[90:91], v[92:93]
	v_rcp_f64_e32 v[106:107], v[104:105]
	v_fma_f64 v[108:109], -v[104:105], v[106:107], 1.0
	v_fma_f64 v[106:107], v[106:107], v[108:109], v[106:107]
	v_div_scale_f64 v[108:109], vcc, v[92:93], v[90:91], v[92:93]
	v_fma_f64 v[110:111], -v[104:105], v[106:107], 1.0
	v_fma_f64 v[106:107], v[106:107], v[110:111], v[106:107]
	v_mul_f64 v[110:111], v[108:109], v[106:107]
	v_fma_f64 v[104:105], -v[104:105], v[110:111], v[108:109]
	v_div_fmas_f64 v[104:105], v[104:105], v[106:107], v[110:111]
	v_div_fixup_f64 v[104:105], v[104:105], v[90:91], v[92:93]
	v_fma_f64 v[90:91], v[92:93], v[104:105], v[90:91]
	v_div_scale_f64 v[92:93], s[20:21], v[90:91], v[90:91], 1.0
	v_div_scale_f64 v[110:111], vcc, 1.0, v[90:91], 1.0
	v_rcp_f64_e32 v[106:107], v[92:93]
	v_fma_f64 v[108:109], -v[92:93], v[106:107], 1.0
	v_fma_f64 v[106:107], v[106:107], v[108:109], v[106:107]
	v_fma_f64 v[108:109], -v[92:93], v[106:107], 1.0
	v_fma_f64 v[106:107], v[106:107], v[108:109], v[106:107]
	v_mul_f64 v[108:109], v[110:111], v[106:107]
	v_fma_f64 v[92:93], -v[92:93], v[108:109], v[110:111]
	v_div_fmas_f64 v[92:93], v[92:93], v[106:107], v[108:109]
	v_div_fixup_f64 v[90:91], v[92:93], v[90:91], 1.0
	v_mul_f64 v[92:93], v[104:105], -v[90:91]
.LBB42_72:
	s_or_b64 exec, exec, s[8:9]
.LBB42_73:
	s_or_b64 exec, exec, s[0:1]
	v_cmp_ne_u32_e32 vcc, v100, v98
	s_and_saveexec_b64 s[0:1], vcc
	s_xor_b64 s[0:1], exec, s[0:1]
	s_cbranch_execz .LBB42_79
; %bb.74:
	v_cmp_eq_u32_e32 vcc, 3, v100
	s_and_saveexec_b64 s[8:9], vcc
	s_cbranch_execz .LBB42_78
; %bb.75:
	v_cmp_ne_u32_e32 vcc, 3, v98
	s_xor_b64 s[20:21], s[18:19], -1
	s_and_b64 s[24:25], s[20:21], vcc
	s_and_saveexec_b64 s[20:21], s[24:25]
	s_cbranch_execz .LBB42_77
; %bb.76:
	v_ashrrev_i32_e32 v99, 31, v98
	v_lshlrev_b64 v[99:100], 2, v[98:99]
	v_add_co_u32_e32 v99, vcc, v96, v99
	v_addc_co_u32_e32 v100, vcc, v97, v100, vcc
	global_load_dword v0, v[99:100], off
	global_load_dword v104, v[96:97], off offset:12
	s_waitcnt vmcnt(1)
	global_store_dword v[96:97], v0, off offset:12
	s_waitcnt vmcnt(1)
	global_store_dword v[99:100], v104, off
.LBB42_77:
	s_or_b64 exec, exec, s[20:21]
	v_mov_b32_e32 v100, v98
	v_mov_b32_e32 v0, v98
.LBB42_78:
	s_or_b64 exec, exec, s[8:9]
.LBB42_79:
	s_andn2_saveexec_b64 s[0:1], s[0:1]
	s_cbranch_execz .LBB42_81
; %bb.80:
	v_mov_b32_e32 v100, 3
	ds_write2_b64 v1, v[66:67], v[68:69] offset0:8 offset1:9
	ds_write2_b64 v1, v[62:63], v[64:65] offset0:10 offset1:11
	;; [unrolled: 1-line block ×18, first 2 shown]
.LBB42_81:
	s_or_b64 exec, exec, s[0:1]
	v_cmp_lt_i32_e32 vcc, 3, v100
	s_waitcnt vmcnt(0) lgkmcnt(0)
	s_barrier
	s_and_saveexec_b64 s[0:1], vcc
	s_cbranch_execz .LBB42_83
; %bb.82:
	v_mul_f64 v[98:99], v[92:93], v[72:73]
	v_mul_f64 v[72:73], v[90:91], v[72:73]
	v_fma_f64 v[98:99], v[90:91], v[70:71], -v[98:99]
	v_fma_f64 v[72:73], v[92:93], v[70:71], v[72:73]
	ds_read2_b64 v[90:93], v1 offset0:8 offset1:9
	s_waitcnt lgkmcnt(0)
	v_mul_f64 v[70:71], v[92:93], v[72:73]
	v_fma_f64 v[70:71], v[90:91], v[98:99], -v[70:71]
	v_mul_f64 v[90:91], v[90:91], v[72:73]
	v_add_f64 v[66:67], v[66:67], -v[70:71]
	v_fma_f64 v[90:91], v[92:93], v[98:99], v[90:91]
	v_add_f64 v[68:69], v[68:69], -v[90:91]
	ds_read2_b64 v[90:93], v1 offset0:10 offset1:11
	s_waitcnt lgkmcnt(0)
	v_mul_f64 v[70:71], v[92:93], v[72:73]
	v_fma_f64 v[70:71], v[90:91], v[98:99], -v[70:71]
	v_mul_f64 v[90:91], v[90:91], v[72:73]
	v_add_f64 v[62:63], v[62:63], -v[70:71]
	v_fma_f64 v[90:91], v[92:93], v[98:99], v[90:91]
	v_add_f64 v[64:65], v[64:65], -v[90:91]
	;; [unrolled: 8-line block ×17, first 2 shown]
	ds_read2_b64 v[90:93], v1 offset0:42 offset1:43
	s_waitcnt lgkmcnt(0)
	v_mul_f64 v[70:71], v[92:93], v[72:73]
	v_fma_f64 v[70:71], v[90:91], v[98:99], -v[70:71]
	v_mul_f64 v[90:91], v[90:91], v[72:73]
	v_add_f64 v[86:87], v[86:87], -v[70:71]
	v_fma_f64 v[90:91], v[92:93], v[98:99], v[90:91]
	v_mov_b32_e32 v70, v98
	v_mov_b32_e32 v71, v99
	v_add_f64 v[88:89], v[88:89], -v[90:91]
.LBB42_83:
	s_or_b64 exec, exec, s[0:1]
	v_lshl_add_u32 v90, v100, 4, v1
	s_barrier
	ds_write2_b64 v90, v[66:67], v[68:69] offset1:1
	s_waitcnt lgkmcnt(0)
	s_barrier
	ds_read2_b64 v[90:93], v1 offset0:8 offset1:9
	s_cmp_lt_i32 s22, 6
	v_mov_b32_e32 v98, 4
	s_cbranch_scc1 .LBB42_86
; %bb.84:
	v_mov_b32_e32 v98, 4
	v_add_u32_e32 v99, 0x50, v1
	s_mov_b32 s7, 5
.LBB42_85:                              ; =>This Inner Loop Header: Depth=1
	s_waitcnt lgkmcnt(0)
	v_cmp_gt_f64_e32 vcc, 0, v[92:93]
	v_cmp_gt_f64_e64 s[0:1], 0, v[90:91]
	ds_read2_b64 v[104:107], v99 offset1:1
	v_xor_b32_e32 v109, 0x80000000, v91
	v_xor_b32_e32 v111, 0x80000000, v93
	v_mov_b32_e32 v108, v90
	v_mov_b32_e32 v110, v92
	s_waitcnt lgkmcnt(0)
	v_xor_b32_e32 v113, 0x80000000, v107
	v_cndmask_b32_e32 v111, v93, v111, vcc
	v_cndmask_b32_e64 v109, v91, v109, s[0:1]
	v_cmp_gt_f64_e32 vcc, 0, v[106:107]
	v_cmp_gt_f64_e64 s[0:1], 0, v[104:105]
	v_add_f64 v[108:109], v[108:109], v[110:111]
	v_xor_b32_e32 v111, 0x80000000, v105
	v_mov_b32_e32 v110, v104
	v_mov_b32_e32 v112, v106
	v_add_u32_e32 v99, 16, v99
	v_cndmask_b32_e32 v113, v107, v113, vcc
	v_cndmask_b32_e64 v111, v105, v111, s[0:1]
	v_add_f64 v[110:111], v[110:111], v[112:113]
	v_mov_b32_e32 v112, s7
	s_add_i32 s7, s7, 1
	s_cmp_lg_u32 s22, s7
	v_cmp_lt_f64_e32 vcc, v[108:109], v[110:111]
	v_cndmask_b32_e32 v91, v91, v105, vcc
	v_cndmask_b32_e32 v90, v90, v104, vcc
	;; [unrolled: 1-line block ×5, first 2 shown]
	s_cbranch_scc1 .LBB42_85
.LBB42_86:
	s_waitcnt lgkmcnt(0)
	v_cmp_eq_f64_e32 vcc, 0, v[90:91]
	v_cmp_eq_f64_e64 s[0:1], 0, v[92:93]
	s_and_b64 s[0:1], vcc, s[0:1]
	s_and_saveexec_b64 s[8:9], s[0:1]
	s_xor_b64 s[0:1], exec, s[8:9]
; %bb.87:
	v_cmp_ne_u32_e32 vcc, 0, v103
	v_cndmask_b32_e32 v103, 5, v103, vcc
; %bb.88:
	s_andn2_saveexec_b64 s[0:1], s[0:1]
	s_cbranch_execz .LBB42_94
; %bb.89:
	v_cmp_ngt_f64_e64 s[8:9], |v[90:91]|, |v[92:93]|
	s_and_saveexec_b64 s[20:21], s[8:9]
	s_xor_b64 s[8:9], exec, s[20:21]
	s_cbranch_execz .LBB42_91
; %bb.90:
	v_div_scale_f64 v[104:105], s[20:21], v[92:93], v[92:93], v[90:91]
	v_rcp_f64_e32 v[106:107], v[104:105]
	v_fma_f64 v[108:109], -v[104:105], v[106:107], 1.0
	v_fma_f64 v[106:107], v[106:107], v[108:109], v[106:107]
	v_div_scale_f64 v[108:109], vcc, v[90:91], v[92:93], v[90:91]
	v_fma_f64 v[110:111], -v[104:105], v[106:107], 1.0
	v_fma_f64 v[106:107], v[106:107], v[110:111], v[106:107]
	v_mul_f64 v[110:111], v[108:109], v[106:107]
	v_fma_f64 v[104:105], -v[104:105], v[110:111], v[108:109]
	v_div_fmas_f64 v[104:105], v[104:105], v[106:107], v[110:111]
	v_div_fixup_f64 v[104:105], v[104:105], v[92:93], v[90:91]
	v_fma_f64 v[90:91], v[90:91], v[104:105], v[92:93]
	v_div_scale_f64 v[92:93], s[20:21], v[90:91], v[90:91], 1.0
	v_div_scale_f64 v[110:111], vcc, 1.0, v[90:91], 1.0
	v_rcp_f64_e32 v[106:107], v[92:93]
	v_fma_f64 v[108:109], -v[92:93], v[106:107], 1.0
	v_fma_f64 v[106:107], v[106:107], v[108:109], v[106:107]
	v_fma_f64 v[108:109], -v[92:93], v[106:107], 1.0
	v_fma_f64 v[106:107], v[106:107], v[108:109], v[106:107]
	v_mul_f64 v[108:109], v[110:111], v[106:107]
	v_fma_f64 v[92:93], -v[92:93], v[108:109], v[110:111]
	v_div_fmas_f64 v[92:93], v[92:93], v[106:107], v[108:109]
	v_div_fixup_f64 v[92:93], v[92:93], v[90:91], 1.0
	v_mul_f64 v[90:91], v[104:105], v[92:93]
	v_xor_b32_e32 v93, 0x80000000, v93
.LBB42_91:
	s_andn2_saveexec_b64 s[8:9], s[8:9]
	s_cbranch_execz .LBB42_93
; %bb.92:
	v_div_scale_f64 v[104:105], s[20:21], v[90:91], v[90:91], v[92:93]
	v_rcp_f64_e32 v[106:107], v[104:105]
	v_fma_f64 v[108:109], -v[104:105], v[106:107], 1.0
	v_fma_f64 v[106:107], v[106:107], v[108:109], v[106:107]
	v_div_scale_f64 v[108:109], vcc, v[92:93], v[90:91], v[92:93]
	v_fma_f64 v[110:111], -v[104:105], v[106:107], 1.0
	v_fma_f64 v[106:107], v[106:107], v[110:111], v[106:107]
	v_mul_f64 v[110:111], v[108:109], v[106:107]
	v_fma_f64 v[104:105], -v[104:105], v[110:111], v[108:109]
	v_div_fmas_f64 v[104:105], v[104:105], v[106:107], v[110:111]
	v_div_fixup_f64 v[104:105], v[104:105], v[90:91], v[92:93]
	v_fma_f64 v[90:91], v[92:93], v[104:105], v[90:91]
	v_div_scale_f64 v[92:93], s[20:21], v[90:91], v[90:91], 1.0
	v_div_scale_f64 v[110:111], vcc, 1.0, v[90:91], 1.0
	v_rcp_f64_e32 v[106:107], v[92:93]
	v_fma_f64 v[108:109], -v[92:93], v[106:107], 1.0
	v_fma_f64 v[106:107], v[106:107], v[108:109], v[106:107]
	v_fma_f64 v[108:109], -v[92:93], v[106:107], 1.0
	v_fma_f64 v[106:107], v[106:107], v[108:109], v[106:107]
	v_mul_f64 v[108:109], v[110:111], v[106:107]
	v_fma_f64 v[92:93], -v[92:93], v[108:109], v[110:111]
	v_div_fmas_f64 v[92:93], v[92:93], v[106:107], v[108:109]
	v_div_fixup_f64 v[90:91], v[92:93], v[90:91], 1.0
	v_mul_f64 v[92:93], v[104:105], -v[90:91]
.LBB42_93:
	s_or_b64 exec, exec, s[8:9]
.LBB42_94:
	s_or_b64 exec, exec, s[0:1]
	v_cmp_ne_u32_e32 vcc, v100, v98
	s_and_saveexec_b64 s[0:1], vcc
	s_xor_b64 s[0:1], exec, s[0:1]
	s_cbranch_execz .LBB42_100
; %bb.95:
	v_cmp_eq_u32_e32 vcc, 4, v100
	s_and_saveexec_b64 s[8:9], vcc
	s_cbranch_execz .LBB42_99
; %bb.96:
	v_cmp_ne_u32_e32 vcc, 4, v98
	s_xor_b64 s[20:21], s[18:19], -1
	s_and_b64 s[24:25], s[20:21], vcc
	s_and_saveexec_b64 s[20:21], s[24:25]
	s_cbranch_execz .LBB42_98
; %bb.97:
	v_ashrrev_i32_e32 v99, 31, v98
	v_lshlrev_b64 v[99:100], 2, v[98:99]
	v_add_co_u32_e32 v99, vcc, v96, v99
	v_addc_co_u32_e32 v100, vcc, v97, v100, vcc
	global_load_dword v0, v[99:100], off
	global_load_dword v104, v[96:97], off offset:16
	s_waitcnt vmcnt(1)
	global_store_dword v[96:97], v0, off offset:16
	s_waitcnt vmcnt(1)
	global_store_dword v[99:100], v104, off
.LBB42_98:
	s_or_b64 exec, exec, s[20:21]
	v_mov_b32_e32 v100, v98
	v_mov_b32_e32 v0, v98
.LBB42_99:
	s_or_b64 exec, exec, s[8:9]
.LBB42_100:
	s_andn2_saveexec_b64 s[0:1], s[0:1]
	s_cbranch_execz .LBB42_102
; %bb.101:
	v_mov_b32_e32 v100, 4
	ds_write2_b64 v1, v[62:63], v[64:65] offset0:10 offset1:11
	ds_write2_b64 v1, v[58:59], v[60:61] offset0:12 offset1:13
	;; [unrolled: 1-line block ×17, first 2 shown]
.LBB42_102:
	s_or_b64 exec, exec, s[0:1]
	v_cmp_lt_i32_e32 vcc, 4, v100
	s_waitcnt vmcnt(0) lgkmcnt(0)
	s_barrier
	s_and_saveexec_b64 s[0:1], vcc
	s_cbranch_execz .LBB42_104
; %bb.103:
	v_mul_f64 v[98:99], v[92:93], v[68:69]
	v_mul_f64 v[68:69], v[90:91], v[68:69]
	v_fma_f64 v[98:99], v[90:91], v[66:67], -v[98:99]
	v_fma_f64 v[68:69], v[92:93], v[66:67], v[68:69]
	ds_read2_b64 v[90:93], v1 offset0:10 offset1:11
	s_waitcnt lgkmcnt(0)
	v_mul_f64 v[66:67], v[92:93], v[68:69]
	v_fma_f64 v[66:67], v[90:91], v[98:99], -v[66:67]
	v_mul_f64 v[90:91], v[90:91], v[68:69]
	v_add_f64 v[62:63], v[62:63], -v[66:67]
	v_fma_f64 v[90:91], v[92:93], v[98:99], v[90:91]
	v_add_f64 v[64:65], v[64:65], -v[90:91]
	ds_read2_b64 v[90:93], v1 offset0:12 offset1:13
	s_waitcnt lgkmcnt(0)
	v_mul_f64 v[66:67], v[92:93], v[68:69]
	v_fma_f64 v[66:67], v[90:91], v[98:99], -v[66:67]
	v_mul_f64 v[90:91], v[90:91], v[68:69]
	v_add_f64 v[58:59], v[58:59], -v[66:67]
	v_fma_f64 v[90:91], v[92:93], v[98:99], v[90:91]
	v_add_f64 v[60:61], v[60:61], -v[90:91]
	;; [unrolled: 8-line block ×16, first 2 shown]
	ds_read2_b64 v[90:93], v1 offset0:42 offset1:43
	s_waitcnt lgkmcnt(0)
	v_mul_f64 v[66:67], v[92:93], v[68:69]
	v_fma_f64 v[66:67], v[90:91], v[98:99], -v[66:67]
	v_mul_f64 v[90:91], v[90:91], v[68:69]
	v_add_f64 v[86:87], v[86:87], -v[66:67]
	v_fma_f64 v[90:91], v[92:93], v[98:99], v[90:91]
	v_mov_b32_e32 v66, v98
	v_mov_b32_e32 v67, v99
	v_add_f64 v[88:89], v[88:89], -v[90:91]
.LBB42_104:
	s_or_b64 exec, exec, s[0:1]
	v_lshl_add_u32 v90, v100, 4, v1
	s_barrier
	ds_write2_b64 v90, v[62:63], v[64:65] offset1:1
	s_waitcnt lgkmcnt(0)
	s_barrier
	ds_read2_b64 v[90:93], v1 offset0:10 offset1:11
	s_cmp_lt_i32 s22, 7
	v_mov_b32_e32 v98, 5
	s_cbranch_scc1 .LBB42_107
; %bb.105:
	v_add_u32_e32 v99, 0x60, v1
	s_mov_b32 s7, 6
	v_mov_b32_e32 v98, 5
.LBB42_106:                             ; =>This Inner Loop Header: Depth=1
	s_waitcnt lgkmcnt(0)
	v_cmp_gt_f64_e32 vcc, 0, v[92:93]
	v_cmp_gt_f64_e64 s[0:1], 0, v[90:91]
	ds_read2_b64 v[104:107], v99 offset1:1
	v_xor_b32_e32 v109, 0x80000000, v91
	v_xor_b32_e32 v111, 0x80000000, v93
	v_mov_b32_e32 v108, v90
	v_mov_b32_e32 v110, v92
	s_waitcnt lgkmcnt(0)
	v_xor_b32_e32 v113, 0x80000000, v107
	v_cndmask_b32_e32 v111, v93, v111, vcc
	v_cndmask_b32_e64 v109, v91, v109, s[0:1]
	v_cmp_gt_f64_e32 vcc, 0, v[106:107]
	v_cmp_gt_f64_e64 s[0:1], 0, v[104:105]
	v_add_f64 v[108:109], v[108:109], v[110:111]
	v_xor_b32_e32 v111, 0x80000000, v105
	v_mov_b32_e32 v110, v104
	v_mov_b32_e32 v112, v106
	v_add_u32_e32 v99, 16, v99
	v_cndmask_b32_e32 v113, v107, v113, vcc
	v_cndmask_b32_e64 v111, v105, v111, s[0:1]
	v_add_f64 v[110:111], v[110:111], v[112:113]
	v_mov_b32_e32 v112, s7
	s_add_i32 s7, s7, 1
	s_cmp_lg_u32 s22, s7
	v_cmp_lt_f64_e32 vcc, v[108:109], v[110:111]
	v_cndmask_b32_e32 v91, v91, v105, vcc
	v_cndmask_b32_e32 v90, v90, v104, vcc
	;; [unrolled: 1-line block ×5, first 2 shown]
	s_cbranch_scc1 .LBB42_106
.LBB42_107:
	s_waitcnt lgkmcnt(0)
	v_cmp_eq_f64_e32 vcc, 0, v[90:91]
	v_cmp_eq_f64_e64 s[0:1], 0, v[92:93]
	s_and_b64 s[0:1], vcc, s[0:1]
	s_and_saveexec_b64 s[8:9], s[0:1]
	s_xor_b64 s[0:1], exec, s[8:9]
; %bb.108:
	v_cmp_ne_u32_e32 vcc, 0, v103
	v_cndmask_b32_e32 v103, 6, v103, vcc
; %bb.109:
	s_andn2_saveexec_b64 s[0:1], s[0:1]
	s_cbranch_execz .LBB42_115
; %bb.110:
	v_cmp_ngt_f64_e64 s[8:9], |v[90:91]|, |v[92:93]|
	s_and_saveexec_b64 s[20:21], s[8:9]
	s_xor_b64 s[8:9], exec, s[20:21]
	s_cbranch_execz .LBB42_112
; %bb.111:
	v_div_scale_f64 v[104:105], s[20:21], v[92:93], v[92:93], v[90:91]
	v_rcp_f64_e32 v[106:107], v[104:105]
	v_fma_f64 v[108:109], -v[104:105], v[106:107], 1.0
	v_fma_f64 v[106:107], v[106:107], v[108:109], v[106:107]
	v_div_scale_f64 v[108:109], vcc, v[90:91], v[92:93], v[90:91]
	v_fma_f64 v[110:111], -v[104:105], v[106:107], 1.0
	v_fma_f64 v[106:107], v[106:107], v[110:111], v[106:107]
	v_mul_f64 v[110:111], v[108:109], v[106:107]
	v_fma_f64 v[104:105], -v[104:105], v[110:111], v[108:109]
	v_div_fmas_f64 v[104:105], v[104:105], v[106:107], v[110:111]
	v_div_fixup_f64 v[104:105], v[104:105], v[92:93], v[90:91]
	v_fma_f64 v[90:91], v[90:91], v[104:105], v[92:93]
	v_div_scale_f64 v[92:93], s[20:21], v[90:91], v[90:91], 1.0
	v_div_scale_f64 v[110:111], vcc, 1.0, v[90:91], 1.0
	v_rcp_f64_e32 v[106:107], v[92:93]
	v_fma_f64 v[108:109], -v[92:93], v[106:107], 1.0
	v_fma_f64 v[106:107], v[106:107], v[108:109], v[106:107]
	v_fma_f64 v[108:109], -v[92:93], v[106:107], 1.0
	v_fma_f64 v[106:107], v[106:107], v[108:109], v[106:107]
	v_mul_f64 v[108:109], v[110:111], v[106:107]
	v_fma_f64 v[92:93], -v[92:93], v[108:109], v[110:111]
	v_div_fmas_f64 v[92:93], v[92:93], v[106:107], v[108:109]
	v_div_fixup_f64 v[92:93], v[92:93], v[90:91], 1.0
	v_mul_f64 v[90:91], v[104:105], v[92:93]
	v_xor_b32_e32 v93, 0x80000000, v93
.LBB42_112:
	s_andn2_saveexec_b64 s[8:9], s[8:9]
	s_cbranch_execz .LBB42_114
; %bb.113:
	v_div_scale_f64 v[104:105], s[20:21], v[90:91], v[90:91], v[92:93]
	v_rcp_f64_e32 v[106:107], v[104:105]
	v_fma_f64 v[108:109], -v[104:105], v[106:107], 1.0
	v_fma_f64 v[106:107], v[106:107], v[108:109], v[106:107]
	v_div_scale_f64 v[108:109], vcc, v[92:93], v[90:91], v[92:93]
	v_fma_f64 v[110:111], -v[104:105], v[106:107], 1.0
	v_fma_f64 v[106:107], v[106:107], v[110:111], v[106:107]
	v_mul_f64 v[110:111], v[108:109], v[106:107]
	v_fma_f64 v[104:105], -v[104:105], v[110:111], v[108:109]
	v_div_fmas_f64 v[104:105], v[104:105], v[106:107], v[110:111]
	v_div_fixup_f64 v[104:105], v[104:105], v[90:91], v[92:93]
	v_fma_f64 v[90:91], v[92:93], v[104:105], v[90:91]
	v_div_scale_f64 v[92:93], s[20:21], v[90:91], v[90:91], 1.0
	v_div_scale_f64 v[110:111], vcc, 1.0, v[90:91], 1.0
	v_rcp_f64_e32 v[106:107], v[92:93]
	v_fma_f64 v[108:109], -v[92:93], v[106:107], 1.0
	v_fma_f64 v[106:107], v[106:107], v[108:109], v[106:107]
	v_fma_f64 v[108:109], -v[92:93], v[106:107], 1.0
	v_fma_f64 v[106:107], v[106:107], v[108:109], v[106:107]
	v_mul_f64 v[108:109], v[110:111], v[106:107]
	v_fma_f64 v[92:93], -v[92:93], v[108:109], v[110:111]
	v_div_fmas_f64 v[92:93], v[92:93], v[106:107], v[108:109]
	v_div_fixup_f64 v[90:91], v[92:93], v[90:91], 1.0
	v_mul_f64 v[92:93], v[104:105], -v[90:91]
.LBB42_114:
	s_or_b64 exec, exec, s[8:9]
.LBB42_115:
	s_or_b64 exec, exec, s[0:1]
	v_cmp_ne_u32_e32 vcc, v100, v98
	s_and_saveexec_b64 s[0:1], vcc
	s_xor_b64 s[0:1], exec, s[0:1]
	s_cbranch_execz .LBB42_121
; %bb.116:
	v_cmp_eq_u32_e32 vcc, 5, v100
	s_and_saveexec_b64 s[8:9], vcc
	s_cbranch_execz .LBB42_120
; %bb.117:
	v_cmp_ne_u32_e32 vcc, 5, v98
	s_xor_b64 s[20:21], s[18:19], -1
	s_and_b64 s[24:25], s[20:21], vcc
	s_and_saveexec_b64 s[20:21], s[24:25]
	s_cbranch_execz .LBB42_119
; %bb.118:
	v_ashrrev_i32_e32 v99, 31, v98
	v_lshlrev_b64 v[99:100], 2, v[98:99]
	v_add_co_u32_e32 v99, vcc, v96, v99
	v_addc_co_u32_e32 v100, vcc, v97, v100, vcc
	global_load_dword v0, v[99:100], off
	global_load_dword v104, v[96:97], off offset:20
	s_waitcnt vmcnt(1)
	global_store_dword v[96:97], v0, off offset:20
	s_waitcnt vmcnt(1)
	global_store_dword v[99:100], v104, off
.LBB42_119:
	s_or_b64 exec, exec, s[20:21]
	v_mov_b32_e32 v100, v98
	v_mov_b32_e32 v0, v98
.LBB42_120:
	s_or_b64 exec, exec, s[8:9]
.LBB42_121:
	s_andn2_saveexec_b64 s[0:1], s[0:1]
	s_cbranch_execz .LBB42_123
; %bb.122:
	v_mov_b32_e32 v100, 5
	ds_write2_b64 v1, v[58:59], v[60:61] offset0:12 offset1:13
	ds_write2_b64 v1, v[54:55], v[56:57] offset0:14 offset1:15
	;; [unrolled: 1-line block ×16, first 2 shown]
.LBB42_123:
	s_or_b64 exec, exec, s[0:1]
	v_cmp_lt_i32_e32 vcc, 5, v100
	s_waitcnt vmcnt(0) lgkmcnt(0)
	s_barrier
	s_and_saveexec_b64 s[0:1], vcc
	s_cbranch_execz .LBB42_125
; %bb.124:
	v_mul_f64 v[98:99], v[90:91], v[64:65]
	v_mul_f64 v[64:65], v[92:93], v[64:65]
	v_fma_f64 v[98:99], v[92:93], v[62:63], v[98:99]
	v_fma_f64 v[62:63], v[90:91], v[62:63], -v[64:65]
	ds_read2_b64 v[90:93], v1 offset0:12 offset1:13
	s_waitcnt lgkmcnt(0)
	v_mul_f64 v[64:65], v[92:93], v[98:99]
	v_fma_f64 v[64:65], v[90:91], v[62:63], -v[64:65]
	v_mul_f64 v[90:91], v[90:91], v[98:99]
	v_add_f64 v[58:59], v[58:59], -v[64:65]
	v_fma_f64 v[90:91], v[92:93], v[62:63], v[90:91]
	v_add_f64 v[60:61], v[60:61], -v[90:91]
	ds_read2_b64 v[90:93], v1 offset0:14 offset1:15
	s_waitcnt lgkmcnt(0)
	v_mul_f64 v[64:65], v[92:93], v[98:99]
	v_fma_f64 v[64:65], v[90:91], v[62:63], -v[64:65]
	v_mul_f64 v[90:91], v[90:91], v[98:99]
	v_add_f64 v[54:55], v[54:55], -v[64:65]
	v_fma_f64 v[90:91], v[92:93], v[62:63], v[90:91]
	v_add_f64 v[56:57], v[56:57], -v[90:91]
	;; [unrolled: 8-line block ×15, first 2 shown]
	ds_read2_b64 v[90:93], v1 offset0:42 offset1:43
	s_waitcnt lgkmcnt(0)
	v_mul_f64 v[64:65], v[92:93], v[98:99]
	v_fma_f64 v[64:65], v[90:91], v[62:63], -v[64:65]
	v_mul_f64 v[90:91], v[90:91], v[98:99]
	v_add_f64 v[86:87], v[86:87], -v[64:65]
	v_fma_f64 v[90:91], v[92:93], v[62:63], v[90:91]
	v_mov_b32_e32 v64, v98
	v_mov_b32_e32 v65, v99
	v_add_f64 v[88:89], v[88:89], -v[90:91]
.LBB42_125:
	s_or_b64 exec, exec, s[0:1]
	v_lshl_add_u32 v90, v100, 4, v1
	s_barrier
	ds_write2_b64 v90, v[58:59], v[60:61] offset1:1
	s_waitcnt lgkmcnt(0)
	s_barrier
	ds_read2_b64 v[90:93], v1 offset0:12 offset1:13
	s_cmp_lt_i32 s22, 8
	v_mov_b32_e32 v98, 6
	s_cbranch_scc1 .LBB42_128
; %bb.126:
	v_add_u32_e32 v99, 0x70, v1
	s_mov_b32 s7, 7
	v_mov_b32_e32 v98, 6
.LBB42_127:                             ; =>This Inner Loop Header: Depth=1
	s_waitcnt lgkmcnt(0)
	v_cmp_gt_f64_e32 vcc, 0, v[92:93]
	v_cmp_gt_f64_e64 s[0:1], 0, v[90:91]
	ds_read2_b64 v[104:107], v99 offset1:1
	v_xor_b32_e32 v109, 0x80000000, v91
	v_xor_b32_e32 v111, 0x80000000, v93
	v_mov_b32_e32 v108, v90
	v_mov_b32_e32 v110, v92
	s_waitcnt lgkmcnt(0)
	v_xor_b32_e32 v113, 0x80000000, v107
	v_cndmask_b32_e32 v111, v93, v111, vcc
	v_cndmask_b32_e64 v109, v91, v109, s[0:1]
	v_cmp_gt_f64_e32 vcc, 0, v[106:107]
	v_cmp_gt_f64_e64 s[0:1], 0, v[104:105]
	v_add_f64 v[108:109], v[108:109], v[110:111]
	v_xor_b32_e32 v111, 0x80000000, v105
	v_mov_b32_e32 v110, v104
	v_mov_b32_e32 v112, v106
	v_add_u32_e32 v99, 16, v99
	v_cndmask_b32_e32 v113, v107, v113, vcc
	v_cndmask_b32_e64 v111, v105, v111, s[0:1]
	v_add_f64 v[110:111], v[110:111], v[112:113]
	v_mov_b32_e32 v112, s7
	s_add_i32 s7, s7, 1
	s_cmp_lg_u32 s22, s7
	v_cmp_lt_f64_e32 vcc, v[108:109], v[110:111]
	v_cndmask_b32_e32 v91, v91, v105, vcc
	v_cndmask_b32_e32 v90, v90, v104, vcc
	;; [unrolled: 1-line block ×5, first 2 shown]
	s_cbranch_scc1 .LBB42_127
.LBB42_128:
	s_waitcnt lgkmcnt(0)
	v_cmp_eq_f64_e32 vcc, 0, v[90:91]
	v_cmp_eq_f64_e64 s[0:1], 0, v[92:93]
	s_and_b64 s[0:1], vcc, s[0:1]
	s_and_saveexec_b64 s[8:9], s[0:1]
	s_xor_b64 s[0:1], exec, s[8:9]
; %bb.129:
	v_cmp_ne_u32_e32 vcc, 0, v103
	v_cndmask_b32_e32 v103, 7, v103, vcc
; %bb.130:
	s_andn2_saveexec_b64 s[0:1], s[0:1]
	s_cbranch_execz .LBB42_136
; %bb.131:
	v_cmp_ngt_f64_e64 s[8:9], |v[90:91]|, |v[92:93]|
	s_and_saveexec_b64 s[20:21], s[8:9]
	s_xor_b64 s[8:9], exec, s[20:21]
	s_cbranch_execz .LBB42_133
; %bb.132:
	v_div_scale_f64 v[104:105], s[20:21], v[92:93], v[92:93], v[90:91]
	v_rcp_f64_e32 v[106:107], v[104:105]
	v_fma_f64 v[108:109], -v[104:105], v[106:107], 1.0
	v_fma_f64 v[106:107], v[106:107], v[108:109], v[106:107]
	v_div_scale_f64 v[108:109], vcc, v[90:91], v[92:93], v[90:91]
	v_fma_f64 v[110:111], -v[104:105], v[106:107], 1.0
	v_fma_f64 v[106:107], v[106:107], v[110:111], v[106:107]
	v_mul_f64 v[110:111], v[108:109], v[106:107]
	v_fma_f64 v[104:105], -v[104:105], v[110:111], v[108:109]
	v_div_fmas_f64 v[104:105], v[104:105], v[106:107], v[110:111]
	v_div_fixup_f64 v[104:105], v[104:105], v[92:93], v[90:91]
	v_fma_f64 v[90:91], v[90:91], v[104:105], v[92:93]
	v_div_scale_f64 v[92:93], s[20:21], v[90:91], v[90:91], 1.0
	v_div_scale_f64 v[110:111], vcc, 1.0, v[90:91], 1.0
	v_rcp_f64_e32 v[106:107], v[92:93]
	v_fma_f64 v[108:109], -v[92:93], v[106:107], 1.0
	v_fma_f64 v[106:107], v[106:107], v[108:109], v[106:107]
	v_fma_f64 v[108:109], -v[92:93], v[106:107], 1.0
	v_fma_f64 v[106:107], v[106:107], v[108:109], v[106:107]
	v_mul_f64 v[108:109], v[110:111], v[106:107]
	v_fma_f64 v[92:93], -v[92:93], v[108:109], v[110:111]
	v_div_fmas_f64 v[92:93], v[92:93], v[106:107], v[108:109]
	v_div_fixup_f64 v[92:93], v[92:93], v[90:91], 1.0
	v_mul_f64 v[90:91], v[104:105], v[92:93]
	v_xor_b32_e32 v93, 0x80000000, v93
.LBB42_133:
	s_andn2_saveexec_b64 s[8:9], s[8:9]
	s_cbranch_execz .LBB42_135
; %bb.134:
	v_div_scale_f64 v[104:105], s[20:21], v[90:91], v[90:91], v[92:93]
	v_rcp_f64_e32 v[106:107], v[104:105]
	v_fma_f64 v[108:109], -v[104:105], v[106:107], 1.0
	v_fma_f64 v[106:107], v[106:107], v[108:109], v[106:107]
	v_div_scale_f64 v[108:109], vcc, v[92:93], v[90:91], v[92:93]
	v_fma_f64 v[110:111], -v[104:105], v[106:107], 1.0
	v_fma_f64 v[106:107], v[106:107], v[110:111], v[106:107]
	v_mul_f64 v[110:111], v[108:109], v[106:107]
	v_fma_f64 v[104:105], -v[104:105], v[110:111], v[108:109]
	v_div_fmas_f64 v[104:105], v[104:105], v[106:107], v[110:111]
	v_div_fixup_f64 v[104:105], v[104:105], v[90:91], v[92:93]
	v_fma_f64 v[90:91], v[92:93], v[104:105], v[90:91]
	v_div_scale_f64 v[92:93], s[20:21], v[90:91], v[90:91], 1.0
	v_div_scale_f64 v[110:111], vcc, 1.0, v[90:91], 1.0
	v_rcp_f64_e32 v[106:107], v[92:93]
	v_fma_f64 v[108:109], -v[92:93], v[106:107], 1.0
	v_fma_f64 v[106:107], v[106:107], v[108:109], v[106:107]
	v_fma_f64 v[108:109], -v[92:93], v[106:107], 1.0
	v_fma_f64 v[106:107], v[106:107], v[108:109], v[106:107]
	v_mul_f64 v[108:109], v[110:111], v[106:107]
	v_fma_f64 v[92:93], -v[92:93], v[108:109], v[110:111]
	v_div_fmas_f64 v[92:93], v[92:93], v[106:107], v[108:109]
	v_div_fixup_f64 v[90:91], v[92:93], v[90:91], 1.0
	v_mul_f64 v[92:93], v[104:105], -v[90:91]
.LBB42_135:
	s_or_b64 exec, exec, s[8:9]
.LBB42_136:
	s_or_b64 exec, exec, s[0:1]
	v_cmp_ne_u32_e32 vcc, v100, v98
	s_and_saveexec_b64 s[0:1], vcc
	s_xor_b64 s[0:1], exec, s[0:1]
	s_cbranch_execz .LBB42_142
; %bb.137:
	v_cmp_eq_u32_e32 vcc, 6, v100
	s_and_saveexec_b64 s[8:9], vcc
	s_cbranch_execz .LBB42_141
; %bb.138:
	v_cmp_ne_u32_e32 vcc, 6, v98
	s_xor_b64 s[20:21], s[18:19], -1
	s_and_b64 s[24:25], s[20:21], vcc
	s_and_saveexec_b64 s[20:21], s[24:25]
	s_cbranch_execz .LBB42_140
; %bb.139:
	v_ashrrev_i32_e32 v99, 31, v98
	v_lshlrev_b64 v[99:100], 2, v[98:99]
	v_add_co_u32_e32 v99, vcc, v96, v99
	v_addc_co_u32_e32 v100, vcc, v97, v100, vcc
	global_load_dword v0, v[99:100], off
	global_load_dword v104, v[96:97], off offset:24
	s_waitcnt vmcnt(1)
	global_store_dword v[96:97], v0, off offset:24
	s_waitcnt vmcnt(1)
	global_store_dword v[99:100], v104, off
.LBB42_140:
	s_or_b64 exec, exec, s[20:21]
	v_mov_b32_e32 v100, v98
	v_mov_b32_e32 v0, v98
.LBB42_141:
	s_or_b64 exec, exec, s[8:9]
.LBB42_142:
	s_andn2_saveexec_b64 s[0:1], s[0:1]
	s_cbranch_execz .LBB42_144
; %bb.143:
	v_mov_b32_e32 v100, 6
	ds_write2_b64 v1, v[54:55], v[56:57] offset0:14 offset1:15
	ds_write2_b64 v1, v[50:51], v[52:53] offset0:16 offset1:17
	;; [unrolled: 1-line block ×15, first 2 shown]
.LBB42_144:
	s_or_b64 exec, exec, s[0:1]
	v_cmp_lt_i32_e32 vcc, 6, v100
	s_waitcnt vmcnt(0) lgkmcnt(0)
	s_barrier
	s_and_saveexec_b64 s[0:1], vcc
	s_cbranch_execz .LBB42_146
; %bb.145:
	v_mul_f64 v[98:99], v[90:91], v[60:61]
	v_mul_f64 v[60:61], v[92:93], v[60:61]
	v_fma_f64 v[98:99], v[92:93], v[58:59], v[98:99]
	v_fma_f64 v[58:59], v[90:91], v[58:59], -v[60:61]
	ds_read2_b64 v[90:93], v1 offset0:14 offset1:15
	s_waitcnt lgkmcnt(0)
	v_mul_f64 v[60:61], v[92:93], v[98:99]
	v_fma_f64 v[60:61], v[90:91], v[58:59], -v[60:61]
	v_mul_f64 v[90:91], v[90:91], v[98:99]
	v_add_f64 v[54:55], v[54:55], -v[60:61]
	v_fma_f64 v[90:91], v[92:93], v[58:59], v[90:91]
	v_add_f64 v[56:57], v[56:57], -v[90:91]
	ds_read2_b64 v[90:93], v1 offset0:16 offset1:17
	s_waitcnt lgkmcnt(0)
	v_mul_f64 v[60:61], v[92:93], v[98:99]
	v_fma_f64 v[60:61], v[90:91], v[58:59], -v[60:61]
	v_mul_f64 v[90:91], v[90:91], v[98:99]
	v_add_f64 v[50:51], v[50:51], -v[60:61]
	v_fma_f64 v[90:91], v[92:93], v[58:59], v[90:91]
	v_add_f64 v[52:53], v[52:53], -v[90:91]
	;; [unrolled: 8-line block ×14, first 2 shown]
	ds_read2_b64 v[90:93], v1 offset0:42 offset1:43
	s_waitcnt lgkmcnt(0)
	v_mul_f64 v[60:61], v[92:93], v[98:99]
	v_fma_f64 v[60:61], v[90:91], v[58:59], -v[60:61]
	v_mul_f64 v[90:91], v[90:91], v[98:99]
	v_add_f64 v[86:87], v[86:87], -v[60:61]
	v_fma_f64 v[90:91], v[92:93], v[58:59], v[90:91]
	v_mov_b32_e32 v60, v98
	v_mov_b32_e32 v61, v99
	v_add_f64 v[88:89], v[88:89], -v[90:91]
.LBB42_146:
	s_or_b64 exec, exec, s[0:1]
	v_lshl_add_u32 v90, v100, 4, v1
	s_barrier
	ds_write2_b64 v90, v[54:55], v[56:57] offset1:1
	s_waitcnt lgkmcnt(0)
	s_barrier
	ds_read2_b64 v[90:93], v1 offset0:14 offset1:15
	s_cmp_lt_i32 s22, 9
	v_mov_b32_e32 v98, 7
	s_cbranch_scc1 .LBB42_149
; %bb.147:
	v_add_u32_e32 v99, 0x80, v1
	s_mov_b32 s7, 8
	v_mov_b32_e32 v98, 7
.LBB42_148:                             ; =>This Inner Loop Header: Depth=1
	s_waitcnt lgkmcnt(0)
	v_cmp_gt_f64_e32 vcc, 0, v[92:93]
	v_cmp_gt_f64_e64 s[0:1], 0, v[90:91]
	ds_read2_b64 v[104:107], v99 offset1:1
	v_xor_b32_e32 v109, 0x80000000, v91
	v_xor_b32_e32 v111, 0x80000000, v93
	v_mov_b32_e32 v108, v90
	v_mov_b32_e32 v110, v92
	s_waitcnt lgkmcnt(0)
	v_xor_b32_e32 v113, 0x80000000, v107
	v_cndmask_b32_e32 v111, v93, v111, vcc
	v_cndmask_b32_e64 v109, v91, v109, s[0:1]
	v_cmp_gt_f64_e32 vcc, 0, v[106:107]
	v_cmp_gt_f64_e64 s[0:1], 0, v[104:105]
	v_add_f64 v[108:109], v[108:109], v[110:111]
	v_xor_b32_e32 v111, 0x80000000, v105
	v_mov_b32_e32 v110, v104
	v_mov_b32_e32 v112, v106
	v_add_u32_e32 v99, 16, v99
	v_cndmask_b32_e32 v113, v107, v113, vcc
	v_cndmask_b32_e64 v111, v105, v111, s[0:1]
	v_add_f64 v[110:111], v[110:111], v[112:113]
	v_mov_b32_e32 v112, s7
	s_add_i32 s7, s7, 1
	s_cmp_lg_u32 s22, s7
	v_cmp_lt_f64_e32 vcc, v[108:109], v[110:111]
	v_cndmask_b32_e32 v91, v91, v105, vcc
	v_cndmask_b32_e32 v90, v90, v104, vcc
	v_cndmask_b32_e32 v93, v93, v107, vcc
	v_cndmask_b32_e32 v92, v92, v106, vcc
	v_cndmask_b32_e32 v98, v98, v112, vcc
	s_cbranch_scc1 .LBB42_148
.LBB42_149:
	s_waitcnt lgkmcnt(0)
	v_cmp_eq_f64_e32 vcc, 0, v[90:91]
	v_cmp_eq_f64_e64 s[0:1], 0, v[92:93]
	s_and_b64 s[0:1], vcc, s[0:1]
	s_and_saveexec_b64 s[8:9], s[0:1]
	s_xor_b64 s[0:1], exec, s[8:9]
; %bb.150:
	v_cmp_ne_u32_e32 vcc, 0, v103
	v_cndmask_b32_e32 v103, 8, v103, vcc
; %bb.151:
	s_andn2_saveexec_b64 s[0:1], s[0:1]
	s_cbranch_execz .LBB42_157
; %bb.152:
	v_cmp_ngt_f64_e64 s[8:9], |v[90:91]|, |v[92:93]|
	s_and_saveexec_b64 s[20:21], s[8:9]
	s_xor_b64 s[8:9], exec, s[20:21]
	s_cbranch_execz .LBB42_154
; %bb.153:
	v_div_scale_f64 v[104:105], s[20:21], v[92:93], v[92:93], v[90:91]
	v_rcp_f64_e32 v[106:107], v[104:105]
	v_fma_f64 v[108:109], -v[104:105], v[106:107], 1.0
	v_fma_f64 v[106:107], v[106:107], v[108:109], v[106:107]
	v_div_scale_f64 v[108:109], vcc, v[90:91], v[92:93], v[90:91]
	v_fma_f64 v[110:111], -v[104:105], v[106:107], 1.0
	v_fma_f64 v[106:107], v[106:107], v[110:111], v[106:107]
	v_mul_f64 v[110:111], v[108:109], v[106:107]
	v_fma_f64 v[104:105], -v[104:105], v[110:111], v[108:109]
	v_div_fmas_f64 v[104:105], v[104:105], v[106:107], v[110:111]
	v_div_fixup_f64 v[104:105], v[104:105], v[92:93], v[90:91]
	v_fma_f64 v[90:91], v[90:91], v[104:105], v[92:93]
	v_div_scale_f64 v[92:93], s[20:21], v[90:91], v[90:91], 1.0
	v_div_scale_f64 v[110:111], vcc, 1.0, v[90:91], 1.0
	v_rcp_f64_e32 v[106:107], v[92:93]
	v_fma_f64 v[108:109], -v[92:93], v[106:107], 1.0
	v_fma_f64 v[106:107], v[106:107], v[108:109], v[106:107]
	v_fma_f64 v[108:109], -v[92:93], v[106:107], 1.0
	v_fma_f64 v[106:107], v[106:107], v[108:109], v[106:107]
	v_mul_f64 v[108:109], v[110:111], v[106:107]
	v_fma_f64 v[92:93], -v[92:93], v[108:109], v[110:111]
	v_div_fmas_f64 v[92:93], v[92:93], v[106:107], v[108:109]
	v_div_fixup_f64 v[92:93], v[92:93], v[90:91], 1.0
	v_mul_f64 v[90:91], v[104:105], v[92:93]
	v_xor_b32_e32 v93, 0x80000000, v93
.LBB42_154:
	s_andn2_saveexec_b64 s[8:9], s[8:9]
	s_cbranch_execz .LBB42_156
; %bb.155:
	v_div_scale_f64 v[104:105], s[20:21], v[90:91], v[90:91], v[92:93]
	v_rcp_f64_e32 v[106:107], v[104:105]
	v_fma_f64 v[108:109], -v[104:105], v[106:107], 1.0
	v_fma_f64 v[106:107], v[106:107], v[108:109], v[106:107]
	v_div_scale_f64 v[108:109], vcc, v[92:93], v[90:91], v[92:93]
	v_fma_f64 v[110:111], -v[104:105], v[106:107], 1.0
	v_fma_f64 v[106:107], v[106:107], v[110:111], v[106:107]
	v_mul_f64 v[110:111], v[108:109], v[106:107]
	v_fma_f64 v[104:105], -v[104:105], v[110:111], v[108:109]
	v_div_fmas_f64 v[104:105], v[104:105], v[106:107], v[110:111]
	v_div_fixup_f64 v[104:105], v[104:105], v[90:91], v[92:93]
	v_fma_f64 v[90:91], v[92:93], v[104:105], v[90:91]
	v_div_scale_f64 v[92:93], s[20:21], v[90:91], v[90:91], 1.0
	v_div_scale_f64 v[110:111], vcc, 1.0, v[90:91], 1.0
	v_rcp_f64_e32 v[106:107], v[92:93]
	v_fma_f64 v[108:109], -v[92:93], v[106:107], 1.0
	v_fma_f64 v[106:107], v[106:107], v[108:109], v[106:107]
	v_fma_f64 v[108:109], -v[92:93], v[106:107], 1.0
	v_fma_f64 v[106:107], v[106:107], v[108:109], v[106:107]
	v_mul_f64 v[108:109], v[110:111], v[106:107]
	v_fma_f64 v[92:93], -v[92:93], v[108:109], v[110:111]
	v_div_fmas_f64 v[92:93], v[92:93], v[106:107], v[108:109]
	v_div_fixup_f64 v[90:91], v[92:93], v[90:91], 1.0
	v_mul_f64 v[92:93], v[104:105], -v[90:91]
.LBB42_156:
	s_or_b64 exec, exec, s[8:9]
.LBB42_157:
	s_or_b64 exec, exec, s[0:1]
	v_cmp_ne_u32_e32 vcc, v100, v98
	s_and_saveexec_b64 s[0:1], vcc
	s_xor_b64 s[0:1], exec, s[0:1]
	s_cbranch_execz .LBB42_163
; %bb.158:
	v_cmp_eq_u32_e32 vcc, 7, v100
	s_and_saveexec_b64 s[8:9], vcc
	s_cbranch_execz .LBB42_162
; %bb.159:
	v_cmp_ne_u32_e32 vcc, 7, v98
	s_xor_b64 s[20:21], s[18:19], -1
	s_and_b64 s[24:25], s[20:21], vcc
	s_and_saveexec_b64 s[20:21], s[24:25]
	s_cbranch_execz .LBB42_161
; %bb.160:
	v_ashrrev_i32_e32 v99, 31, v98
	v_lshlrev_b64 v[99:100], 2, v[98:99]
	v_add_co_u32_e32 v99, vcc, v96, v99
	v_addc_co_u32_e32 v100, vcc, v97, v100, vcc
	global_load_dword v0, v[99:100], off
	global_load_dword v104, v[96:97], off offset:28
	s_waitcnt vmcnt(1)
	global_store_dword v[96:97], v0, off offset:28
	s_waitcnt vmcnt(1)
	global_store_dword v[99:100], v104, off
.LBB42_161:
	s_or_b64 exec, exec, s[20:21]
	v_mov_b32_e32 v100, v98
	v_mov_b32_e32 v0, v98
.LBB42_162:
	s_or_b64 exec, exec, s[8:9]
.LBB42_163:
	s_andn2_saveexec_b64 s[0:1], s[0:1]
	s_cbranch_execz .LBB42_165
; %bb.164:
	v_mov_b32_e32 v100, 7
	ds_write2_b64 v1, v[50:51], v[52:53] offset0:16 offset1:17
	ds_write2_b64 v1, v[46:47], v[48:49] offset0:18 offset1:19
	;; [unrolled: 1-line block ×14, first 2 shown]
.LBB42_165:
	s_or_b64 exec, exec, s[0:1]
	v_cmp_lt_i32_e32 vcc, 7, v100
	s_waitcnt vmcnt(0) lgkmcnt(0)
	s_barrier
	s_and_saveexec_b64 s[0:1], vcc
	s_cbranch_execz .LBB42_167
; %bb.166:
	v_mul_f64 v[98:99], v[90:91], v[56:57]
	v_mul_f64 v[56:57], v[92:93], v[56:57]
	v_fma_f64 v[98:99], v[92:93], v[54:55], v[98:99]
	v_fma_f64 v[54:55], v[90:91], v[54:55], -v[56:57]
	ds_read2_b64 v[90:93], v1 offset0:16 offset1:17
	s_waitcnt lgkmcnt(0)
	v_mul_f64 v[56:57], v[92:93], v[98:99]
	v_fma_f64 v[56:57], v[90:91], v[54:55], -v[56:57]
	v_mul_f64 v[90:91], v[90:91], v[98:99]
	v_add_f64 v[50:51], v[50:51], -v[56:57]
	v_fma_f64 v[90:91], v[92:93], v[54:55], v[90:91]
	v_add_f64 v[52:53], v[52:53], -v[90:91]
	ds_read2_b64 v[90:93], v1 offset0:18 offset1:19
	s_waitcnt lgkmcnt(0)
	v_mul_f64 v[56:57], v[92:93], v[98:99]
	v_fma_f64 v[56:57], v[90:91], v[54:55], -v[56:57]
	v_mul_f64 v[90:91], v[90:91], v[98:99]
	v_add_f64 v[46:47], v[46:47], -v[56:57]
	v_fma_f64 v[90:91], v[92:93], v[54:55], v[90:91]
	v_add_f64 v[48:49], v[48:49], -v[90:91]
	;; [unrolled: 8-line block ×13, first 2 shown]
	ds_read2_b64 v[90:93], v1 offset0:42 offset1:43
	s_waitcnt lgkmcnt(0)
	v_mul_f64 v[56:57], v[92:93], v[98:99]
	v_fma_f64 v[56:57], v[90:91], v[54:55], -v[56:57]
	v_mul_f64 v[90:91], v[90:91], v[98:99]
	v_add_f64 v[86:87], v[86:87], -v[56:57]
	v_fma_f64 v[90:91], v[92:93], v[54:55], v[90:91]
	v_mov_b32_e32 v56, v98
	v_mov_b32_e32 v57, v99
	v_add_f64 v[88:89], v[88:89], -v[90:91]
.LBB42_167:
	s_or_b64 exec, exec, s[0:1]
	v_lshl_add_u32 v90, v100, 4, v1
	s_barrier
	ds_write2_b64 v90, v[50:51], v[52:53] offset1:1
	s_waitcnt lgkmcnt(0)
	s_barrier
	ds_read2_b64 v[90:93], v1 offset0:16 offset1:17
	s_cmp_lt_i32 s22, 10
	v_mov_b32_e32 v98, 8
	s_cbranch_scc1 .LBB42_170
; %bb.168:
	v_add_u32_e32 v99, 0x90, v1
	s_mov_b32 s7, 9
	v_mov_b32_e32 v98, 8
.LBB42_169:                             ; =>This Inner Loop Header: Depth=1
	s_waitcnt lgkmcnt(0)
	v_cmp_gt_f64_e32 vcc, 0, v[92:93]
	v_cmp_gt_f64_e64 s[0:1], 0, v[90:91]
	ds_read2_b64 v[104:107], v99 offset1:1
	v_xor_b32_e32 v109, 0x80000000, v91
	v_xor_b32_e32 v111, 0x80000000, v93
	v_mov_b32_e32 v108, v90
	v_mov_b32_e32 v110, v92
	s_waitcnt lgkmcnt(0)
	v_xor_b32_e32 v113, 0x80000000, v107
	v_cndmask_b32_e32 v111, v93, v111, vcc
	v_cndmask_b32_e64 v109, v91, v109, s[0:1]
	v_cmp_gt_f64_e32 vcc, 0, v[106:107]
	v_cmp_gt_f64_e64 s[0:1], 0, v[104:105]
	v_add_f64 v[108:109], v[108:109], v[110:111]
	v_xor_b32_e32 v111, 0x80000000, v105
	v_mov_b32_e32 v110, v104
	v_mov_b32_e32 v112, v106
	v_add_u32_e32 v99, 16, v99
	v_cndmask_b32_e32 v113, v107, v113, vcc
	v_cndmask_b32_e64 v111, v105, v111, s[0:1]
	v_add_f64 v[110:111], v[110:111], v[112:113]
	v_mov_b32_e32 v112, s7
	s_add_i32 s7, s7, 1
	s_cmp_lg_u32 s22, s7
	v_cmp_lt_f64_e32 vcc, v[108:109], v[110:111]
	v_cndmask_b32_e32 v91, v91, v105, vcc
	v_cndmask_b32_e32 v90, v90, v104, vcc
	;; [unrolled: 1-line block ×5, first 2 shown]
	s_cbranch_scc1 .LBB42_169
.LBB42_170:
	s_waitcnt lgkmcnt(0)
	v_cmp_eq_f64_e32 vcc, 0, v[90:91]
	v_cmp_eq_f64_e64 s[0:1], 0, v[92:93]
	s_and_b64 s[0:1], vcc, s[0:1]
	s_and_saveexec_b64 s[8:9], s[0:1]
	s_xor_b64 s[0:1], exec, s[8:9]
; %bb.171:
	v_cmp_ne_u32_e32 vcc, 0, v103
	v_cndmask_b32_e32 v103, 9, v103, vcc
; %bb.172:
	s_andn2_saveexec_b64 s[0:1], s[0:1]
	s_cbranch_execz .LBB42_178
; %bb.173:
	v_cmp_ngt_f64_e64 s[8:9], |v[90:91]|, |v[92:93]|
	s_and_saveexec_b64 s[20:21], s[8:9]
	s_xor_b64 s[8:9], exec, s[20:21]
	s_cbranch_execz .LBB42_175
; %bb.174:
	v_div_scale_f64 v[104:105], s[20:21], v[92:93], v[92:93], v[90:91]
	v_rcp_f64_e32 v[106:107], v[104:105]
	v_fma_f64 v[108:109], -v[104:105], v[106:107], 1.0
	v_fma_f64 v[106:107], v[106:107], v[108:109], v[106:107]
	v_div_scale_f64 v[108:109], vcc, v[90:91], v[92:93], v[90:91]
	v_fma_f64 v[110:111], -v[104:105], v[106:107], 1.0
	v_fma_f64 v[106:107], v[106:107], v[110:111], v[106:107]
	v_mul_f64 v[110:111], v[108:109], v[106:107]
	v_fma_f64 v[104:105], -v[104:105], v[110:111], v[108:109]
	v_div_fmas_f64 v[104:105], v[104:105], v[106:107], v[110:111]
	v_div_fixup_f64 v[104:105], v[104:105], v[92:93], v[90:91]
	v_fma_f64 v[90:91], v[90:91], v[104:105], v[92:93]
	v_div_scale_f64 v[92:93], s[20:21], v[90:91], v[90:91], 1.0
	v_div_scale_f64 v[110:111], vcc, 1.0, v[90:91], 1.0
	v_rcp_f64_e32 v[106:107], v[92:93]
	v_fma_f64 v[108:109], -v[92:93], v[106:107], 1.0
	v_fma_f64 v[106:107], v[106:107], v[108:109], v[106:107]
	v_fma_f64 v[108:109], -v[92:93], v[106:107], 1.0
	v_fma_f64 v[106:107], v[106:107], v[108:109], v[106:107]
	v_mul_f64 v[108:109], v[110:111], v[106:107]
	v_fma_f64 v[92:93], -v[92:93], v[108:109], v[110:111]
	v_div_fmas_f64 v[92:93], v[92:93], v[106:107], v[108:109]
	v_div_fixup_f64 v[92:93], v[92:93], v[90:91], 1.0
	v_mul_f64 v[90:91], v[104:105], v[92:93]
	v_xor_b32_e32 v93, 0x80000000, v93
.LBB42_175:
	s_andn2_saveexec_b64 s[8:9], s[8:9]
	s_cbranch_execz .LBB42_177
; %bb.176:
	v_div_scale_f64 v[104:105], s[20:21], v[90:91], v[90:91], v[92:93]
	v_rcp_f64_e32 v[106:107], v[104:105]
	v_fma_f64 v[108:109], -v[104:105], v[106:107], 1.0
	v_fma_f64 v[106:107], v[106:107], v[108:109], v[106:107]
	v_div_scale_f64 v[108:109], vcc, v[92:93], v[90:91], v[92:93]
	v_fma_f64 v[110:111], -v[104:105], v[106:107], 1.0
	v_fma_f64 v[106:107], v[106:107], v[110:111], v[106:107]
	v_mul_f64 v[110:111], v[108:109], v[106:107]
	v_fma_f64 v[104:105], -v[104:105], v[110:111], v[108:109]
	v_div_fmas_f64 v[104:105], v[104:105], v[106:107], v[110:111]
	v_div_fixup_f64 v[104:105], v[104:105], v[90:91], v[92:93]
	v_fma_f64 v[90:91], v[92:93], v[104:105], v[90:91]
	v_div_scale_f64 v[92:93], s[20:21], v[90:91], v[90:91], 1.0
	v_div_scale_f64 v[110:111], vcc, 1.0, v[90:91], 1.0
	v_rcp_f64_e32 v[106:107], v[92:93]
	v_fma_f64 v[108:109], -v[92:93], v[106:107], 1.0
	v_fma_f64 v[106:107], v[106:107], v[108:109], v[106:107]
	v_fma_f64 v[108:109], -v[92:93], v[106:107], 1.0
	v_fma_f64 v[106:107], v[106:107], v[108:109], v[106:107]
	v_mul_f64 v[108:109], v[110:111], v[106:107]
	v_fma_f64 v[92:93], -v[92:93], v[108:109], v[110:111]
	v_div_fmas_f64 v[92:93], v[92:93], v[106:107], v[108:109]
	v_div_fixup_f64 v[90:91], v[92:93], v[90:91], 1.0
	v_mul_f64 v[92:93], v[104:105], -v[90:91]
.LBB42_177:
	s_or_b64 exec, exec, s[8:9]
.LBB42_178:
	s_or_b64 exec, exec, s[0:1]
	v_cmp_ne_u32_e32 vcc, v100, v98
	s_and_saveexec_b64 s[0:1], vcc
	s_xor_b64 s[0:1], exec, s[0:1]
	s_cbranch_execz .LBB42_184
; %bb.179:
	v_cmp_eq_u32_e32 vcc, 8, v100
	s_and_saveexec_b64 s[8:9], vcc
	s_cbranch_execz .LBB42_183
; %bb.180:
	v_cmp_ne_u32_e32 vcc, 8, v98
	s_xor_b64 s[20:21], s[18:19], -1
	s_and_b64 s[24:25], s[20:21], vcc
	s_and_saveexec_b64 s[20:21], s[24:25]
	s_cbranch_execz .LBB42_182
; %bb.181:
	v_ashrrev_i32_e32 v99, 31, v98
	v_lshlrev_b64 v[99:100], 2, v[98:99]
	v_add_co_u32_e32 v99, vcc, v96, v99
	v_addc_co_u32_e32 v100, vcc, v97, v100, vcc
	global_load_dword v0, v[99:100], off
	global_load_dword v104, v[96:97], off offset:32
	s_waitcnt vmcnt(1)
	global_store_dword v[96:97], v0, off offset:32
	s_waitcnt vmcnt(1)
	global_store_dword v[99:100], v104, off
.LBB42_182:
	s_or_b64 exec, exec, s[20:21]
	v_mov_b32_e32 v100, v98
	v_mov_b32_e32 v0, v98
.LBB42_183:
	s_or_b64 exec, exec, s[8:9]
.LBB42_184:
	s_andn2_saveexec_b64 s[0:1], s[0:1]
	s_cbranch_execz .LBB42_186
; %bb.185:
	v_mov_b32_e32 v100, 8
	ds_write2_b64 v1, v[46:47], v[48:49] offset0:18 offset1:19
	ds_write2_b64 v1, v[42:43], v[44:45] offset0:20 offset1:21
	;; [unrolled: 1-line block ×13, first 2 shown]
.LBB42_186:
	s_or_b64 exec, exec, s[0:1]
	v_cmp_lt_i32_e32 vcc, 8, v100
	s_waitcnt vmcnt(0) lgkmcnt(0)
	s_barrier
	s_and_saveexec_b64 s[0:1], vcc
	s_cbranch_execz .LBB42_188
; %bb.187:
	v_mul_f64 v[98:99], v[90:91], v[52:53]
	v_mul_f64 v[52:53], v[92:93], v[52:53]
	v_fma_f64 v[98:99], v[92:93], v[50:51], v[98:99]
	v_fma_f64 v[50:51], v[90:91], v[50:51], -v[52:53]
	ds_read2_b64 v[90:93], v1 offset0:18 offset1:19
	s_waitcnt lgkmcnt(0)
	v_mul_f64 v[52:53], v[92:93], v[98:99]
	v_fma_f64 v[52:53], v[90:91], v[50:51], -v[52:53]
	v_mul_f64 v[90:91], v[90:91], v[98:99]
	v_add_f64 v[46:47], v[46:47], -v[52:53]
	v_fma_f64 v[90:91], v[92:93], v[50:51], v[90:91]
	v_add_f64 v[48:49], v[48:49], -v[90:91]
	ds_read2_b64 v[90:93], v1 offset0:20 offset1:21
	s_waitcnt lgkmcnt(0)
	v_mul_f64 v[52:53], v[92:93], v[98:99]
	v_fma_f64 v[52:53], v[90:91], v[50:51], -v[52:53]
	v_mul_f64 v[90:91], v[90:91], v[98:99]
	v_add_f64 v[42:43], v[42:43], -v[52:53]
	v_fma_f64 v[90:91], v[92:93], v[50:51], v[90:91]
	v_add_f64 v[44:45], v[44:45], -v[90:91]
	ds_read2_b64 v[90:93], v1 offset0:22 offset1:23
	s_waitcnt lgkmcnt(0)
	v_mul_f64 v[52:53], v[92:93], v[98:99]
	v_fma_f64 v[52:53], v[90:91], v[50:51], -v[52:53]
	v_mul_f64 v[90:91], v[90:91], v[98:99]
	v_add_f64 v[38:39], v[38:39], -v[52:53]
	v_fma_f64 v[90:91], v[92:93], v[50:51], v[90:91]
	v_add_f64 v[40:41], v[40:41], -v[90:91]
	ds_read2_b64 v[90:93], v1 offset0:24 offset1:25
	s_waitcnt lgkmcnt(0)
	v_mul_f64 v[52:53], v[92:93], v[98:99]
	v_fma_f64 v[52:53], v[90:91], v[50:51], -v[52:53]
	v_mul_f64 v[90:91], v[90:91], v[98:99]
	v_add_f64 v[34:35], v[34:35], -v[52:53]
	v_fma_f64 v[90:91], v[92:93], v[50:51], v[90:91]
	v_add_f64 v[36:37], v[36:37], -v[90:91]
	ds_read2_b64 v[90:93], v1 offset0:26 offset1:27
	s_waitcnt lgkmcnt(0)
	v_mul_f64 v[52:53], v[92:93], v[98:99]
	v_fma_f64 v[52:53], v[90:91], v[50:51], -v[52:53]
	v_mul_f64 v[90:91], v[90:91], v[98:99]
	v_add_f64 v[30:31], v[30:31], -v[52:53]
	v_fma_f64 v[90:91], v[92:93], v[50:51], v[90:91]
	v_add_f64 v[32:33], v[32:33], -v[90:91]
	ds_read2_b64 v[90:93], v1 offset0:28 offset1:29
	s_waitcnt lgkmcnt(0)
	v_mul_f64 v[52:53], v[92:93], v[98:99]
	v_fma_f64 v[52:53], v[90:91], v[50:51], -v[52:53]
	v_mul_f64 v[90:91], v[90:91], v[98:99]
	v_add_f64 v[26:27], v[26:27], -v[52:53]
	v_fma_f64 v[90:91], v[92:93], v[50:51], v[90:91]
	v_add_f64 v[28:29], v[28:29], -v[90:91]
	ds_read2_b64 v[90:93], v1 offset0:30 offset1:31
	s_waitcnt lgkmcnt(0)
	v_mul_f64 v[52:53], v[92:93], v[98:99]
	v_fma_f64 v[52:53], v[90:91], v[50:51], -v[52:53]
	v_mul_f64 v[90:91], v[90:91], v[98:99]
	v_add_f64 v[22:23], v[22:23], -v[52:53]
	v_fma_f64 v[90:91], v[92:93], v[50:51], v[90:91]
	v_add_f64 v[24:25], v[24:25], -v[90:91]
	ds_read2_b64 v[90:93], v1 offset0:32 offset1:33
	s_waitcnt lgkmcnt(0)
	v_mul_f64 v[52:53], v[92:93], v[98:99]
	v_fma_f64 v[52:53], v[90:91], v[50:51], -v[52:53]
	v_mul_f64 v[90:91], v[90:91], v[98:99]
	v_add_f64 v[18:19], v[18:19], -v[52:53]
	v_fma_f64 v[90:91], v[92:93], v[50:51], v[90:91]
	v_add_f64 v[20:21], v[20:21], -v[90:91]
	ds_read2_b64 v[90:93], v1 offset0:34 offset1:35
	s_waitcnt lgkmcnt(0)
	v_mul_f64 v[52:53], v[92:93], v[98:99]
	v_fma_f64 v[52:53], v[90:91], v[50:51], -v[52:53]
	v_mul_f64 v[90:91], v[90:91], v[98:99]
	v_add_f64 v[14:15], v[14:15], -v[52:53]
	v_fma_f64 v[90:91], v[92:93], v[50:51], v[90:91]
	v_add_f64 v[16:17], v[16:17], -v[90:91]
	ds_read2_b64 v[90:93], v1 offset0:36 offset1:37
	s_waitcnt lgkmcnt(0)
	v_mul_f64 v[52:53], v[92:93], v[98:99]
	v_fma_f64 v[52:53], v[90:91], v[50:51], -v[52:53]
	v_mul_f64 v[90:91], v[90:91], v[98:99]
	v_add_f64 v[10:11], v[10:11], -v[52:53]
	v_fma_f64 v[90:91], v[92:93], v[50:51], v[90:91]
	v_add_f64 v[12:13], v[12:13], -v[90:91]
	ds_read2_b64 v[90:93], v1 offset0:38 offset1:39
	s_waitcnt lgkmcnt(0)
	v_mul_f64 v[52:53], v[92:93], v[98:99]
	v_fma_f64 v[52:53], v[90:91], v[50:51], -v[52:53]
	v_mul_f64 v[90:91], v[90:91], v[98:99]
	v_add_f64 v[6:7], v[6:7], -v[52:53]
	v_fma_f64 v[90:91], v[92:93], v[50:51], v[90:91]
	v_add_f64 v[8:9], v[8:9], -v[90:91]
	ds_read2_b64 v[90:93], v1 offset0:40 offset1:41
	s_waitcnt lgkmcnt(0)
	v_mul_f64 v[52:53], v[92:93], v[98:99]
	v_fma_f64 v[52:53], v[90:91], v[50:51], -v[52:53]
	v_mul_f64 v[90:91], v[90:91], v[98:99]
	v_add_f64 v[2:3], v[2:3], -v[52:53]
	v_fma_f64 v[90:91], v[92:93], v[50:51], v[90:91]
	v_add_f64 v[4:5], v[4:5], -v[90:91]
	ds_read2_b64 v[90:93], v1 offset0:42 offset1:43
	s_waitcnt lgkmcnt(0)
	v_mul_f64 v[52:53], v[92:93], v[98:99]
	v_fma_f64 v[52:53], v[90:91], v[50:51], -v[52:53]
	v_mul_f64 v[90:91], v[90:91], v[98:99]
	v_add_f64 v[86:87], v[86:87], -v[52:53]
	v_fma_f64 v[90:91], v[92:93], v[50:51], v[90:91]
	v_mov_b32_e32 v52, v98
	v_mov_b32_e32 v53, v99
	v_add_f64 v[88:89], v[88:89], -v[90:91]
.LBB42_188:
	s_or_b64 exec, exec, s[0:1]
	v_lshl_add_u32 v90, v100, 4, v1
	s_barrier
	ds_write2_b64 v90, v[46:47], v[48:49] offset1:1
	s_waitcnt lgkmcnt(0)
	s_barrier
	ds_read2_b64 v[90:93], v1 offset0:18 offset1:19
	s_cmp_lt_i32 s22, 11
	v_mov_b32_e32 v98, 9
	s_cbranch_scc1 .LBB42_191
; %bb.189:
	v_add_u32_e32 v99, 0xa0, v1
	s_mov_b32 s7, 10
	v_mov_b32_e32 v98, 9
.LBB42_190:                             ; =>This Inner Loop Header: Depth=1
	s_waitcnt lgkmcnt(0)
	v_cmp_gt_f64_e32 vcc, 0, v[92:93]
	v_cmp_gt_f64_e64 s[0:1], 0, v[90:91]
	ds_read2_b64 v[104:107], v99 offset1:1
	v_xor_b32_e32 v109, 0x80000000, v91
	v_xor_b32_e32 v111, 0x80000000, v93
	v_mov_b32_e32 v108, v90
	v_mov_b32_e32 v110, v92
	s_waitcnt lgkmcnt(0)
	v_xor_b32_e32 v113, 0x80000000, v107
	v_cndmask_b32_e32 v111, v93, v111, vcc
	v_cndmask_b32_e64 v109, v91, v109, s[0:1]
	v_cmp_gt_f64_e32 vcc, 0, v[106:107]
	v_cmp_gt_f64_e64 s[0:1], 0, v[104:105]
	v_add_f64 v[108:109], v[108:109], v[110:111]
	v_xor_b32_e32 v111, 0x80000000, v105
	v_mov_b32_e32 v110, v104
	v_mov_b32_e32 v112, v106
	v_add_u32_e32 v99, 16, v99
	v_cndmask_b32_e32 v113, v107, v113, vcc
	v_cndmask_b32_e64 v111, v105, v111, s[0:1]
	v_add_f64 v[110:111], v[110:111], v[112:113]
	v_mov_b32_e32 v112, s7
	s_add_i32 s7, s7, 1
	s_cmp_lg_u32 s22, s7
	v_cmp_lt_f64_e32 vcc, v[108:109], v[110:111]
	v_cndmask_b32_e32 v91, v91, v105, vcc
	v_cndmask_b32_e32 v90, v90, v104, vcc
	;; [unrolled: 1-line block ×5, first 2 shown]
	s_cbranch_scc1 .LBB42_190
.LBB42_191:
	s_waitcnt lgkmcnt(0)
	v_cmp_eq_f64_e32 vcc, 0, v[90:91]
	v_cmp_eq_f64_e64 s[0:1], 0, v[92:93]
	s_and_b64 s[0:1], vcc, s[0:1]
	s_and_saveexec_b64 s[8:9], s[0:1]
	s_xor_b64 s[0:1], exec, s[8:9]
; %bb.192:
	v_cmp_ne_u32_e32 vcc, 0, v103
	v_cndmask_b32_e32 v103, 10, v103, vcc
; %bb.193:
	s_andn2_saveexec_b64 s[0:1], s[0:1]
	s_cbranch_execz .LBB42_199
; %bb.194:
	v_cmp_ngt_f64_e64 s[8:9], |v[90:91]|, |v[92:93]|
	s_and_saveexec_b64 s[20:21], s[8:9]
	s_xor_b64 s[8:9], exec, s[20:21]
	s_cbranch_execz .LBB42_196
; %bb.195:
	v_div_scale_f64 v[104:105], s[20:21], v[92:93], v[92:93], v[90:91]
	v_rcp_f64_e32 v[106:107], v[104:105]
	v_fma_f64 v[108:109], -v[104:105], v[106:107], 1.0
	v_fma_f64 v[106:107], v[106:107], v[108:109], v[106:107]
	v_div_scale_f64 v[108:109], vcc, v[90:91], v[92:93], v[90:91]
	v_fma_f64 v[110:111], -v[104:105], v[106:107], 1.0
	v_fma_f64 v[106:107], v[106:107], v[110:111], v[106:107]
	v_mul_f64 v[110:111], v[108:109], v[106:107]
	v_fma_f64 v[104:105], -v[104:105], v[110:111], v[108:109]
	v_div_fmas_f64 v[104:105], v[104:105], v[106:107], v[110:111]
	v_div_fixup_f64 v[104:105], v[104:105], v[92:93], v[90:91]
	v_fma_f64 v[90:91], v[90:91], v[104:105], v[92:93]
	v_div_scale_f64 v[92:93], s[20:21], v[90:91], v[90:91], 1.0
	v_div_scale_f64 v[110:111], vcc, 1.0, v[90:91], 1.0
	v_rcp_f64_e32 v[106:107], v[92:93]
	v_fma_f64 v[108:109], -v[92:93], v[106:107], 1.0
	v_fma_f64 v[106:107], v[106:107], v[108:109], v[106:107]
	v_fma_f64 v[108:109], -v[92:93], v[106:107], 1.0
	v_fma_f64 v[106:107], v[106:107], v[108:109], v[106:107]
	v_mul_f64 v[108:109], v[110:111], v[106:107]
	v_fma_f64 v[92:93], -v[92:93], v[108:109], v[110:111]
	v_div_fmas_f64 v[92:93], v[92:93], v[106:107], v[108:109]
	v_div_fixup_f64 v[92:93], v[92:93], v[90:91], 1.0
	v_mul_f64 v[90:91], v[104:105], v[92:93]
	v_xor_b32_e32 v93, 0x80000000, v93
.LBB42_196:
	s_andn2_saveexec_b64 s[8:9], s[8:9]
	s_cbranch_execz .LBB42_198
; %bb.197:
	v_div_scale_f64 v[104:105], s[20:21], v[90:91], v[90:91], v[92:93]
	v_rcp_f64_e32 v[106:107], v[104:105]
	v_fma_f64 v[108:109], -v[104:105], v[106:107], 1.0
	v_fma_f64 v[106:107], v[106:107], v[108:109], v[106:107]
	v_div_scale_f64 v[108:109], vcc, v[92:93], v[90:91], v[92:93]
	v_fma_f64 v[110:111], -v[104:105], v[106:107], 1.0
	v_fma_f64 v[106:107], v[106:107], v[110:111], v[106:107]
	v_mul_f64 v[110:111], v[108:109], v[106:107]
	v_fma_f64 v[104:105], -v[104:105], v[110:111], v[108:109]
	v_div_fmas_f64 v[104:105], v[104:105], v[106:107], v[110:111]
	v_div_fixup_f64 v[104:105], v[104:105], v[90:91], v[92:93]
	v_fma_f64 v[90:91], v[92:93], v[104:105], v[90:91]
	v_div_scale_f64 v[92:93], s[20:21], v[90:91], v[90:91], 1.0
	v_div_scale_f64 v[110:111], vcc, 1.0, v[90:91], 1.0
	v_rcp_f64_e32 v[106:107], v[92:93]
	v_fma_f64 v[108:109], -v[92:93], v[106:107], 1.0
	v_fma_f64 v[106:107], v[106:107], v[108:109], v[106:107]
	v_fma_f64 v[108:109], -v[92:93], v[106:107], 1.0
	v_fma_f64 v[106:107], v[106:107], v[108:109], v[106:107]
	v_mul_f64 v[108:109], v[110:111], v[106:107]
	v_fma_f64 v[92:93], -v[92:93], v[108:109], v[110:111]
	v_div_fmas_f64 v[92:93], v[92:93], v[106:107], v[108:109]
	v_div_fixup_f64 v[90:91], v[92:93], v[90:91], 1.0
	v_mul_f64 v[92:93], v[104:105], -v[90:91]
.LBB42_198:
	s_or_b64 exec, exec, s[8:9]
.LBB42_199:
	s_or_b64 exec, exec, s[0:1]
	v_cmp_ne_u32_e32 vcc, v100, v98
	s_and_saveexec_b64 s[0:1], vcc
	s_xor_b64 s[0:1], exec, s[0:1]
	s_cbranch_execz .LBB42_205
; %bb.200:
	v_cmp_eq_u32_e32 vcc, 9, v100
	s_and_saveexec_b64 s[8:9], vcc
	s_cbranch_execz .LBB42_204
; %bb.201:
	v_cmp_ne_u32_e32 vcc, 9, v98
	s_xor_b64 s[20:21], s[18:19], -1
	s_and_b64 s[24:25], s[20:21], vcc
	s_and_saveexec_b64 s[20:21], s[24:25]
	s_cbranch_execz .LBB42_203
; %bb.202:
	v_ashrrev_i32_e32 v99, 31, v98
	v_lshlrev_b64 v[99:100], 2, v[98:99]
	v_add_co_u32_e32 v99, vcc, v96, v99
	v_addc_co_u32_e32 v100, vcc, v97, v100, vcc
	global_load_dword v0, v[99:100], off
	global_load_dword v104, v[96:97], off offset:36
	s_waitcnt vmcnt(1)
	global_store_dword v[96:97], v0, off offset:36
	s_waitcnt vmcnt(1)
	global_store_dword v[99:100], v104, off
.LBB42_203:
	s_or_b64 exec, exec, s[20:21]
	v_mov_b32_e32 v100, v98
	v_mov_b32_e32 v0, v98
.LBB42_204:
	s_or_b64 exec, exec, s[8:9]
.LBB42_205:
	s_andn2_saveexec_b64 s[0:1], s[0:1]
	s_cbranch_execz .LBB42_207
; %bb.206:
	v_mov_b32_e32 v100, 9
	ds_write2_b64 v1, v[42:43], v[44:45] offset0:20 offset1:21
	ds_write2_b64 v1, v[38:39], v[40:41] offset0:22 offset1:23
	;; [unrolled: 1-line block ×12, first 2 shown]
.LBB42_207:
	s_or_b64 exec, exec, s[0:1]
	v_cmp_lt_i32_e32 vcc, 9, v100
	s_waitcnt vmcnt(0) lgkmcnt(0)
	s_barrier
	s_and_saveexec_b64 s[0:1], vcc
	s_cbranch_execz .LBB42_209
; %bb.208:
	v_mul_f64 v[98:99], v[90:91], v[48:49]
	v_mul_f64 v[48:49], v[92:93], v[48:49]
	v_fma_f64 v[98:99], v[92:93], v[46:47], v[98:99]
	v_fma_f64 v[46:47], v[90:91], v[46:47], -v[48:49]
	ds_read2_b64 v[90:93], v1 offset0:20 offset1:21
	s_waitcnt lgkmcnt(0)
	v_mul_f64 v[48:49], v[92:93], v[98:99]
	v_fma_f64 v[48:49], v[90:91], v[46:47], -v[48:49]
	v_mul_f64 v[90:91], v[90:91], v[98:99]
	v_add_f64 v[42:43], v[42:43], -v[48:49]
	v_fma_f64 v[90:91], v[92:93], v[46:47], v[90:91]
	v_add_f64 v[44:45], v[44:45], -v[90:91]
	ds_read2_b64 v[90:93], v1 offset0:22 offset1:23
	s_waitcnt lgkmcnt(0)
	v_mul_f64 v[48:49], v[92:93], v[98:99]
	v_fma_f64 v[48:49], v[90:91], v[46:47], -v[48:49]
	v_mul_f64 v[90:91], v[90:91], v[98:99]
	v_add_f64 v[38:39], v[38:39], -v[48:49]
	v_fma_f64 v[90:91], v[92:93], v[46:47], v[90:91]
	v_add_f64 v[40:41], v[40:41], -v[90:91]
	;; [unrolled: 8-line block ×11, first 2 shown]
	ds_read2_b64 v[90:93], v1 offset0:42 offset1:43
	s_waitcnt lgkmcnt(0)
	v_mul_f64 v[48:49], v[92:93], v[98:99]
	v_fma_f64 v[48:49], v[90:91], v[46:47], -v[48:49]
	v_mul_f64 v[90:91], v[90:91], v[98:99]
	v_add_f64 v[86:87], v[86:87], -v[48:49]
	v_fma_f64 v[90:91], v[92:93], v[46:47], v[90:91]
	v_mov_b32_e32 v48, v98
	v_mov_b32_e32 v49, v99
	v_add_f64 v[88:89], v[88:89], -v[90:91]
.LBB42_209:
	s_or_b64 exec, exec, s[0:1]
	v_lshl_add_u32 v90, v100, 4, v1
	s_barrier
	ds_write2_b64 v90, v[42:43], v[44:45] offset1:1
	s_waitcnt lgkmcnt(0)
	s_barrier
	ds_read2_b64 v[90:93], v1 offset0:20 offset1:21
	s_cmp_lt_i32 s22, 12
	v_mov_b32_e32 v98, 10
	s_cbranch_scc1 .LBB42_212
; %bb.210:
	v_add_u32_e32 v99, 0xb0, v1
	s_mov_b32 s7, 11
	v_mov_b32_e32 v98, 10
.LBB42_211:                             ; =>This Inner Loop Header: Depth=1
	s_waitcnt lgkmcnt(0)
	v_cmp_gt_f64_e32 vcc, 0, v[92:93]
	v_cmp_gt_f64_e64 s[0:1], 0, v[90:91]
	ds_read2_b64 v[104:107], v99 offset1:1
	v_xor_b32_e32 v109, 0x80000000, v91
	v_xor_b32_e32 v111, 0x80000000, v93
	v_mov_b32_e32 v108, v90
	v_mov_b32_e32 v110, v92
	s_waitcnt lgkmcnt(0)
	v_xor_b32_e32 v113, 0x80000000, v107
	v_cndmask_b32_e32 v111, v93, v111, vcc
	v_cndmask_b32_e64 v109, v91, v109, s[0:1]
	v_cmp_gt_f64_e32 vcc, 0, v[106:107]
	v_cmp_gt_f64_e64 s[0:1], 0, v[104:105]
	v_add_f64 v[108:109], v[108:109], v[110:111]
	v_xor_b32_e32 v111, 0x80000000, v105
	v_mov_b32_e32 v110, v104
	v_mov_b32_e32 v112, v106
	v_add_u32_e32 v99, 16, v99
	v_cndmask_b32_e32 v113, v107, v113, vcc
	v_cndmask_b32_e64 v111, v105, v111, s[0:1]
	v_add_f64 v[110:111], v[110:111], v[112:113]
	v_mov_b32_e32 v112, s7
	s_add_i32 s7, s7, 1
	s_cmp_lg_u32 s22, s7
	v_cmp_lt_f64_e32 vcc, v[108:109], v[110:111]
	v_cndmask_b32_e32 v91, v91, v105, vcc
	v_cndmask_b32_e32 v90, v90, v104, vcc
	;; [unrolled: 1-line block ×5, first 2 shown]
	s_cbranch_scc1 .LBB42_211
.LBB42_212:
	s_waitcnt lgkmcnt(0)
	v_cmp_eq_f64_e32 vcc, 0, v[90:91]
	v_cmp_eq_f64_e64 s[0:1], 0, v[92:93]
	s_and_b64 s[0:1], vcc, s[0:1]
	s_and_saveexec_b64 s[8:9], s[0:1]
	s_xor_b64 s[0:1], exec, s[8:9]
; %bb.213:
	v_cmp_ne_u32_e32 vcc, 0, v103
	v_cndmask_b32_e32 v103, 11, v103, vcc
; %bb.214:
	s_andn2_saveexec_b64 s[0:1], s[0:1]
	s_cbranch_execz .LBB42_220
; %bb.215:
	v_cmp_ngt_f64_e64 s[8:9], |v[90:91]|, |v[92:93]|
	s_and_saveexec_b64 s[20:21], s[8:9]
	s_xor_b64 s[8:9], exec, s[20:21]
	s_cbranch_execz .LBB42_217
; %bb.216:
	v_div_scale_f64 v[104:105], s[20:21], v[92:93], v[92:93], v[90:91]
	v_rcp_f64_e32 v[106:107], v[104:105]
	v_fma_f64 v[108:109], -v[104:105], v[106:107], 1.0
	v_fma_f64 v[106:107], v[106:107], v[108:109], v[106:107]
	v_div_scale_f64 v[108:109], vcc, v[90:91], v[92:93], v[90:91]
	v_fma_f64 v[110:111], -v[104:105], v[106:107], 1.0
	v_fma_f64 v[106:107], v[106:107], v[110:111], v[106:107]
	v_mul_f64 v[110:111], v[108:109], v[106:107]
	v_fma_f64 v[104:105], -v[104:105], v[110:111], v[108:109]
	v_div_fmas_f64 v[104:105], v[104:105], v[106:107], v[110:111]
	v_div_fixup_f64 v[104:105], v[104:105], v[92:93], v[90:91]
	v_fma_f64 v[90:91], v[90:91], v[104:105], v[92:93]
	v_div_scale_f64 v[92:93], s[20:21], v[90:91], v[90:91], 1.0
	v_div_scale_f64 v[110:111], vcc, 1.0, v[90:91], 1.0
	v_rcp_f64_e32 v[106:107], v[92:93]
	v_fma_f64 v[108:109], -v[92:93], v[106:107], 1.0
	v_fma_f64 v[106:107], v[106:107], v[108:109], v[106:107]
	v_fma_f64 v[108:109], -v[92:93], v[106:107], 1.0
	v_fma_f64 v[106:107], v[106:107], v[108:109], v[106:107]
	v_mul_f64 v[108:109], v[110:111], v[106:107]
	v_fma_f64 v[92:93], -v[92:93], v[108:109], v[110:111]
	v_div_fmas_f64 v[92:93], v[92:93], v[106:107], v[108:109]
	v_div_fixup_f64 v[92:93], v[92:93], v[90:91], 1.0
	v_mul_f64 v[90:91], v[104:105], v[92:93]
	v_xor_b32_e32 v93, 0x80000000, v93
.LBB42_217:
	s_andn2_saveexec_b64 s[8:9], s[8:9]
	s_cbranch_execz .LBB42_219
; %bb.218:
	v_div_scale_f64 v[104:105], s[20:21], v[90:91], v[90:91], v[92:93]
	v_rcp_f64_e32 v[106:107], v[104:105]
	v_fma_f64 v[108:109], -v[104:105], v[106:107], 1.0
	v_fma_f64 v[106:107], v[106:107], v[108:109], v[106:107]
	v_div_scale_f64 v[108:109], vcc, v[92:93], v[90:91], v[92:93]
	v_fma_f64 v[110:111], -v[104:105], v[106:107], 1.0
	v_fma_f64 v[106:107], v[106:107], v[110:111], v[106:107]
	v_mul_f64 v[110:111], v[108:109], v[106:107]
	v_fma_f64 v[104:105], -v[104:105], v[110:111], v[108:109]
	v_div_fmas_f64 v[104:105], v[104:105], v[106:107], v[110:111]
	v_div_fixup_f64 v[104:105], v[104:105], v[90:91], v[92:93]
	v_fma_f64 v[90:91], v[92:93], v[104:105], v[90:91]
	v_div_scale_f64 v[92:93], s[20:21], v[90:91], v[90:91], 1.0
	v_div_scale_f64 v[110:111], vcc, 1.0, v[90:91], 1.0
	v_rcp_f64_e32 v[106:107], v[92:93]
	v_fma_f64 v[108:109], -v[92:93], v[106:107], 1.0
	v_fma_f64 v[106:107], v[106:107], v[108:109], v[106:107]
	v_fma_f64 v[108:109], -v[92:93], v[106:107], 1.0
	v_fma_f64 v[106:107], v[106:107], v[108:109], v[106:107]
	v_mul_f64 v[108:109], v[110:111], v[106:107]
	v_fma_f64 v[92:93], -v[92:93], v[108:109], v[110:111]
	v_div_fmas_f64 v[92:93], v[92:93], v[106:107], v[108:109]
	v_div_fixup_f64 v[90:91], v[92:93], v[90:91], 1.0
	v_mul_f64 v[92:93], v[104:105], -v[90:91]
.LBB42_219:
	s_or_b64 exec, exec, s[8:9]
.LBB42_220:
	s_or_b64 exec, exec, s[0:1]
	v_cmp_ne_u32_e32 vcc, v100, v98
	s_and_saveexec_b64 s[0:1], vcc
	s_xor_b64 s[0:1], exec, s[0:1]
	s_cbranch_execz .LBB42_226
; %bb.221:
	v_cmp_eq_u32_e32 vcc, 10, v100
	s_and_saveexec_b64 s[8:9], vcc
	s_cbranch_execz .LBB42_225
; %bb.222:
	v_cmp_ne_u32_e32 vcc, 10, v98
	s_xor_b64 s[20:21], s[18:19], -1
	s_and_b64 s[24:25], s[20:21], vcc
	s_and_saveexec_b64 s[20:21], s[24:25]
	s_cbranch_execz .LBB42_224
; %bb.223:
	v_ashrrev_i32_e32 v99, 31, v98
	v_lshlrev_b64 v[99:100], 2, v[98:99]
	v_add_co_u32_e32 v99, vcc, v96, v99
	v_addc_co_u32_e32 v100, vcc, v97, v100, vcc
	global_load_dword v0, v[99:100], off
	global_load_dword v104, v[96:97], off offset:40
	s_waitcnt vmcnt(1)
	global_store_dword v[96:97], v0, off offset:40
	s_waitcnt vmcnt(1)
	global_store_dword v[99:100], v104, off
.LBB42_224:
	s_or_b64 exec, exec, s[20:21]
	v_mov_b32_e32 v100, v98
	v_mov_b32_e32 v0, v98
.LBB42_225:
	s_or_b64 exec, exec, s[8:9]
.LBB42_226:
	s_andn2_saveexec_b64 s[0:1], s[0:1]
	s_cbranch_execz .LBB42_228
; %bb.227:
	v_mov_b32_e32 v100, 10
	ds_write2_b64 v1, v[38:39], v[40:41] offset0:22 offset1:23
	ds_write2_b64 v1, v[34:35], v[36:37] offset0:24 offset1:25
	;; [unrolled: 1-line block ×11, first 2 shown]
.LBB42_228:
	s_or_b64 exec, exec, s[0:1]
	v_cmp_lt_i32_e32 vcc, 10, v100
	s_waitcnt vmcnt(0) lgkmcnt(0)
	s_barrier
	s_and_saveexec_b64 s[0:1], vcc
	s_cbranch_execz .LBB42_230
; %bb.229:
	v_mul_f64 v[98:99], v[90:91], v[44:45]
	v_mul_f64 v[44:45], v[92:93], v[44:45]
	v_fma_f64 v[98:99], v[92:93], v[42:43], v[98:99]
	v_fma_f64 v[42:43], v[90:91], v[42:43], -v[44:45]
	ds_read2_b64 v[90:93], v1 offset0:22 offset1:23
	s_waitcnt lgkmcnt(0)
	v_mul_f64 v[44:45], v[92:93], v[98:99]
	v_fma_f64 v[44:45], v[90:91], v[42:43], -v[44:45]
	v_mul_f64 v[90:91], v[90:91], v[98:99]
	v_add_f64 v[38:39], v[38:39], -v[44:45]
	v_fma_f64 v[90:91], v[92:93], v[42:43], v[90:91]
	v_add_f64 v[40:41], v[40:41], -v[90:91]
	ds_read2_b64 v[90:93], v1 offset0:24 offset1:25
	s_waitcnt lgkmcnt(0)
	v_mul_f64 v[44:45], v[92:93], v[98:99]
	v_fma_f64 v[44:45], v[90:91], v[42:43], -v[44:45]
	v_mul_f64 v[90:91], v[90:91], v[98:99]
	v_add_f64 v[34:35], v[34:35], -v[44:45]
	v_fma_f64 v[90:91], v[92:93], v[42:43], v[90:91]
	v_add_f64 v[36:37], v[36:37], -v[90:91]
	;; [unrolled: 8-line block ×10, first 2 shown]
	ds_read2_b64 v[90:93], v1 offset0:42 offset1:43
	s_waitcnt lgkmcnt(0)
	v_mul_f64 v[44:45], v[92:93], v[98:99]
	v_fma_f64 v[44:45], v[90:91], v[42:43], -v[44:45]
	v_mul_f64 v[90:91], v[90:91], v[98:99]
	v_add_f64 v[86:87], v[86:87], -v[44:45]
	v_fma_f64 v[90:91], v[92:93], v[42:43], v[90:91]
	v_mov_b32_e32 v44, v98
	v_mov_b32_e32 v45, v99
	v_add_f64 v[88:89], v[88:89], -v[90:91]
.LBB42_230:
	s_or_b64 exec, exec, s[0:1]
	v_lshl_add_u32 v90, v100, 4, v1
	s_barrier
	ds_write2_b64 v90, v[38:39], v[40:41] offset1:1
	s_waitcnt lgkmcnt(0)
	s_barrier
	ds_read2_b64 v[90:93], v1 offset0:22 offset1:23
	s_cmp_lt_i32 s22, 13
	v_mov_b32_e32 v98, 11
	s_cbranch_scc1 .LBB42_233
; %bb.231:
	v_add_u32_e32 v99, 0xc0, v1
	s_mov_b32 s7, 12
	v_mov_b32_e32 v98, 11
.LBB42_232:                             ; =>This Inner Loop Header: Depth=1
	s_waitcnt lgkmcnt(0)
	v_cmp_gt_f64_e32 vcc, 0, v[92:93]
	v_cmp_gt_f64_e64 s[0:1], 0, v[90:91]
	ds_read2_b64 v[104:107], v99 offset1:1
	v_xor_b32_e32 v109, 0x80000000, v91
	v_xor_b32_e32 v111, 0x80000000, v93
	v_mov_b32_e32 v108, v90
	v_mov_b32_e32 v110, v92
	s_waitcnt lgkmcnt(0)
	v_xor_b32_e32 v113, 0x80000000, v107
	v_cndmask_b32_e32 v111, v93, v111, vcc
	v_cndmask_b32_e64 v109, v91, v109, s[0:1]
	v_cmp_gt_f64_e32 vcc, 0, v[106:107]
	v_cmp_gt_f64_e64 s[0:1], 0, v[104:105]
	v_add_f64 v[108:109], v[108:109], v[110:111]
	v_xor_b32_e32 v111, 0x80000000, v105
	v_mov_b32_e32 v110, v104
	v_mov_b32_e32 v112, v106
	v_add_u32_e32 v99, 16, v99
	v_cndmask_b32_e32 v113, v107, v113, vcc
	v_cndmask_b32_e64 v111, v105, v111, s[0:1]
	v_add_f64 v[110:111], v[110:111], v[112:113]
	v_mov_b32_e32 v112, s7
	s_add_i32 s7, s7, 1
	s_cmp_lg_u32 s22, s7
	v_cmp_lt_f64_e32 vcc, v[108:109], v[110:111]
	v_cndmask_b32_e32 v91, v91, v105, vcc
	v_cndmask_b32_e32 v90, v90, v104, vcc
	;; [unrolled: 1-line block ×5, first 2 shown]
	s_cbranch_scc1 .LBB42_232
.LBB42_233:
	s_waitcnt lgkmcnt(0)
	v_cmp_eq_f64_e32 vcc, 0, v[90:91]
	v_cmp_eq_f64_e64 s[0:1], 0, v[92:93]
	s_and_b64 s[0:1], vcc, s[0:1]
	s_and_saveexec_b64 s[8:9], s[0:1]
	s_xor_b64 s[0:1], exec, s[8:9]
; %bb.234:
	v_cmp_ne_u32_e32 vcc, 0, v103
	v_cndmask_b32_e32 v103, 12, v103, vcc
; %bb.235:
	s_andn2_saveexec_b64 s[0:1], s[0:1]
	s_cbranch_execz .LBB42_241
; %bb.236:
	v_cmp_ngt_f64_e64 s[8:9], |v[90:91]|, |v[92:93]|
	s_and_saveexec_b64 s[20:21], s[8:9]
	s_xor_b64 s[8:9], exec, s[20:21]
	s_cbranch_execz .LBB42_238
; %bb.237:
	v_div_scale_f64 v[104:105], s[20:21], v[92:93], v[92:93], v[90:91]
	v_rcp_f64_e32 v[106:107], v[104:105]
	v_fma_f64 v[108:109], -v[104:105], v[106:107], 1.0
	v_fma_f64 v[106:107], v[106:107], v[108:109], v[106:107]
	v_div_scale_f64 v[108:109], vcc, v[90:91], v[92:93], v[90:91]
	v_fma_f64 v[110:111], -v[104:105], v[106:107], 1.0
	v_fma_f64 v[106:107], v[106:107], v[110:111], v[106:107]
	v_mul_f64 v[110:111], v[108:109], v[106:107]
	v_fma_f64 v[104:105], -v[104:105], v[110:111], v[108:109]
	v_div_fmas_f64 v[104:105], v[104:105], v[106:107], v[110:111]
	v_div_fixup_f64 v[104:105], v[104:105], v[92:93], v[90:91]
	v_fma_f64 v[90:91], v[90:91], v[104:105], v[92:93]
	v_div_scale_f64 v[92:93], s[20:21], v[90:91], v[90:91], 1.0
	v_div_scale_f64 v[110:111], vcc, 1.0, v[90:91], 1.0
	v_rcp_f64_e32 v[106:107], v[92:93]
	v_fma_f64 v[108:109], -v[92:93], v[106:107], 1.0
	v_fma_f64 v[106:107], v[106:107], v[108:109], v[106:107]
	v_fma_f64 v[108:109], -v[92:93], v[106:107], 1.0
	v_fma_f64 v[106:107], v[106:107], v[108:109], v[106:107]
	v_mul_f64 v[108:109], v[110:111], v[106:107]
	v_fma_f64 v[92:93], -v[92:93], v[108:109], v[110:111]
	v_div_fmas_f64 v[92:93], v[92:93], v[106:107], v[108:109]
	v_div_fixup_f64 v[92:93], v[92:93], v[90:91], 1.0
	v_mul_f64 v[90:91], v[104:105], v[92:93]
	v_xor_b32_e32 v93, 0x80000000, v93
.LBB42_238:
	s_andn2_saveexec_b64 s[8:9], s[8:9]
	s_cbranch_execz .LBB42_240
; %bb.239:
	v_div_scale_f64 v[104:105], s[20:21], v[90:91], v[90:91], v[92:93]
	v_rcp_f64_e32 v[106:107], v[104:105]
	v_fma_f64 v[108:109], -v[104:105], v[106:107], 1.0
	v_fma_f64 v[106:107], v[106:107], v[108:109], v[106:107]
	v_div_scale_f64 v[108:109], vcc, v[92:93], v[90:91], v[92:93]
	v_fma_f64 v[110:111], -v[104:105], v[106:107], 1.0
	v_fma_f64 v[106:107], v[106:107], v[110:111], v[106:107]
	v_mul_f64 v[110:111], v[108:109], v[106:107]
	v_fma_f64 v[104:105], -v[104:105], v[110:111], v[108:109]
	v_div_fmas_f64 v[104:105], v[104:105], v[106:107], v[110:111]
	v_div_fixup_f64 v[104:105], v[104:105], v[90:91], v[92:93]
	v_fma_f64 v[90:91], v[92:93], v[104:105], v[90:91]
	v_div_scale_f64 v[92:93], s[20:21], v[90:91], v[90:91], 1.0
	v_div_scale_f64 v[110:111], vcc, 1.0, v[90:91], 1.0
	v_rcp_f64_e32 v[106:107], v[92:93]
	v_fma_f64 v[108:109], -v[92:93], v[106:107], 1.0
	v_fma_f64 v[106:107], v[106:107], v[108:109], v[106:107]
	v_fma_f64 v[108:109], -v[92:93], v[106:107], 1.0
	v_fma_f64 v[106:107], v[106:107], v[108:109], v[106:107]
	v_mul_f64 v[108:109], v[110:111], v[106:107]
	v_fma_f64 v[92:93], -v[92:93], v[108:109], v[110:111]
	v_div_fmas_f64 v[92:93], v[92:93], v[106:107], v[108:109]
	v_div_fixup_f64 v[90:91], v[92:93], v[90:91], 1.0
	v_mul_f64 v[92:93], v[104:105], -v[90:91]
.LBB42_240:
	s_or_b64 exec, exec, s[8:9]
.LBB42_241:
	s_or_b64 exec, exec, s[0:1]
	v_cmp_ne_u32_e32 vcc, v100, v98
	s_and_saveexec_b64 s[0:1], vcc
	s_xor_b64 s[0:1], exec, s[0:1]
	s_cbranch_execz .LBB42_247
; %bb.242:
	v_cmp_eq_u32_e32 vcc, 11, v100
	s_and_saveexec_b64 s[8:9], vcc
	s_cbranch_execz .LBB42_246
; %bb.243:
	v_cmp_ne_u32_e32 vcc, 11, v98
	s_xor_b64 s[20:21], s[18:19], -1
	s_and_b64 s[24:25], s[20:21], vcc
	s_and_saveexec_b64 s[20:21], s[24:25]
	s_cbranch_execz .LBB42_245
; %bb.244:
	v_ashrrev_i32_e32 v99, 31, v98
	v_lshlrev_b64 v[99:100], 2, v[98:99]
	v_add_co_u32_e32 v99, vcc, v96, v99
	v_addc_co_u32_e32 v100, vcc, v97, v100, vcc
	global_load_dword v0, v[99:100], off
	global_load_dword v104, v[96:97], off offset:44
	s_waitcnt vmcnt(1)
	global_store_dword v[96:97], v0, off offset:44
	s_waitcnt vmcnt(1)
	global_store_dword v[99:100], v104, off
.LBB42_245:
	s_or_b64 exec, exec, s[20:21]
	v_mov_b32_e32 v100, v98
	v_mov_b32_e32 v0, v98
.LBB42_246:
	s_or_b64 exec, exec, s[8:9]
.LBB42_247:
	s_andn2_saveexec_b64 s[0:1], s[0:1]
	s_cbranch_execz .LBB42_249
; %bb.248:
	v_mov_b32_e32 v100, 11
	ds_write2_b64 v1, v[34:35], v[36:37] offset0:24 offset1:25
	ds_write2_b64 v1, v[30:31], v[32:33] offset0:26 offset1:27
	;; [unrolled: 1-line block ×10, first 2 shown]
.LBB42_249:
	s_or_b64 exec, exec, s[0:1]
	v_cmp_lt_i32_e32 vcc, 11, v100
	s_waitcnt vmcnt(0) lgkmcnt(0)
	s_barrier
	s_and_saveexec_b64 s[0:1], vcc
	s_cbranch_execz .LBB42_251
; %bb.250:
	v_mul_f64 v[98:99], v[90:91], v[40:41]
	v_mul_f64 v[40:41], v[92:93], v[40:41]
	v_fma_f64 v[98:99], v[92:93], v[38:39], v[98:99]
	v_fma_f64 v[38:39], v[90:91], v[38:39], -v[40:41]
	ds_read2_b64 v[90:93], v1 offset0:24 offset1:25
	s_waitcnt lgkmcnt(0)
	v_mul_f64 v[40:41], v[92:93], v[98:99]
	v_fma_f64 v[40:41], v[90:91], v[38:39], -v[40:41]
	v_mul_f64 v[90:91], v[90:91], v[98:99]
	v_add_f64 v[34:35], v[34:35], -v[40:41]
	v_fma_f64 v[90:91], v[92:93], v[38:39], v[90:91]
	v_add_f64 v[36:37], v[36:37], -v[90:91]
	ds_read2_b64 v[90:93], v1 offset0:26 offset1:27
	s_waitcnt lgkmcnt(0)
	v_mul_f64 v[40:41], v[92:93], v[98:99]
	v_fma_f64 v[40:41], v[90:91], v[38:39], -v[40:41]
	v_mul_f64 v[90:91], v[90:91], v[98:99]
	v_add_f64 v[30:31], v[30:31], -v[40:41]
	v_fma_f64 v[90:91], v[92:93], v[38:39], v[90:91]
	v_add_f64 v[32:33], v[32:33], -v[90:91]
	;; [unrolled: 8-line block ×9, first 2 shown]
	ds_read2_b64 v[90:93], v1 offset0:42 offset1:43
	s_waitcnt lgkmcnt(0)
	v_mul_f64 v[40:41], v[92:93], v[98:99]
	v_fma_f64 v[40:41], v[90:91], v[38:39], -v[40:41]
	v_mul_f64 v[90:91], v[90:91], v[98:99]
	v_add_f64 v[86:87], v[86:87], -v[40:41]
	v_fma_f64 v[90:91], v[92:93], v[38:39], v[90:91]
	v_mov_b32_e32 v40, v98
	v_mov_b32_e32 v41, v99
	v_add_f64 v[88:89], v[88:89], -v[90:91]
.LBB42_251:
	s_or_b64 exec, exec, s[0:1]
	v_lshl_add_u32 v90, v100, 4, v1
	s_barrier
	ds_write2_b64 v90, v[34:35], v[36:37] offset1:1
	s_waitcnt lgkmcnt(0)
	s_barrier
	ds_read2_b64 v[90:93], v1 offset0:24 offset1:25
	s_cmp_lt_i32 s22, 14
	v_mov_b32_e32 v98, 12
	s_cbranch_scc1 .LBB42_254
; %bb.252:
	v_add_u32_e32 v99, 0xd0, v1
	s_mov_b32 s7, 13
	v_mov_b32_e32 v98, 12
.LBB42_253:                             ; =>This Inner Loop Header: Depth=1
	s_waitcnt lgkmcnt(0)
	v_cmp_gt_f64_e32 vcc, 0, v[92:93]
	v_cmp_gt_f64_e64 s[0:1], 0, v[90:91]
	ds_read2_b64 v[104:107], v99 offset1:1
	v_xor_b32_e32 v109, 0x80000000, v91
	v_xor_b32_e32 v111, 0x80000000, v93
	v_mov_b32_e32 v108, v90
	v_mov_b32_e32 v110, v92
	s_waitcnt lgkmcnt(0)
	v_xor_b32_e32 v113, 0x80000000, v107
	v_cndmask_b32_e32 v111, v93, v111, vcc
	v_cndmask_b32_e64 v109, v91, v109, s[0:1]
	v_cmp_gt_f64_e32 vcc, 0, v[106:107]
	v_cmp_gt_f64_e64 s[0:1], 0, v[104:105]
	v_add_f64 v[108:109], v[108:109], v[110:111]
	v_xor_b32_e32 v111, 0x80000000, v105
	v_mov_b32_e32 v110, v104
	v_mov_b32_e32 v112, v106
	v_add_u32_e32 v99, 16, v99
	v_cndmask_b32_e32 v113, v107, v113, vcc
	v_cndmask_b32_e64 v111, v105, v111, s[0:1]
	v_add_f64 v[110:111], v[110:111], v[112:113]
	v_mov_b32_e32 v112, s7
	s_add_i32 s7, s7, 1
	s_cmp_lg_u32 s22, s7
	v_cmp_lt_f64_e32 vcc, v[108:109], v[110:111]
	v_cndmask_b32_e32 v91, v91, v105, vcc
	v_cndmask_b32_e32 v90, v90, v104, vcc
	;; [unrolled: 1-line block ×5, first 2 shown]
	s_cbranch_scc1 .LBB42_253
.LBB42_254:
	s_waitcnt lgkmcnt(0)
	v_cmp_eq_f64_e32 vcc, 0, v[90:91]
	v_cmp_eq_f64_e64 s[0:1], 0, v[92:93]
	s_and_b64 s[0:1], vcc, s[0:1]
	s_and_saveexec_b64 s[8:9], s[0:1]
	s_xor_b64 s[0:1], exec, s[8:9]
; %bb.255:
	v_cmp_ne_u32_e32 vcc, 0, v103
	v_cndmask_b32_e32 v103, 13, v103, vcc
; %bb.256:
	s_andn2_saveexec_b64 s[0:1], s[0:1]
	s_cbranch_execz .LBB42_262
; %bb.257:
	v_cmp_ngt_f64_e64 s[8:9], |v[90:91]|, |v[92:93]|
	s_and_saveexec_b64 s[20:21], s[8:9]
	s_xor_b64 s[8:9], exec, s[20:21]
	s_cbranch_execz .LBB42_259
; %bb.258:
	v_div_scale_f64 v[104:105], s[20:21], v[92:93], v[92:93], v[90:91]
	v_rcp_f64_e32 v[106:107], v[104:105]
	v_fma_f64 v[108:109], -v[104:105], v[106:107], 1.0
	v_fma_f64 v[106:107], v[106:107], v[108:109], v[106:107]
	v_div_scale_f64 v[108:109], vcc, v[90:91], v[92:93], v[90:91]
	v_fma_f64 v[110:111], -v[104:105], v[106:107], 1.0
	v_fma_f64 v[106:107], v[106:107], v[110:111], v[106:107]
	v_mul_f64 v[110:111], v[108:109], v[106:107]
	v_fma_f64 v[104:105], -v[104:105], v[110:111], v[108:109]
	v_div_fmas_f64 v[104:105], v[104:105], v[106:107], v[110:111]
	v_div_fixup_f64 v[104:105], v[104:105], v[92:93], v[90:91]
	v_fma_f64 v[90:91], v[90:91], v[104:105], v[92:93]
	v_div_scale_f64 v[92:93], s[20:21], v[90:91], v[90:91], 1.0
	v_div_scale_f64 v[110:111], vcc, 1.0, v[90:91], 1.0
	v_rcp_f64_e32 v[106:107], v[92:93]
	v_fma_f64 v[108:109], -v[92:93], v[106:107], 1.0
	v_fma_f64 v[106:107], v[106:107], v[108:109], v[106:107]
	v_fma_f64 v[108:109], -v[92:93], v[106:107], 1.0
	v_fma_f64 v[106:107], v[106:107], v[108:109], v[106:107]
	v_mul_f64 v[108:109], v[110:111], v[106:107]
	v_fma_f64 v[92:93], -v[92:93], v[108:109], v[110:111]
	v_div_fmas_f64 v[92:93], v[92:93], v[106:107], v[108:109]
	v_div_fixup_f64 v[92:93], v[92:93], v[90:91], 1.0
	v_mul_f64 v[90:91], v[104:105], v[92:93]
	v_xor_b32_e32 v93, 0x80000000, v93
.LBB42_259:
	s_andn2_saveexec_b64 s[8:9], s[8:9]
	s_cbranch_execz .LBB42_261
; %bb.260:
	v_div_scale_f64 v[104:105], s[20:21], v[90:91], v[90:91], v[92:93]
	v_rcp_f64_e32 v[106:107], v[104:105]
	v_fma_f64 v[108:109], -v[104:105], v[106:107], 1.0
	v_fma_f64 v[106:107], v[106:107], v[108:109], v[106:107]
	v_div_scale_f64 v[108:109], vcc, v[92:93], v[90:91], v[92:93]
	v_fma_f64 v[110:111], -v[104:105], v[106:107], 1.0
	v_fma_f64 v[106:107], v[106:107], v[110:111], v[106:107]
	v_mul_f64 v[110:111], v[108:109], v[106:107]
	v_fma_f64 v[104:105], -v[104:105], v[110:111], v[108:109]
	v_div_fmas_f64 v[104:105], v[104:105], v[106:107], v[110:111]
	v_div_fixup_f64 v[104:105], v[104:105], v[90:91], v[92:93]
	v_fma_f64 v[90:91], v[92:93], v[104:105], v[90:91]
	v_div_scale_f64 v[92:93], s[20:21], v[90:91], v[90:91], 1.0
	v_div_scale_f64 v[110:111], vcc, 1.0, v[90:91], 1.0
	v_rcp_f64_e32 v[106:107], v[92:93]
	v_fma_f64 v[108:109], -v[92:93], v[106:107], 1.0
	v_fma_f64 v[106:107], v[106:107], v[108:109], v[106:107]
	v_fma_f64 v[108:109], -v[92:93], v[106:107], 1.0
	v_fma_f64 v[106:107], v[106:107], v[108:109], v[106:107]
	v_mul_f64 v[108:109], v[110:111], v[106:107]
	v_fma_f64 v[92:93], -v[92:93], v[108:109], v[110:111]
	v_div_fmas_f64 v[92:93], v[92:93], v[106:107], v[108:109]
	v_div_fixup_f64 v[90:91], v[92:93], v[90:91], 1.0
	v_mul_f64 v[92:93], v[104:105], -v[90:91]
.LBB42_261:
	s_or_b64 exec, exec, s[8:9]
.LBB42_262:
	s_or_b64 exec, exec, s[0:1]
	v_cmp_ne_u32_e32 vcc, v100, v98
	s_and_saveexec_b64 s[0:1], vcc
	s_xor_b64 s[0:1], exec, s[0:1]
	s_cbranch_execz .LBB42_268
; %bb.263:
	v_cmp_eq_u32_e32 vcc, 12, v100
	s_and_saveexec_b64 s[8:9], vcc
	s_cbranch_execz .LBB42_267
; %bb.264:
	v_cmp_ne_u32_e32 vcc, 12, v98
	s_xor_b64 s[20:21], s[18:19], -1
	s_and_b64 s[24:25], s[20:21], vcc
	s_and_saveexec_b64 s[20:21], s[24:25]
	s_cbranch_execz .LBB42_266
; %bb.265:
	v_ashrrev_i32_e32 v99, 31, v98
	v_lshlrev_b64 v[99:100], 2, v[98:99]
	v_add_co_u32_e32 v99, vcc, v96, v99
	v_addc_co_u32_e32 v100, vcc, v97, v100, vcc
	global_load_dword v0, v[99:100], off
	global_load_dword v104, v[96:97], off offset:48
	s_waitcnt vmcnt(1)
	global_store_dword v[96:97], v0, off offset:48
	s_waitcnt vmcnt(1)
	global_store_dword v[99:100], v104, off
.LBB42_266:
	s_or_b64 exec, exec, s[20:21]
	v_mov_b32_e32 v100, v98
	v_mov_b32_e32 v0, v98
.LBB42_267:
	s_or_b64 exec, exec, s[8:9]
.LBB42_268:
	s_andn2_saveexec_b64 s[0:1], s[0:1]
	s_cbranch_execz .LBB42_270
; %bb.269:
	v_mov_b32_e32 v100, 12
	ds_write2_b64 v1, v[30:31], v[32:33] offset0:26 offset1:27
	ds_write2_b64 v1, v[26:27], v[28:29] offset0:28 offset1:29
	;; [unrolled: 1-line block ×9, first 2 shown]
.LBB42_270:
	s_or_b64 exec, exec, s[0:1]
	v_cmp_lt_i32_e32 vcc, 12, v100
	s_waitcnt vmcnt(0) lgkmcnt(0)
	s_barrier
	s_and_saveexec_b64 s[0:1], vcc
	s_cbranch_execz .LBB42_272
; %bb.271:
	v_mul_f64 v[98:99], v[90:91], v[36:37]
	v_mul_f64 v[36:37], v[92:93], v[36:37]
	v_fma_f64 v[98:99], v[92:93], v[34:35], v[98:99]
	v_fma_f64 v[34:35], v[90:91], v[34:35], -v[36:37]
	ds_read2_b64 v[90:93], v1 offset0:26 offset1:27
	s_waitcnt lgkmcnt(0)
	v_mul_f64 v[36:37], v[92:93], v[98:99]
	v_fma_f64 v[36:37], v[90:91], v[34:35], -v[36:37]
	v_mul_f64 v[90:91], v[90:91], v[98:99]
	v_add_f64 v[30:31], v[30:31], -v[36:37]
	v_fma_f64 v[90:91], v[92:93], v[34:35], v[90:91]
	v_add_f64 v[32:33], v[32:33], -v[90:91]
	ds_read2_b64 v[90:93], v1 offset0:28 offset1:29
	s_waitcnt lgkmcnt(0)
	v_mul_f64 v[36:37], v[92:93], v[98:99]
	v_fma_f64 v[36:37], v[90:91], v[34:35], -v[36:37]
	v_mul_f64 v[90:91], v[90:91], v[98:99]
	v_add_f64 v[26:27], v[26:27], -v[36:37]
	v_fma_f64 v[90:91], v[92:93], v[34:35], v[90:91]
	v_add_f64 v[28:29], v[28:29], -v[90:91]
	;; [unrolled: 8-line block ×8, first 2 shown]
	ds_read2_b64 v[90:93], v1 offset0:42 offset1:43
	s_waitcnt lgkmcnt(0)
	v_mul_f64 v[36:37], v[92:93], v[98:99]
	v_fma_f64 v[36:37], v[90:91], v[34:35], -v[36:37]
	v_mul_f64 v[90:91], v[90:91], v[98:99]
	v_add_f64 v[86:87], v[86:87], -v[36:37]
	v_fma_f64 v[90:91], v[92:93], v[34:35], v[90:91]
	v_mov_b32_e32 v36, v98
	v_mov_b32_e32 v37, v99
	v_add_f64 v[88:89], v[88:89], -v[90:91]
.LBB42_272:
	s_or_b64 exec, exec, s[0:1]
	v_lshl_add_u32 v90, v100, 4, v1
	s_barrier
	ds_write2_b64 v90, v[30:31], v[32:33] offset1:1
	s_waitcnt lgkmcnt(0)
	s_barrier
	ds_read2_b64 v[90:93], v1 offset0:26 offset1:27
	s_cmp_lt_i32 s22, 15
	v_mov_b32_e32 v98, 13
	s_cbranch_scc1 .LBB42_275
; %bb.273:
	v_add_u32_e32 v99, 0xe0, v1
	s_mov_b32 s7, 14
	v_mov_b32_e32 v98, 13
.LBB42_274:                             ; =>This Inner Loop Header: Depth=1
	s_waitcnt lgkmcnt(0)
	v_cmp_gt_f64_e32 vcc, 0, v[92:93]
	v_cmp_gt_f64_e64 s[0:1], 0, v[90:91]
	ds_read2_b64 v[104:107], v99 offset1:1
	v_xor_b32_e32 v109, 0x80000000, v91
	v_xor_b32_e32 v111, 0x80000000, v93
	v_mov_b32_e32 v108, v90
	v_mov_b32_e32 v110, v92
	s_waitcnt lgkmcnt(0)
	v_xor_b32_e32 v113, 0x80000000, v107
	v_cndmask_b32_e32 v111, v93, v111, vcc
	v_cndmask_b32_e64 v109, v91, v109, s[0:1]
	v_cmp_gt_f64_e32 vcc, 0, v[106:107]
	v_cmp_gt_f64_e64 s[0:1], 0, v[104:105]
	v_add_f64 v[108:109], v[108:109], v[110:111]
	v_xor_b32_e32 v111, 0x80000000, v105
	v_mov_b32_e32 v110, v104
	v_mov_b32_e32 v112, v106
	v_add_u32_e32 v99, 16, v99
	v_cndmask_b32_e32 v113, v107, v113, vcc
	v_cndmask_b32_e64 v111, v105, v111, s[0:1]
	v_add_f64 v[110:111], v[110:111], v[112:113]
	v_mov_b32_e32 v112, s7
	s_add_i32 s7, s7, 1
	s_cmp_lg_u32 s22, s7
	v_cmp_lt_f64_e32 vcc, v[108:109], v[110:111]
	v_cndmask_b32_e32 v91, v91, v105, vcc
	v_cndmask_b32_e32 v90, v90, v104, vcc
	;; [unrolled: 1-line block ×5, first 2 shown]
	s_cbranch_scc1 .LBB42_274
.LBB42_275:
	s_waitcnt lgkmcnt(0)
	v_cmp_eq_f64_e32 vcc, 0, v[90:91]
	v_cmp_eq_f64_e64 s[0:1], 0, v[92:93]
	s_and_b64 s[0:1], vcc, s[0:1]
	s_and_saveexec_b64 s[8:9], s[0:1]
	s_xor_b64 s[0:1], exec, s[8:9]
; %bb.276:
	v_cmp_ne_u32_e32 vcc, 0, v103
	v_cndmask_b32_e32 v103, 14, v103, vcc
; %bb.277:
	s_andn2_saveexec_b64 s[0:1], s[0:1]
	s_cbranch_execz .LBB42_283
; %bb.278:
	v_cmp_ngt_f64_e64 s[8:9], |v[90:91]|, |v[92:93]|
	s_and_saveexec_b64 s[20:21], s[8:9]
	s_xor_b64 s[8:9], exec, s[20:21]
	s_cbranch_execz .LBB42_280
; %bb.279:
	v_div_scale_f64 v[104:105], s[20:21], v[92:93], v[92:93], v[90:91]
	v_rcp_f64_e32 v[106:107], v[104:105]
	v_fma_f64 v[108:109], -v[104:105], v[106:107], 1.0
	v_fma_f64 v[106:107], v[106:107], v[108:109], v[106:107]
	v_div_scale_f64 v[108:109], vcc, v[90:91], v[92:93], v[90:91]
	v_fma_f64 v[110:111], -v[104:105], v[106:107], 1.0
	v_fma_f64 v[106:107], v[106:107], v[110:111], v[106:107]
	v_mul_f64 v[110:111], v[108:109], v[106:107]
	v_fma_f64 v[104:105], -v[104:105], v[110:111], v[108:109]
	v_div_fmas_f64 v[104:105], v[104:105], v[106:107], v[110:111]
	v_div_fixup_f64 v[104:105], v[104:105], v[92:93], v[90:91]
	v_fma_f64 v[90:91], v[90:91], v[104:105], v[92:93]
	v_div_scale_f64 v[92:93], s[20:21], v[90:91], v[90:91], 1.0
	v_div_scale_f64 v[110:111], vcc, 1.0, v[90:91], 1.0
	v_rcp_f64_e32 v[106:107], v[92:93]
	v_fma_f64 v[108:109], -v[92:93], v[106:107], 1.0
	v_fma_f64 v[106:107], v[106:107], v[108:109], v[106:107]
	v_fma_f64 v[108:109], -v[92:93], v[106:107], 1.0
	v_fma_f64 v[106:107], v[106:107], v[108:109], v[106:107]
	v_mul_f64 v[108:109], v[110:111], v[106:107]
	v_fma_f64 v[92:93], -v[92:93], v[108:109], v[110:111]
	v_div_fmas_f64 v[92:93], v[92:93], v[106:107], v[108:109]
	v_div_fixup_f64 v[92:93], v[92:93], v[90:91], 1.0
	v_mul_f64 v[90:91], v[104:105], v[92:93]
	v_xor_b32_e32 v93, 0x80000000, v93
.LBB42_280:
	s_andn2_saveexec_b64 s[8:9], s[8:9]
	s_cbranch_execz .LBB42_282
; %bb.281:
	v_div_scale_f64 v[104:105], s[20:21], v[90:91], v[90:91], v[92:93]
	v_rcp_f64_e32 v[106:107], v[104:105]
	v_fma_f64 v[108:109], -v[104:105], v[106:107], 1.0
	v_fma_f64 v[106:107], v[106:107], v[108:109], v[106:107]
	v_div_scale_f64 v[108:109], vcc, v[92:93], v[90:91], v[92:93]
	v_fma_f64 v[110:111], -v[104:105], v[106:107], 1.0
	v_fma_f64 v[106:107], v[106:107], v[110:111], v[106:107]
	v_mul_f64 v[110:111], v[108:109], v[106:107]
	v_fma_f64 v[104:105], -v[104:105], v[110:111], v[108:109]
	v_div_fmas_f64 v[104:105], v[104:105], v[106:107], v[110:111]
	v_div_fixup_f64 v[104:105], v[104:105], v[90:91], v[92:93]
	v_fma_f64 v[90:91], v[92:93], v[104:105], v[90:91]
	v_div_scale_f64 v[92:93], s[20:21], v[90:91], v[90:91], 1.0
	v_div_scale_f64 v[110:111], vcc, 1.0, v[90:91], 1.0
	v_rcp_f64_e32 v[106:107], v[92:93]
	v_fma_f64 v[108:109], -v[92:93], v[106:107], 1.0
	v_fma_f64 v[106:107], v[106:107], v[108:109], v[106:107]
	v_fma_f64 v[108:109], -v[92:93], v[106:107], 1.0
	v_fma_f64 v[106:107], v[106:107], v[108:109], v[106:107]
	v_mul_f64 v[108:109], v[110:111], v[106:107]
	v_fma_f64 v[92:93], -v[92:93], v[108:109], v[110:111]
	v_div_fmas_f64 v[92:93], v[92:93], v[106:107], v[108:109]
	v_div_fixup_f64 v[90:91], v[92:93], v[90:91], 1.0
	v_mul_f64 v[92:93], v[104:105], -v[90:91]
.LBB42_282:
	s_or_b64 exec, exec, s[8:9]
.LBB42_283:
	s_or_b64 exec, exec, s[0:1]
	v_cmp_ne_u32_e32 vcc, v100, v98
	s_and_saveexec_b64 s[0:1], vcc
	s_xor_b64 s[0:1], exec, s[0:1]
	s_cbranch_execz .LBB42_289
; %bb.284:
	v_cmp_eq_u32_e32 vcc, 13, v100
	s_and_saveexec_b64 s[8:9], vcc
	s_cbranch_execz .LBB42_288
; %bb.285:
	v_cmp_ne_u32_e32 vcc, 13, v98
	s_xor_b64 s[20:21], s[18:19], -1
	s_and_b64 s[24:25], s[20:21], vcc
	s_and_saveexec_b64 s[20:21], s[24:25]
	s_cbranch_execz .LBB42_287
; %bb.286:
	v_ashrrev_i32_e32 v99, 31, v98
	v_lshlrev_b64 v[99:100], 2, v[98:99]
	v_add_co_u32_e32 v99, vcc, v96, v99
	v_addc_co_u32_e32 v100, vcc, v97, v100, vcc
	global_load_dword v0, v[99:100], off
	global_load_dword v104, v[96:97], off offset:52
	s_waitcnt vmcnt(1)
	global_store_dword v[96:97], v0, off offset:52
	s_waitcnt vmcnt(1)
	global_store_dword v[99:100], v104, off
.LBB42_287:
	s_or_b64 exec, exec, s[20:21]
	v_mov_b32_e32 v100, v98
	v_mov_b32_e32 v0, v98
.LBB42_288:
	s_or_b64 exec, exec, s[8:9]
.LBB42_289:
	s_andn2_saveexec_b64 s[0:1], s[0:1]
	s_cbranch_execz .LBB42_291
; %bb.290:
	v_mov_b32_e32 v100, 13
	ds_write2_b64 v1, v[26:27], v[28:29] offset0:28 offset1:29
	ds_write2_b64 v1, v[22:23], v[24:25] offset0:30 offset1:31
	;; [unrolled: 1-line block ×8, first 2 shown]
.LBB42_291:
	s_or_b64 exec, exec, s[0:1]
	v_cmp_lt_i32_e32 vcc, 13, v100
	s_waitcnt vmcnt(0) lgkmcnt(0)
	s_barrier
	s_and_saveexec_b64 s[0:1], vcc
	s_cbranch_execz .LBB42_293
; %bb.292:
	v_mul_f64 v[98:99], v[90:91], v[32:33]
	v_mul_f64 v[32:33], v[92:93], v[32:33]
	v_fma_f64 v[98:99], v[92:93], v[30:31], v[98:99]
	v_fma_f64 v[30:31], v[90:91], v[30:31], -v[32:33]
	ds_read2_b64 v[90:93], v1 offset0:28 offset1:29
	s_waitcnt lgkmcnt(0)
	v_mul_f64 v[32:33], v[92:93], v[98:99]
	v_fma_f64 v[32:33], v[90:91], v[30:31], -v[32:33]
	v_mul_f64 v[90:91], v[90:91], v[98:99]
	v_add_f64 v[26:27], v[26:27], -v[32:33]
	v_fma_f64 v[90:91], v[92:93], v[30:31], v[90:91]
	v_add_f64 v[28:29], v[28:29], -v[90:91]
	ds_read2_b64 v[90:93], v1 offset0:30 offset1:31
	s_waitcnt lgkmcnt(0)
	v_mul_f64 v[32:33], v[92:93], v[98:99]
	v_fma_f64 v[32:33], v[90:91], v[30:31], -v[32:33]
	v_mul_f64 v[90:91], v[90:91], v[98:99]
	v_add_f64 v[22:23], v[22:23], -v[32:33]
	v_fma_f64 v[90:91], v[92:93], v[30:31], v[90:91]
	v_add_f64 v[24:25], v[24:25], -v[90:91]
	;; [unrolled: 8-line block ×7, first 2 shown]
	ds_read2_b64 v[90:93], v1 offset0:42 offset1:43
	s_waitcnt lgkmcnt(0)
	v_mul_f64 v[32:33], v[92:93], v[98:99]
	v_fma_f64 v[32:33], v[90:91], v[30:31], -v[32:33]
	v_mul_f64 v[90:91], v[90:91], v[98:99]
	v_add_f64 v[86:87], v[86:87], -v[32:33]
	v_fma_f64 v[90:91], v[92:93], v[30:31], v[90:91]
	v_mov_b32_e32 v32, v98
	v_mov_b32_e32 v33, v99
	v_add_f64 v[88:89], v[88:89], -v[90:91]
.LBB42_293:
	s_or_b64 exec, exec, s[0:1]
	v_lshl_add_u32 v90, v100, 4, v1
	s_barrier
	ds_write2_b64 v90, v[26:27], v[28:29] offset1:1
	s_waitcnt lgkmcnt(0)
	s_barrier
	ds_read2_b64 v[90:93], v1 offset0:28 offset1:29
	s_cmp_lt_i32 s22, 16
	v_mov_b32_e32 v98, 14
	s_cbranch_scc1 .LBB42_296
; %bb.294:
	v_add_u32_e32 v99, 0xf0, v1
	s_mov_b32 s7, 15
	v_mov_b32_e32 v98, 14
.LBB42_295:                             ; =>This Inner Loop Header: Depth=1
	s_waitcnt lgkmcnt(0)
	v_cmp_gt_f64_e32 vcc, 0, v[92:93]
	v_cmp_gt_f64_e64 s[0:1], 0, v[90:91]
	ds_read2_b64 v[104:107], v99 offset1:1
	v_xor_b32_e32 v109, 0x80000000, v91
	v_xor_b32_e32 v111, 0x80000000, v93
	v_mov_b32_e32 v108, v90
	v_mov_b32_e32 v110, v92
	s_waitcnt lgkmcnt(0)
	v_xor_b32_e32 v113, 0x80000000, v107
	v_cndmask_b32_e32 v111, v93, v111, vcc
	v_cndmask_b32_e64 v109, v91, v109, s[0:1]
	v_cmp_gt_f64_e32 vcc, 0, v[106:107]
	v_cmp_gt_f64_e64 s[0:1], 0, v[104:105]
	v_add_f64 v[108:109], v[108:109], v[110:111]
	v_xor_b32_e32 v111, 0x80000000, v105
	v_mov_b32_e32 v110, v104
	v_mov_b32_e32 v112, v106
	v_add_u32_e32 v99, 16, v99
	v_cndmask_b32_e32 v113, v107, v113, vcc
	v_cndmask_b32_e64 v111, v105, v111, s[0:1]
	v_add_f64 v[110:111], v[110:111], v[112:113]
	v_mov_b32_e32 v112, s7
	s_add_i32 s7, s7, 1
	s_cmp_lg_u32 s22, s7
	v_cmp_lt_f64_e32 vcc, v[108:109], v[110:111]
	v_cndmask_b32_e32 v91, v91, v105, vcc
	v_cndmask_b32_e32 v90, v90, v104, vcc
	;; [unrolled: 1-line block ×5, first 2 shown]
	s_cbranch_scc1 .LBB42_295
.LBB42_296:
	s_waitcnt lgkmcnt(0)
	v_cmp_eq_f64_e32 vcc, 0, v[90:91]
	v_cmp_eq_f64_e64 s[0:1], 0, v[92:93]
	s_and_b64 s[0:1], vcc, s[0:1]
	s_and_saveexec_b64 s[8:9], s[0:1]
	s_xor_b64 s[0:1], exec, s[8:9]
; %bb.297:
	v_cmp_ne_u32_e32 vcc, 0, v103
	v_cndmask_b32_e32 v103, 15, v103, vcc
; %bb.298:
	s_andn2_saveexec_b64 s[0:1], s[0:1]
	s_cbranch_execz .LBB42_304
; %bb.299:
	v_cmp_ngt_f64_e64 s[8:9], |v[90:91]|, |v[92:93]|
	s_and_saveexec_b64 s[20:21], s[8:9]
	s_xor_b64 s[8:9], exec, s[20:21]
	s_cbranch_execz .LBB42_301
; %bb.300:
	v_div_scale_f64 v[104:105], s[20:21], v[92:93], v[92:93], v[90:91]
	v_rcp_f64_e32 v[106:107], v[104:105]
	v_fma_f64 v[108:109], -v[104:105], v[106:107], 1.0
	v_fma_f64 v[106:107], v[106:107], v[108:109], v[106:107]
	v_div_scale_f64 v[108:109], vcc, v[90:91], v[92:93], v[90:91]
	v_fma_f64 v[110:111], -v[104:105], v[106:107], 1.0
	v_fma_f64 v[106:107], v[106:107], v[110:111], v[106:107]
	v_mul_f64 v[110:111], v[108:109], v[106:107]
	v_fma_f64 v[104:105], -v[104:105], v[110:111], v[108:109]
	v_div_fmas_f64 v[104:105], v[104:105], v[106:107], v[110:111]
	v_div_fixup_f64 v[104:105], v[104:105], v[92:93], v[90:91]
	v_fma_f64 v[90:91], v[90:91], v[104:105], v[92:93]
	v_div_scale_f64 v[92:93], s[20:21], v[90:91], v[90:91], 1.0
	v_div_scale_f64 v[110:111], vcc, 1.0, v[90:91], 1.0
	v_rcp_f64_e32 v[106:107], v[92:93]
	v_fma_f64 v[108:109], -v[92:93], v[106:107], 1.0
	v_fma_f64 v[106:107], v[106:107], v[108:109], v[106:107]
	v_fma_f64 v[108:109], -v[92:93], v[106:107], 1.0
	v_fma_f64 v[106:107], v[106:107], v[108:109], v[106:107]
	v_mul_f64 v[108:109], v[110:111], v[106:107]
	v_fma_f64 v[92:93], -v[92:93], v[108:109], v[110:111]
	v_div_fmas_f64 v[92:93], v[92:93], v[106:107], v[108:109]
	v_div_fixup_f64 v[92:93], v[92:93], v[90:91], 1.0
	v_mul_f64 v[90:91], v[104:105], v[92:93]
	v_xor_b32_e32 v93, 0x80000000, v93
.LBB42_301:
	s_andn2_saveexec_b64 s[8:9], s[8:9]
	s_cbranch_execz .LBB42_303
; %bb.302:
	v_div_scale_f64 v[104:105], s[20:21], v[90:91], v[90:91], v[92:93]
	v_rcp_f64_e32 v[106:107], v[104:105]
	v_fma_f64 v[108:109], -v[104:105], v[106:107], 1.0
	v_fma_f64 v[106:107], v[106:107], v[108:109], v[106:107]
	v_div_scale_f64 v[108:109], vcc, v[92:93], v[90:91], v[92:93]
	v_fma_f64 v[110:111], -v[104:105], v[106:107], 1.0
	v_fma_f64 v[106:107], v[106:107], v[110:111], v[106:107]
	v_mul_f64 v[110:111], v[108:109], v[106:107]
	v_fma_f64 v[104:105], -v[104:105], v[110:111], v[108:109]
	v_div_fmas_f64 v[104:105], v[104:105], v[106:107], v[110:111]
	v_div_fixup_f64 v[104:105], v[104:105], v[90:91], v[92:93]
	v_fma_f64 v[90:91], v[92:93], v[104:105], v[90:91]
	v_div_scale_f64 v[92:93], s[20:21], v[90:91], v[90:91], 1.0
	v_div_scale_f64 v[110:111], vcc, 1.0, v[90:91], 1.0
	v_rcp_f64_e32 v[106:107], v[92:93]
	v_fma_f64 v[108:109], -v[92:93], v[106:107], 1.0
	v_fma_f64 v[106:107], v[106:107], v[108:109], v[106:107]
	v_fma_f64 v[108:109], -v[92:93], v[106:107], 1.0
	v_fma_f64 v[106:107], v[106:107], v[108:109], v[106:107]
	v_mul_f64 v[108:109], v[110:111], v[106:107]
	v_fma_f64 v[92:93], -v[92:93], v[108:109], v[110:111]
	v_div_fmas_f64 v[92:93], v[92:93], v[106:107], v[108:109]
	v_div_fixup_f64 v[90:91], v[92:93], v[90:91], 1.0
	v_mul_f64 v[92:93], v[104:105], -v[90:91]
.LBB42_303:
	s_or_b64 exec, exec, s[8:9]
.LBB42_304:
	s_or_b64 exec, exec, s[0:1]
	v_cmp_ne_u32_e32 vcc, v100, v98
	s_and_saveexec_b64 s[0:1], vcc
	s_xor_b64 s[0:1], exec, s[0:1]
	s_cbranch_execz .LBB42_310
; %bb.305:
	v_cmp_eq_u32_e32 vcc, 14, v100
	s_and_saveexec_b64 s[8:9], vcc
	s_cbranch_execz .LBB42_309
; %bb.306:
	v_cmp_ne_u32_e32 vcc, 14, v98
	s_xor_b64 s[20:21], s[18:19], -1
	s_and_b64 s[24:25], s[20:21], vcc
	s_and_saveexec_b64 s[20:21], s[24:25]
	s_cbranch_execz .LBB42_308
; %bb.307:
	v_ashrrev_i32_e32 v99, 31, v98
	v_lshlrev_b64 v[99:100], 2, v[98:99]
	v_add_co_u32_e32 v99, vcc, v96, v99
	v_addc_co_u32_e32 v100, vcc, v97, v100, vcc
	global_load_dword v0, v[99:100], off
	global_load_dword v104, v[96:97], off offset:56
	s_waitcnt vmcnt(1)
	global_store_dword v[96:97], v0, off offset:56
	s_waitcnt vmcnt(1)
	global_store_dword v[99:100], v104, off
.LBB42_308:
	s_or_b64 exec, exec, s[20:21]
	v_mov_b32_e32 v100, v98
	v_mov_b32_e32 v0, v98
.LBB42_309:
	s_or_b64 exec, exec, s[8:9]
.LBB42_310:
	s_andn2_saveexec_b64 s[0:1], s[0:1]
	s_cbranch_execz .LBB42_312
; %bb.311:
	v_mov_b32_e32 v100, 14
	ds_write2_b64 v1, v[22:23], v[24:25] offset0:30 offset1:31
	ds_write2_b64 v1, v[18:19], v[20:21] offset0:32 offset1:33
	;; [unrolled: 1-line block ×7, first 2 shown]
.LBB42_312:
	s_or_b64 exec, exec, s[0:1]
	v_cmp_lt_i32_e32 vcc, 14, v100
	s_waitcnt vmcnt(0) lgkmcnt(0)
	s_barrier
	s_and_saveexec_b64 s[0:1], vcc
	s_cbranch_execz .LBB42_314
; %bb.313:
	v_mul_f64 v[98:99], v[90:91], v[28:29]
	v_mul_f64 v[28:29], v[92:93], v[28:29]
	v_fma_f64 v[98:99], v[92:93], v[26:27], v[98:99]
	v_fma_f64 v[26:27], v[90:91], v[26:27], -v[28:29]
	ds_read2_b64 v[90:93], v1 offset0:30 offset1:31
	s_waitcnt lgkmcnt(0)
	v_mul_f64 v[28:29], v[92:93], v[98:99]
	v_fma_f64 v[28:29], v[90:91], v[26:27], -v[28:29]
	v_mul_f64 v[90:91], v[90:91], v[98:99]
	v_add_f64 v[22:23], v[22:23], -v[28:29]
	v_fma_f64 v[90:91], v[92:93], v[26:27], v[90:91]
	v_add_f64 v[24:25], v[24:25], -v[90:91]
	ds_read2_b64 v[90:93], v1 offset0:32 offset1:33
	s_waitcnt lgkmcnt(0)
	v_mul_f64 v[28:29], v[92:93], v[98:99]
	v_fma_f64 v[28:29], v[90:91], v[26:27], -v[28:29]
	v_mul_f64 v[90:91], v[90:91], v[98:99]
	v_add_f64 v[18:19], v[18:19], -v[28:29]
	v_fma_f64 v[90:91], v[92:93], v[26:27], v[90:91]
	v_add_f64 v[20:21], v[20:21], -v[90:91]
	;; [unrolled: 8-line block ×6, first 2 shown]
	ds_read2_b64 v[90:93], v1 offset0:42 offset1:43
	s_waitcnt lgkmcnt(0)
	v_mul_f64 v[28:29], v[92:93], v[98:99]
	v_fma_f64 v[28:29], v[90:91], v[26:27], -v[28:29]
	v_mul_f64 v[90:91], v[90:91], v[98:99]
	v_add_f64 v[86:87], v[86:87], -v[28:29]
	v_fma_f64 v[90:91], v[92:93], v[26:27], v[90:91]
	v_mov_b32_e32 v28, v98
	v_mov_b32_e32 v29, v99
	v_add_f64 v[88:89], v[88:89], -v[90:91]
.LBB42_314:
	s_or_b64 exec, exec, s[0:1]
	v_lshl_add_u32 v90, v100, 4, v1
	s_barrier
	ds_write2_b64 v90, v[22:23], v[24:25] offset1:1
	s_waitcnt lgkmcnt(0)
	s_barrier
	ds_read2_b64 v[90:93], v1 offset0:30 offset1:31
	s_cmp_lt_i32 s22, 17
	v_mov_b32_e32 v98, 15
	s_cbranch_scc1 .LBB42_317
; %bb.315:
	v_add_u32_e32 v99, 0x100, v1
	s_mov_b32 s7, 16
	v_mov_b32_e32 v98, 15
.LBB42_316:                             ; =>This Inner Loop Header: Depth=1
	s_waitcnt lgkmcnt(0)
	v_cmp_gt_f64_e32 vcc, 0, v[92:93]
	v_cmp_gt_f64_e64 s[0:1], 0, v[90:91]
	ds_read2_b64 v[104:107], v99 offset1:1
	v_xor_b32_e32 v109, 0x80000000, v91
	v_xor_b32_e32 v111, 0x80000000, v93
	v_mov_b32_e32 v108, v90
	v_mov_b32_e32 v110, v92
	s_waitcnt lgkmcnt(0)
	v_xor_b32_e32 v113, 0x80000000, v107
	v_cndmask_b32_e32 v111, v93, v111, vcc
	v_cndmask_b32_e64 v109, v91, v109, s[0:1]
	v_cmp_gt_f64_e32 vcc, 0, v[106:107]
	v_cmp_gt_f64_e64 s[0:1], 0, v[104:105]
	v_add_f64 v[108:109], v[108:109], v[110:111]
	v_xor_b32_e32 v111, 0x80000000, v105
	v_mov_b32_e32 v110, v104
	v_mov_b32_e32 v112, v106
	v_add_u32_e32 v99, 16, v99
	v_cndmask_b32_e32 v113, v107, v113, vcc
	v_cndmask_b32_e64 v111, v105, v111, s[0:1]
	v_add_f64 v[110:111], v[110:111], v[112:113]
	v_mov_b32_e32 v112, s7
	s_add_i32 s7, s7, 1
	s_cmp_lg_u32 s22, s7
	v_cmp_lt_f64_e32 vcc, v[108:109], v[110:111]
	v_cndmask_b32_e32 v91, v91, v105, vcc
	v_cndmask_b32_e32 v90, v90, v104, vcc
	;; [unrolled: 1-line block ×5, first 2 shown]
	s_cbranch_scc1 .LBB42_316
.LBB42_317:
	s_waitcnt lgkmcnt(0)
	v_cmp_eq_f64_e32 vcc, 0, v[90:91]
	v_cmp_eq_f64_e64 s[0:1], 0, v[92:93]
	s_and_b64 s[0:1], vcc, s[0:1]
	s_and_saveexec_b64 s[8:9], s[0:1]
	s_xor_b64 s[0:1], exec, s[8:9]
; %bb.318:
	v_cmp_ne_u32_e32 vcc, 0, v103
	v_cndmask_b32_e32 v103, 16, v103, vcc
; %bb.319:
	s_andn2_saveexec_b64 s[0:1], s[0:1]
	s_cbranch_execz .LBB42_325
; %bb.320:
	v_cmp_ngt_f64_e64 s[8:9], |v[90:91]|, |v[92:93]|
	s_and_saveexec_b64 s[20:21], s[8:9]
	s_xor_b64 s[8:9], exec, s[20:21]
	s_cbranch_execz .LBB42_322
; %bb.321:
	v_div_scale_f64 v[104:105], s[20:21], v[92:93], v[92:93], v[90:91]
	v_rcp_f64_e32 v[106:107], v[104:105]
	v_fma_f64 v[108:109], -v[104:105], v[106:107], 1.0
	v_fma_f64 v[106:107], v[106:107], v[108:109], v[106:107]
	v_div_scale_f64 v[108:109], vcc, v[90:91], v[92:93], v[90:91]
	v_fma_f64 v[110:111], -v[104:105], v[106:107], 1.0
	v_fma_f64 v[106:107], v[106:107], v[110:111], v[106:107]
	v_mul_f64 v[110:111], v[108:109], v[106:107]
	v_fma_f64 v[104:105], -v[104:105], v[110:111], v[108:109]
	v_div_fmas_f64 v[104:105], v[104:105], v[106:107], v[110:111]
	v_div_fixup_f64 v[104:105], v[104:105], v[92:93], v[90:91]
	v_fma_f64 v[90:91], v[90:91], v[104:105], v[92:93]
	v_div_scale_f64 v[92:93], s[20:21], v[90:91], v[90:91], 1.0
	v_div_scale_f64 v[110:111], vcc, 1.0, v[90:91], 1.0
	v_rcp_f64_e32 v[106:107], v[92:93]
	v_fma_f64 v[108:109], -v[92:93], v[106:107], 1.0
	v_fma_f64 v[106:107], v[106:107], v[108:109], v[106:107]
	v_fma_f64 v[108:109], -v[92:93], v[106:107], 1.0
	v_fma_f64 v[106:107], v[106:107], v[108:109], v[106:107]
	v_mul_f64 v[108:109], v[110:111], v[106:107]
	v_fma_f64 v[92:93], -v[92:93], v[108:109], v[110:111]
	v_div_fmas_f64 v[92:93], v[92:93], v[106:107], v[108:109]
	v_div_fixup_f64 v[92:93], v[92:93], v[90:91], 1.0
	v_mul_f64 v[90:91], v[104:105], v[92:93]
	v_xor_b32_e32 v93, 0x80000000, v93
.LBB42_322:
	s_andn2_saveexec_b64 s[8:9], s[8:9]
	s_cbranch_execz .LBB42_324
; %bb.323:
	v_div_scale_f64 v[104:105], s[20:21], v[90:91], v[90:91], v[92:93]
	v_rcp_f64_e32 v[106:107], v[104:105]
	v_fma_f64 v[108:109], -v[104:105], v[106:107], 1.0
	v_fma_f64 v[106:107], v[106:107], v[108:109], v[106:107]
	v_div_scale_f64 v[108:109], vcc, v[92:93], v[90:91], v[92:93]
	v_fma_f64 v[110:111], -v[104:105], v[106:107], 1.0
	v_fma_f64 v[106:107], v[106:107], v[110:111], v[106:107]
	v_mul_f64 v[110:111], v[108:109], v[106:107]
	v_fma_f64 v[104:105], -v[104:105], v[110:111], v[108:109]
	v_div_fmas_f64 v[104:105], v[104:105], v[106:107], v[110:111]
	v_div_fixup_f64 v[104:105], v[104:105], v[90:91], v[92:93]
	v_fma_f64 v[90:91], v[92:93], v[104:105], v[90:91]
	v_div_scale_f64 v[92:93], s[20:21], v[90:91], v[90:91], 1.0
	v_div_scale_f64 v[110:111], vcc, 1.0, v[90:91], 1.0
	v_rcp_f64_e32 v[106:107], v[92:93]
	v_fma_f64 v[108:109], -v[92:93], v[106:107], 1.0
	v_fma_f64 v[106:107], v[106:107], v[108:109], v[106:107]
	v_fma_f64 v[108:109], -v[92:93], v[106:107], 1.0
	v_fma_f64 v[106:107], v[106:107], v[108:109], v[106:107]
	v_mul_f64 v[108:109], v[110:111], v[106:107]
	v_fma_f64 v[92:93], -v[92:93], v[108:109], v[110:111]
	v_div_fmas_f64 v[92:93], v[92:93], v[106:107], v[108:109]
	v_div_fixup_f64 v[90:91], v[92:93], v[90:91], 1.0
	v_mul_f64 v[92:93], v[104:105], -v[90:91]
.LBB42_324:
	s_or_b64 exec, exec, s[8:9]
.LBB42_325:
	s_or_b64 exec, exec, s[0:1]
	v_cmp_ne_u32_e32 vcc, v100, v98
	s_and_saveexec_b64 s[0:1], vcc
	s_xor_b64 s[0:1], exec, s[0:1]
	s_cbranch_execz .LBB42_331
; %bb.326:
	v_cmp_eq_u32_e32 vcc, 15, v100
	s_and_saveexec_b64 s[8:9], vcc
	s_cbranch_execz .LBB42_330
; %bb.327:
	v_cmp_ne_u32_e32 vcc, 15, v98
	s_xor_b64 s[20:21], s[18:19], -1
	s_and_b64 s[24:25], s[20:21], vcc
	s_and_saveexec_b64 s[20:21], s[24:25]
	s_cbranch_execz .LBB42_329
; %bb.328:
	v_ashrrev_i32_e32 v99, 31, v98
	v_lshlrev_b64 v[99:100], 2, v[98:99]
	v_add_co_u32_e32 v99, vcc, v96, v99
	v_addc_co_u32_e32 v100, vcc, v97, v100, vcc
	global_load_dword v0, v[99:100], off
	global_load_dword v104, v[96:97], off offset:60
	s_waitcnt vmcnt(1)
	global_store_dword v[96:97], v0, off offset:60
	s_waitcnt vmcnt(1)
	global_store_dword v[99:100], v104, off
.LBB42_329:
	s_or_b64 exec, exec, s[20:21]
	v_mov_b32_e32 v100, v98
	v_mov_b32_e32 v0, v98
.LBB42_330:
	s_or_b64 exec, exec, s[8:9]
.LBB42_331:
	s_andn2_saveexec_b64 s[0:1], s[0:1]
	s_cbranch_execz .LBB42_333
; %bb.332:
	v_mov_b32_e32 v100, 15
	ds_write2_b64 v1, v[18:19], v[20:21] offset0:32 offset1:33
	ds_write2_b64 v1, v[14:15], v[16:17] offset0:34 offset1:35
	;; [unrolled: 1-line block ×6, first 2 shown]
.LBB42_333:
	s_or_b64 exec, exec, s[0:1]
	v_cmp_lt_i32_e32 vcc, 15, v100
	s_waitcnt vmcnt(0) lgkmcnt(0)
	s_barrier
	s_and_saveexec_b64 s[0:1], vcc
	s_cbranch_execz .LBB42_335
; %bb.334:
	v_mul_f64 v[98:99], v[90:91], v[24:25]
	v_mul_f64 v[24:25], v[92:93], v[24:25]
	v_fma_f64 v[98:99], v[92:93], v[22:23], v[98:99]
	v_fma_f64 v[22:23], v[90:91], v[22:23], -v[24:25]
	ds_read2_b64 v[90:93], v1 offset0:32 offset1:33
	s_waitcnt lgkmcnt(0)
	v_mul_f64 v[24:25], v[92:93], v[98:99]
	v_fma_f64 v[24:25], v[90:91], v[22:23], -v[24:25]
	v_mul_f64 v[90:91], v[90:91], v[98:99]
	v_add_f64 v[18:19], v[18:19], -v[24:25]
	v_fma_f64 v[90:91], v[92:93], v[22:23], v[90:91]
	v_add_f64 v[20:21], v[20:21], -v[90:91]
	ds_read2_b64 v[90:93], v1 offset0:34 offset1:35
	s_waitcnt lgkmcnt(0)
	v_mul_f64 v[24:25], v[92:93], v[98:99]
	v_fma_f64 v[24:25], v[90:91], v[22:23], -v[24:25]
	v_mul_f64 v[90:91], v[90:91], v[98:99]
	v_add_f64 v[14:15], v[14:15], -v[24:25]
	v_fma_f64 v[90:91], v[92:93], v[22:23], v[90:91]
	v_add_f64 v[16:17], v[16:17], -v[90:91]
	;; [unrolled: 8-line block ×5, first 2 shown]
	ds_read2_b64 v[90:93], v1 offset0:42 offset1:43
	s_waitcnt lgkmcnt(0)
	v_mul_f64 v[24:25], v[92:93], v[98:99]
	v_fma_f64 v[24:25], v[90:91], v[22:23], -v[24:25]
	v_mul_f64 v[90:91], v[90:91], v[98:99]
	v_add_f64 v[86:87], v[86:87], -v[24:25]
	v_fma_f64 v[90:91], v[92:93], v[22:23], v[90:91]
	v_mov_b32_e32 v24, v98
	v_mov_b32_e32 v25, v99
	v_add_f64 v[88:89], v[88:89], -v[90:91]
.LBB42_335:
	s_or_b64 exec, exec, s[0:1]
	v_lshl_add_u32 v90, v100, 4, v1
	s_barrier
	ds_write2_b64 v90, v[18:19], v[20:21] offset1:1
	s_waitcnt lgkmcnt(0)
	s_barrier
	ds_read2_b64 v[90:93], v1 offset0:32 offset1:33
	s_cmp_lt_i32 s22, 18
	v_mov_b32_e32 v98, 16
	s_cbranch_scc1 .LBB42_338
; %bb.336:
	v_add_u32_e32 v99, 0x110, v1
	s_mov_b32 s7, 17
	v_mov_b32_e32 v98, 16
.LBB42_337:                             ; =>This Inner Loop Header: Depth=1
	s_waitcnt lgkmcnt(0)
	v_cmp_gt_f64_e32 vcc, 0, v[92:93]
	v_cmp_gt_f64_e64 s[0:1], 0, v[90:91]
	ds_read2_b64 v[104:107], v99 offset1:1
	v_xor_b32_e32 v109, 0x80000000, v91
	v_xor_b32_e32 v111, 0x80000000, v93
	v_mov_b32_e32 v108, v90
	v_mov_b32_e32 v110, v92
	s_waitcnt lgkmcnt(0)
	v_xor_b32_e32 v113, 0x80000000, v107
	v_cndmask_b32_e32 v111, v93, v111, vcc
	v_cndmask_b32_e64 v109, v91, v109, s[0:1]
	v_cmp_gt_f64_e32 vcc, 0, v[106:107]
	v_cmp_gt_f64_e64 s[0:1], 0, v[104:105]
	v_add_f64 v[108:109], v[108:109], v[110:111]
	v_xor_b32_e32 v111, 0x80000000, v105
	v_mov_b32_e32 v110, v104
	v_mov_b32_e32 v112, v106
	v_add_u32_e32 v99, 16, v99
	v_cndmask_b32_e32 v113, v107, v113, vcc
	v_cndmask_b32_e64 v111, v105, v111, s[0:1]
	v_add_f64 v[110:111], v[110:111], v[112:113]
	v_mov_b32_e32 v112, s7
	s_add_i32 s7, s7, 1
	s_cmp_lg_u32 s22, s7
	v_cmp_lt_f64_e32 vcc, v[108:109], v[110:111]
	v_cndmask_b32_e32 v91, v91, v105, vcc
	v_cndmask_b32_e32 v90, v90, v104, vcc
	;; [unrolled: 1-line block ×5, first 2 shown]
	s_cbranch_scc1 .LBB42_337
.LBB42_338:
	s_waitcnt lgkmcnt(0)
	v_cmp_eq_f64_e32 vcc, 0, v[90:91]
	v_cmp_eq_f64_e64 s[0:1], 0, v[92:93]
	s_and_b64 s[0:1], vcc, s[0:1]
	s_and_saveexec_b64 s[8:9], s[0:1]
	s_xor_b64 s[0:1], exec, s[8:9]
; %bb.339:
	v_cmp_ne_u32_e32 vcc, 0, v103
	v_cndmask_b32_e32 v103, 17, v103, vcc
; %bb.340:
	s_andn2_saveexec_b64 s[0:1], s[0:1]
	s_cbranch_execz .LBB42_346
; %bb.341:
	v_cmp_ngt_f64_e64 s[8:9], |v[90:91]|, |v[92:93]|
	s_and_saveexec_b64 s[20:21], s[8:9]
	s_xor_b64 s[8:9], exec, s[20:21]
	s_cbranch_execz .LBB42_343
; %bb.342:
	v_div_scale_f64 v[104:105], s[20:21], v[92:93], v[92:93], v[90:91]
	v_rcp_f64_e32 v[106:107], v[104:105]
	v_fma_f64 v[108:109], -v[104:105], v[106:107], 1.0
	v_fma_f64 v[106:107], v[106:107], v[108:109], v[106:107]
	v_div_scale_f64 v[108:109], vcc, v[90:91], v[92:93], v[90:91]
	v_fma_f64 v[110:111], -v[104:105], v[106:107], 1.0
	v_fma_f64 v[106:107], v[106:107], v[110:111], v[106:107]
	v_mul_f64 v[110:111], v[108:109], v[106:107]
	v_fma_f64 v[104:105], -v[104:105], v[110:111], v[108:109]
	v_div_fmas_f64 v[104:105], v[104:105], v[106:107], v[110:111]
	v_div_fixup_f64 v[104:105], v[104:105], v[92:93], v[90:91]
	v_fma_f64 v[90:91], v[90:91], v[104:105], v[92:93]
	v_div_scale_f64 v[92:93], s[20:21], v[90:91], v[90:91], 1.0
	v_div_scale_f64 v[110:111], vcc, 1.0, v[90:91], 1.0
	v_rcp_f64_e32 v[106:107], v[92:93]
	v_fma_f64 v[108:109], -v[92:93], v[106:107], 1.0
	v_fma_f64 v[106:107], v[106:107], v[108:109], v[106:107]
	v_fma_f64 v[108:109], -v[92:93], v[106:107], 1.0
	v_fma_f64 v[106:107], v[106:107], v[108:109], v[106:107]
	v_mul_f64 v[108:109], v[110:111], v[106:107]
	v_fma_f64 v[92:93], -v[92:93], v[108:109], v[110:111]
	v_div_fmas_f64 v[92:93], v[92:93], v[106:107], v[108:109]
	v_div_fixup_f64 v[92:93], v[92:93], v[90:91], 1.0
	v_mul_f64 v[90:91], v[104:105], v[92:93]
	v_xor_b32_e32 v93, 0x80000000, v93
.LBB42_343:
	s_andn2_saveexec_b64 s[8:9], s[8:9]
	s_cbranch_execz .LBB42_345
; %bb.344:
	v_div_scale_f64 v[104:105], s[20:21], v[90:91], v[90:91], v[92:93]
	v_rcp_f64_e32 v[106:107], v[104:105]
	v_fma_f64 v[108:109], -v[104:105], v[106:107], 1.0
	v_fma_f64 v[106:107], v[106:107], v[108:109], v[106:107]
	v_div_scale_f64 v[108:109], vcc, v[92:93], v[90:91], v[92:93]
	v_fma_f64 v[110:111], -v[104:105], v[106:107], 1.0
	v_fma_f64 v[106:107], v[106:107], v[110:111], v[106:107]
	v_mul_f64 v[110:111], v[108:109], v[106:107]
	v_fma_f64 v[104:105], -v[104:105], v[110:111], v[108:109]
	v_div_fmas_f64 v[104:105], v[104:105], v[106:107], v[110:111]
	v_div_fixup_f64 v[104:105], v[104:105], v[90:91], v[92:93]
	v_fma_f64 v[90:91], v[92:93], v[104:105], v[90:91]
	v_div_scale_f64 v[92:93], s[20:21], v[90:91], v[90:91], 1.0
	v_div_scale_f64 v[110:111], vcc, 1.0, v[90:91], 1.0
	v_rcp_f64_e32 v[106:107], v[92:93]
	v_fma_f64 v[108:109], -v[92:93], v[106:107], 1.0
	v_fma_f64 v[106:107], v[106:107], v[108:109], v[106:107]
	v_fma_f64 v[108:109], -v[92:93], v[106:107], 1.0
	v_fma_f64 v[106:107], v[106:107], v[108:109], v[106:107]
	v_mul_f64 v[108:109], v[110:111], v[106:107]
	v_fma_f64 v[92:93], -v[92:93], v[108:109], v[110:111]
	v_div_fmas_f64 v[92:93], v[92:93], v[106:107], v[108:109]
	v_div_fixup_f64 v[90:91], v[92:93], v[90:91], 1.0
	v_mul_f64 v[92:93], v[104:105], -v[90:91]
.LBB42_345:
	s_or_b64 exec, exec, s[8:9]
.LBB42_346:
	s_or_b64 exec, exec, s[0:1]
	v_cmp_ne_u32_e32 vcc, v100, v98
	s_and_saveexec_b64 s[0:1], vcc
	s_xor_b64 s[0:1], exec, s[0:1]
	s_cbranch_execz .LBB42_352
; %bb.347:
	v_cmp_eq_u32_e32 vcc, 16, v100
	s_and_saveexec_b64 s[8:9], vcc
	s_cbranch_execz .LBB42_351
; %bb.348:
	v_cmp_ne_u32_e32 vcc, 16, v98
	s_xor_b64 s[20:21], s[18:19], -1
	s_and_b64 s[24:25], s[20:21], vcc
	s_and_saveexec_b64 s[20:21], s[24:25]
	s_cbranch_execz .LBB42_350
; %bb.349:
	v_ashrrev_i32_e32 v99, 31, v98
	v_lshlrev_b64 v[99:100], 2, v[98:99]
	v_add_co_u32_e32 v99, vcc, v96, v99
	v_addc_co_u32_e32 v100, vcc, v97, v100, vcc
	global_load_dword v0, v[99:100], off
	global_load_dword v104, v[96:97], off offset:64
	s_waitcnt vmcnt(1)
	global_store_dword v[96:97], v0, off offset:64
	s_waitcnt vmcnt(1)
	global_store_dword v[99:100], v104, off
.LBB42_350:
	s_or_b64 exec, exec, s[20:21]
	v_mov_b32_e32 v100, v98
	v_mov_b32_e32 v0, v98
.LBB42_351:
	s_or_b64 exec, exec, s[8:9]
.LBB42_352:
	s_andn2_saveexec_b64 s[0:1], s[0:1]
	s_cbranch_execz .LBB42_354
; %bb.353:
	v_mov_b32_e32 v100, 16
	ds_write2_b64 v1, v[14:15], v[16:17] offset0:34 offset1:35
	ds_write2_b64 v1, v[10:11], v[12:13] offset0:36 offset1:37
	;; [unrolled: 1-line block ×5, first 2 shown]
.LBB42_354:
	s_or_b64 exec, exec, s[0:1]
	v_cmp_lt_i32_e32 vcc, 16, v100
	s_waitcnt vmcnt(0) lgkmcnt(0)
	s_barrier
	s_and_saveexec_b64 s[0:1], vcc
	s_cbranch_execz .LBB42_356
; %bb.355:
	v_mul_f64 v[98:99], v[90:91], v[20:21]
	v_mul_f64 v[20:21], v[92:93], v[20:21]
	v_fma_f64 v[98:99], v[92:93], v[18:19], v[98:99]
	v_fma_f64 v[18:19], v[90:91], v[18:19], -v[20:21]
	ds_read2_b64 v[90:93], v1 offset0:34 offset1:35
	s_waitcnt lgkmcnt(0)
	v_mul_f64 v[20:21], v[92:93], v[98:99]
	v_fma_f64 v[20:21], v[90:91], v[18:19], -v[20:21]
	v_mul_f64 v[90:91], v[90:91], v[98:99]
	v_add_f64 v[14:15], v[14:15], -v[20:21]
	v_fma_f64 v[90:91], v[92:93], v[18:19], v[90:91]
	v_add_f64 v[16:17], v[16:17], -v[90:91]
	ds_read2_b64 v[90:93], v1 offset0:36 offset1:37
	s_waitcnt lgkmcnt(0)
	v_mul_f64 v[20:21], v[92:93], v[98:99]
	v_fma_f64 v[20:21], v[90:91], v[18:19], -v[20:21]
	v_mul_f64 v[90:91], v[90:91], v[98:99]
	v_add_f64 v[10:11], v[10:11], -v[20:21]
	v_fma_f64 v[90:91], v[92:93], v[18:19], v[90:91]
	v_add_f64 v[12:13], v[12:13], -v[90:91]
	;; [unrolled: 8-line block ×4, first 2 shown]
	ds_read2_b64 v[90:93], v1 offset0:42 offset1:43
	s_waitcnt lgkmcnt(0)
	v_mul_f64 v[20:21], v[92:93], v[98:99]
	v_fma_f64 v[20:21], v[90:91], v[18:19], -v[20:21]
	v_mul_f64 v[90:91], v[90:91], v[98:99]
	v_add_f64 v[86:87], v[86:87], -v[20:21]
	v_fma_f64 v[90:91], v[92:93], v[18:19], v[90:91]
	v_mov_b32_e32 v20, v98
	v_mov_b32_e32 v21, v99
	v_add_f64 v[88:89], v[88:89], -v[90:91]
.LBB42_356:
	s_or_b64 exec, exec, s[0:1]
	v_lshl_add_u32 v90, v100, 4, v1
	s_barrier
	ds_write2_b64 v90, v[14:15], v[16:17] offset1:1
	s_waitcnt lgkmcnt(0)
	s_barrier
	ds_read2_b64 v[90:93], v1 offset0:34 offset1:35
	s_cmp_lt_i32 s22, 19
	v_mov_b32_e32 v98, 17
	s_cbranch_scc1 .LBB42_359
; %bb.357:
	v_add_u32_e32 v99, 0x120, v1
	s_mov_b32 s7, 18
	v_mov_b32_e32 v98, 17
.LBB42_358:                             ; =>This Inner Loop Header: Depth=1
	s_waitcnt lgkmcnt(0)
	v_cmp_gt_f64_e32 vcc, 0, v[92:93]
	v_cmp_gt_f64_e64 s[0:1], 0, v[90:91]
	ds_read2_b64 v[104:107], v99 offset1:1
	v_xor_b32_e32 v109, 0x80000000, v91
	v_xor_b32_e32 v111, 0x80000000, v93
	v_mov_b32_e32 v108, v90
	v_mov_b32_e32 v110, v92
	s_waitcnt lgkmcnt(0)
	v_xor_b32_e32 v113, 0x80000000, v107
	v_cndmask_b32_e32 v111, v93, v111, vcc
	v_cndmask_b32_e64 v109, v91, v109, s[0:1]
	v_cmp_gt_f64_e32 vcc, 0, v[106:107]
	v_cmp_gt_f64_e64 s[0:1], 0, v[104:105]
	v_add_f64 v[108:109], v[108:109], v[110:111]
	v_xor_b32_e32 v111, 0x80000000, v105
	v_mov_b32_e32 v110, v104
	v_mov_b32_e32 v112, v106
	v_add_u32_e32 v99, 16, v99
	v_cndmask_b32_e32 v113, v107, v113, vcc
	v_cndmask_b32_e64 v111, v105, v111, s[0:1]
	v_add_f64 v[110:111], v[110:111], v[112:113]
	v_mov_b32_e32 v112, s7
	s_add_i32 s7, s7, 1
	s_cmp_lg_u32 s22, s7
	v_cmp_lt_f64_e32 vcc, v[108:109], v[110:111]
	v_cndmask_b32_e32 v91, v91, v105, vcc
	v_cndmask_b32_e32 v90, v90, v104, vcc
	;; [unrolled: 1-line block ×5, first 2 shown]
	s_cbranch_scc1 .LBB42_358
.LBB42_359:
	s_waitcnt lgkmcnt(0)
	v_cmp_eq_f64_e32 vcc, 0, v[90:91]
	v_cmp_eq_f64_e64 s[0:1], 0, v[92:93]
	s_and_b64 s[0:1], vcc, s[0:1]
	s_and_saveexec_b64 s[8:9], s[0:1]
	s_xor_b64 s[0:1], exec, s[8:9]
; %bb.360:
	v_cmp_ne_u32_e32 vcc, 0, v103
	v_cndmask_b32_e32 v103, 18, v103, vcc
; %bb.361:
	s_andn2_saveexec_b64 s[0:1], s[0:1]
	s_cbranch_execz .LBB42_367
; %bb.362:
	v_cmp_ngt_f64_e64 s[8:9], |v[90:91]|, |v[92:93]|
	s_and_saveexec_b64 s[20:21], s[8:9]
	s_xor_b64 s[8:9], exec, s[20:21]
	s_cbranch_execz .LBB42_364
; %bb.363:
	v_div_scale_f64 v[104:105], s[20:21], v[92:93], v[92:93], v[90:91]
	v_rcp_f64_e32 v[106:107], v[104:105]
	v_fma_f64 v[108:109], -v[104:105], v[106:107], 1.0
	v_fma_f64 v[106:107], v[106:107], v[108:109], v[106:107]
	v_div_scale_f64 v[108:109], vcc, v[90:91], v[92:93], v[90:91]
	v_fma_f64 v[110:111], -v[104:105], v[106:107], 1.0
	v_fma_f64 v[106:107], v[106:107], v[110:111], v[106:107]
	v_mul_f64 v[110:111], v[108:109], v[106:107]
	v_fma_f64 v[104:105], -v[104:105], v[110:111], v[108:109]
	v_div_fmas_f64 v[104:105], v[104:105], v[106:107], v[110:111]
	v_div_fixup_f64 v[104:105], v[104:105], v[92:93], v[90:91]
	v_fma_f64 v[90:91], v[90:91], v[104:105], v[92:93]
	v_div_scale_f64 v[92:93], s[20:21], v[90:91], v[90:91], 1.0
	v_div_scale_f64 v[110:111], vcc, 1.0, v[90:91], 1.0
	v_rcp_f64_e32 v[106:107], v[92:93]
	v_fma_f64 v[108:109], -v[92:93], v[106:107], 1.0
	v_fma_f64 v[106:107], v[106:107], v[108:109], v[106:107]
	v_fma_f64 v[108:109], -v[92:93], v[106:107], 1.0
	v_fma_f64 v[106:107], v[106:107], v[108:109], v[106:107]
	v_mul_f64 v[108:109], v[110:111], v[106:107]
	v_fma_f64 v[92:93], -v[92:93], v[108:109], v[110:111]
	v_div_fmas_f64 v[92:93], v[92:93], v[106:107], v[108:109]
	v_div_fixup_f64 v[92:93], v[92:93], v[90:91], 1.0
	v_mul_f64 v[90:91], v[104:105], v[92:93]
	v_xor_b32_e32 v93, 0x80000000, v93
.LBB42_364:
	s_andn2_saveexec_b64 s[8:9], s[8:9]
	s_cbranch_execz .LBB42_366
; %bb.365:
	v_div_scale_f64 v[104:105], s[20:21], v[90:91], v[90:91], v[92:93]
	v_rcp_f64_e32 v[106:107], v[104:105]
	v_fma_f64 v[108:109], -v[104:105], v[106:107], 1.0
	v_fma_f64 v[106:107], v[106:107], v[108:109], v[106:107]
	v_div_scale_f64 v[108:109], vcc, v[92:93], v[90:91], v[92:93]
	v_fma_f64 v[110:111], -v[104:105], v[106:107], 1.0
	v_fma_f64 v[106:107], v[106:107], v[110:111], v[106:107]
	v_mul_f64 v[110:111], v[108:109], v[106:107]
	v_fma_f64 v[104:105], -v[104:105], v[110:111], v[108:109]
	v_div_fmas_f64 v[104:105], v[104:105], v[106:107], v[110:111]
	v_div_fixup_f64 v[104:105], v[104:105], v[90:91], v[92:93]
	v_fma_f64 v[90:91], v[92:93], v[104:105], v[90:91]
	v_div_scale_f64 v[92:93], s[20:21], v[90:91], v[90:91], 1.0
	v_div_scale_f64 v[110:111], vcc, 1.0, v[90:91], 1.0
	v_rcp_f64_e32 v[106:107], v[92:93]
	v_fma_f64 v[108:109], -v[92:93], v[106:107], 1.0
	v_fma_f64 v[106:107], v[106:107], v[108:109], v[106:107]
	v_fma_f64 v[108:109], -v[92:93], v[106:107], 1.0
	v_fma_f64 v[106:107], v[106:107], v[108:109], v[106:107]
	v_mul_f64 v[108:109], v[110:111], v[106:107]
	v_fma_f64 v[92:93], -v[92:93], v[108:109], v[110:111]
	v_div_fmas_f64 v[92:93], v[92:93], v[106:107], v[108:109]
	v_div_fixup_f64 v[90:91], v[92:93], v[90:91], 1.0
	v_mul_f64 v[92:93], v[104:105], -v[90:91]
.LBB42_366:
	s_or_b64 exec, exec, s[8:9]
.LBB42_367:
	s_or_b64 exec, exec, s[0:1]
	v_cmp_ne_u32_e32 vcc, v100, v98
	s_and_saveexec_b64 s[0:1], vcc
	s_xor_b64 s[0:1], exec, s[0:1]
	s_cbranch_execz .LBB42_373
; %bb.368:
	v_cmp_eq_u32_e32 vcc, 17, v100
	s_and_saveexec_b64 s[8:9], vcc
	s_cbranch_execz .LBB42_372
; %bb.369:
	v_cmp_ne_u32_e32 vcc, 17, v98
	s_xor_b64 s[20:21], s[18:19], -1
	s_and_b64 s[24:25], s[20:21], vcc
	s_and_saveexec_b64 s[20:21], s[24:25]
	s_cbranch_execz .LBB42_371
; %bb.370:
	v_ashrrev_i32_e32 v99, 31, v98
	v_lshlrev_b64 v[99:100], 2, v[98:99]
	v_add_co_u32_e32 v99, vcc, v96, v99
	v_addc_co_u32_e32 v100, vcc, v97, v100, vcc
	global_load_dword v0, v[99:100], off
	global_load_dword v104, v[96:97], off offset:68
	s_waitcnt vmcnt(1)
	global_store_dword v[96:97], v0, off offset:68
	s_waitcnt vmcnt(1)
	global_store_dword v[99:100], v104, off
.LBB42_371:
	s_or_b64 exec, exec, s[20:21]
	v_mov_b32_e32 v100, v98
	v_mov_b32_e32 v0, v98
.LBB42_372:
	s_or_b64 exec, exec, s[8:9]
.LBB42_373:
	s_andn2_saveexec_b64 s[0:1], s[0:1]
	s_cbranch_execz .LBB42_375
; %bb.374:
	v_mov_b32_e32 v100, 17
	ds_write2_b64 v1, v[10:11], v[12:13] offset0:36 offset1:37
	ds_write2_b64 v1, v[6:7], v[8:9] offset0:38 offset1:39
	;; [unrolled: 1-line block ×4, first 2 shown]
.LBB42_375:
	s_or_b64 exec, exec, s[0:1]
	v_cmp_lt_i32_e32 vcc, 17, v100
	s_waitcnt vmcnt(0) lgkmcnt(0)
	s_barrier
	s_and_saveexec_b64 s[0:1], vcc
	s_cbranch_execz .LBB42_377
; %bb.376:
	v_mul_f64 v[98:99], v[90:91], v[16:17]
	v_mul_f64 v[16:17], v[92:93], v[16:17]
	v_fma_f64 v[98:99], v[92:93], v[14:15], v[98:99]
	v_fma_f64 v[14:15], v[90:91], v[14:15], -v[16:17]
	ds_read2_b64 v[90:93], v1 offset0:36 offset1:37
	s_waitcnt lgkmcnt(0)
	v_mul_f64 v[16:17], v[92:93], v[98:99]
	v_fma_f64 v[16:17], v[90:91], v[14:15], -v[16:17]
	v_mul_f64 v[90:91], v[90:91], v[98:99]
	v_add_f64 v[10:11], v[10:11], -v[16:17]
	v_fma_f64 v[90:91], v[92:93], v[14:15], v[90:91]
	v_add_f64 v[12:13], v[12:13], -v[90:91]
	ds_read2_b64 v[90:93], v1 offset0:38 offset1:39
	s_waitcnt lgkmcnt(0)
	v_mul_f64 v[16:17], v[92:93], v[98:99]
	v_fma_f64 v[16:17], v[90:91], v[14:15], -v[16:17]
	v_mul_f64 v[90:91], v[90:91], v[98:99]
	v_add_f64 v[6:7], v[6:7], -v[16:17]
	v_fma_f64 v[90:91], v[92:93], v[14:15], v[90:91]
	v_add_f64 v[8:9], v[8:9], -v[90:91]
	;; [unrolled: 8-line block ×3, first 2 shown]
	ds_read2_b64 v[90:93], v1 offset0:42 offset1:43
	s_waitcnt lgkmcnt(0)
	v_mul_f64 v[16:17], v[92:93], v[98:99]
	v_fma_f64 v[16:17], v[90:91], v[14:15], -v[16:17]
	v_mul_f64 v[90:91], v[90:91], v[98:99]
	v_add_f64 v[86:87], v[86:87], -v[16:17]
	v_fma_f64 v[90:91], v[92:93], v[14:15], v[90:91]
	v_mov_b32_e32 v16, v98
	v_mov_b32_e32 v17, v99
	v_add_f64 v[88:89], v[88:89], -v[90:91]
.LBB42_377:
	s_or_b64 exec, exec, s[0:1]
	v_lshl_add_u32 v90, v100, 4, v1
	s_barrier
	ds_write2_b64 v90, v[10:11], v[12:13] offset1:1
	s_waitcnt lgkmcnt(0)
	s_barrier
	ds_read2_b64 v[90:93], v1 offset0:36 offset1:37
	s_cmp_lt_i32 s22, 20
	v_mov_b32_e32 v98, 18
	s_cbranch_scc1 .LBB42_380
; %bb.378:
	v_add_u32_e32 v99, 0x130, v1
	s_mov_b32 s7, 19
	v_mov_b32_e32 v98, 18
.LBB42_379:                             ; =>This Inner Loop Header: Depth=1
	s_waitcnt lgkmcnt(0)
	v_cmp_gt_f64_e32 vcc, 0, v[92:93]
	v_cmp_gt_f64_e64 s[0:1], 0, v[90:91]
	ds_read2_b64 v[104:107], v99 offset1:1
	v_xor_b32_e32 v109, 0x80000000, v91
	v_xor_b32_e32 v111, 0x80000000, v93
	v_mov_b32_e32 v108, v90
	v_mov_b32_e32 v110, v92
	s_waitcnt lgkmcnt(0)
	v_xor_b32_e32 v113, 0x80000000, v107
	v_cndmask_b32_e32 v111, v93, v111, vcc
	v_cndmask_b32_e64 v109, v91, v109, s[0:1]
	v_cmp_gt_f64_e32 vcc, 0, v[106:107]
	v_cmp_gt_f64_e64 s[0:1], 0, v[104:105]
	v_add_f64 v[108:109], v[108:109], v[110:111]
	v_xor_b32_e32 v111, 0x80000000, v105
	v_mov_b32_e32 v110, v104
	v_mov_b32_e32 v112, v106
	v_add_u32_e32 v99, 16, v99
	v_cndmask_b32_e32 v113, v107, v113, vcc
	v_cndmask_b32_e64 v111, v105, v111, s[0:1]
	v_add_f64 v[110:111], v[110:111], v[112:113]
	v_mov_b32_e32 v112, s7
	s_add_i32 s7, s7, 1
	s_cmp_lg_u32 s22, s7
	v_cmp_lt_f64_e32 vcc, v[108:109], v[110:111]
	v_cndmask_b32_e32 v91, v91, v105, vcc
	v_cndmask_b32_e32 v90, v90, v104, vcc
	;; [unrolled: 1-line block ×5, first 2 shown]
	s_cbranch_scc1 .LBB42_379
.LBB42_380:
	s_waitcnt lgkmcnt(0)
	v_cmp_eq_f64_e32 vcc, 0, v[90:91]
	v_cmp_eq_f64_e64 s[0:1], 0, v[92:93]
	s_and_b64 s[0:1], vcc, s[0:1]
	s_and_saveexec_b64 s[8:9], s[0:1]
	s_xor_b64 s[0:1], exec, s[8:9]
; %bb.381:
	v_cmp_ne_u32_e32 vcc, 0, v103
	v_cndmask_b32_e32 v103, 19, v103, vcc
; %bb.382:
	s_andn2_saveexec_b64 s[0:1], s[0:1]
	s_cbranch_execz .LBB42_388
; %bb.383:
	v_cmp_ngt_f64_e64 s[8:9], |v[90:91]|, |v[92:93]|
	s_and_saveexec_b64 s[20:21], s[8:9]
	s_xor_b64 s[8:9], exec, s[20:21]
	s_cbranch_execz .LBB42_385
; %bb.384:
	v_div_scale_f64 v[104:105], s[20:21], v[92:93], v[92:93], v[90:91]
	v_rcp_f64_e32 v[106:107], v[104:105]
	v_fma_f64 v[108:109], -v[104:105], v[106:107], 1.0
	v_fma_f64 v[106:107], v[106:107], v[108:109], v[106:107]
	v_div_scale_f64 v[108:109], vcc, v[90:91], v[92:93], v[90:91]
	v_fma_f64 v[110:111], -v[104:105], v[106:107], 1.0
	v_fma_f64 v[106:107], v[106:107], v[110:111], v[106:107]
	v_mul_f64 v[110:111], v[108:109], v[106:107]
	v_fma_f64 v[104:105], -v[104:105], v[110:111], v[108:109]
	v_div_fmas_f64 v[104:105], v[104:105], v[106:107], v[110:111]
	v_div_fixup_f64 v[104:105], v[104:105], v[92:93], v[90:91]
	v_fma_f64 v[90:91], v[90:91], v[104:105], v[92:93]
	v_div_scale_f64 v[92:93], s[20:21], v[90:91], v[90:91], 1.0
	v_div_scale_f64 v[110:111], vcc, 1.0, v[90:91], 1.0
	v_rcp_f64_e32 v[106:107], v[92:93]
	v_fma_f64 v[108:109], -v[92:93], v[106:107], 1.0
	v_fma_f64 v[106:107], v[106:107], v[108:109], v[106:107]
	v_fma_f64 v[108:109], -v[92:93], v[106:107], 1.0
	v_fma_f64 v[106:107], v[106:107], v[108:109], v[106:107]
	v_mul_f64 v[108:109], v[110:111], v[106:107]
	v_fma_f64 v[92:93], -v[92:93], v[108:109], v[110:111]
	v_div_fmas_f64 v[92:93], v[92:93], v[106:107], v[108:109]
	v_div_fixup_f64 v[92:93], v[92:93], v[90:91], 1.0
	v_mul_f64 v[90:91], v[104:105], v[92:93]
	v_xor_b32_e32 v93, 0x80000000, v93
.LBB42_385:
	s_andn2_saveexec_b64 s[8:9], s[8:9]
	s_cbranch_execz .LBB42_387
; %bb.386:
	v_div_scale_f64 v[104:105], s[20:21], v[90:91], v[90:91], v[92:93]
	v_rcp_f64_e32 v[106:107], v[104:105]
	v_fma_f64 v[108:109], -v[104:105], v[106:107], 1.0
	v_fma_f64 v[106:107], v[106:107], v[108:109], v[106:107]
	v_div_scale_f64 v[108:109], vcc, v[92:93], v[90:91], v[92:93]
	v_fma_f64 v[110:111], -v[104:105], v[106:107], 1.0
	v_fma_f64 v[106:107], v[106:107], v[110:111], v[106:107]
	v_mul_f64 v[110:111], v[108:109], v[106:107]
	v_fma_f64 v[104:105], -v[104:105], v[110:111], v[108:109]
	v_div_fmas_f64 v[104:105], v[104:105], v[106:107], v[110:111]
	v_div_fixup_f64 v[104:105], v[104:105], v[90:91], v[92:93]
	v_fma_f64 v[90:91], v[92:93], v[104:105], v[90:91]
	v_div_scale_f64 v[92:93], s[20:21], v[90:91], v[90:91], 1.0
	v_div_scale_f64 v[110:111], vcc, 1.0, v[90:91], 1.0
	v_rcp_f64_e32 v[106:107], v[92:93]
	v_fma_f64 v[108:109], -v[92:93], v[106:107], 1.0
	v_fma_f64 v[106:107], v[106:107], v[108:109], v[106:107]
	v_fma_f64 v[108:109], -v[92:93], v[106:107], 1.0
	v_fma_f64 v[106:107], v[106:107], v[108:109], v[106:107]
	v_mul_f64 v[108:109], v[110:111], v[106:107]
	v_fma_f64 v[92:93], -v[92:93], v[108:109], v[110:111]
	v_div_fmas_f64 v[92:93], v[92:93], v[106:107], v[108:109]
	v_div_fixup_f64 v[90:91], v[92:93], v[90:91], 1.0
	v_mul_f64 v[92:93], v[104:105], -v[90:91]
.LBB42_387:
	s_or_b64 exec, exec, s[8:9]
.LBB42_388:
	s_or_b64 exec, exec, s[0:1]
	v_cmp_ne_u32_e32 vcc, v100, v98
	s_and_saveexec_b64 s[0:1], vcc
	s_xor_b64 s[0:1], exec, s[0:1]
	s_cbranch_execz .LBB42_394
; %bb.389:
	v_cmp_eq_u32_e32 vcc, 18, v100
	s_and_saveexec_b64 s[8:9], vcc
	s_cbranch_execz .LBB42_393
; %bb.390:
	v_cmp_ne_u32_e32 vcc, 18, v98
	s_xor_b64 s[20:21], s[18:19], -1
	s_and_b64 s[24:25], s[20:21], vcc
	s_and_saveexec_b64 s[20:21], s[24:25]
	s_cbranch_execz .LBB42_392
; %bb.391:
	v_ashrrev_i32_e32 v99, 31, v98
	v_lshlrev_b64 v[99:100], 2, v[98:99]
	v_add_co_u32_e32 v99, vcc, v96, v99
	v_addc_co_u32_e32 v100, vcc, v97, v100, vcc
	global_load_dword v0, v[99:100], off
	global_load_dword v104, v[96:97], off offset:72
	s_waitcnt vmcnt(1)
	global_store_dword v[96:97], v0, off offset:72
	s_waitcnt vmcnt(1)
	global_store_dword v[99:100], v104, off
.LBB42_392:
	s_or_b64 exec, exec, s[20:21]
	v_mov_b32_e32 v100, v98
	v_mov_b32_e32 v0, v98
.LBB42_393:
	s_or_b64 exec, exec, s[8:9]
.LBB42_394:
	s_andn2_saveexec_b64 s[0:1], s[0:1]
	s_cbranch_execz .LBB42_396
; %bb.395:
	v_mov_b32_e32 v100, 18
	ds_write2_b64 v1, v[6:7], v[8:9] offset0:38 offset1:39
	ds_write2_b64 v1, v[2:3], v[4:5] offset0:40 offset1:41
	;; [unrolled: 1-line block ×3, first 2 shown]
.LBB42_396:
	s_or_b64 exec, exec, s[0:1]
	v_cmp_lt_i32_e32 vcc, 18, v100
	s_waitcnt vmcnt(0) lgkmcnt(0)
	s_barrier
	s_and_saveexec_b64 s[0:1], vcc
	s_cbranch_execz .LBB42_398
; %bb.397:
	v_mul_f64 v[98:99], v[90:91], v[12:13]
	v_mul_f64 v[12:13], v[92:93], v[12:13]
	ds_read2_b64 v[104:107], v1 offset0:38 offset1:39
	ds_read2_b64 v[108:111], v1 offset0:40 offset1:41
	;; [unrolled: 1-line block ×3, first 2 shown]
	v_fma_f64 v[92:93], v[92:93], v[10:11], v[98:99]
	v_fma_f64 v[10:11], v[90:91], v[10:11], -v[12:13]
	s_waitcnt lgkmcnt(2)
	v_mul_f64 v[12:13], v[106:107], v[92:93]
	v_mul_f64 v[90:91], v[104:105], v[92:93]
	s_waitcnt lgkmcnt(1)
	v_mul_f64 v[98:99], v[110:111], v[92:93]
	v_mul_f64 v[116:117], v[108:109], v[92:93]
	;; [unrolled: 3-line block ×3, first 2 shown]
	v_fma_f64 v[12:13], v[104:105], v[10:11], -v[12:13]
	v_fma_f64 v[90:91], v[106:107], v[10:11], v[90:91]
	v_fma_f64 v[98:99], v[108:109], v[10:11], -v[98:99]
	v_fma_f64 v[104:105], v[110:111], v[10:11], v[116:117]
	;; [unrolled: 2-line block ×3, first 2 shown]
	v_add_f64 v[6:7], v[6:7], -v[12:13]
	v_add_f64 v[8:9], v[8:9], -v[90:91]
	;; [unrolled: 1-line block ×6, first 2 shown]
	v_mov_b32_e32 v12, v92
	v_mov_b32_e32 v13, v93
.LBB42_398:
	s_or_b64 exec, exec, s[0:1]
	v_lshl_add_u32 v90, v100, 4, v1
	s_barrier
	ds_write2_b64 v90, v[6:7], v[8:9] offset1:1
	s_waitcnt lgkmcnt(0)
	s_barrier
	ds_read2_b64 v[90:93], v1 offset0:38 offset1:39
	s_cmp_lt_i32 s22, 21
	v_mov_b32_e32 v98, 19
	s_cbranch_scc1 .LBB42_401
; %bb.399:
	v_add_u32_e32 v99, 0x140, v1
	s_mov_b32 s7, 20
	v_mov_b32_e32 v98, 19
.LBB42_400:                             ; =>This Inner Loop Header: Depth=1
	s_waitcnt lgkmcnt(0)
	v_cmp_gt_f64_e32 vcc, 0, v[92:93]
	v_cmp_gt_f64_e64 s[0:1], 0, v[90:91]
	ds_read2_b64 v[104:107], v99 offset1:1
	v_xor_b32_e32 v109, 0x80000000, v91
	v_xor_b32_e32 v111, 0x80000000, v93
	v_mov_b32_e32 v108, v90
	v_mov_b32_e32 v110, v92
	s_waitcnt lgkmcnt(0)
	v_xor_b32_e32 v113, 0x80000000, v107
	v_cndmask_b32_e32 v111, v93, v111, vcc
	v_cndmask_b32_e64 v109, v91, v109, s[0:1]
	v_cmp_gt_f64_e32 vcc, 0, v[106:107]
	v_cmp_gt_f64_e64 s[0:1], 0, v[104:105]
	v_add_f64 v[108:109], v[108:109], v[110:111]
	v_xor_b32_e32 v111, 0x80000000, v105
	v_mov_b32_e32 v110, v104
	v_mov_b32_e32 v112, v106
	v_add_u32_e32 v99, 16, v99
	v_cndmask_b32_e32 v113, v107, v113, vcc
	v_cndmask_b32_e64 v111, v105, v111, s[0:1]
	v_add_f64 v[110:111], v[110:111], v[112:113]
	v_mov_b32_e32 v112, s7
	s_add_i32 s7, s7, 1
	s_cmp_lg_u32 s22, s7
	v_cmp_lt_f64_e32 vcc, v[108:109], v[110:111]
	v_cndmask_b32_e32 v91, v91, v105, vcc
	v_cndmask_b32_e32 v90, v90, v104, vcc
	;; [unrolled: 1-line block ×5, first 2 shown]
	s_cbranch_scc1 .LBB42_400
.LBB42_401:
	s_waitcnt lgkmcnt(0)
	v_cmp_eq_f64_e32 vcc, 0, v[90:91]
	v_cmp_eq_f64_e64 s[0:1], 0, v[92:93]
	s_and_b64 s[0:1], vcc, s[0:1]
	s_and_saveexec_b64 s[8:9], s[0:1]
	s_xor_b64 s[0:1], exec, s[8:9]
; %bb.402:
	v_cmp_ne_u32_e32 vcc, 0, v103
	v_cndmask_b32_e32 v103, 20, v103, vcc
; %bb.403:
	s_andn2_saveexec_b64 s[0:1], s[0:1]
	s_cbranch_execz .LBB42_409
; %bb.404:
	v_cmp_ngt_f64_e64 s[8:9], |v[90:91]|, |v[92:93]|
	s_and_saveexec_b64 s[20:21], s[8:9]
	s_xor_b64 s[8:9], exec, s[20:21]
	s_cbranch_execz .LBB42_406
; %bb.405:
	v_div_scale_f64 v[104:105], s[20:21], v[92:93], v[92:93], v[90:91]
	v_rcp_f64_e32 v[106:107], v[104:105]
	v_fma_f64 v[108:109], -v[104:105], v[106:107], 1.0
	v_fma_f64 v[106:107], v[106:107], v[108:109], v[106:107]
	v_div_scale_f64 v[108:109], vcc, v[90:91], v[92:93], v[90:91]
	v_fma_f64 v[110:111], -v[104:105], v[106:107], 1.0
	v_fma_f64 v[106:107], v[106:107], v[110:111], v[106:107]
	v_mul_f64 v[110:111], v[108:109], v[106:107]
	v_fma_f64 v[104:105], -v[104:105], v[110:111], v[108:109]
	v_div_fmas_f64 v[104:105], v[104:105], v[106:107], v[110:111]
	v_div_fixup_f64 v[104:105], v[104:105], v[92:93], v[90:91]
	v_fma_f64 v[90:91], v[90:91], v[104:105], v[92:93]
	v_div_scale_f64 v[92:93], s[20:21], v[90:91], v[90:91], 1.0
	v_div_scale_f64 v[110:111], vcc, 1.0, v[90:91], 1.0
	v_rcp_f64_e32 v[106:107], v[92:93]
	v_fma_f64 v[108:109], -v[92:93], v[106:107], 1.0
	v_fma_f64 v[106:107], v[106:107], v[108:109], v[106:107]
	v_fma_f64 v[108:109], -v[92:93], v[106:107], 1.0
	v_fma_f64 v[106:107], v[106:107], v[108:109], v[106:107]
	v_mul_f64 v[108:109], v[110:111], v[106:107]
	v_fma_f64 v[92:93], -v[92:93], v[108:109], v[110:111]
	v_div_fmas_f64 v[92:93], v[92:93], v[106:107], v[108:109]
	v_div_fixup_f64 v[92:93], v[92:93], v[90:91], 1.0
	v_mul_f64 v[90:91], v[104:105], v[92:93]
	v_xor_b32_e32 v93, 0x80000000, v93
.LBB42_406:
	s_andn2_saveexec_b64 s[8:9], s[8:9]
	s_cbranch_execz .LBB42_408
; %bb.407:
	v_div_scale_f64 v[104:105], s[20:21], v[90:91], v[90:91], v[92:93]
	v_rcp_f64_e32 v[106:107], v[104:105]
	v_fma_f64 v[108:109], -v[104:105], v[106:107], 1.0
	v_fma_f64 v[106:107], v[106:107], v[108:109], v[106:107]
	v_div_scale_f64 v[108:109], vcc, v[92:93], v[90:91], v[92:93]
	v_fma_f64 v[110:111], -v[104:105], v[106:107], 1.0
	v_fma_f64 v[106:107], v[106:107], v[110:111], v[106:107]
	v_mul_f64 v[110:111], v[108:109], v[106:107]
	v_fma_f64 v[104:105], -v[104:105], v[110:111], v[108:109]
	v_div_fmas_f64 v[104:105], v[104:105], v[106:107], v[110:111]
	v_div_fixup_f64 v[104:105], v[104:105], v[90:91], v[92:93]
	v_fma_f64 v[90:91], v[92:93], v[104:105], v[90:91]
	v_div_scale_f64 v[92:93], s[20:21], v[90:91], v[90:91], 1.0
	v_div_scale_f64 v[110:111], vcc, 1.0, v[90:91], 1.0
	v_rcp_f64_e32 v[106:107], v[92:93]
	v_fma_f64 v[108:109], -v[92:93], v[106:107], 1.0
	v_fma_f64 v[106:107], v[106:107], v[108:109], v[106:107]
	v_fma_f64 v[108:109], -v[92:93], v[106:107], 1.0
	v_fma_f64 v[106:107], v[106:107], v[108:109], v[106:107]
	v_mul_f64 v[108:109], v[110:111], v[106:107]
	v_fma_f64 v[92:93], -v[92:93], v[108:109], v[110:111]
	v_div_fmas_f64 v[92:93], v[92:93], v[106:107], v[108:109]
	v_div_fixup_f64 v[90:91], v[92:93], v[90:91], 1.0
	v_mul_f64 v[92:93], v[104:105], -v[90:91]
.LBB42_408:
	s_or_b64 exec, exec, s[8:9]
.LBB42_409:
	s_or_b64 exec, exec, s[0:1]
	v_cmp_ne_u32_e32 vcc, v100, v98
	s_and_saveexec_b64 s[0:1], vcc
	s_xor_b64 s[0:1], exec, s[0:1]
	s_cbranch_execz .LBB42_415
; %bb.410:
	v_cmp_eq_u32_e32 vcc, 19, v100
	s_and_saveexec_b64 s[8:9], vcc
	s_cbranch_execz .LBB42_414
; %bb.411:
	v_cmp_ne_u32_e32 vcc, 19, v98
	s_xor_b64 s[20:21], s[18:19], -1
	s_and_b64 s[24:25], s[20:21], vcc
	s_and_saveexec_b64 s[20:21], s[24:25]
	s_cbranch_execz .LBB42_413
; %bb.412:
	v_ashrrev_i32_e32 v99, 31, v98
	v_lshlrev_b64 v[99:100], 2, v[98:99]
	v_add_co_u32_e32 v99, vcc, v96, v99
	v_addc_co_u32_e32 v100, vcc, v97, v100, vcc
	global_load_dword v0, v[99:100], off
	global_load_dword v104, v[96:97], off offset:76
	s_waitcnt vmcnt(1)
	global_store_dword v[96:97], v0, off offset:76
	s_waitcnt vmcnt(1)
	global_store_dword v[99:100], v104, off
.LBB42_413:
	s_or_b64 exec, exec, s[20:21]
	v_mov_b32_e32 v100, v98
	v_mov_b32_e32 v0, v98
.LBB42_414:
	s_or_b64 exec, exec, s[8:9]
.LBB42_415:
	s_andn2_saveexec_b64 s[0:1], s[0:1]
	s_cbranch_execz .LBB42_417
; %bb.416:
	v_mov_b32_e32 v100, 19
	ds_write2_b64 v1, v[2:3], v[4:5] offset0:40 offset1:41
	ds_write2_b64 v1, v[86:87], v[88:89] offset0:42 offset1:43
.LBB42_417:
	s_or_b64 exec, exec, s[0:1]
	v_cmp_lt_i32_e32 vcc, 19, v100
	s_waitcnt vmcnt(0) lgkmcnt(0)
	s_barrier
	s_and_saveexec_b64 s[0:1], vcc
	s_cbranch_execz .LBB42_419
; %bb.418:
	v_mul_f64 v[98:99], v[90:91], v[8:9]
	v_mul_f64 v[8:9], v[92:93], v[8:9]
	ds_read2_b64 v[104:107], v1 offset0:40 offset1:41
	ds_read2_b64 v[108:111], v1 offset0:42 offset1:43
	v_fma_f64 v[92:93], v[92:93], v[6:7], v[98:99]
	v_fma_f64 v[6:7], v[90:91], v[6:7], -v[8:9]
	s_waitcnt lgkmcnt(1)
	v_mul_f64 v[8:9], v[106:107], v[92:93]
	v_mul_f64 v[90:91], v[104:105], v[92:93]
	s_waitcnt lgkmcnt(0)
	v_mul_f64 v[98:99], v[110:111], v[92:93]
	v_mul_f64 v[112:113], v[108:109], v[92:93]
	v_fma_f64 v[8:9], v[104:105], v[6:7], -v[8:9]
	v_fma_f64 v[90:91], v[106:107], v[6:7], v[90:91]
	v_fma_f64 v[98:99], v[108:109], v[6:7], -v[98:99]
	v_fma_f64 v[104:105], v[110:111], v[6:7], v[112:113]
	v_add_f64 v[2:3], v[2:3], -v[8:9]
	v_add_f64 v[4:5], v[4:5], -v[90:91]
	;; [unrolled: 1-line block ×4, first 2 shown]
	v_mov_b32_e32 v8, v92
	v_mov_b32_e32 v9, v93
.LBB42_419:
	s_or_b64 exec, exec, s[0:1]
	v_lshl_add_u32 v90, v100, 4, v1
	s_barrier
	ds_write2_b64 v90, v[2:3], v[4:5] offset1:1
	s_waitcnt lgkmcnt(0)
	s_barrier
	ds_read2_b64 v[90:93], v1 offset0:40 offset1:41
	s_cmp_lt_i32 s22, 22
	v_mov_b32_e32 v98, 20
	s_cbranch_scc1 .LBB42_422
; %bb.420:
	v_add_u32_e32 v99, 0x150, v1
	s_mov_b32 s7, 21
	v_mov_b32_e32 v98, 20
.LBB42_421:                             ; =>This Inner Loop Header: Depth=1
	s_waitcnt lgkmcnt(0)
	v_cmp_gt_f64_e32 vcc, 0, v[92:93]
	v_cmp_gt_f64_e64 s[0:1], 0, v[90:91]
	ds_read2_b64 v[104:107], v99 offset1:1
	v_xor_b32_e32 v109, 0x80000000, v91
	v_xor_b32_e32 v111, 0x80000000, v93
	v_mov_b32_e32 v108, v90
	v_mov_b32_e32 v110, v92
	s_waitcnt lgkmcnt(0)
	v_xor_b32_e32 v113, 0x80000000, v107
	v_cndmask_b32_e32 v111, v93, v111, vcc
	v_cndmask_b32_e64 v109, v91, v109, s[0:1]
	v_cmp_gt_f64_e32 vcc, 0, v[106:107]
	v_cmp_gt_f64_e64 s[0:1], 0, v[104:105]
	v_add_f64 v[108:109], v[108:109], v[110:111]
	v_xor_b32_e32 v111, 0x80000000, v105
	v_mov_b32_e32 v110, v104
	v_mov_b32_e32 v112, v106
	v_add_u32_e32 v99, 16, v99
	v_cndmask_b32_e32 v113, v107, v113, vcc
	v_cndmask_b32_e64 v111, v105, v111, s[0:1]
	v_add_f64 v[110:111], v[110:111], v[112:113]
	v_mov_b32_e32 v112, s7
	s_add_i32 s7, s7, 1
	s_cmp_lg_u32 s22, s7
	v_cmp_lt_f64_e32 vcc, v[108:109], v[110:111]
	v_cndmask_b32_e32 v91, v91, v105, vcc
	v_cndmask_b32_e32 v90, v90, v104, vcc
	;; [unrolled: 1-line block ×5, first 2 shown]
	s_cbranch_scc1 .LBB42_421
.LBB42_422:
	s_waitcnt lgkmcnt(0)
	v_cmp_eq_f64_e32 vcc, 0, v[90:91]
	v_cmp_eq_f64_e64 s[0:1], 0, v[92:93]
	s_and_b64 s[0:1], vcc, s[0:1]
	s_and_saveexec_b64 s[8:9], s[0:1]
	s_xor_b64 s[0:1], exec, s[8:9]
; %bb.423:
	v_cmp_ne_u32_e32 vcc, 0, v103
	v_cndmask_b32_e32 v103, 21, v103, vcc
; %bb.424:
	s_andn2_saveexec_b64 s[0:1], s[0:1]
	s_cbranch_execz .LBB42_430
; %bb.425:
	v_cmp_ngt_f64_e64 s[8:9], |v[90:91]|, |v[92:93]|
	s_and_saveexec_b64 s[20:21], s[8:9]
	s_xor_b64 s[8:9], exec, s[20:21]
	s_cbranch_execz .LBB42_427
; %bb.426:
	v_div_scale_f64 v[104:105], s[20:21], v[92:93], v[92:93], v[90:91]
	v_rcp_f64_e32 v[106:107], v[104:105]
	v_fma_f64 v[108:109], -v[104:105], v[106:107], 1.0
	v_fma_f64 v[106:107], v[106:107], v[108:109], v[106:107]
	v_div_scale_f64 v[108:109], vcc, v[90:91], v[92:93], v[90:91]
	v_fma_f64 v[110:111], -v[104:105], v[106:107], 1.0
	v_fma_f64 v[106:107], v[106:107], v[110:111], v[106:107]
	v_mul_f64 v[110:111], v[108:109], v[106:107]
	v_fma_f64 v[104:105], -v[104:105], v[110:111], v[108:109]
	v_div_fmas_f64 v[104:105], v[104:105], v[106:107], v[110:111]
	v_div_fixup_f64 v[104:105], v[104:105], v[92:93], v[90:91]
	v_fma_f64 v[90:91], v[90:91], v[104:105], v[92:93]
	v_div_scale_f64 v[92:93], s[20:21], v[90:91], v[90:91], 1.0
	v_div_scale_f64 v[110:111], vcc, 1.0, v[90:91], 1.0
	v_rcp_f64_e32 v[106:107], v[92:93]
	v_fma_f64 v[108:109], -v[92:93], v[106:107], 1.0
	v_fma_f64 v[106:107], v[106:107], v[108:109], v[106:107]
	v_fma_f64 v[108:109], -v[92:93], v[106:107], 1.0
	v_fma_f64 v[106:107], v[106:107], v[108:109], v[106:107]
	v_mul_f64 v[108:109], v[110:111], v[106:107]
	v_fma_f64 v[92:93], -v[92:93], v[108:109], v[110:111]
	v_div_fmas_f64 v[92:93], v[92:93], v[106:107], v[108:109]
	v_div_fixup_f64 v[92:93], v[92:93], v[90:91], 1.0
	v_mul_f64 v[90:91], v[104:105], v[92:93]
	v_xor_b32_e32 v93, 0x80000000, v93
.LBB42_427:
	s_andn2_saveexec_b64 s[8:9], s[8:9]
	s_cbranch_execz .LBB42_429
; %bb.428:
	v_div_scale_f64 v[104:105], s[20:21], v[90:91], v[90:91], v[92:93]
	v_rcp_f64_e32 v[106:107], v[104:105]
	v_fma_f64 v[108:109], -v[104:105], v[106:107], 1.0
	v_fma_f64 v[106:107], v[106:107], v[108:109], v[106:107]
	v_div_scale_f64 v[108:109], vcc, v[92:93], v[90:91], v[92:93]
	v_fma_f64 v[110:111], -v[104:105], v[106:107], 1.0
	v_fma_f64 v[106:107], v[106:107], v[110:111], v[106:107]
	v_mul_f64 v[110:111], v[108:109], v[106:107]
	v_fma_f64 v[104:105], -v[104:105], v[110:111], v[108:109]
	v_div_fmas_f64 v[104:105], v[104:105], v[106:107], v[110:111]
	v_div_fixup_f64 v[104:105], v[104:105], v[90:91], v[92:93]
	v_fma_f64 v[90:91], v[92:93], v[104:105], v[90:91]
	v_div_scale_f64 v[92:93], s[20:21], v[90:91], v[90:91], 1.0
	v_div_scale_f64 v[110:111], vcc, 1.0, v[90:91], 1.0
	v_rcp_f64_e32 v[106:107], v[92:93]
	v_fma_f64 v[108:109], -v[92:93], v[106:107], 1.0
	v_fma_f64 v[106:107], v[106:107], v[108:109], v[106:107]
	v_fma_f64 v[108:109], -v[92:93], v[106:107], 1.0
	v_fma_f64 v[106:107], v[106:107], v[108:109], v[106:107]
	v_mul_f64 v[108:109], v[110:111], v[106:107]
	v_fma_f64 v[92:93], -v[92:93], v[108:109], v[110:111]
	v_div_fmas_f64 v[92:93], v[92:93], v[106:107], v[108:109]
	v_div_fixup_f64 v[90:91], v[92:93], v[90:91], 1.0
	v_mul_f64 v[92:93], v[104:105], -v[90:91]
.LBB42_429:
	s_or_b64 exec, exec, s[8:9]
.LBB42_430:
	s_or_b64 exec, exec, s[0:1]
	v_cmp_ne_u32_e32 vcc, v100, v98
	s_and_saveexec_b64 s[0:1], vcc
	s_xor_b64 s[0:1], exec, s[0:1]
	s_cbranch_execz .LBB42_436
; %bb.431:
	v_cmp_eq_u32_e32 vcc, 20, v100
	s_and_saveexec_b64 s[8:9], vcc
	s_cbranch_execz .LBB42_435
; %bb.432:
	v_cmp_ne_u32_e32 vcc, 20, v98
	s_xor_b64 s[20:21], s[18:19], -1
	s_and_b64 s[24:25], s[20:21], vcc
	s_and_saveexec_b64 s[20:21], s[24:25]
	s_cbranch_execz .LBB42_434
; %bb.433:
	v_ashrrev_i32_e32 v99, 31, v98
	v_lshlrev_b64 v[99:100], 2, v[98:99]
	v_add_co_u32_e32 v99, vcc, v96, v99
	v_addc_co_u32_e32 v100, vcc, v97, v100, vcc
	global_load_dword v0, v[99:100], off
	global_load_dword v104, v[96:97], off offset:80
	s_waitcnt vmcnt(1)
	global_store_dword v[96:97], v0, off offset:80
	s_waitcnt vmcnt(1)
	global_store_dword v[99:100], v104, off
.LBB42_434:
	s_or_b64 exec, exec, s[20:21]
	v_mov_b32_e32 v100, v98
	v_mov_b32_e32 v0, v98
.LBB42_435:
	s_or_b64 exec, exec, s[8:9]
.LBB42_436:
	s_andn2_saveexec_b64 s[0:1], s[0:1]
; %bb.437:
	v_mov_b32_e32 v100, 20
	ds_write2_b64 v1, v[86:87], v[88:89] offset0:42 offset1:43
; %bb.438:
	s_or_b64 exec, exec, s[0:1]
	v_cmp_lt_i32_e32 vcc, 20, v100
	s_waitcnt vmcnt(0) lgkmcnt(0)
	s_barrier
	s_and_saveexec_b64 s[0:1], vcc
	s_cbranch_execz .LBB42_440
; %bb.439:
	v_mul_f64 v[98:99], v[90:91], v[4:5]
	v_mul_f64 v[4:5], v[92:93], v[4:5]
	ds_read2_b64 v[104:107], v1 offset0:42 offset1:43
	v_fma_f64 v[92:93], v[92:93], v[2:3], v[98:99]
	v_fma_f64 v[2:3], v[90:91], v[2:3], -v[4:5]
	s_waitcnt lgkmcnt(0)
	v_mul_f64 v[4:5], v[106:107], v[92:93]
	v_mul_f64 v[90:91], v[104:105], v[92:93]
	v_fma_f64 v[4:5], v[104:105], v[2:3], -v[4:5]
	v_fma_f64 v[90:91], v[106:107], v[2:3], v[90:91]
	v_add_f64 v[86:87], v[86:87], -v[4:5]
	v_add_f64 v[88:89], v[88:89], -v[90:91]
	v_mov_b32_e32 v4, v92
	v_mov_b32_e32 v5, v93
.LBB42_440:
	s_or_b64 exec, exec, s[0:1]
	v_lshl_add_u32 v90, v100, 4, v1
	s_barrier
	ds_write2_b64 v90, v[86:87], v[88:89] offset1:1
	s_waitcnt lgkmcnt(0)
	s_barrier
	ds_read2_b64 v[90:93], v1 offset0:42 offset1:43
	s_cmp_lt_i32 s22, 23
	v_mov_b32_e32 v98, 21
	s_cbranch_scc1 .LBB42_443
; %bb.441:
	v_add_u32_e32 v1, 0x160, v1
	s_mov_b32 s7, 22
	v_mov_b32_e32 v98, 21
.LBB42_442:                             ; =>This Inner Loop Header: Depth=1
	s_waitcnt lgkmcnt(0)
	v_cmp_gt_f64_e32 vcc, 0, v[92:93]
	v_cmp_gt_f64_e64 s[0:1], 0, v[90:91]
	ds_read2_b64 v[104:107], v1 offset1:1
	v_xor_b32_e32 v99, 0x80000000, v91
	v_xor_b32_e32 v111, 0x80000000, v93
	v_mov_b32_e32 v108, v90
	v_mov_b32_e32 v110, v92
	s_waitcnt lgkmcnt(0)
	v_xor_b32_e32 v113, 0x80000000, v107
	v_cndmask_b32_e32 v111, v93, v111, vcc
	v_cndmask_b32_e64 v109, v91, v99, s[0:1]
	v_cmp_gt_f64_e32 vcc, 0, v[106:107]
	v_cmp_gt_f64_e64 s[0:1], 0, v[104:105]
	v_xor_b32_e32 v99, 0x80000000, v105
	v_add_f64 v[108:109], v[108:109], v[110:111]
	v_mov_b32_e32 v110, v104
	v_mov_b32_e32 v112, v106
	v_add_u32_e32 v1, 16, v1
	v_cndmask_b32_e32 v113, v107, v113, vcc
	v_cndmask_b32_e64 v111, v105, v99, s[0:1]
	v_add_f64 v[110:111], v[110:111], v[112:113]
	v_mov_b32_e32 v99, s7
	s_add_i32 s7, s7, 1
	s_cmp_lg_u32 s22, s7
	v_cmp_lt_f64_e32 vcc, v[108:109], v[110:111]
	v_cndmask_b32_e32 v91, v91, v105, vcc
	v_cndmask_b32_e32 v90, v90, v104, vcc
	;; [unrolled: 1-line block ×5, first 2 shown]
	s_cbranch_scc1 .LBB42_442
.LBB42_443:
	s_waitcnt lgkmcnt(0)
	v_cmp_eq_f64_e32 vcc, 0, v[90:91]
	v_cmp_eq_f64_e64 s[0:1], 0, v[92:93]
	s_and_b64 s[0:1], vcc, s[0:1]
	s_and_saveexec_b64 s[8:9], s[0:1]
	s_xor_b64 s[0:1], exec, s[8:9]
; %bb.444:
	v_cmp_ne_u32_e32 vcc, 0, v103
	v_cndmask_b32_e32 v103, 22, v103, vcc
; %bb.445:
	s_andn2_saveexec_b64 s[0:1], s[0:1]
	s_cbranch_execz .LBB42_451
; %bb.446:
	v_cmp_ngt_f64_e64 s[8:9], |v[90:91]|, |v[92:93]|
	s_and_saveexec_b64 s[20:21], s[8:9]
	s_xor_b64 s[8:9], exec, s[20:21]
	s_cbranch_execz .LBB42_448
; %bb.447:
	v_div_scale_f64 v[104:105], s[20:21], v[92:93], v[92:93], v[90:91]
	v_rcp_f64_e32 v[106:107], v[104:105]
	v_fma_f64 v[108:109], -v[104:105], v[106:107], 1.0
	v_fma_f64 v[106:107], v[106:107], v[108:109], v[106:107]
	v_div_scale_f64 v[108:109], vcc, v[90:91], v[92:93], v[90:91]
	v_fma_f64 v[110:111], -v[104:105], v[106:107], 1.0
	v_fma_f64 v[106:107], v[106:107], v[110:111], v[106:107]
	v_mul_f64 v[110:111], v[108:109], v[106:107]
	v_fma_f64 v[104:105], -v[104:105], v[110:111], v[108:109]
	v_div_fmas_f64 v[104:105], v[104:105], v[106:107], v[110:111]
	v_div_fixup_f64 v[104:105], v[104:105], v[92:93], v[90:91]
	v_fma_f64 v[90:91], v[90:91], v[104:105], v[92:93]
	v_div_scale_f64 v[92:93], s[20:21], v[90:91], v[90:91], 1.0
	v_div_scale_f64 v[110:111], vcc, 1.0, v[90:91], 1.0
	v_rcp_f64_e32 v[106:107], v[92:93]
	v_fma_f64 v[108:109], -v[92:93], v[106:107], 1.0
	v_fma_f64 v[106:107], v[106:107], v[108:109], v[106:107]
	v_fma_f64 v[108:109], -v[92:93], v[106:107], 1.0
	v_fma_f64 v[106:107], v[106:107], v[108:109], v[106:107]
	v_mul_f64 v[108:109], v[110:111], v[106:107]
	v_fma_f64 v[92:93], -v[92:93], v[108:109], v[110:111]
	v_div_fmas_f64 v[92:93], v[92:93], v[106:107], v[108:109]
	v_div_fixup_f64 v[92:93], v[92:93], v[90:91], 1.0
	v_mul_f64 v[90:91], v[104:105], v[92:93]
	v_xor_b32_e32 v93, 0x80000000, v93
.LBB42_448:
	s_andn2_saveexec_b64 s[8:9], s[8:9]
	s_cbranch_execz .LBB42_450
; %bb.449:
	v_div_scale_f64 v[104:105], s[20:21], v[90:91], v[90:91], v[92:93]
	v_rcp_f64_e32 v[106:107], v[104:105]
	v_fma_f64 v[108:109], -v[104:105], v[106:107], 1.0
	v_fma_f64 v[106:107], v[106:107], v[108:109], v[106:107]
	v_div_scale_f64 v[108:109], vcc, v[92:93], v[90:91], v[92:93]
	v_fma_f64 v[110:111], -v[104:105], v[106:107], 1.0
	v_fma_f64 v[106:107], v[106:107], v[110:111], v[106:107]
	v_mul_f64 v[110:111], v[108:109], v[106:107]
	v_fma_f64 v[104:105], -v[104:105], v[110:111], v[108:109]
	v_div_fmas_f64 v[104:105], v[104:105], v[106:107], v[110:111]
	v_div_fixup_f64 v[104:105], v[104:105], v[90:91], v[92:93]
	v_fma_f64 v[90:91], v[92:93], v[104:105], v[90:91]
	v_div_scale_f64 v[92:93], s[20:21], v[90:91], v[90:91], 1.0
	v_div_scale_f64 v[110:111], vcc, 1.0, v[90:91], 1.0
	v_rcp_f64_e32 v[106:107], v[92:93]
	v_fma_f64 v[108:109], -v[92:93], v[106:107], 1.0
	v_fma_f64 v[106:107], v[106:107], v[108:109], v[106:107]
	v_fma_f64 v[108:109], -v[92:93], v[106:107], 1.0
	v_fma_f64 v[106:107], v[106:107], v[108:109], v[106:107]
	v_mul_f64 v[108:109], v[110:111], v[106:107]
	v_fma_f64 v[92:93], -v[92:93], v[108:109], v[110:111]
	v_div_fmas_f64 v[92:93], v[92:93], v[106:107], v[108:109]
	v_div_fixup_f64 v[90:91], v[92:93], v[90:91], 1.0
	v_mul_f64 v[92:93], v[104:105], -v[90:91]
.LBB42_450:
	s_or_b64 exec, exec, s[8:9]
.LBB42_451:
	s_or_b64 exec, exec, s[0:1]
	v_cmp_ne_u32_e32 vcc, v100, v98
	v_mov_b32_e32 v99, 21
	s_and_saveexec_b64 s[0:1], vcc
	s_cbranch_execz .LBB42_457
; %bb.452:
	v_cmp_eq_u32_e32 vcc, 21, v100
	s_and_saveexec_b64 s[8:9], vcc
	s_cbranch_execz .LBB42_456
; %bb.453:
	v_cmp_ne_u32_e32 vcc, 21, v98
	s_xor_b64 s[18:19], s[18:19], -1
	s_and_b64 s[20:21], s[18:19], vcc
	s_and_saveexec_b64 s[18:19], s[20:21]
	s_cbranch_execz .LBB42_455
; %bb.454:
	v_ashrrev_i32_e32 v99, 31, v98
	v_lshlrev_b64 v[0:1], 2, v[98:99]
	v_add_co_u32_e32 v0, vcc, v96, v0
	v_addc_co_u32_e32 v1, vcc, v97, v1, vcc
	global_load_dword v99, v[0:1], off
	global_load_dword v100, v[96:97], off offset:84
	s_waitcnt vmcnt(1)
	global_store_dword v[96:97], v99, off offset:84
	s_waitcnt vmcnt(1)
	global_store_dword v[0:1], v100, off
.LBB42_455:
	s_or_b64 exec, exec, s[18:19]
	v_mov_b32_e32 v100, v98
	v_mov_b32_e32 v0, v98
.LBB42_456:
	s_or_b64 exec, exec, s[8:9]
	v_mov_b32_e32 v99, v100
.LBB42_457:
	s_or_b64 exec, exec, s[0:1]
	v_cmp_gt_i32_e32 vcc, 22, v99
	v_ashrrev_i32_e32 v100, 31, v99
	s_waitcnt vmcnt(0)
	s_barrier
	s_barrier
	s_and_saveexec_b64 s[0:1], vcc
	s_cbranch_execz .LBB42_459
; %bb.458:
	v_mul_lo_u32 v1, s15, v94
	v_mul_lo_u32 v98, s14, v95
	v_mad_u64_u32 v[96:97], s[8:9], s14, v94, 0
	s_lshl_b64 s[8:9], s[12:13], 2
	v_add3_u32 v0, v0, s17, 1
	v_add3_u32 v97, v97, v98, v1
	v_lshlrev_b64 v[96:97], 2, v[96:97]
	v_mov_b32_e32 v1, s11
	v_add_co_u32_e32 v96, vcc, s10, v96
	v_addc_co_u32_e32 v1, vcc, v1, v97, vcc
	v_mov_b32_e32 v97, s9
	v_add_co_u32_e32 v98, vcc, s8, v96
	v_addc_co_u32_e32 v1, vcc, v1, v97, vcc
	v_lshlrev_b64 v[96:97], 2, v[99:100]
	v_add_co_u32_e32 v96, vcc, v98, v96
	v_addc_co_u32_e32 v97, vcc, v1, v97, vcc
	global_store_dword v[96:97], v0, off
.LBB42_459:
	s_or_b64 exec, exec, s[0:1]
	v_cmp_eq_u32_e32 vcc, 0, v99
	s_and_saveexec_b64 s[8:9], vcc
	s_cbranch_execz .LBB42_462
; %bb.460:
	v_lshlrev_b64 v[0:1], 2, v[94:95]
	v_mov_b32_e32 v94, s5
	v_add_co_u32_e32 v0, vcc, s4, v0
	v_addc_co_u32_e32 v1, vcc, v94, v1, vcc
	global_load_dword v94, v[0:1], off
	v_cmp_ne_u32_e64 s[0:1], 0, v103
	s_waitcnt vmcnt(0)
	v_cmp_eq_u32_e32 vcc, 0, v94
	s_and_b64 s[0:1], vcc, s[0:1]
	s_and_b64 exec, exec, s[0:1]
	s_cbranch_execz .LBB42_462
; %bb.461:
	v_add_u32_e32 v94, s17, v103
	global_store_dword v[0:1], v94, off
.LBB42_462:
	s_or_b64 exec, exec, s[8:9]
	v_mul_f64 v[0:1], v[90:91], v[88:89]
	v_mul_f64 v[94:95], v[92:93], v[88:89]
	v_lshlrev_b64 v[96:97], 4, v[99:100]
	v_mov_b32_e32 v98, s3
	v_fma_f64 v[0:1], v[92:93], v[86:87], v[0:1]
	v_fma_f64 v[90:91], v[90:91], v[86:87], -v[94:95]
	v_add_co_u32_e32 v92, vcc, v101, v96
	v_addc_co_u32_e32 v93, vcc, v102, v97, vcc
	v_cmp_lt_i32_e32 vcc, 21, v99
	global_store_dwordx4 v[92:93], v[82:85], off
	s_nop 0
	v_cndmask_b32_e32 v85, v89, v1, vcc
	v_cndmask_b32_e32 v84, v88, v0, vcc
	;; [unrolled: 1-line block ×4, first 2 shown]
	v_add_co_u32_e32 v0, vcc, s2, v92
	v_addc_co_u32_e32 v1, vcc, v93, v98, vcc
	global_store_dwordx4 v[0:1], v[78:81], off
	v_add_u32_e32 v0, s16, v99
	v_ashrrev_i32_e32 v1, 31, v0
	v_lshlrev_b64 v[78:79], 4, v[0:1]
	v_add_u32_e32 v0, s6, v0
	v_add_co_u32_e32 v78, vcc, v101, v78
	v_addc_co_u32_e32 v79, vcc, v102, v79, vcc
	v_ashrrev_i32_e32 v1, 31, v0
	global_store_dwordx4 v[78:79], v[74:77], off
	s_nop 0
	v_lshlrev_b64 v[74:75], 4, v[0:1]
	v_add_u32_e32 v0, s6, v0
	v_add_co_u32_e32 v74, vcc, v101, v74
	v_addc_co_u32_e32 v75, vcc, v102, v75, vcc
	v_ashrrev_i32_e32 v1, 31, v0
	global_store_dwordx4 v[74:75], v[70:73], off
	s_nop 0
	;; [unrolled: 7-line block ×18, first 2 shown]
	v_lshlrev_b64 v[6:7], 4, v[0:1]
	v_add_u32_e32 v0, s6, v0
	v_ashrrev_i32_e32 v1, 31, v0
	v_add_co_u32_e32 v6, vcc, v101, v6
	v_lshlrev_b64 v[0:1], 4, v[0:1]
	v_addc_co_u32_e32 v7, vcc, v102, v7, vcc
	v_add_co_u32_e32 v0, vcc, v101, v0
	v_addc_co_u32_e32 v1, vcc, v102, v1, vcc
	global_store_dwordx4 v[6:7], v[2:5], off
	global_store_dwordx4 v[0:1], v[82:85], off
.LBB42_463:
	s_endpgm
	.section	.rodata,"a",@progbits
	.p2align	6, 0x0
	.amdhsa_kernel _ZN9rocsolver6v33100L18getf2_small_kernelILi22E19rocblas_complex_numIdEiiPS3_EEvT1_T3_lS5_lPS5_llPT2_S5_S5_S7_l
		.amdhsa_group_segment_fixed_size 0
		.amdhsa_private_segment_fixed_size 0
		.amdhsa_kernarg_size 352
		.amdhsa_user_sgpr_count 6
		.amdhsa_user_sgpr_private_segment_buffer 1
		.amdhsa_user_sgpr_dispatch_ptr 0
		.amdhsa_user_sgpr_queue_ptr 0
		.amdhsa_user_sgpr_kernarg_segment_ptr 1
		.amdhsa_user_sgpr_dispatch_id 0
		.amdhsa_user_sgpr_flat_scratch_init 0
		.amdhsa_user_sgpr_private_segment_size 0
		.amdhsa_uses_dynamic_stack 0
		.amdhsa_system_sgpr_private_segment_wavefront_offset 0
		.amdhsa_system_sgpr_workgroup_id_x 1
		.amdhsa_system_sgpr_workgroup_id_y 1
		.amdhsa_system_sgpr_workgroup_id_z 0
		.amdhsa_system_sgpr_workgroup_info 0
		.amdhsa_system_vgpr_workitem_id 1
		.amdhsa_next_free_vgpr 122
		.amdhsa_next_free_sgpr 26
		.amdhsa_reserve_vcc 1
		.amdhsa_reserve_flat_scratch 0
		.amdhsa_float_round_mode_32 0
		.amdhsa_float_round_mode_16_64 0
		.amdhsa_float_denorm_mode_32 3
		.amdhsa_float_denorm_mode_16_64 3
		.amdhsa_dx10_clamp 1
		.amdhsa_ieee_mode 1
		.amdhsa_fp16_overflow 0
		.amdhsa_exception_fp_ieee_invalid_op 0
		.amdhsa_exception_fp_denorm_src 0
		.amdhsa_exception_fp_ieee_div_zero 0
		.amdhsa_exception_fp_ieee_overflow 0
		.amdhsa_exception_fp_ieee_underflow 0
		.amdhsa_exception_fp_ieee_inexact 0
		.amdhsa_exception_int_div_zero 0
	.end_amdhsa_kernel
	.section	.text._ZN9rocsolver6v33100L18getf2_small_kernelILi22E19rocblas_complex_numIdEiiPS3_EEvT1_T3_lS5_lPS5_llPT2_S5_S5_S7_l,"axG",@progbits,_ZN9rocsolver6v33100L18getf2_small_kernelILi22E19rocblas_complex_numIdEiiPS3_EEvT1_T3_lS5_lPS5_llPT2_S5_S5_S7_l,comdat
.Lfunc_end42:
	.size	_ZN9rocsolver6v33100L18getf2_small_kernelILi22E19rocblas_complex_numIdEiiPS3_EEvT1_T3_lS5_lPS5_llPT2_S5_S5_S7_l, .Lfunc_end42-_ZN9rocsolver6v33100L18getf2_small_kernelILi22E19rocblas_complex_numIdEiiPS3_EEvT1_T3_lS5_lPS5_llPT2_S5_S5_S7_l
                                        ; -- End function
	.set _ZN9rocsolver6v33100L18getf2_small_kernelILi22E19rocblas_complex_numIdEiiPS3_EEvT1_T3_lS5_lPS5_llPT2_S5_S5_S7_l.num_vgpr, 122
	.set _ZN9rocsolver6v33100L18getf2_small_kernelILi22E19rocblas_complex_numIdEiiPS3_EEvT1_T3_lS5_lPS5_llPT2_S5_S5_S7_l.num_agpr, 0
	.set _ZN9rocsolver6v33100L18getf2_small_kernelILi22E19rocblas_complex_numIdEiiPS3_EEvT1_T3_lS5_lPS5_llPT2_S5_S5_S7_l.numbered_sgpr, 26
	.set _ZN9rocsolver6v33100L18getf2_small_kernelILi22E19rocblas_complex_numIdEiiPS3_EEvT1_T3_lS5_lPS5_llPT2_S5_S5_S7_l.num_named_barrier, 0
	.set _ZN9rocsolver6v33100L18getf2_small_kernelILi22E19rocblas_complex_numIdEiiPS3_EEvT1_T3_lS5_lPS5_llPT2_S5_S5_S7_l.private_seg_size, 0
	.set _ZN9rocsolver6v33100L18getf2_small_kernelILi22E19rocblas_complex_numIdEiiPS3_EEvT1_T3_lS5_lPS5_llPT2_S5_S5_S7_l.uses_vcc, 1
	.set _ZN9rocsolver6v33100L18getf2_small_kernelILi22E19rocblas_complex_numIdEiiPS3_EEvT1_T3_lS5_lPS5_llPT2_S5_S5_S7_l.uses_flat_scratch, 0
	.set _ZN9rocsolver6v33100L18getf2_small_kernelILi22E19rocblas_complex_numIdEiiPS3_EEvT1_T3_lS5_lPS5_llPT2_S5_S5_S7_l.has_dyn_sized_stack, 0
	.set _ZN9rocsolver6v33100L18getf2_small_kernelILi22E19rocblas_complex_numIdEiiPS3_EEvT1_T3_lS5_lPS5_llPT2_S5_S5_S7_l.has_recursion, 0
	.set _ZN9rocsolver6v33100L18getf2_small_kernelILi22E19rocblas_complex_numIdEiiPS3_EEvT1_T3_lS5_lPS5_llPT2_S5_S5_S7_l.has_indirect_call, 0
	.section	.AMDGPU.csdata,"",@progbits
; Kernel info:
; codeLenInByte = 37340
; TotalNumSgprs: 30
; NumVgprs: 122
; ScratchSize: 0
; MemoryBound: 0
; FloatMode: 240
; IeeeMode: 1
; LDSByteSize: 0 bytes/workgroup (compile time only)
; SGPRBlocks: 3
; VGPRBlocks: 30
; NumSGPRsForWavesPerEU: 30
; NumVGPRsForWavesPerEU: 122
; Occupancy: 2
; WaveLimiterHint : 0
; COMPUTE_PGM_RSRC2:SCRATCH_EN: 0
; COMPUTE_PGM_RSRC2:USER_SGPR: 6
; COMPUTE_PGM_RSRC2:TRAP_HANDLER: 0
; COMPUTE_PGM_RSRC2:TGID_X_EN: 1
; COMPUTE_PGM_RSRC2:TGID_Y_EN: 1
; COMPUTE_PGM_RSRC2:TGID_Z_EN: 0
; COMPUTE_PGM_RSRC2:TIDIG_COMP_CNT: 1
	.section	.text._ZN9rocsolver6v33100L23getf2_npvt_small_kernelILi22E19rocblas_complex_numIdEiiPS3_EEvT1_T3_lS5_lPT2_S5_S5_,"axG",@progbits,_ZN9rocsolver6v33100L23getf2_npvt_small_kernelILi22E19rocblas_complex_numIdEiiPS3_EEvT1_T3_lS5_lPT2_S5_S5_,comdat
	.globl	_ZN9rocsolver6v33100L23getf2_npvt_small_kernelILi22E19rocblas_complex_numIdEiiPS3_EEvT1_T3_lS5_lPT2_S5_S5_ ; -- Begin function _ZN9rocsolver6v33100L23getf2_npvt_small_kernelILi22E19rocblas_complex_numIdEiiPS3_EEvT1_T3_lS5_lPT2_S5_S5_
	.p2align	8
	.type	_ZN9rocsolver6v33100L23getf2_npvt_small_kernelILi22E19rocblas_complex_numIdEiiPS3_EEvT1_T3_lS5_lPT2_S5_S5_,@function
_ZN9rocsolver6v33100L23getf2_npvt_small_kernelILi22E19rocblas_complex_numIdEiiPS3_EEvT1_T3_lS5_lPT2_S5_S5_: ; @_ZN9rocsolver6v33100L23getf2_npvt_small_kernelILi22E19rocblas_complex_numIdEiiPS3_EEvT1_T3_lS5_lPT2_S5_S5_
; %bb.0:
	s_mov_b64 s[22:23], s[2:3]
	s_mov_b64 s[20:21], s[0:1]
	s_load_dword s0, s[4:5], 0x44
	s_load_dwordx2 s[12:13], s[4:5], 0x30
	s_add_u32 s20, s20, s8
	s_addc_u32 s21, s21, 0
	s_waitcnt lgkmcnt(0)
	s_lshr_b32 s2, s0, 16
	s_mul_i32 s7, s7, s2
	v_add_u32_e32 v2, s7, v1
	v_cmp_gt_i32_e32 vcc, s12, v2
	s_and_saveexec_b64 s[0:1], vcc
	s_cbranch_execz .LBB43_201
; %bb.1:
	s_load_dwordx4 s[8:11], s[4:5], 0x20
	s_load_dwordx4 s[16:19], s[4:5], 0x8
	v_ashrrev_i32_e32 v3, 31, v2
	s_mulk_i32 s2, 0x160
	s_waitcnt lgkmcnt(0)
	v_mul_lo_u32 v4, s9, v2
	v_mul_lo_u32 v5, s8, v3
	buffer_store_dword v2, off, s[20:23], 0 offset:432 ; 4-byte Folded Spill
	s_nop 0
	buffer_store_dword v3, off, s[20:23], 0 offset:436 ; 4-byte Folded Spill
	v_mov_b32_e32 v6, s17
	v_mad_u64_u32 v[2:3], s[0:1], s8, v2, 0
	s_load_dword s0, s[4:5], 0x18
	s_lshl_b64 s[4:5], s[18:19], 4
	v_add3_u32 v3, v3, v5, v4
	v_lshlrev_b64 v[2:3], 4, v[2:3]
	v_mov_b32_e32 v4, s5
	v_add_co_u32_e32 v2, vcc, s16, v2
	v_addc_co_u32_e32 v3, vcc, v6, v3, vcc
	v_add_co_u32_e32 v2, vcc, s4, v2
	s_waitcnt lgkmcnt(0)
	s_add_i32 s1, s0, s0
	v_addc_co_u32_e32 v3, vcc, v3, v4, vcc
	v_add_u32_e32 v4, s1, v0
	v_ashrrev_i32_e32 v5, 31, v4
	v_lshlrev_b64 v[5:6], 4, v[4:5]
	v_add_u32_e32 v4, s0, v4
	v_add_co_u32_e32 v23, vcc, v2, v5
	v_ashrrev_i32_e32 v5, 31, v4
	v_addc_co_u32_e32 v24, vcc, v3, v6, vcc
	v_lshlrev_b64 v[5:6], 4, v[4:5]
	v_add_u32_e32 v4, s0, v4
	v_add_co_u32_e32 v25, vcc, v2, v5
	v_ashrrev_i32_e32 v5, 31, v4
	v_addc_co_u32_e32 v26, vcc, v3, v6, vcc
	;; [unrolled: 5-line block ×18, first 2 shown]
	v_lshlrev_b64 v[5:6], 4, v[4:5]
	v_add_u32_e32 v4, s0, v4
	v_add_co_u32_e32 v79, vcc, v2, v5
	v_ashrrev_i32_e32 v5, 31, v4
	v_lshlrev_b64 v[4:5], 4, v[4:5]
	v_addc_co_u32_e32 v80, vcc, v3, v6, vcc
	v_add_co_u32_e32 v81, vcc, v2, v4
	v_addc_co_u32_e32 v82, vcc, v3, v5, vcc
	v_lshlrev_b32_e32 v4, 4, v0
	v_add_co_u32_e32 v4, vcc, v2, v4
	s_ashr_i32 s1, s0, 31
	v_addc_co_u32_e32 v5, vcc, 0, v3, vcc
	s_lshl_b64 s[0:1], s[0:1], 4
	v_mov_b32_e32 v2, s1
	v_add_co_u32_e32 v21, vcc, s0, v4
	v_addc_co_u32_e32 v22, vcc, v5, v2, vcc
	buffer_store_dword v4, off, s[20:23], 0 offset:96 ; 4-byte Folded Spill
	s_nop 0
	buffer_store_dword v5, off, s[20:23], 0 offset:100 ; 4-byte Folded Spill
	s_movk_i32 s0, 0x160
	s_add_i32 s1, s2, 0
	v_mad_u32_u24 v125, v1, s0, 0
	v_lshl_add_u32 v127, v1, 4, s1
	v_cmp_ne_u32_e64 s[2:3], 0, v0
	v_cmp_eq_u32_e64 s[0:1], 0, v0
	global_load_dwordx4 v[121:124], v[4:5], off
	s_nop 0
	buffer_store_dword v21, off, s[20:23], 0 offset:104 ; 4-byte Folded Spill
	s_nop 0
	buffer_store_dword v22, off, s[20:23], 0 offset:108 ; 4-byte Folded Spill
	global_load_dwordx4 v[117:120], v[21:22], off
	s_nop 0
	buffer_store_dword v23, off, s[20:23], 0 offset:408 ; 4-byte Folded Spill
	s_nop 0
	buffer_store_dword v24, off, s[20:23], 0 offset:412 ; 4-byte Folded Spill
	;; [unrolled: 5-line block ×3, first 2 shown]
	global_load_dwordx4 v[69:72], v[25:26], off
	global_load_dwordx4 v[61:64], v[107:108], off
	s_nop 0
	buffer_store_dword v7, off, s[20:23], 0 ; 4-byte Folded Spill
	s_nop 0
	buffer_store_dword v8, off, s[20:23], 0 offset:4 ; 4-byte Folded Spill
	global_load_dwordx4 v[57:60], v[7:8], off
	s_nop 0
	buffer_store_dword v27, off, s[20:23], 0 offset:416 ; 4-byte Folded Spill
	s_nop 0
	buffer_store_dword v28, off, s[20:23], 0 offset:420 ; 4-byte Folded Spill
	global_load_dwordx4 v[89:92], v[27:28], off
	s_nop 0
	buffer_store_dword v29, off, s[20:23], 0 offset:424 ; 4-byte Folded Spill
	s_nop 0
	buffer_store_dword v30, off, s[20:23], 0 offset:428 ; 4-byte Folded Spill
	global_load_dwordx4 v[53:56], v[29:30], off
	global_load_dwordx4 v[49:52], v[83:84], off
	;; [unrolled: 1-line block ×4, first 2 shown]
	s_nop 0
	buffer_store_dword v9, off, s[20:23], 0 offset:8 ; 4-byte Folded Spill
	s_nop 0
	buffer_store_dword v10, off, s[20:23], 0 offset:12 ; 4-byte Folded Spill
	global_load_dwordx4 v[37:40], v[9:10], off
	s_nop 0
	buffer_store_dword v11, off, s[20:23], 0 offset:16 ; 4-byte Folded Spill
	s_nop 0
	buffer_store_dword v12, off, s[20:23], 0 offset:20 ; 4-byte Folded Spill
	global_load_dwordx4 v[33:36], v[11:12], off
	;; [unrolled: 5-line block ×10, first 2 shown]
	s_nop 0
	buffer_store_dword v81, off, s[20:23], 0 offset:88 ; 4-byte Folded Spill
	s_nop 0
	buffer_store_dword v82, off, s[20:23], 0 offset:92 ; 4-byte Folded Spill
	s_waitcnt vmcnt(48)
	v_mov_b32_e32 v80, v76
	v_mov_b32_e32 v79, v75
	v_mov_b32_e32 v78, v74
	v_mov_b32_e32 v77, v73
	s_waitcnt vmcnt(45)
	v_mov_b32_e32 v76, v72
	v_mov_b32_e32 v75, v71
	v_mov_b32_e32 v74, v70
	v_mov_b32_e32 v73, v69
	;; [unrolled: 5-line block ×5, first 2 shown]
	global_load_dwordx4 v[109:112], v[81:82], off
	s_and_saveexec_b64 s[6:7], s[0:1]
	s_cbranch_execz .LBB43_8
; %bb.2:
	ds_write2_b64 v127, v[121:122], v[123:124] offset1:1
	ds_write2_b64 v125, v[117:118], v[119:120] offset0:2 offset1:3
	ds_write2_b64 v125, v[77:78], v[79:80] offset0:4 offset1:5
	;; [unrolled: 1-line block ×6, first 2 shown]
	s_waitcnt vmcnt(36)
	ds_write2_b64 v125, v[53:54], v[55:56] offset0:14 offset1:15
	s_waitcnt vmcnt(35)
	ds_write2_b64 v125, v[49:50], v[51:52] offset0:16 offset1:17
	;; [unrolled: 2-line block ×15, first 2 shown]
	ds_read2_b64 v[89:92], v127 offset1:1
	s_waitcnt lgkmcnt(0)
	v_cmp_neq_f64_e32 vcc, 0, v[89:90]
	v_cmp_neq_f64_e64 s[4:5], 0, v[91:92]
	s_or_b64 s[4:5], vcc, s[4:5]
	s_and_b64 exec, exec, s[4:5]
	s_cbranch_execz .LBB43_8
; %bb.3:
	v_cmp_ngt_f64_e64 s[4:5], |v[89:90]|, |v[91:92]|
                                        ; implicit-def: $vgpr93_vgpr94
	s_and_saveexec_b64 s[8:9], s[4:5]
	s_xor_b64 s[4:5], exec, s[8:9]
                                        ; implicit-def: $vgpr95_vgpr96
	s_cbranch_execz .LBB43_5
; %bb.4:
	v_div_scale_f64 v[93:94], s[8:9], v[91:92], v[91:92], v[89:90]
	v_rcp_f64_e32 v[95:96], v[93:94]
	v_fma_f64 v[97:98], -v[93:94], v[95:96], 1.0
	v_fma_f64 v[95:96], v[95:96], v[97:98], v[95:96]
	v_div_scale_f64 v[97:98], vcc, v[89:90], v[91:92], v[89:90]
	v_fma_f64 v[99:100], -v[93:94], v[95:96], 1.0
	v_fma_f64 v[95:96], v[95:96], v[99:100], v[95:96]
	v_mul_f64 v[99:100], v[97:98], v[95:96]
	v_fma_f64 v[93:94], -v[93:94], v[99:100], v[97:98]
	v_div_fmas_f64 v[93:94], v[93:94], v[95:96], v[99:100]
	v_div_fixup_f64 v[93:94], v[93:94], v[91:92], v[89:90]
	v_fma_f64 v[89:90], v[89:90], v[93:94], v[91:92]
	v_div_scale_f64 v[91:92], s[8:9], v[89:90], v[89:90], 1.0
	v_div_scale_f64 v[99:100], vcc, 1.0, v[89:90], 1.0
	v_rcp_f64_e32 v[95:96], v[91:92]
	v_fma_f64 v[97:98], -v[91:92], v[95:96], 1.0
	v_fma_f64 v[95:96], v[95:96], v[97:98], v[95:96]
	v_fma_f64 v[97:98], -v[91:92], v[95:96], 1.0
	v_fma_f64 v[95:96], v[95:96], v[97:98], v[95:96]
	v_mul_f64 v[97:98], v[99:100], v[95:96]
	v_fma_f64 v[91:92], -v[91:92], v[97:98], v[99:100]
	v_div_fmas_f64 v[91:92], v[91:92], v[95:96], v[97:98]
	v_div_fixup_f64 v[95:96], v[91:92], v[89:90], 1.0
                                        ; implicit-def: $vgpr89_vgpr90
	v_mul_f64 v[93:94], v[93:94], v[95:96]
	v_xor_b32_e32 v96, 0x80000000, v96
.LBB43_5:
	s_andn2_saveexec_b64 s[4:5], s[4:5]
	s_cbranch_execz .LBB43_7
; %bb.6:
	v_div_scale_f64 v[93:94], s[8:9], v[89:90], v[89:90], v[91:92]
	v_rcp_f64_e32 v[95:96], v[93:94]
	v_fma_f64 v[97:98], -v[93:94], v[95:96], 1.0
	v_fma_f64 v[95:96], v[95:96], v[97:98], v[95:96]
	v_div_scale_f64 v[97:98], vcc, v[91:92], v[89:90], v[91:92]
	v_fma_f64 v[99:100], -v[93:94], v[95:96], 1.0
	v_fma_f64 v[95:96], v[95:96], v[99:100], v[95:96]
	v_mul_f64 v[99:100], v[97:98], v[95:96]
	v_fma_f64 v[93:94], -v[93:94], v[99:100], v[97:98]
	v_div_fmas_f64 v[93:94], v[93:94], v[95:96], v[99:100]
	v_div_fixup_f64 v[95:96], v[93:94], v[89:90], v[91:92]
	v_fma_f64 v[89:90], v[91:92], v[95:96], v[89:90]
	v_div_scale_f64 v[91:92], s[8:9], v[89:90], v[89:90], 1.0
	v_div_scale_f64 v[99:100], vcc, 1.0, v[89:90], 1.0
	v_rcp_f64_e32 v[93:94], v[91:92]
	v_fma_f64 v[97:98], -v[91:92], v[93:94], 1.0
	v_fma_f64 v[93:94], v[93:94], v[97:98], v[93:94]
	v_fma_f64 v[97:98], -v[91:92], v[93:94], 1.0
	v_fma_f64 v[93:94], v[93:94], v[97:98], v[93:94]
	v_mul_f64 v[97:98], v[99:100], v[93:94]
	v_fma_f64 v[91:92], -v[91:92], v[97:98], v[99:100]
	v_div_fmas_f64 v[91:92], v[91:92], v[93:94], v[97:98]
	v_div_fixup_f64 v[93:94], v[91:92], v[89:90], 1.0
	v_mul_f64 v[95:96], v[95:96], -v[93:94]
.LBB43_7:
	s_or_b64 exec, exec, s[4:5]
	ds_write2_b64 v127, v[93:94], v[95:96] offset1:1
.LBB43_8:
	s_or_b64 exec, exec, s[6:7]
	s_waitcnt vmcnt(0) lgkmcnt(0)
	s_barrier
	ds_read2_b64 v[89:92], v127 offset1:1
	s_waitcnt lgkmcnt(0)
	buffer_store_dword v89, off, s[20:23], 0 offset:112 ; 4-byte Folded Spill
	s_nop 0
	buffer_store_dword v90, off, s[20:23], 0 offset:116 ; 4-byte Folded Spill
	buffer_store_dword v91, off, s[20:23], 0 offset:120 ; 4-byte Folded Spill
	;; [unrolled: 1-line block ×3, first 2 shown]
	s_and_saveexec_b64 s[4:5], s[2:3]
	s_cbranch_execz .LBB43_10
; %bb.9:
	buffer_load_dword v91, off, s[20:23], 0 offset:112 ; 4-byte Folded Reload
	buffer_load_dword v92, off, s[20:23], 0 offset:116 ; 4-byte Folded Reload
	;; [unrolled: 1-line block ×4, first 2 shown]
	s_waitcnt vmcnt(2)
	v_mul_f64 v[87:88], v[91:92], v[123:124]
	s_waitcnt vmcnt(0)
	v_mul_f64 v[89:90], v[93:94], v[123:124]
	v_fma_f64 v[123:124], v[93:94], v[121:122], v[87:88]
	v_fma_f64 v[89:90], v[91:92], v[121:122], -v[89:90]
	ds_read2_b64 v[91:94], v125 offset0:2 offset1:3
	s_waitcnt lgkmcnt(0)
	v_mul_f64 v[85:86], v[93:94], v[123:124]
	v_mov_b32_e32 v122, v90
	v_mov_b32_e32 v121, v89
	v_fma_f64 v[85:86], v[91:92], v[89:90], -v[85:86]
	v_mul_f64 v[91:92], v[91:92], v[123:124]
	v_add_f64 v[117:118], v[117:118], -v[85:86]
	v_fma_f64 v[91:92], v[93:94], v[89:90], v[91:92]
	v_add_f64 v[119:120], v[119:120], -v[91:92]
	ds_read2_b64 v[91:94], v125 offset0:4 offset1:5
	s_waitcnt lgkmcnt(0)
	v_mul_f64 v[85:86], v[93:94], v[123:124]
	v_fma_f64 v[85:86], v[91:92], v[89:90], -v[85:86]
	v_mul_f64 v[91:92], v[91:92], v[123:124]
	v_add_f64 v[77:78], v[77:78], -v[85:86]
	v_fma_f64 v[91:92], v[93:94], v[89:90], v[91:92]
	v_add_f64 v[79:80], v[79:80], -v[91:92]
	ds_read2_b64 v[91:94], v125 offset0:6 offset1:7
	s_waitcnt lgkmcnt(0)
	v_mul_f64 v[85:86], v[93:94], v[123:124]
	;; [unrolled: 8-line block ×20, first 2 shown]
	v_fma_f64 v[85:86], v[91:92], v[89:90], -v[85:86]
	v_mul_f64 v[91:92], v[91:92], v[123:124]
	v_add_f64 v[109:110], v[109:110], -v[85:86]
	v_fma_f64 v[91:92], v[93:94], v[89:90], v[91:92]
	v_add_f64 v[111:112], v[111:112], -v[91:92]
.LBB43_10:
	s_or_b64 exec, exec, s[4:5]
	v_cmp_eq_u32_e32 vcc, 1, v0
	s_waitcnt vmcnt(0)
	s_barrier
	s_and_saveexec_b64 s[4:5], vcc
	s_cbranch_execz .LBB43_17
; %bb.11:
	ds_write2_b64 v127, v[117:118], v[119:120] offset1:1
	ds_write2_b64 v125, v[77:78], v[79:80] offset0:4 offset1:5
	ds_write2_b64 v125, v[73:74], v[75:76] offset0:6 offset1:7
	;; [unrolled: 1-line block ×20, first 2 shown]
	ds_read2_b64 v[89:92], v127 offset1:1
	s_waitcnt lgkmcnt(0)
	v_cmp_neq_f64_e32 vcc, 0, v[89:90]
	v_cmp_neq_f64_e64 s[2:3], 0, v[91:92]
	s_or_b64 s[2:3], vcc, s[2:3]
	s_and_b64 exec, exec, s[2:3]
	s_cbranch_execz .LBB43_17
; %bb.12:
	v_cmp_ngt_f64_e64 s[2:3], |v[89:90]|, |v[91:92]|
                                        ; implicit-def: $vgpr93_vgpr94
	s_and_saveexec_b64 s[6:7], s[2:3]
	s_xor_b64 s[2:3], exec, s[6:7]
                                        ; implicit-def: $vgpr95_vgpr96
	s_cbranch_execz .LBB43_14
; %bb.13:
	v_div_scale_f64 v[93:94], s[6:7], v[91:92], v[91:92], v[89:90]
	v_rcp_f64_e32 v[95:96], v[93:94]
	v_fma_f64 v[97:98], -v[93:94], v[95:96], 1.0
	v_fma_f64 v[95:96], v[95:96], v[97:98], v[95:96]
	v_div_scale_f64 v[97:98], vcc, v[89:90], v[91:92], v[89:90]
	v_fma_f64 v[99:100], -v[93:94], v[95:96], 1.0
	v_fma_f64 v[95:96], v[95:96], v[99:100], v[95:96]
	v_mul_f64 v[99:100], v[97:98], v[95:96]
	v_fma_f64 v[93:94], -v[93:94], v[99:100], v[97:98]
	v_div_fmas_f64 v[93:94], v[93:94], v[95:96], v[99:100]
	v_div_fixup_f64 v[93:94], v[93:94], v[91:92], v[89:90]
	v_fma_f64 v[89:90], v[89:90], v[93:94], v[91:92]
	v_div_scale_f64 v[91:92], s[6:7], v[89:90], v[89:90], 1.0
	v_div_scale_f64 v[99:100], vcc, 1.0, v[89:90], 1.0
	v_rcp_f64_e32 v[95:96], v[91:92]
	v_fma_f64 v[97:98], -v[91:92], v[95:96], 1.0
	v_fma_f64 v[95:96], v[95:96], v[97:98], v[95:96]
	v_fma_f64 v[97:98], -v[91:92], v[95:96], 1.0
	v_fma_f64 v[95:96], v[95:96], v[97:98], v[95:96]
	v_mul_f64 v[97:98], v[99:100], v[95:96]
	v_fma_f64 v[91:92], -v[91:92], v[97:98], v[99:100]
	v_div_fmas_f64 v[91:92], v[91:92], v[95:96], v[97:98]
	v_div_fixup_f64 v[95:96], v[91:92], v[89:90], 1.0
                                        ; implicit-def: $vgpr89_vgpr90
	v_mul_f64 v[93:94], v[93:94], v[95:96]
	v_xor_b32_e32 v96, 0x80000000, v96
.LBB43_14:
	s_andn2_saveexec_b64 s[2:3], s[2:3]
	s_cbranch_execz .LBB43_16
; %bb.15:
	v_div_scale_f64 v[93:94], s[6:7], v[89:90], v[89:90], v[91:92]
	v_rcp_f64_e32 v[95:96], v[93:94]
	v_fma_f64 v[97:98], -v[93:94], v[95:96], 1.0
	v_fma_f64 v[95:96], v[95:96], v[97:98], v[95:96]
	v_div_scale_f64 v[97:98], vcc, v[91:92], v[89:90], v[91:92]
	v_fma_f64 v[99:100], -v[93:94], v[95:96], 1.0
	v_fma_f64 v[95:96], v[95:96], v[99:100], v[95:96]
	v_mul_f64 v[99:100], v[97:98], v[95:96]
	v_fma_f64 v[93:94], -v[93:94], v[99:100], v[97:98]
	v_div_fmas_f64 v[93:94], v[93:94], v[95:96], v[99:100]
	v_div_fixup_f64 v[95:96], v[93:94], v[89:90], v[91:92]
	v_fma_f64 v[89:90], v[91:92], v[95:96], v[89:90]
	v_div_scale_f64 v[91:92], s[6:7], v[89:90], v[89:90], 1.0
	v_div_scale_f64 v[99:100], vcc, 1.0, v[89:90], 1.0
	v_rcp_f64_e32 v[93:94], v[91:92]
	v_fma_f64 v[97:98], -v[91:92], v[93:94], 1.0
	v_fma_f64 v[93:94], v[93:94], v[97:98], v[93:94]
	v_fma_f64 v[97:98], -v[91:92], v[93:94], 1.0
	v_fma_f64 v[93:94], v[93:94], v[97:98], v[93:94]
	v_mul_f64 v[97:98], v[99:100], v[93:94]
	v_fma_f64 v[91:92], -v[91:92], v[97:98], v[99:100]
	v_div_fmas_f64 v[91:92], v[91:92], v[93:94], v[97:98]
	v_div_fixup_f64 v[93:94], v[91:92], v[89:90], 1.0
	v_mul_f64 v[95:96], v[95:96], -v[93:94]
.LBB43_16:
	s_or_b64 exec, exec, s[2:3]
	ds_write2_b64 v127, v[93:94], v[95:96] offset1:1
.LBB43_17:
	s_or_b64 exec, exec, s[4:5]
	s_waitcnt lgkmcnt(0)
	s_barrier
	ds_read2_b64 v[89:92], v127 offset1:1
	v_cmp_lt_u32_e32 vcc, 1, v0
	s_waitcnt lgkmcnt(0)
	buffer_store_dword v89, off, s[20:23], 0 offset:128 ; 4-byte Folded Spill
	s_nop 0
	buffer_store_dword v90, off, s[20:23], 0 offset:132 ; 4-byte Folded Spill
	buffer_store_dword v91, off, s[20:23], 0 offset:136 ; 4-byte Folded Spill
	;; [unrolled: 1-line block ×3, first 2 shown]
	s_and_saveexec_b64 s[2:3], vcc
	s_cbranch_execz .LBB43_19
; %bb.18:
	buffer_load_dword v91, off, s[20:23], 0 offset:128 ; 4-byte Folded Reload
	buffer_load_dword v92, off, s[20:23], 0 offset:132 ; 4-byte Folded Reload
	;; [unrolled: 1-line block ×4, first 2 shown]
	v_mov_b32_e32 v81, v83
	v_mov_b32_e32 v82, v84
	s_waitcnt vmcnt(2)
	v_mul_f64 v[83:84], v[91:92], v[119:120]
	s_waitcnt vmcnt(0)
	v_mul_f64 v[89:90], v[93:94], v[119:120]
	v_fma_f64 v[119:120], v[93:94], v[117:118], v[83:84]
	v_mov_b32_e32 v84, v82
	v_fma_f64 v[89:90], v[91:92], v[117:118], -v[89:90]
	ds_read2_b64 v[91:94], v125 offset0:4 offset1:5
	v_mov_b32_e32 v83, v81
	s_waitcnt lgkmcnt(0)
	v_mul_f64 v[81:82], v[93:94], v[119:120]
	v_mov_b32_e32 v118, v90
	v_mov_b32_e32 v117, v89
	v_fma_f64 v[81:82], v[91:92], v[89:90], -v[81:82]
	v_mul_f64 v[91:92], v[91:92], v[119:120]
	v_add_f64 v[77:78], v[77:78], -v[81:82]
	v_fma_f64 v[91:92], v[93:94], v[89:90], v[91:92]
	v_add_f64 v[79:80], v[79:80], -v[91:92]
	ds_read2_b64 v[91:94], v125 offset0:6 offset1:7
	s_waitcnt lgkmcnt(0)
	v_mul_f64 v[81:82], v[93:94], v[119:120]
	v_fma_f64 v[81:82], v[91:92], v[89:90], -v[81:82]
	v_mul_f64 v[91:92], v[91:92], v[119:120]
	v_add_f64 v[73:74], v[73:74], -v[81:82]
	v_fma_f64 v[91:92], v[93:94], v[89:90], v[91:92]
	v_add_f64 v[75:76], v[75:76], -v[91:92]
	ds_read2_b64 v[91:94], v125 offset0:8 offset1:9
	s_waitcnt lgkmcnt(0)
	v_mul_f64 v[81:82], v[93:94], v[119:120]
	;; [unrolled: 8-line block ×19, first 2 shown]
	v_fma_f64 v[81:82], v[91:92], v[89:90], -v[81:82]
	v_mul_f64 v[91:92], v[91:92], v[119:120]
	v_add_f64 v[109:110], v[109:110], -v[81:82]
	v_fma_f64 v[91:92], v[93:94], v[89:90], v[91:92]
	v_add_f64 v[111:112], v[111:112], -v[91:92]
.LBB43_19:
	s_or_b64 exec, exec, s[2:3]
	v_cmp_eq_u32_e32 vcc, 2, v0
	s_waitcnt vmcnt(0)
	s_barrier
	s_and_saveexec_b64 s[4:5], vcc
	s_cbranch_execz .LBB43_26
; %bb.20:
	ds_write2_b64 v127, v[77:78], v[79:80] offset1:1
	ds_write2_b64 v125, v[73:74], v[75:76] offset0:6 offset1:7
	ds_write2_b64 v125, v[69:70], v[71:72] offset0:8 offset1:9
	;; [unrolled: 1-line block ×19, first 2 shown]
	ds_read2_b64 v[89:92], v127 offset1:1
	s_waitcnt lgkmcnt(0)
	v_cmp_neq_f64_e32 vcc, 0, v[89:90]
	v_cmp_neq_f64_e64 s[2:3], 0, v[91:92]
	s_or_b64 s[2:3], vcc, s[2:3]
	s_and_b64 exec, exec, s[2:3]
	s_cbranch_execz .LBB43_26
; %bb.21:
	v_cmp_ngt_f64_e64 s[2:3], |v[89:90]|, |v[91:92]|
                                        ; implicit-def: $vgpr93_vgpr94
	s_and_saveexec_b64 s[6:7], s[2:3]
	s_xor_b64 s[2:3], exec, s[6:7]
                                        ; implicit-def: $vgpr95_vgpr96
	s_cbranch_execz .LBB43_23
; %bb.22:
	v_div_scale_f64 v[93:94], s[6:7], v[91:92], v[91:92], v[89:90]
	v_rcp_f64_e32 v[95:96], v[93:94]
	v_fma_f64 v[97:98], -v[93:94], v[95:96], 1.0
	v_fma_f64 v[95:96], v[95:96], v[97:98], v[95:96]
	v_div_scale_f64 v[97:98], vcc, v[89:90], v[91:92], v[89:90]
	v_fma_f64 v[99:100], -v[93:94], v[95:96], 1.0
	v_fma_f64 v[95:96], v[95:96], v[99:100], v[95:96]
	v_mul_f64 v[99:100], v[97:98], v[95:96]
	v_fma_f64 v[93:94], -v[93:94], v[99:100], v[97:98]
	v_div_fmas_f64 v[93:94], v[93:94], v[95:96], v[99:100]
	v_div_fixup_f64 v[93:94], v[93:94], v[91:92], v[89:90]
	v_fma_f64 v[89:90], v[89:90], v[93:94], v[91:92]
	v_div_scale_f64 v[91:92], s[6:7], v[89:90], v[89:90], 1.0
	v_div_scale_f64 v[99:100], vcc, 1.0, v[89:90], 1.0
	v_rcp_f64_e32 v[95:96], v[91:92]
	v_fma_f64 v[97:98], -v[91:92], v[95:96], 1.0
	v_fma_f64 v[95:96], v[95:96], v[97:98], v[95:96]
	v_fma_f64 v[97:98], -v[91:92], v[95:96], 1.0
	v_fma_f64 v[95:96], v[95:96], v[97:98], v[95:96]
	v_mul_f64 v[97:98], v[99:100], v[95:96]
	v_fma_f64 v[91:92], -v[91:92], v[97:98], v[99:100]
	v_div_fmas_f64 v[91:92], v[91:92], v[95:96], v[97:98]
	v_div_fixup_f64 v[95:96], v[91:92], v[89:90], 1.0
                                        ; implicit-def: $vgpr89_vgpr90
	v_mul_f64 v[93:94], v[93:94], v[95:96]
	v_xor_b32_e32 v96, 0x80000000, v96
.LBB43_23:
	s_andn2_saveexec_b64 s[2:3], s[2:3]
	s_cbranch_execz .LBB43_25
; %bb.24:
	v_div_scale_f64 v[93:94], s[6:7], v[89:90], v[89:90], v[91:92]
	v_rcp_f64_e32 v[95:96], v[93:94]
	v_fma_f64 v[97:98], -v[93:94], v[95:96], 1.0
	v_fma_f64 v[95:96], v[95:96], v[97:98], v[95:96]
	v_div_scale_f64 v[97:98], vcc, v[91:92], v[89:90], v[91:92]
	v_fma_f64 v[99:100], -v[93:94], v[95:96], 1.0
	v_fma_f64 v[95:96], v[95:96], v[99:100], v[95:96]
	v_mul_f64 v[99:100], v[97:98], v[95:96]
	v_fma_f64 v[93:94], -v[93:94], v[99:100], v[97:98]
	v_div_fmas_f64 v[93:94], v[93:94], v[95:96], v[99:100]
	v_div_fixup_f64 v[95:96], v[93:94], v[89:90], v[91:92]
	v_fma_f64 v[89:90], v[91:92], v[95:96], v[89:90]
	v_div_scale_f64 v[91:92], s[6:7], v[89:90], v[89:90], 1.0
	v_div_scale_f64 v[99:100], vcc, 1.0, v[89:90], 1.0
	v_rcp_f64_e32 v[93:94], v[91:92]
	v_fma_f64 v[97:98], -v[91:92], v[93:94], 1.0
	v_fma_f64 v[93:94], v[93:94], v[97:98], v[93:94]
	v_fma_f64 v[97:98], -v[91:92], v[93:94], 1.0
	v_fma_f64 v[93:94], v[93:94], v[97:98], v[93:94]
	v_mul_f64 v[97:98], v[99:100], v[93:94]
	v_fma_f64 v[91:92], -v[91:92], v[97:98], v[99:100]
	v_div_fmas_f64 v[91:92], v[91:92], v[93:94], v[97:98]
	v_div_fixup_f64 v[93:94], v[91:92], v[89:90], 1.0
	v_mul_f64 v[95:96], v[95:96], -v[93:94]
.LBB43_25:
	s_or_b64 exec, exec, s[2:3]
	ds_write2_b64 v127, v[93:94], v[95:96] offset1:1
.LBB43_26:
	s_or_b64 exec, exec, s[4:5]
	s_waitcnt lgkmcnt(0)
	s_barrier
	ds_read2_b64 v[89:92], v127 offset1:1
	v_cmp_lt_u32_e32 vcc, 2, v0
	s_waitcnt lgkmcnt(0)
	buffer_store_dword v89, off, s[20:23], 0 offset:144 ; 4-byte Folded Spill
	s_nop 0
	buffer_store_dword v90, off, s[20:23], 0 offset:148 ; 4-byte Folded Spill
	buffer_store_dword v91, off, s[20:23], 0 offset:152 ; 4-byte Folded Spill
	;; [unrolled: 1-line block ×3, first 2 shown]
	s_and_saveexec_b64 s[2:3], vcc
	s_cbranch_execz .LBB43_28
; %bb.27:
	buffer_load_dword v91, off, s[20:23], 0 offset:144 ; 4-byte Folded Reload
	buffer_load_dword v92, off, s[20:23], 0 offset:148 ; 4-byte Folded Reload
	;; [unrolled: 1-line block ×4, first 2 shown]
	s_waitcnt vmcnt(0)
	v_mul_f64 v[89:90], v[93:94], v[79:80]
	v_mul_f64 v[79:80], v[91:92], v[79:80]
	v_fma_f64 v[89:90], v[91:92], v[77:78], -v[89:90]
	v_fma_f64 v[79:80], v[93:94], v[77:78], v[79:80]
	ds_read2_b64 v[91:94], v125 offset0:6 offset1:7
	s_waitcnt lgkmcnt(0)
	v_mul_f64 v[77:78], v[93:94], v[79:80]
	v_fma_f64 v[77:78], v[91:92], v[89:90], -v[77:78]
	v_mul_f64 v[91:92], v[91:92], v[79:80]
	v_add_f64 v[73:74], v[73:74], -v[77:78]
	v_fma_f64 v[91:92], v[93:94], v[89:90], v[91:92]
	v_add_f64 v[75:76], v[75:76], -v[91:92]
	ds_read2_b64 v[91:94], v125 offset0:8 offset1:9
	s_waitcnt lgkmcnt(0)
	v_mul_f64 v[77:78], v[93:94], v[79:80]
	v_fma_f64 v[77:78], v[91:92], v[89:90], -v[77:78]
	v_mul_f64 v[91:92], v[91:92], v[79:80]
	v_add_f64 v[69:70], v[69:70], -v[77:78]
	v_fma_f64 v[91:92], v[93:94], v[89:90], v[91:92]
	v_add_f64 v[71:72], v[71:72], -v[91:92]
	;; [unrolled: 8-line block ×18, first 2 shown]
	ds_read2_b64 v[91:94], v125 offset0:42 offset1:43
	s_waitcnt lgkmcnt(0)
	v_mul_f64 v[77:78], v[93:94], v[79:80]
	v_fma_f64 v[77:78], v[91:92], v[89:90], -v[77:78]
	v_mul_f64 v[91:92], v[91:92], v[79:80]
	v_add_f64 v[109:110], v[109:110], -v[77:78]
	v_fma_f64 v[91:92], v[93:94], v[89:90], v[91:92]
	v_mov_b32_e32 v77, v89
	v_mov_b32_e32 v78, v90
	v_add_f64 v[111:112], v[111:112], -v[91:92]
.LBB43_28:
	s_or_b64 exec, exec, s[2:3]
	v_cmp_eq_u32_e32 vcc, 3, v0
	s_waitcnt vmcnt(0)
	s_barrier
	s_and_saveexec_b64 s[4:5], vcc
	s_cbranch_execz .LBB43_35
; %bb.29:
	ds_write2_b64 v127, v[73:74], v[75:76] offset1:1
	ds_write2_b64 v125, v[69:70], v[71:72] offset0:8 offset1:9
	ds_write2_b64 v125, v[61:62], v[63:64] offset0:10 offset1:11
	;; [unrolled: 1-line block ×18, first 2 shown]
	ds_read2_b64 v[89:92], v127 offset1:1
	s_waitcnt lgkmcnt(0)
	v_cmp_neq_f64_e32 vcc, 0, v[89:90]
	v_cmp_neq_f64_e64 s[2:3], 0, v[91:92]
	s_or_b64 s[2:3], vcc, s[2:3]
	s_and_b64 exec, exec, s[2:3]
	s_cbranch_execz .LBB43_35
; %bb.30:
	v_cmp_ngt_f64_e64 s[2:3], |v[89:90]|, |v[91:92]|
                                        ; implicit-def: $vgpr93_vgpr94
	s_and_saveexec_b64 s[6:7], s[2:3]
	s_xor_b64 s[2:3], exec, s[6:7]
                                        ; implicit-def: $vgpr95_vgpr96
	s_cbranch_execz .LBB43_32
; %bb.31:
	v_div_scale_f64 v[93:94], s[6:7], v[91:92], v[91:92], v[89:90]
	v_rcp_f64_e32 v[95:96], v[93:94]
	v_fma_f64 v[97:98], -v[93:94], v[95:96], 1.0
	v_fma_f64 v[95:96], v[95:96], v[97:98], v[95:96]
	v_div_scale_f64 v[97:98], vcc, v[89:90], v[91:92], v[89:90]
	v_fma_f64 v[99:100], -v[93:94], v[95:96], 1.0
	v_fma_f64 v[95:96], v[95:96], v[99:100], v[95:96]
	v_mul_f64 v[99:100], v[97:98], v[95:96]
	v_fma_f64 v[93:94], -v[93:94], v[99:100], v[97:98]
	v_div_fmas_f64 v[93:94], v[93:94], v[95:96], v[99:100]
	v_div_fixup_f64 v[93:94], v[93:94], v[91:92], v[89:90]
	v_fma_f64 v[89:90], v[89:90], v[93:94], v[91:92]
	v_div_scale_f64 v[91:92], s[6:7], v[89:90], v[89:90], 1.0
	v_div_scale_f64 v[99:100], vcc, 1.0, v[89:90], 1.0
	v_rcp_f64_e32 v[95:96], v[91:92]
	v_fma_f64 v[97:98], -v[91:92], v[95:96], 1.0
	v_fma_f64 v[95:96], v[95:96], v[97:98], v[95:96]
	v_fma_f64 v[97:98], -v[91:92], v[95:96], 1.0
	v_fma_f64 v[95:96], v[95:96], v[97:98], v[95:96]
	v_mul_f64 v[97:98], v[99:100], v[95:96]
	v_fma_f64 v[91:92], -v[91:92], v[97:98], v[99:100]
	v_div_fmas_f64 v[91:92], v[91:92], v[95:96], v[97:98]
	v_div_fixup_f64 v[95:96], v[91:92], v[89:90], 1.0
                                        ; implicit-def: $vgpr89_vgpr90
	v_mul_f64 v[93:94], v[93:94], v[95:96]
	v_xor_b32_e32 v96, 0x80000000, v96
.LBB43_32:
	s_andn2_saveexec_b64 s[2:3], s[2:3]
	s_cbranch_execz .LBB43_34
; %bb.33:
	v_div_scale_f64 v[93:94], s[6:7], v[89:90], v[89:90], v[91:92]
	v_rcp_f64_e32 v[95:96], v[93:94]
	v_fma_f64 v[97:98], -v[93:94], v[95:96], 1.0
	v_fma_f64 v[95:96], v[95:96], v[97:98], v[95:96]
	v_div_scale_f64 v[97:98], vcc, v[91:92], v[89:90], v[91:92]
	v_fma_f64 v[99:100], -v[93:94], v[95:96], 1.0
	v_fma_f64 v[95:96], v[95:96], v[99:100], v[95:96]
	v_mul_f64 v[99:100], v[97:98], v[95:96]
	v_fma_f64 v[93:94], -v[93:94], v[99:100], v[97:98]
	v_div_fmas_f64 v[93:94], v[93:94], v[95:96], v[99:100]
	v_div_fixup_f64 v[95:96], v[93:94], v[89:90], v[91:92]
	v_fma_f64 v[89:90], v[91:92], v[95:96], v[89:90]
	v_div_scale_f64 v[91:92], s[6:7], v[89:90], v[89:90], 1.0
	v_div_scale_f64 v[99:100], vcc, 1.0, v[89:90], 1.0
	v_rcp_f64_e32 v[93:94], v[91:92]
	v_fma_f64 v[97:98], -v[91:92], v[93:94], 1.0
	v_fma_f64 v[93:94], v[93:94], v[97:98], v[93:94]
	v_fma_f64 v[97:98], -v[91:92], v[93:94], 1.0
	v_fma_f64 v[93:94], v[93:94], v[97:98], v[93:94]
	v_mul_f64 v[97:98], v[99:100], v[93:94]
	v_fma_f64 v[91:92], -v[91:92], v[97:98], v[99:100]
	v_div_fmas_f64 v[91:92], v[91:92], v[93:94], v[97:98]
	v_div_fixup_f64 v[93:94], v[91:92], v[89:90], 1.0
	v_mul_f64 v[95:96], v[95:96], -v[93:94]
.LBB43_34:
	s_or_b64 exec, exec, s[2:3]
	ds_write2_b64 v127, v[93:94], v[95:96] offset1:1
.LBB43_35:
	s_or_b64 exec, exec, s[4:5]
	s_waitcnt lgkmcnt(0)
	s_barrier
	ds_read2_b64 v[89:92], v127 offset1:1
	v_cmp_lt_u32_e32 vcc, 3, v0
	s_waitcnt lgkmcnt(0)
	buffer_store_dword v89, off, s[20:23], 0 offset:160 ; 4-byte Folded Spill
	s_nop 0
	buffer_store_dword v90, off, s[20:23], 0 offset:164 ; 4-byte Folded Spill
	buffer_store_dword v91, off, s[20:23], 0 offset:168 ; 4-byte Folded Spill
	;; [unrolled: 1-line block ×3, first 2 shown]
	s_and_saveexec_b64 s[2:3], vcc
	s_cbranch_execz .LBB43_37
; %bb.36:
	buffer_load_dword v91, off, s[20:23], 0 offset:160 ; 4-byte Folded Reload
	buffer_load_dword v92, off, s[20:23], 0 offset:164 ; 4-byte Folded Reload
	;; [unrolled: 1-line block ×4, first 2 shown]
	s_waitcnt vmcnt(0)
	v_mul_f64 v[89:90], v[93:94], v[75:76]
	v_mul_f64 v[75:76], v[91:92], v[75:76]
	v_fma_f64 v[89:90], v[91:92], v[73:74], -v[89:90]
	v_fma_f64 v[75:76], v[93:94], v[73:74], v[75:76]
	ds_read2_b64 v[91:94], v125 offset0:8 offset1:9
	s_waitcnt lgkmcnt(0)
	v_mul_f64 v[73:74], v[93:94], v[75:76]
	v_fma_f64 v[73:74], v[91:92], v[89:90], -v[73:74]
	v_mul_f64 v[91:92], v[91:92], v[75:76]
	v_add_f64 v[69:70], v[69:70], -v[73:74]
	v_fma_f64 v[91:92], v[93:94], v[89:90], v[91:92]
	v_add_f64 v[71:72], v[71:72], -v[91:92]
	ds_read2_b64 v[91:94], v125 offset0:10 offset1:11
	s_waitcnt lgkmcnt(0)
	v_mul_f64 v[73:74], v[93:94], v[75:76]
	v_fma_f64 v[73:74], v[91:92], v[89:90], -v[73:74]
	v_mul_f64 v[91:92], v[91:92], v[75:76]
	v_add_f64 v[61:62], v[61:62], -v[73:74]
	v_fma_f64 v[91:92], v[93:94], v[89:90], v[91:92]
	v_add_f64 v[63:64], v[63:64], -v[91:92]
	;; [unrolled: 8-line block ×17, first 2 shown]
	ds_read2_b64 v[91:94], v125 offset0:42 offset1:43
	s_waitcnt lgkmcnt(0)
	v_mul_f64 v[73:74], v[93:94], v[75:76]
	v_fma_f64 v[73:74], v[91:92], v[89:90], -v[73:74]
	v_mul_f64 v[91:92], v[91:92], v[75:76]
	v_add_f64 v[109:110], v[109:110], -v[73:74]
	v_fma_f64 v[91:92], v[93:94], v[89:90], v[91:92]
	v_mov_b32_e32 v73, v89
	v_mov_b32_e32 v74, v90
	v_add_f64 v[111:112], v[111:112], -v[91:92]
.LBB43_37:
	s_or_b64 exec, exec, s[2:3]
	v_cmp_eq_u32_e32 vcc, 4, v0
	s_waitcnt vmcnt(0)
	s_barrier
	s_and_saveexec_b64 s[4:5], vcc
	s_cbranch_execz .LBB43_44
; %bb.38:
	ds_write2_b64 v127, v[69:70], v[71:72] offset1:1
	ds_write2_b64 v125, v[61:62], v[63:64] offset0:10 offset1:11
	ds_write2_b64 v125, v[57:58], v[59:60] offset0:12 offset1:13
	;; [unrolled: 1-line block ×17, first 2 shown]
	ds_read2_b64 v[89:92], v127 offset1:1
	s_waitcnt lgkmcnt(0)
	v_cmp_neq_f64_e32 vcc, 0, v[89:90]
	v_cmp_neq_f64_e64 s[2:3], 0, v[91:92]
	s_or_b64 s[2:3], vcc, s[2:3]
	s_and_b64 exec, exec, s[2:3]
	s_cbranch_execz .LBB43_44
; %bb.39:
	v_cmp_ngt_f64_e64 s[2:3], |v[89:90]|, |v[91:92]|
                                        ; implicit-def: $vgpr93_vgpr94
	s_and_saveexec_b64 s[6:7], s[2:3]
	s_xor_b64 s[2:3], exec, s[6:7]
                                        ; implicit-def: $vgpr95_vgpr96
	s_cbranch_execz .LBB43_41
; %bb.40:
	v_div_scale_f64 v[93:94], s[6:7], v[91:92], v[91:92], v[89:90]
	v_rcp_f64_e32 v[95:96], v[93:94]
	v_fma_f64 v[97:98], -v[93:94], v[95:96], 1.0
	v_fma_f64 v[95:96], v[95:96], v[97:98], v[95:96]
	v_div_scale_f64 v[97:98], vcc, v[89:90], v[91:92], v[89:90]
	v_fma_f64 v[99:100], -v[93:94], v[95:96], 1.0
	v_fma_f64 v[95:96], v[95:96], v[99:100], v[95:96]
	v_mul_f64 v[99:100], v[97:98], v[95:96]
	v_fma_f64 v[93:94], -v[93:94], v[99:100], v[97:98]
	v_div_fmas_f64 v[93:94], v[93:94], v[95:96], v[99:100]
	v_div_fixup_f64 v[93:94], v[93:94], v[91:92], v[89:90]
	v_fma_f64 v[89:90], v[89:90], v[93:94], v[91:92]
	v_div_scale_f64 v[91:92], s[6:7], v[89:90], v[89:90], 1.0
	v_div_scale_f64 v[99:100], vcc, 1.0, v[89:90], 1.0
	v_rcp_f64_e32 v[95:96], v[91:92]
	v_fma_f64 v[97:98], -v[91:92], v[95:96], 1.0
	v_fma_f64 v[95:96], v[95:96], v[97:98], v[95:96]
	v_fma_f64 v[97:98], -v[91:92], v[95:96], 1.0
	v_fma_f64 v[95:96], v[95:96], v[97:98], v[95:96]
	v_mul_f64 v[97:98], v[99:100], v[95:96]
	v_fma_f64 v[91:92], -v[91:92], v[97:98], v[99:100]
	v_div_fmas_f64 v[91:92], v[91:92], v[95:96], v[97:98]
	v_div_fixup_f64 v[95:96], v[91:92], v[89:90], 1.0
                                        ; implicit-def: $vgpr89_vgpr90
	v_mul_f64 v[93:94], v[93:94], v[95:96]
	v_xor_b32_e32 v96, 0x80000000, v96
.LBB43_41:
	s_andn2_saveexec_b64 s[2:3], s[2:3]
	s_cbranch_execz .LBB43_43
; %bb.42:
	v_div_scale_f64 v[93:94], s[6:7], v[89:90], v[89:90], v[91:92]
	v_rcp_f64_e32 v[95:96], v[93:94]
	v_fma_f64 v[97:98], -v[93:94], v[95:96], 1.0
	v_fma_f64 v[95:96], v[95:96], v[97:98], v[95:96]
	v_div_scale_f64 v[97:98], vcc, v[91:92], v[89:90], v[91:92]
	v_fma_f64 v[99:100], -v[93:94], v[95:96], 1.0
	v_fma_f64 v[95:96], v[95:96], v[99:100], v[95:96]
	v_mul_f64 v[99:100], v[97:98], v[95:96]
	v_fma_f64 v[93:94], -v[93:94], v[99:100], v[97:98]
	v_div_fmas_f64 v[93:94], v[93:94], v[95:96], v[99:100]
	v_div_fixup_f64 v[95:96], v[93:94], v[89:90], v[91:92]
	v_fma_f64 v[89:90], v[91:92], v[95:96], v[89:90]
	v_div_scale_f64 v[91:92], s[6:7], v[89:90], v[89:90], 1.0
	v_div_scale_f64 v[99:100], vcc, 1.0, v[89:90], 1.0
	v_rcp_f64_e32 v[93:94], v[91:92]
	v_fma_f64 v[97:98], -v[91:92], v[93:94], 1.0
	v_fma_f64 v[93:94], v[93:94], v[97:98], v[93:94]
	v_fma_f64 v[97:98], -v[91:92], v[93:94], 1.0
	v_fma_f64 v[93:94], v[93:94], v[97:98], v[93:94]
	v_mul_f64 v[97:98], v[99:100], v[93:94]
	v_fma_f64 v[91:92], -v[91:92], v[97:98], v[99:100]
	v_div_fmas_f64 v[91:92], v[91:92], v[93:94], v[97:98]
	v_div_fixup_f64 v[93:94], v[91:92], v[89:90], 1.0
	v_mul_f64 v[95:96], v[95:96], -v[93:94]
.LBB43_43:
	s_or_b64 exec, exec, s[2:3]
	ds_write2_b64 v127, v[93:94], v[95:96] offset1:1
.LBB43_44:
	s_or_b64 exec, exec, s[4:5]
	s_waitcnt lgkmcnt(0)
	s_barrier
	ds_read2_b64 v[89:92], v127 offset1:1
	v_cmp_lt_u32_e32 vcc, 4, v0
	s_waitcnt lgkmcnt(0)
	buffer_store_dword v89, off, s[20:23], 0 offset:176 ; 4-byte Folded Spill
	s_nop 0
	buffer_store_dword v90, off, s[20:23], 0 offset:180 ; 4-byte Folded Spill
	buffer_store_dword v91, off, s[20:23], 0 offset:184 ; 4-byte Folded Spill
	buffer_store_dword v92, off, s[20:23], 0 offset:188 ; 4-byte Folded Spill
	s_and_saveexec_b64 s[2:3], vcc
	s_cbranch_execz .LBB43_46
; %bb.45:
	buffer_load_dword v91, off, s[20:23], 0 offset:176 ; 4-byte Folded Reload
	buffer_load_dword v92, off, s[20:23], 0 offset:180 ; 4-byte Folded Reload
	;; [unrolled: 1-line block ×4, first 2 shown]
	s_waitcnt vmcnt(0)
	v_mul_f64 v[89:90], v[93:94], v[71:72]
	v_mul_f64 v[71:72], v[91:92], v[71:72]
	v_fma_f64 v[89:90], v[91:92], v[69:70], -v[89:90]
	v_fma_f64 v[71:72], v[93:94], v[69:70], v[71:72]
	ds_read2_b64 v[91:94], v125 offset0:10 offset1:11
	s_waitcnt lgkmcnt(0)
	v_mul_f64 v[69:70], v[93:94], v[71:72]
	v_fma_f64 v[69:70], v[91:92], v[89:90], -v[69:70]
	v_mul_f64 v[91:92], v[91:92], v[71:72]
	v_add_f64 v[61:62], v[61:62], -v[69:70]
	v_fma_f64 v[91:92], v[93:94], v[89:90], v[91:92]
	v_add_f64 v[63:64], v[63:64], -v[91:92]
	ds_read2_b64 v[91:94], v125 offset0:12 offset1:13
	s_waitcnt lgkmcnt(0)
	v_mul_f64 v[69:70], v[93:94], v[71:72]
	v_fma_f64 v[69:70], v[91:92], v[89:90], -v[69:70]
	v_mul_f64 v[91:92], v[91:92], v[71:72]
	v_add_f64 v[57:58], v[57:58], -v[69:70]
	v_fma_f64 v[91:92], v[93:94], v[89:90], v[91:92]
	v_add_f64 v[59:60], v[59:60], -v[91:92]
	;; [unrolled: 8-line block ×16, first 2 shown]
	ds_read2_b64 v[91:94], v125 offset0:42 offset1:43
	s_waitcnt lgkmcnt(0)
	v_mul_f64 v[69:70], v[93:94], v[71:72]
	v_fma_f64 v[69:70], v[91:92], v[89:90], -v[69:70]
	v_mul_f64 v[91:92], v[91:92], v[71:72]
	v_add_f64 v[109:110], v[109:110], -v[69:70]
	v_fma_f64 v[91:92], v[93:94], v[89:90], v[91:92]
	v_mov_b32_e32 v69, v89
	v_mov_b32_e32 v70, v90
	v_add_f64 v[111:112], v[111:112], -v[91:92]
.LBB43_46:
	s_or_b64 exec, exec, s[2:3]
	v_cmp_eq_u32_e32 vcc, 5, v0
	s_waitcnt vmcnt(0)
	s_barrier
	s_and_saveexec_b64 s[4:5], vcc
	s_cbranch_execz .LBB43_53
; %bb.47:
	ds_write2_b64 v127, v[61:62], v[63:64] offset1:1
	ds_write2_b64 v125, v[57:58], v[59:60] offset0:12 offset1:13
	ds_write2_b64 v125, v[53:54], v[55:56] offset0:14 offset1:15
	;; [unrolled: 1-line block ×16, first 2 shown]
	ds_read2_b64 v[89:92], v127 offset1:1
	s_waitcnt lgkmcnt(0)
	v_cmp_neq_f64_e32 vcc, 0, v[89:90]
	v_cmp_neq_f64_e64 s[2:3], 0, v[91:92]
	s_or_b64 s[2:3], vcc, s[2:3]
	s_and_b64 exec, exec, s[2:3]
	s_cbranch_execz .LBB43_53
; %bb.48:
	v_cmp_ngt_f64_e64 s[2:3], |v[89:90]|, |v[91:92]|
                                        ; implicit-def: $vgpr93_vgpr94
	s_and_saveexec_b64 s[6:7], s[2:3]
	s_xor_b64 s[2:3], exec, s[6:7]
                                        ; implicit-def: $vgpr95_vgpr96
	s_cbranch_execz .LBB43_50
; %bb.49:
	v_div_scale_f64 v[93:94], s[6:7], v[91:92], v[91:92], v[89:90]
	v_rcp_f64_e32 v[95:96], v[93:94]
	v_fma_f64 v[97:98], -v[93:94], v[95:96], 1.0
	v_fma_f64 v[95:96], v[95:96], v[97:98], v[95:96]
	v_div_scale_f64 v[97:98], vcc, v[89:90], v[91:92], v[89:90]
	v_fma_f64 v[99:100], -v[93:94], v[95:96], 1.0
	v_fma_f64 v[95:96], v[95:96], v[99:100], v[95:96]
	v_mul_f64 v[99:100], v[97:98], v[95:96]
	v_fma_f64 v[93:94], -v[93:94], v[99:100], v[97:98]
	v_div_fmas_f64 v[93:94], v[93:94], v[95:96], v[99:100]
	v_div_fixup_f64 v[93:94], v[93:94], v[91:92], v[89:90]
	v_fma_f64 v[89:90], v[89:90], v[93:94], v[91:92]
	v_div_scale_f64 v[91:92], s[6:7], v[89:90], v[89:90], 1.0
	v_div_scale_f64 v[99:100], vcc, 1.0, v[89:90], 1.0
	v_rcp_f64_e32 v[95:96], v[91:92]
	v_fma_f64 v[97:98], -v[91:92], v[95:96], 1.0
	v_fma_f64 v[95:96], v[95:96], v[97:98], v[95:96]
	v_fma_f64 v[97:98], -v[91:92], v[95:96], 1.0
	v_fma_f64 v[95:96], v[95:96], v[97:98], v[95:96]
	v_mul_f64 v[97:98], v[99:100], v[95:96]
	v_fma_f64 v[91:92], -v[91:92], v[97:98], v[99:100]
	v_div_fmas_f64 v[91:92], v[91:92], v[95:96], v[97:98]
	v_div_fixup_f64 v[95:96], v[91:92], v[89:90], 1.0
                                        ; implicit-def: $vgpr89_vgpr90
	v_mul_f64 v[93:94], v[93:94], v[95:96]
	v_xor_b32_e32 v96, 0x80000000, v96
.LBB43_50:
	s_andn2_saveexec_b64 s[2:3], s[2:3]
	s_cbranch_execz .LBB43_52
; %bb.51:
	v_div_scale_f64 v[93:94], s[6:7], v[89:90], v[89:90], v[91:92]
	v_rcp_f64_e32 v[95:96], v[93:94]
	v_fma_f64 v[97:98], -v[93:94], v[95:96], 1.0
	v_fma_f64 v[95:96], v[95:96], v[97:98], v[95:96]
	v_div_scale_f64 v[97:98], vcc, v[91:92], v[89:90], v[91:92]
	v_fma_f64 v[99:100], -v[93:94], v[95:96], 1.0
	v_fma_f64 v[95:96], v[95:96], v[99:100], v[95:96]
	v_mul_f64 v[99:100], v[97:98], v[95:96]
	v_fma_f64 v[93:94], -v[93:94], v[99:100], v[97:98]
	v_div_fmas_f64 v[93:94], v[93:94], v[95:96], v[99:100]
	v_div_fixup_f64 v[95:96], v[93:94], v[89:90], v[91:92]
	v_fma_f64 v[89:90], v[91:92], v[95:96], v[89:90]
	v_div_scale_f64 v[91:92], s[6:7], v[89:90], v[89:90], 1.0
	v_div_scale_f64 v[99:100], vcc, 1.0, v[89:90], 1.0
	v_rcp_f64_e32 v[93:94], v[91:92]
	v_fma_f64 v[97:98], -v[91:92], v[93:94], 1.0
	v_fma_f64 v[93:94], v[93:94], v[97:98], v[93:94]
	v_fma_f64 v[97:98], -v[91:92], v[93:94], 1.0
	v_fma_f64 v[93:94], v[93:94], v[97:98], v[93:94]
	v_mul_f64 v[97:98], v[99:100], v[93:94]
	v_fma_f64 v[91:92], -v[91:92], v[97:98], v[99:100]
	v_div_fmas_f64 v[91:92], v[91:92], v[93:94], v[97:98]
	v_div_fixup_f64 v[93:94], v[91:92], v[89:90], 1.0
	v_mul_f64 v[95:96], v[95:96], -v[93:94]
.LBB43_52:
	s_or_b64 exec, exec, s[2:3]
	ds_write2_b64 v127, v[93:94], v[95:96] offset1:1
.LBB43_53:
	s_or_b64 exec, exec, s[4:5]
	s_waitcnt lgkmcnt(0)
	s_barrier
	ds_read2_b64 v[89:92], v127 offset1:1
	v_cmp_lt_u32_e32 vcc, 5, v0
	s_waitcnt lgkmcnt(0)
	buffer_store_dword v89, off, s[20:23], 0 offset:192 ; 4-byte Folded Spill
	s_nop 0
	buffer_store_dword v90, off, s[20:23], 0 offset:196 ; 4-byte Folded Spill
	buffer_store_dword v91, off, s[20:23], 0 offset:200 ; 4-byte Folded Spill
	;; [unrolled: 1-line block ×3, first 2 shown]
	s_and_saveexec_b64 s[2:3], vcc
	s_cbranch_execz .LBB43_55
; %bb.54:
	buffer_load_dword v91, off, s[20:23], 0 offset:192 ; 4-byte Folded Reload
	buffer_load_dword v92, off, s[20:23], 0 offset:196 ; 4-byte Folded Reload
	;; [unrolled: 1-line block ×4, first 2 shown]
	s_waitcnt vmcnt(2)
	v_mul_f64 v[89:90], v[91:92], v[63:64]
	s_waitcnt vmcnt(0)
	v_mul_f64 v[63:64], v[93:94], v[63:64]
	v_fma_f64 v[89:90], v[93:94], v[61:62], v[89:90]
	v_fma_f64 v[61:62], v[91:92], v[61:62], -v[63:64]
	ds_read2_b64 v[91:94], v125 offset0:12 offset1:13
	s_waitcnt lgkmcnt(0)
	v_mul_f64 v[63:64], v[93:94], v[89:90]
	v_fma_f64 v[63:64], v[91:92], v[61:62], -v[63:64]
	v_mul_f64 v[91:92], v[91:92], v[89:90]
	v_add_f64 v[57:58], v[57:58], -v[63:64]
	v_fma_f64 v[91:92], v[93:94], v[61:62], v[91:92]
	v_add_f64 v[59:60], v[59:60], -v[91:92]
	ds_read2_b64 v[91:94], v125 offset0:14 offset1:15
	s_waitcnt lgkmcnt(0)
	v_mul_f64 v[63:64], v[93:94], v[89:90]
	v_fma_f64 v[63:64], v[91:92], v[61:62], -v[63:64]
	v_mul_f64 v[91:92], v[91:92], v[89:90]
	v_add_f64 v[53:54], v[53:54], -v[63:64]
	v_fma_f64 v[91:92], v[93:94], v[61:62], v[91:92]
	v_add_f64 v[55:56], v[55:56], -v[91:92]
	;; [unrolled: 8-line block ×15, first 2 shown]
	ds_read2_b64 v[91:94], v125 offset0:42 offset1:43
	s_waitcnt lgkmcnt(0)
	v_mul_f64 v[63:64], v[93:94], v[89:90]
	v_fma_f64 v[63:64], v[91:92], v[61:62], -v[63:64]
	v_mul_f64 v[91:92], v[91:92], v[89:90]
	v_add_f64 v[109:110], v[109:110], -v[63:64]
	v_fma_f64 v[91:92], v[93:94], v[61:62], v[91:92]
	v_mov_b32_e32 v63, v89
	v_mov_b32_e32 v64, v90
	v_add_f64 v[111:112], v[111:112], -v[91:92]
.LBB43_55:
	s_or_b64 exec, exec, s[2:3]
	v_cmp_eq_u32_e32 vcc, 6, v0
	s_waitcnt vmcnt(0)
	s_barrier
	s_and_saveexec_b64 s[4:5], vcc
	s_cbranch_execz .LBB43_62
; %bb.56:
	ds_write2_b64 v127, v[57:58], v[59:60] offset1:1
	ds_write2_b64 v125, v[53:54], v[55:56] offset0:14 offset1:15
	ds_write2_b64 v125, v[49:50], v[51:52] offset0:16 offset1:17
	;; [unrolled: 1-line block ×15, first 2 shown]
	ds_read2_b64 v[89:92], v127 offset1:1
	s_waitcnt lgkmcnt(0)
	v_cmp_neq_f64_e32 vcc, 0, v[89:90]
	v_cmp_neq_f64_e64 s[2:3], 0, v[91:92]
	s_or_b64 s[2:3], vcc, s[2:3]
	s_and_b64 exec, exec, s[2:3]
	s_cbranch_execz .LBB43_62
; %bb.57:
	v_cmp_ngt_f64_e64 s[2:3], |v[89:90]|, |v[91:92]|
                                        ; implicit-def: $vgpr93_vgpr94
	s_and_saveexec_b64 s[6:7], s[2:3]
	s_xor_b64 s[2:3], exec, s[6:7]
                                        ; implicit-def: $vgpr95_vgpr96
	s_cbranch_execz .LBB43_59
; %bb.58:
	v_div_scale_f64 v[93:94], s[6:7], v[91:92], v[91:92], v[89:90]
	v_rcp_f64_e32 v[95:96], v[93:94]
	v_fma_f64 v[97:98], -v[93:94], v[95:96], 1.0
	v_fma_f64 v[95:96], v[95:96], v[97:98], v[95:96]
	v_div_scale_f64 v[97:98], vcc, v[89:90], v[91:92], v[89:90]
	v_fma_f64 v[99:100], -v[93:94], v[95:96], 1.0
	v_fma_f64 v[95:96], v[95:96], v[99:100], v[95:96]
	v_mul_f64 v[99:100], v[97:98], v[95:96]
	v_fma_f64 v[93:94], -v[93:94], v[99:100], v[97:98]
	v_div_fmas_f64 v[93:94], v[93:94], v[95:96], v[99:100]
	v_div_fixup_f64 v[93:94], v[93:94], v[91:92], v[89:90]
	v_fma_f64 v[89:90], v[89:90], v[93:94], v[91:92]
	v_div_scale_f64 v[91:92], s[6:7], v[89:90], v[89:90], 1.0
	v_div_scale_f64 v[99:100], vcc, 1.0, v[89:90], 1.0
	v_rcp_f64_e32 v[95:96], v[91:92]
	v_fma_f64 v[97:98], -v[91:92], v[95:96], 1.0
	v_fma_f64 v[95:96], v[95:96], v[97:98], v[95:96]
	v_fma_f64 v[97:98], -v[91:92], v[95:96], 1.0
	v_fma_f64 v[95:96], v[95:96], v[97:98], v[95:96]
	v_mul_f64 v[97:98], v[99:100], v[95:96]
	v_fma_f64 v[91:92], -v[91:92], v[97:98], v[99:100]
	v_div_fmas_f64 v[91:92], v[91:92], v[95:96], v[97:98]
	v_div_fixup_f64 v[95:96], v[91:92], v[89:90], 1.0
                                        ; implicit-def: $vgpr89_vgpr90
	v_mul_f64 v[93:94], v[93:94], v[95:96]
	v_xor_b32_e32 v96, 0x80000000, v96
.LBB43_59:
	s_andn2_saveexec_b64 s[2:3], s[2:3]
	s_cbranch_execz .LBB43_61
; %bb.60:
	v_div_scale_f64 v[93:94], s[6:7], v[89:90], v[89:90], v[91:92]
	v_rcp_f64_e32 v[95:96], v[93:94]
	v_fma_f64 v[97:98], -v[93:94], v[95:96], 1.0
	v_fma_f64 v[95:96], v[95:96], v[97:98], v[95:96]
	v_div_scale_f64 v[97:98], vcc, v[91:92], v[89:90], v[91:92]
	v_fma_f64 v[99:100], -v[93:94], v[95:96], 1.0
	v_fma_f64 v[95:96], v[95:96], v[99:100], v[95:96]
	v_mul_f64 v[99:100], v[97:98], v[95:96]
	v_fma_f64 v[93:94], -v[93:94], v[99:100], v[97:98]
	v_div_fmas_f64 v[93:94], v[93:94], v[95:96], v[99:100]
	v_div_fixup_f64 v[95:96], v[93:94], v[89:90], v[91:92]
	v_fma_f64 v[89:90], v[91:92], v[95:96], v[89:90]
	v_div_scale_f64 v[91:92], s[6:7], v[89:90], v[89:90], 1.0
	v_div_scale_f64 v[99:100], vcc, 1.0, v[89:90], 1.0
	v_rcp_f64_e32 v[93:94], v[91:92]
	v_fma_f64 v[97:98], -v[91:92], v[93:94], 1.0
	v_fma_f64 v[93:94], v[93:94], v[97:98], v[93:94]
	v_fma_f64 v[97:98], -v[91:92], v[93:94], 1.0
	v_fma_f64 v[93:94], v[93:94], v[97:98], v[93:94]
	v_mul_f64 v[97:98], v[99:100], v[93:94]
	v_fma_f64 v[91:92], -v[91:92], v[97:98], v[99:100]
	v_div_fmas_f64 v[91:92], v[91:92], v[93:94], v[97:98]
	v_div_fixup_f64 v[93:94], v[91:92], v[89:90], 1.0
	v_mul_f64 v[95:96], v[95:96], -v[93:94]
.LBB43_61:
	s_or_b64 exec, exec, s[2:3]
	ds_write2_b64 v127, v[93:94], v[95:96] offset1:1
.LBB43_62:
	s_or_b64 exec, exec, s[4:5]
	s_waitcnt lgkmcnt(0)
	s_barrier
	ds_read2_b64 v[89:92], v127 offset1:1
	v_cmp_lt_u32_e32 vcc, 6, v0
	s_waitcnt lgkmcnt(0)
	buffer_store_dword v89, off, s[20:23], 0 offset:208 ; 4-byte Folded Spill
	s_nop 0
	buffer_store_dword v90, off, s[20:23], 0 offset:212 ; 4-byte Folded Spill
	buffer_store_dword v91, off, s[20:23], 0 offset:216 ; 4-byte Folded Spill
	;; [unrolled: 1-line block ×3, first 2 shown]
	s_and_saveexec_b64 s[2:3], vcc
	s_cbranch_execz .LBB43_64
; %bb.63:
	buffer_load_dword v91, off, s[20:23], 0 offset:208 ; 4-byte Folded Reload
	buffer_load_dword v92, off, s[20:23], 0 offset:212 ; 4-byte Folded Reload
	;; [unrolled: 1-line block ×4, first 2 shown]
	s_waitcnt vmcnt(2)
	v_mul_f64 v[89:90], v[91:92], v[59:60]
	s_waitcnt vmcnt(0)
	v_mul_f64 v[59:60], v[93:94], v[59:60]
	v_fma_f64 v[89:90], v[93:94], v[57:58], v[89:90]
	v_fma_f64 v[57:58], v[91:92], v[57:58], -v[59:60]
	ds_read2_b64 v[91:94], v125 offset0:14 offset1:15
	s_waitcnt lgkmcnt(0)
	v_mul_f64 v[59:60], v[93:94], v[89:90]
	v_fma_f64 v[59:60], v[91:92], v[57:58], -v[59:60]
	v_mul_f64 v[91:92], v[91:92], v[89:90]
	v_add_f64 v[53:54], v[53:54], -v[59:60]
	v_fma_f64 v[91:92], v[93:94], v[57:58], v[91:92]
	v_add_f64 v[55:56], v[55:56], -v[91:92]
	ds_read2_b64 v[91:94], v125 offset0:16 offset1:17
	s_waitcnt lgkmcnt(0)
	v_mul_f64 v[59:60], v[93:94], v[89:90]
	v_fma_f64 v[59:60], v[91:92], v[57:58], -v[59:60]
	v_mul_f64 v[91:92], v[91:92], v[89:90]
	v_add_f64 v[49:50], v[49:50], -v[59:60]
	v_fma_f64 v[91:92], v[93:94], v[57:58], v[91:92]
	v_add_f64 v[51:52], v[51:52], -v[91:92]
	;; [unrolled: 8-line block ×14, first 2 shown]
	ds_read2_b64 v[91:94], v125 offset0:42 offset1:43
	s_waitcnt lgkmcnt(0)
	v_mul_f64 v[59:60], v[93:94], v[89:90]
	v_fma_f64 v[59:60], v[91:92], v[57:58], -v[59:60]
	v_mul_f64 v[91:92], v[91:92], v[89:90]
	v_add_f64 v[109:110], v[109:110], -v[59:60]
	v_fma_f64 v[91:92], v[93:94], v[57:58], v[91:92]
	v_mov_b32_e32 v59, v89
	v_mov_b32_e32 v60, v90
	v_add_f64 v[111:112], v[111:112], -v[91:92]
.LBB43_64:
	s_or_b64 exec, exec, s[2:3]
	v_cmp_eq_u32_e32 vcc, 7, v0
	s_waitcnt vmcnt(0)
	s_barrier
	s_and_saveexec_b64 s[4:5], vcc
	s_cbranch_execz .LBB43_71
; %bb.65:
	ds_write2_b64 v127, v[53:54], v[55:56] offset1:1
	ds_write2_b64 v125, v[49:50], v[51:52] offset0:16 offset1:17
	ds_write2_b64 v125, v[45:46], v[47:48] offset0:18 offset1:19
	;; [unrolled: 1-line block ×14, first 2 shown]
	ds_read2_b64 v[89:92], v127 offset1:1
	s_waitcnt lgkmcnt(0)
	v_cmp_neq_f64_e32 vcc, 0, v[89:90]
	v_cmp_neq_f64_e64 s[2:3], 0, v[91:92]
	s_or_b64 s[2:3], vcc, s[2:3]
	s_and_b64 exec, exec, s[2:3]
	s_cbranch_execz .LBB43_71
; %bb.66:
	v_cmp_ngt_f64_e64 s[2:3], |v[89:90]|, |v[91:92]|
                                        ; implicit-def: $vgpr93_vgpr94
	s_and_saveexec_b64 s[6:7], s[2:3]
	s_xor_b64 s[2:3], exec, s[6:7]
                                        ; implicit-def: $vgpr95_vgpr96
	s_cbranch_execz .LBB43_68
; %bb.67:
	v_div_scale_f64 v[93:94], s[6:7], v[91:92], v[91:92], v[89:90]
	v_rcp_f64_e32 v[95:96], v[93:94]
	v_fma_f64 v[97:98], -v[93:94], v[95:96], 1.0
	v_fma_f64 v[95:96], v[95:96], v[97:98], v[95:96]
	v_div_scale_f64 v[97:98], vcc, v[89:90], v[91:92], v[89:90]
	v_fma_f64 v[99:100], -v[93:94], v[95:96], 1.0
	v_fma_f64 v[95:96], v[95:96], v[99:100], v[95:96]
	v_mul_f64 v[99:100], v[97:98], v[95:96]
	v_fma_f64 v[93:94], -v[93:94], v[99:100], v[97:98]
	v_div_fmas_f64 v[93:94], v[93:94], v[95:96], v[99:100]
	v_div_fixup_f64 v[93:94], v[93:94], v[91:92], v[89:90]
	v_fma_f64 v[89:90], v[89:90], v[93:94], v[91:92]
	v_div_scale_f64 v[91:92], s[6:7], v[89:90], v[89:90], 1.0
	v_div_scale_f64 v[99:100], vcc, 1.0, v[89:90], 1.0
	v_rcp_f64_e32 v[95:96], v[91:92]
	v_fma_f64 v[97:98], -v[91:92], v[95:96], 1.0
	v_fma_f64 v[95:96], v[95:96], v[97:98], v[95:96]
	v_fma_f64 v[97:98], -v[91:92], v[95:96], 1.0
	v_fma_f64 v[95:96], v[95:96], v[97:98], v[95:96]
	v_mul_f64 v[97:98], v[99:100], v[95:96]
	v_fma_f64 v[91:92], -v[91:92], v[97:98], v[99:100]
	v_div_fmas_f64 v[91:92], v[91:92], v[95:96], v[97:98]
	v_div_fixup_f64 v[95:96], v[91:92], v[89:90], 1.0
                                        ; implicit-def: $vgpr89_vgpr90
	v_mul_f64 v[93:94], v[93:94], v[95:96]
	v_xor_b32_e32 v96, 0x80000000, v96
.LBB43_68:
	s_andn2_saveexec_b64 s[2:3], s[2:3]
	s_cbranch_execz .LBB43_70
; %bb.69:
	v_div_scale_f64 v[93:94], s[6:7], v[89:90], v[89:90], v[91:92]
	v_rcp_f64_e32 v[95:96], v[93:94]
	v_fma_f64 v[97:98], -v[93:94], v[95:96], 1.0
	v_fma_f64 v[95:96], v[95:96], v[97:98], v[95:96]
	v_div_scale_f64 v[97:98], vcc, v[91:92], v[89:90], v[91:92]
	v_fma_f64 v[99:100], -v[93:94], v[95:96], 1.0
	v_fma_f64 v[95:96], v[95:96], v[99:100], v[95:96]
	v_mul_f64 v[99:100], v[97:98], v[95:96]
	v_fma_f64 v[93:94], -v[93:94], v[99:100], v[97:98]
	v_div_fmas_f64 v[93:94], v[93:94], v[95:96], v[99:100]
	v_div_fixup_f64 v[95:96], v[93:94], v[89:90], v[91:92]
	v_fma_f64 v[89:90], v[91:92], v[95:96], v[89:90]
	v_div_scale_f64 v[91:92], s[6:7], v[89:90], v[89:90], 1.0
	v_div_scale_f64 v[99:100], vcc, 1.0, v[89:90], 1.0
	v_rcp_f64_e32 v[93:94], v[91:92]
	v_fma_f64 v[97:98], -v[91:92], v[93:94], 1.0
	v_fma_f64 v[93:94], v[93:94], v[97:98], v[93:94]
	v_fma_f64 v[97:98], -v[91:92], v[93:94], 1.0
	v_fma_f64 v[93:94], v[93:94], v[97:98], v[93:94]
	v_mul_f64 v[97:98], v[99:100], v[93:94]
	v_fma_f64 v[91:92], -v[91:92], v[97:98], v[99:100]
	v_div_fmas_f64 v[91:92], v[91:92], v[93:94], v[97:98]
	v_div_fixup_f64 v[93:94], v[91:92], v[89:90], 1.0
	v_mul_f64 v[95:96], v[95:96], -v[93:94]
.LBB43_70:
	s_or_b64 exec, exec, s[2:3]
	ds_write2_b64 v127, v[93:94], v[95:96] offset1:1
.LBB43_71:
	s_or_b64 exec, exec, s[4:5]
	s_waitcnt lgkmcnt(0)
	s_barrier
	ds_read2_b64 v[89:92], v127 offset1:1
	v_cmp_lt_u32_e32 vcc, 7, v0
	s_waitcnt lgkmcnt(0)
	buffer_store_dword v89, off, s[20:23], 0 offset:224 ; 4-byte Folded Spill
	s_nop 0
	buffer_store_dword v90, off, s[20:23], 0 offset:228 ; 4-byte Folded Spill
	buffer_store_dword v91, off, s[20:23], 0 offset:232 ; 4-byte Folded Spill
	;; [unrolled: 1-line block ×3, first 2 shown]
	s_and_saveexec_b64 s[2:3], vcc
	s_cbranch_execz .LBB43_73
; %bb.72:
	buffer_load_dword v91, off, s[20:23], 0 offset:224 ; 4-byte Folded Reload
	buffer_load_dword v92, off, s[20:23], 0 offset:228 ; 4-byte Folded Reload
	;; [unrolled: 1-line block ×4, first 2 shown]
	s_waitcnt vmcnt(2)
	v_mul_f64 v[89:90], v[91:92], v[55:56]
	s_waitcnt vmcnt(0)
	v_mul_f64 v[55:56], v[93:94], v[55:56]
	v_fma_f64 v[89:90], v[93:94], v[53:54], v[89:90]
	v_fma_f64 v[53:54], v[91:92], v[53:54], -v[55:56]
	ds_read2_b64 v[91:94], v125 offset0:16 offset1:17
	s_waitcnt lgkmcnt(0)
	v_mul_f64 v[55:56], v[93:94], v[89:90]
	v_fma_f64 v[55:56], v[91:92], v[53:54], -v[55:56]
	v_mul_f64 v[91:92], v[91:92], v[89:90]
	v_add_f64 v[49:50], v[49:50], -v[55:56]
	v_fma_f64 v[91:92], v[93:94], v[53:54], v[91:92]
	v_add_f64 v[51:52], v[51:52], -v[91:92]
	ds_read2_b64 v[91:94], v125 offset0:18 offset1:19
	s_waitcnt lgkmcnt(0)
	v_mul_f64 v[55:56], v[93:94], v[89:90]
	v_fma_f64 v[55:56], v[91:92], v[53:54], -v[55:56]
	v_mul_f64 v[91:92], v[91:92], v[89:90]
	v_add_f64 v[45:46], v[45:46], -v[55:56]
	v_fma_f64 v[91:92], v[93:94], v[53:54], v[91:92]
	v_add_f64 v[47:48], v[47:48], -v[91:92]
	;; [unrolled: 8-line block ×13, first 2 shown]
	ds_read2_b64 v[91:94], v125 offset0:42 offset1:43
	s_waitcnt lgkmcnt(0)
	v_mul_f64 v[55:56], v[93:94], v[89:90]
	v_fma_f64 v[55:56], v[91:92], v[53:54], -v[55:56]
	v_mul_f64 v[91:92], v[91:92], v[89:90]
	v_add_f64 v[109:110], v[109:110], -v[55:56]
	v_fma_f64 v[91:92], v[93:94], v[53:54], v[91:92]
	v_mov_b32_e32 v55, v89
	v_mov_b32_e32 v56, v90
	v_add_f64 v[111:112], v[111:112], -v[91:92]
.LBB43_73:
	s_or_b64 exec, exec, s[2:3]
	v_cmp_eq_u32_e32 vcc, 8, v0
	s_waitcnt vmcnt(0)
	s_barrier
	s_and_saveexec_b64 s[4:5], vcc
	s_cbranch_execz .LBB43_80
; %bb.74:
	ds_write2_b64 v127, v[49:50], v[51:52] offset1:1
	ds_write2_b64 v125, v[45:46], v[47:48] offset0:18 offset1:19
	ds_write2_b64 v125, v[41:42], v[43:44] offset0:20 offset1:21
	;; [unrolled: 1-line block ×13, first 2 shown]
	ds_read2_b64 v[89:92], v127 offset1:1
	s_waitcnt lgkmcnt(0)
	v_cmp_neq_f64_e32 vcc, 0, v[89:90]
	v_cmp_neq_f64_e64 s[2:3], 0, v[91:92]
	s_or_b64 s[2:3], vcc, s[2:3]
	s_and_b64 exec, exec, s[2:3]
	s_cbranch_execz .LBB43_80
; %bb.75:
	v_cmp_ngt_f64_e64 s[2:3], |v[89:90]|, |v[91:92]|
                                        ; implicit-def: $vgpr93_vgpr94
	s_and_saveexec_b64 s[6:7], s[2:3]
	s_xor_b64 s[2:3], exec, s[6:7]
                                        ; implicit-def: $vgpr95_vgpr96
	s_cbranch_execz .LBB43_77
; %bb.76:
	v_div_scale_f64 v[93:94], s[6:7], v[91:92], v[91:92], v[89:90]
	v_rcp_f64_e32 v[95:96], v[93:94]
	v_fma_f64 v[97:98], -v[93:94], v[95:96], 1.0
	v_fma_f64 v[95:96], v[95:96], v[97:98], v[95:96]
	v_div_scale_f64 v[97:98], vcc, v[89:90], v[91:92], v[89:90]
	v_fma_f64 v[99:100], -v[93:94], v[95:96], 1.0
	v_fma_f64 v[95:96], v[95:96], v[99:100], v[95:96]
	v_mul_f64 v[99:100], v[97:98], v[95:96]
	v_fma_f64 v[93:94], -v[93:94], v[99:100], v[97:98]
	v_div_fmas_f64 v[93:94], v[93:94], v[95:96], v[99:100]
	v_div_fixup_f64 v[93:94], v[93:94], v[91:92], v[89:90]
	v_fma_f64 v[89:90], v[89:90], v[93:94], v[91:92]
	v_div_scale_f64 v[91:92], s[6:7], v[89:90], v[89:90], 1.0
	v_div_scale_f64 v[99:100], vcc, 1.0, v[89:90], 1.0
	v_rcp_f64_e32 v[95:96], v[91:92]
	v_fma_f64 v[97:98], -v[91:92], v[95:96], 1.0
	v_fma_f64 v[95:96], v[95:96], v[97:98], v[95:96]
	v_fma_f64 v[97:98], -v[91:92], v[95:96], 1.0
	v_fma_f64 v[95:96], v[95:96], v[97:98], v[95:96]
	v_mul_f64 v[97:98], v[99:100], v[95:96]
	v_fma_f64 v[91:92], -v[91:92], v[97:98], v[99:100]
	v_div_fmas_f64 v[91:92], v[91:92], v[95:96], v[97:98]
	v_div_fixup_f64 v[95:96], v[91:92], v[89:90], 1.0
                                        ; implicit-def: $vgpr89_vgpr90
	v_mul_f64 v[93:94], v[93:94], v[95:96]
	v_xor_b32_e32 v96, 0x80000000, v96
.LBB43_77:
	s_andn2_saveexec_b64 s[2:3], s[2:3]
	s_cbranch_execz .LBB43_79
; %bb.78:
	v_div_scale_f64 v[93:94], s[6:7], v[89:90], v[89:90], v[91:92]
	v_rcp_f64_e32 v[95:96], v[93:94]
	v_fma_f64 v[97:98], -v[93:94], v[95:96], 1.0
	v_fma_f64 v[95:96], v[95:96], v[97:98], v[95:96]
	v_div_scale_f64 v[97:98], vcc, v[91:92], v[89:90], v[91:92]
	v_fma_f64 v[99:100], -v[93:94], v[95:96], 1.0
	v_fma_f64 v[95:96], v[95:96], v[99:100], v[95:96]
	v_mul_f64 v[99:100], v[97:98], v[95:96]
	v_fma_f64 v[93:94], -v[93:94], v[99:100], v[97:98]
	v_div_fmas_f64 v[93:94], v[93:94], v[95:96], v[99:100]
	v_div_fixup_f64 v[95:96], v[93:94], v[89:90], v[91:92]
	v_fma_f64 v[89:90], v[91:92], v[95:96], v[89:90]
	v_div_scale_f64 v[91:92], s[6:7], v[89:90], v[89:90], 1.0
	v_div_scale_f64 v[99:100], vcc, 1.0, v[89:90], 1.0
	v_rcp_f64_e32 v[93:94], v[91:92]
	v_fma_f64 v[97:98], -v[91:92], v[93:94], 1.0
	v_fma_f64 v[93:94], v[93:94], v[97:98], v[93:94]
	v_fma_f64 v[97:98], -v[91:92], v[93:94], 1.0
	v_fma_f64 v[93:94], v[93:94], v[97:98], v[93:94]
	v_mul_f64 v[97:98], v[99:100], v[93:94]
	v_fma_f64 v[91:92], -v[91:92], v[97:98], v[99:100]
	v_div_fmas_f64 v[91:92], v[91:92], v[93:94], v[97:98]
	v_div_fixup_f64 v[93:94], v[91:92], v[89:90], 1.0
	v_mul_f64 v[95:96], v[95:96], -v[93:94]
.LBB43_79:
	s_or_b64 exec, exec, s[2:3]
	ds_write2_b64 v127, v[93:94], v[95:96] offset1:1
.LBB43_80:
	s_or_b64 exec, exec, s[4:5]
	s_waitcnt lgkmcnt(0)
	s_barrier
	ds_read2_b64 v[89:92], v127 offset1:1
	v_cmp_lt_u32_e32 vcc, 8, v0
	s_waitcnt lgkmcnt(0)
	buffer_store_dword v89, off, s[20:23], 0 offset:240 ; 4-byte Folded Spill
	s_nop 0
	buffer_store_dword v90, off, s[20:23], 0 offset:244 ; 4-byte Folded Spill
	buffer_store_dword v91, off, s[20:23], 0 offset:248 ; 4-byte Folded Spill
	;; [unrolled: 1-line block ×3, first 2 shown]
	s_and_saveexec_b64 s[2:3], vcc
	s_cbranch_execz .LBB43_82
; %bb.81:
	buffer_load_dword v91, off, s[20:23], 0 offset:240 ; 4-byte Folded Reload
	buffer_load_dword v92, off, s[20:23], 0 offset:244 ; 4-byte Folded Reload
	;; [unrolled: 1-line block ×4, first 2 shown]
	s_waitcnt vmcnt(2)
	v_mul_f64 v[89:90], v[91:92], v[51:52]
	s_waitcnt vmcnt(0)
	v_mul_f64 v[51:52], v[93:94], v[51:52]
	v_fma_f64 v[89:90], v[93:94], v[49:50], v[89:90]
	v_fma_f64 v[49:50], v[91:92], v[49:50], -v[51:52]
	ds_read2_b64 v[91:94], v125 offset0:18 offset1:19
	s_waitcnt lgkmcnt(0)
	v_mul_f64 v[51:52], v[93:94], v[89:90]
	v_fma_f64 v[51:52], v[91:92], v[49:50], -v[51:52]
	v_mul_f64 v[91:92], v[91:92], v[89:90]
	v_add_f64 v[45:46], v[45:46], -v[51:52]
	v_fma_f64 v[91:92], v[93:94], v[49:50], v[91:92]
	v_add_f64 v[47:48], v[47:48], -v[91:92]
	ds_read2_b64 v[91:94], v125 offset0:20 offset1:21
	s_waitcnt lgkmcnt(0)
	v_mul_f64 v[51:52], v[93:94], v[89:90]
	v_fma_f64 v[51:52], v[91:92], v[49:50], -v[51:52]
	v_mul_f64 v[91:92], v[91:92], v[89:90]
	v_add_f64 v[41:42], v[41:42], -v[51:52]
	v_fma_f64 v[91:92], v[93:94], v[49:50], v[91:92]
	v_add_f64 v[43:44], v[43:44], -v[91:92]
	;; [unrolled: 8-line block ×12, first 2 shown]
	ds_read2_b64 v[91:94], v125 offset0:42 offset1:43
	s_waitcnt lgkmcnt(0)
	v_mul_f64 v[51:52], v[93:94], v[89:90]
	v_fma_f64 v[51:52], v[91:92], v[49:50], -v[51:52]
	v_mul_f64 v[91:92], v[91:92], v[89:90]
	v_add_f64 v[109:110], v[109:110], -v[51:52]
	v_fma_f64 v[91:92], v[93:94], v[49:50], v[91:92]
	v_mov_b32_e32 v51, v89
	v_mov_b32_e32 v52, v90
	v_add_f64 v[111:112], v[111:112], -v[91:92]
.LBB43_82:
	s_or_b64 exec, exec, s[2:3]
	v_cmp_eq_u32_e32 vcc, 9, v0
	s_waitcnt vmcnt(0)
	s_barrier
	s_and_saveexec_b64 s[4:5], vcc
	s_cbranch_execz .LBB43_89
; %bb.83:
	ds_write2_b64 v127, v[45:46], v[47:48] offset1:1
	ds_write2_b64 v125, v[41:42], v[43:44] offset0:20 offset1:21
	ds_write2_b64 v125, v[37:38], v[39:40] offset0:22 offset1:23
	;; [unrolled: 1-line block ×12, first 2 shown]
	ds_read2_b64 v[89:92], v127 offset1:1
	s_waitcnt lgkmcnt(0)
	v_cmp_neq_f64_e32 vcc, 0, v[89:90]
	v_cmp_neq_f64_e64 s[2:3], 0, v[91:92]
	s_or_b64 s[2:3], vcc, s[2:3]
	s_and_b64 exec, exec, s[2:3]
	s_cbranch_execz .LBB43_89
; %bb.84:
	v_cmp_ngt_f64_e64 s[2:3], |v[89:90]|, |v[91:92]|
                                        ; implicit-def: $vgpr93_vgpr94
	s_and_saveexec_b64 s[6:7], s[2:3]
	s_xor_b64 s[2:3], exec, s[6:7]
                                        ; implicit-def: $vgpr95_vgpr96
	s_cbranch_execz .LBB43_86
; %bb.85:
	v_div_scale_f64 v[93:94], s[6:7], v[91:92], v[91:92], v[89:90]
	v_rcp_f64_e32 v[95:96], v[93:94]
	v_fma_f64 v[97:98], -v[93:94], v[95:96], 1.0
	v_fma_f64 v[95:96], v[95:96], v[97:98], v[95:96]
	v_div_scale_f64 v[97:98], vcc, v[89:90], v[91:92], v[89:90]
	v_fma_f64 v[99:100], -v[93:94], v[95:96], 1.0
	v_fma_f64 v[95:96], v[95:96], v[99:100], v[95:96]
	v_mul_f64 v[99:100], v[97:98], v[95:96]
	v_fma_f64 v[93:94], -v[93:94], v[99:100], v[97:98]
	v_div_fmas_f64 v[93:94], v[93:94], v[95:96], v[99:100]
	v_div_fixup_f64 v[93:94], v[93:94], v[91:92], v[89:90]
	v_fma_f64 v[89:90], v[89:90], v[93:94], v[91:92]
	v_div_scale_f64 v[91:92], s[6:7], v[89:90], v[89:90], 1.0
	v_div_scale_f64 v[99:100], vcc, 1.0, v[89:90], 1.0
	v_rcp_f64_e32 v[95:96], v[91:92]
	v_fma_f64 v[97:98], -v[91:92], v[95:96], 1.0
	v_fma_f64 v[95:96], v[95:96], v[97:98], v[95:96]
	v_fma_f64 v[97:98], -v[91:92], v[95:96], 1.0
	v_fma_f64 v[95:96], v[95:96], v[97:98], v[95:96]
	v_mul_f64 v[97:98], v[99:100], v[95:96]
	v_fma_f64 v[91:92], -v[91:92], v[97:98], v[99:100]
	v_div_fmas_f64 v[91:92], v[91:92], v[95:96], v[97:98]
	v_div_fixup_f64 v[95:96], v[91:92], v[89:90], 1.0
                                        ; implicit-def: $vgpr89_vgpr90
	v_mul_f64 v[93:94], v[93:94], v[95:96]
	v_xor_b32_e32 v96, 0x80000000, v96
.LBB43_86:
	s_andn2_saveexec_b64 s[2:3], s[2:3]
	s_cbranch_execz .LBB43_88
; %bb.87:
	v_div_scale_f64 v[93:94], s[6:7], v[89:90], v[89:90], v[91:92]
	v_rcp_f64_e32 v[95:96], v[93:94]
	v_fma_f64 v[97:98], -v[93:94], v[95:96], 1.0
	v_fma_f64 v[95:96], v[95:96], v[97:98], v[95:96]
	v_div_scale_f64 v[97:98], vcc, v[91:92], v[89:90], v[91:92]
	v_fma_f64 v[99:100], -v[93:94], v[95:96], 1.0
	v_fma_f64 v[95:96], v[95:96], v[99:100], v[95:96]
	v_mul_f64 v[99:100], v[97:98], v[95:96]
	v_fma_f64 v[93:94], -v[93:94], v[99:100], v[97:98]
	v_div_fmas_f64 v[93:94], v[93:94], v[95:96], v[99:100]
	v_div_fixup_f64 v[95:96], v[93:94], v[89:90], v[91:92]
	v_fma_f64 v[89:90], v[91:92], v[95:96], v[89:90]
	v_div_scale_f64 v[91:92], s[6:7], v[89:90], v[89:90], 1.0
	v_div_scale_f64 v[99:100], vcc, 1.0, v[89:90], 1.0
	v_rcp_f64_e32 v[93:94], v[91:92]
	v_fma_f64 v[97:98], -v[91:92], v[93:94], 1.0
	v_fma_f64 v[93:94], v[93:94], v[97:98], v[93:94]
	v_fma_f64 v[97:98], -v[91:92], v[93:94], 1.0
	v_fma_f64 v[93:94], v[93:94], v[97:98], v[93:94]
	v_mul_f64 v[97:98], v[99:100], v[93:94]
	v_fma_f64 v[91:92], -v[91:92], v[97:98], v[99:100]
	v_div_fmas_f64 v[91:92], v[91:92], v[93:94], v[97:98]
	v_div_fixup_f64 v[93:94], v[91:92], v[89:90], 1.0
	v_mul_f64 v[95:96], v[95:96], -v[93:94]
.LBB43_88:
	s_or_b64 exec, exec, s[2:3]
	ds_write2_b64 v127, v[93:94], v[95:96] offset1:1
.LBB43_89:
	s_or_b64 exec, exec, s[4:5]
	s_waitcnt lgkmcnt(0)
	s_barrier
	ds_read2_b64 v[89:92], v127 offset1:1
	v_cmp_lt_u32_e32 vcc, 9, v0
	s_waitcnt lgkmcnt(0)
	buffer_store_dword v89, off, s[20:23], 0 offset:256 ; 4-byte Folded Spill
	s_nop 0
	buffer_store_dword v90, off, s[20:23], 0 offset:260 ; 4-byte Folded Spill
	buffer_store_dword v91, off, s[20:23], 0 offset:264 ; 4-byte Folded Spill
	buffer_store_dword v92, off, s[20:23], 0 offset:268 ; 4-byte Folded Spill
	s_and_saveexec_b64 s[2:3], vcc
	s_cbranch_execz .LBB43_91
; %bb.90:
	buffer_load_dword v91, off, s[20:23], 0 offset:256 ; 4-byte Folded Reload
	buffer_load_dword v92, off, s[20:23], 0 offset:260 ; 4-byte Folded Reload
	;; [unrolled: 1-line block ×4, first 2 shown]
	s_waitcnt vmcnt(2)
	v_mul_f64 v[89:90], v[91:92], v[47:48]
	s_waitcnt vmcnt(0)
	v_mul_f64 v[47:48], v[93:94], v[47:48]
	v_fma_f64 v[89:90], v[93:94], v[45:46], v[89:90]
	v_fma_f64 v[45:46], v[91:92], v[45:46], -v[47:48]
	ds_read2_b64 v[91:94], v125 offset0:20 offset1:21
	s_waitcnt lgkmcnt(0)
	v_mul_f64 v[47:48], v[93:94], v[89:90]
	v_fma_f64 v[47:48], v[91:92], v[45:46], -v[47:48]
	v_mul_f64 v[91:92], v[91:92], v[89:90]
	v_add_f64 v[41:42], v[41:42], -v[47:48]
	v_fma_f64 v[91:92], v[93:94], v[45:46], v[91:92]
	v_add_f64 v[43:44], v[43:44], -v[91:92]
	ds_read2_b64 v[91:94], v125 offset0:22 offset1:23
	s_waitcnt lgkmcnt(0)
	v_mul_f64 v[47:48], v[93:94], v[89:90]
	v_fma_f64 v[47:48], v[91:92], v[45:46], -v[47:48]
	v_mul_f64 v[91:92], v[91:92], v[89:90]
	v_add_f64 v[37:38], v[37:38], -v[47:48]
	v_fma_f64 v[91:92], v[93:94], v[45:46], v[91:92]
	v_add_f64 v[39:40], v[39:40], -v[91:92]
	;; [unrolled: 8-line block ×11, first 2 shown]
	ds_read2_b64 v[91:94], v125 offset0:42 offset1:43
	s_waitcnt lgkmcnt(0)
	v_mul_f64 v[47:48], v[93:94], v[89:90]
	v_fma_f64 v[47:48], v[91:92], v[45:46], -v[47:48]
	v_mul_f64 v[91:92], v[91:92], v[89:90]
	v_add_f64 v[109:110], v[109:110], -v[47:48]
	v_fma_f64 v[91:92], v[93:94], v[45:46], v[91:92]
	v_mov_b32_e32 v47, v89
	v_mov_b32_e32 v48, v90
	v_add_f64 v[111:112], v[111:112], -v[91:92]
.LBB43_91:
	s_or_b64 exec, exec, s[2:3]
	v_cmp_eq_u32_e32 vcc, 10, v0
	s_waitcnt vmcnt(0)
	s_barrier
	s_and_saveexec_b64 s[4:5], vcc
	s_cbranch_execz .LBB43_98
; %bb.92:
	ds_write2_b64 v127, v[41:42], v[43:44] offset1:1
	ds_write2_b64 v125, v[37:38], v[39:40] offset0:22 offset1:23
	ds_write2_b64 v125, v[33:34], v[35:36] offset0:24 offset1:25
	;; [unrolled: 1-line block ×11, first 2 shown]
	ds_read2_b64 v[89:92], v127 offset1:1
	s_waitcnt lgkmcnt(0)
	v_cmp_neq_f64_e32 vcc, 0, v[89:90]
	v_cmp_neq_f64_e64 s[2:3], 0, v[91:92]
	s_or_b64 s[2:3], vcc, s[2:3]
	s_and_b64 exec, exec, s[2:3]
	s_cbranch_execz .LBB43_98
; %bb.93:
	v_cmp_ngt_f64_e64 s[2:3], |v[89:90]|, |v[91:92]|
                                        ; implicit-def: $vgpr93_vgpr94
	s_and_saveexec_b64 s[6:7], s[2:3]
	s_xor_b64 s[2:3], exec, s[6:7]
                                        ; implicit-def: $vgpr95_vgpr96
	s_cbranch_execz .LBB43_95
; %bb.94:
	v_div_scale_f64 v[93:94], s[6:7], v[91:92], v[91:92], v[89:90]
	v_rcp_f64_e32 v[95:96], v[93:94]
	v_fma_f64 v[97:98], -v[93:94], v[95:96], 1.0
	v_fma_f64 v[95:96], v[95:96], v[97:98], v[95:96]
	v_div_scale_f64 v[97:98], vcc, v[89:90], v[91:92], v[89:90]
	v_fma_f64 v[99:100], -v[93:94], v[95:96], 1.0
	v_fma_f64 v[95:96], v[95:96], v[99:100], v[95:96]
	v_mul_f64 v[99:100], v[97:98], v[95:96]
	v_fma_f64 v[93:94], -v[93:94], v[99:100], v[97:98]
	v_div_fmas_f64 v[93:94], v[93:94], v[95:96], v[99:100]
	v_div_fixup_f64 v[93:94], v[93:94], v[91:92], v[89:90]
	v_fma_f64 v[89:90], v[89:90], v[93:94], v[91:92]
	v_div_scale_f64 v[91:92], s[6:7], v[89:90], v[89:90], 1.0
	v_div_scale_f64 v[99:100], vcc, 1.0, v[89:90], 1.0
	v_rcp_f64_e32 v[95:96], v[91:92]
	v_fma_f64 v[97:98], -v[91:92], v[95:96], 1.0
	v_fma_f64 v[95:96], v[95:96], v[97:98], v[95:96]
	v_fma_f64 v[97:98], -v[91:92], v[95:96], 1.0
	v_fma_f64 v[95:96], v[95:96], v[97:98], v[95:96]
	v_mul_f64 v[97:98], v[99:100], v[95:96]
	v_fma_f64 v[91:92], -v[91:92], v[97:98], v[99:100]
	v_div_fmas_f64 v[91:92], v[91:92], v[95:96], v[97:98]
	v_div_fixup_f64 v[95:96], v[91:92], v[89:90], 1.0
                                        ; implicit-def: $vgpr89_vgpr90
	v_mul_f64 v[93:94], v[93:94], v[95:96]
	v_xor_b32_e32 v96, 0x80000000, v96
.LBB43_95:
	s_andn2_saveexec_b64 s[2:3], s[2:3]
	s_cbranch_execz .LBB43_97
; %bb.96:
	v_div_scale_f64 v[93:94], s[6:7], v[89:90], v[89:90], v[91:92]
	v_rcp_f64_e32 v[95:96], v[93:94]
	v_fma_f64 v[97:98], -v[93:94], v[95:96], 1.0
	v_fma_f64 v[95:96], v[95:96], v[97:98], v[95:96]
	v_div_scale_f64 v[97:98], vcc, v[91:92], v[89:90], v[91:92]
	v_fma_f64 v[99:100], -v[93:94], v[95:96], 1.0
	v_fma_f64 v[95:96], v[95:96], v[99:100], v[95:96]
	v_mul_f64 v[99:100], v[97:98], v[95:96]
	v_fma_f64 v[93:94], -v[93:94], v[99:100], v[97:98]
	v_div_fmas_f64 v[93:94], v[93:94], v[95:96], v[99:100]
	v_div_fixup_f64 v[95:96], v[93:94], v[89:90], v[91:92]
	v_fma_f64 v[89:90], v[91:92], v[95:96], v[89:90]
	v_div_scale_f64 v[91:92], s[6:7], v[89:90], v[89:90], 1.0
	v_div_scale_f64 v[99:100], vcc, 1.0, v[89:90], 1.0
	v_rcp_f64_e32 v[93:94], v[91:92]
	v_fma_f64 v[97:98], -v[91:92], v[93:94], 1.0
	v_fma_f64 v[93:94], v[93:94], v[97:98], v[93:94]
	v_fma_f64 v[97:98], -v[91:92], v[93:94], 1.0
	v_fma_f64 v[93:94], v[93:94], v[97:98], v[93:94]
	v_mul_f64 v[97:98], v[99:100], v[93:94]
	v_fma_f64 v[91:92], -v[91:92], v[97:98], v[99:100]
	v_div_fmas_f64 v[91:92], v[91:92], v[93:94], v[97:98]
	v_div_fixup_f64 v[93:94], v[91:92], v[89:90], 1.0
	v_mul_f64 v[95:96], v[95:96], -v[93:94]
.LBB43_97:
	s_or_b64 exec, exec, s[2:3]
	ds_write2_b64 v127, v[93:94], v[95:96] offset1:1
.LBB43_98:
	s_or_b64 exec, exec, s[4:5]
	s_waitcnt lgkmcnt(0)
	s_barrier
	ds_read2_b64 v[89:92], v127 offset1:1
	v_cmp_lt_u32_e32 vcc, 10, v0
	s_waitcnt lgkmcnt(0)
	buffer_store_dword v89, off, s[20:23], 0 offset:272 ; 4-byte Folded Spill
	s_nop 0
	buffer_store_dword v90, off, s[20:23], 0 offset:276 ; 4-byte Folded Spill
	buffer_store_dword v91, off, s[20:23], 0 offset:280 ; 4-byte Folded Spill
	;; [unrolled: 1-line block ×3, first 2 shown]
	s_and_saveexec_b64 s[2:3], vcc
	s_cbranch_execz .LBB43_100
; %bb.99:
	buffer_load_dword v91, off, s[20:23], 0 offset:272 ; 4-byte Folded Reload
	buffer_load_dword v92, off, s[20:23], 0 offset:276 ; 4-byte Folded Reload
	;; [unrolled: 1-line block ×4, first 2 shown]
	s_waitcnt vmcnt(2)
	v_mul_f64 v[89:90], v[91:92], v[43:44]
	s_waitcnt vmcnt(0)
	v_mul_f64 v[43:44], v[93:94], v[43:44]
	v_fma_f64 v[89:90], v[93:94], v[41:42], v[89:90]
	v_fma_f64 v[41:42], v[91:92], v[41:42], -v[43:44]
	ds_read2_b64 v[91:94], v125 offset0:22 offset1:23
	s_waitcnt lgkmcnt(0)
	v_mul_f64 v[43:44], v[93:94], v[89:90]
	v_fma_f64 v[43:44], v[91:92], v[41:42], -v[43:44]
	v_mul_f64 v[91:92], v[91:92], v[89:90]
	v_add_f64 v[37:38], v[37:38], -v[43:44]
	v_fma_f64 v[91:92], v[93:94], v[41:42], v[91:92]
	v_add_f64 v[39:40], v[39:40], -v[91:92]
	ds_read2_b64 v[91:94], v125 offset0:24 offset1:25
	s_waitcnt lgkmcnt(0)
	v_mul_f64 v[43:44], v[93:94], v[89:90]
	v_fma_f64 v[43:44], v[91:92], v[41:42], -v[43:44]
	v_mul_f64 v[91:92], v[91:92], v[89:90]
	v_add_f64 v[33:34], v[33:34], -v[43:44]
	v_fma_f64 v[91:92], v[93:94], v[41:42], v[91:92]
	v_add_f64 v[35:36], v[35:36], -v[91:92]
	;; [unrolled: 8-line block ×10, first 2 shown]
	ds_read2_b64 v[91:94], v125 offset0:42 offset1:43
	s_waitcnt lgkmcnt(0)
	v_mul_f64 v[43:44], v[93:94], v[89:90]
	v_fma_f64 v[43:44], v[91:92], v[41:42], -v[43:44]
	v_mul_f64 v[91:92], v[91:92], v[89:90]
	v_add_f64 v[109:110], v[109:110], -v[43:44]
	v_fma_f64 v[91:92], v[93:94], v[41:42], v[91:92]
	v_mov_b32_e32 v43, v89
	v_mov_b32_e32 v44, v90
	v_add_f64 v[111:112], v[111:112], -v[91:92]
.LBB43_100:
	s_or_b64 exec, exec, s[2:3]
	v_cmp_eq_u32_e32 vcc, 11, v0
	s_waitcnt vmcnt(0)
	s_barrier
	s_and_saveexec_b64 s[4:5], vcc
	s_cbranch_execz .LBB43_107
; %bb.101:
	ds_write2_b64 v127, v[37:38], v[39:40] offset1:1
	ds_write2_b64 v125, v[33:34], v[35:36] offset0:24 offset1:25
	ds_write2_b64 v125, v[29:30], v[31:32] offset0:26 offset1:27
	ds_write2_b64 v125, v[25:26], v[27:28] offset0:28 offset1:29
	ds_write2_b64 v125, v[21:22], v[23:24] offset0:30 offset1:31
	ds_write2_b64 v125, v[17:18], v[19:20] offset0:32 offset1:33
	ds_write2_b64 v125, v[13:14], v[15:16] offset0:34 offset1:35
	ds_write2_b64 v125, v[9:10], v[11:12] offset0:36 offset1:37
	ds_write2_b64 v125, v[5:6], v[7:8] offset0:38 offset1:39
	ds_write2_b64 v125, v[1:2], v[3:4] offset0:40 offset1:41
	ds_write2_b64 v125, v[109:110], v[111:112] offset0:42 offset1:43
	ds_read2_b64 v[89:92], v127 offset1:1
	s_waitcnt lgkmcnt(0)
	v_cmp_neq_f64_e32 vcc, 0, v[89:90]
	v_cmp_neq_f64_e64 s[2:3], 0, v[91:92]
	s_or_b64 s[2:3], vcc, s[2:3]
	s_and_b64 exec, exec, s[2:3]
	s_cbranch_execz .LBB43_107
; %bb.102:
	v_cmp_ngt_f64_e64 s[2:3], |v[89:90]|, |v[91:92]|
                                        ; implicit-def: $vgpr93_vgpr94
	s_and_saveexec_b64 s[6:7], s[2:3]
	s_xor_b64 s[2:3], exec, s[6:7]
                                        ; implicit-def: $vgpr95_vgpr96
	s_cbranch_execz .LBB43_104
; %bb.103:
	v_div_scale_f64 v[93:94], s[6:7], v[91:92], v[91:92], v[89:90]
	v_rcp_f64_e32 v[95:96], v[93:94]
	v_fma_f64 v[97:98], -v[93:94], v[95:96], 1.0
	v_fma_f64 v[95:96], v[95:96], v[97:98], v[95:96]
	v_div_scale_f64 v[97:98], vcc, v[89:90], v[91:92], v[89:90]
	v_fma_f64 v[99:100], -v[93:94], v[95:96], 1.0
	v_fma_f64 v[95:96], v[95:96], v[99:100], v[95:96]
	v_mul_f64 v[99:100], v[97:98], v[95:96]
	v_fma_f64 v[93:94], -v[93:94], v[99:100], v[97:98]
	v_div_fmas_f64 v[93:94], v[93:94], v[95:96], v[99:100]
	v_div_fixup_f64 v[93:94], v[93:94], v[91:92], v[89:90]
	v_fma_f64 v[89:90], v[89:90], v[93:94], v[91:92]
	v_div_scale_f64 v[91:92], s[6:7], v[89:90], v[89:90], 1.0
	v_div_scale_f64 v[99:100], vcc, 1.0, v[89:90], 1.0
	v_rcp_f64_e32 v[95:96], v[91:92]
	v_fma_f64 v[97:98], -v[91:92], v[95:96], 1.0
	v_fma_f64 v[95:96], v[95:96], v[97:98], v[95:96]
	v_fma_f64 v[97:98], -v[91:92], v[95:96], 1.0
	v_fma_f64 v[95:96], v[95:96], v[97:98], v[95:96]
	v_mul_f64 v[97:98], v[99:100], v[95:96]
	v_fma_f64 v[91:92], -v[91:92], v[97:98], v[99:100]
	v_div_fmas_f64 v[91:92], v[91:92], v[95:96], v[97:98]
	v_div_fixup_f64 v[95:96], v[91:92], v[89:90], 1.0
                                        ; implicit-def: $vgpr89_vgpr90
	v_mul_f64 v[93:94], v[93:94], v[95:96]
	v_xor_b32_e32 v96, 0x80000000, v96
.LBB43_104:
	s_andn2_saveexec_b64 s[2:3], s[2:3]
	s_cbranch_execz .LBB43_106
; %bb.105:
	v_div_scale_f64 v[93:94], s[6:7], v[89:90], v[89:90], v[91:92]
	v_rcp_f64_e32 v[95:96], v[93:94]
	v_fma_f64 v[97:98], -v[93:94], v[95:96], 1.0
	v_fma_f64 v[95:96], v[95:96], v[97:98], v[95:96]
	v_div_scale_f64 v[97:98], vcc, v[91:92], v[89:90], v[91:92]
	v_fma_f64 v[99:100], -v[93:94], v[95:96], 1.0
	v_fma_f64 v[95:96], v[95:96], v[99:100], v[95:96]
	v_mul_f64 v[99:100], v[97:98], v[95:96]
	v_fma_f64 v[93:94], -v[93:94], v[99:100], v[97:98]
	v_div_fmas_f64 v[93:94], v[93:94], v[95:96], v[99:100]
	v_div_fixup_f64 v[95:96], v[93:94], v[89:90], v[91:92]
	v_fma_f64 v[89:90], v[91:92], v[95:96], v[89:90]
	v_div_scale_f64 v[91:92], s[6:7], v[89:90], v[89:90], 1.0
	v_div_scale_f64 v[99:100], vcc, 1.0, v[89:90], 1.0
	v_rcp_f64_e32 v[93:94], v[91:92]
	v_fma_f64 v[97:98], -v[91:92], v[93:94], 1.0
	v_fma_f64 v[93:94], v[93:94], v[97:98], v[93:94]
	v_fma_f64 v[97:98], -v[91:92], v[93:94], 1.0
	v_fma_f64 v[93:94], v[93:94], v[97:98], v[93:94]
	v_mul_f64 v[97:98], v[99:100], v[93:94]
	v_fma_f64 v[91:92], -v[91:92], v[97:98], v[99:100]
	v_div_fmas_f64 v[91:92], v[91:92], v[93:94], v[97:98]
	v_div_fixup_f64 v[93:94], v[91:92], v[89:90], 1.0
	v_mul_f64 v[95:96], v[95:96], -v[93:94]
.LBB43_106:
	s_or_b64 exec, exec, s[2:3]
	ds_write2_b64 v127, v[93:94], v[95:96] offset1:1
.LBB43_107:
	s_or_b64 exec, exec, s[4:5]
	s_waitcnt lgkmcnt(0)
	s_barrier
	ds_read2_b64 v[89:92], v127 offset1:1
	v_cmp_lt_u32_e32 vcc, 11, v0
	s_waitcnt lgkmcnt(0)
	buffer_store_dword v89, off, s[20:23], 0 offset:288 ; 4-byte Folded Spill
	s_nop 0
	buffer_store_dword v90, off, s[20:23], 0 offset:292 ; 4-byte Folded Spill
	buffer_store_dword v91, off, s[20:23], 0 offset:296 ; 4-byte Folded Spill
	;; [unrolled: 1-line block ×3, first 2 shown]
	s_and_saveexec_b64 s[2:3], vcc
	s_cbranch_execz .LBB43_109
; %bb.108:
	buffer_load_dword v91, off, s[20:23], 0 offset:288 ; 4-byte Folded Reload
	buffer_load_dword v92, off, s[20:23], 0 offset:292 ; 4-byte Folded Reload
	;; [unrolled: 1-line block ×4, first 2 shown]
	s_waitcnt vmcnt(2)
	v_mul_f64 v[89:90], v[91:92], v[39:40]
	s_waitcnt vmcnt(0)
	v_mul_f64 v[39:40], v[93:94], v[39:40]
	v_fma_f64 v[89:90], v[93:94], v[37:38], v[89:90]
	v_fma_f64 v[37:38], v[91:92], v[37:38], -v[39:40]
	ds_read2_b64 v[91:94], v125 offset0:24 offset1:25
	s_waitcnt lgkmcnt(0)
	v_mul_f64 v[39:40], v[93:94], v[89:90]
	v_fma_f64 v[39:40], v[91:92], v[37:38], -v[39:40]
	v_mul_f64 v[91:92], v[91:92], v[89:90]
	v_add_f64 v[33:34], v[33:34], -v[39:40]
	v_fma_f64 v[91:92], v[93:94], v[37:38], v[91:92]
	v_add_f64 v[35:36], v[35:36], -v[91:92]
	ds_read2_b64 v[91:94], v125 offset0:26 offset1:27
	s_waitcnt lgkmcnt(0)
	v_mul_f64 v[39:40], v[93:94], v[89:90]
	v_fma_f64 v[39:40], v[91:92], v[37:38], -v[39:40]
	v_mul_f64 v[91:92], v[91:92], v[89:90]
	v_add_f64 v[29:30], v[29:30], -v[39:40]
	v_fma_f64 v[91:92], v[93:94], v[37:38], v[91:92]
	v_add_f64 v[31:32], v[31:32], -v[91:92]
	;; [unrolled: 8-line block ×9, first 2 shown]
	ds_read2_b64 v[91:94], v125 offset0:42 offset1:43
	s_waitcnt lgkmcnt(0)
	v_mul_f64 v[39:40], v[93:94], v[89:90]
	v_fma_f64 v[39:40], v[91:92], v[37:38], -v[39:40]
	v_mul_f64 v[91:92], v[91:92], v[89:90]
	v_add_f64 v[109:110], v[109:110], -v[39:40]
	v_fma_f64 v[91:92], v[93:94], v[37:38], v[91:92]
	v_mov_b32_e32 v39, v89
	v_mov_b32_e32 v40, v90
	v_add_f64 v[111:112], v[111:112], -v[91:92]
.LBB43_109:
	s_or_b64 exec, exec, s[2:3]
	v_cmp_eq_u32_e32 vcc, 12, v0
	s_waitcnt vmcnt(0)
	s_barrier
	s_and_saveexec_b64 s[4:5], vcc
	s_cbranch_execz .LBB43_116
; %bb.110:
	ds_write2_b64 v127, v[33:34], v[35:36] offset1:1
	ds_write2_b64 v125, v[29:30], v[31:32] offset0:26 offset1:27
	ds_write2_b64 v125, v[25:26], v[27:28] offset0:28 offset1:29
	;; [unrolled: 1-line block ×9, first 2 shown]
	ds_read2_b64 v[89:92], v127 offset1:1
	s_waitcnt lgkmcnt(0)
	v_cmp_neq_f64_e32 vcc, 0, v[89:90]
	v_cmp_neq_f64_e64 s[2:3], 0, v[91:92]
	s_or_b64 s[2:3], vcc, s[2:3]
	s_and_b64 exec, exec, s[2:3]
	s_cbranch_execz .LBB43_116
; %bb.111:
	v_cmp_ngt_f64_e64 s[2:3], |v[89:90]|, |v[91:92]|
                                        ; implicit-def: $vgpr93_vgpr94
	s_and_saveexec_b64 s[6:7], s[2:3]
	s_xor_b64 s[2:3], exec, s[6:7]
                                        ; implicit-def: $vgpr95_vgpr96
	s_cbranch_execz .LBB43_113
; %bb.112:
	v_div_scale_f64 v[93:94], s[6:7], v[91:92], v[91:92], v[89:90]
	v_rcp_f64_e32 v[95:96], v[93:94]
	v_fma_f64 v[97:98], -v[93:94], v[95:96], 1.0
	v_fma_f64 v[95:96], v[95:96], v[97:98], v[95:96]
	v_div_scale_f64 v[97:98], vcc, v[89:90], v[91:92], v[89:90]
	v_fma_f64 v[99:100], -v[93:94], v[95:96], 1.0
	v_fma_f64 v[95:96], v[95:96], v[99:100], v[95:96]
	v_mul_f64 v[99:100], v[97:98], v[95:96]
	v_fma_f64 v[93:94], -v[93:94], v[99:100], v[97:98]
	v_div_fmas_f64 v[93:94], v[93:94], v[95:96], v[99:100]
	v_div_fixup_f64 v[93:94], v[93:94], v[91:92], v[89:90]
	v_fma_f64 v[89:90], v[89:90], v[93:94], v[91:92]
	v_div_scale_f64 v[91:92], s[6:7], v[89:90], v[89:90], 1.0
	v_div_scale_f64 v[99:100], vcc, 1.0, v[89:90], 1.0
	v_rcp_f64_e32 v[95:96], v[91:92]
	v_fma_f64 v[97:98], -v[91:92], v[95:96], 1.0
	v_fma_f64 v[95:96], v[95:96], v[97:98], v[95:96]
	v_fma_f64 v[97:98], -v[91:92], v[95:96], 1.0
	v_fma_f64 v[95:96], v[95:96], v[97:98], v[95:96]
	v_mul_f64 v[97:98], v[99:100], v[95:96]
	v_fma_f64 v[91:92], -v[91:92], v[97:98], v[99:100]
	v_div_fmas_f64 v[91:92], v[91:92], v[95:96], v[97:98]
	v_div_fixup_f64 v[95:96], v[91:92], v[89:90], 1.0
                                        ; implicit-def: $vgpr89_vgpr90
	v_mul_f64 v[93:94], v[93:94], v[95:96]
	v_xor_b32_e32 v96, 0x80000000, v96
.LBB43_113:
	s_andn2_saveexec_b64 s[2:3], s[2:3]
	s_cbranch_execz .LBB43_115
; %bb.114:
	v_div_scale_f64 v[93:94], s[6:7], v[89:90], v[89:90], v[91:92]
	v_rcp_f64_e32 v[95:96], v[93:94]
	v_fma_f64 v[97:98], -v[93:94], v[95:96], 1.0
	v_fma_f64 v[95:96], v[95:96], v[97:98], v[95:96]
	v_div_scale_f64 v[97:98], vcc, v[91:92], v[89:90], v[91:92]
	v_fma_f64 v[99:100], -v[93:94], v[95:96], 1.0
	v_fma_f64 v[95:96], v[95:96], v[99:100], v[95:96]
	v_mul_f64 v[99:100], v[97:98], v[95:96]
	v_fma_f64 v[93:94], -v[93:94], v[99:100], v[97:98]
	v_div_fmas_f64 v[93:94], v[93:94], v[95:96], v[99:100]
	v_div_fixup_f64 v[95:96], v[93:94], v[89:90], v[91:92]
	v_fma_f64 v[89:90], v[91:92], v[95:96], v[89:90]
	v_div_scale_f64 v[91:92], s[6:7], v[89:90], v[89:90], 1.0
	v_div_scale_f64 v[99:100], vcc, 1.0, v[89:90], 1.0
	v_rcp_f64_e32 v[93:94], v[91:92]
	v_fma_f64 v[97:98], -v[91:92], v[93:94], 1.0
	v_fma_f64 v[93:94], v[93:94], v[97:98], v[93:94]
	v_fma_f64 v[97:98], -v[91:92], v[93:94], 1.0
	v_fma_f64 v[93:94], v[93:94], v[97:98], v[93:94]
	v_mul_f64 v[97:98], v[99:100], v[93:94]
	v_fma_f64 v[91:92], -v[91:92], v[97:98], v[99:100]
	v_div_fmas_f64 v[91:92], v[91:92], v[93:94], v[97:98]
	v_div_fixup_f64 v[93:94], v[91:92], v[89:90], 1.0
	v_mul_f64 v[95:96], v[95:96], -v[93:94]
.LBB43_115:
	s_or_b64 exec, exec, s[2:3]
	ds_write2_b64 v127, v[93:94], v[95:96] offset1:1
.LBB43_116:
	s_or_b64 exec, exec, s[4:5]
	s_waitcnt lgkmcnt(0)
	s_barrier
	ds_read2_b64 v[89:92], v127 offset1:1
	v_cmp_lt_u32_e32 vcc, 12, v0
	s_waitcnt lgkmcnt(0)
	buffer_store_dword v89, off, s[20:23], 0 offset:304 ; 4-byte Folded Spill
	s_nop 0
	buffer_store_dword v90, off, s[20:23], 0 offset:308 ; 4-byte Folded Spill
	buffer_store_dword v91, off, s[20:23], 0 offset:312 ; 4-byte Folded Spill
	;; [unrolled: 1-line block ×3, first 2 shown]
	s_and_saveexec_b64 s[2:3], vcc
	s_cbranch_execz .LBB43_118
; %bb.117:
	buffer_load_dword v91, off, s[20:23], 0 offset:304 ; 4-byte Folded Reload
	buffer_load_dword v92, off, s[20:23], 0 offset:308 ; 4-byte Folded Reload
	;; [unrolled: 1-line block ×4, first 2 shown]
	s_waitcnt vmcnt(2)
	v_mul_f64 v[89:90], v[91:92], v[35:36]
	s_waitcnt vmcnt(0)
	v_mul_f64 v[35:36], v[93:94], v[35:36]
	v_fma_f64 v[89:90], v[93:94], v[33:34], v[89:90]
	v_fma_f64 v[33:34], v[91:92], v[33:34], -v[35:36]
	ds_read2_b64 v[91:94], v125 offset0:26 offset1:27
	s_waitcnt lgkmcnt(0)
	v_mul_f64 v[35:36], v[93:94], v[89:90]
	v_fma_f64 v[35:36], v[91:92], v[33:34], -v[35:36]
	v_mul_f64 v[91:92], v[91:92], v[89:90]
	v_add_f64 v[29:30], v[29:30], -v[35:36]
	v_fma_f64 v[91:92], v[93:94], v[33:34], v[91:92]
	v_add_f64 v[31:32], v[31:32], -v[91:92]
	ds_read2_b64 v[91:94], v125 offset0:28 offset1:29
	s_waitcnt lgkmcnt(0)
	v_mul_f64 v[35:36], v[93:94], v[89:90]
	v_fma_f64 v[35:36], v[91:92], v[33:34], -v[35:36]
	v_mul_f64 v[91:92], v[91:92], v[89:90]
	v_add_f64 v[25:26], v[25:26], -v[35:36]
	v_fma_f64 v[91:92], v[93:94], v[33:34], v[91:92]
	v_add_f64 v[27:28], v[27:28], -v[91:92]
	;; [unrolled: 8-line block ×8, first 2 shown]
	ds_read2_b64 v[91:94], v125 offset0:42 offset1:43
	s_waitcnt lgkmcnt(0)
	v_mul_f64 v[35:36], v[93:94], v[89:90]
	v_fma_f64 v[35:36], v[91:92], v[33:34], -v[35:36]
	v_mul_f64 v[91:92], v[91:92], v[89:90]
	v_add_f64 v[109:110], v[109:110], -v[35:36]
	v_fma_f64 v[91:92], v[93:94], v[33:34], v[91:92]
	v_mov_b32_e32 v35, v89
	v_mov_b32_e32 v36, v90
	v_add_f64 v[111:112], v[111:112], -v[91:92]
.LBB43_118:
	s_or_b64 exec, exec, s[2:3]
	v_cmp_eq_u32_e32 vcc, 13, v0
	s_waitcnt vmcnt(0)
	s_barrier
	s_and_saveexec_b64 s[4:5], vcc
	s_cbranch_execz .LBB43_125
; %bb.119:
	ds_write2_b64 v127, v[29:30], v[31:32] offset1:1
	ds_write2_b64 v125, v[25:26], v[27:28] offset0:28 offset1:29
	ds_write2_b64 v125, v[21:22], v[23:24] offset0:30 offset1:31
	;; [unrolled: 1-line block ×8, first 2 shown]
	ds_read2_b64 v[89:92], v127 offset1:1
	s_waitcnt lgkmcnt(0)
	v_cmp_neq_f64_e32 vcc, 0, v[89:90]
	v_cmp_neq_f64_e64 s[2:3], 0, v[91:92]
	s_or_b64 s[2:3], vcc, s[2:3]
	s_and_b64 exec, exec, s[2:3]
	s_cbranch_execz .LBB43_125
; %bb.120:
	v_cmp_ngt_f64_e64 s[2:3], |v[89:90]|, |v[91:92]|
                                        ; implicit-def: $vgpr93_vgpr94
	s_and_saveexec_b64 s[6:7], s[2:3]
	s_xor_b64 s[2:3], exec, s[6:7]
                                        ; implicit-def: $vgpr95_vgpr96
	s_cbranch_execz .LBB43_122
; %bb.121:
	v_div_scale_f64 v[93:94], s[6:7], v[91:92], v[91:92], v[89:90]
	v_rcp_f64_e32 v[95:96], v[93:94]
	v_fma_f64 v[97:98], -v[93:94], v[95:96], 1.0
	v_fma_f64 v[95:96], v[95:96], v[97:98], v[95:96]
	v_div_scale_f64 v[97:98], vcc, v[89:90], v[91:92], v[89:90]
	v_fma_f64 v[99:100], -v[93:94], v[95:96], 1.0
	v_fma_f64 v[95:96], v[95:96], v[99:100], v[95:96]
	v_mul_f64 v[99:100], v[97:98], v[95:96]
	v_fma_f64 v[93:94], -v[93:94], v[99:100], v[97:98]
	v_div_fmas_f64 v[93:94], v[93:94], v[95:96], v[99:100]
	v_div_fixup_f64 v[93:94], v[93:94], v[91:92], v[89:90]
	v_fma_f64 v[89:90], v[89:90], v[93:94], v[91:92]
	v_div_scale_f64 v[91:92], s[6:7], v[89:90], v[89:90], 1.0
	v_div_scale_f64 v[99:100], vcc, 1.0, v[89:90], 1.0
	v_rcp_f64_e32 v[95:96], v[91:92]
	v_fma_f64 v[97:98], -v[91:92], v[95:96], 1.0
	v_fma_f64 v[95:96], v[95:96], v[97:98], v[95:96]
	v_fma_f64 v[97:98], -v[91:92], v[95:96], 1.0
	v_fma_f64 v[95:96], v[95:96], v[97:98], v[95:96]
	v_mul_f64 v[97:98], v[99:100], v[95:96]
	v_fma_f64 v[91:92], -v[91:92], v[97:98], v[99:100]
	v_div_fmas_f64 v[91:92], v[91:92], v[95:96], v[97:98]
	v_div_fixup_f64 v[95:96], v[91:92], v[89:90], 1.0
                                        ; implicit-def: $vgpr89_vgpr90
	v_mul_f64 v[93:94], v[93:94], v[95:96]
	v_xor_b32_e32 v96, 0x80000000, v96
.LBB43_122:
	s_andn2_saveexec_b64 s[2:3], s[2:3]
	s_cbranch_execz .LBB43_124
; %bb.123:
	v_div_scale_f64 v[93:94], s[6:7], v[89:90], v[89:90], v[91:92]
	v_rcp_f64_e32 v[95:96], v[93:94]
	v_fma_f64 v[97:98], -v[93:94], v[95:96], 1.0
	v_fma_f64 v[95:96], v[95:96], v[97:98], v[95:96]
	v_div_scale_f64 v[97:98], vcc, v[91:92], v[89:90], v[91:92]
	v_fma_f64 v[99:100], -v[93:94], v[95:96], 1.0
	v_fma_f64 v[95:96], v[95:96], v[99:100], v[95:96]
	v_mul_f64 v[99:100], v[97:98], v[95:96]
	v_fma_f64 v[93:94], -v[93:94], v[99:100], v[97:98]
	v_div_fmas_f64 v[93:94], v[93:94], v[95:96], v[99:100]
	v_div_fixup_f64 v[95:96], v[93:94], v[89:90], v[91:92]
	v_fma_f64 v[89:90], v[91:92], v[95:96], v[89:90]
	v_div_scale_f64 v[91:92], s[6:7], v[89:90], v[89:90], 1.0
	v_div_scale_f64 v[99:100], vcc, 1.0, v[89:90], 1.0
	v_rcp_f64_e32 v[93:94], v[91:92]
	v_fma_f64 v[97:98], -v[91:92], v[93:94], 1.0
	v_fma_f64 v[93:94], v[93:94], v[97:98], v[93:94]
	v_fma_f64 v[97:98], -v[91:92], v[93:94], 1.0
	v_fma_f64 v[93:94], v[93:94], v[97:98], v[93:94]
	v_mul_f64 v[97:98], v[99:100], v[93:94]
	v_fma_f64 v[91:92], -v[91:92], v[97:98], v[99:100]
	v_div_fmas_f64 v[91:92], v[91:92], v[93:94], v[97:98]
	v_div_fixup_f64 v[93:94], v[91:92], v[89:90], 1.0
	v_mul_f64 v[95:96], v[95:96], -v[93:94]
.LBB43_124:
	s_or_b64 exec, exec, s[2:3]
	ds_write2_b64 v127, v[93:94], v[95:96] offset1:1
.LBB43_125:
	s_or_b64 exec, exec, s[4:5]
	s_waitcnt lgkmcnt(0)
	s_barrier
	ds_read2_b64 v[89:92], v127 offset1:1
	v_cmp_lt_u32_e32 vcc, 13, v0
	s_waitcnt lgkmcnt(0)
	buffer_store_dword v89, off, s[20:23], 0 offset:320 ; 4-byte Folded Spill
	s_nop 0
	buffer_store_dword v90, off, s[20:23], 0 offset:324 ; 4-byte Folded Spill
	buffer_store_dword v91, off, s[20:23], 0 offset:328 ; 4-byte Folded Spill
	;; [unrolled: 1-line block ×3, first 2 shown]
	s_and_saveexec_b64 s[2:3], vcc
	s_cbranch_execz .LBB43_127
; %bb.126:
	buffer_load_dword v91, off, s[20:23], 0 offset:320 ; 4-byte Folded Reload
	buffer_load_dword v92, off, s[20:23], 0 offset:324 ; 4-byte Folded Reload
	;; [unrolled: 1-line block ×4, first 2 shown]
	s_waitcnt vmcnt(2)
	v_mul_f64 v[89:90], v[91:92], v[31:32]
	s_waitcnt vmcnt(0)
	v_mul_f64 v[31:32], v[93:94], v[31:32]
	v_fma_f64 v[89:90], v[93:94], v[29:30], v[89:90]
	v_fma_f64 v[29:30], v[91:92], v[29:30], -v[31:32]
	ds_read2_b64 v[91:94], v125 offset0:28 offset1:29
	s_waitcnt lgkmcnt(0)
	v_mul_f64 v[31:32], v[93:94], v[89:90]
	v_fma_f64 v[31:32], v[91:92], v[29:30], -v[31:32]
	v_mul_f64 v[91:92], v[91:92], v[89:90]
	v_add_f64 v[25:26], v[25:26], -v[31:32]
	v_fma_f64 v[91:92], v[93:94], v[29:30], v[91:92]
	v_add_f64 v[27:28], v[27:28], -v[91:92]
	ds_read2_b64 v[91:94], v125 offset0:30 offset1:31
	s_waitcnt lgkmcnt(0)
	v_mul_f64 v[31:32], v[93:94], v[89:90]
	v_fma_f64 v[31:32], v[91:92], v[29:30], -v[31:32]
	v_mul_f64 v[91:92], v[91:92], v[89:90]
	v_add_f64 v[21:22], v[21:22], -v[31:32]
	v_fma_f64 v[91:92], v[93:94], v[29:30], v[91:92]
	v_add_f64 v[23:24], v[23:24], -v[91:92]
	;; [unrolled: 8-line block ×7, first 2 shown]
	ds_read2_b64 v[91:94], v125 offset0:42 offset1:43
	s_waitcnt lgkmcnt(0)
	v_mul_f64 v[31:32], v[93:94], v[89:90]
	v_fma_f64 v[31:32], v[91:92], v[29:30], -v[31:32]
	v_mul_f64 v[91:92], v[91:92], v[89:90]
	v_add_f64 v[109:110], v[109:110], -v[31:32]
	v_fma_f64 v[91:92], v[93:94], v[29:30], v[91:92]
	v_mov_b32_e32 v31, v89
	v_mov_b32_e32 v32, v90
	v_add_f64 v[111:112], v[111:112], -v[91:92]
.LBB43_127:
	s_or_b64 exec, exec, s[2:3]
	v_cmp_eq_u32_e32 vcc, 14, v0
	s_waitcnt vmcnt(0)
	s_barrier
	s_and_saveexec_b64 s[4:5], vcc
	s_cbranch_execz .LBB43_134
; %bb.128:
	ds_write2_b64 v127, v[25:26], v[27:28] offset1:1
	ds_write2_b64 v125, v[21:22], v[23:24] offset0:30 offset1:31
	ds_write2_b64 v125, v[17:18], v[19:20] offset0:32 offset1:33
	;; [unrolled: 1-line block ×7, first 2 shown]
	ds_read2_b64 v[89:92], v127 offset1:1
	s_waitcnt lgkmcnt(0)
	v_cmp_neq_f64_e32 vcc, 0, v[89:90]
	v_cmp_neq_f64_e64 s[2:3], 0, v[91:92]
	s_or_b64 s[2:3], vcc, s[2:3]
	s_and_b64 exec, exec, s[2:3]
	s_cbranch_execz .LBB43_134
; %bb.129:
	v_cmp_ngt_f64_e64 s[2:3], |v[89:90]|, |v[91:92]|
                                        ; implicit-def: $vgpr93_vgpr94
	s_and_saveexec_b64 s[6:7], s[2:3]
	s_xor_b64 s[2:3], exec, s[6:7]
                                        ; implicit-def: $vgpr95_vgpr96
	s_cbranch_execz .LBB43_131
; %bb.130:
	v_div_scale_f64 v[93:94], s[6:7], v[91:92], v[91:92], v[89:90]
	v_rcp_f64_e32 v[95:96], v[93:94]
	v_fma_f64 v[97:98], -v[93:94], v[95:96], 1.0
	v_fma_f64 v[95:96], v[95:96], v[97:98], v[95:96]
	v_div_scale_f64 v[97:98], vcc, v[89:90], v[91:92], v[89:90]
	v_fma_f64 v[99:100], -v[93:94], v[95:96], 1.0
	v_fma_f64 v[95:96], v[95:96], v[99:100], v[95:96]
	v_mul_f64 v[99:100], v[97:98], v[95:96]
	v_fma_f64 v[93:94], -v[93:94], v[99:100], v[97:98]
	v_div_fmas_f64 v[93:94], v[93:94], v[95:96], v[99:100]
	v_div_fixup_f64 v[93:94], v[93:94], v[91:92], v[89:90]
	v_fma_f64 v[89:90], v[89:90], v[93:94], v[91:92]
	v_div_scale_f64 v[91:92], s[6:7], v[89:90], v[89:90], 1.0
	v_div_scale_f64 v[99:100], vcc, 1.0, v[89:90], 1.0
	v_rcp_f64_e32 v[95:96], v[91:92]
	v_fma_f64 v[97:98], -v[91:92], v[95:96], 1.0
	v_fma_f64 v[95:96], v[95:96], v[97:98], v[95:96]
	v_fma_f64 v[97:98], -v[91:92], v[95:96], 1.0
	v_fma_f64 v[95:96], v[95:96], v[97:98], v[95:96]
	v_mul_f64 v[97:98], v[99:100], v[95:96]
	v_fma_f64 v[91:92], -v[91:92], v[97:98], v[99:100]
	v_div_fmas_f64 v[91:92], v[91:92], v[95:96], v[97:98]
	v_div_fixup_f64 v[95:96], v[91:92], v[89:90], 1.0
                                        ; implicit-def: $vgpr89_vgpr90
	v_mul_f64 v[93:94], v[93:94], v[95:96]
	v_xor_b32_e32 v96, 0x80000000, v96
.LBB43_131:
	s_andn2_saveexec_b64 s[2:3], s[2:3]
	s_cbranch_execz .LBB43_133
; %bb.132:
	v_div_scale_f64 v[93:94], s[6:7], v[89:90], v[89:90], v[91:92]
	v_rcp_f64_e32 v[95:96], v[93:94]
	v_fma_f64 v[97:98], -v[93:94], v[95:96], 1.0
	v_fma_f64 v[95:96], v[95:96], v[97:98], v[95:96]
	v_div_scale_f64 v[97:98], vcc, v[91:92], v[89:90], v[91:92]
	v_fma_f64 v[99:100], -v[93:94], v[95:96], 1.0
	v_fma_f64 v[95:96], v[95:96], v[99:100], v[95:96]
	v_mul_f64 v[99:100], v[97:98], v[95:96]
	v_fma_f64 v[93:94], -v[93:94], v[99:100], v[97:98]
	v_div_fmas_f64 v[93:94], v[93:94], v[95:96], v[99:100]
	v_div_fixup_f64 v[95:96], v[93:94], v[89:90], v[91:92]
	v_fma_f64 v[89:90], v[91:92], v[95:96], v[89:90]
	v_div_scale_f64 v[91:92], s[6:7], v[89:90], v[89:90], 1.0
	v_div_scale_f64 v[99:100], vcc, 1.0, v[89:90], 1.0
	v_rcp_f64_e32 v[93:94], v[91:92]
	v_fma_f64 v[97:98], -v[91:92], v[93:94], 1.0
	v_fma_f64 v[93:94], v[93:94], v[97:98], v[93:94]
	v_fma_f64 v[97:98], -v[91:92], v[93:94], 1.0
	v_fma_f64 v[93:94], v[93:94], v[97:98], v[93:94]
	v_mul_f64 v[97:98], v[99:100], v[93:94]
	v_fma_f64 v[91:92], -v[91:92], v[97:98], v[99:100]
	v_div_fmas_f64 v[91:92], v[91:92], v[93:94], v[97:98]
	v_div_fixup_f64 v[93:94], v[91:92], v[89:90], 1.0
	v_mul_f64 v[95:96], v[95:96], -v[93:94]
.LBB43_133:
	s_or_b64 exec, exec, s[2:3]
	ds_write2_b64 v127, v[93:94], v[95:96] offset1:1
.LBB43_134:
	s_or_b64 exec, exec, s[4:5]
	s_waitcnt lgkmcnt(0)
	s_barrier
	ds_read2_b64 v[89:92], v127 offset1:1
	v_cmp_lt_u32_e32 vcc, 14, v0
	s_waitcnt lgkmcnt(0)
	buffer_store_dword v89, off, s[20:23], 0 offset:336 ; 4-byte Folded Spill
	s_nop 0
	buffer_store_dword v90, off, s[20:23], 0 offset:340 ; 4-byte Folded Spill
	buffer_store_dword v91, off, s[20:23], 0 offset:344 ; 4-byte Folded Spill
	;; [unrolled: 1-line block ×3, first 2 shown]
	s_and_saveexec_b64 s[2:3], vcc
	s_cbranch_execz .LBB43_136
; %bb.135:
	buffer_load_dword v91, off, s[20:23], 0 offset:336 ; 4-byte Folded Reload
	buffer_load_dword v92, off, s[20:23], 0 offset:340 ; 4-byte Folded Reload
	;; [unrolled: 1-line block ×4, first 2 shown]
	s_waitcnt vmcnt(2)
	v_mul_f64 v[89:90], v[91:92], v[27:28]
	s_waitcnt vmcnt(0)
	v_mul_f64 v[27:28], v[93:94], v[27:28]
	v_fma_f64 v[89:90], v[93:94], v[25:26], v[89:90]
	v_fma_f64 v[25:26], v[91:92], v[25:26], -v[27:28]
	ds_read2_b64 v[91:94], v125 offset0:30 offset1:31
	s_waitcnt lgkmcnt(0)
	v_mul_f64 v[27:28], v[93:94], v[89:90]
	v_fma_f64 v[27:28], v[91:92], v[25:26], -v[27:28]
	v_mul_f64 v[91:92], v[91:92], v[89:90]
	v_add_f64 v[21:22], v[21:22], -v[27:28]
	v_fma_f64 v[91:92], v[93:94], v[25:26], v[91:92]
	v_add_f64 v[23:24], v[23:24], -v[91:92]
	ds_read2_b64 v[91:94], v125 offset0:32 offset1:33
	s_waitcnt lgkmcnt(0)
	v_mul_f64 v[27:28], v[93:94], v[89:90]
	v_fma_f64 v[27:28], v[91:92], v[25:26], -v[27:28]
	v_mul_f64 v[91:92], v[91:92], v[89:90]
	v_add_f64 v[17:18], v[17:18], -v[27:28]
	v_fma_f64 v[91:92], v[93:94], v[25:26], v[91:92]
	v_add_f64 v[19:20], v[19:20], -v[91:92]
	;; [unrolled: 8-line block ×6, first 2 shown]
	ds_read2_b64 v[91:94], v125 offset0:42 offset1:43
	s_waitcnt lgkmcnt(0)
	v_mul_f64 v[27:28], v[93:94], v[89:90]
	v_fma_f64 v[27:28], v[91:92], v[25:26], -v[27:28]
	v_mul_f64 v[91:92], v[91:92], v[89:90]
	v_add_f64 v[109:110], v[109:110], -v[27:28]
	v_fma_f64 v[91:92], v[93:94], v[25:26], v[91:92]
	v_mov_b32_e32 v27, v89
	v_mov_b32_e32 v28, v90
	v_add_f64 v[111:112], v[111:112], -v[91:92]
.LBB43_136:
	s_or_b64 exec, exec, s[2:3]
	v_cmp_eq_u32_e32 vcc, 15, v0
	s_waitcnt vmcnt(0)
	s_barrier
	s_and_saveexec_b64 s[4:5], vcc
	s_cbranch_execz .LBB43_143
; %bb.137:
	ds_write2_b64 v127, v[21:22], v[23:24] offset1:1
	ds_write2_b64 v125, v[17:18], v[19:20] offset0:32 offset1:33
	ds_write2_b64 v125, v[13:14], v[15:16] offset0:34 offset1:35
	;; [unrolled: 1-line block ×6, first 2 shown]
	ds_read2_b64 v[89:92], v127 offset1:1
	s_waitcnt lgkmcnt(0)
	v_cmp_neq_f64_e32 vcc, 0, v[89:90]
	v_cmp_neq_f64_e64 s[2:3], 0, v[91:92]
	s_or_b64 s[2:3], vcc, s[2:3]
	s_and_b64 exec, exec, s[2:3]
	s_cbranch_execz .LBB43_143
; %bb.138:
	v_cmp_ngt_f64_e64 s[2:3], |v[89:90]|, |v[91:92]|
                                        ; implicit-def: $vgpr93_vgpr94
	s_and_saveexec_b64 s[6:7], s[2:3]
	s_xor_b64 s[2:3], exec, s[6:7]
                                        ; implicit-def: $vgpr95_vgpr96
	s_cbranch_execz .LBB43_140
; %bb.139:
	v_div_scale_f64 v[93:94], s[6:7], v[91:92], v[91:92], v[89:90]
	v_rcp_f64_e32 v[95:96], v[93:94]
	v_fma_f64 v[97:98], -v[93:94], v[95:96], 1.0
	v_fma_f64 v[95:96], v[95:96], v[97:98], v[95:96]
	v_div_scale_f64 v[97:98], vcc, v[89:90], v[91:92], v[89:90]
	v_fma_f64 v[99:100], -v[93:94], v[95:96], 1.0
	v_fma_f64 v[95:96], v[95:96], v[99:100], v[95:96]
	v_mul_f64 v[99:100], v[97:98], v[95:96]
	v_fma_f64 v[93:94], -v[93:94], v[99:100], v[97:98]
	v_div_fmas_f64 v[93:94], v[93:94], v[95:96], v[99:100]
	v_div_fixup_f64 v[93:94], v[93:94], v[91:92], v[89:90]
	v_fma_f64 v[89:90], v[89:90], v[93:94], v[91:92]
	v_div_scale_f64 v[91:92], s[6:7], v[89:90], v[89:90], 1.0
	v_div_scale_f64 v[99:100], vcc, 1.0, v[89:90], 1.0
	v_rcp_f64_e32 v[95:96], v[91:92]
	v_fma_f64 v[97:98], -v[91:92], v[95:96], 1.0
	v_fma_f64 v[95:96], v[95:96], v[97:98], v[95:96]
	v_fma_f64 v[97:98], -v[91:92], v[95:96], 1.0
	v_fma_f64 v[95:96], v[95:96], v[97:98], v[95:96]
	v_mul_f64 v[97:98], v[99:100], v[95:96]
	v_fma_f64 v[91:92], -v[91:92], v[97:98], v[99:100]
	v_div_fmas_f64 v[91:92], v[91:92], v[95:96], v[97:98]
	v_div_fixup_f64 v[95:96], v[91:92], v[89:90], 1.0
                                        ; implicit-def: $vgpr89_vgpr90
	v_mul_f64 v[93:94], v[93:94], v[95:96]
	v_xor_b32_e32 v96, 0x80000000, v96
.LBB43_140:
	s_andn2_saveexec_b64 s[2:3], s[2:3]
	s_cbranch_execz .LBB43_142
; %bb.141:
	v_div_scale_f64 v[93:94], s[6:7], v[89:90], v[89:90], v[91:92]
	v_rcp_f64_e32 v[95:96], v[93:94]
	v_fma_f64 v[97:98], -v[93:94], v[95:96], 1.0
	v_fma_f64 v[95:96], v[95:96], v[97:98], v[95:96]
	v_div_scale_f64 v[97:98], vcc, v[91:92], v[89:90], v[91:92]
	v_fma_f64 v[99:100], -v[93:94], v[95:96], 1.0
	v_fma_f64 v[95:96], v[95:96], v[99:100], v[95:96]
	v_mul_f64 v[99:100], v[97:98], v[95:96]
	v_fma_f64 v[93:94], -v[93:94], v[99:100], v[97:98]
	v_div_fmas_f64 v[93:94], v[93:94], v[95:96], v[99:100]
	v_div_fixup_f64 v[95:96], v[93:94], v[89:90], v[91:92]
	v_fma_f64 v[89:90], v[91:92], v[95:96], v[89:90]
	v_div_scale_f64 v[91:92], s[6:7], v[89:90], v[89:90], 1.0
	v_div_scale_f64 v[99:100], vcc, 1.0, v[89:90], 1.0
	v_rcp_f64_e32 v[93:94], v[91:92]
	v_fma_f64 v[97:98], -v[91:92], v[93:94], 1.0
	v_fma_f64 v[93:94], v[93:94], v[97:98], v[93:94]
	v_fma_f64 v[97:98], -v[91:92], v[93:94], 1.0
	v_fma_f64 v[93:94], v[93:94], v[97:98], v[93:94]
	v_mul_f64 v[97:98], v[99:100], v[93:94]
	v_fma_f64 v[91:92], -v[91:92], v[97:98], v[99:100]
	v_div_fmas_f64 v[91:92], v[91:92], v[93:94], v[97:98]
	v_div_fixup_f64 v[93:94], v[91:92], v[89:90], 1.0
	v_mul_f64 v[95:96], v[95:96], -v[93:94]
.LBB43_142:
	s_or_b64 exec, exec, s[2:3]
	ds_write2_b64 v127, v[93:94], v[95:96] offset1:1
.LBB43_143:
	s_or_b64 exec, exec, s[4:5]
	s_waitcnt lgkmcnt(0)
	s_barrier
	ds_read2_b64 v[89:92], v127 offset1:1
	v_cmp_lt_u32_e32 vcc, 15, v0
	s_waitcnt lgkmcnt(0)
	buffer_store_dword v89, off, s[20:23], 0 offset:352 ; 4-byte Folded Spill
	s_nop 0
	buffer_store_dword v90, off, s[20:23], 0 offset:356 ; 4-byte Folded Spill
	buffer_store_dword v91, off, s[20:23], 0 offset:360 ; 4-byte Folded Spill
	;; [unrolled: 1-line block ×3, first 2 shown]
	s_and_saveexec_b64 s[2:3], vcc
	s_cbranch_execz .LBB43_145
; %bb.144:
	buffer_load_dword v91, off, s[20:23], 0 offset:352 ; 4-byte Folded Reload
	buffer_load_dword v92, off, s[20:23], 0 offset:356 ; 4-byte Folded Reload
	;; [unrolled: 1-line block ×4, first 2 shown]
	s_waitcnt vmcnt(2)
	v_mul_f64 v[89:90], v[91:92], v[23:24]
	s_waitcnt vmcnt(0)
	v_mul_f64 v[23:24], v[93:94], v[23:24]
	v_fma_f64 v[89:90], v[93:94], v[21:22], v[89:90]
	v_fma_f64 v[21:22], v[91:92], v[21:22], -v[23:24]
	ds_read2_b64 v[91:94], v125 offset0:32 offset1:33
	s_waitcnt lgkmcnt(0)
	v_mul_f64 v[23:24], v[93:94], v[89:90]
	v_fma_f64 v[23:24], v[91:92], v[21:22], -v[23:24]
	v_mul_f64 v[91:92], v[91:92], v[89:90]
	v_add_f64 v[17:18], v[17:18], -v[23:24]
	v_fma_f64 v[91:92], v[93:94], v[21:22], v[91:92]
	v_add_f64 v[19:20], v[19:20], -v[91:92]
	ds_read2_b64 v[91:94], v125 offset0:34 offset1:35
	s_waitcnt lgkmcnt(0)
	v_mul_f64 v[23:24], v[93:94], v[89:90]
	v_fma_f64 v[23:24], v[91:92], v[21:22], -v[23:24]
	v_mul_f64 v[91:92], v[91:92], v[89:90]
	v_add_f64 v[13:14], v[13:14], -v[23:24]
	v_fma_f64 v[91:92], v[93:94], v[21:22], v[91:92]
	v_add_f64 v[15:16], v[15:16], -v[91:92]
	;; [unrolled: 8-line block ×5, first 2 shown]
	ds_read2_b64 v[91:94], v125 offset0:42 offset1:43
	s_waitcnt lgkmcnt(0)
	v_mul_f64 v[23:24], v[93:94], v[89:90]
	v_fma_f64 v[23:24], v[91:92], v[21:22], -v[23:24]
	v_mul_f64 v[91:92], v[91:92], v[89:90]
	v_add_f64 v[109:110], v[109:110], -v[23:24]
	v_fma_f64 v[91:92], v[93:94], v[21:22], v[91:92]
	v_mov_b32_e32 v23, v89
	v_mov_b32_e32 v24, v90
	v_add_f64 v[111:112], v[111:112], -v[91:92]
.LBB43_145:
	s_or_b64 exec, exec, s[2:3]
	v_cmp_eq_u32_e32 vcc, 16, v0
	s_waitcnt vmcnt(0)
	s_barrier
	s_and_saveexec_b64 s[4:5], vcc
	s_cbranch_execz .LBB43_152
; %bb.146:
	ds_write2_b64 v127, v[17:18], v[19:20] offset1:1
	ds_write2_b64 v125, v[13:14], v[15:16] offset0:34 offset1:35
	ds_write2_b64 v125, v[9:10], v[11:12] offset0:36 offset1:37
	;; [unrolled: 1-line block ×5, first 2 shown]
	ds_read2_b64 v[89:92], v127 offset1:1
	s_waitcnt lgkmcnt(0)
	v_cmp_neq_f64_e32 vcc, 0, v[89:90]
	v_cmp_neq_f64_e64 s[2:3], 0, v[91:92]
	s_or_b64 s[2:3], vcc, s[2:3]
	s_and_b64 exec, exec, s[2:3]
	s_cbranch_execz .LBB43_152
; %bb.147:
	v_cmp_ngt_f64_e64 s[2:3], |v[89:90]|, |v[91:92]|
                                        ; implicit-def: $vgpr93_vgpr94
	s_and_saveexec_b64 s[6:7], s[2:3]
	s_xor_b64 s[2:3], exec, s[6:7]
                                        ; implicit-def: $vgpr95_vgpr96
	s_cbranch_execz .LBB43_149
; %bb.148:
	v_div_scale_f64 v[93:94], s[6:7], v[91:92], v[91:92], v[89:90]
	v_rcp_f64_e32 v[95:96], v[93:94]
	v_fma_f64 v[97:98], -v[93:94], v[95:96], 1.0
	v_fma_f64 v[95:96], v[95:96], v[97:98], v[95:96]
	v_div_scale_f64 v[97:98], vcc, v[89:90], v[91:92], v[89:90]
	v_fma_f64 v[99:100], -v[93:94], v[95:96], 1.0
	v_fma_f64 v[95:96], v[95:96], v[99:100], v[95:96]
	v_mul_f64 v[99:100], v[97:98], v[95:96]
	v_fma_f64 v[93:94], -v[93:94], v[99:100], v[97:98]
	v_div_fmas_f64 v[93:94], v[93:94], v[95:96], v[99:100]
	v_div_fixup_f64 v[93:94], v[93:94], v[91:92], v[89:90]
	v_fma_f64 v[89:90], v[89:90], v[93:94], v[91:92]
	v_div_scale_f64 v[91:92], s[6:7], v[89:90], v[89:90], 1.0
	v_div_scale_f64 v[99:100], vcc, 1.0, v[89:90], 1.0
	v_rcp_f64_e32 v[95:96], v[91:92]
	v_fma_f64 v[97:98], -v[91:92], v[95:96], 1.0
	v_fma_f64 v[95:96], v[95:96], v[97:98], v[95:96]
	v_fma_f64 v[97:98], -v[91:92], v[95:96], 1.0
	v_fma_f64 v[95:96], v[95:96], v[97:98], v[95:96]
	v_mul_f64 v[97:98], v[99:100], v[95:96]
	v_fma_f64 v[91:92], -v[91:92], v[97:98], v[99:100]
	v_div_fmas_f64 v[91:92], v[91:92], v[95:96], v[97:98]
	v_div_fixup_f64 v[95:96], v[91:92], v[89:90], 1.0
                                        ; implicit-def: $vgpr89_vgpr90
	v_mul_f64 v[93:94], v[93:94], v[95:96]
	v_xor_b32_e32 v96, 0x80000000, v96
.LBB43_149:
	s_andn2_saveexec_b64 s[2:3], s[2:3]
	s_cbranch_execz .LBB43_151
; %bb.150:
	v_div_scale_f64 v[93:94], s[6:7], v[89:90], v[89:90], v[91:92]
	v_rcp_f64_e32 v[95:96], v[93:94]
	v_fma_f64 v[97:98], -v[93:94], v[95:96], 1.0
	v_fma_f64 v[95:96], v[95:96], v[97:98], v[95:96]
	v_div_scale_f64 v[97:98], vcc, v[91:92], v[89:90], v[91:92]
	v_fma_f64 v[99:100], -v[93:94], v[95:96], 1.0
	v_fma_f64 v[95:96], v[95:96], v[99:100], v[95:96]
	v_mul_f64 v[99:100], v[97:98], v[95:96]
	v_fma_f64 v[93:94], -v[93:94], v[99:100], v[97:98]
	v_div_fmas_f64 v[93:94], v[93:94], v[95:96], v[99:100]
	v_div_fixup_f64 v[95:96], v[93:94], v[89:90], v[91:92]
	v_fma_f64 v[89:90], v[91:92], v[95:96], v[89:90]
	v_div_scale_f64 v[91:92], s[6:7], v[89:90], v[89:90], 1.0
	v_div_scale_f64 v[99:100], vcc, 1.0, v[89:90], 1.0
	v_rcp_f64_e32 v[93:94], v[91:92]
	v_fma_f64 v[97:98], -v[91:92], v[93:94], 1.0
	v_fma_f64 v[93:94], v[93:94], v[97:98], v[93:94]
	v_fma_f64 v[97:98], -v[91:92], v[93:94], 1.0
	v_fma_f64 v[93:94], v[93:94], v[97:98], v[93:94]
	v_mul_f64 v[97:98], v[99:100], v[93:94]
	v_fma_f64 v[91:92], -v[91:92], v[97:98], v[99:100]
	v_div_fmas_f64 v[91:92], v[91:92], v[93:94], v[97:98]
	v_div_fixup_f64 v[93:94], v[91:92], v[89:90], 1.0
	v_mul_f64 v[95:96], v[95:96], -v[93:94]
.LBB43_151:
	s_or_b64 exec, exec, s[2:3]
	ds_write2_b64 v127, v[93:94], v[95:96] offset1:1
.LBB43_152:
	s_or_b64 exec, exec, s[4:5]
	s_waitcnt lgkmcnt(0)
	s_barrier
	ds_read2_b64 v[89:92], v127 offset1:1
	v_cmp_lt_u32_e32 vcc, 16, v0
	s_waitcnt lgkmcnt(0)
	buffer_store_dword v89, off, s[20:23], 0 offset:368 ; 4-byte Folded Spill
	s_nop 0
	buffer_store_dword v90, off, s[20:23], 0 offset:372 ; 4-byte Folded Spill
	buffer_store_dword v91, off, s[20:23], 0 offset:376 ; 4-byte Folded Spill
	;; [unrolled: 1-line block ×3, first 2 shown]
	s_and_saveexec_b64 s[2:3], vcc
	s_cbranch_execz .LBB43_154
; %bb.153:
	buffer_load_dword v95, off, s[20:23], 0 offset:368 ; 4-byte Folded Reload
	buffer_load_dword v96, off, s[20:23], 0 offset:372 ; 4-byte Folded Reload
	;; [unrolled: 1-line block ×4, first 2 shown]
	s_waitcnt vmcnt(2)
	v_mul_f64 v[89:90], v[95:96], v[19:20]
	s_waitcnt vmcnt(0)
	v_mul_f64 v[19:20], v[97:98], v[19:20]
	v_fma_f64 v[93:94], v[97:98], v[17:18], v[89:90]
	ds_read2_b64 v[89:92], v125 offset0:34 offset1:35
	v_fma_f64 v[17:18], v[95:96], v[17:18], -v[19:20]
	s_waitcnt lgkmcnt(0)
	v_mul_f64 v[19:20], v[91:92], v[93:94]
	v_fma_f64 v[19:20], v[89:90], v[17:18], -v[19:20]
	v_mul_f64 v[89:90], v[89:90], v[93:94]
	v_add_f64 v[13:14], v[13:14], -v[19:20]
	v_fma_f64 v[89:90], v[91:92], v[17:18], v[89:90]
	v_add_f64 v[15:16], v[15:16], -v[89:90]
	ds_read2_b64 v[89:92], v125 offset0:36 offset1:37
	s_waitcnt lgkmcnt(0)
	v_mul_f64 v[19:20], v[91:92], v[93:94]
	v_fma_f64 v[19:20], v[89:90], v[17:18], -v[19:20]
	v_mul_f64 v[89:90], v[89:90], v[93:94]
	v_add_f64 v[9:10], v[9:10], -v[19:20]
	v_fma_f64 v[89:90], v[91:92], v[17:18], v[89:90]
	v_add_f64 v[11:12], v[11:12], -v[89:90]
	ds_read2_b64 v[89:92], v125 offset0:38 offset1:39
	;; [unrolled: 8-line block ×4, first 2 shown]
	s_waitcnt lgkmcnt(0)
	v_mul_f64 v[19:20], v[91:92], v[93:94]
	v_fma_f64 v[19:20], v[89:90], v[17:18], -v[19:20]
	v_mul_f64 v[89:90], v[89:90], v[93:94]
	v_add_f64 v[109:110], v[109:110], -v[19:20]
	v_fma_f64 v[89:90], v[91:92], v[17:18], v[89:90]
	v_mov_b32_e32 v19, v93
	v_mov_b32_e32 v20, v94
	v_add_f64 v[111:112], v[111:112], -v[89:90]
.LBB43_154:
	s_or_b64 exec, exec, s[2:3]
	v_cmp_eq_u32_e32 vcc, 17, v0
	s_waitcnt vmcnt(0)
	s_barrier
	s_and_saveexec_b64 s[4:5], vcc
	s_cbranch_execz .LBB43_161
; %bb.155:
	ds_write2_b64 v127, v[13:14], v[15:16] offset1:1
	ds_write2_b64 v125, v[9:10], v[11:12] offset0:36 offset1:37
	ds_write2_b64 v125, v[5:6], v[7:8] offset0:38 offset1:39
	;; [unrolled: 1-line block ×4, first 2 shown]
	ds_read2_b64 v[89:92], v127 offset1:1
	s_waitcnt lgkmcnt(0)
	v_cmp_neq_f64_e32 vcc, 0, v[89:90]
	v_cmp_neq_f64_e64 s[2:3], 0, v[91:92]
	s_or_b64 s[2:3], vcc, s[2:3]
	s_and_b64 exec, exec, s[2:3]
	s_cbranch_execz .LBB43_161
; %bb.156:
	v_cmp_ngt_f64_e64 s[2:3], |v[89:90]|, |v[91:92]|
                                        ; implicit-def: $vgpr93_vgpr94
	s_and_saveexec_b64 s[6:7], s[2:3]
	s_xor_b64 s[2:3], exec, s[6:7]
                                        ; implicit-def: $vgpr95_vgpr96
	s_cbranch_execz .LBB43_158
; %bb.157:
	v_div_scale_f64 v[93:94], s[6:7], v[91:92], v[91:92], v[89:90]
	v_rcp_f64_e32 v[95:96], v[93:94]
	v_fma_f64 v[97:98], -v[93:94], v[95:96], 1.0
	v_fma_f64 v[95:96], v[95:96], v[97:98], v[95:96]
	v_div_scale_f64 v[97:98], vcc, v[89:90], v[91:92], v[89:90]
	v_fma_f64 v[99:100], -v[93:94], v[95:96], 1.0
	v_fma_f64 v[95:96], v[95:96], v[99:100], v[95:96]
	v_mul_f64 v[99:100], v[97:98], v[95:96]
	v_fma_f64 v[93:94], -v[93:94], v[99:100], v[97:98]
	v_div_fmas_f64 v[93:94], v[93:94], v[95:96], v[99:100]
	v_div_fixup_f64 v[93:94], v[93:94], v[91:92], v[89:90]
	v_fma_f64 v[89:90], v[89:90], v[93:94], v[91:92]
	v_div_scale_f64 v[91:92], s[6:7], v[89:90], v[89:90], 1.0
	v_div_scale_f64 v[99:100], vcc, 1.0, v[89:90], 1.0
	v_rcp_f64_e32 v[95:96], v[91:92]
	v_fma_f64 v[97:98], -v[91:92], v[95:96], 1.0
	v_fma_f64 v[95:96], v[95:96], v[97:98], v[95:96]
	v_fma_f64 v[97:98], -v[91:92], v[95:96], 1.0
	v_fma_f64 v[95:96], v[95:96], v[97:98], v[95:96]
	v_mul_f64 v[97:98], v[99:100], v[95:96]
	v_fma_f64 v[91:92], -v[91:92], v[97:98], v[99:100]
	v_div_fmas_f64 v[91:92], v[91:92], v[95:96], v[97:98]
	v_div_fixup_f64 v[95:96], v[91:92], v[89:90], 1.0
                                        ; implicit-def: $vgpr89_vgpr90
	v_mul_f64 v[93:94], v[93:94], v[95:96]
	v_xor_b32_e32 v96, 0x80000000, v96
.LBB43_158:
	s_andn2_saveexec_b64 s[2:3], s[2:3]
	s_cbranch_execz .LBB43_160
; %bb.159:
	v_div_scale_f64 v[93:94], s[6:7], v[89:90], v[89:90], v[91:92]
	v_rcp_f64_e32 v[95:96], v[93:94]
	v_fma_f64 v[97:98], -v[93:94], v[95:96], 1.0
	v_fma_f64 v[95:96], v[95:96], v[97:98], v[95:96]
	v_div_scale_f64 v[97:98], vcc, v[91:92], v[89:90], v[91:92]
	v_fma_f64 v[99:100], -v[93:94], v[95:96], 1.0
	v_fma_f64 v[95:96], v[95:96], v[99:100], v[95:96]
	v_mul_f64 v[99:100], v[97:98], v[95:96]
	v_fma_f64 v[93:94], -v[93:94], v[99:100], v[97:98]
	v_div_fmas_f64 v[93:94], v[93:94], v[95:96], v[99:100]
	v_div_fixup_f64 v[95:96], v[93:94], v[89:90], v[91:92]
	v_fma_f64 v[89:90], v[91:92], v[95:96], v[89:90]
	v_div_scale_f64 v[91:92], s[6:7], v[89:90], v[89:90], 1.0
	v_div_scale_f64 v[99:100], vcc, 1.0, v[89:90], 1.0
	v_rcp_f64_e32 v[93:94], v[91:92]
	v_fma_f64 v[97:98], -v[91:92], v[93:94], 1.0
	v_fma_f64 v[93:94], v[93:94], v[97:98], v[93:94]
	v_fma_f64 v[97:98], -v[91:92], v[93:94], 1.0
	v_fma_f64 v[93:94], v[93:94], v[97:98], v[93:94]
	v_mul_f64 v[97:98], v[99:100], v[93:94]
	v_fma_f64 v[91:92], -v[91:92], v[97:98], v[99:100]
	v_div_fmas_f64 v[91:92], v[91:92], v[93:94], v[97:98]
	v_div_fixup_f64 v[93:94], v[91:92], v[89:90], 1.0
	v_mul_f64 v[95:96], v[95:96], -v[93:94]
.LBB43_160:
	s_or_b64 exec, exec, s[2:3]
	ds_write2_b64 v127, v[93:94], v[95:96] offset1:1
.LBB43_161:
	s_or_b64 exec, exec, s[4:5]
	s_waitcnt lgkmcnt(0)
	s_barrier
	ds_read2_b64 v[89:92], v127 offset1:1
	v_cmp_lt_u32_e32 vcc, 17, v0
	s_waitcnt lgkmcnt(0)
	buffer_store_dword v89, off, s[20:23], 0 offset:384 ; 4-byte Folded Spill
	s_nop 0
	buffer_store_dword v90, off, s[20:23], 0 offset:388 ; 4-byte Folded Spill
	buffer_store_dword v91, off, s[20:23], 0 offset:392 ; 4-byte Folded Spill
	;; [unrolled: 1-line block ×3, first 2 shown]
	s_and_saveexec_b64 s[2:3], vcc
	s_cbranch_execz .LBB43_163
; %bb.162:
	buffer_load_dword v95, off, s[20:23], 0 offset:384 ; 4-byte Folded Reload
	buffer_load_dword v96, off, s[20:23], 0 offset:388 ; 4-byte Folded Reload
	;; [unrolled: 1-line block ×4, first 2 shown]
	s_waitcnt vmcnt(2)
	v_mul_f64 v[89:90], v[95:96], v[15:16]
	s_waitcnt vmcnt(0)
	v_mul_f64 v[15:16], v[97:98], v[15:16]
	v_fma_f64 v[93:94], v[97:98], v[13:14], v[89:90]
	ds_read2_b64 v[89:92], v125 offset0:36 offset1:37
	v_fma_f64 v[13:14], v[95:96], v[13:14], -v[15:16]
	s_waitcnt lgkmcnt(0)
	v_mul_f64 v[15:16], v[91:92], v[93:94]
	v_fma_f64 v[15:16], v[89:90], v[13:14], -v[15:16]
	v_mul_f64 v[89:90], v[89:90], v[93:94]
	v_add_f64 v[9:10], v[9:10], -v[15:16]
	v_fma_f64 v[89:90], v[91:92], v[13:14], v[89:90]
	v_add_f64 v[11:12], v[11:12], -v[89:90]
	ds_read2_b64 v[89:92], v125 offset0:38 offset1:39
	s_waitcnt lgkmcnt(0)
	v_mul_f64 v[15:16], v[91:92], v[93:94]
	v_fma_f64 v[15:16], v[89:90], v[13:14], -v[15:16]
	v_mul_f64 v[89:90], v[89:90], v[93:94]
	v_add_f64 v[5:6], v[5:6], -v[15:16]
	v_fma_f64 v[89:90], v[91:92], v[13:14], v[89:90]
	v_add_f64 v[7:8], v[7:8], -v[89:90]
	ds_read2_b64 v[89:92], v125 offset0:40 offset1:41
	s_waitcnt lgkmcnt(0)
	v_mul_f64 v[15:16], v[91:92], v[93:94]
	v_fma_f64 v[15:16], v[89:90], v[13:14], -v[15:16]
	v_mul_f64 v[89:90], v[89:90], v[93:94]
	v_add_f64 v[1:2], v[1:2], -v[15:16]
	v_fma_f64 v[89:90], v[91:92], v[13:14], v[89:90]
	v_add_f64 v[3:4], v[3:4], -v[89:90]
	ds_read2_b64 v[89:92], v125 offset0:42 offset1:43
	s_waitcnt lgkmcnt(0)
	v_mul_f64 v[15:16], v[91:92], v[93:94]
	v_fma_f64 v[15:16], v[89:90], v[13:14], -v[15:16]
	v_mul_f64 v[89:90], v[89:90], v[93:94]
	v_add_f64 v[109:110], v[109:110], -v[15:16]
	v_fma_f64 v[89:90], v[91:92], v[13:14], v[89:90]
	v_mov_b32_e32 v15, v93
	v_mov_b32_e32 v16, v94
	v_add_f64 v[111:112], v[111:112], -v[89:90]
.LBB43_163:
	s_or_b64 exec, exec, s[2:3]
	v_cmp_eq_u32_e32 vcc, 18, v0
	s_waitcnt vmcnt(0)
	s_barrier
	s_and_saveexec_b64 s[4:5], vcc
	s_cbranch_execz .LBB43_170
; %bb.164:
	ds_write2_b64 v127, v[9:10], v[11:12] offset1:1
	ds_write2_b64 v125, v[5:6], v[7:8] offset0:38 offset1:39
	ds_write2_b64 v125, v[1:2], v[3:4] offset0:40 offset1:41
	;; [unrolled: 1-line block ×3, first 2 shown]
	ds_read2_b64 v[89:92], v127 offset1:1
	s_waitcnt lgkmcnt(0)
	v_cmp_neq_f64_e32 vcc, 0, v[89:90]
	v_cmp_neq_f64_e64 s[2:3], 0, v[91:92]
	s_or_b64 s[2:3], vcc, s[2:3]
	s_and_b64 exec, exec, s[2:3]
	s_cbranch_execz .LBB43_170
; %bb.165:
	v_cmp_ngt_f64_e64 s[2:3], |v[89:90]|, |v[91:92]|
                                        ; implicit-def: $vgpr93_vgpr94
	s_and_saveexec_b64 s[6:7], s[2:3]
	s_xor_b64 s[2:3], exec, s[6:7]
                                        ; implicit-def: $vgpr95_vgpr96
	s_cbranch_execz .LBB43_167
; %bb.166:
	v_div_scale_f64 v[93:94], s[6:7], v[91:92], v[91:92], v[89:90]
	v_rcp_f64_e32 v[95:96], v[93:94]
	v_fma_f64 v[97:98], -v[93:94], v[95:96], 1.0
	v_fma_f64 v[95:96], v[95:96], v[97:98], v[95:96]
	v_div_scale_f64 v[97:98], vcc, v[89:90], v[91:92], v[89:90]
	v_fma_f64 v[99:100], -v[93:94], v[95:96], 1.0
	v_fma_f64 v[95:96], v[95:96], v[99:100], v[95:96]
	v_mul_f64 v[99:100], v[97:98], v[95:96]
	v_fma_f64 v[93:94], -v[93:94], v[99:100], v[97:98]
	v_div_fmas_f64 v[93:94], v[93:94], v[95:96], v[99:100]
	v_div_fixup_f64 v[93:94], v[93:94], v[91:92], v[89:90]
	v_fma_f64 v[89:90], v[89:90], v[93:94], v[91:92]
	v_div_scale_f64 v[91:92], s[6:7], v[89:90], v[89:90], 1.0
	v_div_scale_f64 v[99:100], vcc, 1.0, v[89:90], 1.0
	v_rcp_f64_e32 v[95:96], v[91:92]
	v_fma_f64 v[97:98], -v[91:92], v[95:96], 1.0
	v_fma_f64 v[95:96], v[95:96], v[97:98], v[95:96]
	v_fma_f64 v[97:98], -v[91:92], v[95:96], 1.0
	v_fma_f64 v[95:96], v[95:96], v[97:98], v[95:96]
	v_mul_f64 v[97:98], v[99:100], v[95:96]
	v_fma_f64 v[91:92], -v[91:92], v[97:98], v[99:100]
	v_div_fmas_f64 v[91:92], v[91:92], v[95:96], v[97:98]
	v_div_fixup_f64 v[95:96], v[91:92], v[89:90], 1.0
                                        ; implicit-def: $vgpr89_vgpr90
	v_mul_f64 v[93:94], v[93:94], v[95:96]
	v_xor_b32_e32 v96, 0x80000000, v96
.LBB43_167:
	s_andn2_saveexec_b64 s[2:3], s[2:3]
	s_cbranch_execz .LBB43_169
; %bb.168:
	v_div_scale_f64 v[93:94], s[6:7], v[89:90], v[89:90], v[91:92]
	v_rcp_f64_e32 v[95:96], v[93:94]
	v_fma_f64 v[97:98], -v[93:94], v[95:96], 1.0
	v_fma_f64 v[95:96], v[95:96], v[97:98], v[95:96]
	v_div_scale_f64 v[97:98], vcc, v[91:92], v[89:90], v[91:92]
	v_fma_f64 v[99:100], -v[93:94], v[95:96], 1.0
	v_fma_f64 v[95:96], v[95:96], v[99:100], v[95:96]
	v_mul_f64 v[99:100], v[97:98], v[95:96]
	v_fma_f64 v[93:94], -v[93:94], v[99:100], v[97:98]
	v_div_fmas_f64 v[93:94], v[93:94], v[95:96], v[99:100]
	v_div_fixup_f64 v[95:96], v[93:94], v[89:90], v[91:92]
	v_fma_f64 v[89:90], v[91:92], v[95:96], v[89:90]
	v_div_scale_f64 v[91:92], s[6:7], v[89:90], v[89:90], 1.0
	v_div_scale_f64 v[99:100], vcc, 1.0, v[89:90], 1.0
	v_rcp_f64_e32 v[93:94], v[91:92]
	v_fma_f64 v[97:98], -v[91:92], v[93:94], 1.0
	v_fma_f64 v[93:94], v[93:94], v[97:98], v[93:94]
	v_fma_f64 v[97:98], -v[91:92], v[93:94], 1.0
	v_fma_f64 v[93:94], v[93:94], v[97:98], v[93:94]
	v_mul_f64 v[97:98], v[99:100], v[93:94]
	v_fma_f64 v[91:92], -v[91:92], v[97:98], v[99:100]
	v_div_fmas_f64 v[91:92], v[91:92], v[93:94], v[97:98]
	v_div_fixup_f64 v[93:94], v[91:92], v[89:90], 1.0
	v_mul_f64 v[95:96], v[95:96], -v[93:94]
.LBB43_169:
	s_or_b64 exec, exec, s[2:3]
	ds_write2_b64 v127, v[93:94], v[95:96] offset1:1
.LBB43_170:
	s_or_b64 exec, exec, s[4:5]
	s_waitcnt lgkmcnt(0)
	s_barrier
	ds_read2_b64 v[89:92], v127 offset1:1
	v_cmp_lt_u32_e32 vcc, 18, v0
	s_and_saveexec_b64 s[2:3], vcc
	s_cbranch_execz .LBB43_172
; %bb.171:
	s_waitcnt lgkmcnt(0)
	v_mul_f64 v[93:94], v[89:90], v[11:12]
	v_mul_f64 v[11:12], v[91:92], v[11:12]
	v_fma_f64 v[97:98], v[91:92], v[9:10], v[93:94]
	ds_read2_b64 v[93:96], v125 offset0:38 offset1:39
	v_fma_f64 v[9:10], v[89:90], v[9:10], -v[11:12]
	s_waitcnt lgkmcnt(0)
	v_mul_f64 v[11:12], v[95:96], v[97:98]
	v_fma_f64 v[11:12], v[93:94], v[9:10], -v[11:12]
	v_mul_f64 v[93:94], v[93:94], v[97:98]
	v_add_f64 v[5:6], v[5:6], -v[11:12]
	v_fma_f64 v[93:94], v[95:96], v[9:10], v[93:94]
	v_add_f64 v[7:8], v[7:8], -v[93:94]
	ds_read2_b64 v[93:96], v125 offset0:40 offset1:41
	s_waitcnt lgkmcnt(0)
	v_mul_f64 v[11:12], v[95:96], v[97:98]
	v_fma_f64 v[11:12], v[93:94], v[9:10], -v[11:12]
	v_mul_f64 v[93:94], v[93:94], v[97:98]
	v_add_f64 v[1:2], v[1:2], -v[11:12]
	v_fma_f64 v[93:94], v[95:96], v[9:10], v[93:94]
	v_add_f64 v[3:4], v[3:4], -v[93:94]
	ds_read2_b64 v[93:96], v125 offset0:42 offset1:43
	s_waitcnt lgkmcnt(0)
	v_mul_f64 v[11:12], v[95:96], v[97:98]
	v_fma_f64 v[11:12], v[93:94], v[9:10], -v[11:12]
	v_mul_f64 v[93:94], v[93:94], v[97:98]
	v_add_f64 v[109:110], v[109:110], -v[11:12]
	v_fma_f64 v[93:94], v[95:96], v[9:10], v[93:94]
	v_mov_b32_e32 v11, v97
	v_mov_b32_e32 v12, v98
	v_add_f64 v[111:112], v[111:112], -v[93:94]
.LBB43_172:
	s_or_b64 exec, exec, s[2:3]
	v_cmp_eq_u32_e32 vcc, 19, v0
	s_waitcnt lgkmcnt(0)
	s_barrier
	s_and_saveexec_b64 s[4:5], vcc
	s_cbranch_execz .LBB43_179
; %bb.173:
	ds_write2_b64 v127, v[5:6], v[7:8] offset1:1
	ds_write2_b64 v125, v[1:2], v[3:4] offset0:40 offset1:41
	ds_write2_b64 v125, v[109:110], v[111:112] offset0:42 offset1:43
	ds_read2_b64 v[93:96], v127 offset1:1
	s_waitcnt lgkmcnt(0)
	v_cmp_neq_f64_e32 vcc, 0, v[93:94]
	v_cmp_neq_f64_e64 s[2:3], 0, v[95:96]
	s_or_b64 s[2:3], vcc, s[2:3]
	s_and_b64 exec, exec, s[2:3]
	s_cbranch_execz .LBB43_179
; %bb.174:
	v_cmp_ngt_f64_e64 s[2:3], |v[93:94]|, |v[95:96]|
                                        ; implicit-def: $vgpr97_vgpr98
	s_and_saveexec_b64 s[6:7], s[2:3]
	s_xor_b64 s[2:3], exec, s[6:7]
                                        ; implicit-def: $vgpr99_vgpr100
	s_cbranch_execz .LBB43_176
; %bb.175:
	v_div_scale_f64 v[97:98], s[6:7], v[95:96], v[95:96], v[93:94]
	v_rcp_f64_e32 v[99:100], v[97:98]
	v_fma_f64 v[101:102], -v[97:98], v[99:100], 1.0
	v_fma_f64 v[99:100], v[99:100], v[101:102], v[99:100]
	v_div_scale_f64 v[101:102], vcc, v[93:94], v[95:96], v[93:94]
	v_fma_f64 v[103:104], -v[97:98], v[99:100], 1.0
	v_fma_f64 v[99:100], v[99:100], v[103:104], v[99:100]
	v_mul_f64 v[103:104], v[101:102], v[99:100]
	v_fma_f64 v[97:98], -v[97:98], v[103:104], v[101:102]
	v_div_fmas_f64 v[97:98], v[97:98], v[99:100], v[103:104]
	v_div_fixup_f64 v[97:98], v[97:98], v[95:96], v[93:94]
	v_fma_f64 v[93:94], v[93:94], v[97:98], v[95:96]
	v_div_scale_f64 v[95:96], s[6:7], v[93:94], v[93:94], 1.0
	v_div_scale_f64 v[103:104], vcc, 1.0, v[93:94], 1.0
	v_rcp_f64_e32 v[99:100], v[95:96]
	v_fma_f64 v[101:102], -v[95:96], v[99:100], 1.0
	v_fma_f64 v[99:100], v[99:100], v[101:102], v[99:100]
	v_fma_f64 v[101:102], -v[95:96], v[99:100], 1.0
	v_fma_f64 v[99:100], v[99:100], v[101:102], v[99:100]
	v_mul_f64 v[101:102], v[103:104], v[99:100]
	v_fma_f64 v[95:96], -v[95:96], v[101:102], v[103:104]
	v_div_fmas_f64 v[95:96], v[95:96], v[99:100], v[101:102]
	v_div_fixup_f64 v[99:100], v[95:96], v[93:94], 1.0
                                        ; implicit-def: $vgpr93_vgpr94
	v_mul_f64 v[97:98], v[97:98], v[99:100]
	v_xor_b32_e32 v100, 0x80000000, v100
.LBB43_176:
	s_andn2_saveexec_b64 s[2:3], s[2:3]
	s_cbranch_execz .LBB43_178
; %bb.177:
	v_div_scale_f64 v[97:98], s[6:7], v[93:94], v[93:94], v[95:96]
	v_rcp_f64_e32 v[99:100], v[97:98]
	v_fma_f64 v[101:102], -v[97:98], v[99:100], 1.0
	v_fma_f64 v[99:100], v[99:100], v[101:102], v[99:100]
	v_div_scale_f64 v[101:102], vcc, v[95:96], v[93:94], v[95:96]
	v_fma_f64 v[103:104], -v[97:98], v[99:100], 1.0
	v_fma_f64 v[99:100], v[99:100], v[103:104], v[99:100]
	v_mul_f64 v[103:104], v[101:102], v[99:100]
	v_fma_f64 v[97:98], -v[97:98], v[103:104], v[101:102]
	v_div_fmas_f64 v[97:98], v[97:98], v[99:100], v[103:104]
	v_div_fixup_f64 v[99:100], v[97:98], v[93:94], v[95:96]
	v_fma_f64 v[93:94], v[95:96], v[99:100], v[93:94]
	v_div_scale_f64 v[95:96], s[6:7], v[93:94], v[93:94], 1.0
	v_div_scale_f64 v[103:104], vcc, 1.0, v[93:94], 1.0
	v_rcp_f64_e32 v[97:98], v[95:96]
	v_fma_f64 v[101:102], -v[95:96], v[97:98], 1.0
	v_fma_f64 v[97:98], v[97:98], v[101:102], v[97:98]
	v_fma_f64 v[101:102], -v[95:96], v[97:98], 1.0
	v_fma_f64 v[97:98], v[97:98], v[101:102], v[97:98]
	v_mul_f64 v[101:102], v[103:104], v[97:98]
	v_fma_f64 v[95:96], -v[95:96], v[101:102], v[103:104]
	v_div_fmas_f64 v[95:96], v[95:96], v[97:98], v[101:102]
	v_div_fixup_f64 v[97:98], v[95:96], v[93:94], 1.0
	v_mul_f64 v[99:100], v[99:100], -v[97:98]
.LBB43_178:
	s_or_b64 exec, exec, s[2:3]
	ds_write2_b64 v127, v[97:98], v[99:100] offset1:1
.LBB43_179:
	s_or_b64 exec, exec, s[4:5]
	s_waitcnt lgkmcnt(0)
	s_barrier
	ds_read2_b64 v[97:100], v127 offset1:1
	v_cmp_lt_u32_e32 vcc, 19, v0
	s_and_saveexec_b64 s[2:3], vcc
	s_cbranch_execz .LBB43_181
; %bb.180:
	s_waitcnt lgkmcnt(0)
	v_mul_f64 v[93:94], v[97:98], v[7:8]
	v_mul_f64 v[7:8], v[99:100], v[7:8]
	v_fma_f64 v[101:102], v[99:100], v[5:6], v[93:94]
	ds_read2_b64 v[93:96], v125 offset0:40 offset1:41
	v_fma_f64 v[5:6], v[97:98], v[5:6], -v[7:8]
	s_waitcnt lgkmcnt(0)
	v_mul_f64 v[7:8], v[95:96], v[101:102]
	v_fma_f64 v[7:8], v[93:94], v[5:6], -v[7:8]
	v_mul_f64 v[93:94], v[93:94], v[101:102]
	v_add_f64 v[1:2], v[1:2], -v[7:8]
	v_fma_f64 v[93:94], v[95:96], v[5:6], v[93:94]
	v_add_f64 v[3:4], v[3:4], -v[93:94]
	ds_read2_b64 v[93:96], v125 offset0:42 offset1:43
	s_waitcnt lgkmcnt(0)
	v_mul_f64 v[7:8], v[95:96], v[101:102]
	v_fma_f64 v[7:8], v[93:94], v[5:6], -v[7:8]
	v_mul_f64 v[93:94], v[93:94], v[101:102]
	v_add_f64 v[109:110], v[109:110], -v[7:8]
	v_fma_f64 v[93:94], v[95:96], v[5:6], v[93:94]
	v_mov_b32_e32 v7, v101
	v_mov_b32_e32 v8, v102
	v_add_f64 v[111:112], v[111:112], -v[93:94]
.LBB43_181:
	s_or_b64 exec, exec, s[2:3]
	v_cmp_eq_u32_e32 vcc, 20, v0
	s_waitcnt lgkmcnt(0)
	s_barrier
	s_and_saveexec_b64 s[4:5], vcc
	s_cbranch_execz .LBB43_188
; %bb.182:
	ds_write2_b64 v127, v[1:2], v[3:4] offset1:1
	ds_write2_b64 v125, v[109:110], v[111:112] offset0:42 offset1:43
	ds_read2_b64 v[93:96], v127 offset1:1
	s_waitcnt lgkmcnt(0)
	v_cmp_neq_f64_e32 vcc, 0, v[93:94]
	v_cmp_neq_f64_e64 s[2:3], 0, v[95:96]
	s_or_b64 s[2:3], vcc, s[2:3]
	s_and_b64 exec, exec, s[2:3]
	s_cbranch_execz .LBB43_188
; %bb.183:
	v_cmp_ngt_f64_e64 s[2:3], |v[93:94]|, |v[95:96]|
                                        ; implicit-def: $vgpr101_vgpr102
	s_and_saveexec_b64 s[6:7], s[2:3]
	s_xor_b64 s[2:3], exec, s[6:7]
                                        ; implicit-def: $vgpr103_vgpr104
	s_cbranch_execz .LBB43_185
; %bb.184:
	v_div_scale_f64 v[101:102], s[6:7], v[95:96], v[95:96], v[93:94]
	v_mov_b32_e32 v81, v107
	v_mov_b32_e32 v82, v108
	v_rcp_f64_e32 v[103:104], v[101:102]
	v_fma_f64 v[105:106], -v[101:102], v[103:104], 1.0
	v_fma_f64 v[103:104], v[103:104], v[105:106], v[103:104]
	v_div_scale_f64 v[105:106], vcc, v[93:94], v[95:96], v[93:94]
	v_fma_f64 v[107:108], -v[101:102], v[103:104], 1.0
	v_fma_f64 v[103:104], v[103:104], v[107:108], v[103:104]
	v_mul_f64 v[107:108], v[105:106], v[103:104]
	v_fma_f64 v[101:102], -v[101:102], v[107:108], v[105:106]
	v_div_fmas_f64 v[101:102], v[101:102], v[103:104], v[107:108]
	v_div_fixup_f64 v[101:102], v[101:102], v[95:96], v[93:94]
	v_fma_f64 v[93:94], v[93:94], v[101:102], v[95:96]
	v_div_scale_f64 v[95:96], s[6:7], v[93:94], v[93:94], 1.0
	v_div_scale_f64 v[107:108], vcc, 1.0, v[93:94], 1.0
	v_rcp_f64_e32 v[103:104], v[95:96]
	v_fma_f64 v[105:106], -v[95:96], v[103:104], 1.0
	v_fma_f64 v[103:104], v[103:104], v[105:106], v[103:104]
	v_fma_f64 v[105:106], -v[95:96], v[103:104], 1.0
	v_fma_f64 v[103:104], v[103:104], v[105:106], v[103:104]
	v_mul_f64 v[105:106], v[107:108], v[103:104]
	v_fma_f64 v[95:96], -v[95:96], v[105:106], v[107:108]
	v_mov_b32_e32 v108, v82
	v_mov_b32_e32 v107, v81
	v_div_fmas_f64 v[95:96], v[95:96], v[103:104], v[105:106]
	v_div_fixup_f64 v[103:104], v[95:96], v[93:94], 1.0
                                        ; implicit-def: $vgpr93_vgpr94
	v_mul_f64 v[101:102], v[101:102], v[103:104]
	v_xor_b32_e32 v104, 0x80000000, v104
.LBB43_185:
	s_andn2_saveexec_b64 s[2:3], s[2:3]
	s_cbranch_execz .LBB43_187
; %bb.186:
	v_div_scale_f64 v[101:102], s[6:7], v[93:94], v[93:94], v[95:96]
	v_mov_b32_e32 v81, v107
	v_mov_b32_e32 v82, v108
	v_rcp_f64_e32 v[103:104], v[101:102]
	v_fma_f64 v[105:106], -v[101:102], v[103:104], 1.0
	v_fma_f64 v[103:104], v[103:104], v[105:106], v[103:104]
	v_div_scale_f64 v[105:106], vcc, v[95:96], v[93:94], v[95:96]
	v_fma_f64 v[107:108], -v[101:102], v[103:104], 1.0
	v_fma_f64 v[103:104], v[103:104], v[107:108], v[103:104]
	v_mul_f64 v[107:108], v[105:106], v[103:104]
	v_fma_f64 v[101:102], -v[101:102], v[107:108], v[105:106]
	v_div_fmas_f64 v[101:102], v[101:102], v[103:104], v[107:108]
	v_div_fixup_f64 v[103:104], v[101:102], v[93:94], v[95:96]
	v_fma_f64 v[93:94], v[95:96], v[103:104], v[93:94]
	v_div_scale_f64 v[95:96], s[6:7], v[93:94], v[93:94], 1.0
	v_div_scale_f64 v[107:108], vcc, 1.0, v[93:94], 1.0
	v_rcp_f64_e32 v[101:102], v[95:96]
	v_fma_f64 v[105:106], -v[95:96], v[101:102], 1.0
	v_fma_f64 v[101:102], v[101:102], v[105:106], v[101:102]
	v_fma_f64 v[105:106], -v[95:96], v[101:102], 1.0
	v_fma_f64 v[101:102], v[101:102], v[105:106], v[101:102]
	v_mul_f64 v[105:106], v[107:108], v[101:102]
	v_fma_f64 v[95:96], -v[95:96], v[105:106], v[107:108]
	v_mov_b32_e32 v108, v82
	v_mov_b32_e32 v107, v81
	v_div_fmas_f64 v[95:96], v[95:96], v[101:102], v[105:106]
	v_div_fixup_f64 v[101:102], v[95:96], v[93:94], 1.0
	v_mul_f64 v[103:104], v[103:104], -v[101:102]
.LBB43_187:
	s_or_b64 exec, exec, s[2:3]
	ds_write2_b64 v127, v[101:102], v[103:104] offset1:1
.LBB43_188:
	s_or_b64 exec, exec, s[4:5]
	s_waitcnt lgkmcnt(0)
	s_barrier
	ds_read2_b64 v[101:104], v127 offset1:1
	v_cmp_lt_u32_e32 vcc, 20, v0
	s_and_saveexec_b64 s[2:3], vcc
	s_cbranch_execz .LBB43_190
; %bb.189:
	s_waitcnt lgkmcnt(0)
	v_mul_f64 v[93:94], v[101:102], v[3:4]
	v_mul_f64 v[3:4], v[103:104], v[3:4]
	v_fma_f64 v[105:106], v[103:104], v[1:2], v[93:94]
	ds_read2_b64 v[93:96], v125 offset0:42 offset1:43
	v_fma_f64 v[1:2], v[101:102], v[1:2], -v[3:4]
	s_waitcnt lgkmcnt(0)
	v_mul_f64 v[3:4], v[95:96], v[105:106]
	v_fma_f64 v[3:4], v[93:94], v[1:2], -v[3:4]
	v_mul_f64 v[93:94], v[93:94], v[105:106]
	v_add_f64 v[109:110], v[109:110], -v[3:4]
	v_fma_f64 v[93:94], v[95:96], v[1:2], v[93:94]
	v_mov_b32_e32 v3, v105
	v_mov_b32_e32 v4, v106
	v_add_f64 v[111:112], v[111:112], -v[93:94]
.LBB43_190:
	s_or_b64 exec, exec, s[2:3]
	v_cmp_eq_u32_e32 vcc, 21, v0
	s_waitcnt lgkmcnt(0)
	s_barrier
	s_and_saveexec_b64 s[4:5], vcc
	s_cbranch_execz .LBB43_197
; %bb.191:
	v_cmp_neq_f64_e32 vcc, 0, v[109:110]
	v_cmp_neq_f64_e64 s[2:3], 0, v[111:112]
	ds_write2_b64 v127, v[109:110], v[111:112] offset1:1
	s_or_b64 s[2:3], vcc, s[2:3]
	s_and_b64 exec, exec, s[2:3]
	s_cbranch_execz .LBB43_197
; %bb.192:
	v_cmp_ngt_f64_e64 s[2:3], |v[109:110]|, |v[111:112]|
                                        ; implicit-def: $vgpr93_vgpr94
	s_and_saveexec_b64 s[6:7], s[2:3]
	s_xor_b64 s[2:3], exec, s[6:7]
                                        ; implicit-def: $vgpr95_vgpr96
	s_cbranch_execz .LBB43_194
; %bb.193:
	v_div_scale_f64 v[93:94], s[6:7], v[111:112], v[111:112], v[109:110]
	v_mov_b32_e32 v81, v107
	v_mov_b32_e32 v82, v108
	v_mov_b32_e32 v85, v109
	v_mov_b32_e32 v86, v110
	v_mov_b32_e32 v87, v111
	v_mov_b32_e32 v88, v112
	v_mov_b32_e32 v65, v89
	v_mov_b32_e32 v66, v90
	v_mov_b32_e32 v67, v91
	v_mov_b32_e32 v68, v92
	v_mov_b32_e32 v92, v4
	v_mov_b32_e32 v91, v3
	v_mov_b32_e32 v90, v2
	v_mov_b32_e32 v89, v1
	v_rcp_f64_e32 v[95:96], v[93:94]
	v_mov_b32_e32 v1, v5
	v_mov_b32_e32 v2, v6
	;; [unrolled: 1-line block ×15, first 2 shown]
	v_fma_f64 v[105:106], -v[93:94], v[95:96], 1.0
	v_mov_b32_e32 v16, v20
	v_mov_b32_e32 v17, v21
	;; [unrolled: 1-line block ×7, first 2 shown]
	v_fma_f64 v[95:96], v[95:96], v[105:106], v[95:96]
	v_div_scale_f64 v[105:106], vcc, v[109:110], v[111:112], v[109:110]
	v_mov_b32_e32 v23, v27
	v_mov_b32_e32 v24, v28
	;; [unrolled: 1-line block ×5, first 2 shown]
	v_fma_f64 v[107:108], -v[93:94], v[95:96], 1.0
	v_mov_b32_e32 v28, v124
	v_mov_b32_e32 v124, v32
	;; [unrolled: 1-line block ×7, first 2 shown]
	v_fma_f64 v[95:96], v[95:96], v[107:108], v[95:96]
	v_mov_b32_e32 v31, v35
	v_mov_b32_e32 v32, v36
	;; [unrolled: 1-line block ×7, first 2 shown]
	v_mul_f64 v[107:108], v[105:106], v[95:96]
	v_mov_b32_e32 v38, v42
	v_mov_b32_e32 v39, v43
	;; [unrolled: 1-line block ×7, first 2 shown]
	v_fma_f64 v[93:94], -v[93:94], v[107:108], v[105:106]
	v_mov_b32_e32 v45, v49
	v_mov_b32_e32 v46, v50
	;; [unrolled: 1-line block ×7, first 2 shown]
	v_div_fmas_f64 v[93:94], v[93:94], v[95:96], v[107:108]
	v_mov_b32_e32 v52, v56
	v_mov_b32_e32 v53, v117
	;; [unrolled: 1-line block ×15, first 2 shown]
	v_div_fixup_f64 v[93:94], v[93:94], v[111:112], v[109:110]
	v_mov_b32_e32 v63, v71
	v_mov_b32_e32 v64, v72
	;; [unrolled: 1-line block ×7, first 2 shown]
	v_fma_f64 v[95:96], v[109:110], v[93:94], v[111:112]
	v_mov_b32_e32 v74, v78
	v_mov_b32_e32 v75, v79
	v_mov_b32_e32 v76, v80
	v_mov_b32_e32 v77, v115
	v_mov_b32_e32 v78, v116
	v_mov_b32_e32 v116, v78
	v_mov_b32_e32 v115, v77
	v_div_scale_f64 v[105:106], s[6:7], v[95:96], v[95:96], 1.0
	v_div_scale_f64 v[109:110], vcc, 1.0, v[95:96], 1.0
	v_mov_b32_e32 v80, v76
	v_mov_b32_e32 v79, v75
	;; [unrolled: 1-line block ×12, first 2 shown]
	v_rcp_f64_e32 v[107:108], v[105:106]
	v_mov_b32_e32 v64, v60
	v_mov_b32_e32 v63, v59
	v_mov_b32_e32 v62, v58
	v_mov_b32_e32 v61, v57
	v_mov_b32_e32 v57, v117
	v_mov_b32_e32 v58, v118
	v_mov_b32_e32 v59, v119
	v_mov_b32_e32 v60, v120
	v_mov_b32_e32 v120, v56
	v_mov_b32_e32 v119, v55
	v_mov_b32_e32 v118, v54
	v_mov_b32_e32 v117, v53
	v_mov_b32_e32 v56, v52
	v_mov_b32_e32 v55, v51
	v_mov_b32_e32 v54, v50
	v_fma_f64 v[125:126], -v[105:106], v[107:108], 1.0
	v_mov_b32_e32 v53, v49
	v_mov_b32_e32 v52, v48
	;; [unrolled: 1-line block ×7, first 2 shown]
	v_fma_f64 v[107:108], v[107:108], v[125:126], v[107:108]
	v_mov_b32_e32 v46, v42
	v_mov_b32_e32 v45, v41
	;; [unrolled: 1-line block ×7, first 2 shown]
	v_fma_f64 v[125:126], -v[105:106], v[107:108], 1.0
	v_mov_b32_e32 v39, v35
	v_mov_b32_e32 v38, v34
	;; [unrolled: 1-line block ×7, first 2 shown]
	v_fma_f64 v[107:108], v[107:108], v[125:126], v[107:108]
	v_mov_b32_e32 v29, v121
	v_mov_b32_e32 v30, v122
	;; [unrolled: 1-line block ×7, first 2 shown]
	v_mul_f64 v[111:112], v[109:110], v[107:108]
	v_mov_b32_e32 v121, v25
	v_mov_b32_e32 v28, v24
	;; [unrolled: 1-line block ×7, first 2 shown]
	v_fma_f64 v[105:106], -v[105:106], v[111:112], v[109:110]
	v_mov_b32_e32 v22, v18
	v_mov_b32_e32 v21, v17
	;; [unrolled: 1-line block ×7, first 2 shown]
	v_div_fmas_f64 v[105:106], v[105:106], v[107:108], v[111:112]
	v_mov_b32_e32 v15, v11
	v_mov_b32_e32 v14, v10
	;; [unrolled: 1-line block ×15, first 2 shown]
	v_div_fixup_f64 v[95:96], v[105:106], v[95:96], 1.0
	v_mov_b32_e32 v92, v68
	v_mov_b32_e32 v112, v88
	;; [unrolled: 1-line block ×7, first 2 shown]
	v_mul_f64 v[93:94], v[93:94], v[95:96]
	v_mov_b32_e32 v110, v86
	v_mov_b32_e32 v109, v85
	;; [unrolled: 1-line block ×3, first 2 shown]
	v_xor_b32_e32 v96, 0x80000000, v96
.LBB43_194:
	s_andn2_saveexec_b64 s[2:3], s[2:3]
	s_cbranch_execz .LBB43_196
; %bb.195:
	v_div_scale_f64 v[93:94], s[6:7], v[109:110], v[109:110], v[111:112]
	v_mov_b32_e32 v81, v107
	v_mov_b32_e32 v82, v108
	;; [unrolled: 1-line block ×14, first 2 shown]
	v_rcp_f64_e32 v[95:96], v[93:94]
	v_mov_b32_e32 v1, v5
	v_mov_b32_e32 v2, v6
	;; [unrolled: 1-line block ×15, first 2 shown]
	v_fma_f64 v[105:106], -v[93:94], v[95:96], 1.0
	v_mov_b32_e32 v16, v20
	v_mov_b32_e32 v17, v21
	;; [unrolled: 1-line block ×7, first 2 shown]
	v_fma_f64 v[95:96], v[95:96], v[105:106], v[95:96]
	v_div_scale_f64 v[105:106], vcc, v[111:112], v[109:110], v[111:112]
	v_mov_b32_e32 v23, v27
	v_mov_b32_e32 v24, v28
	;; [unrolled: 1-line block ×5, first 2 shown]
	v_fma_f64 v[107:108], -v[93:94], v[95:96], 1.0
	v_mov_b32_e32 v28, v124
	v_mov_b32_e32 v124, v32
	;; [unrolled: 1-line block ×7, first 2 shown]
	v_fma_f64 v[95:96], v[95:96], v[107:108], v[95:96]
	v_mov_b32_e32 v31, v35
	v_mov_b32_e32 v32, v36
	;; [unrolled: 1-line block ×7, first 2 shown]
	v_mul_f64 v[107:108], v[105:106], v[95:96]
	v_mov_b32_e32 v38, v42
	v_mov_b32_e32 v39, v43
	;; [unrolled: 1-line block ×7, first 2 shown]
	v_fma_f64 v[93:94], -v[93:94], v[107:108], v[105:106]
	v_mov_b32_e32 v45, v49
	v_mov_b32_e32 v46, v50
	;; [unrolled: 1-line block ×7, first 2 shown]
	v_div_fmas_f64 v[93:94], v[93:94], v[95:96], v[107:108]
	v_mov_b32_e32 v52, v56
	v_mov_b32_e32 v53, v117
	;; [unrolled: 1-line block ×15, first 2 shown]
	v_div_fixup_f64 v[95:96], v[93:94], v[109:110], v[111:112]
	v_mov_b32_e32 v63, v71
	v_mov_b32_e32 v64, v72
	;; [unrolled: 1-line block ×7, first 2 shown]
	v_fma_f64 v[93:94], v[111:112], v[95:96], v[109:110]
	v_mov_b32_e32 v74, v78
	v_mov_b32_e32 v75, v79
	;; [unrolled: 1-line block ×7, first 2 shown]
	v_div_scale_f64 v[105:106], s[6:7], v[93:94], v[93:94], 1.0
	v_div_scale_f64 v[111:112], vcc, 1.0, v[93:94], 1.0
	v_mov_b32_e32 v80, v76
	v_mov_b32_e32 v79, v75
	;; [unrolled: 1-line block ×12, first 2 shown]
	v_rcp_f64_e32 v[107:108], v[105:106]
	v_mov_b32_e32 v64, v60
	v_mov_b32_e32 v63, v59
	;; [unrolled: 1-line block ×15, first 2 shown]
	v_fma_f64 v[109:110], -v[105:106], v[107:108], 1.0
	v_mov_b32_e32 v53, v49
	v_mov_b32_e32 v52, v48
	;; [unrolled: 1-line block ×7, first 2 shown]
	v_fma_f64 v[107:108], v[107:108], v[109:110], v[107:108]
	v_mov_b32_e32 v46, v42
	v_mov_b32_e32 v45, v41
	;; [unrolled: 1-line block ×7, first 2 shown]
	v_fma_f64 v[109:110], -v[105:106], v[107:108], 1.0
	v_mov_b32_e32 v39, v35
	v_mov_b32_e32 v38, v34
	v_mov_b32_e32 v37, v33
	v_mov_b32_e32 v36, v32
	v_mov_b32_e32 v35, v31
	v_mov_b32_e32 v34, v30
	v_mov_b32_e32 v33, v29
	v_fma_f64 v[107:108], v[107:108], v[109:110], v[107:108]
	v_mov_b32_e32 v29, v121
	v_mov_b32_e32 v30, v122
	;; [unrolled: 1-line block ×7, first 2 shown]
	v_mul_f64 v[109:110], v[111:112], v[107:108]
	v_mov_b32_e32 v121, v25
	v_mov_b32_e32 v28, v24
	;; [unrolled: 1-line block ×7, first 2 shown]
	v_fma_f64 v[105:106], -v[105:106], v[109:110], v[111:112]
	v_mov_b32_e32 v22, v18
	v_mov_b32_e32 v21, v17
	;; [unrolled: 1-line block ×7, first 2 shown]
	v_div_fmas_f64 v[105:106], v[105:106], v[107:108], v[109:110]
	v_mov_b32_e32 v15, v11
	v_mov_b32_e32 v14, v10
	v_mov_b32_e32 v13, v9
	v_mov_b32_e32 v12, v8
	v_mov_b32_e32 v11, v7
	v_mov_b32_e32 v10, v6
	v_mov_b32_e32 v9, v5
	v_mov_b32_e32 v8, v4
	v_mov_b32_e32 v7, v3
	v_mov_b32_e32 v6, v2
	v_mov_b32_e32 v5, v1
	v_mov_b32_e32 v1, v89
	v_mov_b32_e32 v2, v90
	v_mov_b32_e32 v3, v91
	v_mov_b32_e32 v4, v92
	v_div_fixup_f64 v[93:94], v[105:106], v[93:94], 1.0
	v_mov_b32_e32 v92, v68
	v_mov_b32_e32 v112, v88
	;; [unrolled: 1-line block ×7, first 2 shown]
	v_mul_f64 v[95:96], v[95:96], -v[93:94]
	v_mov_b32_e32 v110, v86
	v_mov_b32_e32 v109, v85
	;; [unrolled: 1-line block ×3, first 2 shown]
.LBB43_196:
	s_or_b64 exec, exec, s[2:3]
	ds_write2_b64 v127, v[93:94], v[95:96] offset1:1
.LBB43_197:
	s_or_b64 exec, exec, s[4:5]
	s_waitcnt lgkmcnt(0)
	s_barrier
	ds_read2_b64 v[93:96], v127 offset1:1
	v_mov_b32_e32 v82, v80
	v_mov_b32_e32 v81, v79
	;; [unrolled: 1-line block ×4, first 2 shown]
	s_waitcnt lgkmcnt(0)
	s_barrier
	s_and_saveexec_b64 s[2:3], s[0:1]
	s_cbranch_execz .LBB43_200
; %bb.198:
	v_mov_b32_e32 v65, v109
	v_mov_b32_e32 v66, v110
	;; [unrolled: 1-line block ×8, first 2 shown]
	buffer_load_dword v89, off, s[20:23], 0 offset:112 ; 4-byte Folded Reload
	buffer_load_dword v90, off, s[20:23], 0 offset:116 ; 4-byte Folded Reload
	;; [unrolled: 1-line block ×4, first 2 shown]
	s_waitcnt vmcnt(2)
	v_cmp_eq_f64_e32 vcc, 0, v[89:90]
	s_waitcnt vmcnt(0)
	v_cmp_eq_f64_e64 s[0:1], 0, v[91:92]
	buffer_load_dword v89, off, s[20:23], 0 offset:128 ; 4-byte Folded Reload
	buffer_load_dword v90, off, s[20:23], 0 offset:132 ; 4-byte Folded Reload
	;; [unrolled: 1-line block ×4, first 2 shown]
	s_and_b64 s[4:5], vcc, s[0:1]
	v_cndmask_b32_e64 v105, 0, 1, s[4:5]
	s_waitcnt vmcnt(2)
	v_cmp_neq_f64_e32 vcc, 0, v[89:90]
	s_waitcnt vmcnt(0)
	v_cmp_neq_f64_e64 s[0:1], 0, v[91:92]
	buffer_load_dword v89, off, s[20:23], 0 offset:144 ; 4-byte Folded Reload
	buffer_load_dword v90, off, s[20:23], 0 offset:148 ; 4-byte Folded Reload
	;; [unrolled: 1-line block ×4, first 2 shown]
	s_or_b64 s[0:1], vcc, s[0:1]
	s_or_b64 vcc, s[0:1], s[4:5]
	v_cndmask_b32_e32 v105, 2, v105, vcc
	s_waitcnt vmcnt(2)
	v_cmp_eq_f64_e32 vcc, 0, v[89:90]
	s_waitcnt vmcnt(0)
	v_cmp_eq_f64_e64 s[0:1], 0, v[91:92]
	buffer_load_dword v89, off, s[20:23], 0 offset:160 ; 4-byte Folded Reload
	buffer_load_dword v90, off, s[20:23], 0 offset:164 ; 4-byte Folded Reload
	buffer_load_dword v91, off, s[20:23], 0 offset:168 ; 4-byte Folded Reload
	buffer_load_dword v92, off, s[20:23], 0 offset:172 ; 4-byte Folded Reload
	s_and_b64 s[0:1], vcc, s[0:1]
	v_cmp_eq_u32_e32 vcc, 0, v105
	s_and_b64 s[0:1], s[0:1], vcc
	v_cndmask_b32_e64 v105, v105, 3, s[0:1]
	s_waitcnt vmcnt(2)
	v_cmp_eq_f64_e32 vcc, 0, v[89:90]
	s_waitcnt vmcnt(0)
	v_cmp_eq_f64_e64 s[0:1], 0, v[91:92]
	buffer_load_dword v89, off, s[20:23], 0 offset:176 ; 4-byte Folded Reload
	buffer_load_dword v90, off, s[20:23], 0 offset:180 ; 4-byte Folded Reload
	buffer_load_dword v91, off, s[20:23], 0 offset:184 ; 4-byte Folded Reload
	buffer_load_dword v92, off, s[20:23], 0 offset:188 ; 4-byte Folded Reload
	s_and_b64 s[0:1], vcc, s[0:1]
	v_cmp_eq_u32_e32 vcc, 0, v105
	s_and_b64 s[0:1], s[0:1], vcc
	v_cndmask_b32_e64 v105, v105, 4, s[0:1]
	;; [unrolled: 12-line block ×14, first 2 shown]
	s_waitcnt vmcnt(2)
	v_cmp_eq_f64_e32 vcc, 0, v[89:90]
	s_waitcnt vmcnt(0)
	v_cmp_eq_f64_e64 s[0:1], 0, v[91:92]
	buffer_load_dword v89, off, s[20:23], 0 offset:384 ; 4-byte Folded Reload
	buffer_load_dword v90, off, s[20:23], 0 offset:388 ; 4-byte Folded Reload
	;; [unrolled: 1-line block ×6, first 2 shown]
	s_and_b64 s[0:1], vcc, s[0:1]
	v_cmp_eq_u32_e32 vcc, 0, v105
	s_and_b64 s[0:1], s[0:1], vcc
	v_cndmask_b32_e64 v105, v105, 17, s[0:1]
	s_waitcnt vmcnt(4)
	v_cmp_eq_f64_e32 vcc, 0, v[89:90]
	s_waitcnt vmcnt(2)
	v_cmp_eq_f64_e64 s[0:1], 0, v[91:92]
	v_mov_b32_e32 v92, s11
	s_and_b64 s[0:1], vcc, s[0:1]
	v_cmp_eq_u32_e32 vcc, 0, v105
	s_and_b64 s[0:1], s[0:1], vcc
	v_cndmask_b32_e64 v105, v105, 18, s[0:1]
	v_cmp_eq_f64_e32 vcc, 0, v[109:110]
	v_cmp_eq_f64_e64 s[0:1], 0, v[111:112]
	v_mov_b32_e32 v112, v68
	v_mov_b32_e32 v111, v67
	;; [unrolled: 1-line block ×4, first 2 shown]
	s_and_b64 s[0:1], vcc, s[0:1]
	v_cmp_eq_u32_e32 vcc, 0, v105
	s_and_b64 s[0:1], s[0:1], vcc
	v_cndmask_b32_e64 v89, v105, 19, s[0:1]
	v_cmp_eq_f64_e32 vcc, 0, v[97:98]
	v_cmp_eq_f64_e64 s[0:1], 0, v[99:100]
	s_and_b64 s[0:1], vcc, s[0:1]
	v_cmp_eq_u32_e32 vcc, 0, v89
	s_and_b64 s[0:1], s[0:1], vcc
	v_cndmask_b32_e64 v89, v89, 20, s[0:1]
	v_cmp_eq_f64_e32 vcc, 0, v[101:102]
	v_cmp_eq_f64_e64 s[0:1], 0, v[103:104]
	;; [unrolled: 6-line block ×3, first 2 shown]
	s_and_b64 s[0:1], vcc, s[0:1]
	v_cmp_eq_u32_e32 vcc, 0, v89
	s_and_b64 s[0:1], s[0:1], vcc
	v_cndmask_b32_e64 v91, v89, 22, s[0:1]
	s_waitcnt vmcnt(0)
	v_lshlrev_b64 v[89:90], 2, v[77:78]
	v_cmp_ne_u32_e64 s[0:1], 0, v91
	v_add_co_u32_e32 v89, vcc, s10, v89
	v_addc_co_u32_e32 v90, vcc, v92, v90, vcc
	global_load_dword v92, v[89:90], off
	s_waitcnt vmcnt(0)
	v_cmp_eq_u32_e32 vcc, 0, v92
	s_and_b64 s[0:1], vcc, s[0:1]
	s_and_b64 exec, exec, s[0:1]
	s_cbranch_execz .LBB43_200
; %bb.199:
	v_add_u32_e32 v91, s13, v91
	global_store_dword v[89:90], v91, off
.LBB43_200:
	s_or_b64 exec, exec, s[2:3]
	buffer_load_dword v77, off, s[20:23], 0 offset:96 ; 4-byte Folded Reload
	buffer_load_dword v78, off, s[20:23], 0 offset:100 ; 4-byte Folded Reload
	v_cmp_lt_u32_e32 vcc, 21, v0
	s_waitcnt vmcnt(0)
	global_store_dwordx4 v[77:78], v[121:124], off
	buffer_load_dword v77, off, s[20:23], 0 offset:104 ; 4-byte Folded Reload
	s_nop 0
	buffer_load_dword v78, off, s[20:23], 0 offset:108 ; 4-byte Folded Reload
	s_waitcnt vmcnt(0)
	global_store_dwordx4 v[77:78], v[117:120], off
	buffer_load_dword v65, off, s[20:23], 0 offset:408 ; 4-byte Folded Reload
	buffer_load_dword v66, off, s[20:23], 0 offset:412 ; 4-byte Folded Reload
	v_mul_f64 v[77:78], v[93:94], v[111:112]
	v_fma_f64 v[77:78], v[95:96], v[109:110], v[77:78]
	s_waitcnt vmcnt(0)
	global_store_dwordx4 v[65:66], v[79:82], off
	buffer_load_dword v65, off, s[20:23], 0 offset:400 ; 4-byte Folded Reload
	s_nop 0
	buffer_load_dword v66, off, s[20:23], 0 offset:404 ; 4-byte Folded Reload
	v_mul_f64 v[79:80], v[95:96], v[111:112]
	s_waitcnt vmcnt(0)
	global_store_dwordx4 v[65:66], v[73:76], off
	global_store_dwordx4 v[107:108], v[69:72], off
	buffer_load_dword v69, off, s[20:23], 0 ; 4-byte Folded Reload
	s_nop 0
	buffer_load_dword v70, off, s[20:23], 0 offset:4 ; 4-byte Folded Reload
	v_fma_f64 v[73:74], v[93:94], v[109:110], -v[79:80]
	s_waitcnt vmcnt(0)
	global_store_dwordx4 v[69:70], v[61:64], off
	buffer_load_dword v61, off, s[20:23], 0 offset:416 ; 4-byte Folded Reload
	s_nop 0
	buffer_load_dword v62, off, s[20:23], 0 offset:420 ; 4-byte Folded Reload
	s_waitcnt vmcnt(0)
	global_store_dwordx4 v[61:62], v[57:60], off
	buffer_load_dword v57, off, s[20:23], 0 offset:424 ; 4-byte Folded Reload
	s_nop 0
	buffer_load_dword v58, off, s[20:23], 0 offset:428 ; 4-byte Folded Reload
	s_waitcnt vmcnt(0)
	global_store_dwordx4 v[57:58], v[53:56], off
	global_store_dwordx4 v[83:84], v[49:52], off
	;; [unrolled: 1-line block ×4, first 2 shown]
	buffer_load_dword v41, off, s[20:23], 0 offset:8 ; 4-byte Folded Reload
	s_nop 0
	buffer_load_dword v42, off, s[20:23], 0 offset:12 ; 4-byte Folded Reload
	v_cndmask_b32_e32 v56, v112, v78, vcc
	v_cndmask_b32_e32 v55, v111, v77, vcc
	;; [unrolled: 1-line block ×4, first 2 shown]
	s_waitcnt vmcnt(0)
	global_store_dwordx4 v[41:42], v[37:40], off
	buffer_load_dword v37, off, s[20:23], 0 offset:16 ; 4-byte Folded Reload
	s_nop 0
	buffer_load_dword v38, off, s[20:23], 0 offset:20 ; 4-byte Folded Reload
	s_waitcnt vmcnt(0)
	global_store_dwordx4 v[37:38], v[33:36], off
	buffer_load_dword v33, off, s[20:23], 0 offset:24 ; 4-byte Folded Reload
	s_nop 0
	buffer_load_dword v34, off, s[20:23], 0 offset:28 ; 4-byte Folded Reload
	;; [unrolled: 5-line block ×10, first 2 shown]
	s_waitcnt vmcnt(0)
	global_store_dwordx4 v[0:1], v[53:56], off
.LBB43_201:
	s_endpgm
	.section	.rodata,"a",@progbits
	.p2align	6, 0x0
	.amdhsa_kernel _ZN9rocsolver6v33100L23getf2_npvt_small_kernelILi22E19rocblas_complex_numIdEiiPS3_EEvT1_T3_lS5_lPT2_S5_S5_
		.amdhsa_group_segment_fixed_size 0
		.amdhsa_private_segment_fixed_size 444
		.amdhsa_kernarg_size 312
		.amdhsa_user_sgpr_count 6
		.amdhsa_user_sgpr_private_segment_buffer 1
		.amdhsa_user_sgpr_dispatch_ptr 0
		.amdhsa_user_sgpr_queue_ptr 0
		.amdhsa_user_sgpr_kernarg_segment_ptr 1
		.amdhsa_user_sgpr_dispatch_id 0
		.amdhsa_user_sgpr_flat_scratch_init 0
		.amdhsa_user_sgpr_private_segment_size 0
		.amdhsa_uses_dynamic_stack 0
		.amdhsa_system_sgpr_private_segment_wavefront_offset 1
		.amdhsa_system_sgpr_workgroup_id_x 1
		.amdhsa_system_sgpr_workgroup_id_y 1
		.amdhsa_system_sgpr_workgroup_id_z 0
		.amdhsa_system_sgpr_workgroup_info 0
		.amdhsa_system_vgpr_workitem_id 1
		.amdhsa_next_free_vgpr 128
		.amdhsa_next_free_sgpr 24
		.amdhsa_reserve_vcc 1
		.amdhsa_reserve_flat_scratch 0
		.amdhsa_float_round_mode_32 0
		.amdhsa_float_round_mode_16_64 0
		.amdhsa_float_denorm_mode_32 3
		.amdhsa_float_denorm_mode_16_64 3
		.amdhsa_dx10_clamp 1
		.amdhsa_ieee_mode 1
		.amdhsa_fp16_overflow 0
		.amdhsa_exception_fp_ieee_invalid_op 0
		.amdhsa_exception_fp_denorm_src 0
		.amdhsa_exception_fp_ieee_div_zero 0
		.amdhsa_exception_fp_ieee_overflow 0
		.amdhsa_exception_fp_ieee_underflow 0
		.amdhsa_exception_fp_ieee_inexact 0
		.amdhsa_exception_int_div_zero 0
	.end_amdhsa_kernel
	.section	.text._ZN9rocsolver6v33100L23getf2_npvt_small_kernelILi22E19rocblas_complex_numIdEiiPS3_EEvT1_T3_lS5_lPT2_S5_S5_,"axG",@progbits,_ZN9rocsolver6v33100L23getf2_npvt_small_kernelILi22E19rocblas_complex_numIdEiiPS3_EEvT1_T3_lS5_lPT2_S5_S5_,comdat
.Lfunc_end43:
	.size	_ZN9rocsolver6v33100L23getf2_npvt_small_kernelILi22E19rocblas_complex_numIdEiiPS3_EEvT1_T3_lS5_lPT2_S5_S5_, .Lfunc_end43-_ZN9rocsolver6v33100L23getf2_npvt_small_kernelILi22E19rocblas_complex_numIdEiiPS3_EEvT1_T3_lS5_lPT2_S5_S5_
                                        ; -- End function
	.set _ZN9rocsolver6v33100L23getf2_npvt_small_kernelILi22E19rocblas_complex_numIdEiiPS3_EEvT1_T3_lS5_lPT2_S5_S5_.num_vgpr, 128
	.set _ZN9rocsolver6v33100L23getf2_npvt_small_kernelILi22E19rocblas_complex_numIdEiiPS3_EEvT1_T3_lS5_lPT2_S5_S5_.num_agpr, 0
	.set _ZN9rocsolver6v33100L23getf2_npvt_small_kernelILi22E19rocblas_complex_numIdEiiPS3_EEvT1_T3_lS5_lPT2_S5_S5_.numbered_sgpr, 24
	.set _ZN9rocsolver6v33100L23getf2_npvt_small_kernelILi22E19rocblas_complex_numIdEiiPS3_EEvT1_T3_lS5_lPT2_S5_S5_.num_named_barrier, 0
	.set _ZN9rocsolver6v33100L23getf2_npvt_small_kernelILi22E19rocblas_complex_numIdEiiPS3_EEvT1_T3_lS5_lPT2_S5_S5_.private_seg_size, 444
	.set _ZN9rocsolver6v33100L23getf2_npvt_small_kernelILi22E19rocblas_complex_numIdEiiPS3_EEvT1_T3_lS5_lPT2_S5_S5_.uses_vcc, 1
	.set _ZN9rocsolver6v33100L23getf2_npvt_small_kernelILi22E19rocblas_complex_numIdEiiPS3_EEvT1_T3_lS5_lPT2_S5_S5_.uses_flat_scratch, 0
	.set _ZN9rocsolver6v33100L23getf2_npvt_small_kernelILi22E19rocblas_complex_numIdEiiPS3_EEvT1_T3_lS5_lPT2_S5_S5_.has_dyn_sized_stack, 0
	.set _ZN9rocsolver6v33100L23getf2_npvt_small_kernelILi22E19rocblas_complex_numIdEiiPS3_EEvT1_T3_lS5_lPT2_S5_S5_.has_recursion, 0
	.set _ZN9rocsolver6v33100L23getf2_npvt_small_kernelILi22E19rocblas_complex_numIdEiiPS3_EEvT1_T3_lS5_lPT2_S5_S5_.has_indirect_call, 0
	.section	.AMDGPU.csdata,"",@progbits
; Kernel info:
; codeLenInByte = 34624
; TotalNumSgprs: 28
; NumVgprs: 128
; ScratchSize: 444
; MemoryBound: 1
; FloatMode: 240
; IeeeMode: 1
; LDSByteSize: 0 bytes/workgroup (compile time only)
; SGPRBlocks: 3
; VGPRBlocks: 31
; NumSGPRsForWavesPerEU: 28
; NumVGPRsForWavesPerEU: 128
; Occupancy: 2
; WaveLimiterHint : 0
; COMPUTE_PGM_RSRC2:SCRATCH_EN: 1
; COMPUTE_PGM_RSRC2:USER_SGPR: 6
; COMPUTE_PGM_RSRC2:TRAP_HANDLER: 0
; COMPUTE_PGM_RSRC2:TGID_X_EN: 1
; COMPUTE_PGM_RSRC2:TGID_Y_EN: 1
; COMPUTE_PGM_RSRC2:TGID_Z_EN: 0
; COMPUTE_PGM_RSRC2:TIDIG_COMP_CNT: 1
	.section	.text._ZN9rocsolver6v33100L18getf2_small_kernelILi23E19rocblas_complex_numIdEiiPS3_EEvT1_T3_lS5_lPS5_llPT2_S5_S5_S7_l,"axG",@progbits,_ZN9rocsolver6v33100L18getf2_small_kernelILi23E19rocblas_complex_numIdEiiPS3_EEvT1_T3_lS5_lPS5_llPT2_S5_S5_S7_l,comdat
	.globl	_ZN9rocsolver6v33100L18getf2_small_kernelILi23E19rocblas_complex_numIdEiiPS3_EEvT1_T3_lS5_lPS5_llPT2_S5_S5_S7_l ; -- Begin function _ZN9rocsolver6v33100L18getf2_small_kernelILi23E19rocblas_complex_numIdEiiPS3_EEvT1_T3_lS5_lPS5_llPT2_S5_S5_S7_l
	.p2align	8
	.type	_ZN9rocsolver6v33100L18getf2_small_kernelILi23E19rocblas_complex_numIdEiiPS3_EEvT1_T3_lS5_lPS5_llPT2_S5_S5_S7_l,@function
_ZN9rocsolver6v33100L18getf2_small_kernelILi23E19rocblas_complex_numIdEiiPS3_EEvT1_T3_lS5_lPS5_llPT2_S5_S5_S7_l: ; @_ZN9rocsolver6v33100L18getf2_small_kernelILi23E19rocblas_complex_numIdEiiPS3_EEvT1_T3_lS5_lPS5_llPT2_S5_S5_S7_l
; %bb.0:
	s_load_dword s0, s[4:5], 0x6c
	s_load_dwordx2 s[16:17], s[4:5], 0x48
	s_waitcnt lgkmcnt(0)
	s_lshr_b32 s0, s0, 16
	s_mul_i32 s7, s7, s0
	v_add_u32_e32 v98, s7, v1
	v_cmp_gt_i32_e32 vcc, s16, v98
	s_and_saveexec_b64 s[0:1], vcc
	s_cbranch_execz .LBB44_484
; %bb.1:
	s_load_dwordx4 s[0:3], s[4:5], 0x50
	v_mov_b32_e32 v100, 0
	v_ashrrev_i32_e32 v99, 31, v98
	v_mov_b32_e32 v101, 0
	s_waitcnt lgkmcnt(0)
	s_cmp_eq_u64 s[0:1], 0
	s_cselect_b64 s[18:19], -1, 0
	s_and_b64 vcc, exec, s[18:19]
	s_cbranch_vccnz .LBB44_3
; %bb.2:
	v_mul_lo_u32 v4, s3, v98
	v_mul_lo_u32 v5, s2, v99
	v_mad_u64_u32 v[2:3], s[2:3], s2, v98, 0
	v_add3_u32 v3, v3, v5, v4
	v_lshlrev_b64 v[2:3], 2, v[2:3]
	v_mov_b32_e32 v4, s1
	v_add_co_u32_e32 v100, vcc, s0, v2
	v_addc_co_u32_e32 v101, vcc, v4, v3, vcc
.LBB44_3:
	s_load_dwordx8 s[8:15], s[4:5], 0x20
	s_load_dwordx4 s[0:3], s[4:5], 0x8
	v_lshlrev_b32_e32 v104, 4, v0
	s_waitcnt lgkmcnt(0)
	v_mul_lo_u32 v4, s9, v98
	v_mul_lo_u32 v5, s8, v99
	v_mad_u64_u32 v[2:3], s[6:7], s8, v98, 0
	s_load_dword s6, s[4:5], 0x18
	s_load_dword s22, s[4:5], 0x0
	v_mov_b32_e32 v6, s1
	v_add3_u32 v3, v3, v5, v4
	v_lshlrev_b64 v[2:3], 4, v[2:3]
	s_waitcnt lgkmcnt(0)
	s_add_i32 s16, s6, s6
	v_add_co_u32_e32 v2, vcc, s0, v2
	v_addc_co_u32_e32 v3, vcc, v6, v3, vcc
	s_lshl_b64 s[0:1], s[2:3], 4
	v_mov_b32_e32 v4, s1
	v_add_co_u32_e32 v105, vcc, s0, v2
	v_add_u32_e32 v2, s16, v0
	v_addc_co_u32_e32 v106, vcc, v3, v4, vcc
	v_ashrrev_i32_e32 v3, 31, v2
	v_lshlrev_b64 v[3:4], 4, v[2:3]
	v_add_u32_e32 v5, s6, v2
	v_ashrrev_i32_e32 v6, 31, v5
	v_add_co_u32_e32 v3, vcc, v105, v3
	v_lshlrev_b64 v[6:7], 4, v[5:6]
	v_add_u32_e32 v8, s6, v5
	v_addc_co_u32_e32 v4, vcc, v106, v4, vcc
	v_ashrrev_i32_e32 v9, 31, v8
	v_add_co_u32_e32 v6, vcc, v105, v6
	v_lshlrev_b64 v[9:10], 4, v[8:9]
	v_add_u32_e32 v11, s6, v8
	v_addc_co_u32_e32 v7, vcc, v106, v7, vcc
	;; [unrolled: 5-line block ×9, first 2 shown]
	v_ashrrev_i32_e32 v33, 31, v32
	v_add_co_u32_e32 v30, vcc, v105, v30
	v_lshlrev_b64 v[33:34], 4, v[32:33]
	v_addc_co_u32_e32 v31, vcc, v106, v31, vcc
	v_add_co_u32_e32 v33, vcc, v105, v33
	v_add_u32_e32 v35, s6, v32
	v_addc_co_u32_e32 v34, vcc, v106, v34, vcc
	v_ashrrev_i32_e32 v36, 31, v35
	v_lshlrev_b64 v[36:37], 4, v[35:36]
	v_add_co_u32_e32 v38, vcc, v105, v104
	v_add_u32_e32 v40, s6, v35
	v_addc_co_u32_e32 v39, vcc, 0, v106, vcc
	v_ashrrev_i32_e32 v41, 31, v40
	v_add_co_u32_e32 v36, vcc, v105, v36
	v_lshlrev_b64 v[41:42], 4, v[40:41]
	v_addc_co_u32_e32 v37, vcc, v106, v37, vcc
	v_add_u32_e32 v40, s6, v40
	v_add_co_u32_e32 v90, vcc, v105, v41
	v_ashrrev_i32_e32 v41, 31, v40
	v_addc_co_u32_e32 v91, vcc, v106, v42, vcc
	v_lshlrev_b64 v[41:42], 4, v[40:41]
	v_add_u32_e32 v40, s6, v40
	v_add_co_u32_e32 v92, vcc, v105, v41
	v_ashrrev_i32_e32 v41, 31, v40
	v_addc_co_u32_e32 v93, vcc, v106, v42, vcc
	v_lshlrev_b64 v[41:42], 4, v[40:41]
	v_add_u32_e32 v40, s6, v40
	v_add_co_u32_e32 v94, vcc, v105, v41
	v_ashrrev_i32_e32 v41, 31, v40
	v_addc_co_u32_e32 v95, vcc, v106, v42, vcc
	v_lshlrev_b64 v[41:42], 4, v[40:41]
	v_add_u32_e32 v40, s6, v40
	v_add_co_u32_e32 v96, vcc, v105, v41
	v_ashrrev_i32_e32 v41, 31, v40
	v_addc_co_u32_e32 v97, vcc, v106, v42, vcc
	v_lshlrev_b64 v[41:42], 4, v[40:41]
	v_add_u32_e32 v40, s6, v40
	v_add_co_u32_e32 v102, vcc, v105, v41
	v_ashrrev_i32_e32 v41, 31, v40
	v_addc_co_u32_e32 v103, vcc, v106, v42, vcc
	v_lshlrev_b64 v[41:42], 4, v[40:41]
	v_add_u32_e32 v40, s6, v40
	v_add_co_u32_e32 v107, vcc, v105, v41
	v_ashrrev_i32_e32 v41, 31, v40
	v_addc_co_u32_e32 v108, vcc, v106, v42, vcc
	v_lshlrev_b64 v[41:42], 4, v[40:41]
	v_add_u32_e32 v40, s6, v40
	v_add_co_u32_e32 v109, vcc, v105, v41
	v_ashrrev_i32_e32 v41, 31, v40
	v_addc_co_u32_e32 v110, vcc, v106, v42, vcc
	v_lshlrev_b64 v[41:42], 4, v[40:41]
	v_add_u32_e32 v40, s6, v40
	v_add_co_u32_e32 v111, vcc, v105, v41
	v_ashrrev_i32_e32 v41, 31, v40
	v_lshlrev_b64 v[40:41], 4, v[40:41]
	v_addc_co_u32_e32 v112, vcc, v106, v42, vcc
	v_add_co_u32_e32 v113, vcc, v105, v40
	s_ashr_i32 s7, s6, 31
	v_addc_co_u32_e32 v114, vcc, v106, v41, vcc
	s_lshl_b64 s[2:3], s[6:7], 4
	v_mov_b32_e32 v2, s3
	v_add_co_u32_e32 v40, vcc, s2, v38
	v_addc_co_u32_e32 v41, vcc, v39, v2, vcc
	global_load_dwordx4 v[86:89], v[38:39], off
	global_load_dwordx4 v[82:85], v[40:41], off
                                        ; kill: killed $vgpr38 killed $vgpr39
                                        ; kill: killed $vgpr40 killed $vgpr41
	global_load_dwordx4 v[78:81], v[3:4], off
	global_load_dwordx4 v[74:77], v[6:7], off
	;; [unrolled: 1-line block ×11, first 2 shown]
	s_nop 0
	global_load_dwordx4 v[34:37], v[36:37], off
	s_nop 0
	global_load_dwordx4 v[30:33], v[90:91], off
	global_load_dwordx4 v[26:29], v[92:93], off
	;; [unrolled: 1-line block ×9, first 2 shown]
	s_max_i32 s0, s22, 23
	v_mul_lo_u32 v102, s0, v1
	s_load_dwordx2 s[4:5], s[4:5], 0x40
	s_cmp_lt_i32 s22, 2
	v_lshl_add_u32 v1, v102, 4, 0
	v_add_u32_e32 v94, v1, v104
	v_lshlrev_b32_e32 v108, 4, v102
	v_mov_b32_e32 v102, 0
	s_waitcnt vmcnt(22)
	ds_write2_b64 v94, v[86:87], v[88:89] offset1:1
	s_waitcnt vmcnt(0) lgkmcnt(0)
	s_barrier
	ds_read2_b64 v[94:97], v1 offset1:1
	s_cbranch_scc1 .LBB44_6
; %bb.4:
	v_add3_u32 v103, v108, 0, 16
	s_mov_b32 s7, 1
	v_mov_b32_e32 v102, 0
.LBB44_5:                               ; =>This Inner Loop Header: Depth=1
	s_waitcnt lgkmcnt(0)
	v_cmp_gt_f64_e32 vcc, 0, v[96:97]
	v_cmp_gt_f64_e64 s[0:1], 0, v[94:95]
	ds_read2_b64 v[109:112], v103 offset1:1
	v_xor_b32_e32 v104, 0x80000000, v95
	v_xor_b32_e32 v107, 0x80000000, v97
	v_mov_b32_e32 v113, v94
	v_mov_b32_e32 v115, v96
	s_waitcnt lgkmcnt(0)
	v_mov_b32_e32 v117, v111
	v_cndmask_b32_e32 v116, v97, v107, vcc
	v_cndmask_b32_e64 v114, v95, v104, s[0:1]
	v_cmp_gt_f64_e32 vcc, 0, v[111:112]
	v_cmp_gt_f64_e64 s[0:1], 0, v[109:110]
	v_xor_b32_e32 v104, 0x80000000, v110
	v_xor_b32_e32 v107, 0x80000000, v112
	v_add_f64 v[113:114], v[113:114], v[115:116]
	v_mov_b32_e32 v115, v109
	v_add_u32_e32 v103, 16, v103
	v_cndmask_b32_e32 v118, v112, v107, vcc
	v_cndmask_b32_e64 v116, v110, v104, s[0:1]
	v_add_f64 v[115:116], v[115:116], v[117:118]
	v_mov_b32_e32 v104, s7
	s_add_i32 s7, s7, 1
	s_cmp_eq_u32 s22, s7
	v_cmp_lt_f64_e32 vcc, v[113:114], v[115:116]
	v_cndmask_b32_e32 v95, v95, v110, vcc
	v_cndmask_b32_e32 v94, v94, v109, vcc
	;; [unrolled: 1-line block ×5, first 2 shown]
	s_cbranch_scc0 .LBB44_5
.LBB44_6:
	s_waitcnt lgkmcnt(0)
	v_cmp_neq_f64_e32 vcc, 0, v[94:95]
	v_cmp_neq_f64_e64 s[0:1], 0, v[96:97]
	v_mov_b32_e32 v107, 1
	v_mov_b32_e32 v109, 1
	s_or_b64 s[8:9], vcc, s[0:1]
	s_and_saveexec_b64 s[0:1], s[8:9]
	s_cbranch_execz .LBB44_12
; %bb.7:
	v_cmp_ngt_f64_e64 s[8:9], |v[94:95]|, |v[96:97]|
	s_and_saveexec_b64 s[20:21], s[8:9]
	s_xor_b64 s[8:9], exec, s[20:21]
	s_cbranch_execz .LBB44_9
; %bb.8:
	v_div_scale_f64 v[103:104], s[20:21], v[96:97], v[96:97], v[94:95]
	v_rcp_f64_e32 v[109:110], v[103:104]
	v_fma_f64 v[111:112], -v[103:104], v[109:110], 1.0
	v_fma_f64 v[109:110], v[109:110], v[111:112], v[109:110]
	v_div_scale_f64 v[111:112], vcc, v[94:95], v[96:97], v[94:95]
	v_fma_f64 v[113:114], -v[103:104], v[109:110], 1.0
	v_fma_f64 v[109:110], v[109:110], v[113:114], v[109:110]
	v_mul_f64 v[113:114], v[111:112], v[109:110]
	v_fma_f64 v[103:104], -v[103:104], v[113:114], v[111:112]
	v_div_fmas_f64 v[103:104], v[103:104], v[109:110], v[113:114]
	v_div_fixup_f64 v[103:104], v[103:104], v[96:97], v[94:95]
	v_fma_f64 v[94:95], v[94:95], v[103:104], v[96:97]
	v_div_scale_f64 v[96:97], s[20:21], v[94:95], v[94:95], 1.0
	v_div_scale_f64 v[113:114], vcc, 1.0, v[94:95], 1.0
	v_rcp_f64_e32 v[109:110], v[96:97]
	v_fma_f64 v[111:112], -v[96:97], v[109:110], 1.0
	v_fma_f64 v[109:110], v[109:110], v[111:112], v[109:110]
	v_fma_f64 v[111:112], -v[96:97], v[109:110], 1.0
	v_fma_f64 v[109:110], v[109:110], v[111:112], v[109:110]
	v_mul_f64 v[111:112], v[113:114], v[109:110]
	v_fma_f64 v[96:97], -v[96:97], v[111:112], v[113:114]
	v_div_fmas_f64 v[96:97], v[96:97], v[109:110], v[111:112]
	v_div_fixup_f64 v[96:97], v[96:97], v[94:95], 1.0
	v_mul_f64 v[94:95], v[103:104], v[96:97]
	v_xor_b32_e32 v97, 0x80000000, v97
.LBB44_9:
	s_andn2_saveexec_b64 s[8:9], s[8:9]
	s_cbranch_execz .LBB44_11
; %bb.10:
	v_div_scale_f64 v[103:104], s[20:21], v[94:95], v[94:95], v[96:97]
	v_rcp_f64_e32 v[109:110], v[103:104]
	v_fma_f64 v[111:112], -v[103:104], v[109:110], 1.0
	v_fma_f64 v[109:110], v[109:110], v[111:112], v[109:110]
	v_div_scale_f64 v[111:112], vcc, v[96:97], v[94:95], v[96:97]
	v_fma_f64 v[113:114], -v[103:104], v[109:110], 1.0
	v_fma_f64 v[109:110], v[109:110], v[113:114], v[109:110]
	v_mul_f64 v[113:114], v[111:112], v[109:110]
	v_fma_f64 v[103:104], -v[103:104], v[113:114], v[111:112]
	v_div_fmas_f64 v[103:104], v[103:104], v[109:110], v[113:114]
	v_div_fixup_f64 v[103:104], v[103:104], v[94:95], v[96:97]
	v_fma_f64 v[94:95], v[96:97], v[103:104], v[94:95]
	v_div_scale_f64 v[96:97], s[20:21], v[94:95], v[94:95], 1.0
	v_div_scale_f64 v[113:114], vcc, 1.0, v[94:95], 1.0
	v_rcp_f64_e32 v[109:110], v[96:97]
	v_fma_f64 v[111:112], -v[96:97], v[109:110], 1.0
	v_fma_f64 v[109:110], v[109:110], v[111:112], v[109:110]
	v_fma_f64 v[111:112], -v[96:97], v[109:110], 1.0
	v_fma_f64 v[109:110], v[109:110], v[111:112], v[109:110]
	v_mul_f64 v[111:112], v[113:114], v[109:110]
	v_fma_f64 v[96:97], -v[96:97], v[111:112], v[113:114]
	v_div_fmas_f64 v[96:97], v[96:97], v[109:110], v[111:112]
	v_div_fixup_f64 v[94:95], v[96:97], v[94:95], 1.0
	v_mul_f64 v[96:97], v[103:104], -v[94:95]
.LBB44_11:
	s_or_b64 exec, exec, s[8:9]
	v_mov_b32_e32 v109, 0
	v_mov_b32_e32 v107, 2
.LBB44_12:
	s_or_b64 exec, exec, s[0:1]
	v_cmp_ne_u32_e32 vcc, v0, v102
	s_and_saveexec_b64 s[0:1], vcc
	s_xor_b64 s[0:1], exec, s[0:1]
	s_cbranch_execz .LBB44_18
; %bb.13:
	v_cmp_eq_u32_e32 vcc, 0, v0
	s_and_saveexec_b64 s[8:9], vcc
	s_cbranch_execz .LBB44_17
; %bb.14:
	v_cmp_ne_u32_e32 vcc, 0, v102
	s_xor_b64 s[20:21], s[18:19], -1
	s_and_b64 s[24:25], s[20:21], vcc
	s_and_saveexec_b64 s[20:21], s[24:25]
	s_cbranch_execz .LBB44_16
; %bb.15:
	v_ashrrev_i32_e32 v103, 31, v102
	v_lshlrev_b64 v[103:104], 2, v[102:103]
	v_add_co_u32_e32 v103, vcc, v100, v103
	v_addc_co_u32_e32 v104, vcc, v101, v104, vcc
	global_load_dword v0, v[103:104], off
	global_load_dword v110, v[100:101], off
	s_waitcnt vmcnt(1)
	global_store_dword v[100:101], v0, off
	s_waitcnt vmcnt(1)
	global_store_dword v[103:104], v110, off
.LBB44_16:
	s_or_b64 exec, exec, s[20:21]
	v_mov_b32_e32 v0, v102
.LBB44_17:
	s_or_b64 exec, exec, s[8:9]
.LBB44_18:
	s_or_saveexec_b64 s[0:1], s[0:1]
	v_mov_b32_e32 v104, v0
	s_xor_b64 exec, exec, s[0:1]
	s_cbranch_execz .LBB44_20
; %bb.19:
	v_mov_b32_e32 v104, 0
	ds_write2_b64 v1, v[82:83], v[84:85] offset0:2 offset1:3
	ds_write2_b64 v1, v[78:79], v[80:81] offset0:4 offset1:5
	;; [unrolled: 1-line block ×22, first 2 shown]
.LBB44_20:
	s_or_b64 exec, exec, s[0:1]
	v_cmp_lt_i32_e32 vcc, 0, v104
	s_waitcnt vmcnt(0) lgkmcnt(0)
	s_barrier
	s_and_saveexec_b64 s[0:1], vcc
	s_cbranch_execz .LBB44_22
; %bb.21:
	v_mul_f64 v[102:103], v[96:97], v[88:89]
	v_mul_f64 v[88:89], v[94:95], v[88:89]
	v_fma_f64 v[102:103], v[94:95], v[86:87], -v[102:103]
	v_fma_f64 v[88:89], v[96:97], v[86:87], v[88:89]
	ds_read2_b64 v[94:97], v1 offset0:2 offset1:3
	s_waitcnt lgkmcnt(0)
	v_mul_f64 v[86:87], v[96:97], v[88:89]
	v_fma_f64 v[86:87], v[94:95], v[102:103], -v[86:87]
	v_mul_f64 v[94:95], v[94:95], v[88:89]
	v_add_f64 v[82:83], v[82:83], -v[86:87]
	v_fma_f64 v[94:95], v[96:97], v[102:103], v[94:95]
	v_add_f64 v[84:85], v[84:85], -v[94:95]
	ds_read2_b64 v[94:97], v1 offset0:4 offset1:5
	s_waitcnt lgkmcnt(0)
	v_mul_f64 v[86:87], v[96:97], v[88:89]
	v_fma_f64 v[86:87], v[94:95], v[102:103], -v[86:87]
	v_mul_f64 v[94:95], v[94:95], v[88:89]
	v_add_f64 v[78:79], v[78:79], -v[86:87]
	v_fma_f64 v[94:95], v[96:97], v[102:103], v[94:95]
	v_add_f64 v[80:81], v[80:81], -v[94:95]
	ds_read2_b64 v[94:97], v1 offset0:6 offset1:7
	s_waitcnt lgkmcnt(0)
	v_mul_f64 v[86:87], v[96:97], v[88:89]
	v_fma_f64 v[86:87], v[94:95], v[102:103], -v[86:87]
	v_mul_f64 v[94:95], v[94:95], v[88:89]
	v_add_f64 v[74:75], v[74:75], -v[86:87]
	v_fma_f64 v[94:95], v[96:97], v[102:103], v[94:95]
	v_add_f64 v[76:77], v[76:77], -v[94:95]
	ds_read2_b64 v[94:97], v1 offset0:8 offset1:9
	s_waitcnt lgkmcnt(0)
	v_mul_f64 v[86:87], v[96:97], v[88:89]
	v_fma_f64 v[86:87], v[94:95], v[102:103], -v[86:87]
	v_mul_f64 v[94:95], v[94:95], v[88:89]
	v_add_f64 v[70:71], v[70:71], -v[86:87]
	v_fma_f64 v[94:95], v[96:97], v[102:103], v[94:95]
	v_add_f64 v[72:73], v[72:73], -v[94:95]
	ds_read2_b64 v[94:97], v1 offset0:10 offset1:11
	s_waitcnt lgkmcnt(0)
	v_mul_f64 v[86:87], v[96:97], v[88:89]
	v_fma_f64 v[86:87], v[94:95], v[102:103], -v[86:87]
	v_mul_f64 v[94:95], v[94:95], v[88:89]
	v_add_f64 v[66:67], v[66:67], -v[86:87]
	v_fma_f64 v[94:95], v[96:97], v[102:103], v[94:95]
	v_add_f64 v[68:69], v[68:69], -v[94:95]
	ds_read2_b64 v[94:97], v1 offset0:12 offset1:13
	s_waitcnt lgkmcnt(0)
	v_mul_f64 v[86:87], v[96:97], v[88:89]
	v_fma_f64 v[86:87], v[94:95], v[102:103], -v[86:87]
	v_mul_f64 v[94:95], v[94:95], v[88:89]
	v_add_f64 v[62:63], v[62:63], -v[86:87]
	v_fma_f64 v[94:95], v[96:97], v[102:103], v[94:95]
	v_add_f64 v[64:65], v[64:65], -v[94:95]
	ds_read2_b64 v[94:97], v1 offset0:14 offset1:15
	s_waitcnt lgkmcnt(0)
	v_mul_f64 v[86:87], v[96:97], v[88:89]
	v_fma_f64 v[86:87], v[94:95], v[102:103], -v[86:87]
	v_mul_f64 v[94:95], v[94:95], v[88:89]
	v_add_f64 v[58:59], v[58:59], -v[86:87]
	v_fma_f64 v[94:95], v[96:97], v[102:103], v[94:95]
	v_add_f64 v[60:61], v[60:61], -v[94:95]
	ds_read2_b64 v[94:97], v1 offset0:16 offset1:17
	s_waitcnt lgkmcnt(0)
	v_mul_f64 v[86:87], v[96:97], v[88:89]
	v_fma_f64 v[86:87], v[94:95], v[102:103], -v[86:87]
	v_mul_f64 v[94:95], v[94:95], v[88:89]
	v_add_f64 v[54:55], v[54:55], -v[86:87]
	v_fma_f64 v[94:95], v[96:97], v[102:103], v[94:95]
	v_add_f64 v[56:57], v[56:57], -v[94:95]
	ds_read2_b64 v[94:97], v1 offset0:18 offset1:19
	s_waitcnt lgkmcnt(0)
	v_mul_f64 v[86:87], v[96:97], v[88:89]
	v_fma_f64 v[86:87], v[94:95], v[102:103], -v[86:87]
	v_mul_f64 v[94:95], v[94:95], v[88:89]
	v_add_f64 v[50:51], v[50:51], -v[86:87]
	v_fma_f64 v[94:95], v[96:97], v[102:103], v[94:95]
	v_add_f64 v[52:53], v[52:53], -v[94:95]
	ds_read2_b64 v[94:97], v1 offset0:20 offset1:21
	s_waitcnt lgkmcnt(0)
	v_mul_f64 v[86:87], v[96:97], v[88:89]
	v_fma_f64 v[86:87], v[94:95], v[102:103], -v[86:87]
	v_mul_f64 v[94:95], v[94:95], v[88:89]
	v_add_f64 v[46:47], v[46:47], -v[86:87]
	v_fma_f64 v[94:95], v[96:97], v[102:103], v[94:95]
	v_add_f64 v[48:49], v[48:49], -v[94:95]
	ds_read2_b64 v[94:97], v1 offset0:22 offset1:23
	s_waitcnt lgkmcnt(0)
	v_mul_f64 v[86:87], v[96:97], v[88:89]
	v_fma_f64 v[86:87], v[94:95], v[102:103], -v[86:87]
	v_mul_f64 v[94:95], v[94:95], v[88:89]
	v_add_f64 v[42:43], v[42:43], -v[86:87]
	v_fma_f64 v[94:95], v[96:97], v[102:103], v[94:95]
	v_add_f64 v[44:45], v[44:45], -v[94:95]
	ds_read2_b64 v[94:97], v1 offset0:24 offset1:25
	s_waitcnt lgkmcnt(0)
	v_mul_f64 v[86:87], v[96:97], v[88:89]
	v_fma_f64 v[86:87], v[94:95], v[102:103], -v[86:87]
	v_mul_f64 v[94:95], v[94:95], v[88:89]
	v_add_f64 v[38:39], v[38:39], -v[86:87]
	v_fma_f64 v[94:95], v[96:97], v[102:103], v[94:95]
	v_add_f64 v[40:41], v[40:41], -v[94:95]
	ds_read2_b64 v[94:97], v1 offset0:26 offset1:27
	s_waitcnt lgkmcnt(0)
	v_mul_f64 v[86:87], v[96:97], v[88:89]
	v_fma_f64 v[86:87], v[94:95], v[102:103], -v[86:87]
	v_mul_f64 v[94:95], v[94:95], v[88:89]
	v_add_f64 v[34:35], v[34:35], -v[86:87]
	v_fma_f64 v[94:95], v[96:97], v[102:103], v[94:95]
	v_add_f64 v[36:37], v[36:37], -v[94:95]
	ds_read2_b64 v[94:97], v1 offset0:28 offset1:29
	s_waitcnt lgkmcnt(0)
	v_mul_f64 v[86:87], v[96:97], v[88:89]
	v_fma_f64 v[86:87], v[94:95], v[102:103], -v[86:87]
	v_mul_f64 v[94:95], v[94:95], v[88:89]
	v_add_f64 v[30:31], v[30:31], -v[86:87]
	v_fma_f64 v[94:95], v[96:97], v[102:103], v[94:95]
	v_add_f64 v[32:33], v[32:33], -v[94:95]
	ds_read2_b64 v[94:97], v1 offset0:30 offset1:31
	s_waitcnt lgkmcnt(0)
	v_mul_f64 v[86:87], v[96:97], v[88:89]
	v_fma_f64 v[86:87], v[94:95], v[102:103], -v[86:87]
	v_mul_f64 v[94:95], v[94:95], v[88:89]
	v_add_f64 v[26:27], v[26:27], -v[86:87]
	v_fma_f64 v[94:95], v[96:97], v[102:103], v[94:95]
	v_add_f64 v[28:29], v[28:29], -v[94:95]
	ds_read2_b64 v[94:97], v1 offset0:32 offset1:33
	s_waitcnt lgkmcnt(0)
	v_mul_f64 v[86:87], v[96:97], v[88:89]
	v_fma_f64 v[86:87], v[94:95], v[102:103], -v[86:87]
	v_mul_f64 v[94:95], v[94:95], v[88:89]
	v_add_f64 v[22:23], v[22:23], -v[86:87]
	v_fma_f64 v[94:95], v[96:97], v[102:103], v[94:95]
	v_add_f64 v[24:25], v[24:25], -v[94:95]
	ds_read2_b64 v[94:97], v1 offset0:34 offset1:35
	s_waitcnt lgkmcnt(0)
	v_mul_f64 v[86:87], v[96:97], v[88:89]
	v_fma_f64 v[86:87], v[94:95], v[102:103], -v[86:87]
	v_mul_f64 v[94:95], v[94:95], v[88:89]
	v_add_f64 v[18:19], v[18:19], -v[86:87]
	v_fma_f64 v[94:95], v[96:97], v[102:103], v[94:95]
	v_add_f64 v[20:21], v[20:21], -v[94:95]
	ds_read2_b64 v[94:97], v1 offset0:36 offset1:37
	s_waitcnt lgkmcnt(0)
	v_mul_f64 v[86:87], v[96:97], v[88:89]
	v_fma_f64 v[86:87], v[94:95], v[102:103], -v[86:87]
	v_mul_f64 v[94:95], v[94:95], v[88:89]
	v_add_f64 v[14:15], v[14:15], -v[86:87]
	v_fma_f64 v[94:95], v[96:97], v[102:103], v[94:95]
	v_add_f64 v[16:17], v[16:17], -v[94:95]
	ds_read2_b64 v[94:97], v1 offset0:38 offset1:39
	s_waitcnt lgkmcnt(0)
	v_mul_f64 v[86:87], v[96:97], v[88:89]
	v_fma_f64 v[86:87], v[94:95], v[102:103], -v[86:87]
	v_mul_f64 v[94:95], v[94:95], v[88:89]
	v_add_f64 v[10:11], v[10:11], -v[86:87]
	v_fma_f64 v[94:95], v[96:97], v[102:103], v[94:95]
	v_add_f64 v[12:13], v[12:13], -v[94:95]
	ds_read2_b64 v[94:97], v1 offset0:40 offset1:41
	s_waitcnt lgkmcnt(0)
	v_mul_f64 v[86:87], v[96:97], v[88:89]
	v_fma_f64 v[86:87], v[94:95], v[102:103], -v[86:87]
	v_mul_f64 v[94:95], v[94:95], v[88:89]
	v_add_f64 v[6:7], v[6:7], -v[86:87]
	v_fma_f64 v[94:95], v[96:97], v[102:103], v[94:95]
	v_add_f64 v[8:9], v[8:9], -v[94:95]
	ds_read2_b64 v[94:97], v1 offset0:42 offset1:43
	s_waitcnt lgkmcnt(0)
	v_mul_f64 v[86:87], v[96:97], v[88:89]
	v_fma_f64 v[86:87], v[94:95], v[102:103], -v[86:87]
	v_mul_f64 v[94:95], v[94:95], v[88:89]
	v_add_f64 v[2:3], v[2:3], -v[86:87]
	v_fma_f64 v[94:95], v[96:97], v[102:103], v[94:95]
	v_add_f64 v[4:5], v[4:5], -v[94:95]
	ds_read2_b64 v[94:97], v1 offset0:44 offset1:45
	s_waitcnt lgkmcnt(0)
	v_mul_f64 v[86:87], v[96:97], v[88:89]
	v_fma_f64 v[86:87], v[94:95], v[102:103], -v[86:87]
	v_mul_f64 v[94:95], v[94:95], v[88:89]
	v_add_f64 v[90:91], v[90:91], -v[86:87]
	v_fma_f64 v[94:95], v[96:97], v[102:103], v[94:95]
	v_mov_b32_e32 v86, v102
	v_mov_b32_e32 v87, v103
	v_add_f64 v[92:93], v[92:93], -v[94:95]
.LBB44_22:
	s_or_b64 exec, exec, s[0:1]
	v_lshl_add_u32 v94, v104, 4, v1
	s_barrier
	ds_write2_b64 v94, v[82:83], v[84:85] offset1:1
	s_waitcnt lgkmcnt(0)
	s_barrier
	ds_read2_b64 v[94:97], v1 offset0:2 offset1:3
	s_cmp_lt_i32 s22, 3
	v_mov_b32_e32 v102, 1
	s_cbranch_scc1 .LBB44_25
; %bb.23:
	v_add3_u32 v103, v108, 0, 32
	s_mov_b32 s7, 2
	v_mov_b32_e32 v102, 1
.LBB44_24:                              ; =>This Inner Loop Header: Depth=1
	s_waitcnt lgkmcnt(0)
	v_cmp_gt_f64_e32 vcc, 0, v[96:97]
	v_cmp_gt_f64_e64 s[0:1], 0, v[94:95]
	ds_read2_b64 v[110:113], v103 offset1:1
	v_xor_b32_e32 v115, 0x80000000, v95
	v_xor_b32_e32 v117, 0x80000000, v97
	v_mov_b32_e32 v114, v94
	v_mov_b32_e32 v116, v96
	s_waitcnt lgkmcnt(0)
	v_xor_b32_e32 v119, 0x80000000, v113
	v_cndmask_b32_e32 v117, v97, v117, vcc
	v_cndmask_b32_e64 v115, v95, v115, s[0:1]
	v_cmp_gt_f64_e32 vcc, 0, v[112:113]
	v_cmp_gt_f64_e64 s[0:1], 0, v[110:111]
	v_add_f64 v[114:115], v[114:115], v[116:117]
	v_xor_b32_e32 v117, 0x80000000, v111
	v_mov_b32_e32 v116, v110
	v_mov_b32_e32 v118, v112
	v_add_u32_e32 v103, 16, v103
	v_cndmask_b32_e32 v119, v113, v119, vcc
	v_cndmask_b32_e64 v117, v111, v117, s[0:1]
	v_add_f64 v[116:117], v[116:117], v[118:119]
	v_mov_b32_e32 v118, s7
	s_add_i32 s7, s7, 1
	s_cmp_lg_u32 s22, s7
	v_cmp_lt_f64_e32 vcc, v[114:115], v[116:117]
	v_cndmask_b32_e32 v95, v95, v111, vcc
	v_cndmask_b32_e32 v94, v94, v110, vcc
	;; [unrolled: 1-line block ×5, first 2 shown]
	s_cbranch_scc1 .LBB44_24
.LBB44_25:
	s_waitcnt lgkmcnt(0)
	v_cmp_neq_f64_e32 vcc, 0, v[94:95]
	v_cmp_neq_f64_e64 s[0:1], 0, v[96:97]
	s_or_b64 s[8:9], vcc, s[0:1]
	s_and_saveexec_b64 s[0:1], s[8:9]
	s_cbranch_execz .LBB44_31
; %bb.26:
	v_cmp_ngt_f64_e64 s[8:9], |v[94:95]|, |v[96:97]|
	s_and_saveexec_b64 s[20:21], s[8:9]
	s_xor_b64 s[8:9], exec, s[20:21]
	s_cbranch_execz .LBB44_28
; %bb.27:
	v_div_scale_f64 v[110:111], s[20:21], v[96:97], v[96:97], v[94:95]
	v_rcp_f64_e32 v[112:113], v[110:111]
	v_fma_f64 v[114:115], -v[110:111], v[112:113], 1.0
	v_fma_f64 v[112:113], v[112:113], v[114:115], v[112:113]
	v_div_scale_f64 v[114:115], vcc, v[94:95], v[96:97], v[94:95]
	v_fma_f64 v[116:117], -v[110:111], v[112:113], 1.0
	v_fma_f64 v[112:113], v[112:113], v[116:117], v[112:113]
	v_mul_f64 v[116:117], v[114:115], v[112:113]
	v_fma_f64 v[110:111], -v[110:111], v[116:117], v[114:115]
	v_div_fmas_f64 v[110:111], v[110:111], v[112:113], v[116:117]
	v_div_fixup_f64 v[110:111], v[110:111], v[96:97], v[94:95]
	v_fma_f64 v[94:95], v[94:95], v[110:111], v[96:97]
	v_div_scale_f64 v[96:97], s[20:21], v[94:95], v[94:95], 1.0
	v_div_scale_f64 v[116:117], vcc, 1.0, v[94:95], 1.0
	v_rcp_f64_e32 v[112:113], v[96:97]
	v_fma_f64 v[114:115], -v[96:97], v[112:113], 1.0
	v_fma_f64 v[112:113], v[112:113], v[114:115], v[112:113]
	v_fma_f64 v[114:115], -v[96:97], v[112:113], 1.0
	v_fma_f64 v[112:113], v[112:113], v[114:115], v[112:113]
	v_mul_f64 v[114:115], v[116:117], v[112:113]
	v_fma_f64 v[96:97], -v[96:97], v[114:115], v[116:117]
	v_div_fmas_f64 v[96:97], v[96:97], v[112:113], v[114:115]
	v_div_fixup_f64 v[96:97], v[96:97], v[94:95], 1.0
	v_mul_f64 v[94:95], v[110:111], v[96:97]
	v_xor_b32_e32 v97, 0x80000000, v97
.LBB44_28:
	s_andn2_saveexec_b64 s[8:9], s[8:9]
	s_cbranch_execz .LBB44_30
; %bb.29:
	v_div_scale_f64 v[110:111], s[20:21], v[94:95], v[94:95], v[96:97]
	v_rcp_f64_e32 v[112:113], v[110:111]
	v_fma_f64 v[114:115], -v[110:111], v[112:113], 1.0
	v_fma_f64 v[112:113], v[112:113], v[114:115], v[112:113]
	v_div_scale_f64 v[114:115], vcc, v[96:97], v[94:95], v[96:97]
	v_fma_f64 v[116:117], -v[110:111], v[112:113], 1.0
	v_fma_f64 v[112:113], v[112:113], v[116:117], v[112:113]
	v_mul_f64 v[116:117], v[114:115], v[112:113]
	v_fma_f64 v[110:111], -v[110:111], v[116:117], v[114:115]
	v_div_fmas_f64 v[110:111], v[110:111], v[112:113], v[116:117]
	v_div_fixup_f64 v[110:111], v[110:111], v[94:95], v[96:97]
	v_fma_f64 v[94:95], v[96:97], v[110:111], v[94:95]
	v_div_scale_f64 v[96:97], s[20:21], v[94:95], v[94:95], 1.0
	v_div_scale_f64 v[116:117], vcc, 1.0, v[94:95], 1.0
	v_rcp_f64_e32 v[112:113], v[96:97]
	v_fma_f64 v[114:115], -v[96:97], v[112:113], 1.0
	v_fma_f64 v[112:113], v[112:113], v[114:115], v[112:113]
	v_fma_f64 v[114:115], -v[96:97], v[112:113], 1.0
	v_fma_f64 v[112:113], v[112:113], v[114:115], v[112:113]
	v_mul_f64 v[114:115], v[116:117], v[112:113]
	v_fma_f64 v[96:97], -v[96:97], v[114:115], v[116:117]
	v_div_fmas_f64 v[96:97], v[96:97], v[112:113], v[114:115]
	v_div_fixup_f64 v[94:95], v[96:97], v[94:95], 1.0
	v_mul_f64 v[96:97], v[110:111], -v[94:95]
.LBB44_30:
	s_or_b64 exec, exec, s[8:9]
	v_mov_b32_e32 v107, v109
.LBB44_31:
	s_or_b64 exec, exec, s[0:1]
	v_cmp_ne_u32_e32 vcc, v104, v102
	s_and_saveexec_b64 s[0:1], vcc
	s_xor_b64 s[0:1], exec, s[0:1]
	s_cbranch_execz .LBB44_37
; %bb.32:
	v_cmp_eq_u32_e32 vcc, 1, v104
	s_and_saveexec_b64 s[8:9], vcc
	s_cbranch_execz .LBB44_36
; %bb.33:
	v_cmp_ne_u32_e32 vcc, 1, v102
	s_xor_b64 s[20:21], s[18:19], -1
	s_and_b64 s[24:25], s[20:21], vcc
	s_and_saveexec_b64 s[20:21], s[24:25]
	s_cbranch_execz .LBB44_35
; %bb.34:
	v_ashrrev_i32_e32 v103, 31, v102
	v_lshlrev_b64 v[103:104], 2, v[102:103]
	v_add_co_u32_e32 v103, vcc, v100, v103
	v_addc_co_u32_e32 v104, vcc, v101, v104, vcc
	global_load_dword v0, v[103:104], off
	global_load_dword v109, v[100:101], off offset:4
	s_waitcnt vmcnt(1)
	global_store_dword v[100:101], v0, off offset:4
	s_waitcnt vmcnt(1)
	global_store_dword v[103:104], v109, off
.LBB44_35:
	s_or_b64 exec, exec, s[20:21]
	v_mov_b32_e32 v104, v102
	v_mov_b32_e32 v0, v102
.LBB44_36:
	s_or_b64 exec, exec, s[8:9]
.LBB44_37:
	s_andn2_saveexec_b64 s[0:1], s[0:1]
	s_cbranch_execz .LBB44_39
; %bb.38:
	v_mov_b32_e32 v104, 1
	ds_write2_b64 v1, v[78:79], v[80:81] offset0:4 offset1:5
	ds_write2_b64 v1, v[74:75], v[76:77] offset0:6 offset1:7
	;; [unrolled: 1-line block ×21, first 2 shown]
.LBB44_39:
	s_or_b64 exec, exec, s[0:1]
	v_cmp_lt_i32_e32 vcc, 1, v104
	s_waitcnt vmcnt(0) lgkmcnt(0)
	s_barrier
	s_and_saveexec_b64 s[0:1], vcc
	s_cbranch_execz .LBB44_41
; %bb.40:
	v_mul_f64 v[102:103], v[96:97], v[84:85]
	v_mul_f64 v[84:85], v[94:95], v[84:85]
	v_fma_f64 v[102:103], v[94:95], v[82:83], -v[102:103]
	v_fma_f64 v[84:85], v[96:97], v[82:83], v[84:85]
	ds_read2_b64 v[94:97], v1 offset0:4 offset1:5
	s_waitcnt lgkmcnt(0)
	v_mul_f64 v[82:83], v[96:97], v[84:85]
	v_fma_f64 v[82:83], v[94:95], v[102:103], -v[82:83]
	v_mul_f64 v[94:95], v[94:95], v[84:85]
	v_add_f64 v[78:79], v[78:79], -v[82:83]
	v_fma_f64 v[94:95], v[96:97], v[102:103], v[94:95]
	v_add_f64 v[80:81], v[80:81], -v[94:95]
	ds_read2_b64 v[94:97], v1 offset0:6 offset1:7
	s_waitcnt lgkmcnt(0)
	v_mul_f64 v[82:83], v[96:97], v[84:85]
	v_fma_f64 v[82:83], v[94:95], v[102:103], -v[82:83]
	v_mul_f64 v[94:95], v[94:95], v[84:85]
	v_add_f64 v[74:75], v[74:75], -v[82:83]
	v_fma_f64 v[94:95], v[96:97], v[102:103], v[94:95]
	v_add_f64 v[76:77], v[76:77], -v[94:95]
	;; [unrolled: 8-line block ×20, first 2 shown]
	ds_read2_b64 v[94:97], v1 offset0:44 offset1:45
	s_waitcnt lgkmcnt(0)
	v_mul_f64 v[82:83], v[96:97], v[84:85]
	v_fma_f64 v[82:83], v[94:95], v[102:103], -v[82:83]
	v_mul_f64 v[94:95], v[94:95], v[84:85]
	v_add_f64 v[90:91], v[90:91], -v[82:83]
	v_fma_f64 v[94:95], v[96:97], v[102:103], v[94:95]
	v_mov_b32_e32 v82, v102
	v_mov_b32_e32 v83, v103
	v_add_f64 v[92:93], v[92:93], -v[94:95]
.LBB44_41:
	s_or_b64 exec, exec, s[0:1]
	v_lshl_add_u32 v94, v104, 4, v1
	s_barrier
	ds_write2_b64 v94, v[78:79], v[80:81] offset1:1
	s_waitcnt lgkmcnt(0)
	s_barrier
	ds_read2_b64 v[94:97], v1 offset0:4 offset1:5
	s_cmp_lt_i32 s22, 4
	v_mov_b32_e32 v102, 2
	s_cbranch_scc1 .LBB44_44
; %bb.42:
	v_add3_u32 v103, v108, 0, 48
	s_mov_b32 s7, 3
	v_mov_b32_e32 v102, 2
.LBB44_43:                              ; =>This Inner Loop Header: Depth=1
	s_waitcnt lgkmcnt(0)
	v_cmp_gt_f64_e32 vcc, 0, v[96:97]
	v_cmp_gt_f64_e64 s[0:1], 0, v[94:95]
	ds_read2_b64 v[109:112], v103 offset1:1
	v_xor_b32_e32 v114, 0x80000000, v95
	v_xor_b32_e32 v116, 0x80000000, v97
	v_mov_b32_e32 v113, v94
	v_mov_b32_e32 v115, v96
	s_waitcnt lgkmcnt(0)
	v_xor_b32_e32 v118, 0x80000000, v112
	v_cndmask_b32_e32 v116, v97, v116, vcc
	v_cndmask_b32_e64 v114, v95, v114, s[0:1]
	v_cmp_gt_f64_e32 vcc, 0, v[111:112]
	v_cmp_gt_f64_e64 s[0:1], 0, v[109:110]
	v_add_f64 v[113:114], v[113:114], v[115:116]
	v_xor_b32_e32 v116, 0x80000000, v110
	v_mov_b32_e32 v115, v109
	v_mov_b32_e32 v117, v111
	v_add_u32_e32 v103, 16, v103
	v_cndmask_b32_e32 v118, v112, v118, vcc
	v_cndmask_b32_e64 v116, v110, v116, s[0:1]
	v_add_f64 v[115:116], v[115:116], v[117:118]
	v_mov_b32_e32 v117, s7
	s_add_i32 s7, s7, 1
	s_cmp_lg_u32 s22, s7
	v_cmp_lt_f64_e32 vcc, v[113:114], v[115:116]
	v_cndmask_b32_e32 v95, v95, v110, vcc
	v_cndmask_b32_e32 v94, v94, v109, vcc
	;; [unrolled: 1-line block ×5, first 2 shown]
	s_cbranch_scc1 .LBB44_43
.LBB44_44:
	s_waitcnt lgkmcnt(0)
	v_cmp_eq_f64_e32 vcc, 0, v[94:95]
	v_cmp_eq_f64_e64 s[0:1], 0, v[96:97]
	s_and_b64 s[0:1], vcc, s[0:1]
	s_and_saveexec_b64 s[8:9], s[0:1]
	s_xor_b64 s[0:1], exec, s[8:9]
; %bb.45:
	v_cmp_ne_u32_e32 vcc, 0, v107
	v_cndmask_b32_e32 v107, 3, v107, vcc
; %bb.46:
	s_andn2_saveexec_b64 s[0:1], s[0:1]
	s_cbranch_execz .LBB44_52
; %bb.47:
	v_cmp_ngt_f64_e64 s[8:9], |v[94:95]|, |v[96:97]|
	s_and_saveexec_b64 s[20:21], s[8:9]
	s_xor_b64 s[8:9], exec, s[20:21]
	s_cbranch_execz .LBB44_49
; %bb.48:
	v_div_scale_f64 v[109:110], s[20:21], v[96:97], v[96:97], v[94:95]
	v_rcp_f64_e32 v[111:112], v[109:110]
	v_fma_f64 v[113:114], -v[109:110], v[111:112], 1.0
	v_fma_f64 v[111:112], v[111:112], v[113:114], v[111:112]
	v_div_scale_f64 v[113:114], vcc, v[94:95], v[96:97], v[94:95]
	v_fma_f64 v[115:116], -v[109:110], v[111:112], 1.0
	v_fma_f64 v[111:112], v[111:112], v[115:116], v[111:112]
	v_mul_f64 v[115:116], v[113:114], v[111:112]
	v_fma_f64 v[109:110], -v[109:110], v[115:116], v[113:114]
	v_div_fmas_f64 v[109:110], v[109:110], v[111:112], v[115:116]
	v_div_fixup_f64 v[109:110], v[109:110], v[96:97], v[94:95]
	v_fma_f64 v[94:95], v[94:95], v[109:110], v[96:97]
	v_div_scale_f64 v[96:97], s[20:21], v[94:95], v[94:95], 1.0
	v_div_scale_f64 v[115:116], vcc, 1.0, v[94:95], 1.0
	v_rcp_f64_e32 v[111:112], v[96:97]
	v_fma_f64 v[113:114], -v[96:97], v[111:112], 1.0
	v_fma_f64 v[111:112], v[111:112], v[113:114], v[111:112]
	v_fma_f64 v[113:114], -v[96:97], v[111:112], 1.0
	v_fma_f64 v[111:112], v[111:112], v[113:114], v[111:112]
	v_mul_f64 v[113:114], v[115:116], v[111:112]
	v_fma_f64 v[96:97], -v[96:97], v[113:114], v[115:116]
	v_div_fmas_f64 v[96:97], v[96:97], v[111:112], v[113:114]
	v_div_fixup_f64 v[96:97], v[96:97], v[94:95], 1.0
	v_mul_f64 v[94:95], v[109:110], v[96:97]
	v_xor_b32_e32 v97, 0x80000000, v97
.LBB44_49:
	s_andn2_saveexec_b64 s[8:9], s[8:9]
	s_cbranch_execz .LBB44_51
; %bb.50:
	v_div_scale_f64 v[109:110], s[20:21], v[94:95], v[94:95], v[96:97]
	v_rcp_f64_e32 v[111:112], v[109:110]
	v_fma_f64 v[113:114], -v[109:110], v[111:112], 1.0
	v_fma_f64 v[111:112], v[111:112], v[113:114], v[111:112]
	v_div_scale_f64 v[113:114], vcc, v[96:97], v[94:95], v[96:97]
	v_fma_f64 v[115:116], -v[109:110], v[111:112], 1.0
	v_fma_f64 v[111:112], v[111:112], v[115:116], v[111:112]
	v_mul_f64 v[115:116], v[113:114], v[111:112]
	v_fma_f64 v[109:110], -v[109:110], v[115:116], v[113:114]
	v_div_fmas_f64 v[109:110], v[109:110], v[111:112], v[115:116]
	v_div_fixup_f64 v[109:110], v[109:110], v[94:95], v[96:97]
	v_fma_f64 v[94:95], v[96:97], v[109:110], v[94:95]
	v_div_scale_f64 v[96:97], s[20:21], v[94:95], v[94:95], 1.0
	v_div_scale_f64 v[115:116], vcc, 1.0, v[94:95], 1.0
	v_rcp_f64_e32 v[111:112], v[96:97]
	v_fma_f64 v[113:114], -v[96:97], v[111:112], 1.0
	v_fma_f64 v[111:112], v[111:112], v[113:114], v[111:112]
	v_fma_f64 v[113:114], -v[96:97], v[111:112], 1.0
	v_fma_f64 v[111:112], v[111:112], v[113:114], v[111:112]
	v_mul_f64 v[113:114], v[115:116], v[111:112]
	v_fma_f64 v[96:97], -v[96:97], v[113:114], v[115:116]
	v_div_fmas_f64 v[96:97], v[96:97], v[111:112], v[113:114]
	v_div_fixup_f64 v[94:95], v[96:97], v[94:95], 1.0
	v_mul_f64 v[96:97], v[109:110], -v[94:95]
.LBB44_51:
	s_or_b64 exec, exec, s[8:9]
.LBB44_52:
	s_or_b64 exec, exec, s[0:1]
	v_cmp_ne_u32_e32 vcc, v104, v102
	s_and_saveexec_b64 s[0:1], vcc
	s_xor_b64 s[0:1], exec, s[0:1]
	s_cbranch_execz .LBB44_58
; %bb.53:
	v_cmp_eq_u32_e32 vcc, 2, v104
	s_and_saveexec_b64 s[8:9], vcc
	s_cbranch_execz .LBB44_57
; %bb.54:
	v_cmp_ne_u32_e32 vcc, 2, v102
	s_xor_b64 s[20:21], s[18:19], -1
	s_and_b64 s[24:25], s[20:21], vcc
	s_and_saveexec_b64 s[20:21], s[24:25]
	s_cbranch_execz .LBB44_56
; %bb.55:
	v_ashrrev_i32_e32 v103, 31, v102
	v_lshlrev_b64 v[103:104], 2, v[102:103]
	v_add_co_u32_e32 v103, vcc, v100, v103
	v_addc_co_u32_e32 v104, vcc, v101, v104, vcc
	global_load_dword v0, v[103:104], off
	global_load_dword v109, v[100:101], off offset:8
	s_waitcnt vmcnt(1)
	global_store_dword v[100:101], v0, off offset:8
	s_waitcnt vmcnt(1)
	global_store_dword v[103:104], v109, off
.LBB44_56:
	s_or_b64 exec, exec, s[20:21]
	v_mov_b32_e32 v104, v102
	v_mov_b32_e32 v0, v102
.LBB44_57:
	s_or_b64 exec, exec, s[8:9]
.LBB44_58:
	s_andn2_saveexec_b64 s[0:1], s[0:1]
	s_cbranch_execz .LBB44_60
; %bb.59:
	v_mov_b32_e32 v104, 2
	ds_write2_b64 v1, v[74:75], v[76:77] offset0:6 offset1:7
	ds_write2_b64 v1, v[70:71], v[72:73] offset0:8 offset1:9
	;; [unrolled: 1-line block ×20, first 2 shown]
.LBB44_60:
	s_or_b64 exec, exec, s[0:1]
	v_cmp_lt_i32_e32 vcc, 2, v104
	s_waitcnt vmcnt(0) lgkmcnt(0)
	s_barrier
	s_and_saveexec_b64 s[0:1], vcc
	s_cbranch_execz .LBB44_62
; %bb.61:
	v_mul_f64 v[102:103], v[96:97], v[80:81]
	v_mul_f64 v[80:81], v[94:95], v[80:81]
	v_fma_f64 v[102:103], v[94:95], v[78:79], -v[102:103]
	v_fma_f64 v[80:81], v[96:97], v[78:79], v[80:81]
	ds_read2_b64 v[94:97], v1 offset0:6 offset1:7
	s_waitcnt lgkmcnt(0)
	v_mul_f64 v[78:79], v[96:97], v[80:81]
	v_fma_f64 v[78:79], v[94:95], v[102:103], -v[78:79]
	v_mul_f64 v[94:95], v[94:95], v[80:81]
	v_add_f64 v[74:75], v[74:75], -v[78:79]
	v_fma_f64 v[94:95], v[96:97], v[102:103], v[94:95]
	v_add_f64 v[76:77], v[76:77], -v[94:95]
	ds_read2_b64 v[94:97], v1 offset0:8 offset1:9
	s_waitcnt lgkmcnt(0)
	v_mul_f64 v[78:79], v[96:97], v[80:81]
	v_fma_f64 v[78:79], v[94:95], v[102:103], -v[78:79]
	v_mul_f64 v[94:95], v[94:95], v[80:81]
	v_add_f64 v[70:71], v[70:71], -v[78:79]
	v_fma_f64 v[94:95], v[96:97], v[102:103], v[94:95]
	v_add_f64 v[72:73], v[72:73], -v[94:95]
	;; [unrolled: 8-line block ×19, first 2 shown]
	ds_read2_b64 v[94:97], v1 offset0:44 offset1:45
	s_waitcnt lgkmcnt(0)
	v_mul_f64 v[78:79], v[96:97], v[80:81]
	v_fma_f64 v[78:79], v[94:95], v[102:103], -v[78:79]
	v_mul_f64 v[94:95], v[94:95], v[80:81]
	v_add_f64 v[90:91], v[90:91], -v[78:79]
	v_fma_f64 v[94:95], v[96:97], v[102:103], v[94:95]
	v_mov_b32_e32 v78, v102
	v_mov_b32_e32 v79, v103
	v_add_f64 v[92:93], v[92:93], -v[94:95]
.LBB44_62:
	s_or_b64 exec, exec, s[0:1]
	v_lshl_add_u32 v94, v104, 4, v1
	s_barrier
	ds_write2_b64 v94, v[74:75], v[76:77] offset1:1
	s_waitcnt lgkmcnt(0)
	s_barrier
	ds_read2_b64 v[94:97], v1 offset0:6 offset1:7
	s_mov_b32 s7, 4
	s_cmp_lt_i32 s22, 5
	v_mov_b32_e32 v102, 3
	s_cbranch_scc1 .LBB44_65
; %bb.63:
	v_add3_u32 v103, v108, 0, 64
	v_mov_b32_e32 v102, 3
.LBB44_64:                              ; =>This Inner Loop Header: Depth=1
	s_waitcnt lgkmcnt(0)
	v_cmp_gt_f64_e32 vcc, 0, v[96:97]
	v_cmp_gt_f64_e64 s[0:1], 0, v[94:95]
	ds_read2_b64 v[108:111], v103 offset1:1
	v_xor_b32_e32 v113, 0x80000000, v95
	v_xor_b32_e32 v115, 0x80000000, v97
	v_mov_b32_e32 v112, v94
	v_mov_b32_e32 v114, v96
	s_waitcnt lgkmcnt(0)
	v_xor_b32_e32 v117, 0x80000000, v111
	v_cndmask_b32_e32 v115, v97, v115, vcc
	v_cndmask_b32_e64 v113, v95, v113, s[0:1]
	v_cmp_gt_f64_e32 vcc, 0, v[110:111]
	v_cmp_gt_f64_e64 s[0:1], 0, v[108:109]
	v_add_f64 v[112:113], v[112:113], v[114:115]
	v_xor_b32_e32 v115, 0x80000000, v109
	v_mov_b32_e32 v114, v108
	v_mov_b32_e32 v116, v110
	v_add_u32_e32 v103, 16, v103
	v_cndmask_b32_e32 v117, v111, v117, vcc
	v_cndmask_b32_e64 v115, v109, v115, s[0:1]
	v_add_f64 v[114:115], v[114:115], v[116:117]
	v_mov_b32_e32 v116, s7
	s_add_i32 s7, s7, 1
	s_cmp_lg_u32 s22, s7
	v_cmp_lt_f64_e32 vcc, v[112:113], v[114:115]
	v_cndmask_b32_e32 v95, v95, v109, vcc
	v_cndmask_b32_e32 v94, v94, v108, vcc
	;; [unrolled: 1-line block ×5, first 2 shown]
	s_cbranch_scc1 .LBB44_64
.LBB44_65:
	s_waitcnt lgkmcnt(0)
	v_cmp_eq_f64_e32 vcc, 0, v[94:95]
	v_cmp_eq_f64_e64 s[0:1], 0, v[96:97]
	s_and_b64 s[0:1], vcc, s[0:1]
	s_and_saveexec_b64 s[8:9], s[0:1]
	s_xor_b64 s[0:1], exec, s[8:9]
; %bb.66:
	v_cmp_ne_u32_e32 vcc, 0, v107
	v_cndmask_b32_e32 v107, 4, v107, vcc
; %bb.67:
	s_andn2_saveexec_b64 s[0:1], s[0:1]
	s_cbranch_execz .LBB44_73
; %bb.68:
	v_cmp_ngt_f64_e64 s[8:9], |v[94:95]|, |v[96:97]|
	s_and_saveexec_b64 s[20:21], s[8:9]
	s_xor_b64 s[8:9], exec, s[20:21]
	s_cbranch_execz .LBB44_70
; %bb.69:
	v_div_scale_f64 v[108:109], s[20:21], v[96:97], v[96:97], v[94:95]
	v_rcp_f64_e32 v[110:111], v[108:109]
	v_fma_f64 v[112:113], -v[108:109], v[110:111], 1.0
	v_fma_f64 v[110:111], v[110:111], v[112:113], v[110:111]
	v_div_scale_f64 v[112:113], vcc, v[94:95], v[96:97], v[94:95]
	v_fma_f64 v[114:115], -v[108:109], v[110:111], 1.0
	v_fma_f64 v[110:111], v[110:111], v[114:115], v[110:111]
	v_mul_f64 v[114:115], v[112:113], v[110:111]
	v_fma_f64 v[108:109], -v[108:109], v[114:115], v[112:113]
	v_div_fmas_f64 v[108:109], v[108:109], v[110:111], v[114:115]
	v_div_fixup_f64 v[108:109], v[108:109], v[96:97], v[94:95]
	v_fma_f64 v[94:95], v[94:95], v[108:109], v[96:97]
	v_div_scale_f64 v[96:97], s[20:21], v[94:95], v[94:95], 1.0
	v_div_scale_f64 v[114:115], vcc, 1.0, v[94:95], 1.0
	v_rcp_f64_e32 v[110:111], v[96:97]
	v_fma_f64 v[112:113], -v[96:97], v[110:111], 1.0
	v_fma_f64 v[110:111], v[110:111], v[112:113], v[110:111]
	v_fma_f64 v[112:113], -v[96:97], v[110:111], 1.0
	v_fma_f64 v[110:111], v[110:111], v[112:113], v[110:111]
	v_mul_f64 v[112:113], v[114:115], v[110:111]
	v_fma_f64 v[96:97], -v[96:97], v[112:113], v[114:115]
	v_div_fmas_f64 v[96:97], v[96:97], v[110:111], v[112:113]
	v_div_fixup_f64 v[96:97], v[96:97], v[94:95], 1.0
	v_mul_f64 v[94:95], v[108:109], v[96:97]
	v_xor_b32_e32 v97, 0x80000000, v97
.LBB44_70:
	s_andn2_saveexec_b64 s[8:9], s[8:9]
	s_cbranch_execz .LBB44_72
; %bb.71:
	v_div_scale_f64 v[108:109], s[20:21], v[94:95], v[94:95], v[96:97]
	v_rcp_f64_e32 v[110:111], v[108:109]
	v_fma_f64 v[112:113], -v[108:109], v[110:111], 1.0
	v_fma_f64 v[110:111], v[110:111], v[112:113], v[110:111]
	v_div_scale_f64 v[112:113], vcc, v[96:97], v[94:95], v[96:97]
	v_fma_f64 v[114:115], -v[108:109], v[110:111], 1.0
	v_fma_f64 v[110:111], v[110:111], v[114:115], v[110:111]
	v_mul_f64 v[114:115], v[112:113], v[110:111]
	v_fma_f64 v[108:109], -v[108:109], v[114:115], v[112:113]
	v_div_fmas_f64 v[108:109], v[108:109], v[110:111], v[114:115]
	v_div_fixup_f64 v[108:109], v[108:109], v[94:95], v[96:97]
	v_fma_f64 v[94:95], v[96:97], v[108:109], v[94:95]
	v_div_scale_f64 v[96:97], s[20:21], v[94:95], v[94:95], 1.0
	v_div_scale_f64 v[114:115], vcc, 1.0, v[94:95], 1.0
	v_rcp_f64_e32 v[110:111], v[96:97]
	v_fma_f64 v[112:113], -v[96:97], v[110:111], 1.0
	v_fma_f64 v[110:111], v[110:111], v[112:113], v[110:111]
	v_fma_f64 v[112:113], -v[96:97], v[110:111], 1.0
	v_fma_f64 v[110:111], v[110:111], v[112:113], v[110:111]
	v_mul_f64 v[112:113], v[114:115], v[110:111]
	v_fma_f64 v[96:97], -v[96:97], v[112:113], v[114:115]
	v_div_fmas_f64 v[96:97], v[96:97], v[110:111], v[112:113]
	v_div_fixup_f64 v[94:95], v[96:97], v[94:95], 1.0
	v_mul_f64 v[96:97], v[108:109], -v[94:95]
.LBB44_72:
	s_or_b64 exec, exec, s[8:9]
.LBB44_73:
	s_or_b64 exec, exec, s[0:1]
	v_cmp_ne_u32_e32 vcc, v104, v102
	s_and_saveexec_b64 s[0:1], vcc
	s_xor_b64 s[0:1], exec, s[0:1]
	s_cbranch_execz .LBB44_79
; %bb.74:
	v_cmp_eq_u32_e32 vcc, 3, v104
	s_and_saveexec_b64 s[8:9], vcc
	s_cbranch_execz .LBB44_78
; %bb.75:
	v_cmp_ne_u32_e32 vcc, 3, v102
	s_xor_b64 s[20:21], s[18:19], -1
	s_and_b64 s[24:25], s[20:21], vcc
	s_and_saveexec_b64 s[20:21], s[24:25]
	s_cbranch_execz .LBB44_77
; %bb.76:
	v_ashrrev_i32_e32 v103, 31, v102
	v_lshlrev_b64 v[103:104], 2, v[102:103]
	v_add_co_u32_e32 v103, vcc, v100, v103
	v_addc_co_u32_e32 v104, vcc, v101, v104, vcc
	global_load_dword v0, v[103:104], off
	global_load_dword v108, v[100:101], off offset:12
	s_waitcnt vmcnt(1)
	global_store_dword v[100:101], v0, off offset:12
	s_waitcnt vmcnt(1)
	global_store_dword v[103:104], v108, off
.LBB44_77:
	s_or_b64 exec, exec, s[20:21]
	v_mov_b32_e32 v104, v102
	v_mov_b32_e32 v0, v102
.LBB44_78:
	s_or_b64 exec, exec, s[8:9]
.LBB44_79:
	s_andn2_saveexec_b64 s[0:1], s[0:1]
	s_cbranch_execz .LBB44_81
; %bb.80:
	v_mov_b32_e32 v104, 3
	ds_write2_b64 v1, v[70:71], v[72:73] offset0:8 offset1:9
	ds_write2_b64 v1, v[66:67], v[68:69] offset0:10 offset1:11
	;; [unrolled: 1-line block ×19, first 2 shown]
.LBB44_81:
	s_or_b64 exec, exec, s[0:1]
	v_cmp_lt_i32_e32 vcc, 3, v104
	s_waitcnt vmcnt(0) lgkmcnt(0)
	s_barrier
	s_and_saveexec_b64 s[0:1], vcc
	s_cbranch_execz .LBB44_83
; %bb.82:
	v_mul_f64 v[102:103], v[96:97], v[76:77]
	v_mul_f64 v[76:77], v[94:95], v[76:77]
	v_fma_f64 v[102:103], v[94:95], v[74:75], -v[102:103]
	v_fma_f64 v[76:77], v[96:97], v[74:75], v[76:77]
	ds_read2_b64 v[94:97], v1 offset0:8 offset1:9
	s_waitcnt lgkmcnt(0)
	v_mul_f64 v[74:75], v[96:97], v[76:77]
	v_fma_f64 v[74:75], v[94:95], v[102:103], -v[74:75]
	v_mul_f64 v[94:95], v[94:95], v[76:77]
	v_add_f64 v[70:71], v[70:71], -v[74:75]
	v_fma_f64 v[94:95], v[96:97], v[102:103], v[94:95]
	v_add_f64 v[72:73], v[72:73], -v[94:95]
	ds_read2_b64 v[94:97], v1 offset0:10 offset1:11
	s_waitcnt lgkmcnt(0)
	v_mul_f64 v[74:75], v[96:97], v[76:77]
	v_fma_f64 v[74:75], v[94:95], v[102:103], -v[74:75]
	v_mul_f64 v[94:95], v[94:95], v[76:77]
	v_add_f64 v[66:67], v[66:67], -v[74:75]
	v_fma_f64 v[94:95], v[96:97], v[102:103], v[94:95]
	v_add_f64 v[68:69], v[68:69], -v[94:95]
	;; [unrolled: 8-line block ×18, first 2 shown]
	ds_read2_b64 v[94:97], v1 offset0:44 offset1:45
	s_waitcnt lgkmcnt(0)
	v_mul_f64 v[74:75], v[96:97], v[76:77]
	v_fma_f64 v[74:75], v[94:95], v[102:103], -v[74:75]
	v_mul_f64 v[94:95], v[94:95], v[76:77]
	v_add_f64 v[90:91], v[90:91], -v[74:75]
	v_fma_f64 v[94:95], v[96:97], v[102:103], v[94:95]
	v_mov_b32_e32 v74, v102
	v_mov_b32_e32 v75, v103
	v_add_f64 v[92:93], v[92:93], -v[94:95]
.LBB44_83:
	s_or_b64 exec, exec, s[0:1]
	v_lshl_add_u32 v94, v104, 4, v1
	s_barrier
	ds_write2_b64 v94, v[70:71], v[72:73] offset1:1
	s_waitcnt lgkmcnt(0)
	s_barrier
	ds_read2_b64 v[94:97], v1 offset0:8 offset1:9
	s_cmp_lt_i32 s22, 6
	v_mov_b32_e32 v102, 4
	s_cbranch_scc1 .LBB44_86
; %bb.84:
	v_mov_b32_e32 v102, 4
	v_add_u32_e32 v103, 0x50, v1
	s_mov_b32 s7, 5
.LBB44_85:                              ; =>This Inner Loop Header: Depth=1
	s_waitcnt lgkmcnt(0)
	v_cmp_gt_f64_e32 vcc, 0, v[96:97]
	v_cmp_gt_f64_e64 s[0:1], 0, v[94:95]
	ds_read2_b64 v[108:111], v103 offset1:1
	v_xor_b32_e32 v113, 0x80000000, v95
	v_xor_b32_e32 v115, 0x80000000, v97
	v_mov_b32_e32 v112, v94
	v_mov_b32_e32 v114, v96
	s_waitcnt lgkmcnt(0)
	v_xor_b32_e32 v117, 0x80000000, v111
	v_cndmask_b32_e32 v115, v97, v115, vcc
	v_cndmask_b32_e64 v113, v95, v113, s[0:1]
	v_cmp_gt_f64_e32 vcc, 0, v[110:111]
	v_cmp_gt_f64_e64 s[0:1], 0, v[108:109]
	v_add_f64 v[112:113], v[112:113], v[114:115]
	v_xor_b32_e32 v115, 0x80000000, v109
	v_mov_b32_e32 v114, v108
	v_mov_b32_e32 v116, v110
	v_add_u32_e32 v103, 16, v103
	v_cndmask_b32_e32 v117, v111, v117, vcc
	v_cndmask_b32_e64 v115, v109, v115, s[0:1]
	v_add_f64 v[114:115], v[114:115], v[116:117]
	v_mov_b32_e32 v116, s7
	s_add_i32 s7, s7, 1
	s_cmp_lg_u32 s22, s7
	v_cmp_lt_f64_e32 vcc, v[112:113], v[114:115]
	v_cndmask_b32_e32 v95, v95, v109, vcc
	v_cndmask_b32_e32 v94, v94, v108, vcc
	;; [unrolled: 1-line block ×5, first 2 shown]
	s_cbranch_scc1 .LBB44_85
.LBB44_86:
	s_waitcnt lgkmcnt(0)
	v_cmp_eq_f64_e32 vcc, 0, v[94:95]
	v_cmp_eq_f64_e64 s[0:1], 0, v[96:97]
	s_and_b64 s[0:1], vcc, s[0:1]
	s_and_saveexec_b64 s[8:9], s[0:1]
	s_xor_b64 s[0:1], exec, s[8:9]
; %bb.87:
	v_cmp_ne_u32_e32 vcc, 0, v107
	v_cndmask_b32_e32 v107, 5, v107, vcc
; %bb.88:
	s_andn2_saveexec_b64 s[0:1], s[0:1]
	s_cbranch_execz .LBB44_94
; %bb.89:
	v_cmp_ngt_f64_e64 s[8:9], |v[94:95]|, |v[96:97]|
	s_and_saveexec_b64 s[20:21], s[8:9]
	s_xor_b64 s[8:9], exec, s[20:21]
	s_cbranch_execz .LBB44_91
; %bb.90:
	v_div_scale_f64 v[108:109], s[20:21], v[96:97], v[96:97], v[94:95]
	v_rcp_f64_e32 v[110:111], v[108:109]
	v_fma_f64 v[112:113], -v[108:109], v[110:111], 1.0
	v_fma_f64 v[110:111], v[110:111], v[112:113], v[110:111]
	v_div_scale_f64 v[112:113], vcc, v[94:95], v[96:97], v[94:95]
	v_fma_f64 v[114:115], -v[108:109], v[110:111], 1.0
	v_fma_f64 v[110:111], v[110:111], v[114:115], v[110:111]
	v_mul_f64 v[114:115], v[112:113], v[110:111]
	v_fma_f64 v[108:109], -v[108:109], v[114:115], v[112:113]
	v_div_fmas_f64 v[108:109], v[108:109], v[110:111], v[114:115]
	v_div_fixup_f64 v[108:109], v[108:109], v[96:97], v[94:95]
	v_fma_f64 v[94:95], v[94:95], v[108:109], v[96:97]
	v_div_scale_f64 v[96:97], s[20:21], v[94:95], v[94:95], 1.0
	v_div_scale_f64 v[114:115], vcc, 1.0, v[94:95], 1.0
	v_rcp_f64_e32 v[110:111], v[96:97]
	v_fma_f64 v[112:113], -v[96:97], v[110:111], 1.0
	v_fma_f64 v[110:111], v[110:111], v[112:113], v[110:111]
	v_fma_f64 v[112:113], -v[96:97], v[110:111], 1.0
	v_fma_f64 v[110:111], v[110:111], v[112:113], v[110:111]
	v_mul_f64 v[112:113], v[114:115], v[110:111]
	v_fma_f64 v[96:97], -v[96:97], v[112:113], v[114:115]
	v_div_fmas_f64 v[96:97], v[96:97], v[110:111], v[112:113]
	v_div_fixup_f64 v[96:97], v[96:97], v[94:95], 1.0
	v_mul_f64 v[94:95], v[108:109], v[96:97]
	v_xor_b32_e32 v97, 0x80000000, v97
.LBB44_91:
	s_andn2_saveexec_b64 s[8:9], s[8:9]
	s_cbranch_execz .LBB44_93
; %bb.92:
	v_div_scale_f64 v[108:109], s[20:21], v[94:95], v[94:95], v[96:97]
	v_rcp_f64_e32 v[110:111], v[108:109]
	v_fma_f64 v[112:113], -v[108:109], v[110:111], 1.0
	v_fma_f64 v[110:111], v[110:111], v[112:113], v[110:111]
	v_div_scale_f64 v[112:113], vcc, v[96:97], v[94:95], v[96:97]
	v_fma_f64 v[114:115], -v[108:109], v[110:111], 1.0
	v_fma_f64 v[110:111], v[110:111], v[114:115], v[110:111]
	v_mul_f64 v[114:115], v[112:113], v[110:111]
	v_fma_f64 v[108:109], -v[108:109], v[114:115], v[112:113]
	v_div_fmas_f64 v[108:109], v[108:109], v[110:111], v[114:115]
	v_div_fixup_f64 v[108:109], v[108:109], v[94:95], v[96:97]
	v_fma_f64 v[94:95], v[96:97], v[108:109], v[94:95]
	v_div_scale_f64 v[96:97], s[20:21], v[94:95], v[94:95], 1.0
	v_div_scale_f64 v[114:115], vcc, 1.0, v[94:95], 1.0
	v_rcp_f64_e32 v[110:111], v[96:97]
	v_fma_f64 v[112:113], -v[96:97], v[110:111], 1.0
	v_fma_f64 v[110:111], v[110:111], v[112:113], v[110:111]
	v_fma_f64 v[112:113], -v[96:97], v[110:111], 1.0
	v_fma_f64 v[110:111], v[110:111], v[112:113], v[110:111]
	v_mul_f64 v[112:113], v[114:115], v[110:111]
	v_fma_f64 v[96:97], -v[96:97], v[112:113], v[114:115]
	v_div_fmas_f64 v[96:97], v[96:97], v[110:111], v[112:113]
	v_div_fixup_f64 v[94:95], v[96:97], v[94:95], 1.0
	v_mul_f64 v[96:97], v[108:109], -v[94:95]
.LBB44_93:
	s_or_b64 exec, exec, s[8:9]
.LBB44_94:
	s_or_b64 exec, exec, s[0:1]
	v_cmp_ne_u32_e32 vcc, v104, v102
	s_and_saveexec_b64 s[0:1], vcc
	s_xor_b64 s[0:1], exec, s[0:1]
	s_cbranch_execz .LBB44_100
; %bb.95:
	v_cmp_eq_u32_e32 vcc, 4, v104
	s_and_saveexec_b64 s[8:9], vcc
	s_cbranch_execz .LBB44_99
; %bb.96:
	v_cmp_ne_u32_e32 vcc, 4, v102
	s_xor_b64 s[20:21], s[18:19], -1
	s_and_b64 s[24:25], s[20:21], vcc
	s_and_saveexec_b64 s[20:21], s[24:25]
	s_cbranch_execz .LBB44_98
; %bb.97:
	v_ashrrev_i32_e32 v103, 31, v102
	v_lshlrev_b64 v[103:104], 2, v[102:103]
	v_add_co_u32_e32 v103, vcc, v100, v103
	v_addc_co_u32_e32 v104, vcc, v101, v104, vcc
	global_load_dword v0, v[103:104], off
	global_load_dword v108, v[100:101], off offset:16
	s_waitcnt vmcnt(1)
	global_store_dword v[100:101], v0, off offset:16
	s_waitcnt vmcnt(1)
	global_store_dword v[103:104], v108, off
.LBB44_98:
	s_or_b64 exec, exec, s[20:21]
	v_mov_b32_e32 v104, v102
	v_mov_b32_e32 v0, v102
.LBB44_99:
	s_or_b64 exec, exec, s[8:9]
.LBB44_100:
	s_andn2_saveexec_b64 s[0:1], s[0:1]
	s_cbranch_execz .LBB44_102
; %bb.101:
	v_mov_b32_e32 v104, 4
	ds_write2_b64 v1, v[66:67], v[68:69] offset0:10 offset1:11
	ds_write2_b64 v1, v[62:63], v[64:65] offset0:12 offset1:13
	;; [unrolled: 1-line block ×18, first 2 shown]
.LBB44_102:
	s_or_b64 exec, exec, s[0:1]
	v_cmp_lt_i32_e32 vcc, 4, v104
	s_waitcnt vmcnt(0) lgkmcnt(0)
	s_barrier
	s_and_saveexec_b64 s[0:1], vcc
	s_cbranch_execz .LBB44_104
; %bb.103:
	v_mul_f64 v[102:103], v[96:97], v[72:73]
	v_mul_f64 v[72:73], v[94:95], v[72:73]
	v_fma_f64 v[102:103], v[94:95], v[70:71], -v[102:103]
	v_fma_f64 v[72:73], v[96:97], v[70:71], v[72:73]
	ds_read2_b64 v[94:97], v1 offset0:10 offset1:11
	s_waitcnt lgkmcnt(0)
	v_mul_f64 v[70:71], v[96:97], v[72:73]
	v_fma_f64 v[70:71], v[94:95], v[102:103], -v[70:71]
	v_mul_f64 v[94:95], v[94:95], v[72:73]
	v_add_f64 v[66:67], v[66:67], -v[70:71]
	v_fma_f64 v[94:95], v[96:97], v[102:103], v[94:95]
	v_add_f64 v[68:69], v[68:69], -v[94:95]
	ds_read2_b64 v[94:97], v1 offset0:12 offset1:13
	s_waitcnt lgkmcnt(0)
	v_mul_f64 v[70:71], v[96:97], v[72:73]
	v_fma_f64 v[70:71], v[94:95], v[102:103], -v[70:71]
	v_mul_f64 v[94:95], v[94:95], v[72:73]
	v_add_f64 v[62:63], v[62:63], -v[70:71]
	v_fma_f64 v[94:95], v[96:97], v[102:103], v[94:95]
	v_add_f64 v[64:65], v[64:65], -v[94:95]
	;; [unrolled: 8-line block ×17, first 2 shown]
	ds_read2_b64 v[94:97], v1 offset0:44 offset1:45
	s_waitcnt lgkmcnt(0)
	v_mul_f64 v[70:71], v[96:97], v[72:73]
	v_fma_f64 v[70:71], v[94:95], v[102:103], -v[70:71]
	v_mul_f64 v[94:95], v[94:95], v[72:73]
	v_add_f64 v[90:91], v[90:91], -v[70:71]
	v_fma_f64 v[94:95], v[96:97], v[102:103], v[94:95]
	v_mov_b32_e32 v70, v102
	v_mov_b32_e32 v71, v103
	v_add_f64 v[92:93], v[92:93], -v[94:95]
.LBB44_104:
	s_or_b64 exec, exec, s[0:1]
	v_lshl_add_u32 v94, v104, 4, v1
	s_barrier
	ds_write2_b64 v94, v[66:67], v[68:69] offset1:1
	s_waitcnt lgkmcnt(0)
	s_barrier
	ds_read2_b64 v[94:97], v1 offset0:10 offset1:11
	s_cmp_lt_i32 s22, 7
	v_mov_b32_e32 v102, 5
	s_cbranch_scc1 .LBB44_107
; %bb.105:
	v_add_u32_e32 v103, 0x60, v1
	s_mov_b32 s7, 6
	v_mov_b32_e32 v102, 5
.LBB44_106:                             ; =>This Inner Loop Header: Depth=1
	s_waitcnt lgkmcnt(0)
	v_cmp_gt_f64_e32 vcc, 0, v[96:97]
	v_cmp_gt_f64_e64 s[0:1], 0, v[94:95]
	ds_read2_b64 v[108:111], v103 offset1:1
	v_xor_b32_e32 v113, 0x80000000, v95
	v_xor_b32_e32 v115, 0x80000000, v97
	v_mov_b32_e32 v112, v94
	v_mov_b32_e32 v114, v96
	s_waitcnt lgkmcnt(0)
	v_xor_b32_e32 v117, 0x80000000, v111
	v_cndmask_b32_e32 v115, v97, v115, vcc
	v_cndmask_b32_e64 v113, v95, v113, s[0:1]
	v_cmp_gt_f64_e32 vcc, 0, v[110:111]
	v_cmp_gt_f64_e64 s[0:1], 0, v[108:109]
	v_add_f64 v[112:113], v[112:113], v[114:115]
	v_xor_b32_e32 v115, 0x80000000, v109
	v_mov_b32_e32 v114, v108
	v_mov_b32_e32 v116, v110
	v_add_u32_e32 v103, 16, v103
	v_cndmask_b32_e32 v117, v111, v117, vcc
	v_cndmask_b32_e64 v115, v109, v115, s[0:1]
	v_add_f64 v[114:115], v[114:115], v[116:117]
	v_mov_b32_e32 v116, s7
	s_add_i32 s7, s7, 1
	s_cmp_lg_u32 s22, s7
	v_cmp_lt_f64_e32 vcc, v[112:113], v[114:115]
	v_cndmask_b32_e32 v95, v95, v109, vcc
	v_cndmask_b32_e32 v94, v94, v108, vcc
	;; [unrolled: 1-line block ×5, first 2 shown]
	s_cbranch_scc1 .LBB44_106
.LBB44_107:
	s_waitcnt lgkmcnt(0)
	v_cmp_eq_f64_e32 vcc, 0, v[94:95]
	v_cmp_eq_f64_e64 s[0:1], 0, v[96:97]
	s_and_b64 s[0:1], vcc, s[0:1]
	s_and_saveexec_b64 s[8:9], s[0:1]
	s_xor_b64 s[0:1], exec, s[8:9]
; %bb.108:
	v_cmp_ne_u32_e32 vcc, 0, v107
	v_cndmask_b32_e32 v107, 6, v107, vcc
; %bb.109:
	s_andn2_saveexec_b64 s[0:1], s[0:1]
	s_cbranch_execz .LBB44_115
; %bb.110:
	v_cmp_ngt_f64_e64 s[8:9], |v[94:95]|, |v[96:97]|
	s_and_saveexec_b64 s[20:21], s[8:9]
	s_xor_b64 s[8:9], exec, s[20:21]
	s_cbranch_execz .LBB44_112
; %bb.111:
	v_div_scale_f64 v[108:109], s[20:21], v[96:97], v[96:97], v[94:95]
	v_rcp_f64_e32 v[110:111], v[108:109]
	v_fma_f64 v[112:113], -v[108:109], v[110:111], 1.0
	v_fma_f64 v[110:111], v[110:111], v[112:113], v[110:111]
	v_div_scale_f64 v[112:113], vcc, v[94:95], v[96:97], v[94:95]
	v_fma_f64 v[114:115], -v[108:109], v[110:111], 1.0
	v_fma_f64 v[110:111], v[110:111], v[114:115], v[110:111]
	v_mul_f64 v[114:115], v[112:113], v[110:111]
	v_fma_f64 v[108:109], -v[108:109], v[114:115], v[112:113]
	v_div_fmas_f64 v[108:109], v[108:109], v[110:111], v[114:115]
	v_div_fixup_f64 v[108:109], v[108:109], v[96:97], v[94:95]
	v_fma_f64 v[94:95], v[94:95], v[108:109], v[96:97]
	v_div_scale_f64 v[96:97], s[20:21], v[94:95], v[94:95], 1.0
	v_div_scale_f64 v[114:115], vcc, 1.0, v[94:95], 1.0
	v_rcp_f64_e32 v[110:111], v[96:97]
	v_fma_f64 v[112:113], -v[96:97], v[110:111], 1.0
	v_fma_f64 v[110:111], v[110:111], v[112:113], v[110:111]
	v_fma_f64 v[112:113], -v[96:97], v[110:111], 1.0
	v_fma_f64 v[110:111], v[110:111], v[112:113], v[110:111]
	v_mul_f64 v[112:113], v[114:115], v[110:111]
	v_fma_f64 v[96:97], -v[96:97], v[112:113], v[114:115]
	v_div_fmas_f64 v[96:97], v[96:97], v[110:111], v[112:113]
	v_div_fixup_f64 v[96:97], v[96:97], v[94:95], 1.0
	v_mul_f64 v[94:95], v[108:109], v[96:97]
	v_xor_b32_e32 v97, 0x80000000, v97
.LBB44_112:
	s_andn2_saveexec_b64 s[8:9], s[8:9]
	s_cbranch_execz .LBB44_114
; %bb.113:
	v_div_scale_f64 v[108:109], s[20:21], v[94:95], v[94:95], v[96:97]
	v_rcp_f64_e32 v[110:111], v[108:109]
	v_fma_f64 v[112:113], -v[108:109], v[110:111], 1.0
	v_fma_f64 v[110:111], v[110:111], v[112:113], v[110:111]
	v_div_scale_f64 v[112:113], vcc, v[96:97], v[94:95], v[96:97]
	v_fma_f64 v[114:115], -v[108:109], v[110:111], 1.0
	v_fma_f64 v[110:111], v[110:111], v[114:115], v[110:111]
	v_mul_f64 v[114:115], v[112:113], v[110:111]
	v_fma_f64 v[108:109], -v[108:109], v[114:115], v[112:113]
	v_div_fmas_f64 v[108:109], v[108:109], v[110:111], v[114:115]
	v_div_fixup_f64 v[108:109], v[108:109], v[94:95], v[96:97]
	v_fma_f64 v[94:95], v[96:97], v[108:109], v[94:95]
	v_div_scale_f64 v[96:97], s[20:21], v[94:95], v[94:95], 1.0
	v_div_scale_f64 v[114:115], vcc, 1.0, v[94:95], 1.0
	v_rcp_f64_e32 v[110:111], v[96:97]
	v_fma_f64 v[112:113], -v[96:97], v[110:111], 1.0
	v_fma_f64 v[110:111], v[110:111], v[112:113], v[110:111]
	v_fma_f64 v[112:113], -v[96:97], v[110:111], 1.0
	v_fma_f64 v[110:111], v[110:111], v[112:113], v[110:111]
	v_mul_f64 v[112:113], v[114:115], v[110:111]
	v_fma_f64 v[96:97], -v[96:97], v[112:113], v[114:115]
	v_div_fmas_f64 v[96:97], v[96:97], v[110:111], v[112:113]
	v_div_fixup_f64 v[94:95], v[96:97], v[94:95], 1.0
	v_mul_f64 v[96:97], v[108:109], -v[94:95]
.LBB44_114:
	s_or_b64 exec, exec, s[8:9]
.LBB44_115:
	s_or_b64 exec, exec, s[0:1]
	v_cmp_ne_u32_e32 vcc, v104, v102
	s_and_saveexec_b64 s[0:1], vcc
	s_xor_b64 s[0:1], exec, s[0:1]
	s_cbranch_execz .LBB44_121
; %bb.116:
	v_cmp_eq_u32_e32 vcc, 5, v104
	s_and_saveexec_b64 s[8:9], vcc
	s_cbranch_execz .LBB44_120
; %bb.117:
	v_cmp_ne_u32_e32 vcc, 5, v102
	s_xor_b64 s[20:21], s[18:19], -1
	s_and_b64 s[24:25], s[20:21], vcc
	s_and_saveexec_b64 s[20:21], s[24:25]
	s_cbranch_execz .LBB44_119
; %bb.118:
	v_ashrrev_i32_e32 v103, 31, v102
	v_lshlrev_b64 v[103:104], 2, v[102:103]
	v_add_co_u32_e32 v103, vcc, v100, v103
	v_addc_co_u32_e32 v104, vcc, v101, v104, vcc
	global_load_dword v0, v[103:104], off
	global_load_dword v108, v[100:101], off offset:20
	s_waitcnt vmcnt(1)
	global_store_dword v[100:101], v0, off offset:20
	s_waitcnt vmcnt(1)
	global_store_dword v[103:104], v108, off
.LBB44_119:
	s_or_b64 exec, exec, s[20:21]
	v_mov_b32_e32 v104, v102
	v_mov_b32_e32 v0, v102
.LBB44_120:
	s_or_b64 exec, exec, s[8:9]
.LBB44_121:
	s_andn2_saveexec_b64 s[0:1], s[0:1]
	s_cbranch_execz .LBB44_123
; %bb.122:
	v_mov_b32_e32 v104, 5
	ds_write2_b64 v1, v[62:63], v[64:65] offset0:12 offset1:13
	ds_write2_b64 v1, v[58:59], v[60:61] offset0:14 offset1:15
	;; [unrolled: 1-line block ×17, first 2 shown]
.LBB44_123:
	s_or_b64 exec, exec, s[0:1]
	v_cmp_lt_i32_e32 vcc, 5, v104
	s_waitcnt vmcnt(0) lgkmcnt(0)
	s_barrier
	s_and_saveexec_b64 s[0:1], vcc
	s_cbranch_execz .LBB44_125
; %bb.124:
	v_mul_f64 v[102:103], v[96:97], v[68:69]
	v_mul_f64 v[68:69], v[94:95], v[68:69]
	v_fma_f64 v[102:103], v[94:95], v[66:67], -v[102:103]
	v_fma_f64 v[68:69], v[96:97], v[66:67], v[68:69]
	ds_read2_b64 v[94:97], v1 offset0:12 offset1:13
	s_waitcnt lgkmcnt(0)
	v_mul_f64 v[66:67], v[96:97], v[68:69]
	v_fma_f64 v[66:67], v[94:95], v[102:103], -v[66:67]
	v_mul_f64 v[94:95], v[94:95], v[68:69]
	v_add_f64 v[62:63], v[62:63], -v[66:67]
	v_fma_f64 v[94:95], v[96:97], v[102:103], v[94:95]
	v_add_f64 v[64:65], v[64:65], -v[94:95]
	ds_read2_b64 v[94:97], v1 offset0:14 offset1:15
	s_waitcnt lgkmcnt(0)
	v_mul_f64 v[66:67], v[96:97], v[68:69]
	v_fma_f64 v[66:67], v[94:95], v[102:103], -v[66:67]
	v_mul_f64 v[94:95], v[94:95], v[68:69]
	v_add_f64 v[58:59], v[58:59], -v[66:67]
	v_fma_f64 v[94:95], v[96:97], v[102:103], v[94:95]
	v_add_f64 v[60:61], v[60:61], -v[94:95]
	;; [unrolled: 8-line block ×16, first 2 shown]
	ds_read2_b64 v[94:97], v1 offset0:44 offset1:45
	s_waitcnt lgkmcnt(0)
	v_mul_f64 v[66:67], v[96:97], v[68:69]
	v_fma_f64 v[66:67], v[94:95], v[102:103], -v[66:67]
	v_mul_f64 v[94:95], v[94:95], v[68:69]
	v_add_f64 v[90:91], v[90:91], -v[66:67]
	v_fma_f64 v[94:95], v[96:97], v[102:103], v[94:95]
	v_mov_b32_e32 v66, v102
	v_mov_b32_e32 v67, v103
	v_add_f64 v[92:93], v[92:93], -v[94:95]
.LBB44_125:
	s_or_b64 exec, exec, s[0:1]
	v_lshl_add_u32 v94, v104, 4, v1
	s_barrier
	ds_write2_b64 v94, v[62:63], v[64:65] offset1:1
	s_waitcnt lgkmcnt(0)
	s_barrier
	ds_read2_b64 v[94:97], v1 offset0:12 offset1:13
	s_cmp_lt_i32 s22, 8
	v_mov_b32_e32 v102, 6
	s_cbranch_scc1 .LBB44_128
; %bb.126:
	v_add_u32_e32 v103, 0x70, v1
	s_mov_b32 s7, 7
	v_mov_b32_e32 v102, 6
.LBB44_127:                             ; =>This Inner Loop Header: Depth=1
	s_waitcnt lgkmcnt(0)
	v_cmp_gt_f64_e32 vcc, 0, v[96:97]
	v_cmp_gt_f64_e64 s[0:1], 0, v[94:95]
	ds_read2_b64 v[108:111], v103 offset1:1
	v_xor_b32_e32 v113, 0x80000000, v95
	v_xor_b32_e32 v115, 0x80000000, v97
	v_mov_b32_e32 v112, v94
	v_mov_b32_e32 v114, v96
	s_waitcnt lgkmcnt(0)
	v_xor_b32_e32 v117, 0x80000000, v111
	v_cndmask_b32_e32 v115, v97, v115, vcc
	v_cndmask_b32_e64 v113, v95, v113, s[0:1]
	v_cmp_gt_f64_e32 vcc, 0, v[110:111]
	v_cmp_gt_f64_e64 s[0:1], 0, v[108:109]
	v_add_f64 v[112:113], v[112:113], v[114:115]
	v_xor_b32_e32 v115, 0x80000000, v109
	v_mov_b32_e32 v114, v108
	v_mov_b32_e32 v116, v110
	v_add_u32_e32 v103, 16, v103
	v_cndmask_b32_e32 v117, v111, v117, vcc
	v_cndmask_b32_e64 v115, v109, v115, s[0:1]
	v_add_f64 v[114:115], v[114:115], v[116:117]
	v_mov_b32_e32 v116, s7
	s_add_i32 s7, s7, 1
	s_cmp_lg_u32 s22, s7
	v_cmp_lt_f64_e32 vcc, v[112:113], v[114:115]
	v_cndmask_b32_e32 v95, v95, v109, vcc
	v_cndmask_b32_e32 v94, v94, v108, vcc
	;; [unrolled: 1-line block ×5, first 2 shown]
	s_cbranch_scc1 .LBB44_127
.LBB44_128:
	s_waitcnt lgkmcnt(0)
	v_cmp_eq_f64_e32 vcc, 0, v[94:95]
	v_cmp_eq_f64_e64 s[0:1], 0, v[96:97]
	s_and_b64 s[0:1], vcc, s[0:1]
	s_and_saveexec_b64 s[8:9], s[0:1]
	s_xor_b64 s[0:1], exec, s[8:9]
; %bb.129:
	v_cmp_ne_u32_e32 vcc, 0, v107
	v_cndmask_b32_e32 v107, 7, v107, vcc
; %bb.130:
	s_andn2_saveexec_b64 s[0:1], s[0:1]
	s_cbranch_execz .LBB44_136
; %bb.131:
	v_cmp_ngt_f64_e64 s[8:9], |v[94:95]|, |v[96:97]|
	s_and_saveexec_b64 s[20:21], s[8:9]
	s_xor_b64 s[8:9], exec, s[20:21]
	s_cbranch_execz .LBB44_133
; %bb.132:
	v_div_scale_f64 v[108:109], s[20:21], v[96:97], v[96:97], v[94:95]
	v_rcp_f64_e32 v[110:111], v[108:109]
	v_fma_f64 v[112:113], -v[108:109], v[110:111], 1.0
	v_fma_f64 v[110:111], v[110:111], v[112:113], v[110:111]
	v_div_scale_f64 v[112:113], vcc, v[94:95], v[96:97], v[94:95]
	v_fma_f64 v[114:115], -v[108:109], v[110:111], 1.0
	v_fma_f64 v[110:111], v[110:111], v[114:115], v[110:111]
	v_mul_f64 v[114:115], v[112:113], v[110:111]
	v_fma_f64 v[108:109], -v[108:109], v[114:115], v[112:113]
	v_div_fmas_f64 v[108:109], v[108:109], v[110:111], v[114:115]
	v_div_fixup_f64 v[108:109], v[108:109], v[96:97], v[94:95]
	v_fma_f64 v[94:95], v[94:95], v[108:109], v[96:97]
	v_div_scale_f64 v[96:97], s[20:21], v[94:95], v[94:95], 1.0
	v_div_scale_f64 v[114:115], vcc, 1.0, v[94:95], 1.0
	v_rcp_f64_e32 v[110:111], v[96:97]
	v_fma_f64 v[112:113], -v[96:97], v[110:111], 1.0
	v_fma_f64 v[110:111], v[110:111], v[112:113], v[110:111]
	v_fma_f64 v[112:113], -v[96:97], v[110:111], 1.0
	v_fma_f64 v[110:111], v[110:111], v[112:113], v[110:111]
	v_mul_f64 v[112:113], v[114:115], v[110:111]
	v_fma_f64 v[96:97], -v[96:97], v[112:113], v[114:115]
	v_div_fmas_f64 v[96:97], v[96:97], v[110:111], v[112:113]
	v_div_fixup_f64 v[96:97], v[96:97], v[94:95], 1.0
	v_mul_f64 v[94:95], v[108:109], v[96:97]
	v_xor_b32_e32 v97, 0x80000000, v97
.LBB44_133:
	s_andn2_saveexec_b64 s[8:9], s[8:9]
	s_cbranch_execz .LBB44_135
; %bb.134:
	v_div_scale_f64 v[108:109], s[20:21], v[94:95], v[94:95], v[96:97]
	v_rcp_f64_e32 v[110:111], v[108:109]
	v_fma_f64 v[112:113], -v[108:109], v[110:111], 1.0
	v_fma_f64 v[110:111], v[110:111], v[112:113], v[110:111]
	v_div_scale_f64 v[112:113], vcc, v[96:97], v[94:95], v[96:97]
	v_fma_f64 v[114:115], -v[108:109], v[110:111], 1.0
	v_fma_f64 v[110:111], v[110:111], v[114:115], v[110:111]
	v_mul_f64 v[114:115], v[112:113], v[110:111]
	v_fma_f64 v[108:109], -v[108:109], v[114:115], v[112:113]
	v_div_fmas_f64 v[108:109], v[108:109], v[110:111], v[114:115]
	v_div_fixup_f64 v[108:109], v[108:109], v[94:95], v[96:97]
	v_fma_f64 v[94:95], v[96:97], v[108:109], v[94:95]
	v_div_scale_f64 v[96:97], s[20:21], v[94:95], v[94:95], 1.0
	v_div_scale_f64 v[114:115], vcc, 1.0, v[94:95], 1.0
	v_rcp_f64_e32 v[110:111], v[96:97]
	v_fma_f64 v[112:113], -v[96:97], v[110:111], 1.0
	v_fma_f64 v[110:111], v[110:111], v[112:113], v[110:111]
	v_fma_f64 v[112:113], -v[96:97], v[110:111], 1.0
	v_fma_f64 v[110:111], v[110:111], v[112:113], v[110:111]
	v_mul_f64 v[112:113], v[114:115], v[110:111]
	v_fma_f64 v[96:97], -v[96:97], v[112:113], v[114:115]
	v_div_fmas_f64 v[96:97], v[96:97], v[110:111], v[112:113]
	v_div_fixup_f64 v[94:95], v[96:97], v[94:95], 1.0
	v_mul_f64 v[96:97], v[108:109], -v[94:95]
.LBB44_135:
	s_or_b64 exec, exec, s[8:9]
.LBB44_136:
	s_or_b64 exec, exec, s[0:1]
	v_cmp_ne_u32_e32 vcc, v104, v102
	s_and_saveexec_b64 s[0:1], vcc
	s_xor_b64 s[0:1], exec, s[0:1]
	s_cbranch_execz .LBB44_142
; %bb.137:
	v_cmp_eq_u32_e32 vcc, 6, v104
	s_and_saveexec_b64 s[8:9], vcc
	s_cbranch_execz .LBB44_141
; %bb.138:
	v_cmp_ne_u32_e32 vcc, 6, v102
	s_xor_b64 s[20:21], s[18:19], -1
	s_and_b64 s[24:25], s[20:21], vcc
	s_and_saveexec_b64 s[20:21], s[24:25]
	s_cbranch_execz .LBB44_140
; %bb.139:
	v_ashrrev_i32_e32 v103, 31, v102
	v_lshlrev_b64 v[103:104], 2, v[102:103]
	v_add_co_u32_e32 v103, vcc, v100, v103
	v_addc_co_u32_e32 v104, vcc, v101, v104, vcc
	global_load_dword v0, v[103:104], off
	global_load_dword v108, v[100:101], off offset:24
	s_waitcnt vmcnt(1)
	global_store_dword v[100:101], v0, off offset:24
	s_waitcnt vmcnt(1)
	global_store_dword v[103:104], v108, off
.LBB44_140:
	s_or_b64 exec, exec, s[20:21]
	v_mov_b32_e32 v104, v102
	v_mov_b32_e32 v0, v102
.LBB44_141:
	s_or_b64 exec, exec, s[8:9]
.LBB44_142:
	s_andn2_saveexec_b64 s[0:1], s[0:1]
	s_cbranch_execz .LBB44_144
; %bb.143:
	v_mov_b32_e32 v104, 6
	ds_write2_b64 v1, v[58:59], v[60:61] offset0:14 offset1:15
	ds_write2_b64 v1, v[54:55], v[56:57] offset0:16 offset1:17
	;; [unrolled: 1-line block ×16, first 2 shown]
.LBB44_144:
	s_or_b64 exec, exec, s[0:1]
	v_cmp_lt_i32_e32 vcc, 6, v104
	s_waitcnt vmcnt(0) lgkmcnt(0)
	s_barrier
	s_and_saveexec_b64 s[0:1], vcc
	s_cbranch_execz .LBB44_146
; %bb.145:
	v_mul_f64 v[102:103], v[94:95], v[64:65]
	v_mul_f64 v[64:65], v[96:97], v[64:65]
	v_fma_f64 v[102:103], v[96:97], v[62:63], v[102:103]
	v_fma_f64 v[62:63], v[94:95], v[62:63], -v[64:65]
	ds_read2_b64 v[94:97], v1 offset0:14 offset1:15
	s_waitcnt lgkmcnt(0)
	v_mul_f64 v[64:65], v[96:97], v[102:103]
	v_fma_f64 v[64:65], v[94:95], v[62:63], -v[64:65]
	v_mul_f64 v[94:95], v[94:95], v[102:103]
	v_add_f64 v[58:59], v[58:59], -v[64:65]
	v_fma_f64 v[94:95], v[96:97], v[62:63], v[94:95]
	v_add_f64 v[60:61], v[60:61], -v[94:95]
	ds_read2_b64 v[94:97], v1 offset0:16 offset1:17
	s_waitcnt lgkmcnt(0)
	v_mul_f64 v[64:65], v[96:97], v[102:103]
	v_fma_f64 v[64:65], v[94:95], v[62:63], -v[64:65]
	v_mul_f64 v[94:95], v[94:95], v[102:103]
	v_add_f64 v[54:55], v[54:55], -v[64:65]
	v_fma_f64 v[94:95], v[96:97], v[62:63], v[94:95]
	v_add_f64 v[56:57], v[56:57], -v[94:95]
	;; [unrolled: 8-line block ×15, first 2 shown]
	ds_read2_b64 v[94:97], v1 offset0:44 offset1:45
	s_waitcnt lgkmcnt(0)
	v_mul_f64 v[64:65], v[96:97], v[102:103]
	v_fma_f64 v[64:65], v[94:95], v[62:63], -v[64:65]
	v_mul_f64 v[94:95], v[94:95], v[102:103]
	v_add_f64 v[90:91], v[90:91], -v[64:65]
	v_fma_f64 v[94:95], v[96:97], v[62:63], v[94:95]
	v_mov_b32_e32 v64, v102
	v_mov_b32_e32 v65, v103
	v_add_f64 v[92:93], v[92:93], -v[94:95]
.LBB44_146:
	s_or_b64 exec, exec, s[0:1]
	v_lshl_add_u32 v94, v104, 4, v1
	s_barrier
	ds_write2_b64 v94, v[58:59], v[60:61] offset1:1
	s_waitcnt lgkmcnt(0)
	s_barrier
	ds_read2_b64 v[94:97], v1 offset0:14 offset1:15
	s_cmp_lt_i32 s22, 9
	v_mov_b32_e32 v102, 7
	s_cbranch_scc1 .LBB44_149
; %bb.147:
	v_add_u32_e32 v103, 0x80, v1
	s_mov_b32 s7, 8
	v_mov_b32_e32 v102, 7
.LBB44_148:                             ; =>This Inner Loop Header: Depth=1
	s_waitcnt lgkmcnt(0)
	v_cmp_gt_f64_e32 vcc, 0, v[96:97]
	v_cmp_gt_f64_e64 s[0:1], 0, v[94:95]
	ds_read2_b64 v[108:111], v103 offset1:1
	v_xor_b32_e32 v113, 0x80000000, v95
	v_xor_b32_e32 v115, 0x80000000, v97
	v_mov_b32_e32 v112, v94
	v_mov_b32_e32 v114, v96
	s_waitcnt lgkmcnt(0)
	v_xor_b32_e32 v117, 0x80000000, v111
	v_cndmask_b32_e32 v115, v97, v115, vcc
	v_cndmask_b32_e64 v113, v95, v113, s[0:1]
	v_cmp_gt_f64_e32 vcc, 0, v[110:111]
	v_cmp_gt_f64_e64 s[0:1], 0, v[108:109]
	v_add_f64 v[112:113], v[112:113], v[114:115]
	v_xor_b32_e32 v115, 0x80000000, v109
	v_mov_b32_e32 v114, v108
	v_mov_b32_e32 v116, v110
	v_add_u32_e32 v103, 16, v103
	v_cndmask_b32_e32 v117, v111, v117, vcc
	v_cndmask_b32_e64 v115, v109, v115, s[0:1]
	v_add_f64 v[114:115], v[114:115], v[116:117]
	v_mov_b32_e32 v116, s7
	s_add_i32 s7, s7, 1
	s_cmp_lg_u32 s22, s7
	v_cmp_lt_f64_e32 vcc, v[112:113], v[114:115]
	v_cndmask_b32_e32 v95, v95, v109, vcc
	v_cndmask_b32_e32 v94, v94, v108, vcc
	;; [unrolled: 1-line block ×5, first 2 shown]
	s_cbranch_scc1 .LBB44_148
.LBB44_149:
	s_waitcnt lgkmcnt(0)
	v_cmp_eq_f64_e32 vcc, 0, v[94:95]
	v_cmp_eq_f64_e64 s[0:1], 0, v[96:97]
	s_and_b64 s[0:1], vcc, s[0:1]
	s_and_saveexec_b64 s[8:9], s[0:1]
	s_xor_b64 s[0:1], exec, s[8:9]
; %bb.150:
	v_cmp_ne_u32_e32 vcc, 0, v107
	v_cndmask_b32_e32 v107, 8, v107, vcc
; %bb.151:
	s_andn2_saveexec_b64 s[0:1], s[0:1]
	s_cbranch_execz .LBB44_157
; %bb.152:
	v_cmp_ngt_f64_e64 s[8:9], |v[94:95]|, |v[96:97]|
	s_and_saveexec_b64 s[20:21], s[8:9]
	s_xor_b64 s[8:9], exec, s[20:21]
	s_cbranch_execz .LBB44_154
; %bb.153:
	v_div_scale_f64 v[108:109], s[20:21], v[96:97], v[96:97], v[94:95]
	v_rcp_f64_e32 v[110:111], v[108:109]
	v_fma_f64 v[112:113], -v[108:109], v[110:111], 1.0
	v_fma_f64 v[110:111], v[110:111], v[112:113], v[110:111]
	v_div_scale_f64 v[112:113], vcc, v[94:95], v[96:97], v[94:95]
	v_fma_f64 v[114:115], -v[108:109], v[110:111], 1.0
	v_fma_f64 v[110:111], v[110:111], v[114:115], v[110:111]
	v_mul_f64 v[114:115], v[112:113], v[110:111]
	v_fma_f64 v[108:109], -v[108:109], v[114:115], v[112:113]
	v_div_fmas_f64 v[108:109], v[108:109], v[110:111], v[114:115]
	v_div_fixup_f64 v[108:109], v[108:109], v[96:97], v[94:95]
	v_fma_f64 v[94:95], v[94:95], v[108:109], v[96:97]
	v_div_scale_f64 v[96:97], s[20:21], v[94:95], v[94:95], 1.0
	v_div_scale_f64 v[114:115], vcc, 1.0, v[94:95], 1.0
	v_rcp_f64_e32 v[110:111], v[96:97]
	v_fma_f64 v[112:113], -v[96:97], v[110:111], 1.0
	v_fma_f64 v[110:111], v[110:111], v[112:113], v[110:111]
	v_fma_f64 v[112:113], -v[96:97], v[110:111], 1.0
	v_fma_f64 v[110:111], v[110:111], v[112:113], v[110:111]
	v_mul_f64 v[112:113], v[114:115], v[110:111]
	v_fma_f64 v[96:97], -v[96:97], v[112:113], v[114:115]
	v_div_fmas_f64 v[96:97], v[96:97], v[110:111], v[112:113]
	v_div_fixup_f64 v[96:97], v[96:97], v[94:95], 1.0
	v_mul_f64 v[94:95], v[108:109], v[96:97]
	v_xor_b32_e32 v97, 0x80000000, v97
.LBB44_154:
	s_andn2_saveexec_b64 s[8:9], s[8:9]
	s_cbranch_execz .LBB44_156
; %bb.155:
	v_div_scale_f64 v[108:109], s[20:21], v[94:95], v[94:95], v[96:97]
	v_rcp_f64_e32 v[110:111], v[108:109]
	v_fma_f64 v[112:113], -v[108:109], v[110:111], 1.0
	v_fma_f64 v[110:111], v[110:111], v[112:113], v[110:111]
	v_div_scale_f64 v[112:113], vcc, v[96:97], v[94:95], v[96:97]
	v_fma_f64 v[114:115], -v[108:109], v[110:111], 1.0
	v_fma_f64 v[110:111], v[110:111], v[114:115], v[110:111]
	v_mul_f64 v[114:115], v[112:113], v[110:111]
	v_fma_f64 v[108:109], -v[108:109], v[114:115], v[112:113]
	v_div_fmas_f64 v[108:109], v[108:109], v[110:111], v[114:115]
	v_div_fixup_f64 v[108:109], v[108:109], v[94:95], v[96:97]
	v_fma_f64 v[94:95], v[96:97], v[108:109], v[94:95]
	v_div_scale_f64 v[96:97], s[20:21], v[94:95], v[94:95], 1.0
	v_div_scale_f64 v[114:115], vcc, 1.0, v[94:95], 1.0
	v_rcp_f64_e32 v[110:111], v[96:97]
	v_fma_f64 v[112:113], -v[96:97], v[110:111], 1.0
	v_fma_f64 v[110:111], v[110:111], v[112:113], v[110:111]
	v_fma_f64 v[112:113], -v[96:97], v[110:111], 1.0
	v_fma_f64 v[110:111], v[110:111], v[112:113], v[110:111]
	v_mul_f64 v[112:113], v[114:115], v[110:111]
	v_fma_f64 v[96:97], -v[96:97], v[112:113], v[114:115]
	v_div_fmas_f64 v[96:97], v[96:97], v[110:111], v[112:113]
	v_div_fixup_f64 v[94:95], v[96:97], v[94:95], 1.0
	v_mul_f64 v[96:97], v[108:109], -v[94:95]
.LBB44_156:
	s_or_b64 exec, exec, s[8:9]
.LBB44_157:
	s_or_b64 exec, exec, s[0:1]
	v_cmp_ne_u32_e32 vcc, v104, v102
	s_and_saveexec_b64 s[0:1], vcc
	s_xor_b64 s[0:1], exec, s[0:1]
	s_cbranch_execz .LBB44_163
; %bb.158:
	v_cmp_eq_u32_e32 vcc, 7, v104
	s_and_saveexec_b64 s[8:9], vcc
	s_cbranch_execz .LBB44_162
; %bb.159:
	v_cmp_ne_u32_e32 vcc, 7, v102
	s_xor_b64 s[20:21], s[18:19], -1
	s_and_b64 s[24:25], s[20:21], vcc
	s_and_saveexec_b64 s[20:21], s[24:25]
	s_cbranch_execz .LBB44_161
; %bb.160:
	v_ashrrev_i32_e32 v103, 31, v102
	v_lshlrev_b64 v[103:104], 2, v[102:103]
	v_add_co_u32_e32 v103, vcc, v100, v103
	v_addc_co_u32_e32 v104, vcc, v101, v104, vcc
	global_load_dword v0, v[103:104], off
	global_load_dword v108, v[100:101], off offset:28
	s_waitcnt vmcnt(1)
	global_store_dword v[100:101], v0, off offset:28
	s_waitcnt vmcnt(1)
	global_store_dword v[103:104], v108, off
.LBB44_161:
	s_or_b64 exec, exec, s[20:21]
	v_mov_b32_e32 v104, v102
	v_mov_b32_e32 v0, v102
.LBB44_162:
	s_or_b64 exec, exec, s[8:9]
.LBB44_163:
	s_andn2_saveexec_b64 s[0:1], s[0:1]
	s_cbranch_execz .LBB44_165
; %bb.164:
	v_mov_b32_e32 v104, 7
	ds_write2_b64 v1, v[54:55], v[56:57] offset0:16 offset1:17
	ds_write2_b64 v1, v[50:51], v[52:53] offset0:18 offset1:19
	;; [unrolled: 1-line block ×15, first 2 shown]
.LBB44_165:
	s_or_b64 exec, exec, s[0:1]
	v_cmp_lt_i32_e32 vcc, 7, v104
	s_waitcnt vmcnt(0) lgkmcnt(0)
	s_barrier
	s_and_saveexec_b64 s[0:1], vcc
	s_cbranch_execz .LBB44_167
; %bb.166:
	v_mul_f64 v[102:103], v[94:95], v[60:61]
	v_mul_f64 v[60:61], v[96:97], v[60:61]
	v_fma_f64 v[102:103], v[96:97], v[58:59], v[102:103]
	v_fma_f64 v[58:59], v[94:95], v[58:59], -v[60:61]
	ds_read2_b64 v[94:97], v1 offset0:16 offset1:17
	s_waitcnt lgkmcnt(0)
	v_mul_f64 v[60:61], v[96:97], v[102:103]
	v_fma_f64 v[60:61], v[94:95], v[58:59], -v[60:61]
	v_mul_f64 v[94:95], v[94:95], v[102:103]
	v_add_f64 v[54:55], v[54:55], -v[60:61]
	v_fma_f64 v[94:95], v[96:97], v[58:59], v[94:95]
	v_add_f64 v[56:57], v[56:57], -v[94:95]
	ds_read2_b64 v[94:97], v1 offset0:18 offset1:19
	s_waitcnt lgkmcnt(0)
	v_mul_f64 v[60:61], v[96:97], v[102:103]
	v_fma_f64 v[60:61], v[94:95], v[58:59], -v[60:61]
	v_mul_f64 v[94:95], v[94:95], v[102:103]
	v_add_f64 v[50:51], v[50:51], -v[60:61]
	v_fma_f64 v[94:95], v[96:97], v[58:59], v[94:95]
	v_add_f64 v[52:53], v[52:53], -v[94:95]
	;; [unrolled: 8-line block ×14, first 2 shown]
	ds_read2_b64 v[94:97], v1 offset0:44 offset1:45
	s_waitcnt lgkmcnt(0)
	v_mul_f64 v[60:61], v[96:97], v[102:103]
	v_fma_f64 v[60:61], v[94:95], v[58:59], -v[60:61]
	v_mul_f64 v[94:95], v[94:95], v[102:103]
	v_add_f64 v[90:91], v[90:91], -v[60:61]
	v_fma_f64 v[94:95], v[96:97], v[58:59], v[94:95]
	v_mov_b32_e32 v60, v102
	v_mov_b32_e32 v61, v103
	v_add_f64 v[92:93], v[92:93], -v[94:95]
.LBB44_167:
	s_or_b64 exec, exec, s[0:1]
	v_lshl_add_u32 v94, v104, 4, v1
	s_barrier
	ds_write2_b64 v94, v[54:55], v[56:57] offset1:1
	s_waitcnt lgkmcnt(0)
	s_barrier
	ds_read2_b64 v[94:97], v1 offset0:16 offset1:17
	s_cmp_lt_i32 s22, 10
	v_mov_b32_e32 v102, 8
	s_cbranch_scc1 .LBB44_170
; %bb.168:
	v_add_u32_e32 v103, 0x90, v1
	s_mov_b32 s7, 9
	v_mov_b32_e32 v102, 8
.LBB44_169:                             ; =>This Inner Loop Header: Depth=1
	s_waitcnt lgkmcnt(0)
	v_cmp_gt_f64_e32 vcc, 0, v[96:97]
	v_cmp_gt_f64_e64 s[0:1], 0, v[94:95]
	ds_read2_b64 v[108:111], v103 offset1:1
	v_xor_b32_e32 v113, 0x80000000, v95
	v_xor_b32_e32 v115, 0x80000000, v97
	v_mov_b32_e32 v112, v94
	v_mov_b32_e32 v114, v96
	s_waitcnt lgkmcnt(0)
	v_xor_b32_e32 v117, 0x80000000, v111
	v_cndmask_b32_e32 v115, v97, v115, vcc
	v_cndmask_b32_e64 v113, v95, v113, s[0:1]
	v_cmp_gt_f64_e32 vcc, 0, v[110:111]
	v_cmp_gt_f64_e64 s[0:1], 0, v[108:109]
	v_add_f64 v[112:113], v[112:113], v[114:115]
	v_xor_b32_e32 v115, 0x80000000, v109
	v_mov_b32_e32 v114, v108
	v_mov_b32_e32 v116, v110
	v_add_u32_e32 v103, 16, v103
	v_cndmask_b32_e32 v117, v111, v117, vcc
	v_cndmask_b32_e64 v115, v109, v115, s[0:1]
	v_add_f64 v[114:115], v[114:115], v[116:117]
	v_mov_b32_e32 v116, s7
	s_add_i32 s7, s7, 1
	s_cmp_lg_u32 s22, s7
	v_cmp_lt_f64_e32 vcc, v[112:113], v[114:115]
	v_cndmask_b32_e32 v95, v95, v109, vcc
	v_cndmask_b32_e32 v94, v94, v108, vcc
	v_cndmask_b32_e32 v97, v97, v111, vcc
	v_cndmask_b32_e32 v96, v96, v110, vcc
	v_cndmask_b32_e32 v102, v102, v116, vcc
	s_cbranch_scc1 .LBB44_169
.LBB44_170:
	s_waitcnt lgkmcnt(0)
	v_cmp_eq_f64_e32 vcc, 0, v[94:95]
	v_cmp_eq_f64_e64 s[0:1], 0, v[96:97]
	s_and_b64 s[0:1], vcc, s[0:1]
	s_and_saveexec_b64 s[8:9], s[0:1]
	s_xor_b64 s[0:1], exec, s[8:9]
; %bb.171:
	v_cmp_ne_u32_e32 vcc, 0, v107
	v_cndmask_b32_e32 v107, 9, v107, vcc
; %bb.172:
	s_andn2_saveexec_b64 s[0:1], s[0:1]
	s_cbranch_execz .LBB44_178
; %bb.173:
	v_cmp_ngt_f64_e64 s[8:9], |v[94:95]|, |v[96:97]|
	s_and_saveexec_b64 s[20:21], s[8:9]
	s_xor_b64 s[8:9], exec, s[20:21]
	s_cbranch_execz .LBB44_175
; %bb.174:
	v_div_scale_f64 v[108:109], s[20:21], v[96:97], v[96:97], v[94:95]
	v_rcp_f64_e32 v[110:111], v[108:109]
	v_fma_f64 v[112:113], -v[108:109], v[110:111], 1.0
	v_fma_f64 v[110:111], v[110:111], v[112:113], v[110:111]
	v_div_scale_f64 v[112:113], vcc, v[94:95], v[96:97], v[94:95]
	v_fma_f64 v[114:115], -v[108:109], v[110:111], 1.0
	v_fma_f64 v[110:111], v[110:111], v[114:115], v[110:111]
	v_mul_f64 v[114:115], v[112:113], v[110:111]
	v_fma_f64 v[108:109], -v[108:109], v[114:115], v[112:113]
	v_div_fmas_f64 v[108:109], v[108:109], v[110:111], v[114:115]
	v_div_fixup_f64 v[108:109], v[108:109], v[96:97], v[94:95]
	v_fma_f64 v[94:95], v[94:95], v[108:109], v[96:97]
	v_div_scale_f64 v[96:97], s[20:21], v[94:95], v[94:95], 1.0
	v_div_scale_f64 v[114:115], vcc, 1.0, v[94:95], 1.0
	v_rcp_f64_e32 v[110:111], v[96:97]
	v_fma_f64 v[112:113], -v[96:97], v[110:111], 1.0
	v_fma_f64 v[110:111], v[110:111], v[112:113], v[110:111]
	v_fma_f64 v[112:113], -v[96:97], v[110:111], 1.0
	v_fma_f64 v[110:111], v[110:111], v[112:113], v[110:111]
	v_mul_f64 v[112:113], v[114:115], v[110:111]
	v_fma_f64 v[96:97], -v[96:97], v[112:113], v[114:115]
	v_div_fmas_f64 v[96:97], v[96:97], v[110:111], v[112:113]
	v_div_fixup_f64 v[96:97], v[96:97], v[94:95], 1.0
	v_mul_f64 v[94:95], v[108:109], v[96:97]
	v_xor_b32_e32 v97, 0x80000000, v97
.LBB44_175:
	s_andn2_saveexec_b64 s[8:9], s[8:9]
	s_cbranch_execz .LBB44_177
; %bb.176:
	v_div_scale_f64 v[108:109], s[20:21], v[94:95], v[94:95], v[96:97]
	v_rcp_f64_e32 v[110:111], v[108:109]
	v_fma_f64 v[112:113], -v[108:109], v[110:111], 1.0
	v_fma_f64 v[110:111], v[110:111], v[112:113], v[110:111]
	v_div_scale_f64 v[112:113], vcc, v[96:97], v[94:95], v[96:97]
	v_fma_f64 v[114:115], -v[108:109], v[110:111], 1.0
	v_fma_f64 v[110:111], v[110:111], v[114:115], v[110:111]
	v_mul_f64 v[114:115], v[112:113], v[110:111]
	v_fma_f64 v[108:109], -v[108:109], v[114:115], v[112:113]
	v_div_fmas_f64 v[108:109], v[108:109], v[110:111], v[114:115]
	v_div_fixup_f64 v[108:109], v[108:109], v[94:95], v[96:97]
	v_fma_f64 v[94:95], v[96:97], v[108:109], v[94:95]
	v_div_scale_f64 v[96:97], s[20:21], v[94:95], v[94:95], 1.0
	v_div_scale_f64 v[114:115], vcc, 1.0, v[94:95], 1.0
	v_rcp_f64_e32 v[110:111], v[96:97]
	v_fma_f64 v[112:113], -v[96:97], v[110:111], 1.0
	v_fma_f64 v[110:111], v[110:111], v[112:113], v[110:111]
	v_fma_f64 v[112:113], -v[96:97], v[110:111], 1.0
	v_fma_f64 v[110:111], v[110:111], v[112:113], v[110:111]
	v_mul_f64 v[112:113], v[114:115], v[110:111]
	v_fma_f64 v[96:97], -v[96:97], v[112:113], v[114:115]
	v_div_fmas_f64 v[96:97], v[96:97], v[110:111], v[112:113]
	v_div_fixup_f64 v[94:95], v[96:97], v[94:95], 1.0
	v_mul_f64 v[96:97], v[108:109], -v[94:95]
.LBB44_177:
	s_or_b64 exec, exec, s[8:9]
.LBB44_178:
	s_or_b64 exec, exec, s[0:1]
	v_cmp_ne_u32_e32 vcc, v104, v102
	s_and_saveexec_b64 s[0:1], vcc
	s_xor_b64 s[0:1], exec, s[0:1]
	s_cbranch_execz .LBB44_184
; %bb.179:
	v_cmp_eq_u32_e32 vcc, 8, v104
	s_and_saveexec_b64 s[8:9], vcc
	s_cbranch_execz .LBB44_183
; %bb.180:
	v_cmp_ne_u32_e32 vcc, 8, v102
	s_xor_b64 s[20:21], s[18:19], -1
	s_and_b64 s[24:25], s[20:21], vcc
	s_and_saveexec_b64 s[20:21], s[24:25]
	s_cbranch_execz .LBB44_182
; %bb.181:
	v_ashrrev_i32_e32 v103, 31, v102
	v_lshlrev_b64 v[103:104], 2, v[102:103]
	v_add_co_u32_e32 v103, vcc, v100, v103
	v_addc_co_u32_e32 v104, vcc, v101, v104, vcc
	global_load_dword v0, v[103:104], off
	global_load_dword v108, v[100:101], off offset:32
	s_waitcnt vmcnt(1)
	global_store_dword v[100:101], v0, off offset:32
	s_waitcnt vmcnt(1)
	global_store_dword v[103:104], v108, off
.LBB44_182:
	s_or_b64 exec, exec, s[20:21]
	v_mov_b32_e32 v104, v102
	v_mov_b32_e32 v0, v102
.LBB44_183:
	s_or_b64 exec, exec, s[8:9]
.LBB44_184:
	s_andn2_saveexec_b64 s[0:1], s[0:1]
	s_cbranch_execz .LBB44_186
; %bb.185:
	v_mov_b32_e32 v104, 8
	ds_write2_b64 v1, v[50:51], v[52:53] offset0:18 offset1:19
	ds_write2_b64 v1, v[46:47], v[48:49] offset0:20 offset1:21
	;; [unrolled: 1-line block ×14, first 2 shown]
.LBB44_186:
	s_or_b64 exec, exec, s[0:1]
	v_cmp_lt_i32_e32 vcc, 8, v104
	s_waitcnt vmcnt(0) lgkmcnt(0)
	s_barrier
	s_and_saveexec_b64 s[0:1], vcc
	s_cbranch_execz .LBB44_188
; %bb.187:
	v_mul_f64 v[102:103], v[94:95], v[56:57]
	v_mul_f64 v[56:57], v[96:97], v[56:57]
	v_fma_f64 v[102:103], v[96:97], v[54:55], v[102:103]
	v_fma_f64 v[54:55], v[94:95], v[54:55], -v[56:57]
	ds_read2_b64 v[94:97], v1 offset0:18 offset1:19
	s_waitcnt lgkmcnt(0)
	v_mul_f64 v[56:57], v[96:97], v[102:103]
	v_fma_f64 v[56:57], v[94:95], v[54:55], -v[56:57]
	v_mul_f64 v[94:95], v[94:95], v[102:103]
	v_add_f64 v[50:51], v[50:51], -v[56:57]
	v_fma_f64 v[94:95], v[96:97], v[54:55], v[94:95]
	v_add_f64 v[52:53], v[52:53], -v[94:95]
	ds_read2_b64 v[94:97], v1 offset0:20 offset1:21
	s_waitcnt lgkmcnt(0)
	v_mul_f64 v[56:57], v[96:97], v[102:103]
	v_fma_f64 v[56:57], v[94:95], v[54:55], -v[56:57]
	v_mul_f64 v[94:95], v[94:95], v[102:103]
	v_add_f64 v[46:47], v[46:47], -v[56:57]
	v_fma_f64 v[94:95], v[96:97], v[54:55], v[94:95]
	v_add_f64 v[48:49], v[48:49], -v[94:95]
	;; [unrolled: 8-line block ×13, first 2 shown]
	ds_read2_b64 v[94:97], v1 offset0:44 offset1:45
	s_waitcnt lgkmcnt(0)
	v_mul_f64 v[56:57], v[96:97], v[102:103]
	v_fma_f64 v[56:57], v[94:95], v[54:55], -v[56:57]
	v_mul_f64 v[94:95], v[94:95], v[102:103]
	v_add_f64 v[90:91], v[90:91], -v[56:57]
	v_fma_f64 v[94:95], v[96:97], v[54:55], v[94:95]
	v_mov_b32_e32 v56, v102
	v_mov_b32_e32 v57, v103
	v_add_f64 v[92:93], v[92:93], -v[94:95]
.LBB44_188:
	s_or_b64 exec, exec, s[0:1]
	v_lshl_add_u32 v94, v104, 4, v1
	s_barrier
	ds_write2_b64 v94, v[50:51], v[52:53] offset1:1
	s_waitcnt lgkmcnt(0)
	s_barrier
	ds_read2_b64 v[94:97], v1 offset0:18 offset1:19
	s_cmp_lt_i32 s22, 11
	v_mov_b32_e32 v102, 9
	s_cbranch_scc1 .LBB44_191
; %bb.189:
	v_add_u32_e32 v103, 0xa0, v1
	s_mov_b32 s7, 10
	v_mov_b32_e32 v102, 9
.LBB44_190:                             ; =>This Inner Loop Header: Depth=1
	s_waitcnt lgkmcnt(0)
	v_cmp_gt_f64_e32 vcc, 0, v[96:97]
	v_cmp_gt_f64_e64 s[0:1], 0, v[94:95]
	ds_read2_b64 v[108:111], v103 offset1:1
	v_xor_b32_e32 v113, 0x80000000, v95
	v_xor_b32_e32 v115, 0x80000000, v97
	v_mov_b32_e32 v112, v94
	v_mov_b32_e32 v114, v96
	s_waitcnt lgkmcnt(0)
	v_xor_b32_e32 v117, 0x80000000, v111
	v_cndmask_b32_e32 v115, v97, v115, vcc
	v_cndmask_b32_e64 v113, v95, v113, s[0:1]
	v_cmp_gt_f64_e32 vcc, 0, v[110:111]
	v_cmp_gt_f64_e64 s[0:1], 0, v[108:109]
	v_add_f64 v[112:113], v[112:113], v[114:115]
	v_xor_b32_e32 v115, 0x80000000, v109
	v_mov_b32_e32 v114, v108
	v_mov_b32_e32 v116, v110
	v_add_u32_e32 v103, 16, v103
	v_cndmask_b32_e32 v117, v111, v117, vcc
	v_cndmask_b32_e64 v115, v109, v115, s[0:1]
	v_add_f64 v[114:115], v[114:115], v[116:117]
	v_mov_b32_e32 v116, s7
	s_add_i32 s7, s7, 1
	s_cmp_lg_u32 s22, s7
	v_cmp_lt_f64_e32 vcc, v[112:113], v[114:115]
	v_cndmask_b32_e32 v95, v95, v109, vcc
	v_cndmask_b32_e32 v94, v94, v108, vcc
	;; [unrolled: 1-line block ×5, first 2 shown]
	s_cbranch_scc1 .LBB44_190
.LBB44_191:
	s_waitcnt lgkmcnt(0)
	v_cmp_eq_f64_e32 vcc, 0, v[94:95]
	v_cmp_eq_f64_e64 s[0:1], 0, v[96:97]
	s_and_b64 s[0:1], vcc, s[0:1]
	s_and_saveexec_b64 s[8:9], s[0:1]
	s_xor_b64 s[0:1], exec, s[8:9]
; %bb.192:
	v_cmp_ne_u32_e32 vcc, 0, v107
	v_cndmask_b32_e32 v107, 10, v107, vcc
; %bb.193:
	s_andn2_saveexec_b64 s[0:1], s[0:1]
	s_cbranch_execz .LBB44_199
; %bb.194:
	v_cmp_ngt_f64_e64 s[8:9], |v[94:95]|, |v[96:97]|
	s_and_saveexec_b64 s[20:21], s[8:9]
	s_xor_b64 s[8:9], exec, s[20:21]
	s_cbranch_execz .LBB44_196
; %bb.195:
	v_div_scale_f64 v[108:109], s[20:21], v[96:97], v[96:97], v[94:95]
	v_rcp_f64_e32 v[110:111], v[108:109]
	v_fma_f64 v[112:113], -v[108:109], v[110:111], 1.0
	v_fma_f64 v[110:111], v[110:111], v[112:113], v[110:111]
	v_div_scale_f64 v[112:113], vcc, v[94:95], v[96:97], v[94:95]
	v_fma_f64 v[114:115], -v[108:109], v[110:111], 1.0
	v_fma_f64 v[110:111], v[110:111], v[114:115], v[110:111]
	v_mul_f64 v[114:115], v[112:113], v[110:111]
	v_fma_f64 v[108:109], -v[108:109], v[114:115], v[112:113]
	v_div_fmas_f64 v[108:109], v[108:109], v[110:111], v[114:115]
	v_div_fixup_f64 v[108:109], v[108:109], v[96:97], v[94:95]
	v_fma_f64 v[94:95], v[94:95], v[108:109], v[96:97]
	v_div_scale_f64 v[96:97], s[20:21], v[94:95], v[94:95], 1.0
	v_div_scale_f64 v[114:115], vcc, 1.0, v[94:95], 1.0
	v_rcp_f64_e32 v[110:111], v[96:97]
	v_fma_f64 v[112:113], -v[96:97], v[110:111], 1.0
	v_fma_f64 v[110:111], v[110:111], v[112:113], v[110:111]
	v_fma_f64 v[112:113], -v[96:97], v[110:111], 1.0
	v_fma_f64 v[110:111], v[110:111], v[112:113], v[110:111]
	v_mul_f64 v[112:113], v[114:115], v[110:111]
	v_fma_f64 v[96:97], -v[96:97], v[112:113], v[114:115]
	v_div_fmas_f64 v[96:97], v[96:97], v[110:111], v[112:113]
	v_div_fixup_f64 v[96:97], v[96:97], v[94:95], 1.0
	v_mul_f64 v[94:95], v[108:109], v[96:97]
	v_xor_b32_e32 v97, 0x80000000, v97
.LBB44_196:
	s_andn2_saveexec_b64 s[8:9], s[8:9]
	s_cbranch_execz .LBB44_198
; %bb.197:
	v_div_scale_f64 v[108:109], s[20:21], v[94:95], v[94:95], v[96:97]
	v_rcp_f64_e32 v[110:111], v[108:109]
	v_fma_f64 v[112:113], -v[108:109], v[110:111], 1.0
	v_fma_f64 v[110:111], v[110:111], v[112:113], v[110:111]
	v_div_scale_f64 v[112:113], vcc, v[96:97], v[94:95], v[96:97]
	v_fma_f64 v[114:115], -v[108:109], v[110:111], 1.0
	v_fma_f64 v[110:111], v[110:111], v[114:115], v[110:111]
	v_mul_f64 v[114:115], v[112:113], v[110:111]
	v_fma_f64 v[108:109], -v[108:109], v[114:115], v[112:113]
	v_div_fmas_f64 v[108:109], v[108:109], v[110:111], v[114:115]
	v_div_fixup_f64 v[108:109], v[108:109], v[94:95], v[96:97]
	v_fma_f64 v[94:95], v[96:97], v[108:109], v[94:95]
	v_div_scale_f64 v[96:97], s[20:21], v[94:95], v[94:95], 1.0
	v_div_scale_f64 v[114:115], vcc, 1.0, v[94:95], 1.0
	v_rcp_f64_e32 v[110:111], v[96:97]
	v_fma_f64 v[112:113], -v[96:97], v[110:111], 1.0
	v_fma_f64 v[110:111], v[110:111], v[112:113], v[110:111]
	v_fma_f64 v[112:113], -v[96:97], v[110:111], 1.0
	v_fma_f64 v[110:111], v[110:111], v[112:113], v[110:111]
	v_mul_f64 v[112:113], v[114:115], v[110:111]
	v_fma_f64 v[96:97], -v[96:97], v[112:113], v[114:115]
	v_div_fmas_f64 v[96:97], v[96:97], v[110:111], v[112:113]
	v_div_fixup_f64 v[94:95], v[96:97], v[94:95], 1.0
	v_mul_f64 v[96:97], v[108:109], -v[94:95]
.LBB44_198:
	s_or_b64 exec, exec, s[8:9]
.LBB44_199:
	s_or_b64 exec, exec, s[0:1]
	v_cmp_ne_u32_e32 vcc, v104, v102
	s_and_saveexec_b64 s[0:1], vcc
	s_xor_b64 s[0:1], exec, s[0:1]
	s_cbranch_execz .LBB44_205
; %bb.200:
	v_cmp_eq_u32_e32 vcc, 9, v104
	s_and_saveexec_b64 s[8:9], vcc
	s_cbranch_execz .LBB44_204
; %bb.201:
	v_cmp_ne_u32_e32 vcc, 9, v102
	s_xor_b64 s[20:21], s[18:19], -1
	s_and_b64 s[24:25], s[20:21], vcc
	s_and_saveexec_b64 s[20:21], s[24:25]
	s_cbranch_execz .LBB44_203
; %bb.202:
	v_ashrrev_i32_e32 v103, 31, v102
	v_lshlrev_b64 v[103:104], 2, v[102:103]
	v_add_co_u32_e32 v103, vcc, v100, v103
	v_addc_co_u32_e32 v104, vcc, v101, v104, vcc
	global_load_dword v0, v[103:104], off
	global_load_dword v108, v[100:101], off offset:36
	s_waitcnt vmcnt(1)
	global_store_dword v[100:101], v0, off offset:36
	s_waitcnt vmcnt(1)
	global_store_dword v[103:104], v108, off
.LBB44_203:
	s_or_b64 exec, exec, s[20:21]
	v_mov_b32_e32 v104, v102
	v_mov_b32_e32 v0, v102
.LBB44_204:
	s_or_b64 exec, exec, s[8:9]
.LBB44_205:
	s_andn2_saveexec_b64 s[0:1], s[0:1]
	s_cbranch_execz .LBB44_207
; %bb.206:
	v_mov_b32_e32 v104, 9
	ds_write2_b64 v1, v[46:47], v[48:49] offset0:20 offset1:21
	ds_write2_b64 v1, v[42:43], v[44:45] offset0:22 offset1:23
	;; [unrolled: 1-line block ×13, first 2 shown]
.LBB44_207:
	s_or_b64 exec, exec, s[0:1]
	v_cmp_lt_i32_e32 vcc, 9, v104
	s_waitcnt vmcnt(0) lgkmcnt(0)
	s_barrier
	s_and_saveexec_b64 s[0:1], vcc
	s_cbranch_execz .LBB44_209
; %bb.208:
	v_mul_f64 v[102:103], v[94:95], v[52:53]
	v_mul_f64 v[52:53], v[96:97], v[52:53]
	v_fma_f64 v[102:103], v[96:97], v[50:51], v[102:103]
	v_fma_f64 v[50:51], v[94:95], v[50:51], -v[52:53]
	ds_read2_b64 v[94:97], v1 offset0:20 offset1:21
	s_waitcnt lgkmcnt(0)
	v_mul_f64 v[52:53], v[96:97], v[102:103]
	v_fma_f64 v[52:53], v[94:95], v[50:51], -v[52:53]
	v_mul_f64 v[94:95], v[94:95], v[102:103]
	v_add_f64 v[46:47], v[46:47], -v[52:53]
	v_fma_f64 v[94:95], v[96:97], v[50:51], v[94:95]
	v_add_f64 v[48:49], v[48:49], -v[94:95]
	ds_read2_b64 v[94:97], v1 offset0:22 offset1:23
	s_waitcnt lgkmcnt(0)
	v_mul_f64 v[52:53], v[96:97], v[102:103]
	v_fma_f64 v[52:53], v[94:95], v[50:51], -v[52:53]
	v_mul_f64 v[94:95], v[94:95], v[102:103]
	v_add_f64 v[42:43], v[42:43], -v[52:53]
	v_fma_f64 v[94:95], v[96:97], v[50:51], v[94:95]
	v_add_f64 v[44:45], v[44:45], -v[94:95]
	;; [unrolled: 8-line block ×12, first 2 shown]
	ds_read2_b64 v[94:97], v1 offset0:44 offset1:45
	s_waitcnt lgkmcnt(0)
	v_mul_f64 v[52:53], v[96:97], v[102:103]
	v_fma_f64 v[52:53], v[94:95], v[50:51], -v[52:53]
	v_mul_f64 v[94:95], v[94:95], v[102:103]
	v_add_f64 v[90:91], v[90:91], -v[52:53]
	v_fma_f64 v[94:95], v[96:97], v[50:51], v[94:95]
	v_mov_b32_e32 v52, v102
	v_mov_b32_e32 v53, v103
	v_add_f64 v[92:93], v[92:93], -v[94:95]
.LBB44_209:
	s_or_b64 exec, exec, s[0:1]
	v_lshl_add_u32 v94, v104, 4, v1
	s_barrier
	ds_write2_b64 v94, v[46:47], v[48:49] offset1:1
	s_waitcnt lgkmcnt(0)
	s_barrier
	ds_read2_b64 v[94:97], v1 offset0:20 offset1:21
	s_cmp_lt_i32 s22, 12
	v_mov_b32_e32 v102, 10
	s_cbranch_scc1 .LBB44_212
; %bb.210:
	v_add_u32_e32 v103, 0xb0, v1
	s_mov_b32 s7, 11
	v_mov_b32_e32 v102, 10
.LBB44_211:                             ; =>This Inner Loop Header: Depth=1
	s_waitcnt lgkmcnt(0)
	v_cmp_gt_f64_e32 vcc, 0, v[96:97]
	v_cmp_gt_f64_e64 s[0:1], 0, v[94:95]
	ds_read2_b64 v[108:111], v103 offset1:1
	v_xor_b32_e32 v113, 0x80000000, v95
	v_xor_b32_e32 v115, 0x80000000, v97
	v_mov_b32_e32 v112, v94
	v_mov_b32_e32 v114, v96
	s_waitcnt lgkmcnt(0)
	v_xor_b32_e32 v117, 0x80000000, v111
	v_cndmask_b32_e32 v115, v97, v115, vcc
	v_cndmask_b32_e64 v113, v95, v113, s[0:1]
	v_cmp_gt_f64_e32 vcc, 0, v[110:111]
	v_cmp_gt_f64_e64 s[0:1], 0, v[108:109]
	v_add_f64 v[112:113], v[112:113], v[114:115]
	v_xor_b32_e32 v115, 0x80000000, v109
	v_mov_b32_e32 v114, v108
	v_mov_b32_e32 v116, v110
	v_add_u32_e32 v103, 16, v103
	v_cndmask_b32_e32 v117, v111, v117, vcc
	v_cndmask_b32_e64 v115, v109, v115, s[0:1]
	v_add_f64 v[114:115], v[114:115], v[116:117]
	v_mov_b32_e32 v116, s7
	s_add_i32 s7, s7, 1
	s_cmp_lg_u32 s22, s7
	v_cmp_lt_f64_e32 vcc, v[112:113], v[114:115]
	v_cndmask_b32_e32 v95, v95, v109, vcc
	v_cndmask_b32_e32 v94, v94, v108, vcc
	;; [unrolled: 1-line block ×5, first 2 shown]
	s_cbranch_scc1 .LBB44_211
.LBB44_212:
	s_waitcnt lgkmcnt(0)
	v_cmp_eq_f64_e32 vcc, 0, v[94:95]
	v_cmp_eq_f64_e64 s[0:1], 0, v[96:97]
	s_and_b64 s[0:1], vcc, s[0:1]
	s_and_saveexec_b64 s[8:9], s[0:1]
	s_xor_b64 s[0:1], exec, s[8:9]
; %bb.213:
	v_cmp_ne_u32_e32 vcc, 0, v107
	v_cndmask_b32_e32 v107, 11, v107, vcc
; %bb.214:
	s_andn2_saveexec_b64 s[0:1], s[0:1]
	s_cbranch_execz .LBB44_220
; %bb.215:
	v_cmp_ngt_f64_e64 s[8:9], |v[94:95]|, |v[96:97]|
	s_and_saveexec_b64 s[20:21], s[8:9]
	s_xor_b64 s[8:9], exec, s[20:21]
	s_cbranch_execz .LBB44_217
; %bb.216:
	v_div_scale_f64 v[108:109], s[20:21], v[96:97], v[96:97], v[94:95]
	v_rcp_f64_e32 v[110:111], v[108:109]
	v_fma_f64 v[112:113], -v[108:109], v[110:111], 1.0
	v_fma_f64 v[110:111], v[110:111], v[112:113], v[110:111]
	v_div_scale_f64 v[112:113], vcc, v[94:95], v[96:97], v[94:95]
	v_fma_f64 v[114:115], -v[108:109], v[110:111], 1.0
	v_fma_f64 v[110:111], v[110:111], v[114:115], v[110:111]
	v_mul_f64 v[114:115], v[112:113], v[110:111]
	v_fma_f64 v[108:109], -v[108:109], v[114:115], v[112:113]
	v_div_fmas_f64 v[108:109], v[108:109], v[110:111], v[114:115]
	v_div_fixup_f64 v[108:109], v[108:109], v[96:97], v[94:95]
	v_fma_f64 v[94:95], v[94:95], v[108:109], v[96:97]
	v_div_scale_f64 v[96:97], s[20:21], v[94:95], v[94:95], 1.0
	v_div_scale_f64 v[114:115], vcc, 1.0, v[94:95], 1.0
	v_rcp_f64_e32 v[110:111], v[96:97]
	v_fma_f64 v[112:113], -v[96:97], v[110:111], 1.0
	v_fma_f64 v[110:111], v[110:111], v[112:113], v[110:111]
	v_fma_f64 v[112:113], -v[96:97], v[110:111], 1.0
	v_fma_f64 v[110:111], v[110:111], v[112:113], v[110:111]
	v_mul_f64 v[112:113], v[114:115], v[110:111]
	v_fma_f64 v[96:97], -v[96:97], v[112:113], v[114:115]
	v_div_fmas_f64 v[96:97], v[96:97], v[110:111], v[112:113]
	v_div_fixup_f64 v[96:97], v[96:97], v[94:95], 1.0
	v_mul_f64 v[94:95], v[108:109], v[96:97]
	v_xor_b32_e32 v97, 0x80000000, v97
.LBB44_217:
	s_andn2_saveexec_b64 s[8:9], s[8:9]
	s_cbranch_execz .LBB44_219
; %bb.218:
	v_div_scale_f64 v[108:109], s[20:21], v[94:95], v[94:95], v[96:97]
	v_rcp_f64_e32 v[110:111], v[108:109]
	v_fma_f64 v[112:113], -v[108:109], v[110:111], 1.0
	v_fma_f64 v[110:111], v[110:111], v[112:113], v[110:111]
	v_div_scale_f64 v[112:113], vcc, v[96:97], v[94:95], v[96:97]
	v_fma_f64 v[114:115], -v[108:109], v[110:111], 1.0
	v_fma_f64 v[110:111], v[110:111], v[114:115], v[110:111]
	v_mul_f64 v[114:115], v[112:113], v[110:111]
	v_fma_f64 v[108:109], -v[108:109], v[114:115], v[112:113]
	v_div_fmas_f64 v[108:109], v[108:109], v[110:111], v[114:115]
	v_div_fixup_f64 v[108:109], v[108:109], v[94:95], v[96:97]
	v_fma_f64 v[94:95], v[96:97], v[108:109], v[94:95]
	v_div_scale_f64 v[96:97], s[20:21], v[94:95], v[94:95], 1.0
	v_div_scale_f64 v[114:115], vcc, 1.0, v[94:95], 1.0
	v_rcp_f64_e32 v[110:111], v[96:97]
	v_fma_f64 v[112:113], -v[96:97], v[110:111], 1.0
	v_fma_f64 v[110:111], v[110:111], v[112:113], v[110:111]
	v_fma_f64 v[112:113], -v[96:97], v[110:111], 1.0
	v_fma_f64 v[110:111], v[110:111], v[112:113], v[110:111]
	v_mul_f64 v[112:113], v[114:115], v[110:111]
	v_fma_f64 v[96:97], -v[96:97], v[112:113], v[114:115]
	v_div_fmas_f64 v[96:97], v[96:97], v[110:111], v[112:113]
	v_div_fixup_f64 v[94:95], v[96:97], v[94:95], 1.0
	v_mul_f64 v[96:97], v[108:109], -v[94:95]
.LBB44_219:
	s_or_b64 exec, exec, s[8:9]
.LBB44_220:
	s_or_b64 exec, exec, s[0:1]
	v_cmp_ne_u32_e32 vcc, v104, v102
	s_and_saveexec_b64 s[0:1], vcc
	s_xor_b64 s[0:1], exec, s[0:1]
	s_cbranch_execz .LBB44_226
; %bb.221:
	v_cmp_eq_u32_e32 vcc, 10, v104
	s_and_saveexec_b64 s[8:9], vcc
	s_cbranch_execz .LBB44_225
; %bb.222:
	v_cmp_ne_u32_e32 vcc, 10, v102
	s_xor_b64 s[20:21], s[18:19], -1
	s_and_b64 s[24:25], s[20:21], vcc
	s_and_saveexec_b64 s[20:21], s[24:25]
	s_cbranch_execz .LBB44_224
; %bb.223:
	v_ashrrev_i32_e32 v103, 31, v102
	v_lshlrev_b64 v[103:104], 2, v[102:103]
	v_add_co_u32_e32 v103, vcc, v100, v103
	v_addc_co_u32_e32 v104, vcc, v101, v104, vcc
	global_load_dword v0, v[103:104], off
	global_load_dword v108, v[100:101], off offset:40
	s_waitcnt vmcnt(1)
	global_store_dword v[100:101], v0, off offset:40
	s_waitcnt vmcnt(1)
	global_store_dword v[103:104], v108, off
.LBB44_224:
	s_or_b64 exec, exec, s[20:21]
	v_mov_b32_e32 v104, v102
	v_mov_b32_e32 v0, v102
.LBB44_225:
	s_or_b64 exec, exec, s[8:9]
.LBB44_226:
	s_andn2_saveexec_b64 s[0:1], s[0:1]
	s_cbranch_execz .LBB44_228
; %bb.227:
	v_mov_b32_e32 v104, 10
	ds_write2_b64 v1, v[42:43], v[44:45] offset0:22 offset1:23
	ds_write2_b64 v1, v[38:39], v[40:41] offset0:24 offset1:25
	;; [unrolled: 1-line block ×12, first 2 shown]
.LBB44_228:
	s_or_b64 exec, exec, s[0:1]
	v_cmp_lt_i32_e32 vcc, 10, v104
	s_waitcnt vmcnt(0) lgkmcnt(0)
	s_barrier
	s_and_saveexec_b64 s[0:1], vcc
	s_cbranch_execz .LBB44_230
; %bb.229:
	v_mul_f64 v[102:103], v[94:95], v[48:49]
	v_mul_f64 v[48:49], v[96:97], v[48:49]
	v_fma_f64 v[102:103], v[96:97], v[46:47], v[102:103]
	v_fma_f64 v[46:47], v[94:95], v[46:47], -v[48:49]
	ds_read2_b64 v[94:97], v1 offset0:22 offset1:23
	s_waitcnt lgkmcnt(0)
	v_mul_f64 v[48:49], v[96:97], v[102:103]
	v_fma_f64 v[48:49], v[94:95], v[46:47], -v[48:49]
	v_mul_f64 v[94:95], v[94:95], v[102:103]
	v_add_f64 v[42:43], v[42:43], -v[48:49]
	v_fma_f64 v[94:95], v[96:97], v[46:47], v[94:95]
	v_add_f64 v[44:45], v[44:45], -v[94:95]
	ds_read2_b64 v[94:97], v1 offset0:24 offset1:25
	s_waitcnt lgkmcnt(0)
	v_mul_f64 v[48:49], v[96:97], v[102:103]
	v_fma_f64 v[48:49], v[94:95], v[46:47], -v[48:49]
	v_mul_f64 v[94:95], v[94:95], v[102:103]
	v_add_f64 v[38:39], v[38:39], -v[48:49]
	v_fma_f64 v[94:95], v[96:97], v[46:47], v[94:95]
	v_add_f64 v[40:41], v[40:41], -v[94:95]
	ds_read2_b64 v[94:97], v1 offset0:26 offset1:27
	s_waitcnt lgkmcnt(0)
	v_mul_f64 v[48:49], v[96:97], v[102:103]
	v_fma_f64 v[48:49], v[94:95], v[46:47], -v[48:49]
	v_mul_f64 v[94:95], v[94:95], v[102:103]
	v_add_f64 v[34:35], v[34:35], -v[48:49]
	v_fma_f64 v[94:95], v[96:97], v[46:47], v[94:95]
	v_add_f64 v[36:37], v[36:37], -v[94:95]
	ds_read2_b64 v[94:97], v1 offset0:28 offset1:29
	s_waitcnt lgkmcnt(0)
	v_mul_f64 v[48:49], v[96:97], v[102:103]
	v_fma_f64 v[48:49], v[94:95], v[46:47], -v[48:49]
	v_mul_f64 v[94:95], v[94:95], v[102:103]
	v_add_f64 v[30:31], v[30:31], -v[48:49]
	v_fma_f64 v[94:95], v[96:97], v[46:47], v[94:95]
	v_add_f64 v[32:33], v[32:33], -v[94:95]
	ds_read2_b64 v[94:97], v1 offset0:30 offset1:31
	s_waitcnt lgkmcnt(0)
	v_mul_f64 v[48:49], v[96:97], v[102:103]
	v_fma_f64 v[48:49], v[94:95], v[46:47], -v[48:49]
	v_mul_f64 v[94:95], v[94:95], v[102:103]
	v_add_f64 v[26:27], v[26:27], -v[48:49]
	v_fma_f64 v[94:95], v[96:97], v[46:47], v[94:95]
	v_add_f64 v[28:29], v[28:29], -v[94:95]
	ds_read2_b64 v[94:97], v1 offset0:32 offset1:33
	s_waitcnt lgkmcnt(0)
	v_mul_f64 v[48:49], v[96:97], v[102:103]
	v_fma_f64 v[48:49], v[94:95], v[46:47], -v[48:49]
	v_mul_f64 v[94:95], v[94:95], v[102:103]
	v_add_f64 v[22:23], v[22:23], -v[48:49]
	v_fma_f64 v[94:95], v[96:97], v[46:47], v[94:95]
	v_add_f64 v[24:25], v[24:25], -v[94:95]
	ds_read2_b64 v[94:97], v1 offset0:34 offset1:35
	s_waitcnt lgkmcnt(0)
	v_mul_f64 v[48:49], v[96:97], v[102:103]
	v_fma_f64 v[48:49], v[94:95], v[46:47], -v[48:49]
	v_mul_f64 v[94:95], v[94:95], v[102:103]
	v_add_f64 v[18:19], v[18:19], -v[48:49]
	v_fma_f64 v[94:95], v[96:97], v[46:47], v[94:95]
	v_add_f64 v[20:21], v[20:21], -v[94:95]
	ds_read2_b64 v[94:97], v1 offset0:36 offset1:37
	s_waitcnt lgkmcnt(0)
	v_mul_f64 v[48:49], v[96:97], v[102:103]
	v_fma_f64 v[48:49], v[94:95], v[46:47], -v[48:49]
	v_mul_f64 v[94:95], v[94:95], v[102:103]
	v_add_f64 v[14:15], v[14:15], -v[48:49]
	v_fma_f64 v[94:95], v[96:97], v[46:47], v[94:95]
	v_add_f64 v[16:17], v[16:17], -v[94:95]
	ds_read2_b64 v[94:97], v1 offset0:38 offset1:39
	s_waitcnt lgkmcnt(0)
	v_mul_f64 v[48:49], v[96:97], v[102:103]
	v_fma_f64 v[48:49], v[94:95], v[46:47], -v[48:49]
	v_mul_f64 v[94:95], v[94:95], v[102:103]
	v_add_f64 v[10:11], v[10:11], -v[48:49]
	v_fma_f64 v[94:95], v[96:97], v[46:47], v[94:95]
	v_add_f64 v[12:13], v[12:13], -v[94:95]
	ds_read2_b64 v[94:97], v1 offset0:40 offset1:41
	s_waitcnt lgkmcnt(0)
	v_mul_f64 v[48:49], v[96:97], v[102:103]
	v_fma_f64 v[48:49], v[94:95], v[46:47], -v[48:49]
	v_mul_f64 v[94:95], v[94:95], v[102:103]
	v_add_f64 v[6:7], v[6:7], -v[48:49]
	v_fma_f64 v[94:95], v[96:97], v[46:47], v[94:95]
	v_add_f64 v[8:9], v[8:9], -v[94:95]
	ds_read2_b64 v[94:97], v1 offset0:42 offset1:43
	s_waitcnt lgkmcnt(0)
	v_mul_f64 v[48:49], v[96:97], v[102:103]
	v_fma_f64 v[48:49], v[94:95], v[46:47], -v[48:49]
	v_mul_f64 v[94:95], v[94:95], v[102:103]
	v_add_f64 v[2:3], v[2:3], -v[48:49]
	v_fma_f64 v[94:95], v[96:97], v[46:47], v[94:95]
	v_add_f64 v[4:5], v[4:5], -v[94:95]
	ds_read2_b64 v[94:97], v1 offset0:44 offset1:45
	s_waitcnt lgkmcnt(0)
	v_mul_f64 v[48:49], v[96:97], v[102:103]
	v_fma_f64 v[48:49], v[94:95], v[46:47], -v[48:49]
	v_mul_f64 v[94:95], v[94:95], v[102:103]
	v_add_f64 v[90:91], v[90:91], -v[48:49]
	v_fma_f64 v[94:95], v[96:97], v[46:47], v[94:95]
	v_mov_b32_e32 v48, v102
	v_mov_b32_e32 v49, v103
	v_add_f64 v[92:93], v[92:93], -v[94:95]
.LBB44_230:
	s_or_b64 exec, exec, s[0:1]
	v_lshl_add_u32 v94, v104, 4, v1
	s_barrier
	ds_write2_b64 v94, v[42:43], v[44:45] offset1:1
	s_waitcnt lgkmcnt(0)
	s_barrier
	ds_read2_b64 v[94:97], v1 offset0:22 offset1:23
	s_cmp_lt_i32 s22, 13
	v_mov_b32_e32 v102, 11
	s_cbranch_scc1 .LBB44_233
; %bb.231:
	v_add_u32_e32 v103, 0xc0, v1
	s_mov_b32 s7, 12
	v_mov_b32_e32 v102, 11
.LBB44_232:                             ; =>This Inner Loop Header: Depth=1
	s_waitcnt lgkmcnt(0)
	v_cmp_gt_f64_e32 vcc, 0, v[96:97]
	v_cmp_gt_f64_e64 s[0:1], 0, v[94:95]
	ds_read2_b64 v[108:111], v103 offset1:1
	v_xor_b32_e32 v113, 0x80000000, v95
	v_xor_b32_e32 v115, 0x80000000, v97
	v_mov_b32_e32 v112, v94
	v_mov_b32_e32 v114, v96
	s_waitcnt lgkmcnt(0)
	v_xor_b32_e32 v117, 0x80000000, v111
	v_cndmask_b32_e32 v115, v97, v115, vcc
	v_cndmask_b32_e64 v113, v95, v113, s[0:1]
	v_cmp_gt_f64_e32 vcc, 0, v[110:111]
	v_cmp_gt_f64_e64 s[0:1], 0, v[108:109]
	v_add_f64 v[112:113], v[112:113], v[114:115]
	v_xor_b32_e32 v115, 0x80000000, v109
	v_mov_b32_e32 v114, v108
	v_mov_b32_e32 v116, v110
	v_add_u32_e32 v103, 16, v103
	v_cndmask_b32_e32 v117, v111, v117, vcc
	v_cndmask_b32_e64 v115, v109, v115, s[0:1]
	v_add_f64 v[114:115], v[114:115], v[116:117]
	v_mov_b32_e32 v116, s7
	s_add_i32 s7, s7, 1
	s_cmp_lg_u32 s22, s7
	v_cmp_lt_f64_e32 vcc, v[112:113], v[114:115]
	v_cndmask_b32_e32 v95, v95, v109, vcc
	v_cndmask_b32_e32 v94, v94, v108, vcc
	;; [unrolled: 1-line block ×5, first 2 shown]
	s_cbranch_scc1 .LBB44_232
.LBB44_233:
	s_waitcnt lgkmcnt(0)
	v_cmp_eq_f64_e32 vcc, 0, v[94:95]
	v_cmp_eq_f64_e64 s[0:1], 0, v[96:97]
	s_and_b64 s[0:1], vcc, s[0:1]
	s_and_saveexec_b64 s[8:9], s[0:1]
	s_xor_b64 s[0:1], exec, s[8:9]
; %bb.234:
	v_cmp_ne_u32_e32 vcc, 0, v107
	v_cndmask_b32_e32 v107, 12, v107, vcc
; %bb.235:
	s_andn2_saveexec_b64 s[0:1], s[0:1]
	s_cbranch_execz .LBB44_241
; %bb.236:
	v_cmp_ngt_f64_e64 s[8:9], |v[94:95]|, |v[96:97]|
	s_and_saveexec_b64 s[20:21], s[8:9]
	s_xor_b64 s[8:9], exec, s[20:21]
	s_cbranch_execz .LBB44_238
; %bb.237:
	v_div_scale_f64 v[108:109], s[20:21], v[96:97], v[96:97], v[94:95]
	v_rcp_f64_e32 v[110:111], v[108:109]
	v_fma_f64 v[112:113], -v[108:109], v[110:111], 1.0
	v_fma_f64 v[110:111], v[110:111], v[112:113], v[110:111]
	v_div_scale_f64 v[112:113], vcc, v[94:95], v[96:97], v[94:95]
	v_fma_f64 v[114:115], -v[108:109], v[110:111], 1.0
	v_fma_f64 v[110:111], v[110:111], v[114:115], v[110:111]
	v_mul_f64 v[114:115], v[112:113], v[110:111]
	v_fma_f64 v[108:109], -v[108:109], v[114:115], v[112:113]
	v_div_fmas_f64 v[108:109], v[108:109], v[110:111], v[114:115]
	v_div_fixup_f64 v[108:109], v[108:109], v[96:97], v[94:95]
	v_fma_f64 v[94:95], v[94:95], v[108:109], v[96:97]
	v_div_scale_f64 v[96:97], s[20:21], v[94:95], v[94:95], 1.0
	v_div_scale_f64 v[114:115], vcc, 1.0, v[94:95], 1.0
	v_rcp_f64_e32 v[110:111], v[96:97]
	v_fma_f64 v[112:113], -v[96:97], v[110:111], 1.0
	v_fma_f64 v[110:111], v[110:111], v[112:113], v[110:111]
	v_fma_f64 v[112:113], -v[96:97], v[110:111], 1.0
	v_fma_f64 v[110:111], v[110:111], v[112:113], v[110:111]
	v_mul_f64 v[112:113], v[114:115], v[110:111]
	v_fma_f64 v[96:97], -v[96:97], v[112:113], v[114:115]
	v_div_fmas_f64 v[96:97], v[96:97], v[110:111], v[112:113]
	v_div_fixup_f64 v[96:97], v[96:97], v[94:95], 1.0
	v_mul_f64 v[94:95], v[108:109], v[96:97]
	v_xor_b32_e32 v97, 0x80000000, v97
.LBB44_238:
	s_andn2_saveexec_b64 s[8:9], s[8:9]
	s_cbranch_execz .LBB44_240
; %bb.239:
	v_div_scale_f64 v[108:109], s[20:21], v[94:95], v[94:95], v[96:97]
	v_rcp_f64_e32 v[110:111], v[108:109]
	v_fma_f64 v[112:113], -v[108:109], v[110:111], 1.0
	v_fma_f64 v[110:111], v[110:111], v[112:113], v[110:111]
	v_div_scale_f64 v[112:113], vcc, v[96:97], v[94:95], v[96:97]
	v_fma_f64 v[114:115], -v[108:109], v[110:111], 1.0
	v_fma_f64 v[110:111], v[110:111], v[114:115], v[110:111]
	v_mul_f64 v[114:115], v[112:113], v[110:111]
	v_fma_f64 v[108:109], -v[108:109], v[114:115], v[112:113]
	v_div_fmas_f64 v[108:109], v[108:109], v[110:111], v[114:115]
	v_div_fixup_f64 v[108:109], v[108:109], v[94:95], v[96:97]
	v_fma_f64 v[94:95], v[96:97], v[108:109], v[94:95]
	v_div_scale_f64 v[96:97], s[20:21], v[94:95], v[94:95], 1.0
	v_div_scale_f64 v[114:115], vcc, 1.0, v[94:95], 1.0
	v_rcp_f64_e32 v[110:111], v[96:97]
	v_fma_f64 v[112:113], -v[96:97], v[110:111], 1.0
	v_fma_f64 v[110:111], v[110:111], v[112:113], v[110:111]
	v_fma_f64 v[112:113], -v[96:97], v[110:111], 1.0
	v_fma_f64 v[110:111], v[110:111], v[112:113], v[110:111]
	v_mul_f64 v[112:113], v[114:115], v[110:111]
	v_fma_f64 v[96:97], -v[96:97], v[112:113], v[114:115]
	v_div_fmas_f64 v[96:97], v[96:97], v[110:111], v[112:113]
	v_div_fixup_f64 v[94:95], v[96:97], v[94:95], 1.0
	v_mul_f64 v[96:97], v[108:109], -v[94:95]
.LBB44_240:
	s_or_b64 exec, exec, s[8:9]
.LBB44_241:
	s_or_b64 exec, exec, s[0:1]
	v_cmp_ne_u32_e32 vcc, v104, v102
	s_and_saveexec_b64 s[0:1], vcc
	s_xor_b64 s[0:1], exec, s[0:1]
	s_cbranch_execz .LBB44_247
; %bb.242:
	v_cmp_eq_u32_e32 vcc, 11, v104
	s_and_saveexec_b64 s[8:9], vcc
	s_cbranch_execz .LBB44_246
; %bb.243:
	v_cmp_ne_u32_e32 vcc, 11, v102
	s_xor_b64 s[20:21], s[18:19], -1
	s_and_b64 s[24:25], s[20:21], vcc
	s_and_saveexec_b64 s[20:21], s[24:25]
	s_cbranch_execz .LBB44_245
; %bb.244:
	v_ashrrev_i32_e32 v103, 31, v102
	v_lshlrev_b64 v[103:104], 2, v[102:103]
	v_add_co_u32_e32 v103, vcc, v100, v103
	v_addc_co_u32_e32 v104, vcc, v101, v104, vcc
	global_load_dword v0, v[103:104], off
	global_load_dword v108, v[100:101], off offset:44
	s_waitcnt vmcnt(1)
	global_store_dword v[100:101], v0, off offset:44
	s_waitcnt vmcnt(1)
	global_store_dword v[103:104], v108, off
.LBB44_245:
	s_or_b64 exec, exec, s[20:21]
	v_mov_b32_e32 v104, v102
	v_mov_b32_e32 v0, v102
.LBB44_246:
	s_or_b64 exec, exec, s[8:9]
.LBB44_247:
	s_andn2_saveexec_b64 s[0:1], s[0:1]
	s_cbranch_execz .LBB44_249
; %bb.248:
	v_mov_b32_e32 v104, 11
	ds_write2_b64 v1, v[38:39], v[40:41] offset0:24 offset1:25
	ds_write2_b64 v1, v[34:35], v[36:37] offset0:26 offset1:27
	;; [unrolled: 1-line block ×11, first 2 shown]
.LBB44_249:
	s_or_b64 exec, exec, s[0:1]
	v_cmp_lt_i32_e32 vcc, 11, v104
	s_waitcnt vmcnt(0) lgkmcnt(0)
	s_barrier
	s_and_saveexec_b64 s[0:1], vcc
	s_cbranch_execz .LBB44_251
; %bb.250:
	v_mul_f64 v[102:103], v[94:95], v[44:45]
	v_mul_f64 v[44:45], v[96:97], v[44:45]
	v_fma_f64 v[102:103], v[96:97], v[42:43], v[102:103]
	v_fma_f64 v[42:43], v[94:95], v[42:43], -v[44:45]
	ds_read2_b64 v[94:97], v1 offset0:24 offset1:25
	s_waitcnt lgkmcnt(0)
	v_mul_f64 v[44:45], v[96:97], v[102:103]
	v_fma_f64 v[44:45], v[94:95], v[42:43], -v[44:45]
	v_mul_f64 v[94:95], v[94:95], v[102:103]
	v_add_f64 v[38:39], v[38:39], -v[44:45]
	v_fma_f64 v[94:95], v[96:97], v[42:43], v[94:95]
	v_add_f64 v[40:41], v[40:41], -v[94:95]
	ds_read2_b64 v[94:97], v1 offset0:26 offset1:27
	s_waitcnt lgkmcnt(0)
	v_mul_f64 v[44:45], v[96:97], v[102:103]
	v_fma_f64 v[44:45], v[94:95], v[42:43], -v[44:45]
	v_mul_f64 v[94:95], v[94:95], v[102:103]
	v_add_f64 v[34:35], v[34:35], -v[44:45]
	v_fma_f64 v[94:95], v[96:97], v[42:43], v[94:95]
	v_add_f64 v[36:37], v[36:37], -v[94:95]
	;; [unrolled: 8-line block ×10, first 2 shown]
	ds_read2_b64 v[94:97], v1 offset0:44 offset1:45
	s_waitcnt lgkmcnt(0)
	v_mul_f64 v[44:45], v[96:97], v[102:103]
	v_fma_f64 v[44:45], v[94:95], v[42:43], -v[44:45]
	v_mul_f64 v[94:95], v[94:95], v[102:103]
	v_add_f64 v[90:91], v[90:91], -v[44:45]
	v_fma_f64 v[94:95], v[96:97], v[42:43], v[94:95]
	v_mov_b32_e32 v44, v102
	v_mov_b32_e32 v45, v103
	v_add_f64 v[92:93], v[92:93], -v[94:95]
.LBB44_251:
	s_or_b64 exec, exec, s[0:1]
	v_lshl_add_u32 v94, v104, 4, v1
	s_barrier
	ds_write2_b64 v94, v[38:39], v[40:41] offset1:1
	s_waitcnt lgkmcnt(0)
	s_barrier
	ds_read2_b64 v[94:97], v1 offset0:24 offset1:25
	s_cmp_lt_i32 s22, 14
	v_mov_b32_e32 v102, 12
	s_cbranch_scc1 .LBB44_254
; %bb.252:
	v_add_u32_e32 v103, 0xd0, v1
	s_mov_b32 s7, 13
	v_mov_b32_e32 v102, 12
.LBB44_253:                             ; =>This Inner Loop Header: Depth=1
	s_waitcnt lgkmcnt(0)
	v_cmp_gt_f64_e32 vcc, 0, v[96:97]
	v_cmp_gt_f64_e64 s[0:1], 0, v[94:95]
	ds_read2_b64 v[108:111], v103 offset1:1
	v_xor_b32_e32 v113, 0x80000000, v95
	v_xor_b32_e32 v115, 0x80000000, v97
	v_mov_b32_e32 v112, v94
	v_mov_b32_e32 v114, v96
	s_waitcnt lgkmcnt(0)
	v_xor_b32_e32 v117, 0x80000000, v111
	v_cndmask_b32_e32 v115, v97, v115, vcc
	v_cndmask_b32_e64 v113, v95, v113, s[0:1]
	v_cmp_gt_f64_e32 vcc, 0, v[110:111]
	v_cmp_gt_f64_e64 s[0:1], 0, v[108:109]
	v_add_f64 v[112:113], v[112:113], v[114:115]
	v_xor_b32_e32 v115, 0x80000000, v109
	v_mov_b32_e32 v114, v108
	v_mov_b32_e32 v116, v110
	v_add_u32_e32 v103, 16, v103
	v_cndmask_b32_e32 v117, v111, v117, vcc
	v_cndmask_b32_e64 v115, v109, v115, s[0:1]
	v_add_f64 v[114:115], v[114:115], v[116:117]
	v_mov_b32_e32 v116, s7
	s_add_i32 s7, s7, 1
	s_cmp_lg_u32 s22, s7
	v_cmp_lt_f64_e32 vcc, v[112:113], v[114:115]
	v_cndmask_b32_e32 v95, v95, v109, vcc
	v_cndmask_b32_e32 v94, v94, v108, vcc
	;; [unrolled: 1-line block ×5, first 2 shown]
	s_cbranch_scc1 .LBB44_253
.LBB44_254:
	s_waitcnt lgkmcnt(0)
	v_cmp_eq_f64_e32 vcc, 0, v[94:95]
	v_cmp_eq_f64_e64 s[0:1], 0, v[96:97]
	s_and_b64 s[0:1], vcc, s[0:1]
	s_and_saveexec_b64 s[8:9], s[0:1]
	s_xor_b64 s[0:1], exec, s[8:9]
; %bb.255:
	v_cmp_ne_u32_e32 vcc, 0, v107
	v_cndmask_b32_e32 v107, 13, v107, vcc
; %bb.256:
	s_andn2_saveexec_b64 s[0:1], s[0:1]
	s_cbranch_execz .LBB44_262
; %bb.257:
	v_cmp_ngt_f64_e64 s[8:9], |v[94:95]|, |v[96:97]|
	s_and_saveexec_b64 s[20:21], s[8:9]
	s_xor_b64 s[8:9], exec, s[20:21]
	s_cbranch_execz .LBB44_259
; %bb.258:
	v_div_scale_f64 v[108:109], s[20:21], v[96:97], v[96:97], v[94:95]
	v_rcp_f64_e32 v[110:111], v[108:109]
	v_fma_f64 v[112:113], -v[108:109], v[110:111], 1.0
	v_fma_f64 v[110:111], v[110:111], v[112:113], v[110:111]
	v_div_scale_f64 v[112:113], vcc, v[94:95], v[96:97], v[94:95]
	v_fma_f64 v[114:115], -v[108:109], v[110:111], 1.0
	v_fma_f64 v[110:111], v[110:111], v[114:115], v[110:111]
	v_mul_f64 v[114:115], v[112:113], v[110:111]
	v_fma_f64 v[108:109], -v[108:109], v[114:115], v[112:113]
	v_div_fmas_f64 v[108:109], v[108:109], v[110:111], v[114:115]
	v_div_fixup_f64 v[108:109], v[108:109], v[96:97], v[94:95]
	v_fma_f64 v[94:95], v[94:95], v[108:109], v[96:97]
	v_div_scale_f64 v[96:97], s[20:21], v[94:95], v[94:95], 1.0
	v_div_scale_f64 v[114:115], vcc, 1.0, v[94:95], 1.0
	v_rcp_f64_e32 v[110:111], v[96:97]
	v_fma_f64 v[112:113], -v[96:97], v[110:111], 1.0
	v_fma_f64 v[110:111], v[110:111], v[112:113], v[110:111]
	v_fma_f64 v[112:113], -v[96:97], v[110:111], 1.0
	v_fma_f64 v[110:111], v[110:111], v[112:113], v[110:111]
	v_mul_f64 v[112:113], v[114:115], v[110:111]
	v_fma_f64 v[96:97], -v[96:97], v[112:113], v[114:115]
	v_div_fmas_f64 v[96:97], v[96:97], v[110:111], v[112:113]
	v_div_fixup_f64 v[96:97], v[96:97], v[94:95], 1.0
	v_mul_f64 v[94:95], v[108:109], v[96:97]
	v_xor_b32_e32 v97, 0x80000000, v97
.LBB44_259:
	s_andn2_saveexec_b64 s[8:9], s[8:9]
	s_cbranch_execz .LBB44_261
; %bb.260:
	v_div_scale_f64 v[108:109], s[20:21], v[94:95], v[94:95], v[96:97]
	v_rcp_f64_e32 v[110:111], v[108:109]
	v_fma_f64 v[112:113], -v[108:109], v[110:111], 1.0
	v_fma_f64 v[110:111], v[110:111], v[112:113], v[110:111]
	v_div_scale_f64 v[112:113], vcc, v[96:97], v[94:95], v[96:97]
	v_fma_f64 v[114:115], -v[108:109], v[110:111], 1.0
	v_fma_f64 v[110:111], v[110:111], v[114:115], v[110:111]
	v_mul_f64 v[114:115], v[112:113], v[110:111]
	v_fma_f64 v[108:109], -v[108:109], v[114:115], v[112:113]
	v_div_fmas_f64 v[108:109], v[108:109], v[110:111], v[114:115]
	v_div_fixup_f64 v[108:109], v[108:109], v[94:95], v[96:97]
	v_fma_f64 v[94:95], v[96:97], v[108:109], v[94:95]
	v_div_scale_f64 v[96:97], s[20:21], v[94:95], v[94:95], 1.0
	v_div_scale_f64 v[114:115], vcc, 1.0, v[94:95], 1.0
	v_rcp_f64_e32 v[110:111], v[96:97]
	v_fma_f64 v[112:113], -v[96:97], v[110:111], 1.0
	v_fma_f64 v[110:111], v[110:111], v[112:113], v[110:111]
	v_fma_f64 v[112:113], -v[96:97], v[110:111], 1.0
	v_fma_f64 v[110:111], v[110:111], v[112:113], v[110:111]
	v_mul_f64 v[112:113], v[114:115], v[110:111]
	v_fma_f64 v[96:97], -v[96:97], v[112:113], v[114:115]
	v_div_fmas_f64 v[96:97], v[96:97], v[110:111], v[112:113]
	v_div_fixup_f64 v[94:95], v[96:97], v[94:95], 1.0
	v_mul_f64 v[96:97], v[108:109], -v[94:95]
.LBB44_261:
	s_or_b64 exec, exec, s[8:9]
.LBB44_262:
	s_or_b64 exec, exec, s[0:1]
	v_cmp_ne_u32_e32 vcc, v104, v102
	s_and_saveexec_b64 s[0:1], vcc
	s_xor_b64 s[0:1], exec, s[0:1]
	s_cbranch_execz .LBB44_268
; %bb.263:
	v_cmp_eq_u32_e32 vcc, 12, v104
	s_and_saveexec_b64 s[8:9], vcc
	s_cbranch_execz .LBB44_267
; %bb.264:
	v_cmp_ne_u32_e32 vcc, 12, v102
	s_xor_b64 s[20:21], s[18:19], -1
	s_and_b64 s[24:25], s[20:21], vcc
	s_and_saveexec_b64 s[20:21], s[24:25]
	s_cbranch_execz .LBB44_266
; %bb.265:
	v_ashrrev_i32_e32 v103, 31, v102
	v_lshlrev_b64 v[103:104], 2, v[102:103]
	v_add_co_u32_e32 v103, vcc, v100, v103
	v_addc_co_u32_e32 v104, vcc, v101, v104, vcc
	global_load_dword v0, v[103:104], off
	global_load_dword v108, v[100:101], off offset:48
	s_waitcnt vmcnt(1)
	global_store_dword v[100:101], v0, off offset:48
	s_waitcnt vmcnt(1)
	global_store_dword v[103:104], v108, off
.LBB44_266:
	s_or_b64 exec, exec, s[20:21]
	v_mov_b32_e32 v104, v102
	v_mov_b32_e32 v0, v102
.LBB44_267:
	s_or_b64 exec, exec, s[8:9]
.LBB44_268:
	s_andn2_saveexec_b64 s[0:1], s[0:1]
	s_cbranch_execz .LBB44_270
; %bb.269:
	v_mov_b32_e32 v104, 12
	ds_write2_b64 v1, v[34:35], v[36:37] offset0:26 offset1:27
	ds_write2_b64 v1, v[30:31], v[32:33] offset0:28 offset1:29
	;; [unrolled: 1-line block ×10, first 2 shown]
.LBB44_270:
	s_or_b64 exec, exec, s[0:1]
	v_cmp_lt_i32_e32 vcc, 12, v104
	s_waitcnt vmcnt(0) lgkmcnt(0)
	s_barrier
	s_and_saveexec_b64 s[0:1], vcc
	s_cbranch_execz .LBB44_272
; %bb.271:
	v_mul_f64 v[102:103], v[94:95], v[40:41]
	v_mul_f64 v[40:41], v[96:97], v[40:41]
	v_fma_f64 v[102:103], v[96:97], v[38:39], v[102:103]
	v_fma_f64 v[38:39], v[94:95], v[38:39], -v[40:41]
	ds_read2_b64 v[94:97], v1 offset0:26 offset1:27
	s_waitcnt lgkmcnt(0)
	v_mul_f64 v[40:41], v[96:97], v[102:103]
	v_fma_f64 v[40:41], v[94:95], v[38:39], -v[40:41]
	v_mul_f64 v[94:95], v[94:95], v[102:103]
	v_add_f64 v[34:35], v[34:35], -v[40:41]
	v_fma_f64 v[94:95], v[96:97], v[38:39], v[94:95]
	v_add_f64 v[36:37], v[36:37], -v[94:95]
	ds_read2_b64 v[94:97], v1 offset0:28 offset1:29
	s_waitcnt lgkmcnt(0)
	v_mul_f64 v[40:41], v[96:97], v[102:103]
	v_fma_f64 v[40:41], v[94:95], v[38:39], -v[40:41]
	v_mul_f64 v[94:95], v[94:95], v[102:103]
	v_add_f64 v[30:31], v[30:31], -v[40:41]
	v_fma_f64 v[94:95], v[96:97], v[38:39], v[94:95]
	v_add_f64 v[32:33], v[32:33], -v[94:95]
	;; [unrolled: 8-line block ×9, first 2 shown]
	ds_read2_b64 v[94:97], v1 offset0:44 offset1:45
	s_waitcnt lgkmcnt(0)
	v_mul_f64 v[40:41], v[96:97], v[102:103]
	v_fma_f64 v[40:41], v[94:95], v[38:39], -v[40:41]
	v_mul_f64 v[94:95], v[94:95], v[102:103]
	v_add_f64 v[90:91], v[90:91], -v[40:41]
	v_fma_f64 v[94:95], v[96:97], v[38:39], v[94:95]
	v_mov_b32_e32 v40, v102
	v_mov_b32_e32 v41, v103
	v_add_f64 v[92:93], v[92:93], -v[94:95]
.LBB44_272:
	s_or_b64 exec, exec, s[0:1]
	v_lshl_add_u32 v94, v104, 4, v1
	s_barrier
	ds_write2_b64 v94, v[34:35], v[36:37] offset1:1
	s_waitcnt lgkmcnt(0)
	s_barrier
	ds_read2_b64 v[94:97], v1 offset0:26 offset1:27
	s_cmp_lt_i32 s22, 15
	v_mov_b32_e32 v102, 13
	s_cbranch_scc1 .LBB44_275
; %bb.273:
	v_add_u32_e32 v103, 0xe0, v1
	s_mov_b32 s7, 14
	v_mov_b32_e32 v102, 13
.LBB44_274:                             ; =>This Inner Loop Header: Depth=1
	s_waitcnt lgkmcnt(0)
	v_cmp_gt_f64_e32 vcc, 0, v[96:97]
	v_cmp_gt_f64_e64 s[0:1], 0, v[94:95]
	ds_read2_b64 v[108:111], v103 offset1:1
	v_xor_b32_e32 v113, 0x80000000, v95
	v_xor_b32_e32 v115, 0x80000000, v97
	v_mov_b32_e32 v112, v94
	v_mov_b32_e32 v114, v96
	s_waitcnt lgkmcnt(0)
	v_xor_b32_e32 v117, 0x80000000, v111
	v_cndmask_b32_e32 v115, v97, v115, vcc
	v_cndmask_b32_e64 v113, v95, v113, s[0:1]
	v_cmp_gt_f64_e32 vcc, 0, v[110:111]
	v_cmp_gt_f64_e64 s[0:1], 0, v[108:109]
	v_add_f64 v[112:113], v[112:113], v[114:115]
	v_xor_b32_e32 v115, 0x80000000, v109
	v_mov_b32_e32 v114, v108
	v_mov_b32_e32 v116, v110
	v_add_u32_e32 v103, 16, v103
	v_cndmask_b32_e32 v117, v111, v117, vcc
	v_cndmask_b32_e64 v115, v109, v115, s[0:1]
	v_add_f64 v[114:115], v[114:115], v[116:117]
	v_mov_b32_e32 v116, s7
	s_add_i32 s7, s7, 1
	s_cmp_lg_u32 s22, s7
	v_cmp_lt_f64_e32 vcc, v[112:113], v[114:115]
	v_cndmask_b32_e32 v95, v95, v109, vcc
	v_cndmask_b32_e32 v94, v94, v108, vcc
	;; [unrolled: 1-line block ×5, first 2 shown]
	s_cbranch_scc1 .LBB44_274
.LBB44_275:
	s_waitcnt lgkmcnt(0)
	v_cmp_eq_f64_e32 vcc, 0, v[94:95]
	v_cmp_eq_f64_e64 s[0:1], 0, v[96:97]
	s_and_b64 s[0:1], vcc, s[0:1]
	s_and_saveexec_b64 s[8:9], s[0:1]
	s_xor_b64 s[0:1], exec, s[8:9]
; %bb.276:
	v_cmp_ne_u32_e32 vcc, 0, v107
	v_cndmask_b32_e32 v107, 14, v107, vcc
; %bb.277:
	s_andn2_saveexec_b64 s[0:1], s[0:1]
	s_cbranch_execz .LBB44_283
; %bb.278:
	v_cmp_ngt_f64_e64 s[8:9], |v[94:95]|, |v[96:97]|
	s_and_saveexec_b64 s[20:21], s[8:9]
	s_xor_b64 s[8:9], exec, s[20:21]
	s_cbranch_execz .LBB44_280
; %bb.279:
	v_div_scale_f64 v[108:109], s[20:21], v[96:97], v[96:97], v[94:95]
	v_rcp_f64_e32 v[110:111], v[108:109]
	v_fma_f64 v[112:113], -v[108:109], v[110:111], 1.0
	v_fma_f64 v[110:111], v[110:111], v[112:113], v[110:111]
	v_div_scale_f64 v[112:113], vcc, v[94:95], v[96:97], v[94:95]
	v_fma_f64 v[114:115], -v[108:109], v[110:111], 1.0
	v_fma_f64 v[110:111], v[110:111], v[114:115], v[110:111]
	v_mul_f64 v[114:115], v[112:113], v[110:111]
	v_fma_f64 v[108:109], -v[108:109], v[114:115], v[112:113]
	v_div_fmas_f64 v[108:109], v[108:109], v[110:111], v[114:115]
	v_div_fixup_f64 v[108:109], v[108:109], v[96:97], v[94:95]
	v_fma_f64 v[94:95], v[94:95], v[108:109], v[96:97]
	v_div_scale_f64 v[96:97], s[20:21], v[94:95], v[94:95], 1.0
	v_div_scale_f64 v[114:115], vcc, 1.0, v[94:95], 1.0
	v_rcp_f64_e32 v[110:111], v[96:97]
	v_fma_f64 v[112:113], -v[96:97], v[110:111], 1.0
	v_fma_f64 v[110:111], v[110:111], v[112:113], v[110:111]
	v_fma_f64 v[112:113], -v[96:97], v[110:111], 1.0
	v_fma_f64 v[110:111], v[110:111], v[112:113], v[110:111]
	v_mul_f64 v[112:113], v[114:115], v[110:111]
	v_fma_f64 v[96:97], -v[96:97], v[112:113], v[114:115]
	v_div_fmas_f64 v[96:97], v[96:97], v[110:111], v[112:113]
	v_div_fixup_f64 v[96:97], v[96:97], v[94:95], 1.0
	v_mul_f64 v[94:95], v[108:109], v[96:97]
	v_xor_b32_e32 v97, 0x80000000, v97
.LBB44_280:
	s_andn2_saveexec_b64 s[8:9], s[8:9]
	s_cbranch_execz .LBB44_282
; %bb.281:
	v_div_scale_f64 v[108:109], s[20:21], v[94:95], v[94:95], v[96:97]
	v_rcp_f64_e32 v[110:111], v[108:109]
	v_fma_f64 v[112:113], -v[108:109], v[110:111], 1.0
	v_fma_f64 v[110:111], v[110:111], v[112:113], v[110:111]
	v_div_scale_f64 v[112:113], vcc, v[96:97], v[94:95], v[96:97]
	v_fma_f64 v[114:115], -v[108:109], v[110:111], 1.0
	v_fma_f64 v[110:111], v[110:111], v[114:115], v[110:111]
	v_mul_f64 v[114:115], v[112:113], v[110:111]
	v_fma_f64 v[108:109], -v[108:109], v[114:115], v[112:113]
	v_div_fmas_f64 v[108:109], v[108:109], v[110:111], v[114:115]
	v_div_fixup_f64 v[108:109], v[108:109], v[94:95], v[96:97]
	v_fma_f64 v[94:95], v[96:97], v[108:109], v[94:95]
	v_div_scale_f64 v[96:97], s[20:21], v[94:95], v[94:95], 1.0
	v_div_scale_f64 v[114:115], vcc, 1.0, v[94:95], 1.0
	v_rcp_f64_e32 v[110:111], v[96:97]
	v_fma_f64 v[112:113], -v[96:97], v[110:111], 1.0
	v_fma_f64 v[110:111], v[110:111], v[112:113], v[110:111]
	v_fma_f64 v[112:113], -v[96:97], v[110:111], 1.0
	v_fma_f64 v[110:111], v[110:111], v[112:113], v[110:111]
	v_mul_f64 v[112:113], v[114:115], v[110:111]
	v_fma_f64 v[96:97], -v[96:97], v[112:113], v[114:115]
	v_div_fmas_f64 v[96:97], v[96:97], v[110:111], v[112:113]
	v_div_fixup_f64 v[94:95], v[96:97], v[94:95], 1.0
	v_mul_f64 v[96:97], v[108:109], -v[94:95]
.LBB44_282:
	s_or_b64 exec, exec, s[8:9]
.LBB44_283:
	s_or_b64 exec, exec, s[0:1]
	v_cmp_ne_u32_e32 vcc, v104, v102
	s_and_saveexec_b64 s[0:1], vcc
	s_xor_b64 s[0:1], exec, s[0:1]
	s_cbranch_execz .LBB44_289
; %bb.284:
	v_cmp_eq_u32_e32 vcc, 13, v104
	s_and_saveexec_b64 s[8:9], vcc
	s_cbranch_execz .LBB44_288
; %bb.285:
	v_cmp_ne_u32_e32 vcc, 13, v102
	s_xor_b64 s[20:21], s[18:19], -1
	s_and_b64 s[24:25], s[20:21], vcc
	s_and_saveexec_b64 s[20:21], s[24:25]
	s_cbranch_execz .LBB44_287
; %bb.286:
	v_ashrrev_i32_e32 v103, 31, v102
	v_lshlrev_b64 v[103:104], 2, v[102:103]
	v_add_co_u32_e32 v103, vcc, v100, v103
	v_addc_co_u32_e32 v104, vcc, v101, v104, vcc
	global_load_dword v0, v[103:104], off
	global_load_dword v108, v[100:101], off offset:52
	s_waitcnt vmcnt(1)
	global_store_dword v[100:101], v0, off offset:52
	s_waitcnt vmcnt(1)
	global_store_dword v[103:104], v108, off
.LBB44_287:
	s_or_b64 exec, exec, s[20:21]
	v_mov_b32_e32 v104, v102
	v_mov_b32_e32 v0, v102
.LBB44_288:
	s_or_b64 exec, exec, s[8:9]
.LBB44_289:
	s_andn2_saveexec_b64 s[0:1], s[0:1]
	s_cbranch_execz .LBB44_291
; %bb.290:
	v_mov_b32_e32 v104, 13
	ds_write2_b64 v1, v[30:31], v[32:33] offset0:28 offset1:29
	ds_write2_b64 v1, v[26:27], v[28:29] offset0:30 offset1:31
	;; [unrolled: 1-line block ×9, first 2 shown]
.LBB44_291:
	s_or_b64 exec, exec, s[0:1]
	v_cmp_lt_i32_e32 vcc, 13, v104
	s_waitcnt vmcnt(0) lgkmcnt(0)
	s_barrier
	s_and_saveexec_b64 s[0:1], vcc
	s_cbranch_execz .LBB44_293
; %bb.292:
	v_mul_f64 v[102:103], v[94:95], v[36:37]
	v_mul_f64 v[36:37], v[96:97], v[36:37]
	v_fma_f64 v[102:103], v[96:97], v[34:35], v[102:103]
	v_fma_f64 v[34:35], v[94:95], v[34:35], -v[36:37]
	ds_read2_b64 v[94:97], v1 offset0:28 offset1:29
	s_waitcnt lgkmcnt(0)
	v_mul_f64 v[36:37], v[96:97], v[102:103]
	v_fma_f64 v[36:37], v[94:95], v[34:35], -v[36:37]
	v_mul_f64 v[94:95], v[94:95], v[102:103]
	v_add_f64 v[30:31], v[30:31], -v[36:37]
	v_fma_f64 v[94:95], v[96:97], v[34:35], v[94:95]
	v_add_f64 v[32:33], v[32:33], -v[94:95]
	ds_read2_b64 v[94:97], v1 offset0:30 offset1:31
	s_waitcnt lgkmcnt(0)
	v_mul_f64 v[36:37], v[96:97], v[102:103]
	v_fma_f64 v[36:37], v[94:95], v[34:35], -v[36:37]
	v_mul_f64 v[94:95], v[94:95], v[102:103]
	v_add_f64 v[26:27], v[26:27], -v[36:37]
	v_fma_f64 v[94:95], v[96:97], v[34:35], v[94:95]
	v_add_f64 v[28:29], v[28:29], -v[94:95]
	;; [unrolled: 8-line block ×8, first 2 shown]
	ds_read2_b64 v[94:97], v1 offset0:44 offset1:45
	s_waitcnt lgkmcnt(0)
	v_mul_f64 v[36:37], v[96:97], v[102:103]
	v_fma_f64 v[36:37], v[94:95], v[34:35], -v[36:37]
	v_mul_f64 v[94:95], v[94:95], v[102:103]
	v_add_f64 v[90:91], v[90:91], -v[36:37]
	v_fma_f64 v[94:95], v[96:97], v[34:35], v[94:95]
	v_mov_b32_e32 v36, v102
	v_mov_b32_e32 v37, v103
	v_add_f64 v[92:93], v[92:93], -v[94:95]
.LBB44_293:
	s_or_b64 exec, exec, s[0:1]
	v_lshl_add_u32 v94, v104, 4, v1
	s_barrier
	ds_write2_b64 v94, v[30:31], v[32:33] offset1:1
	s_waitcnt lgkmcnt(0)
	s_barrier
	ds_read2_b64 v[94:97], v1 offset0:28 offset1:29
	s_cmp_lt_i32 s22, 16
	v_mov_b32_e32 v102, 14
	s_cbranch_scc1 .LBB44_296
; %bb.294:
	v_add_u32_e32 v103, 0xf0, v1
	s_mov_b32 s7, 15
	v_mov_b32_e32 v102, 14
.LBB44_295:                             ; =>This Inner Loop Header: Depth=1
	s_waitcnt lgkmcnt(0)
	v_cmp_gt_f64_e32 vcc, 0, v[96:97]
	v_cmp_gt_f64_e64 s[0:1], 0, v[94:95]
	ds_read2_b64 v[108:111], v103 offset1:1
	v_xor_b32_e32 v113, 0x80000000, v95
	v_xor_b32_e32 v115, 0x80000000, v97
	v_mov_b32_e32 v112, v94
	v_mov_b32_e32 v114, v96
	s_waitcnt lgkmcnt(0)
	v_xor_b32_e32 v117, 0x80000000, v111
	v_cndmask_b32_e32 v115, v97, v115, vcc
	v_cndmask_b32_e64 v113, v95, v113, s[0:1]
	v_cmp_gt_f64_e32 vcc, 0, v[110:111]
	v_cmp_gt_f64_e64 s[0:1], 0, v[108:109]
	v_add_f64 v[112:113], v[112:113], v[114:115]
	v_xor_b32_e32 v115, 0x80000000, v109
	v_mov_b32_e32 v114, v108
	v_mov_b32_e32 v116, v110
	v_add_u32_e32 v103, 16, v103
	v_cndmask_b32_e32 v117, v111, v117, vcc
	v_cndmask_b32_e64 v115, v109, v115, s[0:1]
	v_add_f64 v[114:115], v[114:115], v[116:117]
	v_mov_b32_e32 v116, s7
	s_add_i32 s7, s7, 1
	s_cmp_lg_u32 s22, s7
	v_cmp_lt_f64_e32 vcc, v[112:113], v[114:115]
	v_cndmask_b32_e32 v95, v95, v109, vcc
	v_cndmask_b32_e32 v94, v94, v108, vcc
	;; [unrolled: 1-line block ×5, first 2 shown]
	s_cbranch_scc1 .LBB44_295
.LBB44_296:
	s_waitcnt lgkmcnt(0)
	v_cmp_eq_f64_e32 vcc, 0, v[94:95]
	v_cmp_eq_f64_e64 s[0:1], 0, v[96:97]
	s_and_b64 s[0:1], vcc, s[0:1]
	s_and_saveexec_b64 s[8:9], s[0:1]
	s_xor_b64 s[0:1], exec, s[8:9]
; %bb.297:
	v_cmp_ne_u32_e32 vcc, 0, v107
	v_cndmask_b32_e32 v107, 15, v107, vcc
; %bb.298:
	s_andn2_saveexec_b64 s[0:1], s[0:1]
	s_cbranch_execz .LBB44_304
; %bb.299:
	v_cmp_ngt_f64_e64 s[8:9], |v[94:95]|, |v[96:97]|
	s_and_saveexec_b64 s[20:21], s[8:9]
	s_xor_b64 s[8:9], exec, s[20:21]
	s_cbranch_execz .LBB44_301
; %bb.300:
	v_div_scale_f64 v[108:109], s[20:21], v[96:97], v[96:97], v[94:95]
	v_rcp_f64_e32 v[110:111], v[108:109]
	v_fma_f64 v[112:113], -v[108:109], v[110:111], 1.0
	v_fma_f64 v[110:111], v[110:111], v[112:113], v[110:111]
	v_div_scale_f64 v[112:113], vcc, v[94:95], v[96:97], v[94:95]
	v_fma_f64 v[114:115], -v[108:109], v[110:111], 1.0
	v_fma_f64 v[110:111], v[110:111], v[114:115], v[110:111]
	v_mul_f64 v[114:115], v[112:113], v[110:111]
	v_fma_f64 v[108:109], -v[108:109], v[114:115], v[112:113]
	v_div_fmas_f64 v[108:109], v[108:109], v[110:111], v[114:115]
	v_div_fixup_f64 v[108:109], v[108:109], v[96:97], v[94:95]
	v_fma_f64 v[94:95], v[94:95], v[108:109], v[96:97]
	v_div_scale_f64 v[96:97], s[20:21], v[94:95], v[94:95], 1.0
	v_div_scale_f64 v[114:115], vcc, 1.0, v[94:95], 1.0
	v_rcp_f64_e32 v[110:111], v[96:97]
	v_fma_f64 v[112:113], -v[96:97], v[110:111], 1.0
	v_fma_f64 v[110:111], v[110:111], v[112:113], v[110:111]
	v_fma_f64 v[112:113], -v[96:97], v[110:111], 1.0
	v_fma_f64 v[110:111], v[110:111], v[112:113], v[110:111]
	v_mul_f64 v[112:113], v[114:115], v[110:111]
	v_fma_f64 v[96:97], -v[96:97], v[112:113], v[114:115]
	v_div_fmas_f64 v[96:97], v[96:97], v[110:111], v[112:113]
	v_div_fixup_f64 v[96:97], v[96:97], v[94:95], 1.0
	v_mul_f64 v[94:95], v[108:109], v[96:97]
	v_xor_b32_e32 v97, 0x80000000, v97
.LBB44_301:
	s_andn2_saveexec_b64 s[8:9], s[8:9]
	s_cbranch_execz .LBB44_303
; %bb.302:
	v_div_scale_f64 v[108:109], s[20:21], v[94:95], v[94:95], v[96:97]
	v_rcp_f64_e32 v[110:111], v[108:109]
	v_fma_f64 v[112:113], -v[108:109], v[110:111], 1.0
	v_fma_f64 v[110:111], v[110:111], v[112:113], v[110:111]
	v_div_scale_f64 v[112:113], vcc, v[96:97], v[94:95], v[96:97]
	v_fma_f64 v[114:115], -v[108:109], v[110:111], 1.0
	v_fma_f64 v[110:111], v[110:111], v[114:115], v[110:111]
	v_mul_f64 v[114:115], v[112:113], v[110:111]
	v_fma_f64 v[108:109], -v[108:109], v[114:115], v[112:113]
	v_div_fmas_f64 v[108:109], v[108:109], v[110:111], v[114:115]
	v_div_fixup_f64 v[108:109], v[108:109], v[94:95], v[96:97]
	v_fma_f64 v[94:95], v[96:97], v[108:109], v[94:95]
	v_div_scale_f64 v[96:97], s[20:21], v[94:95], v[94:95], 1.0
	v_div_scale_f64 v[114:115], vcc, 1.0, v[94:95], 1.0
	v_rcp_f64_e32 v[110:111], v[96:97]
	v_fma_f64 v[112:113], -v[96:97], v[110:111], 1.0
	v_fma_f64 v[110:111], v[110:111], v[112:113], v[110:111]
	v_fma_f64 v[112:113], -v[96:97], v[110:111], 1.0
	v_fma_f64 v[110:111], v[110:111], v[112:113], v[110:111]
	v_mul_f64 v[112:113], v[114:115], v[110:111]
	v_fma_f64 v[96:97], -v[96:97], v[112:113], v[114:115]
	v_div_fmas_f64 v[96:97], v[96:97], v[110:111], v[112:113]
	v_div_fixup_f64 v[94:95], v[96:97], v[94:95], 1.0
	v_mul_f64 v[96:97], v[108:109], -v[94:95]
.LBB44_303:
	s_or_b64 exec, exec, s[8:9]
.LBB44_304:
	s_or_b64 exec, exec, s[0:1]
	v_cmp_ne_u32_e32 vcc, v104, v102
	s_and_saveexec_b64 s[0:1], vcc
	s_xor_b64 s[0:1], exec, s[0:1]
	s_cbranch_execz .LBB44_310
; %bb.305:
	v_cmp_eq_u32_e32 vcc, 14, v104
	s_and_saveexec_b64 s[8:9], vcc
	s_cbranch_execz .LBB44_309
; %bb.306:
	v_cmp_ne_u32_e32 vcc, 14, v102
	s_xor_b64 s[20:21], s[18:19], -1
	s_and_b64 s[24:25], s[20:21], vcc
	s_and_saveexec_b64 s[20:21], s[24:25]
	s_cbranch_execz .LBB44_308
; %bb.307:
	v_ashrrev_i32_e32 v103, 31, v102
	v_lshlrev_b64 v[103:104], 2, v[102:103]
	v_add_co_u32_e32 v103, vcc, v100, v103
	v_addc_co_u32_e32 v104, vcc, v101, v104, vcc
	global_load_dword v0, v[103:104], off
	global_load_dword v108, v[100:101], off offset:56
	s_waitcnt vmcnt(1)
	global_store_dword v[100:101], v0, off offset:56
	s_waitcnt vmcnt(1)
	global_store_dword v[103:104], v108, off
.LBB44_308:
	s_or_b64 exec, exec, s[20:21]
	v_mov_b32_e32 v104, v102
	v_mov_b32_e32 v0, v102
.LBB44_309:
	s_or_b64 exec, exec, s[8:9]
.LBB44_310:
	s_andn2_saveexec_b64 s[0:1], s[0:1]
	s_cbranch_execz .LBB44_312
; %bb.311:
	v_mov_b32_e32 v104, 14
	ds_write2_b64 v1, v[26:27], v[28:29] offset0:30 offset1:31
	ds_write2_b64 v1, v[22:23], v[24:25] offset0:32 offset1:33
	;; [unrolled: 1-line block ×8, first 2 shown]
.LBB44_312:
	s_or_b64 exec, exec, s[0:1]
	v_cmp_lt_i32_e32 vcc, 14, v104
	s_waitcnt vmcnt(0) lgkmcnt(0)
	s_barrier
	s_and_saveexec_b64 s[0:1], vcc
	s_cbranch_execz .LBB44_314
; %bb.313:
	v_mul_f64 v[102:103], v[94:95], v[32:33]
	v_mul_f64 v[32:33], v[96:97], v[32:33]
	v_fma_f64 v[102:103], v[96:97], v[30:31], v[102:103]
	v_fma_f64 v[30:31], v[94:95], v[30:31], -v[32:33]
	ds_read2_b64 v[94:97], v1 offset0:30 offset1:31
	s_waitcnt lgkmcnt(0)
	v_mul_f64 v[32:33], v[96:97], v[102:103]
	v_fma_f64 v[32:33], v[94:95], v[30:31], -v[32:33]
	v_mul_f64 v[94:95], v[94:95], v[102:103]
	v_add_f64 v[26:27], v[26:27], -v[32:33]
	v_fma_f64 v[94:95], v[96:97], v[30:31], v[94:95]
	v_add_f64 v[28:29], v[28:29], -v[94:95]
	ds_read2_b64 v[94:97], v1 offset0:32 offset1:33
	s_waitcnt lgkmcnt(0)
	v_mul_f64 v[32:33], v[96:97], v[102:103]
	v_fma_f64 v[32:33], v[94:95], v[30:31], -v[32:33]
	v_mul_f64 v[94:95], v[94:95], v[102:103]
	v_add_f64 v[22:23], v[22:23], -v[32:33]
	v_fma_f64 v[94:95], v[96:97], v[30:31], v[94:95]
	v_add_f64 v[24:25], v[24:25], -v[94:95]
	;; [unrolled: 8-line block ×7, first 2 shown]
	ds_read2_b64 v[94:97], v1 offset0:44 offset1:45
	s_waitcnt lgkmcnt(0)
	v_mul_f64 v[32:33], v[96:97], v[102:103]
	v_fma_f64 v[32:33], v[94:95], v[30:31], -v[32:33]
	v_mul_f64 v[94:95], v[94:95], v[102:103]
	v_add_f64 v[90:91], v[90:91], -v[32:33]
	v_fma_f64 v[94:95], v[96:97], v[30:31], v[94:95]
	v_mov_b32_e32 v32, v102
	v_mov_b32_e32 v33, v103
	v_add_f64 v[92:93], v[92:93], -v[94:95]
.LBB44_314:
	s_or_b64 exec, exec, s[0:1]
	v_lshl_add_u32 v94, v104, 4, v1
	s_barrier
	ds_write2_b64 v94, v[26:27], v[28:29] offset1:1
	s_waitcnt lgkmcnt(0)
	s_barrier
	ds_read2_b64 v[94:97], v1 offset0:30 offset1:31
	s_cmp_lt_i32 s22, 17
	v_mov_b32_e32 v102, 15
	s_cbranch_scc1 .LBB44_317
; %bb.315:
	v_add_u32_e32 v103, 0x100, v1
	s_mov_b32 s7, 16
	v_mov_b32_e32 v102, 15
.LBB44_316:                             ; =>This Inner Loop Header: Depth=1
	s_waitcnt lgkmcnt(0)
	v_cmp_gt_f64_e32 vcc, 0, v[96:97]
	v_cmp_gt_f64_e64 s[0:1], 0, v[94:95]
	ds_read2_b64 v[108:111], v103 offset1:1
	v_xor_b32_e32 v113, 0x80000000, v95
	v_xor_b32_e32 v115, 0x80000000, v97
	v_mov_b32_e32 v112, v94
	v_mov_b32_e32 v114, v96
	s_waitcnt lgkmcnt(0)
	v_xor_b32_e32 v117, 0x80000000, v111
	v_cndmask_b32_e32 v115, v97, v115, vcc
	v_cndmask_b32_e64 v113, v95, v113, s[0:1]
	v_cmp_gt_f64_e32 vcc, 0, v[110:111]
	v_cmp_gt_f64_e64 s[0:1], 0, v[108:109]
	v_add_f64 v[112:113], v[112:113], v[114:115]
	v_xor_b32_e32 v115, 0x80000000, v109
	v_mov_b32_e32 v114, v108
	v_mov_b32_e32 v116, v110
	v_add_u32_e32 v103, 16, v103
	v_cndmask_b32_e32 v117, v111, v117, vcc
	v_cndmask_b32_e64 v115, v109, v115, s[0:1]
	v_add_f64 v[114:115], v[114:115], v[116:117]
	v_mov_b32_e32 v116, s7
	s_add_i32 s7, s7, 1
	s_cmp_lg_u32 s22, s7
	v_cmp_lt_f64_e32 vcc, v[112:113], v[114:115]
	v_cndmask_b32_e32 v95, v95, v109, vcc
	v_cndmask_b32_e32 v94, v94, v108, vcc
	;; [unrolled: 1-line block ×5, first 2 shown]
	s_cbranch_scc1 .LBB44_316
.LBB44_317:
	s_waitcnt lgkmcnt(0)
	v_cmp_eq_f64_e32 vcc, 0, v[94:95]
	v_cmp_eq_f64_e64 s[0:1], 0, v[96:97]
	s_and_b64 s[0:1], vcc, s[0:1]
	s_and_saveexec_b64 s[8:9], s[0:1]
	s_xor_b64 s[0:1], exec, s[8:9]
; %bb.318:
	v_cmp_ne_u32_e32 vcc, 0, v107
	v_cndmask_b32_e32 v107, 16, v107, vcc
; %bb.319:
	s_andn2_saveexec_b64 s[0:1], s[0:1]
	s_cbranch_execz .LBB44_325
; %bb.320:
	v_cmp_ngt_f64_e64 s[8:9], |v[94:95]|, |v[96:97]|
	s_and_saveexec_b64 s[20:21], s[8:9]
	s_xor_b64 s[8:9], exec, s[20:21]
	s_cbranch_execz .LBB44_322
; %bb.321:
	v_div_scale_f64 v[108:109], s[20:21], v[96:97], v[96:97], v[94:95]
	v_rcp_f64_e32 v[110:111], v[108:109]
	v_fma_f64 v[112:113], -v[108:109], v[110:111], 1.0
	v_fma_f64 v[110:111], v[110:111], v[112:113], v[110:111]
	v_div_scale_f64 v[112:113], vcc, v[94:95], v[96:97], v[94:95]
	v_fma_f64 v[114:115], -v[108:109], v[110:111], 1.0
	v_fma_f64 v[110:111], v[110:111], v[114:115], v[110:111]
	v_mul_f64 v[114:115], v[112:113], v[110:111]
	v_fma_f64 v[108:109], -v[108:109], v[114:115], v[112:113]
	v_div_fmas_f64 v[108:109], v[108:109], v[110:111], v[114:115]
	v_div_fixup_f64 v[108:109], v[108:109], v[96:97], v[94:95]
	v_fma_f64 v[94:95], v[94:95], v[108:109], v[96:97]
	v_div_scale_f64 v[96:97], s[20:21], v[94:95], v[94:95], 1.0
	v_div_scale_f64 v[114:115], vcc, 1.0, v[94:95], 1.0
	v_rcp_f64_e32 v[110:111], v[96:97]
	v_fma_f64 v[112:113], -v[96:97], v[110:111], 1.0
	v_fma_f64 v[110:111], v[110:111], v[112:113], v[110:111]
	v_fma_f64 v[112:113], -v[96:97], v[110:111], 1.0
	v_fma_f64 v[110:111], v[110:111], v[112:113], v[110:111]
	v_mul_f64 v[112:113], v[114:115], v[110:111]
	v_fma_f64 v[96:97], -v[96:97], v[112:113], v[114:115]
	v_div_fmas_f64 v[96:97], v[96:97], v[110:111], v[112:113]
	v_div_fixup_f64 v[96:97], v[96:97], v[94:95], 1.0
	v_mul_f64 v[94:95], v[108:109], v[96:97]
	v_xor_b32_e32 v97, 0x80000000, v97
.LBB44_322:
	s_andn2_saveexec_b64 s[8:9], s[8:9]
	s_cbranch_execz .LBB44_324
; %bb.323:
	v_div_scale_f64 v[108:109], s[20:21], v[94:95], v[94:95], v[96:97]
	v_rcp_f64_e32 v[110:111], v[108:109]
	v_fma_f64 v[112:113], -v[108:109], v[110:111], 1.0
	v_fma_f64 v[110:111], v[110:111], v[112:113], v[110:111]
	v_div_scale_f64 v[112:113], vcc, v[96:97], v[94:95], v[96:97]
	v_fma_f64 v[114:115], -v[108:109], v[110:111], 1.0
	v_fma_f64 v[110:111], v[110:111], v[114:115], v[110:111]
	v_mul_f64 v[114:115], v[112:113], v[110:111]
	v_fma_f64 v[108:109], -v[108:109], v[114:115], v[112:113]
	v_div_fmas_f64 v[108:109], v[108:109], v[110:111], v[114:115]
	v_div_fixup_f64 v[108:109], v[108:109], v[94:95], v[96:97]
	v_fma_f64 v[94:95], v[96:97], v[108:109], v[94:95]
	v_div_scale_f64 v[96:97], s[20:21], v[94:95], v[94:95], 1.0
	v_div_scale_f64 v[114:115], vcc, 1.0, v[94:95], 1.0
	v_rcp_f64_e32 v[110:111], v[96:97]
	v_fma_f64 v[112:113], -v[96:97], v[110:111], 1.0
	v_fma_f64 v[110:111], v[110:111], v[112:113], v[110:111]
	v_fma_f64 v[112:113], -v[96:97], v[110:111], 1.0
	v_fma_f64 v[110:111], v[110:111], v[112:113], v[110:111]
	v_mul_f64 v[112:113], v[114:115], v[110:111]
	v_fma_f64 v[96:97], -v[96:97], v[112:113], v[114:115]
	v_div_fmas_f64 v[96:97], v[96:97], v[110:111], v[112:113]
	v_div_fixup_f64 v[94:95], v[96:97], v[94:95], 1.0
	v_mul_f64 v[96:97], v[108:109], -v[94:95]
.LBB44_324:
	s_or_b64 exec, exec, s[8:9]
.LBB44_325:
	s_or_b64 exec, exec, s[0:1]
	v_cmp_ne_u32_e32 vcc, v104, v102
	s_and_saveexec_b64 s[0:1], vcc
	s_xor_b64 s[0:1], exec, s[0:1]
	s_cbranch_execz .LBB44_331
; %bb.326:
	v_cmp_eq_u32_e32 vcc, 15, v104
	s_and_saveexec_b64 s[8:9], vcc
	s_cbranch_execz .LBB44_330
; %bb.327:
	v_cmp_ne_u32_e32 vcc, 15, v102
	s_xor_b64 s[20:21], s[18:19], -1
	s_and_b64 s[24:25], s[20:21], vcc
	s_and_saveexec_b64 s[20:21], s[24:25]
	s_cbranch_execz .LBB44_329
; %bb.328:
	v_ashrrev_i32_e32 v103, 31, v102
	v_lshlrev_b64 v[103:104], 2, v[102:103]
	v_add_co_u32_e32 v103, vcc, v100, v103
	v_addc_co_u32_e32 v104, vcc, v101, v104, vcc
	global_load_dword v0, v[103:104], off
	global_load_dword v108, v[100:101], off offset:60
	s_waitcnt vmcnt(1)
	global_store_dword v[100:101], v0, off offset:60
	s_waitcnt vmcnt(1)
	global_store_dword v[103:104], v108, off
.LBB44_329:
	s_or_b64 exec, exec, s[20:21]
	v_mov_b32_e32 v104, v102
	v_mov_b32_e32 v0, v102
.LBB44_330:
	s_or_b64 exec, exec, s[8:9]
.LBB44_331:
	s_andn2_saveexec_b64 s[0:1], s[0:1]
	s_cbranch_execz .LBB44_333
; %bb.332:
	v_mov_b32_e32 v104, 15
	ds_write2_b64 v1, v[22:23], v[24:25] offset0:32 offset1:33
	ds_write2_b64 v1, v[18:19], v[20:21] offset0:34 offset1:35
	;; [unrolled: 1-line block ×7, first 2 shown]
.LBB44_333:
	s_or_b64 exec, exec, s[0:1]
	v_cmp_lt_i32_e32 vcc, 15, v104
	s_waitcnt vmcnt(0) lgkmcnt(0)
	s_barrier
	s_and_saveexec_b64 s[0:1], vcc
	s_cbranch_execz .LBB44_335
; %bb.334:
	v_mul_f64 v[102:103], v[94:95], v[28:29]
	v_mul_f64 v[28:29], v[96:97], v[28:29]
	v_fma_f64 v[102:103], v[96:97], v[26:27], v[102:103]
	v_fma_f64 v[26:27], v[94:95], v[26:27], -v[28:29]
	ds_read2_b64 v[94:97], v1 offset0:32 offset1:33
	s_waitcnt lgkmcnt(0)
	v_mul_f64 v[28:29], v[96:97], v[102:103]
	v_fma_f64 v[28:29], v[94:95], v[26:27], -v[28:29]
	v_mul_f64 v[94:95], v[94:95], v[102:103]
	v_add_f64 v[22:23], v[22:23], -v[28:29]
	v_fma_f64 v[94:95], v[96:97], v[26:27], v[94:95]
	v_add_f64 v[24:25], v[24:25], -v[94:95]
	ds_read2_b64 v[94:97], v1 offset0:34 offset1:35
	s_waitcnt lgkmcnt(0)
	v_mul_f64 v[28:29], v[96:97], v[102:103]
	v_fma_f64 v[28:29], v[94:95], v[26:27], -v[28:29]
	v_mul_f64 v[94:95], v[94:95], v[102:103]
	v_add_f64 v[18:19], v[18:19], -v[28:29]
	v_fma_f64 v[94:95], v[96:97], v[26:27], v[94:95]
	v_add_f64 v[20:21], v[20:21], -v[94:95]
	;; [unrolled: 8-line block ×6, first 2 shown]
	ds_read2_b64 v[94:97], v1 offset0:44 offset1:45
	s_waitcnt lgkmcnt(0)
	v_mul_f64 v[28:29], v[96:97], v[102:103]
	v_fma_f64 v[28:29], v[94:95], v[26:27], -v[28:29]
	v_mul_f64 v[94:95], v[94:95], v[102:103]
	v_add_f64 v[90:91], v[90:91], -v[28:29]
	v_fma_f64 v[94:95], v[96:97], v[26:27], v[94:95]
	v_mov_b32_e32 v28, v102
	v_mov_b32_e32 v29, v103
	v_add_f64 v[92:93], v[92:93], -v[94:95]
.LBB44_335:
	s_or_b64 exec, exec, s[0:1]
	v_lshl_add_u32 v94, v104, 4, v1
	s_barrier
	ds_write2_b64 v94, v[22:23], v[24:25] offset1:1
	s_waitcnt lgkmcnt(0)
	s_barrier
	ds_read2_b64 v[94:97], v1 offset0:32 offset1:33
	s_cmp_lt_i32 s22, 18
	v_mov_b32_e32 v102, 16
	s_cbranch_scc1 .LBB44_338
; %bb.336:
	v_add_u32_e32 v103, 0x110, v1
	s_mov_b32 s7, 17
	v_mov_b32_e32 v102, 16
.LBB44_337:                             ; =>This Inner Loop Header: Depth=1
	s_waitcnt lgkmcnt(0)
	v_cmp_gt_f64_e32 vcc, 0, v[96:97]
	v_cmp_gt_f64_e64 s[0:1], 0, v[94:95]
	ds_read2_b64 v[108:111], v103 offset1:1
	v_xor_b32_e32 v113, 0x80000000, v95
	v_xor_b32_e32 v115, 0x80000000, v97
	v_mov_b32_e32 v112, v94
	v_mov_b32_e32 v114, v96
	s_waitcnt lgkmcnt(0)
	v_xor_b32_e32 v117, 0x80000000, v111
	v_cndmask_b32_e32 v115, v97, v115, vcc
	v_cndmask_b32_e64 v113, v95, v113, s[0:1]
	v_cmp_gt_f64_e32 vcc, 0, v[110:111]
	v_cmp_gt_f64_e64 s[0:1], 0, v[108:109]
	v_add_f64 v[112:113], v[112:113], v[114:115]
	v_xor_b32_e32 v115, 0x80000000, v109
	v_mov_b32_e32 v114, v108
	v_mov_b32_e32 v116, v110
	v_add_u32_e32 v103, 16, v103
	v_cndmask_b32_e32 v117, v111, v117, vcc
	v_cndmask_b32_e64 v115, v109, v115, s[0:1]
	v_add_f64 v[114:115], v[114:115], v[116:117]
	v_mov_b32_e32 v116, s7
	s_add_i32 s7, s7, 1
	s_cmp_lg_u32 s22, s7
	v_cmp_lt_f64_e32 vcc, v[112:113], v[114:115]
	v_cndmask_b32_e32 v95, v95, v109, vcc
	v_cndmask_b32_e32 v94, v94, v108, vcc
	;; [unrolled: 1-line block ×5, first 2 shown]
	s_cbranch_scc1 .LBB44_337
.LBB44_338:
	s_waitcnt lgkmcnt(0)
	v_cmp_eq_f64_e32 vcc, 0, v[94:95]
	v_cmp_eq_f64_e64 s[0:1], 0, v[96:97]
	s_and_b64 s[0:1], vcc, s[0:1]
	s_and_saveexec_b64 s[8:9], s[0:1]
	s_xor_b64 s[0:1], exec, s[8:9]
; %bb.339:
	v_cmp_ne_u32_e32 vcc, 0, v107
	v_cndmask_b32_e32 v107, 17, v107, vcc
; %bb.340:
	s_andn2_saveexec_b64 s[0:1], s[0:1]
	s_cbranch_execz .LBB44_346
; %bb.341:
	v_cmp_ngt_f64_e64 s[8:9], |v[94:95]|, |v[96:97]|
	s_and_saveexec_b64 s[20:21], s[8:9]
	s_xor_b64 s[8:9], exec, s[20:21]
	s_cbranch_execz .LBB44_343
; %bb.342:
	v_div_scale_f64 v[108:109], s[20:21], v[96:97], v[96:97], v[94:95]
	v_rcp_f64_e32 v[110:111], v[108:109]
	v_fma_f64 v[112:113], -v[108:109], v[110:111], 1.0
	v_fma_f64 v[110:111], v[110:111], v[112:113], v[110:111]
	v_div_scale_f64 v[112:113], vcc, v[94:95], v[96:97], v[94:95]
	v_fma_f64 v[114:115], -v[108:109], v[110:111], 1.0
	v_fma_f64 v[110:111], v[110:111], v[114:115], v[110:111]
	v_mul_f64 v[114:115], v[112:113], v[110:111]
	v_fma_f64 v[108:109], -v[108:109], v[114:115], v[112:113]
	v_div_fmas_f64 v[108:109], v[108:109], v[110:111], v[114:115]
	v_div_fixup_f64 v[108:109], v[108:109], v[96:97], v[94:95]
	v_fma_f64 v[94:95], v[94:95], v[108:109], v[96:97]
	v_div_scale_f64 v[96:97], s[20:21], v[94:95], v[94:95], 1.0
	v_div_scale_f64 v[114:115], vcc, 1.0, v[94:95], 1.0
	v_rcp_f64_e32 v[110:111], v[96:97]
	v_fma_f64 v[112:113], -v[96:97], v[110:111], 1.0
	v_fma_f64 v[110:111], v[110:111], v[112:113], v[110:111]
	v_fma_f64 v[112:113], -v[96:97], v[110:111], 1.0
	v_fma_f64 v[110:111], v[110:111], v[112:113], v[110:111]
	v_mul_f64 v[112:113], v[114:115], v[110:111]
	v_fma_f64 v[96:97], -v[96:97], v[112:113], v[114:115]
	v_div_fmas_f64 v[96:97], v[96:97], v[110:111], v[112:113]
	v_div_fixup_f64 v[96:97], v[96:97], v[94:95], 1.0
	v_mul_f64 v[94:95], v[108:109], v[96:97]
	v_xor_b32_e32 v97, 0x80000000, v97
.LBB44_343:
	s_andn2_saveexec_b64 s[8:9], s[8:9]
	s_cbranch_execz .LBB44_345
; %bb.344:
	v_div_scale_f64 v[108:109], s[20:21], v[94:95], v[94:95], v[96:97]
	v_rcp_f64_e32 v[110:111], v[108:109]
	v_fma_f64 v[112:113], -v[108:109], v[110:111], 1.0
	v_fma_f64 v[110:111], v[110:111], v[112:113], v[110:111]
	v_div_scale_f64 v[112:113], vcc, v[96:97], v[94:95], v[96:97]
	v_fma_f64 v[114:115], -v[108:109], v[110:111], 1.0
	v_fma_f64 v[110:111], v[110:111], v[114:115], v[110:111]
	v_mul_f64 v[114:115], v[112:113], v[110:111]
	v_fma_f64 v[108:109], -v[108:109], v[114:115], v[112:113]
	v_div_fmas_f64 v[108:109], v[108:109], v[110:111], v[114:115]
	v_div_fixup_f64 v[108:109], v[108:109], v[94:95], v[96:97]
	v_fma_f64 v[94:95], v[96:97], v[108:109], v[94:95]
	v_div_scale_f64 v[96:97], s[20:21], v[94:95], v[94:95], 1.0
	v_div_scale_f64 v[114:115], vcc, 1.0, v[94:95], 1.0
	v_rcp_f64_e32 v[110:111], v[96:97]
	v_fma_f64 v[112:113], -v[96:97], v[110:111], 1.0
	v_fma_f64 v[110:111], v[110:111], v[112:113], v[110:111]
	v_fma_f64 v[112:113], -v[96:97], v[110:111], 1.0
	v_fma_f64 v[110:111], v[110:111], v[112:113], v[110:111]
	v_mul_f64 v[112:113], v[114:115], v[110:111]
	v_fma_f64 v[96:97], -v[96:97], v[112:113], v[114:115]
	v_div_fmas_f64 v[96:97], v[96:97], v[110:111], v[112:113]
	v_div_fixup_f64 v[94:95], v[96:97], v[94:95], 1.0
	v_mul_f64 v[96:97], v[108:109], -v[94:95]
.LBB44_345:
	s_or_b64 exec, exec, s[8:9]
.LBB44_346:
	s_or_b64 exec, exec, s[0:1]
	v_cmp_ne_u32_e32 vcc, v104, v102
	s_and_saveexec_b64 s[0:1], vcc
	s_xor_b64 s[0:1], exec, s[0:1]
	s_cbranch_execz .LBB44_352
; %bb.347:
	v_cmp_eq_u32_e32 vcc, 16, v104
	s_and_saveexec_b64 s[8:9], vcc
	s_cbranch_execz .LBB44_351
; %bb.348:
	v_cmp_ne_u32_e32 vcc, 16, v102
	s_xor_b64 s[20:21], s[18:19], -1
	s_and_b64 s[24:25], s[20:21], vcc
	s_and_saveexec_b64 s[20:21], s[24:25]
	s_cbranch_execz .LBB44_350
; %bb.349:
	v_ashrrev_i32_e32 v103, 31, v102
	v_lshlrev_b64 v[103:104], 2, v[102:103]
	v_add_co_u32_e32 v103, vcc, v100, v103
	v_addc_co_u32_e32 v104, vcc, v101, v104, vcc
	global_load_dword v0, v[103:104], off
	global_load_dword v108, v[100:101], off offset:64
	s_waitcnt vmcnt(1)
	global_store_dword v[100:101], v0, off offset:64
	s_waitcnt vmcnt(1)
	global_store_dword v[103:104], v108, off
.LBB44_350:
	s_or_b64 exec, exec, s[20:21]
	v_mov_b32_e32 v104, v102
	v_mov_b32_e32 v0, v102
.LBB44_351:
	s_or_b64 exec, exec, s[8:9]
.LBB44_352:
	s_andn2_saveexec_b64 s[0:1], s[0:1]
	s_cbranch_execz .LBB44_354
; %bb.353:
	v_mov_b32_e32 v104, 16
	ds_write2_b64 v1, v[18:19], v[20:21] offset0:34 offset1:35
	ds_write2_b64 v1, v[14:15], v[16:17] offset0:36 offset1:37
	ds_write2_b64 v1, v[10:11], v[12:13] offset0:38 offset1:39
	ds_write2_b64 v1, v[6:7], v[8:9] offset0:40 offset1:41
	ds_write2_b64 v1, v[2:3], v[4:5] offset0:42 offset1:43
	ds_write2_b64 v1, v[90:91], v[92:93] offset0:44 offset1:45
.LBB44_354:
	s_or_b64 exec, exec, s[0:1]
	v_cmp_lt_i32_e32 vcc, 16, v104
	s_waitcnt vmcnt(0) lgkmcnt(0)
	s_barrier
	s_and_saveexec_b64 s[0:1], vcc
	s_cbranch_execz .LBB44_356
; %bb.355:
	v_mul_f64 v[102:103], v[94:95], v[24:25]
	v_mul_f64 v[24:25], v[96:97], v[24:25]
	v_fma_f64 v[102:103], v[96:97], v[22:23], v[102:103]
	v_fma_f64 v[22:23], v[94:95], v[22:23], -v[24:25]
	ds_read2_b64 v[94:97], v1 offset0:34 offset1:35
	s_waitcnt lgkmcnt(0)
	v_mul_f64 v[24:25], v[96:97], v[102:103]
	v_fma_f64 v[24:25], v[94:95], v[22:23], -v[24:25]
	v_mul_f64 v[94:95], v[94:95], v[102:103]
	v_add_f64 v[18:19], v[18:19], -v[24:25]
	v_fma_f64 v[94:95], v[96:97], v[22:23], v[94:95]
	v_add_f64 v[20:21], v[20:21], -v[94:95]
	ds_read2_b64 v[94:97], v1 offset0:36 offset1:37
	s_waitcnt lgkmcnt(0)
	v_mul_f64 v[24:25], v[96:97], v[102:103]
	v_fma_f64 v[24:25], v[94:95], v[22:23], -v[24:25]
	v_mul_f64 v[94:95], v[94:95], v[102:103]
	v_add_f64 v[14:15], v[14:15], -v[24:25]
	v_fma_f64 v[94:95], v[96:97], v[22:23], v[94:95]
	v_add_f64 v[16:17], v[16:17], -v[94:95]
	;; [unrolled: 8-line block ×5, first 2 shown]
	ds_read2_b64 v[94:97], v1 offset0:44 offset1:45
	s_waitcnt lgkmcnt(0)
	v_mul_f64 v[24:25], v[96:97], v[102:103]
	v_fma_f64 v[24:25], v[94:95], v[22:23], -v[24:25]
	v_mul_f64 v[94:95], v[94:95], v[102:103]
	v_add_f64 v[90:91], v[90:91], -v[24:25]
	v_fma_f64 v[94:95], v[96:97], v[22:23], v[94:95]
	v_mov_b32_e32 v24, v102
	v_mov_b32_e32 v25, v103
	v_add_f64 v[92:93], v[92:93], -v[94:95]
.LBB44_356:
	s_or_b64 exec, exec, s[0:1]
	v_lshl_add_u32 v94, v104, 4, v1
	s_barrier
	ds_write2_b64 v94, v[18:19], v[20:21] offset1:1
	s_waitcnt lgkmcnt(0)
	s_barrier
	ds_read2_b64 v[94:97], v1 offset0:34 offset1:35
	s_cmp_lt_i32 s22, 19
	v_mov_b32_e32 v102, 17
	s_cbranch_scc1 .LBB44_359
; %bb.357:
	v_add_u32_e32 v103, 0x120, v1
	s_mov_b32 s7, 18
	v_mov_b32_e32 v102, 17
.LBB44_358:                             ; =>This Inner Loop Header: Depth=1
	s_waitcnt lgkmcnt(0)
	v_cmp_gt_f64_e32 vcc, 0, v[96:97]
	v_cmp_gt_f64_e64 s[0:1], 0, v[94:95]
	ds_read2_b64 v[108:111], v103 offset1:1
	v_xor_b32_e32 v113, 0x80000000, v95
	v_xor_b32_e32 v115, 0x80000000, v97
	v_mov_b32_e32 v112, v94
	v_mov_b32_e32 v114, v96
	s_waitcnt lgkmcnt(0)
	v_xor_b32_e32 v117, 0x80000000, v111
	v_cndmask_b32_e32 v115, v97, v115, vcc
	v_cndmask_b32_e64 v113, v95, v113, s[0:1]
	v_cmp_gt_f64_e32 vcc, 0, v[110:111]
	v_cmp_gt_f64_e64 s[0:1], 0, v[108:109]
	v_add_f64 v[112:113], v[112:113], v[114:115]
	v_xor_b32_e32 v115, 0x80000000, v109
	v_mov_b32_e32 v114, v108
	v_mov_b32_e32 v116, v110
	v_add_u32_e32 v103, 16, v103
	v_cndmask_b32_e32 v117, v111, v117, vcc
	v_cndmask_b32_e64 v115, v109, v115, s[0:1]
	v_add_f64 v[114:115], v[114:115], v[116:117]
	v_mov_b32_e32 v116, s7
	s_add_i32 s7, s7, 1
	s_cmp_lg_u32 s22, s7
	v_cmp_lt_f64_e32 vcc, v[112:113], v[114:115]
	v_cndmask_b32_e32 v95, v95, v109, vcc
	v_cndmask_b32_e32 v94, v94, v108, vcc
	;; [unrolled: 1-line block ×5, first 2 shown]
	s_cbranch_scc1 .LBB44_358
.LBB44_359:
	s_waitcnt lgkmcnt(0)
	v_cmp_eq_f64_e32 vcc, 0, v[94:95]
	v_cmp_eq_f64_e64 s[0:1], 0, v[96:97]
	s_and_b64 s[0:1], vcc, s[0:1]
	s_and_saveexec_b64 s[8:9], s[0:1]
	s_xor_b64 s[0:1], exec, s[8:9]
; %bb.360:
	v_cmp_ne_u32_e32 vcc, 0, v107
	v_cndmask_b32_e32 v107, 18, v107, vcc
; %bb.361:
	s_andn2_saveexec_b64 s[0:1], s[0:1]
	s_cbranch_execz .LBB44_367
; %bb.362:
	v_cmp_ngt_f64_e64 s[8:9], |v[94:95]|, |v[96:97]|
	s_and_saveexec_b64 s[20:21], s[8:9]
	s_xor_b64 s[8:9], exec, s[20:21]
	s_cbranch_execz .LBB44_364
; %bb.363:
	v_div_scale_f64 v[108:109], s[20:21], v[96:97], v[96:97], v[94:95]
	v_rcp_f64_e32 v[110:111], v[108:109]
	v_fma_f64 v[112:113], -v[108:109], v[110:111], 1.0
	v_fma_f64 v[110:111], v[110:111], v[112:113], v[110:111]
	v_div_scale_f64 v[112:113], vcc, v[94:95], v[96:97], v[94:95]
	v_fma_f64 v[114:115], -v[108:109], v[110:111], 1.0
	v_fma_f64 v[110:111], v[110:111], v[114:115], v[110:111]
	v_mul_f64 v[114:115], v[112:113], v[110:111]
	v_fma_f64 v[108:109], -v[108:109], v[114:115], v[112:113]
	v_div_fmas_f64 v[108:109], v[108:109], v[110:111], v[114:115]
	v_div_fixup_f64 v[108:109], v[108:109], v[96:97], v[94:95]
	v_fma_f64 v[94:95], v[94:95], v[108:109], v[96:97]
	v_div_scale_f64 v[96:97], s[20:21], v[94:95], v[94:95], 1.0
	v_div_scale_f64 v[114:115], vcc, 1.0, v[94:95], 1.0
	v_rcp_f64_e32 v[110:111], v[96:97]
	v_fma_f64 v[112:113], -v[96:97], v[110:111], 1.0
	v_fma_f64 v[110:111], v[110:111], v[112:113], v[110:111]
	v_fma_f64 v[112:113], -v[96:97], v[110:111], 1.0
	v_fma_f64 v[110:111], v[110:111], v[112:113], v[110:111]
	v_mul_f64 v[112:113], v[114:115], v[110:111]
	v_fma_f64 v[96:97], -v[96:97], v[112:113], v[114:115]
	v_div_fmas_f64 v[96:97], v[96:97], v[110:111], v[112:113]
	v_div_fixup_f64 v[96:97], v[96:97], v[94:95], 1.0
	v_mul_f64 v[94:95], v[108:109], v[96:97]
	v_xor_b32_e32 v97, 0x80000000, v97
.LBB44_364:
	s_andn2_saveexec_b64 s[8:9], s[8:9]
	s_cbranch_execz .LBB44_366
; %bb.365:
	v_div_scale_f64 v[108:109], s[20:21], v[94:95], v[94:95], v[96:97]
	v_rcp_f64_e32 v[110:111], v[108:109]
	v_fma_f64 v[112:113], -v[108:109], v[110:111], 1.0
	v_fma_f64 v[110:111], v[110:111], v[112:113], v[110:111]
	v_div_scale_f64 v[112:113], vcc, v[96:97], v[94:95], v[96:97]
	v_fma_f64 v[114:115], -v[108:109], v[110:111], 1.0
	v_fma_f64 v[110:111], v[110:111], v[114:115], v[110:111]
	v_mul_f64 v[114:115], v[112:113], v[110:111]
	v_fma_f64 v[108:109], -v[108:109], v[114:115], v[112:113]
	v_div_fmas_f64 v[108:109], v[108:109], v[110:111], v[114:115]
	v_div_fixup_f64 v[108:109], v[108:109], v[94:95], v[96:97]
	v_fma_f64 v[94:95], v[96:97], v[108:109], v[94:95]
	v_div_scale_f64 v[96:97], s[20:21], v[94:95], v[94:95], 1.0
	v_div_scale_f64 v[114:115], vcc, 1.0, v[94:95], 1.0
	v_rcp_f64_e32 v[110:111], v[96:97]
	v_fma_f64 v[112:113], -v[96:97], v[110:111], 1.0
	v_fma_f64 v[110:111], v[110:111], v[112:113], v[110:111]
	v_fma_f64 v[112:113], -v[96:97], v[110:111], 1.0
	v_fma_f64 v[110:111], v[110:111], v[112:113], v[110:111]
	v_mul_f64 v[112:113], v[114:115], v[110:111]
	v_fma_f64 v[96:97], -v[96:97], v[112:113], v[114:115]
	v_div_fmas_f64 v[96:97], v[96:97], v[110:111], v[112:113]
	v_div_fixup_f64 v[94:95], v[96:97], v[94:95], 1.0
	v_mul_f64 v[96:97], v[108:109], -v[94:95]
.LBB44_366:
	s_or_b64 exec, exec, s[8:9]
.LBB44_367:
	s_or_b64 exec, exec, s[0:1]
	v_cmp_ne_u32_e32 vcc, v104, v102
	s_and_saveexec_b64 s[0:1], vcc
	s_xor_b64 s[0:1], exec, s[0:1]
	s_cbranch_execz .LBB44_373
; %bb.368:
	v_cmp_eq_u32_e32 vcc, 17, v104
	s_and_saveexec_b64 s[8:9], vcc
	s_cbranch_execz .LBB44_372
; %bb.369:
	v_cmp_ne_u32_e32 vcc, 17, v102
	s_xor_b64 s[20:21], s[18:19], -1
	s_and_b64 s[24:25], s[20:21], vcc
	s_and_saveexec_b64 s[20:21], s[24:25]
	s_cbranch_execz .LBB44_371
; %bb.370:
	v_ashrrev_i32_e32 v103, 31, v102
	v_lshlrev_b64 v[103:104], 2, v[102:103]
	v_add_co_u32_e32 v103, vcc, v100, v103
	v_addc_co_u32_e32 v104, vcc, v101, v104, vcc
	global_load_dword v0, v[103:104], off
	global_load_dword v108, v[100:101], off offset:68
	s_waitcnt vmcnt(1)
	global_store_dword v[100:101], v0, off offset:68
	s_waitcnt vmcnt(1)
	global_store_dword v[103:104], v108, off
.LBB44_371:
	s_or_b64 exec, exec, s[20:21]
	v_mov_b32_e32 v104, v102
	v_mov_b32_e32 v0, v102
.LBB44_372:
	s_or_b64 exec, exec, s[8:9]
.LBB44_373:
	s_andn2_saveexec_b64 s[0:1], s[0:1]
	s_cbranch_execz .LBB44_375
; %bb.374:
	v_mov_b32_e32 v104, 17
	ds_write2_b64 v1, v[14:15], v[16:17] offset0:36 offset1:37
	ds_write2_b64 v1, v[10:11], v[12:13] offset0:38 offset1:39
	;; [unrolled: 1-line block ×5, first 2 shown]
.LBB44_375:
	s_or_b64 exec, exec, s[0:1]
	v_cmp_lt_i32_e32 vcc, 17, v104
	s_waitcnt vmcnt(0) lgkmcnt(0)
	s_barrier
	s_and_saveexec_b64 s[0:1], vcc
	s_cbranch_execz .LBB44_377
; %bb.376:
	v_mul_f64 v[102:103], v[94:95], v[20:21]
	v_mul_f64 v[20:21], v[96:97], v[20:21]
	v_fma_f64 v[102:103], v[96:97], v[18:19], v[102:103]
	v_fma_f64 v[18:19], v[94:95], v[18:19], -v[20:21]
	ds_read2_b64 v[94:97], v1 offset0:36 offset1:37
	s_waitcnt lgkmcnt(0)
	v_mul_f64 v[20:21], v[96:97], v[102:103]
	v_fma_f64 v[20:21], v[94:95], v[18:19], -v[20:21]
	v_mul_f64 v[94:95], v[94:95], v[102:103]
	v_add_f64 v[14:15], v[14:15], -v[20:21]
	v_fma_f64 v[94:95], v[96:97], v[18:19], v[94:95]
	v_add_f64 v[16:17], v[16:17], -v[94:95]
	ds_read2_b64 v[94:97], v1 offset0:38 offset1:39
	s_waitcnt lgkmcnt(0)
	v_mul_f64 v[20:21], v[96:97], v[102:103]
	v_fma_f64 v[20:21], v[94:95], v[18:19], -v[20:21]
	v_mul_f64 v[94:95], v[94:95], v[102:103]
	v_add_f64 v[10:11], v[10:11], -v[20:21]
	v_fma_f64 v[94:95], v[96:97], v[18:19], v[94:95]
	v_add_f64 v[12:13], v[12:13], -v[94:95]
	;; [unrolled: 8-line block ×4, first 2 shown]
	ds_read2_b64 v[94:97], v1 offset0:44 offset1:45
	s_waitcnt lgkmcnt(0)
	v_mul_f64 v[20:21], v[96:97], v[102:103]
	v_fma_f64 v[20:21], v[94:95], v[18:19], -v[20:21]
	v_mul_f64 v[94:95], v[94:95], v[102:103]
	v_add_f64 v[90:91], v[90:91], -v[20:21]
	v_fma_f64 v[94:95], v[96:97], v[18:19], v[94:95]
	v_mov_b32_e32 v20, v102
	v_mov_b32_e32 v21, v103
	v_add_f64 v[92:93], v[92:93], -v[94:95]
.LBB44_377:
	s_or_b64 exec, exec, s[0:1]
	v_lshl_add_u32 v94, v104, 4, v1
	s_barrier
	ds_write2_b64 v94, v[14:15], v[16:17] offset1:1
	s_waitcnt lgkmcnt(0)
	s_barrier
	ds_read2_b64 v[94:97], v1 offset0:36 offset1:37
	s_cmp_lt_i32 s22, 20
	v_mov_b32_e32 v102, 18
	s_cbranch_scc1 .LBB44_380
; %bb.378:
	v_add_u32_e32 v103, 0x130, v1
	s_mov_b32 s7, 19
	v_mov_b32_e32 v102, 18
.LBB44_379:                             ; =>This Inner Loop Header: Depth=1
	s_waitcnt lgkmcnt(0)
	v_cmp_gt_f64_e32 vcc, 0, v[96:97]
	v_cmp_gt_f64_e64 s[0:1], 0, v[94:95]
	ds_read2_b64 v[108:111], v103 offset1:1
	v_xor_b32_e32 v113, 0x80000000, v95
	v_xor_b32_e32 v115, 0x80000000, v97
	v_mov_b32_e32 v112, v94
	v_mov_b32_e32 v114, v96
	s_waitcnt lgkmcnt(0)
	v_xor_b32_e32 v117, 0x80000000, v111
	v_cndmask_b32_e32 v115, v97, v115, vcc
	v_cndmask_b32_e64 v113, v95, v113, s[0:1]
	v_cmp_gt_f64_e32 vcc, 0, v[110:111]
	v_cmp_gt_f64_e64 s[0:1], 0, v[108:109]
	v_add_f64 v[112:113], v[112:113], v[114:115]
	v_xor_b32_e32 v115, 0x80000000, v109
	v_mov_b32_e32 v114, v108
	v_mov_b32_e32 v116, v110
	v_add_u32_e32 v103, 16, v103
	v_cndmask_b32_e32 v117, v111, v117, vcc
	v_cndmask_b32_e64 v115, v109, v115, s[0:1]
	v_add_f64 v[114:115], v[114:115], v[116:117]
	v_mov_b32_e32 v116, s7
	s_add_i32 s7, s7, 1
	s_cmp_lg_u32 s22, s7
	v_cmp_lt_f64_e32 vcc, v[112:113], v[114:115]
	v_cndmask_b32_e32 v95, v95, v109, vcc
	v_cndmask_b32_e32 v94, v94, v108, vcc
	;; [unrolled: 1-line block ×5, first 2 shown]
	s_cbranch_scc1 .LBB44_379
.LBB44_380:
	s_waitcnt lgkmcnt(0)
	v_cmp_eq_f64_e32 vcc, 0, v[94:95]
	v_cmp_eq_f64_e64 s[0:1], 0, v[96:97]
	s_and_b64 s[0:1], vcc, s[0:1]
	s_and_saveexec_b64 s[8:9], s[0:1]
	s_xor_b64 s[0:1], exec, s[8:9]
; %bb.381:
	v_cmp_ne_u32_e32 vcc, 0, v107
	v_cndmask_b32_e32 v107, 19, v107, vcc
; %bb.382:
	s_andn2_saveexec_b64 s[0:1], s[0:1]
	s_cbranch_execz .LBB44_388
; %bb.383:
	v_cmp_ngt_f64_e64 s[8:9], |v[94:95]|, |v[96:97]|
	s_and_saveexec_b64 s[20:21], s[8:9]
	s_xor_b64 s[8:9], exec, s[20:21]
	s_cbranch_execz .LBB44_385
; %bb.384:
	v_div_scale_f64 v[108:109], s[20:21], v[96:97], v[96:97], v[94:95]
	v_rcp_f64_e32 v[110:111], v[108:109]
	v_fma_f64 v[112:113], -v[108:109], v[110:111], 1.0
	v_fma_f64 v[110:111], v[110:111], v[112:113], v[110:111]
	v_div_scale_f64 v[112:113], vcc, v[94:95], v[96:97], v[94:95]
	v_fma_f64 v[114:115], -v[108:109], v[110:111], 1.0
	v_fma_f64 v[110:111], v[110:111], v[114:115], v[110:111]
	v_mul_f64 v[114:115], v[112:113], v[110:111]
	v_fma_f64 v[108:109], -v[108:109], v[114:115], v[112:113]
	v_div_fmas_f64 v[108:109], v[108:109], v[110:111], v[114:115]
	v_div_fixup_f64 v[108:109], v[108:109], v[96:97], v[94:95]
	v_fma_f64 v[94:95], v[94:95], v[108:109], v[96:97]
	v_div_scale_f64 v[96:97], s[20:21], v[94:95], v[94:95], 1.0
	v_div_scale_f64 v[114:115], vcc, 1.0, v[94:95], 1.0
	v_rcp_f64_e32 v[110:111], v[96:97]
	v_fma_f64 v[112:113], -v[96:97], v[110:111], 1.0
	v_fma_f64 v[110:111], v[110:111], v[112:113], v[110:111]
	v_fma_f64 v[112:113], -v[96:97], v[110:111], 1.0
	v_fma_f64 v[110:111], v[110:111], v[112:113], v[110:111]
	v_mul_f64 v[112:113], v[114:115], v[110:111]
	v_fma_f64 v[96:97], -v[96:97], v[112:113], v[114:115]
	v_div_fmas_f64 v[96:97], v[96:97], v[110:111], v[112:113]
	v_div_fixup_f64 v[96:97], v[96:97], v[94:95], 1.0
	v_mul_f64 v[94:95], v[108:109], v[96:97]
	v_xor_b32_e32 v97, 0x80000000, v97
.LBB44_385:
	s_andn2_saveexec_b64 s[8:9], s[8:9]
	s_cbranch_execz .LBB44_387
; %bb.386:
	v_div_scale_f64 v[108:109], s[20:21], v[94:95], v[94:95], v[96:97]
	v_rcp_f64_e32 v[110:111], v[108:109]
	v_fma_f64 v[112:113], -v[108:109], v[110:111], 1.0
	v_fma_f64 v[110:111], v[110:111], v[112:113], v[110:111]
	v_div_scale_f64 v[112:113], vcc, v[96:97], v[94:95], v[96:97]
	v_fma_f64 v[114:115], -v[108:109], v[110:111], 1.0
	v_fma_f64 v[110:111], v[110:111], v[114:115], v[110:111]
	v_mul_f64 v[114:115], v[112:113], v[110:111]
	v_fma_f64 v[108:109], -v[108:109], v[114:115], v[112:113]
	v_div_fmas_f64 v[108:109], v[108:109], v[110:111], v[114:115]
	v_div_fixup_f64 v[108:109], v[108:109], v[94:95], v[96:97]
	v_fma_f64 v[94:95], v[96:97], v[108:109], v[94:95]
	v_div_scale_f64 v[96:97], s[20:21], v[94:95], v[94:95], 1.0
	v_div_scale_f64 v[114:115], vcc, 1.0, v[94:95], 1.0
	v_rcp_f64_e32 v[110:111], v[96:97]
	v_fma_f64 v[112:113], -v[96:97], v[110:111], 1.0
	v_fma_f64 v[110:111], v[110:111], v[112:113], v[110:111]
	v_fma_f64 v[112:113], -v[96:97], v[110:111], 1.0
	v_fma_f64 v[110:111], v[110:111], v[112:113], v[110:111]
	v_mul_f64 v[112:113], v[114:115], v[110:111]
	v_fma_f64 v[96:97], -v[96:97], v[112:113], v[114:115]
	v_div_fmas_f64 v[96:97], v[96:97], v[110:111], v[112:113]
	v_div_fixup_f64 v[94:95], v[96:97], v[94:95], 1.0
	v_mul_f64 v[96:97], v[108:109], -v[94:95]
.LBB44_387:
	s_or_b64 exec, exec, s[8:9]
.LBB44_388:
	s_or_b64 exec, exec, s[0:1]
	v_cmp_ne_u32_e32 vcc, v104, v102
	s_and_saveexec_b64 s[0:1], vcc
	s_xor_b64 s[0:1], exec, s[0:1]
	s_cbranch_execz .LBB44_394
; %bb.389:
	v_cmp_eq_u32_e32 vcc, 18, v104
	s_and_saveexec_b64 s[8:9], vcc
	s_cbranch_execz .LBB44_393
; %bb.390:
	v_cmp_ne_u32_e32 vcc, 18, v102
	s_xor_b64 s[20:21], s[18:19], -1
	s_and_b64 s[24:25], s[20:21], vcc
	s_and_saveexec_b64 s[20:21], s[24:25]
	s_cbranch_execz .LBB44_392
; %bb.391:
	v_ashrrev_i32_e32 v103, 31, v102
	v_lshlrev_b64 v[103:104], 2, v[102:103]
	v_add_co_u32_e32 v103, vcc, v100, v103
	v_addc_co_u32_e32 v104, vcc, v101, v104, vcc
	global_load_dword v0, v[103:104], off
	global_load_dword v108, v[100:101], off offset:72
	s_waitcnt vmcnt(1)
	global_store_dword v[100:101], v0, off offset:72
	s_waitcnt vmcnt(1)
	global_store_dword v[103:104], v108, off
.LBB44_392:
	s_or_b64 exec, exec, s[20:21]
	v_mov_b32_e32 v104, v102
	v_mov_b32_e32 v0, v102
.LBB44_393:
	s_or_b64 exec, exec, s[8:9]
.LBB44_394:
	s_andn2_saveexec_b64 s[0:1], s[0:1]
	s_cbranch_execz .LBB44_396
; %bb.395:
	v_mov_b32_e32 v104, 18
	ds_write2_b64 v1, v[10:11], v[12:13] offset0:38 offset1:39
	ds_write2_b64 v1, v[6:7], v[8:9] offset0:40 offset1:41
	;; [unrolled: 1-line block ×4, first 2 shown]
.LBB44_396:
	s_or_b64 exec, exec, s[0:1]
	v_cmp_lt_i32_e32 vcc, 18, v104
	s_waitcnt vmcnt(0) lgkmcnt(0)
	s_barrier
	s_and_saveexec_b64 s[0:1], vcc
	s_cbranch_execz .LBB44_398
; %bb.397:
	v_mul_f64 v[102:103], v[94:95], v[16:17]
	v_mul_f64 v[16:17], v[96:97], v[16:17]
	v_fma_f64 v[102:103], v[96:97], v[14:15], v[102:103]
	v_fma_f64 v[14:15], v[94:95], v[14:15], -v[16:17]
	ds_read2_b64 v[94:97], v1 offset0:38 offset1:39
	s_waitcnt lgkmcnt(0)
	v_mul_f64 v[16:17], v[96:97], v[102:103]
	v_fma_f64 v[16:17], v[94:95], v[14:15], -v[16:17]
	v_mul_f64 v[94:95], v[94:95], v[102:103]
	v_add_f64 v[10:11], v[10:11], -v[16:17]
	v_fma_f64 v[94:95], v[96:97], v[14:15], v[94:95]
	v_add_f64 v[12:13], v[12:13], -v[94:95]
	ds_read2_b64 v[94:97], v1 offset0:40 offset1:41
	s_waitcnt lgkmcnt(0)
	v_mul_f64 v[16:17], v[96:97], v[102:103]
	v_fma_f64 v[16:17], v[94:95], v[14:15], -v[16:17]
	v_mul_f64 v[94:95], v[94:95], v[102:103]
	v_add_f64 v[6:7], v[6:7], -v[16:17]
	v_fma_f64 v[94:95], v[96:97], v[14:15], v[94:95]
	v_add_f64 v[8:9], v[8:9], -v[94:95]
	;; [unrolled: 8-line block ×3, first 2 shown]
	ds_read2_b64 v[94:97], v1 offset0:44 offset1:45
	s_waitcnt lgkmcnt(0)
	v_mul_f64 v[16:17], v[96:97], v[102:103]
	v_fma_f64 v[16:17], v[94:95], v[14:15], -v[16:17]
	v_mul_f64 v[94:95], v[94:95], v[102:103]
	v_add_f64 v[90:91], v[90:91], -v[16:17]
	v_fma_f64 v[94:95], v[96:97], v[14:15], v[94:95]
	v_mov_b32_e32 v16, v102
	v_mov_b32_e32 v17, v103
	v_add_f64 v[92:93], v[92:93], -v[94:95]
.LBB44_398:
	s_or_b64 exec, exec, s[0:1]
	v_lshl_add_u32 v94, v104, 4, v1
	s_barrier
	ds_write2_b64 v94, v[10:11], v[12:13] offset1:1
	s_waitcnt lgkmcnt(0)
	s_barrier
	ds_read2_b64 v[94:97], v1 offset0:38 offset1:39
	s_cmp_lt_i32 s22, 21
	v_mov_b32_e32 v102, 19
	s_cbranch_scc1 .LBB44_401
; %bb.399:
	v_add_u32_e32 v103, 0x140, v1
	s_mov_b32 s7, 20
	v_mov_b32_e32 v102, 19
.LBB44_400:                             ; =>This Inner Loop Header: Depth=1
	s_waitcnt lgkmcnt(0)
	v_cmp_gt_f64_e32 vcc, 0, v[96:97]
	v_cmp_gt_f64_e64 s[0:1], 0, v[94:95]
	ds_read2_b64 v[108:111], v103 offset1:1
	v_xor_b32_e32 v113, 0x80000000, v95
	v_xor_b32_e32 v115, 0x80000000, v97
	v_mov_b32_e32 v112, v94
	v_mov_b32_e32 v114, v96
	s_waitcnt lgkmcnt(0)
	v_xor_b32_e32 v117, 0x80000000, v111
	v_cndmask_b32_e32 v115, v97, v115, vcc
	v_cndmask_b32_e64 v113, v95, v113, s[0:1]
	v_cmp_gt_f64_e32 vcc, 0, v[110:111]
	v_cmp_gt_f64_e64 s[0:1], 0, v[108:109]
	v_add_f64 v[112:113], v[112:113], v[114:115]
	v_xor_b32_e32 v115, 0x80000000, v109
	v_mov_b32_e32 v114, v108
	v_mov_b32_e32 v116, v110
	v_add_u32_e32 v103, 16, v103
	v_cndmask_b32_e32 v117, v111, v117, vcc
	v_cndmask_b32_e64 v115, v109, v115, s[0:1]
	v_add_f64 v[114:115], v[114:115], v[116:117]
	v_mov_b32_e32 v116, s7
	s_add_i32 s7, s7, 1
	s_cmp_lg_u32 s22, s7
	v_cmp_lt_f64_e32 vcc, v[112:113], v[114:115]
	v_cndmask_b32_e32 v95, v95, v109, vcc
	v_cndmask_b32_e32 v94, v94, v108, vcc
	;; [unrolled: 1-line block ×5, first 2 shown]
	s_cbranch_scc1 .LBB44_400
.LBB44_401:
	s_waitcnt lgkmcnt(0)
	v_cmp_eq_f64_e32 vcc, 0, v[94:95]
	v_cmp_eq_f64_e64 s[0:1], 0, v[96:97]
	s_and_b64 s[0:1], vcc, s[0:1]
	s_and_saveexec_b64 s[8:9], s[0:1]
	s_xor_b64 s[0:1], exec, s[8:9]
; %bb.402:
	v_cmp_ne_u32_e32 vcc, 0, v107
	v_cndmask_b32_e32 v107, 20, v107, vcc
; %bb.403:
	s_andn2_saveexec_b64 s[0:1], s[0:1]
	s_cbranch_execz .LBB44_409
; %bb.404:
	v_cmp_ngt_f64_e64 s[8:9], |v[94:95]|, |v[96:97]|
	s_and_saveexec_b64 s[20:21], s[8:9]
	s_xor_b64 s[8:9], exec, s[20:21]
	s_cbranch_execz .LBB44_406
; %bb.405:
	v_div_scale_f64 v[108:109], s[20:21], v[96:97], v[96:97], v[94:95]
	v_rcp_f64_e32 v[110:111], v[108:109]
	v_fma_f64 v[112:113], -v[108:109], v[110:111], 1.0
	v_fma_f64 v[110:111], v[110:111], v[112:113], v[110:111]
	v_div_scale_f64 v[112:113], vcc, v[94:95], v[96:97], v[94:95]
	v_fma_f64 v[114:115], -v[108:109], v[110:111], 1.0
	v_fma_f64 v[110:111], v[110:111], v[114:115], v[110:111]
	v_mul_f64 v[114:115], v[112:113], v[110:111]
	v_fma_f64 v[108:109], -v[108:109], v[114:115], v[112:113]
	v_div_fmas_f64 v[108:109], v[108:109], v[110:111], v[114:115]
	v_div_fixup_f64 v[108:109], v[108:109], v[96:97], v[94:95]
	v_fma_f64 v[94:95], v[94:95], v[108:109], v[96:97]
	v_div_scale_f64 v[96:97], s[20:21], v[94:95], v[94:95], 1.0
	v_div_scale_f64 v[114:115], vcc, 1.0, v[94:95], 1.0
	v_rcp_f64_e32 v[110:111], v[96:97]
	v_fma_f64 v[112:113], -v[96:97], v[110:111], 1.0
	v_fma_f64 v[110:111], v[110:111], v[112:113], v[110:111]
	v_fma_f64 v[112:113], -v[96:97], v[110:111], 1.0
	v_fma_f64 v[110:111], v[110:111], v[112:113], v[110:111]
	v_mul_f64 v[112:113], v[114:115], v[110:111]
	v_fma_f64 v[96:97], -v[96:97], v[112:113], v[114:115]
	v_div_fmas_f64 v[96:97], v[96:97], v[110:111], v[112:113]
	v_div_fixup_f64 v[96:97], v[96:97], v[94:95], 1.0
	v_mul_f64 v[94:95], v[108:109], v[96:97]
	v_xor_b32_e32 v97, 0x80000000, v97
.LBB44_406:
	s_andn2_saveexec_b64 s[8:9], s[8:9]
	s_cbranch_execz .LBB44_408
; %bb.407:
	v_div_scale_f64 v[108:109], s[20:21], v[94:95], v[94:95], v[96:97]
	v_rcp_f64_e32 v[110:111], v[108:109]
	v_fma_f64 v[112:113], -v[108:109], v[110:111], 1.0
	v_fma_f64 v[110:111], v[110:111], v[112:113], v[110:111]
	v_div_scale_f64 v[112:113], vcc, v[96:97], v[94:95], v[96:97]
	v_fma_f64 v[114:115], -v[108:109], v[110:111], 1.0
	v_fma_f64 v[110:111], v[110:111], v[114:115], v[110:111]
	v_mul_f64 v[114:115], v[112:113], v[110:111]
	v_fma_f64 v[108:109], -v[108:109], v[114:115], v[112:113]
	v_div_fmas_f64 v[108:109], v[108:109], v[110:111], v[114:115]
	v_div_fixup_f64 v[108:109], v[108:109], v[94:95], v[96:97]
	v_fma_f64 v[94:95], v[96:97], v[108:109], v[94:95]
	v_div_scale_f64 v[96:97], s[20:21], v[94:95], v[94:95], 1.0
	v_div_scale_f64 v[114:115], vcc, 1.0, v[94:95], 1.0
	v_rcp_f64_e32 v[110:111], v[96:97]
	v_fma_f64 v[112:113], -v[96:97], v[110:111], 1.0
	v_fma_f64 v[110:111], v[110:111], v[112:113], v[110:111]
	v_fma_f64 v[112:113], -v[96:97], v[110:111], 1.0
	v_fma_f64 v[110:111], v[110:111], v[112:113], v[110:111]
	v_mul_f64 v[112:113], v[114:115], v[110:111]
	v_fma_f64 v[96:97], -v[96:97], v[112:113], v[114:115]
	v_div_fmas_f64 v[96:97], v[96:97], v[110:111], v[112:113]
	v_div_fixup_f64 v[94:95], v[96:97], v[94:95], 1.0
	v_mul_f64 v[96:97], v[108:109], -v[94:95]
.LBB44_408:
	s_or_b64 exec, exec, s[8:9]
.LBB44_409:
	s_or_b64 exec, exec, s[0:1]
	v_cmp_ne_u32_e32 vcc, v104, v102
	s_and_saveexec_b64 s[0:1], vcc
	s_xor_b64 s[0:1], exec, s[0:1]
	s_cbranch_execz .LBB44_415
; %bb.410:
	v_cmp_eq_u32_e32 vcc, 19, v104
	s_and_saveexec_b64 s[8:9], vcc
	s_cbranch_execz .LBB44_414
; %bb.411:
	v_cmp_ne_u32_e32 vcc, 19, v102
	s_xor_b64 s[20:21], s[18:19], -1
	s_and_b64 s[24:25], s[20:21], vcc
	s_and_saveexec_b64 s[20:21], s[24:25]
	s_cbranch_execz .LBB44_413
; %bb.412:
	v_ashrrev_i32_e32 v103, 31, v102
	v_lshlrev_b64 v[103:104], 2, v[102:103]
	v_add_co_u32_e32 v103, vcc, v100, v103
	v_addc_co_u32_e32 v104, vcc, v101, v104, vcc
	global_load_dword v0, v[103:104], off
	global_load_dword v108, v[100:101], off offset:76
	s_waitcnt vmcnt(1)
	global_store_dword v[100:101], v0, off offset:76
	s_waitcnt vmcnt(1)
	global_store_dword v[103:104], v108, off
.LBB44_413:
	s_or_b64 exec, exec, s[20:21]
	v_mov_b32_e32 v104, v102
	v_mov_b32_e32 v0, v102
.LBB44_414:
	s_or_b64 exec, exec, s[8:9]
.LBB44_415:
	s_andn2_saveexec_b64 s[0:1], s[0:1]
	s_cbranch_execz .LBB44_417
; %bb.416:
	v_mov_b32_e32 v104, 19
	ds_write2_b64 v1, v[6:7], v[8:9] offset0:40 offset1:41
	ds_write2_b64 v1, v[2:3], v[4:5] offset0:42 offset1:43
	;; [unrolled: 1-line block ×3, first 2 shown]
.LBB44_417:
	s_or_b64 exec, exec, s[0:1]
	v_cmp_lt_i32_e32 vcc, 19, v104
	s_waitcnt vmcnt(0) lgkmcnt(0)
	s_barrier
	s_and_saveexec_b64 s[0:1], vcc
	s_cbranch_execz .LBB44_419
; %bb.418:
	v_mul_f64 v[102:103], v[94:95], v[12:13]
	v_mul_f64 v[12:13], v[96:97], v[12:13]
	ds_read2_b64 v[108:111], v1 offset0:40 offset1:41
	ds_read2_b64 v[112:115], v1 offset0:42 offset1:43
	;; [unrolled: 1-line block ×3, first 2 shown]
	v_fma_f64 v[96:97], v[96:97], v[10:11], v[102:103]
	v_fma_f64 v[10:11], v[94:95], v[10:11], -v[12:13]
	s_waitcnt lgkmcnt(2)
	v_mul_f64 v[12:13], v[110:111], v[96:97]
	v_mul_f64 v[94:95], v[108:109], v[96:97]
	s_waitcnt lgkmcnt(1)
	v_mul_f64 v[102:103], v[114:115], v[96:97]
	v_mul_f64 v[120:121], v[112:113], v[96:97]
	s_waitcnt lgkmcnt(0)
	v_mul_f64 v[122:123], v[118:119], v[96:97]
	v_mul_f64 v[124:125], v[116:117], v[96:97]
	v_fma_f64 v[12:13], v[108:109], v[10:11], -v[12:13]
	v_fma_f64 v[94:95], v[110:111], v[10:11], v[94:95]
	v_fma_f64 v[102:103], v[112:113], v[10:11], -v[102:103]
	v_fma_f64 v[108:109], v[114:115], v[10:11], v[120:121]
	;; [unrolled: 2-line block ×3, first 2 shown]
	v_add_f64 v[6:7], v[6:7], -v[12:13]
	v_add_f64 v[8:9], v[8:9], -v[94:95]
	;; [unrolled: 1-line block ×6, first 2 shown]
	v_mov_b32_e32 v12, v96
	v_mov_b32_e32 v13, v97
.LBB44_419:
	s_or_b64 exec, exec, s[0:1]
	v_lshl_add_u32 v94, v104, 4, v1
	s_barrier
	ds_write2_b64 v94, v[6:7], v[8:9] offset1:1
	s_waitcnt lgkmcnt(0)
	s_barrier
	ds_read2_b64 v[94:97], v1 offset0:40 offset1:41
	s_cmp_lt_i32 s22, 22
	v_mov_b32_e32 v102, 20
	s_cbranch_scc1 .LBB44_422
; %bb.420:
	v_add_u32_e32 v103, 0x150, v1
	s_mov_b32 s7, 21
	v_mov_b32_e32 v102, 20
.LBB44_421:                             ; =>This Inner Loop Header: Depth=1
	s_waitcnt lgkmcnt(0)
	v_cmp_gt_f64_e32 vcc, 0, v[96:97]
	v_cmp_gt_f64_e64 s[0:1], 0, v[94:95]
	ds_read2_b64 v[108:111], v103 offset1:1
	v_xor_b32_e32 v113, 0x80000000, v95
	v_xor_b32_e32 v115, 0x80000000, v97
	v_mov_b32_e32 v112, v94
	v_mov_b32_e32 v114, v96
	s_waitcnt lgkmcnt(0)
	v_xor_b32_e32 v117, 0x80000000, v111
	v_cndmask_b32_e32 v115, v97, v115, vcc
	v_cndmask_b32_e64 v113, v95, v113, s[0:1]
	v_cmp_gt_f64_e32 vcc, 0, v[110:111]
	v_cmp_gt_f64_e64 s[0:1], 0, v[108:109]
	v_add_f64 v[112:113], v[112:113], v[114:115]
	v_xor_b32_e32 v115, 0x80000000, v109
	v_mov_b32_e32 v114, v108
	v_mov_b32_e32 v116, v110
	v_add_u32_e32 v103, 16, v103
	v_cndmask_b32_e32 v117, v111, v117, vcc
	v_cndmask_b32_e64 v115, v109, v115, s[0:1]
	v_add_f64 v[114:115], v[114:115], v[116:117]
	v_mov_b32_e32 v116, s7
	s_add_i32 s7, s7, 1
	s_cmp_lg_u32 s22, s7
	v_cmp_lt_f64_e32 vcc, v[112:113], v[114:115]
	v_cndmask_b32_e32 v95, v95, v109, vcc
	v_cndmask_b32_e32 v94, v94, v108, vcc
	;; [unrolled: 1-line block ×5, first 2 shown]
	s_cbranch_scc1 .LBB44_421
.LBB44_422:
	s_waitcnt lgkmcnt(0)
	v_cmp_eq_f64_e32 vcc, 0, v[94:95]
	v_cmp_eq_f64_e64 s[0:1], 0, v[96:97]
	s_and_b64 s[0:1], vcc, s[0:1]
	s_and_saveexec_b64 s[8:9], s[0:1]
	s_xor_b64 s[0:1], exec, s[8:9]
; %bb.423:
	v_cmp_ne_u32_e32 vcc, 0, v107
	v_cndmask_b32_e32 v107, 21, v107, vcc
; %bb.424:
	s_andn2_saveexec_b64 s[0:1], s[0:1]
	s_cbranch_execz .LBB44_430
; %bb.425:
	v_cmp_ngt_f64_e64 s[8:9], |v[94:95]|, |v[96:97]|
	s_and_saveexec_b64 s[20:21], s[8:9]
	s_xor_b64 s[8:9], exec, s[20:21]
	s_cbranch_execz .LBB44_427
; %bb.426:
	v_div_scale_f64 v[108:109], s[20:21], v[96:97], v[96:97], v[94:95]
	v_rcp_f64_e32 v[110:111], v[108:109]
	v_fma_f64 v[112:113], -v[108:109], v[110:111], 1.0
	v_fma_f64 v[110:111], v[110:111], v[112:113], v[110:111]
	v_div_scale_f64 v[112:113], vcc, v[94:95], v[96:97], v[94:95]
	v_fma_f64 v[114:115], -v[108:109], v[110:111], 1.0
	v_fma_f64 v[110:111], v[110:111], v[114:115], v[110:111]
	v_mul_f64 v[114:115], v[112:113], v[110:111]
	v_fma_f64 v[108:109], -v[108:109], v[114:115], v[112:113]
	v_div_fmas_f64 v[108:109], v[108:109], v[110:111], v[114:115]
	v_div_fixup_f64 v[108:109], v[108:109], v[96:97], v[94:95]
	v_fma_f64 v[94:95], v[94:95], v[108:109], v[96:97]
	v_div_scale_f64 v[96:97], s[20:21], v[94:95], v[94:95], 1.0
	v_div_scale_f64 v[114:115], vcc, 1.0, v[94:95], 1.0
	v_rcp_f64_e32 v[110:111], v[96:97]
	v_fma_f64 v[112:113], -v[96:97], v[110:111], 1.0
	v_fma_f64 v[110:111], v[110:111], v[112:113], v[110:111]
	v_fma_f64 v[112:113], -v[96:97], v[110:111], 1.0
	v_fma_f64 v[110:111], v[110:111], v[112:113], v[110:111]
	v_mul_f64 v[112:113], v[114:115], v[110:111]
	v_fma_f64 v[96:97], -v[96:97], v[112:113], v[114:115]
	v_div_fmas_f64 v[96:97], v[96:97], v[110:111], v[112:113]
	v_div_fixup_f64 v[96:97], v[96:97], v[94:95], 1.0
	v_mul_f64 v[94:95], v[108:109], v[96:97]
	v_xor_b32_e32 v97, 0x80000000, v97
.LBB44_427:
	s_andn2_saveexec_b64 s[8:9], s[8:9]
	s_cbranch_execz .LBB44_429
; %bb.428:
	v_div_scale_f64 v[108:109], s[20:21], v[94:95], v[94:95], v[96:97]
	v_rcp_f64_e32 v[110:111], v[108:109]
	v_fma_f64 v[112:113], -v[108:109], v[110:111], 1.0
	v_fma_f64 v[110:111], v[110:111], v[112:113], v[110:111]
	v_div_scale_f64 v[112:113], vcc, v[96:97], v[94:95], v[96:97]
	v_fma_f64 v[114:115], -v[108:109], v[110:111], 1.0
	v_fma_f64 v[110:111], v[110:111], v[114:115], v[110:111]
	v_mul_f64 v[114:115], v[112:113], v[110:111]
	v_fma_f64 v[108:109], -v[108:109], v[114:115], v[112:113]
	v_div_fmas_f64 v[108:109], v[108:109], v[110:111], v[114:115]
	v_div_fixup_f64 v[108:109], v[108:109], v[94:95], v[96:97]
	v_fma_f64 v[94:95], v[96:97], v[108:109], v[94:95]
	v_div_scale_f64 v[96:97], s[20:21], v[94:95], v[94:95], 1.0
	v_div_scale_f64 v[114:115], vcc, 1.0, v[94:95], 1.0
	v_rcp_f64_e32 v[110:111], v[96:97]
	v_fma_f64 v[112:113], -v[96:97], v[110:111], 1.0
	v_fma_f64 v[110:111], v[110:111], v[112:113], v[110:111]
	v_fma_f64 v[112:113], -v[96:97], v[110:111], 1.0
	v_fma_f64 v[110:111], v[110:111], v[112:113], v[110:111]
	v_mul_f64 v[112:113], v[114:115], v[110:111]
	v_fma_f64 v[96:97], -v[96:97], v[112:113], v[114:115]
	v_div_fmas_f64 v[96:97], v[96:97], v[110:111], v[112:113]
	v_div_fixup_f64 v[94:95], v[96:97], v[94:95], 1.0
	v_mul_f64 v[96:97], v[108:109], -v[94:95]
.LBB44_429:
	s_or_b64 exec, exec, s[8:9]
.LBB44_430:
	s_or_b64 exec, exec, s[0:1]
	v_cmp_ne_u32_e32 vcc, v104, v102
	s_and_saveexec_b64 s[0:1], vcc
	s_xor_b64 s[0:1], exec, s[0:1]
	s_cbranch_execz .LBB44_436
; %bb.431:
	v_cmp_eq_u32_e32 vcc, 20, v104
	s_and_saveexec_b64 s[8:9], vcc
	s_cbranch_execz .LBB44_435
; %bb.432:
	v_cmp_ne_u32_e32 vcc, 20, v102
	s_xor_b64 s[20:21], s[18:19], -1
	s_and_b64 s[24:25], s[20:21], vcc
	s_and_saveexec_b64 s[20:21], s[24:25]
	s_cbranch_execz .LBB44_434
; %bb.433:
	v_ashrrev_i32_e32 v103, 31, v102
	v_lshlrev_b64 v[103:104], 2, v[102:103]
	v_add_co_u32_e32 v103, vcc, v100, v103
	v_addc_co_u32_e32 v104, vcc, v101, v104, vcc
	global_load_dword v0, v[103:104], off
	global_load_dword v108, v[100:101], off offset:80
	s_waitcnt vmcnt(1)
	global_store_dword v[100:101], v0, off offset:80
	s_waitcnt vmcnt(1)
	global_store_dword v[103:104], v108, off
.LBB44_434:
	s_or_b64 exec, exec, s[20:21]
	v_mov_b32_e32 v104, v102
	v_mov_b32_e32 v0, v102
.LBB44_435:
	s_or_b64 exec, exec, s[8:9]
.LBB44_436:
	s_andn2_saveexec_b64 s[0:1], s[0:1]
	s_cbranch_execz .LBB44_438
; %bb.437:
	v_mov_b32_e32 v104, 20
	ds_write2_b64 v1, v[2:3], v[4:5] offset0:42 offset1:43
	ds_write2_b64 v1, v[90:91], v[92:93] offset0:44 offset1:45
.LBB44_438:
	s_or_b64 exec, exec, s[0:1]
	v_cmp_lt_i32_e32 vcc, 20, v104
	s_waitcnt vmcnt(0) lgkmcnt(0)
	s_barrier
	s_and_saveexec_b64 s[0:1], vcc
	s_cbranch_execz .LBB44_440
; %bb.439:
	v_mul_f64 v[102:103], v[94:95], v[8:9]
	v_mul_f64 v[8:9], v[96:97], v[8:9]
	ds_read2_b64 v[108:111], v1 offset0:42 offset1:43
	ds_read2_b64 v[112:115], v1 offset0:44 offset1:45
	v_fma_f64 v[96:97], v[96:97], v[6:7], v[102:103]
	v_fma_f64 v[6:7], v[94:95], v[6:7], -v[8:9]
	s_waitcnt lgkmcnt(1)
	v_mul_f64 v[8:9], v[110:111], v[96:97]
	v_mul_f64 v[94:95], v[108:109], v[96:97]
	s_waitcnt lgkmcnt(0)
	v_mul_f64 v[102:103], v[114:115], v[96:97]
	v_mul_f64 v[116:117], v[112:113], v[96:97]
	v_fma_f64 v[8:9], v[108:109], v[6:7], -v[8:9]
	v_fma_f64 v[94:95], v[110:111], v[6:7], v[94:95]
	v_fma_f64 v[102:103], v[112:113], v[6:7], -v[102:103]
	v_fma_f64 v[108:109], v[114:115], v[6:7], v[116:117]
	v_add_f64 v[2:3], v[2:3], -v[8:9]
	v_add_f64 v[4:5], v[4:5], -v[94:95]
	;; [unrolled: 1-line block ×4, first 2 shown]
	v_mov_b32_e32 v8, v96
	v_mov_b32_e32 v9, v97
.LBB44_440:
	s_or_b64 exec, exec, s[0:1]
	v_lshl_add_u32 v94, v104, 4, v1
	s_barrier
	ds_write2_b64 v94, v[2:3], v[4:5] offset1:1
	s_waitcnt lgkmcnt(0)
	s_barrier
	ds_read2_b64 v[94:97], v1 offset0:42 offset1:43
	s_cmp_lt_i32 s22, 23
	v_mov_b32_e32 v102, 21
	s_cbranch_scc1 .LBB44_443
; %bb.441:
	v_add_u32_e32 v103, 0x160, v1
	s_mov_b32 s7, 22
	v_mov_b32_e32 v102, 21
.LBB44_442:                             ; =>This Inner Loop Header: Depth=1
	s_waitcnt lgkmcnt(0)
	v_cmp_gt_f64_e32 vcc, 0, v[96:97]
	v_cmp_gt_f64_e64 s[0:1], 0, v[94:95]
	ds_read2_b64 v[108:111], v103 offset1:1
	v_xor_b32_e32 v113, 0x80000000, v95
	v_xor_b32_e32 v115, 0x80000000, v97
	v_mov_b32_e32 v112, v94
	v_mov_b32_e32 v114, v96
	s_waitcnt lgkmcnt(0)
	v_xor_b32_e32 v117, 0x80000000, v111
	v_cndmask_b32_e32 v115, v97, v115, vcc
	v_cndmask_b32_e64 v113, v95, v113, s[0:1]
	v_cmp_gt_f64_e32 vcc, 0, v[110:111]
	v_cmp_gt_f64_e64 s[0:1], 0, v[108:109]
	v_add_f64 v[112:113], v[112:113], v[114:115]
	v_xor_b32_e32 v115, 0x80000000, v109
	v_mov_b32_e32 v114, v108
	v_mov_b32_e32 v116, v110
	v_add_u32_e32 v103, 16, v103
	v_cndmask_b32_e32 v117, v111, v117, vcc
	v_cndmask_b32_e64 v115, v109, v115, s[0:1]
	v_add_f64 v[114:115], v[114:115], v[116:117]
	v_mov_b32_e32 v116, s7
	s_add_i32 s7, s7, 1
	s_cmp_lg_u32 s22, s7
	v_cmp_lt_f64_e32 vcc, v[112:113], v[114:115]
	v_cndmask_b32_e32 v95, v95, v109, vcc
	v_cndmask_b32_e32 v94, v94, v108, vcc
	v_cndmask_b32_e32 v97, v97, v111, vcc
	v_cndmask_b32_e32 v96, v96, v110, vcc
	v_cndmask_b32_e32 v102, v102, v116, vcc
	s_cbranch_scc1 .LBB44_442
.LBB44_443:
	s_waitcnt lgkmcnt(0)
	v_cmp_eq_f64_e32 vcc, 0, v[94:95]
	v_cmp_eq_f64_e64 s[0:1], 0, v[96:97]
	s_and_b64 s[0:1], vcc, s[0:1]
	s_and_saveexec_b64 s[8:9], s[0:1]
	s_xor_b64 s[0:1], exec, s[8:9]
; %bb.444:
	v_cmp_ne_u32_e32 vcc, 0, v107
	v_cndmask_b32_e32 v107, 22, v107, vcc
; %bb.445:
	s_andn2_saveexec_b64 s[0:1], s[0:1]
	s_cbranch_execz .LBB44_451
; %bb.446:
	v_cmp_ngt_f64_e64 s[8:9], |v[94:95]|, |v[96:97]|
	s_and_saveexec_b64 s[20:21], s[8:9]
	s_xor_b64 s[8:9], exec, s[20:21]
	s_cbranch_execz .LBB44_448
; %bb.447:
	v_div_scale_f64 v[108:109], s[20:21], v[96:97], v[96:97], v[94:95]
	v_rcp_f64_e32 v[110:111], v[108:109]
	v_fma_f64 v[112:113], -v[108:109], v[110:111], 1.0
	v_fma_f64 v[110:111], v[110:111], v[112:113], v[110:111]
	v_div_scale_f64 v[112:113], vcc, v[94:95], v[96:97], v[94:95]
	v_fma_f64 v[114:115], -v[108:109], v[110:111], 1.0
	v_fma_f64 v[110:111], v[110:111], v[114:115], v[110:111]
	v_mul_f64 v[114:115], v[112:113], v[110:111]
	v_fma_f64 v[108:109], -v[108:109], v[114:115], v[112:113]
	v_div_fmas_f64 v[108:109], v[108:109], v[110:111], v[114:115]
	v_div_fixup_f64 v[108:109], v[108:109], v[96:97], v[94:95]
	v_fma_f64 v[94:95], v[94:95], v[108:109], v[96:97]
	v_div_scale_f64 v[96:97], s[20:21], v[94:95], v[94:95], 1.0
	v_div_scale_f64 v[114:115], vcc, 1.0, v[94:95], 1.0
	v_rcp_f64_e32 v[110:111], v[96:97]
	v_fma_f64 v[112:113], -v[96:97], v[110:111], 1.0
	v_fma_f64 v[110:111], v[110:111], v[112:113], v[110:111]
	v_fma_f64 v[112:113], -v[96:97], v[110:111], 1.0
	v_fma_f64 v[110:111], v[110:111], v[112:113], v[110:111]
	v_mul_f64 v[112:113], v[114:115], v[110:111]
	v_fma_f64 v[96:97], -v[96:97], v[112:113], v[114:115]
	v_div_fmas_f64 v[96:97], v[96:97], v[110:111], v[112:113]
	v_div_fixup_f64 v[96:97], v[96:97], v[94:95], 1.0
	v_mul_f64 v[94:95], v[108:109], v[96:97]
	v_xor_b32_e32 v97, 0x80000000, v97
.LBB44_448:
	s_andn2_saveexec_b64 s[8:9], s[8:9]
	s_cbranch_execz .LBB44_450
; %bb.449:
	v_div_scale_f64 v[108:109], s[20:21], v[94:95], v[94:95], v[96:97]
	v_rcp_f64_e32 v[110:111], v[108:109]
	v_fma_f64 v[112:113], -v[108:109], v[110:111], 1.0
	v_fma_f64 v[110:111], v[110:111], v[112:113], v[110:111]
	v_div_scale_f64 v[112:113], vcc, v[96:97], v[94:95], v[96:97]
	v_fma_f64 v[114:115], -v[108:109], v[110:111], 1.0
	v_fma_f64 v[110:111], v[110:111], v[114:115], v[110:111]
	v_mul_f64 v[114:115], v[112:113], v[110:111]
	v_fma_f64 v[108:109], -v[108:109], v[114:115], v[112:113]
	v_div_fmas_f64 v[108:109], v[108:109], v[110:111], v[114:115]
	v_div_fixup_f64 v[108:109], v[108:109], v[94:95], v[96:97]
	v_fma_f64 v[94:95], v[96:97], v[108:109], v[94:95]
	v_div_scale_f64 v[96:97], s[20:21], v[94:95], v[94:95], 1.0
	v_div_scale_f64 v[114:115], vcc, 1.0, v[94:95], 1.0
	v_rcp_f64_e32 v[110:111], v[96:97]
	v_fma_f64 v[112:113], -v[96:97], v[110:111], 1.0
	v_fma_f64 v[110:111], v[110:111], v[112:113], v[110:111]
	v_fma_f64 v[112:113], -v[96:97], v[110:111], 1.0
	v_fma_f64 v[110:111], v[110:111], v[112:113], v[110:111]
	v_mul_f64 v[112:113], v[114:115], v[110:111]
	v_fma_f64 v[96:97], -v[96:97], v[112:113], v[114:115]
	v_div_fmas_f64 v[96:97], v[96:97], v[110:111], v[112:113]
	v_div_fixup_f64 v[94:95], v[96:97], v[94:95], 1.0
	v_mul_f64 v[96:97], v[108:109], -v[94:95]
.LBB44_450:
	s_or_b64 exec, exec, s[8:9]
.LBB44_451:
	s_or_b64 exec, exec, s[0:1]
	v_cmp_ne_u32_e32 vcc, v104, v102
	s_and_saveexec_b64 s[0:1], vcc
	s_xor_b64 s[0:1], exec, s[0:1]
	s_cbranch_execz .LBB44_457
; %bb.452:
	v_cmp_eq_u32_e32 vcc, 21, v104
	s_and_saveexec_b64 s[8:9], vcc
	s_cbranch_execz .LBB44_456
; %bb.453:
	v_cmp_ne_u32_e32 vcc, 21, v102
	s_xor_b64 s[20:21], s[18:19], -1
	s_and_b64 s[24:25], s[20:21], vcc
	s_and_saveexec_b64 s[20:21], s[24:25]
	s_cbranch_execz .LBB44_455
; %bb.454:
	v_ashrrev_i32_e32 v103, 31, v102
	v_lshlrev_b64 v[103:104], 2, v[102:103]
	v_add_co_u32_e32 v103, vcc, v100, v103
	v_addc_co_u32_e32 v104, vcc, v101, v104, vcc
	global_load_dword v0, v[103:104], off
	global_load_dword v108, v[100:101], off offset:84
	s_waitcnt vmcnt(1)
	global_store_dword v[100:101], v0, off offset:84
	s_waitcnt vmcnt(1)
	global_store_dword v[103:104], v108, off
.LBB44_455:
	s_or_b64 exec, exec, s[20:21]
	v_mov_b32_e32 v104, v102
	v_mov_b32_e32 v0, v102
.LBB44_456:
	s_or_b64 exec, exec, s[8:9]
.LBB44_457:
	s_andn2_saveexec_b64 s[0:1], s[0:1]
; %bb.458:
	v_mov_b32_e32 v104, 21
	ds_write2_b64 v1, v[90:91], v[92:93] offset0:44 offset1:45
; %bb.459:
	s_or_b64 exec, exec, s[0:1]
	v_cmp_lt_i32_e32 vcc, 21, v104
	s_waitcnt vmcnt(0) lgkmcnt(0)
	s_barrier
	s_and_saveexec_b64 s[0:1], vcc
	s_cbranch_execz .LBB44_461
; %bb.460:
	v_mul_f64 v[102:103], v[94:95], v[4:5]
	v_mul_f64 v[4:5], v[96:97], v[4:5]
	ds_read2_b64 v[108:111], v1 offset0:44 offset1:45
	v_fma_f64 v[96:97], v[96:97], v[2:3], v[102:103]
	v_fma_f64 v[2:3], v[94:95], v[2:3], -v[4:5]
	s_waitcnt lgkmcnt(0)
	v_mul_f64 v[4:5], v[110:111], v[96:97]
	v_mul_f64 v[94:95], v[108:109], v[96:97]
	v_fma_f64 v[4:5], v[108:109], v[2:3], -v[4:5]
	v_fma_f64 v[94:95], v[110:111], v[2:3], v[94:95]
	v_add_f64 v[90:91], v[90:91], -v[4:5]
	v_add_f64 v[92:93], v[92:93], -v[94:95]
	v_mov_b32_e32 v4, v96
	v_mov_b32_e32 v5, v97
.LBB44_461:
	s_or_b64 exec, exec, s[0:1]
	v_lshl_add_u32 v94, v104, 4, v1
	s_barrier
	ds_write2_b64 v94, v[90:91], v[92:93] offset1:1
	s_waitcnt lgkmcnt(0)
	s_barrier
	ds_read2_b64 v[94:97], v1 offset0:44 offset1:45
	s_cmp_lt_i32 s22, 24
	v_mov_b32_e32 v102, 22
	s_cbranch_scc1 .LBB44_464
; %bb.462:
	v_add_u32_e32 v1, 0x170, v1
	s_mov_b32 s7, 23
	v_mov_b32_e32 v102, 22
.LBB44_463:                             ; =>This Inner Loop Header: Depth=1
	s_waitcnt lgkmcnt(0)
	v_cmp_gt_f64_e32 vcc, 0, v[96:97]
	v_cmp_gt_f64_e64 s[0:1], 0, v[94:95]
	ds_read2_b64 v[108:111], v1 offset1:1
	v_xor_b32_e32 v103, 0x80000000, v95
	v_xor_b32_e32 v115, 0x80000000, v97
	v_mov_b32_e32 v112, v94
	v_mov_b32_e32 v114, v96
	s_waitcnt lgkmcnt(0)
	v_xor_b32_e32 v117, 0x80000000, v111
	v_cndmask_b32_e32 v115, v97, v115, vcc
	v_cndmask_b32_e64 v113, v95, v103, s[0:1]
	v_cmp_gt_f64_e32 vcc, 0, v[110:111]
	v_cmp_gt_f64_e64 s[0:1], 0, v[108:109]
	v_xor_b32_e32 v103, 0x80000000, v109
	v_add_f64 v[112:113], v[112:113], v[114:115]
	v_mov_b32_e32 v114, v108
	v_mov_b32_e32 v116, v110
	v_add_u32_e32 v1, 16, v1
	v_cndmask_b32_e32 v117, v111, v117, vcc
	v_cndmask_b32_e64 v115, v109, v103, s[0:1]
	v_add_f64 v[114:115], v[114:115], v[116:117]
	v_mov_b32_e32 v103, s7
	s_add_i32 s7, s7, 1
	s_cmp_lg_u32 s22, s7
	v_cmp_lt_f64_e32 vcc, v[112:113], v[114:115]
	v_cndmask_b32_e32 v95, v95, v109, vcc
	v_cndmask_b32_e32 v94, v94, v108, vcc
	;; [unrolled: 1-line block ×5, first 2 shown]
	s_cbranch_scc1 .LBB44_463
.LBB44_464:
	s_waitcnt lgkmcnt(0)
	v_cmp_eq_f64_e32 vcc, 0, v[94:95]
	v_cmp_eq_f64_e64 s[0:1], 0, v[96:97]
	s_and_b64 s[0:1], vcc, s[0:1]
	s_and_saveexec_b64 s[8:9], s[0:1]
	s_xor_b64 s[0:1], exec, s[8:9]
; %bb.465:
	v_cmp_ne_u32_e32 vcc, 0, v107
	v_cndmask_b32_e32 v107, 23, v107, vcc
; %bb.466:
	s_andn2_saveexec_b64 s[0:1], s[0:1]
	s_cbranch_execz .LBB44_472
; %bb.467:
	v_cmp_ngt_f64_e64 s[8:9], |v[94:95]|, |v[96:97]|
	s_and_saveexec_b64 s[20:21], s[8:9]
	s_xor_b64 s[8:9], exec, s[20:21]
	s_cbranch_execz .LBB44_469
; %bb.468:
	v_div_scale_f64 v[108:109], s[20:21], v[96:97], v[96:97], v[94:95]
	v_rcp_f64_e32 v[110:111], v[108:109]
	v_fma_f64 v[112:113], -v[108:109], v[110:111], 1.0
	v_fma_f64 v[110:111], v[110:111], v[112:113], v[110:111]
	v_div_scale_f64 v[112:113], vcc, v[94:95], v[96:97], v[94:95]
	v_fma_f64 v[114:115], -v[108:109], v[110:111], 1.0
	v_fma_f64 v[110:111], v[110:111], v[114:115], v[110:111]
	v_mul_f64 v[114:115], v[112:113], v[110:111]
	v_fma_f64 v[108:109], -v[108:109], v[114:115], v[112:113]
	v_div_fmas_f64 v[108:109], v[108:109], v[110:111], v[114:115]
	v_div_fixup_f64 v[108:109], v[108:109], v[96:97], v[94:95]
	v_fma_f64 v[94:95], v[94:95], v[108:109], v[96:97]
	v_div_scale_f64 v[96:97], s[20:21], v[94:95], v[94:95], 1.0
	v_div_scale_f64 v[114:115], vcc, 1.0, v[94:95], 1.0
	v_rcp_f64_e32 v[110:111], v[96:97]
	v_fma_f64 v[112:113], -v[96:97], v[110:111], 1.0
	v_fma_f64 v[110:111], v[110:111], v[112:113], v[110:111]
	v_fma_f64 v[112:113], -v[96:97], v[110:111], 1.0
	v_fma_f64 v[110:111], v[110:111], v[112:113], v[110:111]
	v_mul_f64 v[112:113], v[114:115], v[110:111]
	v_fma_f64 v[96:97], -v[96:97], v[112:113], v[114:115]
	v_div_fmas_f64 v[96:97], v[96:97], v[110:111], v[112:113]
	v_div_fixup_f64 v[96:97], v[96:97], v[94:95], 1.0
	v_mul_f64 v[94:95], v[108:109], v[96:97]
	v_xor_b32_e32 v97, 0x80000000, v97
.LBB44_469:
	s_andn2_saveexec_b64 s[8:9], s[8:9]
	s_cbranch_execz .LBB44_471
; %bb.470:
	v_div_scale_f64 v[108:109], s[20:21], v[94:95], v[94:95], v[96:97]
	v_rcp_f64_e32 v[110:111], v[108:109]
	v_fma_f64 v[112:113], -v[108:109], v[110:111], 1.0
	v_fma_f64 v[110:111], v[110:111], v[112:113], v[110:111]
	v_div_scale_f64 v[112:113], vcc, v[96:97], v[94:95], v[96:97]
	v_fma_f64 v[114:115], -v[108:109], v[110:111], 1.0
	v_fma_f64 v[110:111], v[110:111], v[114:115], v[110:111]
	v_mul_f64 v[114:115], v[112:113], v[110:111]
	v_fma_f64 v[108:109], -v[108:109], v[114:115], v[112:113]
	v_div_fmas_f64 v[108:109], v[108:109], v[110:111], v[114:115]
	v_div_fixup_f64 v[108:109], v[108:109], v[94:95], v[96:97]
	v_fma_f64 v[94:95], v[96:97], v[108:109], v[94:95]
	v_div_scale_f64 v[96:97], s[20:21], v[94:95], v[94:95], 1.0
	v_div_scale_f64 v[114:115], vcc, 1.0, v[94:95], 1.0
	v_rcp_f64_e32 v[110:111], v[96:97]
	v_fma_f64 v[112:113], -v[96:97], v[110:111], 1.0
	v_fma_f64 v[110:111], v[110:111], v[112:113], v[110:111]
	v_fma_f64 v[112:113], -v[96:97], v[110:111], 1.0
	v_fma_f64 v[110:111], v[110:111], v[112:113], v[110:111]
	v_mul_f64 v[112:113], v[114:115], v[110:111]
	v_fma_f64 v[96:97], -v[96:97], v[112:113], v[114:115]
	v_div_fmas_f64 v[96:97], v[96:97], v[110:111], v[112:113]
	v_div_fixup_f64 v[94:95], v[96:97], v[94:95], 1.0
	v_mul_f64 v[96:97], v[108:109], -v[94:95]
.LBB44_471:
	s_or_b64 exec, exec, s[8:9]
.LBB44_472:
	s_or_b64 exec, exec, s[0:1]
	v_cmp_ne_u32_e32 vcc, v104, v102
	v_mov_b32_e32 v103, 22
	s_and_saveexec_b64 s[0:1], vcc
	s_cbranch_execz .LBB44_478
; %bb.473:
	v_cmp_eq_u32_e32 vcc, 22, v104
	s_and_saveexec_b64 s[8:9], vcc
	s_cbranch_execz .LBB44_477
; %bb.474:
	v_cmp_ne_u32_e32 vcc, 22, v102
	s_xor_b64 s[18:19], s[18:19], -1
	s_and_b64 s[20:21], s[18:19], vcc
	s_and_saveexec_b64 s[18:19], s[20:21]
	s_cbranch_execz .LBB44_476
; %bb.475:
	v_ashrrev_i32_e32 v103, 31, v102
	v_lshlrev_b64 v[0:1], 2, v[102:103]
	v_add_co_u32_e32 v0, vcc, v100, v0
	v_addc_co_u32_e32 v1, vcc, v101, v1, vcc
	global_load_dword v103, v[0:1], off
	global_load_dword v104, v[100:101], off offset:88
	s_waitcnt vmcnt(1)
	global_store_dword v[100:101], v103, off offset:88
	s_waitcnt vmcnt(1)
	global_store_dword v[0:1], v104, off
.LBB44_476:
	s_or_b64 exec, exec, s[18:19]
	v_mov_b32_e32 v104, v102
	v_mov_b32_e32 v0, v102
.LBB44_477:
	s_or_b64 exec, exec, s[8:9]
	v_mov_b32_e32 v103, v104
.LBB44_478:
	s_or_b64 exec, exec, s[0:1]
	v_cmp_gt_i32_e32 vcc, 23, v103
	v_ashrrev_i32_e32 v104, 31, v103
	s_waitcnt vmcnt(0)
	s_barrier
	s_barrier
	s_and_saveexec_b64 s[0:1], vcc
	s_cbranch_execz .LBB44_480
; %bb.479:
	v_mul_lo_u32 v1, s15, v98
	v_mul_lo_u32 v102, s14, v99
	v_mad_u64_u32 v[100:101], s[8:9], s14, v98, 0
	s_lshl_b64 s[8:9], s[12:13], 2
	v_add3_u32 v0, v0, s17, 1
	v_add3_u32 v101, v101, v102, v1
	v_lshlrev_b64 v[100:101], 2, v[100:101]
	v_mov_b32_e32 v1, s11
	v_add_co_u32_e32 v100, vcc, s10, v100
	v_addc_co_u32_e32 v1, vcc, v1, v101, vcc
	v_mov_b32_e32 v101, s9
	v_add_co_u32_e32 v102, vcc, s8, v100
	v_addc_co_u32_e32 v1, vcc, v1, v101, vcc
	v_lshlrev_b64 v[100:101], 2, v[103:104]
	v_add_co_u32_e32 v100, vcc, v102, v100
	v_addc_co_u32_e32 v101, vcc, v1, v101, vcc
	global_store_dword v[100:101], v0, off
.LBB44_480:
	s_or_b64 exec, exec, s[0:1]
	v_cmp_eq_u32_e32 vcc, 0, v103
	s_and_saveexec_b64 s[8:9], vcc
	s_cbranch_execz .LBB44_483
; %bb.481:
	v_lshlrev_b64 v[0:1], 2, v[98:99]
	v_mov_b32_e32 v98, s5
	v_add_co_u32_e32 v0, vcc, s4, v0
	v_addc_co_u32_e32 v1, vcc, v98, v1, vcc
	global_load_dword v98, v[0:1], off
	v_cmp_ne_u32_e64 s[0:1], 0, v107
	s_waitcnt vmcnt(0)
	v_cmp_eq_u32_e32 vcc, 0, v98
	s_and_b64 s[0:1], vcc, s[0:1]
	s_and_b64 exec, exec, s[0:1]
	s_cbranch_execz .LBB44_483
; %bb.482:
	v_add_u32_e32 v98, s17, v107
	global_store_dword v[0:1], v98, off
.LBB44_483:
	s_or_b64 exec, exec, s[8:9]
	v_mul_f64 v[0:1], v[94:95], v[92:93]
	v_mul_f64 v[98:99], v[96:97], v[92:93]
	v_lshlrev_b64 v[100:101], 4, v[103:104]
	v_mov_b32_e32 v102, s3
	v_fma_f64 v[0:1], v[96:97], v[90:91], v[0:1]
	v_fma_f64 v[94:95], v[94:95], v[90:91], -v[98:99]
	v_add_co_u32_e32 v96, vcc, v105, v100
	v_addc_co_u32_e32 v97, vcc, v106, v101, vcc
	v_cmp_lt_i32_e32 vcc, 22, v103
	global_store_dwordx4 v[96:97], v[86:89], off
	s_nop 0
	v_cndmask_b32_e32 v89, v93, v1, vcc
	v_cndmask_b32_e32 v88, v92, v0, vcc
	;; [unrolled: 1-line block ×4, first 2 shown]
	v_add_co_u32_e32 v0, vcc, s2, v96
	v_addc_co_u32_e32 v1, vcc, v97, v102, vcc
	global_store_dwordx4 v[0:1], v[82:85], off
	v_add_u32_e32 v0, s16, v103
	v_ashrrev_i32_e32 v1, 31, v0
	v_lshlrev_b64 v[82:83], 4, v[0:1]
	v_add_u32_e32 v0, s6, v0
	v_add_co_u32_e32 v82, vcc, v105, v82
	v_addc_co_u32_e32 v83, vcc, v106, v83, vcc
	v_ashrrev_i32_e32 v1, 31, v0
	global_store_dwordx4 v[82:83], v[78:81], off
	s_nop 0
	v_lshlrev_b64 v[78:79], 4, v[0:1]
	v_add_u32_e32 v0, s6, v0
	v_add_co_u32_e32 v78, vcc, v105, v78
	v_addc_co_u32_e32 v79, vcc, v106, v79, vcc
	v_ashrrev_i32_e32 v1, 31, v0
	global_store_dwordx4 v[78:79], v[74:77], off
	s_nop 0
	;; [unrolled: 7-line block ×19, first 2 shown]
	v_lshlrev_b64 v[6:7], 4, v[0:1]
	v_add_u32_e32 v0, s6, v0
	v_ashrrev_i32_e32 v1, 31, v0
	v_add_co_u32_e32 v6, vcc, v105, v6
	v_lshlrev_b64 v[0:1], 4, v[0:1]
	v_addc_co_u32_e32 v7, vcc, v106, v7, vcc
	v_add_co_u32_e32 v0, vcc, v105, v0
	v_addc_co_u32_e32 v1, vcc, v106, v1, vcc
	global_store_dwordx4 v[6:7], v[2:5], off
	global_store_dwordx4 v[0:1], v[86:89], off
.LBB44_484:
	s_endpgm
	.section	.rodata,"a",@progbits
	.p2align	6, 0x0
	.amdhsa_kernel _ZN9rocsolver6v33100L18getf2_small_kernelILi23E19rocblas_complex_numIdEiiPS3_EEvT1_T3_lS5_lPS5_llPT2_S5_S5_S7_l
		.amdhsa_group_segment_fixed_size 0
		.amdhsa_private_segment_fixed_size 0
		.amdhsa_kernarg_size 352
		.amdhsa_user_sgpr_count 6
		.amdhsa_user_sgpr_private_segment_buffer 1
		.amdhsa_user_sgpr_dispatch_ptr 0
		.amdhsa_user_sgpr_queue_ptr 0
		.amdhsa_user_sgpr_kernarg_segment_ptr 1
		.amdhsa_user_sgpr_dispatch_id 0
		.amdhsa_user_sgpr_flat_scratch_init 0
		.amdhsa_user_sgpr_private_segment_size 0
		.amdhsa_uses_dynamic_stack 0
		.amdhsa_system_sgpr_private_segment_wavefront_offset 0
		.amdhsa_system_sgpr_workgroup_id_x 1
		.amdhsa_system_sgpr_workgroup_id_y 1
		.amdhsa_system_sgpr_workgroup_id_z 0
		.amdhsa_system_sgpr_workgroup_info 0
		.amdhsa_system_vgpr_workitem_id 1
		.amdhsa_next_free_vgpr 126
		.amdhsa_next_free_sgpr 26
		.amdhsa_reserve_vcc 1
		.amdhsa_reserve_flat_scratch 0
		.amdhsa_float_round_mode_32 0
		.amdhsa_float_round_mode_16_64 0
		.amdhsa_float_denorm_mode_32 3
		.amdhsa_float_denorm_mode_16_64 3
		.amdhsa_dx10_clamp 1
		.amdhsa_ieee_mode 1
		.amdhsa_fp16_overflow 0
		.amdhsa_exception_fp_ieee_invalid_op 0
		.amdhsa_exception_fp_denorm_src 0
		.amdhsa_exception_fp_ieee_div_zero 0
		.amdhsa_exception_fp_ieee_overflow 0
		.amdhsa_exception_fp_ieee_underflow 0
		.amdhsa_exception_fp_ieee_inexact 0
		.amdhsa_exception_int_div_zero 0
	.end_amdhsa_kernel
	.section	.text._ZN9rocsolver6v33100L18getf2_small_kernelILi23E19rocblas_complex_numIdEiiPS3_EEvT1_T3_lS5_lPS5_llPT2_S5_S5_S7_l,"axG",@progbits,_ZN9rocsolver6v33100L18getf2_small_kernelILi23E19rocblas_complex_numIdEiiPS3_EEvT1_T3_lS5_lPS5_llPT2_S5_S5_S7_l,comdat
.Lfunc_end44:
	.size	_ZN9rocsolver6v33100L18getf2_small_kernelILi23E19rocblas_complex_numIdEiiPS3_EEvT1_T3_lS5_lPS5_llPT2_S5_S5_S7_l, .Lfunc_end44-_ZN9rocsolver6v33100L18getf2_small_kernelILi23E19rocblas_complex_numIdEiiPS3_EEvT1_T3_lS5_lPS5_llPT2_S5_S5_S7_l
                                        ; -- End function
	.set _ZN9rocsolver6v33100L18getf2_small_kernelILi23E19rocblas_complex_numIdEiiPS3_EEvT1_T3_lS5_lPS5_llPT2_S5_S5_S7_l.num_vgpr, 126
	.set _ZN9rocsolver6v33100L18getf2_small_kernelILi23E19rocblas_complex_numIdEiiPS3_EEvT1_T3_lS5_lPS5_llPT2_S5_S5_S7_l.num_agpr, 0
	.set _ZN9rocsolver6v33100L18getf2_small_kernelILi23E19rocblas_complex_numIdEiiPS3_EEvT1_T3_lS5_lPS5_llPT2_S5_S5_S7_l.numbered_sgpr, 26
	.set _ZN9rocsolver6v33100L18getf2_small_kernelILi23E19rocblas_complex_numIdEiiPS3_EEvT1_T3_lS5_lPS5_llPT2_S5_S5_S7_l.num_named_barrier, 0
	.set _ZN9rocsolver6v33100L18getf2_small_kernelILi23E19rocblas_complex_numIdEiiPS3_EEvT1_T3_lS5_lPS5_llPT2_S5_S5_S7_l.private_seg_size, 0
	.set _ZN9rocsolver6v33100L18getf2_small_kernelILi23E19rocblas_complex_numIdEiiPS3_EEvT1_T3_lS5_lPS5_llPT2_S5_S5_S7_l.uses_vcc, 1
	.set _ZN9rocsolver6v33100L18getf2_small_kernelILi23E19rocblas_complex_numIdEiiPS3_EEvT1_T3_lS5_lPS5_llPT2_S5_S5_S7_l.uses_flat_scratch, 0
	.set _ZN9rocsolver6v33100L18getf2_small_kernelILi23E19rocblas_complex_numIdEiiPS3_EEvT1_T3_lS5_lPS5_llPT2_S5_S5_S7_l.has_dyn_sized_stack, 0
	.set _ZN9rocsolver6v33100L18getf2_small_kernelILi23E19rocblas_complex_numIdEiiPS3_EEvT1_T3_lS5_lPS5_llPT2_S5_S5_S7_l.has_recursion, 0
	.set _ZN9rocsolver6v33100L18getf2_small_kernelILi23E19rocblas_complex_numIdEiiPS3_EEvT1_T3_lS5_lPS5_llPT2_S5_S5_S7_l.has_indirect_call, 0
	.section	.AMDGPU.csdata,"",@progbits
; Kernel info:
; codeLenInByte = 39800
; TotalNumSgprs: 30
; NumVgprs: 126
; ScratchSize: 0
; MemoryBound: 0
; FloatMode: 240
; IeeeMode: 1
; LDSByteSize: 0 bytes/workgroup (compile time only)
; SGPRBlocks: 3
; VGPRBlocks: 31
; NumSGPRsForWavesPerEU: 30
; NumVGPRsForWavesPerEU: 126
; Occupancy: 2
; WaveLimiterHint : 0
; COMPUTE_PGM_RSRC2:SCRATCH_EN: 0
; COMPUTE_PGM_RSRC2:USER_SGPR: 6
; COMPUTE_PGM_RSRC2:TRAP_HANDLER: 0
; COMPUTE_PGM_RSRC2:TGID_X_EN: 1
; COMPUTE_PGM_RSRC2:TGID_Y_EN: 1
; COMPUTE_PGM_RSRC2:TGID_Z_EN: 0
; COMPUTE_PGM_RSRC2:TIDIG_COMP_CNT: 1
	.section	.text._ZN9rocsolver6v33100L23getf2_npvt_small_kernelILi23E19rocblas_complex_numIdEiiPS3_EEvT1_T3_lS5_lPT2_S5_S5_,"axG",@progbits,_ZN9rocsolver6v33100L23getf2_npvt_small_kernelILi23E19rocblas_complex_numIdEiiPS3_EEvT1_T3_lS5_lPT2_S5_S5_,comdat
	.globl	_ZN9rocsolver6v33100L23getf2_npvt_small_kernelILi23E19rocblas_complex_numIdEiiPS3_EEvT1_T3_lS5_lPT2_S5_S5_ ; -- Begin function _ZN9rocsolver6v33100L23getf2_npvt_small_kernelILi23E19rocblas_complex_numIdEiiPS3_EEvT1_T3_lS5_lPT2_S5_S5_
	.p2align	8
	.type	_ZN9rocsolver6v33100L23getf2_npvt_small_kernelILi23E19rocblas_complex_numIdEiiPS3_EEvT1_T3_lS5_lPT2_S5_S5_,@function
_ZN9rocsolver6v33100L23getf2_npvt_small_kernelILi23E19rocblas_complex_numIdEiiPS3_EEvT1_T3_lS5_lPT2_S5_S5_: ; @_ZN9rocsolver6v33100L23getf2_npvt_small_kernelILi23E19rocblas_complex_numIdEiiPS3_EEvT1_T3_lS5_lPT2_S5_S5_
; %bb.0:
	s_mov_b64 s[22:23], s[2:3]
	s_mov_b64 s[20:21], s[0:1]
	s_load_dword s0, s[4:5], 0x44
	s_load_dwordx2 s[12:13], s[4:5], 0x30
	s_add_u32 s20, s20, s8
	s_addc_u32 s21, s21, 0
	s_waitcnt lgkmcnt(0)
	s_lshr_b32 s2, s0, 16
	s_mul_i32 s7, s7, s2
	v_add_u32_e32 v2, s7, v1
	v_cmp_gt_i32_e32 vcc, s12, v2
	s_and_saveexec_b64 s[0:1], vcc
	s_cbranch_execz .LBB45_210
; %bb.1:
	s_load_dwordx4 s[8:11], s[4:5], 0x20
	s_load_dwordx4 s[16:19], s[4:5], 0x8
	v_ashrrev_i32_e32 v3, 31, v2
	s_mulk_i32 s2, 0x170
	s_waitcnt lgkmcnt(0)
	v_mul_lo_u32 v4, s9, v2
	v_mul_lo_u32 v5, s8, v3
	buffer_store_dword v2, off, s[20:23], 0 offset:472 ; 4-byte Folded Spill
	s_nop 0
	buffer_store_dword v3, off, s[20:23], 0 offset:476 ; 4-byte Folded Spill
	v_mov_b32_e32 v6, s17
	v_mad_u64_u32 v[2:3], s[0:1], s8, v2, 0
	s_load_dword s0, s[4:5], 0x18
	s_lshl_b64 s[4:5], s[18:19], 4
	v_add3_u32 v3, v3, v5, v4
	v_lshlrev_b64 v[2:3], 4, v[2:3]
	v_mov_b32_e32 v4, s5
	v_add_co_u32_e32 v2, vcc, s16, v2
	v_addc_co_u32_e32 v3, vcc, v6, v3, vcc
	v_add_co_u32_e32 v2, vcc, s4, v2
	s_waitcnt lgkmcnt(0)
	s_add_i32 s1, s0, s0
	v_addc_co_u32_e32 v3, vcc, v3, v4, vcc
	v_add_u32_e32 v4, s1, v0
	v_ashrrev_i32_e32 v5, 31, v4
	v_lshlrev_b64 v[5:6], 4, v[4:5]
	v_add_u32_e32 v4, s0, v4
	v_add_co_u32_e32 v31, vcc, v2, v5
	v_ashrrev_i32_e32 v5, 31, v4
	v_addc_co_u32_e32 v32, vcc, v3, v6, vcc
	v_lshlrev_b64 v[5:6], 4, v[4:5]
	v_add_u32_e32 v4, s0, v4
	v_add_co_u32_e32 v7, vcc, v2, v5
	v_ashrrev_i32_e32 v5, 31, v4
	v_addc_co_u32_e32 v8, vcc, v3, v6, vcc
	;; [unrolled: 5-line block ×19, first 2 shown]
	v_lshlrev_b64 v[5:6], 4, v[4:5]
	v_add_u32_e32 v4, s0, v4
	v_add_co_u32_e32 v95, vcc, v2, v5
	v_ashrrev_i32_e32 v5, 31, v4
	v_lshlrev_b64 v[4:5], 4, v[4:5]
	v_addc_co_u32_e32 v96, vcc, v3, v6, vcc
	v_add_co_u32_e32 v97, vcc, v2, v4
	v_addc_co_u32_e32 v98, vcc, v3, v5, vcc
	v_lshlrev_b32_e32 v4, 4, v0
	v_add_co_u32_e32 v4, vcc, v2, v4
	s_ashr_i32 s1, s0, 31
	v_addc_co_u32_e32 v5, vcc, 0, v3, vcc
	s_lshl_b64 s[0:1], s[0:1], 4
	v_mov_b32_e32 v2, s1
	v_add_co_u32_e32 v29, vcc, s0, v4
	v_addc_co_u32_e32 v30, vcc, v5, v2, vcc
	buffer_store_dword v4, off, s[20:23], 0 offset:192 ; 4-byte Folded Spill
	s_nop 0
	buffer_store_dword v5, off, s[20:23], 0 offset:196 ; 4-byte Folded Spill
	s_movk_i32 s0, 0x170
	s_add_i32 s1, s2, 0
	v_mad_u32_u24 v125, v1, s0, 0
	v_lshl_add_u32 v127, v1, 4, s1
	v_cmp_ne_u32_e64 s[2:3], 0, v0
	v_cmp_eq_u32_e64 s[0:1], 0, v0
	global_load_dwordx4 v[1:4], v[4:5], off
	s_waitcnt vmcnt(0)
	buffer_store_dword v1, off, s[20:23], 0 offset:32 ; 4-byte Folded Spill
	s_nop 0
	buffer_store_dword v2, off, s[20:23], 0 offset:36 ; 4-byte Folded Spill
	buffer_store_dword v3, off, s[20:23], 0 offset:40 ; 4-byte Folded Spill
	;; [unrolled: 1-line block ×4, first 2 shown]
	s_nop 0
	buffer_store_dword v30, off, s[20:23], 0 offset:204 ; 4-byte Folded Spill
	global_load_dwordx4 v[1:4], v[29:30], off
	s_waitcnt vmcnt(0)
	buffer_store_dword v1, off, s[20:23], 0 offset:16 ; 4-byte Folded Spill
	s_nop 0
	buffer_store_dword v2, off, s[20:23], 0 offset:20 ; 4-byte Folded Spill
	buffer_store_dword v3, off, s[20:23], 0 offset:24 ; 4-byte Folded Spill
	;; [unrolled: 1-line block ×4, first 2 shown]
	s_nop 0
	buffer_store_dword v32, off, s[20:23], 0 offset:468 ; 4-byte Folded Spill
	global_load_dwordx4 v[121:124], v[31:32], off
	s_nop 0
	buffer_store_dword v7, off, s[20:23], 0 offset:48 ; 4-byte Folded Spill
	s_nop 0
	buffer_store_dword v8, off, s[20:23], 0 offset:52 ; 4-byte Folded Spill
	global_load_dwordx4 v[81:84], v[7:8], off
	global_load_dwordx4 v[1:4], v[91:92], off
	s_waitcnt vmcnt(0)
	buffer_store_dword v1, off, s[20:23], 0 ; 4-byte Folded Spill
	s_nop 0
	buffer_store_dword v2, off, s[20:23], 0 offset:4 ; 4-byte Folded Spill
	buffer_store_dword v3, off, s[20:23], 0 offset:8 ; 4-byte Folded Spill
	;; [unrolled: 1-line block ×3, first 2 shown]
	global_load_dwordx4 v[65:68], v[87:88], off
	s_nop 0
	buffer_store_dword v9, off, s[20:23], 0 offset:56 ; 4-byte Folded Spill
	s_nop 0
	buffer_store_dword v10, off, s[20:23], 0 offset:60 ; 4-byte Folded Spill
	global_load_dwordx4 v[61:64], v[9:10], off
	s_nop 0
	buffer_store_dword v11, off, s[20:23], 0 offset:64 ; 4-byte Folded Spill
	s_nop 0
	buffer_store_dword v12, off, s[20:23], 0 offset:68 ; 4-byte Folded Spill
	;; [unrolled: 5-line block ×17, first 2 shown]
	global_load_dwordx4 v[69:72], v[97:98], off
	s_and_saveexec_b64 s[6:7], s[0:1]
	s_cbranch_execz .LBB45_8
; %bb.2:
	buffer_load_dword v93, off, s[20:23], 0 offset:32 ; 4-byte Folded Reload
	buffer_load_dword v94, off, s[20:23], 0 offset:36 ; 4-byte Folded Reload
	;; [unrolled: 1-line block ×4, first 2 shown]
	s_waitcnt vmcnt(0)
	ds_write2_b64 v127, v[93:94], v[95:96] offset1:1
	buffer_load_dword v93, off, s[20:23], 0 offset:16 ; 4-byte Folded Reload
	buffer_load_dword v94, off, s[20:23], 0 offset:20 ; 4-byte Folded Reload
	;; [unrolled: 1-line block ×4, first 2 shown]
	s_waitcnt vmcnt(0)
	ds_write2_b64 v125, v[93:94], v[95:96] offset0:2 offset1:3
	ds_write2_b64 v125, v[121:122], v[123:124] offset0:4 offset1:5
	;; [unrolled: 1-line block ×3, first 2 shown]
	buffer_load_dword v73, off, s[20:23], 0 ; 4-byte Folded Reload
	buffer_load_dword v74, off, s[20:23], 0 offset:4 ; 4-byte Folded Reload
	buffer_load_dword v75, off, s[20:23], 0 offset:8 ; 4-byte Folded Reload
	;; [unrolled: 1-line block ×3, first 2 shown]
	s_waitcnt vmcnt(0)
	ds_write2_b64 v125, v[73:74], v[75:76] offset0:8 offset1:9
	ds_write2_b64 v125, v[65:66], v[67:68] offset0:10 offset1:11
	;; [unrolled: 1-line block ×19, first 2 shown]
	ds_read2_b64 v[93:96], v127 offset1:1
	s_waitcnt lgkmcnt(0)
	v_cmp_neq_f64_e32 vcc, 0, v[93:94]
	v_cmp_neq_f64_e64 s[4:5], 0, v[95:96]
	s_or_b64 s[4:5], vcc, s[4:5]
	s_and_b64 exec, exec, s[4:5]
	s_cbranch_execz .LBB45_8
; %bb.3:
	v_cmp_ngt_f64_e64 s[4:5], |v[93:94]|, |v[95:96]|
                                        ; implicit-def: $vgpr97_vgpr98
	s_and_saveexec_b64 s[8:9], s[4:5]
	s_xor_b64 s[4:5], exec, s[8:9]
                                        ; implicit-def: $vgpr99_vgpr100
	s_cbranch_execz .LBB45_5
; %bb.4:
	v_div_scale_f64 v[97:98], s[8:9], v[95:96], v[95:96], v[93:94]
	v_rcp_f64_e32 v[99:100], v[97:98]
	v_fma_f64 v[101:102], -v[97:98], v[99:100], 1.0
	v_fma_f64 v[99:100], v[99:100], v[101:102], v[99:100]
	v_div_scale_f64 v[101:102], vcc, v[93:94], v[95:96], v[93:94]
	v_fma_f64 v[103:104], -v[97:98], v[99:100], 1.0
	v_fma_f64 v[99:100], v[99:100], v[103:104], v[99:100]
	v_mul_f64 v[103:104], v[101:102], v[99:100]
	v_fma_f64 v[97:98], -v[97:98], v[103:104], v[101:102]
	v_div_fmas_f64 v[97:98], v[97:98], v[99:100], v[103:104]
	v_div_fixup_f64 v[97:98], v[97:98], v[95:96], v[93:94]
	v_fma_f64 v[93:94], v[93:94], v[97:98], v[95:96]
	v_div_scale_f64 v[95:96], s[8:9], v[93:94], v[93:94], 1.0
	v_div_scale_f64 v[103:104], vcc, 1.0, v[93:94], 1.0
	v_rcp_f64_e32 v[99:100], v[95:96]
	v_fma_f64 v[101:102], -v[95:96], v[99:100], 1.0
	v_fma_f64 v[99:100], v[99:100], v[101:102], v[99:100]
	v_fma_f64 v[101:102], -v[95:96], v[99:100], 1.0
	v_fma_f64 v[99:100], v[99:100], v[101:102], v[99:100]
	v_mul_f64 v[101:102], v[103:104], v[99:100]
	v_fma_f64 v[95:96], -v[95:96], v[101:102], v[103:104]
	v_div_fmas_f64 v[95:96], v[95:96], v[99:100], v[101:102]
	v_div_fixup_f64 v[99:100], v[95:96], v[93:94], 1.0
                                        ; implicit-def: $vgpr93_vgpr94
	v_mul_f64 v[97:98], v[97:98], v[99:100]
	v_xor_b32_e32 v100, 0x80000000, v100
.LBB45_5:
	s_andn2_saveexec_b64 s[4:5], s[4:5]
	s_cbranch_execz .LBB45_7
; %bb.6:
	v_div_scale_f64 v[97:98], s[8:9], v[93:94], v[93:94], v[95:96]
	v_rcp_f64_e32 v[99:100], v[97:98]
	v_fma_f64 v[101:102], -v[97:98], v[99:100], 1.0
	v_fma_f64 v[99:100], v[99:100], v[101:102], v[99:100]
	v_div_scale_f64 v[101:102], vcc, v[95:96], v[93:94], v[95:96]
	v_fma_f64 v[103:104], -v[97:98], v[99:100], 1.0
	v_fma_f64 v[99:100], v[99:100], v[103:104], v[99:100]
	v_mul_f64 v[103:104], v[101:102], v[99:100]
	v_fma_f64 v[97:98], -v[97:98], v[103:104], v[101:102]
	v_div_fmas_f64 v[97:98], v[97:98], v[99:100], v[103:104]
	v_div_fixup_f64 v[99:100], v[97:98], v[93:94], v[95:96]
	v_fma_f64 v[93:94], v[95:96], v[99:100], v[93:94]
	v_div_scale_f64 v[95:96], s[8:9], v[93:94], v[93:94], 1.0
	v_div_scale_f64 v[103:104], vcc, 1.0, v[93:94], 1.0
	v_rcp_f64_e32 v[97:98], v[95:96]
	v_fma_f64 v[101:102], -v[95:96], v[97:98], 1.0
	v_fma_f64 v[97:98], v[97:98], v[101:102], v[97:98]
	v_fma_f64 v[101:102], -v[95:96], v[97:98], 1.0
	v_fma_f64 v[97:98], v[97:98], v[101:102], v[97:98]
	v_mul_f64 v[101:102], v[103:104], v[97:98]
	v_fma_f64 v[95:96], -v[95:96], v[101:102], v[103:104]
	v_div_fmas_f64 v[95:96], v[95:96], v[97:98], v[101:102]
	v_div_fixup_f64 v[97:98], v[95:96], v[93:94], 1.0
	v_mul_f64 v[99:100], v[99:100], -v[97:98]
.LBB45_7:
	s_or_b64 exec, exec, s[4:5]
	ds_write2_b64 v127, v[97:98], v[99:100] offset1:1
.LBB45_8:
	s_or_b64 exec, exec, s[6:7]
	s_waitcnt vmcnt(0) lgkmcnt(0)
	s_barrier
	ds_read2_b64 v[93:96], v127 offset1:1
	s_waitcnt lgkmcnt(0)
	buffer_store_dword v93, off, s[20:23], 0 offset:208 ; 4-byte Folded Spill
	s_nop 0
	buffer_store_dword v94, off, s[20:23], 0 offset:212 ; 4-byte Folded Spill
	buffer_store_dword v95, off, s[20:23], 0 offset:216 ; 4-byte Folded Spill
	;; [unrolled: 1-line block ×3, first 2 shown]
	s_and_saveexec_b64 s[4:5], s[2:3]
	s_cbranch_execz .LBB45_10
; %bb.9:
	buffer_load_dword v99, off, s[20:23], 0 offset:32 ; 4-byte Folded Reload
	buffer_load_dword v100, off, s[20:23], 0 offset:36 ; 4-byte Folded Reload
	;; [unrolled: 1-line block ×8, first 2 shown]
	v_mov_b32_e32 v85, v91
	v_mov_b32_e32 v86, v92
	s_waitcnt vmcnt(2)
	v_mul_f64 v[91:92], v[95:96], v[101:102]
	s_waitcnt vmcnt(0)
	v_mul_f64 v[93:94], v[97:98], v[101:102]
	v_fma_f64 v[101:102], v[97:98], v[99:100], v[91:92]
	v_mov_b32_e32 v92, v86
	v_fma_f64 v[93:94], v[95:96], v[99:100], -v[93:94]
	ds_read2_b64 v[95:98], v125 offset0:2 offset1:3
	v_mov_b32_e32 v91, v85
	s_waitcnt lgkmcnt(0)
	v_mul_f64 v[89:90], v[97:98], v[101:102]
	v_fma_f64 v[89:90], v[95:96], v[93:94], -v[89:90]
	v_mul_f64 v[95:96], v[95:96], v[101:102]
	v_fma_f64 v[95:96], v[97:98], v[93:94], v[95:96]
	buffer_load_dword v97, off, s[20:23], 0 offset:16 ; 4-byte Folded Reload
	buffer_load_dword v98, off, s[20:23], 0 offset:20 ; 4-byte Folded Reload
	;; [unrolled: 1-line block ×4, first 2 shown]
	s_waitcnt vmcnt(2)
	v_add_f64 v[97:98], v[97:98], -v[89:90]
	s_waitcnt vmcnt(0)
	v_add_f64 v[99:100], v[99:100], -v[95:96]
	buffer_store_dword v97, off, s[20:23], 0 offset:16 ; 4-byte Folded Spill
	s_nop 0
	buffer_store_dword v98, off, s[20:23], 0 offset:20 ; 4-byte Folded Spill
	buffer_store_dword v99, off, s[20:23], 0 offset:24 ; 4-byte Folded Spill
	;; [unrolled: 1-line block ×3, first 2 shown]
	ds_read2_b64 v[95:98], v125 offset0:4 offset1:5
	v_mov_b32_e32 v100, v94
	v_mov_b32_e32 v99, v93
	s_waitcnt lgkmcnt(0)
	v_mul_f64 v[89:90], v[97:98], v[101:102]
	v_fma_f64 v[89:90], v[95:96], v[93:94], -v[89:90]
	v_mul_f64 v[95:96], v[95:96], v[101:102]
	v_add_f64 v[121:122], v[121:122], -v[89:90]
	v_fma_f64 v[95:96], v[97:98], v[93:94], v[95:96]
	v_add_f64 v[123:124], v[123:124], -v[95:96]
	ds_read2_b64 v[95:98], v125 offset0:6 offset1:7
	s_waitcnt lgkmcnt(0)
	v_mul_f64 v[89:90], v[97:98], v[101:102]
	v_fma_f64 v[89:90], v[95:96], v[93:94], -v[89:90]
	v_mul_f64 v[95:96], v[95:96], v[101:102]
	v_add_f64 v[81:82], v[81:82], -v[89:90]
	v_fma_f64 v[95:96], v[97:98], v[93:94], v[95:96]
	v_add_f64 v[83:84], v[83:84], -v[95:96]
	ds_read2_b64 v[95:98], v125 offset0:8 offset1:9
	buffer_load_dword v73, off, s[20:23], 0 ; 4-byte Folded Reload
	buffer_load_dword v74, off, s[20:23], 0 offset:4 ; 4-byte Folded Reload
	buffer_load_dword v75, off, s[20:23], 0 offset:8 ; 4-byte Folded Reload
	;; [unrolled: 1-line block ×3, first 2 shown]
	s_waitcnt lgkmcnt(0)
	v_mul_f64 v[89:90], v[97:98], v[101:102]
	v_fma_f64 v[89:90], v[95:96], v[93:94], -v[89:90]
	v_mul_f64 v[95:96], v[95:96], v[101:102]
	v_fma_f64 v[95:96], v[97:98], v[93:94], v[95:96]
	s_waitcnt vmcnt(2)
	v_add_f64 v[73:74], v[73:74], -v[89:90]
	s_waitcnt vmcnt(0)
	v_add_f64 v[75:76], v[75:76], -v[95:96]
	buffer_store_dword v73, off, s[20:23], 0 ; 4-byte Folded Spill
	s_nop 0
	buffer_store_dword v74, off, s[20:23], 0 offset:4 ; 4-byte Folded Spill
	buffer_store_dword v75, off, s[20:23], 0 offset:8 ; 4-byte Folded Spill
	;; [unrolled: 1-line block ×3, first 2 shown]
	ds_read2_b64 v[95:98], v125 offset0:10 offset1:11
	s_waitcnt lgkmcnt(0)
	v_mul_f64 v[89:90], v[97:98], v[101:102]
	v_fma_f64 v[89:90], v[95:96], v[93:94], -v[89:90]
	v_mul_f64 v[95:96], v[95:96], v[101:102]
	v_add_f64 v[65:66], v[65:66], -v[89:90]
	v_fma_f64 v[95:96], v[97:98], v[93:94], v[95:96]
	v_add_f64 v[67:68], v[67:68], -v[95:96]
	ds_read2_b64 v[95:98], v125 offset0:12 offset1:13
	s_waitcnt lgkmcnt(0)
	v_mul_f64 v[89:90], v[97:98], v[101:102]
	v_fma_f64 v[89:90], v[95:96], v[93:94], -v[89:90]
	v_mul_f64 v[95:96], v[95:96], v[101:102]
	v_add_f64 v[61:62], v[61:62], -v[89:90]
	v_fma_f64 v[95:96], v[97:98], v[93:94], v[95:96]
	v_add_f64 v[63:64], v[63:64], -v[95:96]
	;; [unrolled: 8-line block ×17, first 2 shown]
	ds_read2_b64 v[95:98], v125 offset0:44 offset1:45
	s_waitcnt lgkmcnt(0)
	v_mul_f64 v[89:90], v[97:98], v[101:102]
	v_fma_f64 v[89:90], v[95:96], v[93:94], -v[89:90]
	v_mul_f64 v[95:96], v[95:96], v[101:102]
	buffer_store_dword v99, off, s[20:23], 0 offset:32 ; 4-byte Folded Spill
	s_nop 0
	buffer_store_dword v100, off, s[20:23], 0 offset:36 ; 4-byte Folded Spill
	buffer_store_dword v101, off, s[20:23], 0 offset:40 ; 4-byte Folded Spill
	;; [unrolled: 1-line block ×3, first 2 shown]
	v_add_f64 v[69:70], v[69:70], -v[89:90]
	v_fma_f64 v[95:96], v[97:98], v[93:94], v[95:96]
	v_add_f64 v[71:72], v[71:72], -v[95:96]
.LBB45_10:
	s_or_b64 exec, exec, s[4:5]
	v_cmp_eq_u32_e32 vcc, 1, v0
	s_waitcnt vmcnt(0)
	s_barrier
	s_and_saveexec_b64 s[4:5], vcc
	s_cbranch_execz .LBB45_17
; %bb.11:
	buffer_load_dword v93, off, s[20:23], 0 offset:16 ; 4-byte Folded Reload
	buffer_load_dword v94, off, s[20:23], 0 offset:20 ; 4-byte Folded Reload
	buffer_load_dword v95, off, s[20:23], 0 offset:24 ; 4-byte Folded Reload
	buffer_load_dword v96, off, s[20:23], 0 offset:28 ; 4-byte Folded Reload
	s_waitcnt vmcnt(0)
	ds_write2_b64 v127, v[93:94], v[95:96] offset1:1
	ds_write2_b64 v125, v[121:122], v[123:124] offset0:4 offset1:5
	ds_write2_b64 v125, v[81:82], v[83:84] offset0:6 offset1:7
	buffer_load_dword v73, off, s[20:23], 0 ; 4-byte Folded Reload
	buffer_load_dword v74, off, s[20:23], 0 offset:4 ; 4-byte Folded Reload
	buffer_load_dword v75, off, s[20:23], 0 offset:8 ; 4-byte Folded Reload
	buffer_load_dword v76, off, s[20:23], 0 offset:12 ; 4-byte Folded Reload
	s_waitcnt vmcnt(0)
	ds_write2_b64 v125, v[73:74], v[75:76] offset0:8 offset1:9
	ds_write2_b64 v125, v[65:66], v[67:68] offset0:10 offset1:11
	;; [unrolled: 1-line block ×19, first 2 shown]
	ds_read2_b64 v[93:96], v127 offset1:1
	s_waitcnt lgkmcnt(0)
	v_cmp_neq_f64_e32 vcc, 0, v[93:94]
	v_cmp_neq_f64_e64 s[2:3], 0, v[95:96]
	s_or_b64 s[2:3], vcc, s[2:3]
	s_and_b64 exec, exec, s[2:3]
	s_cbranch_execz .LBB45_17
; %bb.12:
	v_cmp_ngt_f64_e64 s[2:3], |v[93:94]|, |v[95:96]|
                                        ; implicit-def: $vgpr97_vgpr98
	s_and_saveexec_b64 s[6:7], s[2:3]
	s_xor_b64 s[2:3], exec, s[6:7]
                                        ; implicit-def: $vgpr99_vgpr100
	s_cbranch_execz .LBB45_14
; %bb.13:
	v_div_scale_f64 v[97:98], s[6:7], v[95:96], v[95:96], v[93:94]
	v_rcp_f64_e32 v[99:100], v[97:98]
	v_fma_f64 v[101:102], -v[97:98], v[99:100], 1.0
	v_fma_f64 v[99:100], v[99:100], v[101:102], v[99:100]
	v_div_scale_f64 v[101:102], vcc, v[93:94], v[95:96], v[93:94]
	v_fma_f64 v[103:104], -v[97:98], v[99:100], 1.0
	v_fma_f64 v[99:100], v[99:100], v[103:104], v[99:100]
	v_mul_f64 v[103:104], v[101:102], v[99:100]
	v_fma_f64 v[97:98], -v[97:98], v[103:104], v[101:102]
	v_div_fmas_f64 v[97:98], v[97:98], v[99:100], v[103:104]
	v_div_fixup_f64 v[97:98], v[97:98], v[95:96], v[93:94]
	v_fma_f64 v[93:94], v[93:94], v[97:98], v[95:96]
	v_div_scale_f64 v[95:96], s[6:7], v[93:94], v[93:94], 1.0
	v_div_scale_f64 v[103:104], vcc, 1.0, v[93:94], 1.0
	v_rcp_f64_e32 v[99:100], v[95:96]
	v_fma_f64 v[101:102], -v[95:96], v[99:100], 1.0
	v_fma_f64 v[99:100], v[99:100], v[101:102], v[99:100]
	v_fma_f64 v[101:102], -v[95:96], v[99:100], 1.0
	v_fma_f64 v[99:100], v[99:100], v[101:102], v[99:100]
	v_mul_f64 v[101:102], v[103:104], v[99:100]
	v_fma_f64 v[95:96], -v[95:96], v[101:102], v[103:104]
	v_div_fmas_f64 v[95:96], v[95:96], v[99:100], v[101:102]
	v_div_fixup_f64 v[99:100], v[95:96], v[93:94], 1.0
                                        ; implicit-def: $vgpr93_vgpr94
	v_mul_f64 v[97:98], v[97:98], v[99:100]
	v_xor_b32_e32 v100, 0x80000000, v100
.LBB45_14:
	s_andn2_saveexec_b64 s[2:3], s[2:3]
	s_cbranch_execz .LBB45_16
; %bb.15:
	v_div_scale_f64 v[97:98], s[6:7], v[93:94], v[93:94], v[95:96]
	v_rcp_f64_e32 v[99:100], v[97:98]
	v_fma_f64 v[101:102], -v[97:98], v[99:100], 1.0
	v_fma_f64 v[99:100], v[99:100], v[101:102], v[99:100]
	v_div_scale_f64 v[101:102], vcc, v[95:96], v[93:94], v[95:96]
	v_fma_f64 v[103:104], -v[97:98], v[99:100], 1.0
	v_fma_f64 v[99:100], v[99:100], v[103:104], v[99:100]
	v_mul_f64 v[103:104], v[101:102], v[99:100]
	v_fma_f64 v[97:98], -v[97:98], v[103:104], v[101:102]
	v_div_fmas_f64 v[97:98], v[97:98], v[99:100], v[103:104]
	v_div_fixup_f64 v[99:100], v[97:98], v[93:94], v[95:96]
	v_fma_f64 v[93:94], v[95:96], v[99:100], v[93:94]
	v_div_scale_f64 v[95:96], s[6:7], v[93:94], v[93:94], 1.0
	v_div_scale_f64 v[103:104], vcc, 1.0, v[93:94], 1.0
	v_rcp_f64_e32 v[97:98], v[95:96]
	v_fma_f64 v[101:102], -v[95:96], v[97:98], 1.0
	v_fma_f64 v[97:98], v[97:98], v[101:102], v[97:98]
	v_fma_f64 v[101:102], -v[95:96], v[97:98], 1.0
	v_fma_f64 v[97:98], v[97:98], v[101:102], v[97:98]
	v_mul_f64 v[101:102], v[103:104], v[97:98]
	v_fma_f64 v[95:96], -v[95:96], v[101:102], v[103:104]
	v_div_fmas_f64 v[95:96], v[95:96], v[97:98], v[101:102]
	v_div_fixup_f64 v[97:98], v[95:96], v[93:94], 1.0
	v_mul_f64 v[99:100], v[99:100], -v[97:98]
.LBB45_16:
	s_or_b64 exec, exec, s[2:3]
	ds_write2_b64 v127, v[97:98], v[99:100] offset1:1
.LBB45_17:
	s_or_b64 exec, exec, s[4:5]
	s_waitcnt lgkmcnt(0)
	s_barrier
	ds_read2_b64 v[93:96], v127 offset1:1
	v_cmp_lt_u32_e32 vcc, 1, v0
	s_waitcnt lgkmcnt(0)
	buffer_store_dword v93, off, s[20:23], 0 offset:224 ; 4-byte Folded Spill
	s_nop 0
	buffer_store_dword v94, off, s[20:23], 0 offset:228 ; 4-byte Folded Spill
	buffer_store_dword v95, off, s[20:23], 0 offset:232 ; 4-byte Folded Spill
	;; [unrolled: 1-line block ×3, first 2 shown]
	s_and_saveexec_b64 s[2:3], vcc
	s_cbranch_execz .LBB45_19
; %bb.18:
	buffer_load_dword v97, off, s[20:23], 0 offset:16 ; 4-byte Folded Reload
	buffer_load_dword v98, off, s[20:23], 0 offset:20 ; 4-byte Folded Reload
	;; [unrolled: 1-line block ×8, first 2 shown]
	v_mov_b32_e32 v85, v87
	v_mov_b32_e32 v86, v88
	s_waitcnt vmcnt(2)
	v_mul_f64 v[87:88], v[101:102], v[99:100]
	s_waitcnt vmcnt(0)
	v_mul_f64 v[93:94], v[103:104], v[99:100]
	v_fma_f64 v[99:100], v[103:104], v[97:98], v[87:88]
	v_mov_b32_e32 v88, v86
	v_fma_f64 v[93:94], v[101:102], v[97:98], -v[93:94]
	ds_read2_b64 v[95:98], v125 offset0:4 offset1:5
	v_mov_b32_e32 v87, v85
	s_waitcnt lgkmcnt(0)
	v_mul_f64 v[85:86], v[97:98], v[99:100]
	v_fma_f64 v[85:86], v[95:96], v[93:94], -v[85:86]
	v_mul_f64 v[95:96], v[95:96], v[99:100]
	v_add_f64 v[121:122], v[121:122], -v[85:86]
	v_fma_f64 v[95:96], v[97:98], v[93:94], v[95:96]
	v_add_f64 v[123:124], v[123:124], -v[95:96]
	ds_read2_b64 v[95:98], v125 offset0:6 offset1:7
	s_waitcnt lgkmcnt(0)
	v_mul_f64 v[85:86], v[97:98], v[99:100]
	v_fma_f64 v[85:86], v[95:96], v[93:94], -v[85:86]
	v_mul_f64 v[95:96], v[95:96], v[99:100]
	v_add_f64 v[81:82], v[81:82], -v[85:86]
	v_fma_f64 v[95:96], v[97:98], v[93:94], v[95:96]
	v_add_f64 v[83:84], v[83:84], -v[95:96]
	ds_read2_b64 v[95:98], v125 offset0:8 offset1:9
	buffer_load_dword v73, off, s[20:23], 0 ; 4-byte Folded Reload
	buffer_load_dword v74, off, s[20:23], 0 offset:4 ; 4-byte Folded Reload
	buffer_load_dword v75, off, s[20:23], 0 offset:8 ; 4-byte Folded Reload
	;; [unrolled: 1-line block ×3, first 2 shown]
	s_waitcnt lgkmcnt(0)
	v_mul_f64 v[85:86], v[97:98], v[99:100]
	v_fma_f64 v[85:86], v[95:96], v[93:94], -v[85:86]
	v_mul_f64 v[95:96], v[95:96], v[99:100]
	v_fma_f64 v[95:96], v[97:98], v[93:94], v[95:96]
	s_waitcnt vmcnt(2)
	v_add_f64 v[73:74], v[73:74], -v[85:86]
	s_waitcnt vmcnt(0)
	v_add_f64 v[75:76], v[75:76], -v[95:96]
	buffer_store_dword v73, off, s[20:23], 0 ; 4-byte Folded Spill
	s_nop 0
	buffer_store_dword v74, off, s[20:23], 0 offset:4 ; 4-byte Folded Spill
	buffer_store_dword v75, off, s[20:23], 0 offset:8 ; 4-byte Folded Spill
	;; [unrolled: 1-line block ×3, first 2 shown]
	ds_read2_b64 v[95:98], v125 offset0:10 offset1:11
	s_waitcnt lgkmcnt(0)
	v_mul_f64 v[85:86], v[97:98], v[99:100]
	v_fma_f64 v[85:86], v[95:96], v[93:94], -v[85:86]
	v_mul_f64 v[95:96], v[95:96], v[99:100]
	v_add_f64 v[65:66], v[65:66], -v[85:86]
	v_fma_f64 v[95:96], v[97:98], v[93:94], v[95:96]
	v_add_f64 v[67:68], v[67:68], -v[95:96]
	ds_read2_b64 v[95:98], v125 offset0:12 offset1:13
	s_waitcnt lgkmcnt(0)
	v_mul_f64 v[85:86], v[97:98], v[99:100]
	v_fma_f64 v[85:86], v[95:96], v[93:94], -v[85:86]
	v_mul_f64 v[95:96], v[95:96], v[99:100]
	v_add_f64 v[61:62], v[61:62], -v[85:86]
	v_fma_f64 v[95:96], v[97:98], v[93:94], v[95:96]
	v_add_f64 v[63:64], v[63:64], -v[95:96]
	;; [unrolled: 8-line block ×17, first 2 shown]
	ds_read2_b64 v[95:98], v125 offset0:44 offset1:45
	s_waitcnt lgkmcnt(0)
	v_mul_f64 v[85:86], v[97:98], v[99:100]
	v_fma_f64 v[85:86], v[95:96], v[93:94], -v[85:86]
	v_mul_f64 v[95:96], v[95:96], v[99:100]
	v_add_f64 v[69:70], v[69:70], -v[85:86]
	v_fma_f64 v[95:96], v[97:98], v[93:94], v[95:96]
	v_mov_b32_e32 v98, v94
	v_mov_b32_e32 v97, v93
	buffer_store_dword v97, off, s[20:23], 0 offset:16 ; 4-byte Folded Spill
	s_nop 0
	buffer_store_dword v98, off, s[20:23], 0 offset:20 ; 4-byte Folded Spill
	buffer_store_dword v99, off, s[20:23], 0 offset:24 ; 4-byte Folded Spill
	;; [unrolled: 1-line block ×3, first 2 shown]
	v_add_f64 v[71:72], v[71:72], -v[95:96]
.LBB45_19:
	s_or_b64 exec, exec, s[2:3]
	v_cmp_eq_u32_e32 vcc, 2, v0
	s_waitcnt vmcnt(0)
	s_barrier
	s_and_saveexec_b64 s[4:5], vcc
	s_cbranch_execz .LBB45_26
; %bb.20:
	ds_write2_b64 v127, v[121:122], v[123:124] offset1:1
	ds_write2_b64 v125, v[81:82], v[83:84] offset0:6 offset1:7
	buffer_load_dword v73, off, s[20:23], 0 ; 4-byte Folded Reload
	buffer_load_dword v74, off, s[20:23], 0 offset:4 ; 4-byte Folded Reload
	buffer_load_dword v75, off, s[20:23], 0 offset:8 ; 4-byte Folded Reload
	;; [unrolled: 1-line block ×3, first 2 shown]
	s_waitcnt vmcnt(0)
	ds_write2_b64 v125, v[73:74], v[75:76] offset0:8 offset1:9
	ds_write2_b64 v125, v[65:66], v[67:68] offset0:10 offset1:11
	;; [unrolled: 1-line block ×19, first 2 shown]
	ds_read2_b64 v[93:96], v127 offset1:1
	s_waitcnt lgkmcnt(0)
	v_cmp_neq_f64_e32 vcc, 0, v[93:94]
	v_cmp_neq_f64_e64 s[2:3], 0, v[95:96]
	s_or_b64 s[2:3], vcc, s[2:3]
	s_and_b64 exec, exec, s[2:3]
	s_cbranch_execz .LBB45_26
; %bb.21:
	v_cmp_ngt_f64_e64 s[2:3], |v[93:94]|, |v[95:96]|
                                        ; implicit-def: $vgpr97_vgpr98
	s_and_saveexec_b64 s[6:7], s[2:3]
	s_xor_b64 s[2:3], exec, s[6:7]
                                        ; implicit-def: $vgpr99_vgpr100
	s_cbranch_execz .LBB45_23
; %bb.22:
	v_div_scale_f64 v[97:98], s[6:7], v[95:96], v[95:96], v[93:94]
	v_rcp_f64_e32 v[99:100], v[97:98]
	v_fma_f64 v[101:102], -v[97:98], v[99:100], 1.0
	v_fma_f64 v[99:100], v[99:100], v[101:102], v[99:100]
	v_div_scale_f64 v[101:102], vcc, v[93:94], v[95:96], v[93:94]
	v_fma_f64 v[103:104], -v[97:98], v[99:100], 1.0
	v_fma_f64 v[99:100], v[99:100], v[103:104], v[99:100]
	v_mul_f64 v[103:104], v[101:102], v[99:100]
	v_fma_f64 v[97:98], -v[97:98], v[103:104], v[101:102]
	v_div_fmas_f64 v[97:98], v[97:98], v[99:100], v[103:104]
	v_div_fixup_f64 v[97:98], v[97:98], v[95:96], v[93:94]
	v_fma_f64 v[93:94], v[93:94], v[97:98], v[95:96]
	v_div_scale_f64 v[95:96], s[6:7], v[93:94], v[93:94], 1.0
	v_div_scale_f64 v[103:104], vcc, 1.0, v[93:94], 1.0
	v_rcp_f64_e32 v[99:100], v[95:96]
	v_fma_f64 v[101:102], -v[95:96], v[99:100], 1.0
	v_fma_f64 v[99:100], v[99:100], v[101:102], v[99:100]
	v_fma_f64 v[101:102], -v[95:96], v[99:100], 1.0
	v_fma_f64 v[99:100], v[99:100], v[101:102], v[99:100]
	v_mul_f64 v[101:102], v[103:104], v[99:100]
	v_fma_f64 v[95:96], -v[95:96], v[101:102], v[103:104]
	v_div_fmas_f64 v[95:96], v[95:96], v[99:100], v[101:102]
	v_div_fixup_f64 v[99:100], v[95:96], v[93:94], 1.0
                                        ; implicit-def: $vgpr93_vgpr94
	v_mul_f64 v[97:98], v[97:98], v[99:100]
	v_xor_b32_e32 v100, 0x80000000, v100
.LBB45_23:
	s_andn2_saveexec_b64 s[2:3], s[2:3]
	s_cbranch_execz .LBB45_25
; %bb.24:
	v_div_scale_f64 v[97:98], s[6:7], v[93:94], v[93:94], v[95:96]
	v_rcp_f64_e32 v[99:100], v[97:98]
	v_fma_f64 v[101:102], -v[97:98], v[99:100], 1.0
	v_fma_f64 v[99:100], v[99:100], v[101:102], v[99:100]
	v_div_scale_f64 v[101:102], vcc, v[95:96], v[93:94], v[95:96]
	v_fma_f64 v[103:104], -v[97:98], v[99:100], 1.0
	v_fma_f64 v[99:100], v[99:100], v[103:104], v[99:100]
	v_mul_f64 v[103:104], v[101:102], v[99:100]
	v_fma_f64 v[97:98], -v[97:98], v[103:104], v[101:102]
	v_div_fmas_f64 v[97:98], v[97:98], v[99:100], v[103:104]
	v_div_fixup_f64 v[99:100], v[97:98], v[93:94], v[95:96]
	v_fma_f64 v[93:94], v[95:96], v[99:100], v[93:94]
	v_div_scale_f64 v[95:96], s[6:7], v[93:94], v[93:94], 1.0
	v_div_scale_f64 v[103:104], vcc, 1.0, v[93:94], 1.0
	v_rcp_f64_e32 v[97:98], v[95:96]
	v_fma_f64 v[101:102], -v[95:96], v[97:98], 1.0
	v_fma_f64 v[97:98], v[97:98], v[101:102], v[97:98]
	v_fma_f64 v[101:102], -v[95:96], v[97:98], 1.0
	v_fma_f64 v[97:98], v[97:98], v[101:102], v[97:98]
	v_mul_f64 v[101:102], v[103:104], v[97:98]
	v_fma_f64 v[95:96], -v[95:96], v[101:102], v[103:104]
	v_div_fmas_f64 v[95:96], v[95:96], v[97:98], v[101:102]
	v_div_fixup_f64 v[97:98], v[95:96], v[93:94], 1.0
	v_mul_f64 v[99:100], v[99:100], -v[97:98]
.LBB45_25:
	s_or_b64 exec, exec, s[2:3]
	ds_write2_b64 v127, v[97:98], v[99:100] offset1:1
.LBB45_26:
	s_or_b64 exec, exec, s[4:5]
	s_waitcnt lgkmcnt(0)
	s_barrier
	ds_read2_b64 v[93:96], v127 offset1:1
	v_cmp_lt_u32_e32 vcc, 2, v0
	s_waitcnt lgkmcnt(0)
	buffer_store_dword v93, off, s[20:23], 0 offset:240 ; 4-byte Folded Spill
	s_nop 0
	buffer_store_dword v94, off, s[20:23], 0 offset:244 ; 4-byte Folded Spill
	buffer_store_dword v95, off, s[20:23], 0 offset:248 ; 4-byte Folded Spill
	;; [unrolled: 1-line block ×3, first 2 shown]
	s_and_saveexec_b64 s[2:3], vcc
	s_cbranch_execz .LBB45_28
; %bb.27:
	buffer_load_dword v95, off, s[20:23], 0 offset:240 ; 4-byte Folded Reload
	buffer_load_dword v96, off, s[20:23], 0 offset:244 ; 4-byte Folded Reload
	;; [unrolled: 1-line block ×4, first 2 shown]
	v_mov_b32_e32 v73, v81
	v_mov_b32_e32 v74, v82
	v_mov_b32_e32 v75, v83
	v_mov_b32_e32 v76, v84
	s_waitcnt vmcnt(2)
	v_mul_f64 v[83:84], v[95:96], v[123:124]
	s_waitcnt vmcnt(0)
	v_mul_f64 v[93:94], v[97:98], v[123:124]
	v_fma_f64 v[123:124], v[97:98], v[121:122], v[83:84]
	v_fma_f64 v[93:94], v[95:96], v[121:122], -v[93:94]
	ds_read2_b64 v[95:98], v125 offset0:6 offset1:7
	s_waitcnt lgkmcnt(0)
	v_mul_f64 v[81:82], v[97:98], v[123:124]
	v_mov_b32_e32 v122, v94
	v_mov_b32_e32 v121, v93
	v_fma_f64 v[81:82], v[95:96], v[93:94], -v[81:82]
	v_mul_f64 v[95:96], v[95:96], v[123:124]
	v_add_f64 v[73:74], v[73:74], -v[81:82]
	v_fma_f64 v[95:96], v[97:98], v[93:94], v[95:96]
	v_add_f64 v[75:76], v[75:76], -v[95:96]
	ds_read2_b64 v[95:98], v125 offset0:8 offset1:9
	buffer_load_dword v77, off, s[20:23], 0 ; 4-byte Folded Reload
	buffer_load_dword v78, off, s[20:23], 0 offset:4 ; 4-byte Folded Reload
	buffer_load_dword v79, off, s[20:23], 0 offset:8 ; 4-byte Folded Reload
	buffer_load_dword v80, off, s[20:23], 0 offset:12 ; 4-byte Folded Reload
	s_waitcnt lgkmcnt(0)
	v_mul_f64 v[81:82], v[97:98], v[123:124]
	v_fma_f64 v[81:82], v[95:96], v[93:94], -v[81:82]
	v_mul_f64 v[95:96], v[95:96], v[123:124]
	v_fma_f64 v[95:96], v[97:98], v[93:94], v[95:96]
	s_waitcnt vmcnt(2)
	v_add_f64 v[77:78], v[77:78], -v[81:82]
	s_waitcnt vmcnt(0)
	v_add_f64 v[79:80], v[79:80], -v[95:96]
	buffer_store_dword v77, off, s[20:23], 0 ; 4-byte Folded Spill
	s_nop 0
	buffer_store_dword v78, off, s[20:23], 0 offset:4 ; 4-byte Folded Spill
	buffer_store_dword v79, off, s[20:23], 0 offset:8 ; 4-byte Folded Spill
	;; [unrolled: 1-line block ×3, first 2 shown]
	ds_read2_b64 v[95:98], v125 offset0:10 offset1:11
	s_waitcnt lgkmcnt(0)
	v_mul_f64 v[81:82], v[97:98], v[123:124]
	v_fma_f64 v[81:82], v[95:96], v[93:94], -v[81:82]
	v_mul_f64 v[95:96], v[95:96], v[123:124]
	v_add_f64 v[65:66], v[65:66], -v[81:82]
	v_fma_f64 v[95:96], v[97:98], v[93:94], v[95:96]
	v_add_f64 v[67:68], v[67:68], -v[95:96]
	ds_read2_b64 v[95:98], v125 offset0:12 offset1:13
	s_waitcnt lgkmcnt(0)
	v_mul_f64 v[81:82], v[97:98], v[123:124]
	v_fma_f64 v[81:82], v[95:96], v[93:94], -v[81:82]
	v_mul_f64 v[95:96], v[95:96], v[123:124]
	v_add_f64 v[61:62], v[61:62], -v[81:82]
	v_fma_f64 v[95:96], v[97:98], v[93:94], v[95:96]
	v_add_f64 v[63:64], v[63:64], -v[95:96]
	;; [unrolled: 8-line block ×17, first 2 shown]
	ds_read2_b64 v[95:98], v125 offset0:44 offset1:45
	s_waitcnt lgkmcnt(0)
	v_mul_f64 v[81:82], v[97:98], v[123:124]
	v_fma_f64 v[81:82], v[95:96], v[93:94], -v[81:82]
	v_mul_f64 v[95:96], v[95:96], v[123:124]
	v_add_f64 v[69:70], v[69:70], -v[81:82]
	v_fma_f64 v[95:96], v[97:98], v[93:94], v[95:96]
	v_mov_b32_e32 v84, v76
	v_mov_b32_e32 v83, v75
	;; [unrolled: 1-line block ×4, first 2 shown]
	v_add_f64 v[71:72], v[71:72], -v[95:96]
.LBB45_28:
	s_or_b64 exec, exec, s[2:3]
	v_cmp_eq_u32_e32 vcc, 3, v0
	s_waitcnt vmcnt(0)
	s_barrier
	s_and_saveexec_b64 s[4:5], vcc
	s_cbranch_execz .LBB45_35
; %bb.29:
	ds_write2_b64 v127, v[81:82], v[83:84] offset1:1
	buffer_load_dword v73, off, s[20:23], 0 ; 4-byte Folded Reload
	buffer_load_dword v74, off, s[20:23], 0 offset:4 ; 4-byte Folded Reload
	buffer_load_dword v75, off, s[20:23], 0 offset:8 ; 4-byte Folded Reload
	;; [unrolled: 1-line block ×3, first 2 shown]
	s_waitcnt vmcnt(0)
	ds_write2_b64 v125, v[73:74], v[75:76] offset0:8 offset1:9
	ds_write2_b64 v125, v[65:66], v[67:68] offset0:10 offset1:11
	ds_write2_b64 v125, v[61:62], v[63:64] offset0:12 offset1:13
	ds_write2_b64 v125, v[57:58], v[59:60] offset0:14 offset1:15
	ds_write2_b64 v125, v[53:54], v[55:56] offset0:16 offset1:17
	ds_write2_b64 v125, v[49:50], v[51:52] offset0:18 offset1:19
	ds_write2_b64 v125, v[45:46], v[47:48] offset0:20 offset1:21
	ds_write2_b64 v125, v[41:42], v[43:44] offset0:22 offset1:23
	ds_write2_b64 v125, v[37:38], v[39:40] offset0:24 offset1:25
	ds_write2_b64 v125, v[33:34], v[35:36] offset0:26 offset1:27
	ds_write2_b64 v125, v[29:30], v[31:32] offset0:28 offset1:29
	ds_write2_b64 v125, v[25:26], v[27:28] offset0:30 offset1:31
	ds_write2_b64 v125, v[21:22], v[23:24] offset0:32 offset1:33
	ds_write2_b64 v125, v[17:18], v[19:20] offset0:34 offset1:35
	ds_write2_b64 v125, v[13:14], v[15:16] offset0:36 offset1:37
	ds_write2_b64 v125, v[9:10], v[11:12] offset0:38 offset1:39
	ds_write2_b64 v125, v[5:6], v[7:8] offset0:40 offset1:41
	ds_write2_b64 v125, v[1:2], v[3:4] offset0:42 offset1:43
	ds_write2_b64 v125, v[69:70], v[71:72] offset0:44 offset1:45
	ds_read2_b64 v[93:96], v127 offset1:1
	s_waitcnt lgkmcnt(0)
	v_cmp_neq_f64_e32 vcc, 0, v[93:94]
	v_cmp_neq_f64_e64 s[2:3], 0, v[95:96]
	s_or_b64 s[2:3], vcc, s[2:3]
	s_and_b64 exec, exec, s[2:3]
	s_cbranch_execz .LBB45_35
; %bb.30:
	v_cmp_ngt_f64_e64 s[2:3], |v[93:94]|, |v[95:96]|
                                        ; implicit-def: $vgpr97_vgpr98
	s_and_saveexec_b64 s[6:7], s[2:3]
	s_xor_b64 s[2:3], exec, s[6:7]
                                        ; implicit-def: $vgpr99_vgpr100
	s_cbranch_execz .LBB45_32
; %bb.31:
	v_div_scale_f64 v[97:98], s[6:7], v[95:96], v[95:96], v[93:94]
	v_rcp_f64_e32 v[99:100], v[97:98]
	v_fma_f64 v[101:102], -v[97:98], v[99:100], 1.0
	v_fma_f64 v[99:100], v[99:100], v[101:102], v[99:100]
	v_div_scale_f64 v[101:102], vcc, v[93:94], v[95:96], v[93:94]
	v_fma_f64 v[103:104], -v[97:98], v[99:100], 1.0
	v_fma_f64 v[99:100], v[99:100], v[103:104], v[99:100]
	v_mul_f64 v[103:104], v[101:102], v[99:100]
	v_fma_f64 v[97:98], -v[97:98], v[103:104], v[101:102]
	v_div_fmas_f64 v[97:98], v[97:98], v[99:100], v[103:104]
	v_div_fixup_f64 v[97:98], v[97:98], v[95:96], v[93:94]
	v_fma_f64 v[93:94], v[93:94], v[97:98], v[95:96]
	v_div_scale_f64 v[95:96], s[6:7], v[93:94], v[93:94], 1.0
	v_div_scale_f64 v[103:104], vcc, 1.0, v[93:94], 1.0
	v_rcp_f64_e32 v[99:100], v[95:96]
	v_fma_f64 v[101:102], -v[95:96], v[99:100], 1.0
	v_fma_f64 v[99:100], v[99:100], v[101:102], v[99:100]
	v_fma_f64 v[101:102], -v[95:96], v[99:100], 1.0
	v_fma_f64 v[99:100], v[99:100], v[101:102], v[99:100]
	v_mul_f64 v[101:102], v[103:104], v[99:100]
	v_fma_f64 v[95:96], -v[95:96], v[101:102], v[103:104]
	v_div_fmas_f64 v[95:96], v[95:96], v[99:100], v[101:102]
	v_div_fixup_f64 v[99:100], v[95:96], v[93:94], 1.0
                                        ; implicit-def: $vgpr93_vgpr94
	v_mul_f64 v[97:98], v[97:98], v[99:100]
	v_xor_b32_e32 v100, 0x80000000, v100
.LBB45_32:
	s_andn2_saveexec_b64 s[2:3], s[2:3]
	s_cbranch_execz .LBB45_34
; %bb.33:
	v_div_scale_f64 v[97:98], s[6:7], v[93:94], v[93:94], v[95:96]
	v_rcp_f64_e32 v[99:100], v[97:98]
	v_fma_f64 v[101:102], -v[97:98], v[99:100], 1.0
	v_fma_f64 v[99:100], v[99:100], v[101:102], v[99:100]
	v_div_scale_f64 v[101:102], vcc, v[95:96], v[93:94], v[95:96]
	v_fma_f64 v[103:104], -v[97:98], v[99:100], 1.0
	v_fma_f64 v[99:100], v[99:100], v[103:104], v[99:100]
	v_mul_f64 v[103:104], v[101:102], v[99:100]
	v_fma_f64 v[97:98], -v[97:98], v[103:104], v[101:102]
	v_div_fmas_f64 v[97:98], v[97:98], v[99:100], v[103:104]
	v_div_fixup_f64 v[99:100], v[97:98], v[93:94], v[95:96]
	v_fma_f64 v[93:94], v[95:96], v[99:100], v[93:94]
	v_div_scale_f64 v[95:96], s[6:7], v[93:94], v[93:94], 1.0
	v_div_scale_f64 v[103:104], vcc, 1.0, v[93:94], 1.0
	v_rcp_f64_e32 v[97:98], v[95:96]
	v_fma_f64 v[101:102], -v[95:96], v[97:98], 1.0
	v_fma_f64 v[97:98], v[97:98], v[101:102], v[97:98]
	v_fma_f64 v[101:102], -v[95:96], v[97:98], 1.0
	v_fma_f64 v[97:98], v[97:98], v[101:102], v[97:98]
	v_mul_f64 v[101:102], v[103:104], v[97:98]
	v_fma_f64 v[95:96], -v[95:96], v[101:102], v[103:104]
	v_div_fmas_f64 v[95:96], v[95:96], v[97:98], v[101:102]
	v_div_fixup_f64 v[97:98], v[95:96], v[93:94], 1.0
	v_mul_f64 v[99:100], v[99:100], -v[97:98]
.LBB45_34:
	s_or_b64 exec, exec, s[2:3]
	ds_write2_b64 v127, v[97:98], v[99:100] offset1:1
.LBB45_35:
	s_or_b64 exec, exec, s[4:5]
	s_waitcnt lgkmcnt(0)
	s_barrier
	ds_read2_b64 v[93:96], v127 offset1:1
	v_cmp_lt_u32_e32 vcc, 3, v0
	s_waitcnt lgkmcnt(0)
	buffer_store_dword v93, off, s[20:23], 0 offset:256 ; 4-byte Folded Spill
	s_nop 0
	buffer_store_dword v94, off, s[20:23], 0 offset:260 ; 4-byte Folded Spill
	buffer_store_dword v95, off, s[20:23], 0 offset:264 ; 4-byte Folded Spill
	;; [unrolled: 1-line block ×3, first 2 shown]
	s_and_saveexec_b64 s[2:3], vcc
	s_cbranch_execz .LBB45_37
; %bb.36:
	buffer_load_dword v95, off, s[20:23], 0 offset:256 ; 4-byte Folded Reload
	buffer_load_dword v96, off, s[20:23], 0 offset:260 ; 4-byte Folded Reload
	;; [unrolled: 1-line block ×4, first 2 shown]
	s_waitcnt vmcnt(2)
	v_mul_f64 v[79:80], v[95:96], v[83:84]
	s_waitcnt vmcnt(0)
	v_mul_f64 v[93:94], v[97:98], v[83:84]
	v_fma_f64 v[83:84], v[97:98], v[81:82], v[79:80]
	v_fma_f64 v[93:94], v[95:96], v[81:82], -v[93:94]
	ds_read2_b64 v[95:98], v125 offset0:8 offset1:9
	buffer_load_dword v73, off, s[20:23], 0 ; 4-byte Folded Reload
	buffer_load_dword v74, off, s[20:23], 0 offset:4 ; 4-byte Folded Reload
	buffer_load_dword v75, off, s[20:23], 0 offset:8 ; 4-byte Folded Reload
	buffer_load_dword v76, off, s[20:23], 0 offset:12 ; 4-byte Folded Reload
	s_waitcnt lgkmcnt(0)
	v_mul_f64 v[77:78], v[97:98], v[83:84]
	v_mov_b32_e32 v81, v93
	v_mov_b32_e32 v82, v94
	v_fma_f64 v[77:78], v[95:96], v[93:94], -v[77:78]
	v_mul_f64 v[95:96], v[95:96], v[83:84]
	v_fma_f64 v[95:96], v[97:98], v[93:94], v[95:96]
	s_waitcnt vmcnt(2)
	v_add_f64 v[73:74], v[73:74], -v[77:78]
	s_waitcnt vmcnt(0)
	v_add_f64 v[75:76], v[75:76], -v[95:96]
	buffer_store_dword v73, off, s[20:23], 0 ; 4-byte Folded Spill
	s_nop 0
	buffer_store_dword v74, off, s[20:23], 0 offset:4 ; 4-byte Folded Spill
	buffer_store_dword v75, off, s[20:23], 0 offset:8 ; 4-byte Folded Spill
	;; [unrolled: 1-line block ×3, first 2 shown]
	ds_read2_b64 v[95:98], v125 offset0:10 offset1:11
	s_waitcnt lgkmcnt(0)
	v_mul_f64 v[77:78], v[97:98], v[83:84]
	v_fma_f64 v[77:78], v[95:96], v[93:94], -v[77:78]
	v_mul_f64 v[95:96], v[95:96], v[83:84]
	v_add_f64 v[65:66], v[65:66], -v[77:78]
	v_fma_f64 v[95:96], v[97:98], v[93:94], v[95:96]
	v_add_f64 v[67:68], v[67:68], -v[95:96]
	ds_read2_b64 v[95:98], v125 offset0:12 offset1:13
	s_waitcnt lgkmcnt(0)
	v_mul_f64 v[77:78], v[97:98], v[83:84]
	v_fma_f64 v[77:78], v[95:96], v[93:94], -v[77:78]
	v_mul_f64 v[95:96], v[95:96], v[83:84]
	v_add_f64 v[61:62], v[61:62], -v[77:78]
	v_fma_f64 v[95:96], v[97:98], v[93:94], v[95:96]
	v_add_f64 v[63:64], v[63:64], -v[95:96]
	;; [unrolled: 8-line block ×18, first 2 shown]
.LBB45_37:
	s_or_b64 exec, exec, s[2:3]
	v_cmp_eq_u32_e32 vcc, 4, v0
	s_waitcnt vmcnt(0)
	s_barrier
	s_and_saveexec_b64 s[4:5], vcc
	s_cbranch_execz .LBB45_44
; %bb.38:
	buffer_load_dword v73, off, s[20:23], 0 ; 4-byte Folded Reload
	buffer_load_dword v74, off, s[20:23], 0 offset:4 ; 4-byte Folded Reload
	buffer_load_dword v75, off, s[20:23], 0 offset:8 ; 4-byte Folded Reload
	;; [unrolled: 1-line block ×3, first 2 shown]
	s_waitcnt vmcnt(0)
	ds_write2_b64 v127, v[73:74], v[75:76] offset1:1
	ds_write2_b64 v125, v[65:66], v[67:68] offset0:10 offset1:11
	ds_write2_b64 v125, v[61:62], v[63:64] offset0:12 offset1:13
	;; [unrolled: 1-line block ×18, first 2 shown]
	ds_read2_b64 v[93:96], v127 offset1:1
	s_waitcnt lgkmcnt(0)
	v_cmp_neq_f64_e32 vcc, 0, v[93:94]
	v_cmp_neq_f64_e64 s[2:3], 0, v[95:96]
	s_or_b64 s[2:3], vcc, s[2:3]
	s_and_b64 exec, exec, s[2:3]
	s_cbranch_execz .LBB45_44
; %bb.39:
	v_cmp_ngt_f64_e64 s[2:3], |v[93:94]|, |v[95:96]|
                                        ; implicit-def: $vgpr97_vgpr98
	s_and_saveexec_b64 s[6:7], s[2:3]
	s_xor_b64 s[2:3], exec, s[6:7]
                                        ; implicit-def: $vgpr99_vgpr100
	s_cbranch_execz .LBB45_41
; %bb.40:
	v_div_scale_f64 v[97:98], s[6:7], v[95:96], v[95:96], v[93:94]
	v_rcp_f64_e32 v[99:100], v[97:98]
	v_fma_f64 v[101:102], -v[97:98], v[99:100], 1.0
	v_fma_f64 v[99:100], v[99:100], v[101:102], v[99:100]
	v_div_scale_f64 v[101:102], vcc, v[93:94], v[95:96], v[93:94]
	v_fma_f64 v[103:104], -v[97:98], v[99:100], 1.0
	v_fma_f64 v[99:100], v[99:100], v[103:104], v[99:100]
	v_mul_f64 v[103:104], v[101:102], v[99:100]
	v_fma_f64 v[97:98], -v[97:98], v[103:104], v[101:102]
	v_div_fmas_f64 v[97:98], v[97:98], v[99:100], v[103:104]
	v_div_fixup_f64 v[97:98], v[97:98], v[95:96], v[93:94]
	v_fma_f64 v[93:94], v[93:94], v[97:98], v[95:96]
	v_div_scale_f64 v[95:96], s[6:7], v[93:94], v[93:94], 1.0
	v_div_scale_f64 v[103:104], vcc, 1.0, v[93:94], 1.0
	v_rcp_f64_e32 v[99:100], v[95:96]
	v_fma_f64 v[101:102], -v[95:96], v[99:100], 1.0
	v_fma_f64 v[99:100], v[99:100], v[101:102], v[99:100]
	v_fma_f64 v[101:102], -v[95:96], v[99:100], 1.0
	v_fma_f64 v[99:100], v[99:100], v[101:102], v[99:100]
	v_mul_f64 v[101:102], v[103:104], v[99:100]
	v_fma_f64 v[95:96], -v[95:96], v[101:102], v[103:104]
	v_div_fmas_f64 v[95:96], v[95:96], v[99:100], v[101:102]
	v_div_fixup_f64 v[99:100], v[95:96], v[93:94], 1.0
                                        ; implicit-def: $vgpr93_vgpr94
	v_mul_f64 v[97:98], v[97:98], v[99:100]
	v_xor_b32_e32 v100, 0x80000000, v100
.LBB45_41:
	s_andn2_saveexec_b64 s[2:3], s[2:3]
	s_cbranch_execz .LBB45_43
; %bb.42:
	v_div_scale_f64 v[97:98], s[6:7], v[93:94], v[93:94], v[95:96]
	v_rcp_f64_e32 v[99:100], v[97:98]
	v_fma_f64 v[101:102], -v[97:98], v[99:100], 1.0
	v_fma_f64 v[99:100], v[99:100], v[101:102], v[99:100]
	v_div_scale_f64 v[101:102], vcc, v[95:96], v[93:94], v[95:96]
	v_fma_f64 v[103:104], -v[97:98], v[99:100], 1.0
	v_fma_f64 v[99:100], v[99:100], v[103:104], v[99:100]
	v_mul_f64 v[103:104], v[101:102], v[99:100]
	v_fma_f64 v[97:98], -v[97:98], v[103:104], v[101:102]
	v_div_fmas_f64 v[97:98], v[97:98], v[99:100], v[103:104]
	v_div_fixup_f64 v[99:100], v[97:98], v[93:94], v[95:96]
	v_fma_f64 v[93:94], v[95:96], v[99:100], v[93:94]
	v_div_scale_f64 v[95:96], s[6:7], v[93:94], v[93:94], 1.0
	v_div_scale_f64 v[103:104], vcc, 1.0, v[93:94], 1.0
	v_rcp_f64_e32 v[97:98], v[95:96]
	v_fma_f64 v[101:102], -v[95:96], v[97:98], 1.0
	v_fma_f64 v[97:98], v[97:98], v[101:102], v[97:98]
	v_fma_f64 v[101:102], -v[95:96], v[97:98], 1.0
	v_fma_f64 v[97:98], v[97:98], v[101:102], v[97:98]
	v_mul_f64 v[101:102], v[103:104], v[97:98]
	v_fma_f64 v[95:96], -v[95:96], v[101:102], v[103:104]
	v_div_fmas_f64 v[95:96], v[95:96], v[97:98], v[101:102]
	v_div_fixup_f64 v[97:98], v[95:96], v[93:94], 1.0
	v_mul_f64 v[99:100], v[99:100], -v[97:98]
.LBB45_43:
	s_or_b64 exec, exec, s[2:3]
	ds_write2_b64 v127, v[97:98], v[99:100] offset1:1
.LBB45_44:
	s_or_b64 exec, exec, s[4:5]
	s_waitcnt lgkmcnt(0)
	s_barrier
	ds_read2_b64 v[93:96], v127 offset1:1
	v_cmp_lt_u32_e32 vcc, 4, v0
	s_waitcnt lgkmcnt(0)
	buffer_store_dword v93, off, s[20:23], 0 offset:272 ; 4-byte Folded Spill
	s_nop 0
	buffer_store_dword v94, off, s[20:23], 0 offset:276 ; 4-byte Folded Spill
	buffer_store_dword v95, off, s[20:23], 0 offset:280 ; 4-byte Folded Spill
	;; [unrolled: 1-line block ×3, first 2 shown]
	s_and_saveexec_b64 s[2:3], vcc
	s_cbranch_execz .LBB45_46
; %bb.45:
	buffer_load_dword v95, off, s[20:23], 0 offset:272 ; 4-byte Folded Reload
	buffer_load_dword v96, off, s[20:23], 0 offset:276 ; 4-byte Folded Reload
	;; [unrolled: 1-line block ×4, first 2 shown]
	buffer_load_dword v73, off, s[20:23], 0 ; 4-byte Folded Reload
	buffer_load_dword v74, off, s[20:23], 0 offset:4 ; 4-byte Folded Reload
	buffer_load_dword v75, off, s[20:23], 0 offset:8 ; 4-byte Folded Reload
	;; [unrolled: 1-line block ×3, first 2 shown]
	s_waitcnt vmcnt(0)
	v_mul_f64 v[93:94], v[97:98], v[75:76]
	v_mul_f64 v[75:76], v[95:96], v[75:76]
	v_fma_f64 v[93:94], v[95:96], v[73:74], -v[93:94]
	v_fma_f64 v[75:76], v[97:98], v[73:74], v[75:76]
	ds_read2_b64 v[95:98], v125 offset0:10 offset1:11
	s_waitcnt lgkmcnt(0)
	v_mul_f64 v[73:74], v[97:98], v[75:76]
	v_fma_f64 v[73:74], v[95:96], v[93:94], -v[73:74]
	v_mul_f64 v[95:96], v[95:96], v[75:76]
	v_add_f64 v[65:66], v[65:66], -v[73:74]
	v_fma_f64 v[95:96], v[97:98], v[93:94], v[95:96]
	v_add_f64 v[67:68], v[67:68], -v[95:96]
	ds_read2_b64 v[95:98], v125 offset0:12 offset1:13
	s_waitcnt lgkmcnt(0)
	v_mul_f64 v[73:74], v[97:98], v[75:76]
	v_fma_f64 v[73:74], v[95:96], v[93:94], -v[73:74]
	v_mul_f64 v[95:96], v[95:96], v[75:76]
	v_add_f64 v[61:62], v[61:62], -v[73:74]
	v_fma_f64 v[95:96], v[97:98], v[93:94], v[95:96]
	v_add_f64 v[63:64], v[63:64], -v[95:96]
	;; [unrolled: 8-line block ×17, first 2 shown]
	ds_read2_b64 v[95:98], v125 offset0:44 offset1:45
	s_waitcnt lgkmcnt(0)
	v_mul_f64 v[73:74], v[97:98], v[75:76]
	v_fma_f64 v[73:74], v[95:96], v[93:94], -v[73:74]
	v_mul_f64 v[95:96], v[95:96], v[75:76]
	v_add_f64 v[69:70], v[69:70], -v[73:74]
	v_fma_f64 v[95:96], v[97:98], v[93:94], v[95:96]
	v_mov_b32_e32 v73, v93
	v_mov_b32_e32 v74, v94
	buffer_store_dword v73, off, s[20:23], 0 ; 4-byte Folded Spill
	s_nop 0
	buffer_store_dword v74, off, s[20:23], 0 offset:4 ; 4-byte Folded Spill
	buffer_store_dword v75, off, s[20:23], 0 offset:8 ; 4-byte Folded Spill
	buffer_store_dword v76, off, s[20:23], 0 offset:12 ; 4-byte Folded Spill
	v_add_f64 v[71:72], v[71:72], -v[95:96]
.LBB45_46:
	s_or_b64 exec, exec, s[2:3]
	v_cmp_eq_u32_e32 vcc, 5, v0
	s_waitcnt vmcnt(0)
	s_barrier
	s_and_saveexec_b64 s[4:5], vcc
	s_cbranch_execz .LBB45_53
; %bb.47:
	ds_write2_b64 v127, v[65:66], v[67:68] offset1:1
	ds_write2_b64 v125, v[61:62], v[63:64] offset0:12 offset1:13
	ds_write2_b64 v125, v[57:58], v[59:60] offset0:14 offset1:15
	;; [unrolled: 1-line block ×17, first 2 shown]
	ds_read2_b64 v[93:96], v127 offset1:1
	s_waitcnt lgkmcnt(0)
	v_cmp_neq_f64_e32 vcc, 0, v[93:94]
	v_cmp_neq_f64_e64 s[2:3], 0, v[95:96]
	s_or_b64 s[2:3], vcc, s[2:3]
	s_and_b64 exec, exec, s[2:3]
	s_cbranch_execz .LBB45_53
; %bb.48:
	v_cmp_ngt_f64_e64 s[2:3], |v[93:94]|, |v[95:96]|
                                        ; implicit-def: $vgpr97_vgpr98
	s_and_saveexec_b64 s[6:7], s[2:3]
	s_xor_b64 s[2:3], exec, s[6:7]
                                        ; implicit-def: $vgpr99_vgpr100
	s_cbranch_execz .LBB45_50
; %bb.49:
	v_div_scale_f64 v[97:98], s[6:7], v[95:96], v[95:96], v[93:94]
	v_rcp_f64_e32 v[99:100], v[97:98]
	v_fma_f64 v[101:102], -v[97:98], v[99:100], 1.0
	v_fma_f64 v[99:100], v[99:100], v[101:102], v[99:100]
	v_div_scale_f64 v[101:102], vcc, v[93:94], v[95:96], v[93:94]
	v_fma_f64 v[103:104], -v[97:98], v[99:100], 1.0
	v_fma_f64 v[99:100], v[99:100], v[103:104], v[99:100]
	v_mul_f64 v[103:104], v[101:102], v[99:100]
	v_fma_f64 v[97:98], -v[97:98], v[103:104], v[101:102]
	v_div_fmas_f64 v[97:98], v[97:98], v[99:100], v[103:104]
	v_div_fixup_f64 v[97:98], v[97:98], v[95:96], v[93:94]
	v_fma_f64 v[93:94], v[93:94], v[97:98], v[95:96]
	v_div_scale_f64 v[95:96], s[6:7], v[93:94], v[93:94], 1.0
	v_div_scale_f64 v[103:104], vcc, 1.0, v[93:94], 1.0
	v_rcp_f64_e32 v[99:100], v[95:96]
	v_fma_f64 v[101:102], -v[95:96], v[99:100], 1.0
	v_fma_f64 v[99:100], v[99:100], v[101:102], v[99:100]
	v_fma_f64 v[101:102], -v[95:96], v[99:100], 1.0
	v_fma_f64 v[99:100], v[99:100], v[101:102], v[99:100]
	v_mul_f64 v[101:102], v[103:104], v[99:100]
	v_fma_f64 v[95:96], -v[95:96], v[101:102], v[103:104]
	v_div_fmas_f64 v[95:96], v[95:96], v[99:100], v[101:102]
	v_div_fixup_f64 v[99:100], v[95:96], v[93:94], 1.0
                                        ; implicit-def: $vgpr93_vgpr94
	v_mul_f64 v[97:98], v[97:98], v[99:100]
	v_xor_b32_e32 v100, 0x80000000, v100
.LBB45_50:
	s_andn2_saveexec_b64 s[2:3], s[2:3]
	s_cbranch_execz .LBB45_52
; %bb.51:
	v_div_scale_f64 v[97:98], s[6:7], v[93:94], v[93:94], v[95:96]
	v_rcp_f64_e32 v[99:100], v[97:98]
	v_fma_f64 v[101:102], -v[97:98], v[99:100], 1.0
	v_fma_f64 v[99:100], v[99:100], v[101:102], v[99:100]
	v_div_scale_f64 v[101:102], vcc, v[95:96], v[93:94], v[95:96]
	v_fma_f64 v[103:104], -v[97:98], v[99:100], 1.0
	v_fma_f64 v[99:100], v[99:100], v[103:104], v[99:100]
	v_mul_f64 v[103:104], v[101:102], v[99:100]
	v_fma_f64 v[97:98], -v[97:98], v[103:104], v[101:102]
	v_div_fmas_f64 v[97:98], v[97:98], v[99:100], v[103:104]
	v_div_fixup_f64 v[99:100], v[97:98], v[93:94], v[95:96]
	v_fma_f64 v[93:94], v[95:96], v[99:100], v[93:94]
	v_div_scale_f64 v[95:96], s[6:7], v[93:94], v[93:94], 1.0
	v_div_scale_f64 v[103:104], vcc, 1.0, v[93:94], 1.0
	v_rcp_f64_e32 v[97:98], v[95:96]
	v_fma_f64 v[101:102], -v[95:96], v[97:98], 1.0
	v_fma_f64 v[97:98], v[97:98], v[101:102], v[97:98]
	v_fma_f64 v[101:102], -v[95:96], v[97:98], 1.0
	v_fma_f64 v[97:98], v[97:98], v[101:102], v[97:98]
	v_mul_f64 v[101:102], v[103:104], v[97:98]
	v_fma_f64 v[95:96], -v[95:96], v[101:102], v[103:104]
	v_div_fmas_f64 v[95:96], v[95:96], v[97:98], v[101:102]
	v_div_fixup_f64 v[97:98], v[95:96], v[93:94], 1.0
	v_mul_f64 v[99:100], v[99:100], -v[97:98]
.LBB45_52:
	s_or_b64 exec, exec, s[2:3]
	ds_write2_b64 v127, v[97:98], v[99:100] offset1:1
.LBB45_53:
	s_or_b64 exec, exec, s[4:5]
	s_waitcnt lgkmcnt(0)
	s_barrier
	ds_read2_b64 v[93:96], v127 offset1:1
	v_cmp_lt_u32_e32 vcc, 5, v0
	s_waitcnt lgkmcnt(0)
	buffer_store_dword v93, off, s[20:23], 0 offset:288 ; 4-byte Folded Spill
	s_nop 0
	buffer_store_dword v94, off, s[20:23], 0 offset:292 ; 4-byte Folded Spill
	buffer_store_dword v95, off, s[20:23], 0 offset:296 ; 4-byte Folded Spill
	;; [unrolled: 1-line block ×3, first 2 shown]
	s_and_saveexec_b64 s[2:3], vcc
	s_cbranch_execz .LBB45_55
; %bb.54:
	buffer_load_dword v95, off, s[20:23], 0 offset:288 ; 4-byte Folded Reload
	buffer_load_dword v96, off, s[20:23], 0 offset:292 ; 4-byte Folded Reload
	;; [unrolled: 1-line block ×4, first 2 shown]
	s_waitcnt vmcnt(0)
	v_mul_f64 v[93:94], v[97:98], v[67:68]
	v_mul_f64 v[67:68], v[95:96], v[67:68]
	v_fma_f64 v[93:94], v[95:96], v[65:66], -v[93:94]
	v_fma_f64 v[67:68], v[97:98], v[65:66], v[67:68]
	ds_read2_b64 v[95:98], v125 offset0:12 offset1:13
	s_waitcnt lgkmcnt(0)
	v_mul_f64 v[65:66], v[97:98], v[67:68]
	v_fma_f64 v[65:66], v[95:96], v[93:94], -v[65:66]
	v_mul_f64 v[95:96], v[95:96], v[67:68]
	v_add_f64 v[61:62], v[61:62], -v[65:66]
	v_fma_f64 v[95:96], v[97:98], v[93:94], v[95:96]
	v_add_f64 v[63:64], v[63:64], -v[95:96]
	ds_read2_b64 v[95:98], v125 offset0:14 offset1:15
	s_waitcnt lgkmcnt(0)
	v_mul_f64 v[65:66], v[97:98], v[67:68]
	v_fma_f64 v[65:66], v[95:96], v[93:94], -v[65:66]
	v_mul_f64 v[95:96], v[95:96], v[67:68]
	v_add_f64 v[57:58], v[57:58], -v[65:66]
	v_fma_f64 v[95:96], v[97:98], v[93:94], v[95:96]
	v_add_f64 v[59:60], v[59:60], -v[95:96]
	;; [unrolled: 8-line block ×16, first 2 shown]
	ds_read2_b64 v[95:98], v125 offset0:44 offset1:45
	s_waitcnt lgkmcnt(0)
	v_mul_f64 v[65:66], v[97:98], v[67:68]
	v_fma_f64 v[65:66], v[95:96], v[93:94], -v[65:66]
	v_mul_f64 v[95:96], v[95:96], v[67:68]
	v_add_f64 v[69:70], v[69:70], -v[65:66]
	v_fma_f64 v[95:96], v[97:98], v[93:94], v[95:96]
	v_mov_b32_e32 v65, v93
	v_mov_b32_e32 v66, v94
	v_add_f64 v[71:72], v[71:72], -v[95:96]
.LBB45_55:
	s_or_b64 exec, exec, s[2:3]
	v_cmp_eq_u32_e32 vcc, 6, v0
	s_waitcnt vmcnt(0)
	s_barrier
	s_and_saveexec_b64 s[4:5], vcc
	s_cbranch_execz .LBB45_62
; %bb.56:
	ds_write2_b64 v127, v[61:62], v[63:64] offset1:1
	ds_write2_b64 v125, v[57:58], v[59:60] offset0:14 offset1:15
	ds_write2_b64 v125, v[53:54], v[55:56] offset0:16 offset1:17
	;; [unrolled: 1-line block ×16, first 2 shown]
	ds_read2_b64 v[93:96], v127 offset1:1
	s_waitcnt lgkmcnt(0)
	v_cmp_neq_f64_e32 vcc, 0, v[93:94]
	v_cmp_neq_f64_e64 s[2:3], 0, v[95:96]
	s_or_b64 s[2:3], vcc, s[2:3]
	s_and_b64 exec, exec, s[2:3]
	s_cbranch_execz .LBB45_62
; %bb.57:
	v_cmp_ngt_f64_e64 s[2:3], |v[93:94]|, |v[95:96]|
                                        ; implicit-def: $vgpr97_vgpr98
	s_and_saveexec_b64 s[6:7], s[2:3]
	s_xor_b64 s[2:3], exec, s[6:7]
                                        ; implicit-def: $vgpr99_vgpr100
	s_cbranch_execz .LBB45_59
; %bb.58:
	v_div_scale_f64 v[97:98], s[6:7], v[95:96], v[95:96], v[93:94]
	v_rcp_f64_e32 v[99:100], v[97:98]
	v_fma_f64 v[101:102], -v[97:98], v[99:100], 1.0
	v_fma_f64 v[99:100], v[99:100], v[101:102], v[99:100]
	v_div_scale_f64 v[101:102], vcc, v[93:94], v[95:96], v[93:94]
	v_fma_f64 v[103:104], -v[97:98], v[99:100], 1.0
	v_fma_f64 v[99:100], v[99:100], v[103:104], v[99:100]
	v_mul_f64 v[103:104], v[101:102], v[99:100]
	v_fma_f64 v[97:98], -v[97:98], v[103:104], v[101:102]
	v_div_fmas_f64 v[97:98], v[97:98], v[99:100], v[103:104]
	v_div_fixup_f64 v[97:98], v[97:98], v[95:96], v[93:94]
	v_fma_f64 v[93:94], v[93:94], v[97:98], v[95:96]
	v_div_scale_f64 v[95:96], s[6:7], v[93:94], v[93:94], 1.0
	v_div_scale_f64 v[103:104], vcc, 1.0, v[93:94], 1.0
	v_rcp_f64_e32 v[99:100], v[95:96]
	v_fma_f64 v[101:102], -v[95:96], v[99:100], 1.0
	v_fma_f64 v[99:100], v[99:100], v[101:102], v[99:100]
	v_fma_f64 v[101:102], -v[95:96], v[99:100], 1.0
	v_fma_f64 v[99:100], v[99:100], v[101:102], v[99:100]
	v_mul_f64 v[101:102], v[103:104], v[99:100]
	v_fma_f64 v[95:96], -v[95:96], v[101:102], v[103:104]
	v_div_fmas_f64 v[95:96], v[95:96], v[99:100], v[101:102]
	v_div_fixup_f64 v[99:100], v[95:96], v[93:94], 1.0
                                        ; implicit-def: $vgpr93_vgpr94
	v_mul_f64 v[97:98], v[97:98], v[99:100]
	v_xor_b32_e32 v100, 0x80000000, v100
.LBB45_59:
	s_andn2_saveexec_b64 s[2:3], s[2:3]
	s_cbranch_execz .LBB45_61
; %bb.60:
	v_div_scale_f64 v[97:98], s[6:7], v[93:94], v[93:94], v[95:96]
	v_rcp_f64_e32 v[99:100], v[97:98]
	v_fma_f64 v[101:102], -v[97:98], v[99:100], 1.0
	v_fma_f64 v[99:100], v[99:100], v[101:102], v[99:100]
	v_div_scale_f64 v[101:102], vcc, v[95:96], v[93:94], v[95:96]
	v_fma_f64 v[103:104], -v[97:98], v[99:100], 1.0
	v_fma_f64 v[99:100], v[99:100], v[103:104], v[99:100]
	v_mul_f64 v[103:104], v[101:102], v[99:100]
	v_fma_f64 v[97:98], -v[97:98], v[103:104], v[101:102]
	v_div_fmas_f64 v[97:98], v[97:98], v[99:100], v[103:104]
	v_div_fixup_f64 v[99:100], v[97:98], v[93:94], v[95:96]
	v_fma_f64 v[93:94], v[95:96], v[99:100], v[93:94]
	v_div_scale_f64 v[95:96], s[6:7], v[93:94], v[93:94], 1.0
	v_div_scale_f64 v[103:104], vcc, 1.0, v[93:94], 1.0
	v_rcp_f64_e32 v[97:98], v[95:96]
	v_fma_f64 v[101:102], -v[95:96], v[97:98], 1.0
	v_fma_f64 v[97:98], v[97:98], v[101:102], v[97:98]
	v_fma_f64 v[101:102], -v[95:96], v[97:98], 1.0
	v_fma_f64 v[97:98], v[97:98], v[101:102], v[97:98]
	v_mul_f64 v[101:102], v[103:104], v[97:98]
	v_fma_f64 v[95:96], -v[95:96], v[101:102], v[103:104]
	v_div_fmas_f64 v[95:96], v[95:96], v[97:98], v[101:102]
	v_div_fixup_f64 v[97:98], v[95:96], v[93:94], 1.0
	v_mul_f64 v[99:100], v[99:100], -v[97:98]
.LBB45_61:
	s_or_b64 exec, exec, s[2:3]
	ds_write2_b64 v127, v[97:98], v[99:100] offset1:1
.LBB45_62:
	s_or_b64 exec, exec, s[4:5]
	s_waitcnt lgkmcnt(0)
	s_barrier
	ds_read2_b64 v[93:96], v127 offset1:1
	v_cmp_lt_u32_e32 vcc, 6, v0
	s_waitcnt lgkmcnt(0)
	buffer_store_dword v93, off, s[20:23], 0 offset:304 ; 4-byte Folded Spill
	s_nop 0
	buffer_store_dword v94, off, s[20:23], 0 offset:308 ; 4-byte Folded Spill
	buffer_store_dword v95, off, s[20:23], 0 offset:312 ; 4-byte Folded Spill
	;; [unrolled: 1-line block ×3, first 2 shown]
	s_and_saveexec_b64 s[2:3], vcc
	s_cbranch_execz .LBB45_64
; %bb.63:
	buffer_load_dword v95, off, s[20:23], 0 offset:304 ; 4-byte Folded Reload
	buffer_load_dword v96, off, s[20:23], 0 offset:308 ; 4-byte Folded Reload
	;; [unrolled: 1-line block ×4, first 2 shown]
	s_waitcnt vmcnt(2)
	v_mul_f64 v[93:94], v[95:96], v[63:64]
	s_waitcnt vmcnt(0)
	v_mul_f64 v[63:64], v[97:98], v[63:64]
	v_fma_f64 v[93:94], v[97:98], v[61:62], v[93:94]
	v_fma_f64 v[61:62], v[95:96], v[61:62], -v[63:64]
	ds_read2_b64 v[95:98], v125 offset0:14 offset1:15
	s_waitcnt lgkmcnt(0)
	v_mul_f64 v[63:64], v[97:98], v[93:94]
	v_fma_f64 v[63:64], v[95:96], v[61:62], -v[63:64]
	v_mul_f64 v[95:96], v[95:96], v[93:94]
	v_add_f64 v[57:58], v[57:58], -v[63:64]
	v_fma_f64 v[95:96], v[97:98], v[61:62], v[95:96]
	v_add_f64 v[59:60], v[59:60], -v[95:96]
	ds_read2_b64 v[95:98], v125 offset0:16 offset1:17
	s_waitcnt lgkmcnt(0)
	v_mul_f64 v[63:64], v[97:98], v[93:94]
	v_fma_f64 v[63:64], v[95:96], v[61:62], -v[63:64]
	v_mul_f64 v[95:96], v[95:96], v[93:94]
	v_add_f64 v[53:54], v[53:54], -v[63:64]
	v_fma_f64 v[95:96], v[97:98], v[61:62], v[95:96]
	v_add_f64 v[55:56], v[55:56], -v[95:96]
	;; [unrolled: 8-line block ×15, first 2 shown]
	ds_read2_b64 v[95:98], v125 offset0:44 offset1:45
	s_waitcnt lgkmcnt(0)
	v_mul_f64 v[63:64], v[97:98], v[93:94]
	v_fma_f64 v[63:64], v[95:96], v[61:62], -v[63:64]
	v_mul_f64 v[95:96], v[95:96], v[93:94]
	v_add_f64 v[69:70], v[69:70], -v[63:64]
	v_fma_f64 v[95:96], v[97:98], v[61:62], v[95:96]
	v_mov_b32_e32 v63, v93
	v_mov_b32_e32 v64, v94
	v_add_f64 v[71:72], v[71:72], -v[95:96]
.LBB45_64:
	s_or_b64 exec, exec, s[2:3]
	v_cmp_eq_u32_e32 vcc, 7, v0
	s_waitcnt vmcnt(0)
	s_barrier
	s_and_saveexec_b64 s[4:5], vcc
	s_cbranch_execz .LBB45_71
; %bb.65:
	ds_write2_b64 v127, v[57:58], v[59:60] offset1:1
	ds_write2_b64 v125, v[53:54], v[55:56] offset0:16 offset1:17
	ds_write2_b64 v125, v[49:50], v[51:52] offset0:18 offset1:19
	;; [unrolled: 1-line block ×15, first 2 shown]
	ds_read2_b64 v[93:96], v127 offset1:1
	s_waitcnt lgkmcnt(0)
	v_cmp_neq_f64_e32 vcc, 0, v[93:94]
	v_cmp_neq_f64_e64 s[2:3], 0, v[95:96]
	s_or_b64 s[2:3], vcc, s[2:3]
	s_and_b64 exec, exec, s[2:3]
	s_cbranch_execz .LBB45_71
; %bb.66:
	v_cmp_ngt_f64_e64 s[2:3], |v[93:94]|, |v[95:96]|
                                        ; implicit-def: $vgpr97_vgpr98
	s_and_saveexec_b64 s[6:7], s[2:3]
	s_xor_b64 s[2:3], exec, s[6:7]
                                        ; implicit-def: $vgpr99_vgpr100
	s_cbranch_execz .LBB45_68
; %bb.67:
	v_div_scale_f64 v[97:98], s[6:7], v[95:96], v[95:96], v[93:94]
	v_rcp_f64_e32 v[99:100], v[97:98]
	v_fma_f64 v[101:102], -v[97:98], v[99:100], 1.0
	v_fma_f64 v[99:100], v[99:100], v[101:102], v[99:100]
	v_div_scale_f64 v[101:102], vcc, v[93:94], v[95:96], v[93:94]
	v_fma_f64 v[103:104], -v[97:98], v[99:100], 1.0
	v_fma_f64 v[99:100], v[99:100], v[103:104], v[99:100]
	v_mul_f64 v[103:104], v[101:102], v[99:100]
	v_fma_f64 v[97:98], -v[97:98], v[103:104], v[101:102]
	v_div_fmas_f64 v[97:98], v[97:98], v[99:100], v[103:104]
	v_div_fixup_f64 v[97:98], v[97:98], v[95:96], v[93:94]
	v_fma_f64 v[93:94], v[93:94], v[97:98], v[95:96]
	v_div_scale_f64 v[95:96], s[6:7], v[93:94], v[93:94], 1.0
	v_div_scale_f64 v[103:104], vcc, 1.0, v[93:94], 1.0
	v_rcp_f64_e32 v[99:100], v[95:96]
	v_fma_f64 v[101:102], -v[95:96], v[99:100], 1.0
	v_fma_f64 v[99:100], v[99:100], v[101:102], v[99:100]
	v_fma_f64 v[101:102], -v[95:96], v[99:100], 1.0
	v_fma_f64 v[99:100], v[99:100], v[101:102], v[99:100]
	v_mul_f64 v[101:102], v[103:104], v[99:100]
	v_fma_f64 v[95:96], -v[95:96], v[101:102], v[103:104]
	v_div_fmas_f64 v[95:96], v[95:96], v[99:100], v[101:102]
	v_div_fixup_f64 v[99:100], v[95:96], v[93:94], 1.0
                                        ; implicit-def: $vgpr93_vgpr94
	v_mul_f64 v[97:98], v[97:98], v[99:100]
	v_xor_b32_e32 v100, 0x80000000, v100
.LBB45_68:
	s_andn2_saveexec_b64 s[2:3], s[2:3]
	s_cbranch_execz .LBB45_70
; %bb.69:
	v_div_scale_f64 v[97:98], s[6:7], v[93:94], v[93:94], v[95:96]
	v_rcp_f64_e32 v[99:100], v[97:98]
	v_fma_f64 v[101:102], -v[97:98], v[99:100], 1.0
	v_fma_f64 v[99:100], v[99:100], v[101:102], v[99:100]
	v_div_scale_f64 v[101:102], vcc, v[95:96], v[93:94], v[95:96]
	v_fma_f64 v[103:104], -v[97:98], v[99:100], 1.0
	v_fma_f64 v[99:100], v[99:100], v[103:104], v[99:100]
	v_mul_f64 v[103:104], v[101:102], v[99:100]
	v_fma_f64 v[97:98], -v[97:98], v[103:104], v[101:102]
	v_div_fmas_f64 v[97:98], v[97:98], v[99:100], v[103:104]
	v_div_fixup_f64 v[99:100], v[97:98], v[93:94], v[95:96]
	v_fma_f64 v[93:94], v[95:96], v[99:100], v[93:94]
	v_div_scale_f64 v[95:96], s[6:7], v[93:94], v[93:94], 1.0
	v_div_scale_f64 v[103:104], vcc, 1.0, v[93:94], 1.0
	v_rcp_f64_e32 v[97:98], v[95:96]
	v_fma_f64 v[101:102], -v[95:96], v[97:98], 1.0
	v_fma_f64 v[97:98], v[97:98], v[101:102], v[97:98]
	v_fma_f64 v[101:102], -v[95:96], v[97:98], 1.0
	v_fma_f64 v[97:98], v[97:98], v[101:102], v[97:98]
	v_mul_f64 v[101:102], v[103:104], v[97:98]
	v_fma_f64 v[95:96], -v[95:96], v[101:102], v[103:104]
	v_div_fmas_f64 v[95:96], v[95:96], v[97:98], v[101:102]
	v_div_fixup_f64 v[97:98], v[95:96], v[93:94], 1.0
	v_mul_f64 v[99:100], v[99:100], -v[97:98]
.LBB45_70:
	s_or_b64 exec, exec, s[2:3]
	ds_write2_b64 v127, v[97:98], v[99:100] offset1:1
.LBB45_71:
	s_or_b64 exec, exec, s[4:5]
	s_waitcnt lgkmcnt(0)
	s_barrier
	ds_read2_b64 v[93:96], v127 offset1:1
	v_cmp_lt_u32_e32 vcc, 7, v0
	s_waitcnt lgkmcnt(0)
	buffer_store_dword v93, off, s[20:23], 0 offset:320 ; 4-byte Folded Spill
	s_nop 0
	buffer_store_dword v94, off, s[20:23], 0 offset:324 ; 4-byte Folded Spill
	buffer_store_dword v95, off, s[20:23], 0 offset:328 ; 4-byte Folded Spill
	;; [unrolled: 1-line block ×3, first 2 shown]
	s_and_saveexec_b64 s[2:3], vcc
	s_cbranch_execz .LBB45_73
; %bb.72:
	buffer_load_dword v95, off, s[20:23], 0 offset:320 ; 4-byte Folded Reload
	buffer_load_dword v96, off, s[20:23], 0 offset:324 ; 4-byte Folded Reload
	;; [unrolled: 1-line block ×4, first 2 shown]
	s_waitcnt vmcnt(2)
	v_mul_f64 v[93:94], v[95:96], v[59:60]
	s_waitcnt vmcnt(0)
	v_mul_f64 v[59:60], v[97:98], v[59:60]
	v_fma_f64 v[93:94], v[97:98], v[57:58], v[93:94]
	v_fma_f64 v[57:58], v[95:96], v[57:58], -v[59:60]
	ds_read2_b64 v[95:98], v125 offset0:16 offset1:17
	s_waitcnt lgkmcnt(0)
	v_mul_f64 v[59:60], v[97:98], v[93:94]
	v_fma_f64 v[59:60], v[95:96], v[57:58], -v[59:60]
	v_mul_f64 v[95:96], v[95:96], v[93:94]
	v_add_f64 v[53:54], v[53:54], -v[59:60]
	v_fma_f64 v[95:96], v[97:98], v[57:58], v[95:96]
	v_add_f64 v[55:56], v[55:56], -v[95:96]
	ds_read2_b64 v[95:98], v125 offset0:18 offset1:19
	s_waitcnt lgkmcnt(0)
	v_mul_f64 v[59:60], v[97:98], v[93:94]
	v_fma_f64 v[59:60], v[95:96], v[57:58], -v[59:60]
	v_mul_f64 v[95:96], v[95:96], v[93:94]
	v_add_f64 v[49:50], v[49:50], -v[59:60]
	v_fma_f64 v[95:96], v[97:98], v[57:58], v[95:96]
	v_add_f64 v[51:52], v[51:52], -v[95:96]
	;; [unrolled: 8-line block ×14, first 2 shown]
	ds_read2_b64 v[95:98], v125 offset0:44 offset1:45
	s_waitcnt lgkmcnt(0)
	v_mul_f64 v[59:60], v[97:98], v[93:94]
	v_fma_f64 v[59:60], v[95:96], v[57:58], -v[59:60]
	v_mul_f64 v[95:96], v[95:96], v[93:94]
	v_add_f64 v[69:70], v[69:70], -v[59:60]
	v_fma_f64 v[95:96], v[97:98], v[57:58], v[95:96]
	v_mov_b32_e32 v59, v93
	v_mov_b32_e32 v60, v94
	v_add_f64 v[71:72], v[71:72], -v[95:96]
.LBB45_73:
	s_or_b64 exec, exec, s[2:3]
	v_cmp_eq_u32_e32 vcc, 8, v0
	s_waitcnt vmcnt(0)
	s_barrier
	s_and_saveexec_b64 s[4:5], vcc
	s_cbranch_execz .LBB45_80
; %bb.74:
	ds_write2_b64 v127, v[53:54], v[55:56] offset1:1
	ds_write2_b64 v125, v[49:50], v[51:52] offset0:18 offset1:19
	ds_write2_b64 v125, v[45:46], v[47:48] offset0:20 offset1:21
	;; [unrolled: 1-line block ×14, first 2 shown]
	ds_read2_b64 v[93:96], v127 offset1:1
	s_waitcnt lgkmcnt(0)
	v_cmp_neq_f64_e32 vcc, 0, v[93:94]
	v_cmp_neq_f64_e64 s[2:3], 0, v[95:96]
	s_or_b64 s[2:3], vcc, s[2:3]
	s_and_b64 exec, exec, s[2:3]
	s_cbranch_execz .LBB45_80
; %bb.75:
	v_cmp_ngt_f64_e64 s[2:3], |v[93:94]|, |v[95:96]|
                                        ; implicit-def: $vgpr97_vgpr98
	s_and_saveexec_b64 s[6:7], s[2:3]
	s_xor_b64 s[2:3], exec, s[6:7]
                                        ; implicit-def: $vgpr99_vgpr100
	s_cbranch_execz .LBB45_77
; %bb.76:
	v_div_scale_f64 v[97:98], s[6:7], v[95:96], v[95:96], v[93:94]
	v_rcp_f64_e32 v[99:100], v[97:98]
	v_fma_f64 v[101:102], -v[97:98], v[99:100], 1.0
	v_fma_f64 v[99:100], v[99:100], v[101:102], v[99:100]
	v_div_scale_f64 v[101:102], vcc, v[93:94], v[95:96], v[93:94]
	v_fma_f64 v[103:104], -v[97:98], v[99:100], 1.0
	v_fma_f64 v[99:100], v[99:100], v[103:104], v[99:100]
	v_mul_f64 v[103:104], v[101:102], v[99:100]
	v_fma_f64 v[97:98], -v[97:98], v[103:104], v[101:102]
	v_div_fmas_f64 v[97:98], v[97:98], v[99:100], v[103:104]
	v_div_fixup_f64 v[97:98], v[97:98], v[95:96], v[93:94]
	v_fma_f64 v[93:94], v[93:94], v[97:98], v[95:96]
	v_div_scale_f64 v[95:96], s[6:7], v[93:94], v[93:94], 1.0
	v_div_scale_f64 v[103:104], vcc, 1.0, v[93:94], 1.0
	v_rcp_f64_e32 v[99:100], v[95:96]
	v_fma_f64 v[101:102], -v[95:96], v[99:100], 1.0
	v_fma_f64 v[99:100], v[99:100], v[101:102], v[99:100]
	v_fma_f64 v[101:102], -v[95:96], v[99:100], 1.0
	v_fma_f64 v[99:100], v[99:100], v[101:102], v[99:100]
	v_mul_f64 v[101:102], v[103:104], v[99:100]
	v_fma_f64 v[95:96], -v[95:96], v[101:102], v[103:104]
	v_div_fmas_f64 v[95:96], v[95:96], v[99:100], v[101:102]
	v_div_fixup_f64 v[99:100], v[95:96], v[93:94], 1.0
                                        ; implicit-def: $vgpr93_vgpr94
	v_mul_f64 v[97:98], v[97:98], v[99:100]
	v_xor_b32_e32 v100, 0x80000000, v100
.LBB45_77:
	s_andn2_saveexec_b64 s[2:3], s[2:3]
	s_cbranch_execz .LBB45_79
; %bb.78:
	v_div_scale_f64 v[97:98], s[6:7], v[93:94], v[93:94], v[95:96]
	v_rcp_f64_e32 v[99:100], v[97:98]
	v_fma_f64 v[101:102], -v[97:98], v[99:100], 1.0
	v_fma_f64 v[99:100], v[99:100], v[101:102], v[99:100]
	v_div_scale_f64 v[101:102], vcc, v[95:96], v[93:94], v[95:96]
	v_fma_f64 v[103:104], -v[97:98], v[99:100], 1.0
	v_fma_f64 v[99:100], v[99:100], v[103:104], v[99:100]
	v_mul_f64 v[103:104], v[101:102], v[99:100]
	v_fma_f64 v[97:98], -v[97:98], v[103:104], v[101:102]
	v_div_fmas_f64 v[97:98], v[97:98], v[99:100], v[103:104]
	v_div_fixup_f64 v[99:100], v[97:98], v[93:94], v[95:96]
	v_fma_f64 v[93:94], v[95:96], v[99:100], v[93:94]
	v_div_scale_f64 v[95:96], s[6:7], v[93:94], v[93:94], 1.0
	v_div_scale_f64 v[103:104], vcc, 1.0, v[93:94], 1.0
	v_rcp_f64_e32 v[97:98], v[95:96]
	v_fma_f64 v[101:102], -v[95:96], v[97:98], 1.0
	v_fma_f64 v[97:98], v[97:98], v[101:102], v[97:98]
	v_fma_f64 v[101:102], -v[95:96], v[97:98], 1.0
	v_fma_f64 v[97:98], v[97:98], v[101:102], v[97:98]
	v_mul_f64 v[101:102], v[103:104], v[97:98]
	v_fma_f64 v[95:96], -v[95:96], v[101:102], v[103:104]
	v_div_fmas_f64 v[95:96], v[95:96], v[97:98], v[101:102]
	v_div_fixup_f64 v[97:98], v[95:96], v[93:94], 1.0
	v_mul_f64 v[99:100], v[99:100], -v[97:98]
.LBB45_79:
	s_or_b64 exec, exec, s[2:3]
	ds_write2_b64 v127, v[97:98], v[99:100] offset1:1
.LBB45_80:
	s_or_b64 exec, exec, s[4:5]
	s_waitcnt lgkmcnt(0)
	s_barrier
	ds_read2_b64 v[93:96], v127 offset1:1
	v_cmp_lt_u32_e32 vcc, 8, v0
	s_waitcnt lgkmcnt(0)
	buffer_store_dword v93, off, s[20:23], 0 offset:336 ; 4-byte Folded Spill
	s_nop 0
	buffer_store_dword v94, off, s[20:23], 0 offset:340 ; 4-byte Folded Spill
	buffer_store_dword v95, off, s[20:23], 0 offset:344 ; 4-byte Folded Spill
	;; [unrolled: 1-line block ×3, first 2 shown]
	s_and_saveexec_b64 s[2:3], vcc
	s_cbranch_execz .LBB45_82
; %bb.81:
	buffer_load_dword v95, off, s[20:23], 0 offset:336 ; 4-byte Folded Reload
	buffer_load_dword v96, off, s[20:23], 0 offset:340 ; 4-byte Folded Reload
	;; [unrolled: 1-line block ×4, first 2 shown]
	s_waitcnt vmcnt(2)
	v_mul_f64 v[93:94], v[95:96], v[55:56]
	s_waitcnt vmcnt(0)
	v_mul_f64 v[55:56], v[97:98], v[55:56]
	v_fma_f64 v[93:94], v[97:98], v[53:54], v[93:94]
	v_fma_f64 v[53:54], v[95:96], v[53:54], -v[55:56]
	ds_read2_b64 v[95:98], v125 offset0:18 offset1:19
	s_waitcnt lgkmcnt(0)
	v_mul_f64 v[55:56], v[97:98], v[93:94]
	v_fma_f64 v[55:56], v[95:96], v[53:54], -v[55:56]
	v_mul_f64 v[95:96], v[95:96], v[93:94]
	v_add_f64 v[49:50], v[49:50], -v[55:56]
	v_fma_f64 v[95:96], v[97:98], v[53:54], v[95:96]
	v_add_f64 v[51:52], v[51:52], -v[95:96]
	ds_read2_b64 v[95:98], v125 offset0:20 offset1:21
	s_waitcnt lgkmcnt(0)
	v_mul_f64 v[55:56], v[97:98], v[93:94]
	v_fma_f64 v[55:56], v[95:96], v[53:54], -v[55:56]
	v_mul_f64 v[95:96], v[95:96], v[93:94]
	v_add_f64 v[45:46], v[45:46], -v[55:56]
	v_fma_f64 v[95:96], v[97:98], v[53:54], v[95:96]
	v_add_f64 v[47:48], v[47:48], -v[95:96]
	ds_read2_b64 v[95:98], v125 offset0:22 offset1:23
	s_waitcnt lgkmcnt(0)
	v_mul_f64 v[55:56], v[97:98], v[93:94]
	v_fma_f64 v[55:56], v[95:96], v[53:54], -v[55:56]
	v_mul_f64 v[95:96], v[95:96], v[93:94]
	v_add_f64 v[41:42], v[41:42], -v[55:56]
	v_fma_f64 v[95:96], v[97:98], v[53:54], v[95:96]
	v_add_f64 v[43:44], v[43:44], -v[95:96]
	ds_read2_b64 v[95:98], v125 offset0:24 offset1:25
	s_waitcnt lgkmcnt(0)
	v_mul_f64 v[55:56], v[97:98], v[93:94]
	v_fma_f64 v[55:56], v[95:96], v[53:54], -v[55:56]
	v_mul_f64 v[95:96], v[95:96], v[93:94]
	v_add_f64 v[37:38], v[37:38], -v[55:56]
	v_fma_f64 v[95:96], v[97:98], v[53:54], v[95:96]
	v_add_f64 v[39:40], v[39:40], -v[95:96]
	ds_read2_b64 v[95:98], v125 offset0:26 offset1:27
	s_waitcnt lgkmcnt(0)
	v_mul_f64 v[55:56], v[97:98], v[93:94]
	v_fma_f64 v[55:56], v[95:96], v[53:54], -v[55:56]
	v_mul_f64 v[95:96], v[95:96], v[93:94]
	v_add_f64 v[33:34], v[33:34], -v[55:56]
	v_fma_f64 v[95:96], v[97:98], v[53:54], v[95:96]
	v_add_f64 v[35:36], v[35:36], -v[95:96]
	ds_read2_b64 v[95:98], v125 offset0:28 offset1:29
	s_waitcnt lgkmcnt(0)
	v_mul_f64 v[55:56], v[97:98], v[93:94]
	v_fma_f64 v[55:56], v[95:96], v[53:54], -v[55:56]
	v_mul_f64 v[95:96], v[95:96], v[93:94]
	v_add_f64 v[29:30], v[29:30], -v[55:56]
	v_fma_f64 v[95:96], v[97:98], v[53:54], v[95:96]
	v_add_f64 v[31:32], v[31:32], -v[95:96]
	ds_read2_b64 v[95:98], v125 offset0:30 offset1:31
	s_waitcnt lgkmcnt(0)
	v_mul_f64 v[55:56], v[97:98], v[93:94]
	v_fma_f64 v[55:56], v[95:96], v[53:54], -v[55:56]
	v_mul_f64 v[95:96], v[95:96], v[93:94]
	v_add_f64 v[25:26], v[25:26], -v[55:56]
	v_fma_f64 v[95:96], v[97:98], v[53:54], v[95:96]
	v_add_f64 v[27:28], v[27:28], -v[95:96]
	ds_read2_b64 v[95:98], v125 offset0:32 offset1:33
	s_waitcnt lgkmcnt(0)
	v_mul_f64 v[55:56], v[97:98], v[93:94]
	v_fma_f64 v[55:56], v[95:96], v[53:54], -v[55:56]
	v_mul_f64 v[95:96], v[95:96], v[93:94]
	v_add_f64 v[21:22], v[21:22], -v[55:56]
	v_fma_f64 v[95:96], v[97:98], v[53:54], v[95:96]
	v_add_f64 v[23:24], v[23:24], -v[95:96]
	ds_read2_b64 v[95:98], v125 offset0:34 offset1:35
	s_waitcnt lgkmcnt(0)
	v_mul_f64 v[55:56], v[97:98], v[93:94]
	v_fma_f64 v[55:56], v[95:96], v[53:54], -v[55:56]
	v_mul_f64 v[95:96], v[95:96], v[93:94]
	v_add_f64 v[17:18], v[17:18], -v[55:56]
	v_fma_f64 v[95:96], v[97:98], v[53:54], v[95:96]
	v_add_f64 v[19:20], v[19:20], -v[95:96]
	ds_read2_b64 v[95:98], v125 offset0:36 offset1:37
	s_waitcnt lgkmcnt(0)
	v_mul_f64 v[55:56], v[97:98], v[93:94]
	v_fma_f64 v[55:56], v[95:96], v[53:54], -v[55:56]
	v_mul_f64 v[95:96], v[95:96], v[93:94]
	v_add_f64 v[13:14], v[13:14], -v[55:56]
	v_fma_f64 v[95:96], v[97:98], v[53:54], v[95:96]
	v_add_f64 v[15:16], v[15:16], -v[95:96]
	ds_read2_b64 v[95:98], v125 offset0:38 offset1:39
	s_waitcnt lgkmcnt(0)
	v_mul_f64 v[55:56], v[97:98], v[93:94]
	v_fma_f64 v[55:56], v[95:96], v[53:54], -v[55:56]
	v_mul_f64 v[95:96], v[95:96], v[93:94]
	v_add_f64 v[9:10], v[9:10], -v[55:56]
	v_fma_f64 v[95:96], v[97:98], v[53:54], v[95:96]
	v_add_f64 v[11:12], v[11:12], -v[95:96]
	ds_read2_b64 v[95:98], v125 offset0:40 offset1:41
	s_waitcnt lgkmcnt(0)
	v_mul_f64 v[55:56], v[97:98], v[93:94]
	v_fma_f64 v[55:56], v[95:96], v[53:54], -v[55:56]
	v_mul_f64 v[95:96], v[95:96], v[93:94]
	v_add_f64 v[5:6], v[5:6], -v[55:56]
	v_fma_f64 v[95:96], v[97:98], v[53:54], v[95:96]
	v_add_f64 v[7:8], v[7:8], -v[95:96]
	ds_read2_b64 v[95:98], v125 offset0:42 offset1:43
	s_waitcnt lgkmcnt(0)
	v_mul_f64 v[55:56], v[97:98], v[93:94]
	v_fma_f64 v[55:56], v[95:96], v[53:54], -v[55:56]
	v_mul_f64 v[95:96], v[95:96], v[93:94]
	v_add_f64 v[1:2], v[1:2], -v[55:56]
	v_fma_f64 v[95:96], v[97:98], v[53:54], v[95:96]
	v_add_f64 v[3:4], v[3:4], -v[95:96]
	ds_read2_b64 v[95:98], v125 offset0:44 offset1:45
	s_waitcnt lgkmcnt(0)
	v_mul_f64 v[55:56], v[97:98], v[93:94]
	v_fma_f64 v[55:56], v[95:96], v[53:54], -v[55:56]
	v_mul_f64 v[95:96], v[95:96], v[93:94]
	v_add_f64 v[69:70], v[69:70], -v[55:56]
	v_fma_f64 v[95:96], v[97:98], v[53:54], v[95:96]
	v_mov_b32_e32 v55, v93
	v_mov_b32_e32 v56, v94
	v_add_f64 v[71:72], v[71:72], -v[95:96]
.LBB45_82:
	s_or_b64 exec, exec, s[2:3]
	v_cmp_eq_u32_e32 vcc, 9, v0
	s_waitcnt vmcnt(0)
	s_barrier
	s_and_saveexec_b64 s[4:5], vcc
	s_cbranch_execz .LBB45_89
; %bb.83:
	ds_write2_b64 v127, v[49:50], v[51:52] offset1:1
	ds_write2_b64 v125, v[45:46], v[47:48] offset0:20 offset1:21
	ds_write2_b64 v125, v[41:42], v[43:44] offset0:22 offset1:23
	;; [unrolled: 1-line block ×13, first 2 shown]
	ds_read2_b64 v[93:96], v127 offset1:1
	s_waitcnt lgkmcnt(0)
	v_cmp_neq_f64_e32 vcc, 0, v[93:94]
	v_cmp_neq_f64_e64 s[2:3], 0, v[95:96]
	s_or_b64 s[2:3], vcc, s[2:3]
	s_and_b64 exec, exec, s[2:3]
	s_cbranch_execz .LBB45_89
; %bb.84:
	v_cmp_ngt_f64_e64 s[2:3], |v[93:94]|, |v[95:96]|
                                        ; implicit-def: $vgpr97_vgpr98
	s_and_saveexec_b64 s[6:7], s[2:3]
	s_xor_b64 s[2:3], exec, s[6:7]
                                        ; implicit-def: $vgpr99_vgpr100
	s_cbranch_execz .LBB45_86
; %bb.85:
	v_div_scale_f64 v[97:98], s[6:7], v[95:96], v[95:96], v[93:94]
	v_rcp_f64_e32 v[99:100], v[97:98]
	v_fma_f64 v[101:102], -v[97:98], v[99:100], 1.0
	v_fma_f64 v[99:100], v[99:100], v[101:102], v[99:100]
	v_div_scale_f64 v[101:102], vcc, v[93:94], v[95:96], v[93:94]
	v_fma_f64 v[103:104], -v[97:98], v[99:100], 1.0
	v_fma_f64 v[99:100], v[99:100], v[103:104], v[99:100]
	v_mul_f64 v[103:104], v[101:102], v[99:100]
	v_fma_f64 v[97:98], -v[97:98], v[103:104], v[101:102]
	v_div_fmas_f64 v[97:98], v[97:98], v[99:100], v[103:104]
	v_div_fixup_f64 v[97:98], v[97:98], v[95:96], v[93:94]
	v_fma_f64 v[93:94], v[93:94], v[97:98], v[95:96]
	v_div_scale_f64 v[95:96], s[6:7], v[93:94], v[93:94], 1.0
	v_div_scale_f64 v[103:104], vcc, 1.0, v[93:94], 1.0
	v_rcp_f64_e32 v[99:100], v[95:96]
	v_fma_f64 v[101:102], -v[95:96], v[99:100], 1.0
	v_fma_f64 v[99:100], v[99:100], v[101:102], v[99:100]
	v_fma_f64 v[101:102], -v[95:96], v[99:100], 1.0
	v_fma_f64 v[99:100], v[99:100], v[101:102], v[99:100]
	v_mul_f64 v[101:102], v[103:104], v[99:100]
	v_fma_f64 v[95:96], -v[95:96], v[101:102], v[103:104]
	v_div_fmas_f64 v[95:96], v[95:96], v[99:100], v[101:102]
	v_div_fixup_f64 v[99:100], v[95:96], v[93:94], 1.0
                                        ; implicit-def: $vgpr93_vgpr94
	v_mul_f64 v[97:98], v[97:98], v[99:100]
	v_xor_b32_e32 v100, 0x80000000, v100
.LBB45_86:
	s_andn2_saveexec_b64 s[2:3], s[2:3]
	s_cbranch_execz .LBB45_88
; %bb.87:
	v_div_scale_f64 v[97:98], s[6:7], v[93:94], v[93:94], v[95:96]
	v_rcp_f64_e32 v[99:100], v[97:98]
	v_fma_f64 v[101:102], -v[97:98], v[99:100], 1.0
	v_fma_f64 v[99:100], v[99:100], v[101:102], v[99:100]
	v_div_scale_f64 v[101:102], vcc, v[95:96], v[93:94], v[95:96]
	v_fma_f64 v[103:104], -v[97:98], v[99:100], 1.0
	v_fma_f64 v[99:100], v[99:100], v[103:104], v[99:100]
	v_mul_f64 v[103:104], v[101:102], v[99:100]
	v_fma_f64 v[97:98], -v[97:98], v[103:104], v[101:102]
	v_div_fmas_f64 v[97:98], v[97:98], v[99:100], v[103:104]
	v_div_fixup_f64 v[99:100], v[97:98], v[93:94], v[95:96]
	v_fma_f64 v[93:94], v[95:96], v[99:100], v[93:94]
	v_div_scale_f64 v[95:96], s[6:7], v[93:94], v[93:94], 1.0
	v_div_scale_f64 v[103:104], vcc, 1.0, v[93:94], 1.0
	v_rcp_f64_e32 v[97:98], v[95:96]
	v_fma_f64 v[101:102], -v[95:96], v[97:98], 1.0
	v_fma_f64 v[97:98], v[97:98], v[101:102], v[97:98]
	v_fma_f64 v[101:102], -v[95:96], v[97:98], 1.0
	v_fma_f64 v[97:98], v[97:98], v[101:102], v[97:98]
	v_mul_f64 v[101:102], v[103:104], v[97:98]
	v_fma_f64 v[95:96], -v[95:96], v[101:102], v[103:104]
	v_div_fmas_f64 v[95:96], v[95:96], v[97:98], v[101:102]
	v_div_fixup_f64 v[97:98], v[95:96], v[93:94], 1.0
	v_mul_f64 v[99:100], v[99:100], -v[97:98]
.LBB45_88:
	s_or_b64 exec, exec, s[2:3]
	ds_write2_b64 v127, v[97:98], v[99:100] offset1:1
.LBB45_89:
	s_or_b64 exec, exec, s[4:5]
	s_waitcnt lgkmcnt(0)
	s_barrier
	ds_read2_b64 v[93:96], v127 offset1:1
	v_cmp_lt_u32_e32 vcc, 9, v0
	s_waitcnt lgkmcnt(0)
	buffer_store_dword v93, off, s[20:23], 0 offset:352 ; 4-byte Folded Spill
	s_nop 0
	buffer_store_dword v94, off, s[20:23], 0 offset:356 ; 4-byte Folded Spill
	buffer_store_dword v95, off, s[20:23], 0 offset:360 ; 4-byte Folded Spill
	;; [unrolled: 1-line block ×3, first 2 shown]
	s_and_saveexec_b64 s[2:3], vcc
	s_cbranch_execz .LBB45_91
; %bb.90:
	buffer_load_dword v95, off, s[20:23], 0 offset:352 ; 4-byte Folded Reload
	buffer_load_dword v96, off, s[20:23], 0 offset:356 ; 4-byte Folded Reload
	;; [unrolled: 1-line block ×4, first 2 shown]
	s_waitcnt vmcnt(2)
	v_mul_f64 v[93:94], v[95:96], v[51:52]
	s_waitcnt vmcnt(0)
	v_mul_f64 v[51:52], v[97:98], v[51:52]
	v_fma_f64 v[93:94], v[97:98], v[49:50], v[93:94]
	v_fma_f64 v[49:50], v[95:96], v[49:50], -v[51:52]
	ds_read2_b64 v[95:98], v125 offset0:20 offset1:21
	s_waitcnt lgkmcnt(0)
	v_mul_f64 v[51:52], v[97:98], v[93:94]
	v_fma_f64 v[51:52], v[95:96], v[49:50], -v[51:52]
	v_mul_f64 v[95:96], v[95:96], v[93:94]
	v_add_f64 v[45:46], v[45:46], -v[51:52]
	v_fma_f64 v[95:96], v[97:98], v[49:50], v[95:96]
	v_add_f64 v[47:48], v[47:48], -v[95:96]
	ds_read2_b64 v[95:98], v125 offset0:22 offset1:23
	s_waitcnt lgkmcnt(0)
	v_mul_f64 v[51:52], v[97:98], v[93:94]
	v_fma_f64 v[51:52], v[95:96], v[49:50], -v[51:52]
	v_mul_f64 v[95:96], v[95:96], v[93:94]
	v_add_f64 v[41:42], v[41:42], -v[51:52]
	v_fma_f64 v[95:96], v[97:98], v[49:50], v[95:96]
	v_add_f64 v[43:44], v[43:44], -v[95:96]
	;; [unrolled: 8-line block ×12, first 2 shown]
	ds_read2_b64 v[95:98], v125 offset0:44 offset1:45
	s_waitcnt lgkmcnt(0)
	v_mul_f64 v[51:52], v[97:98], v[93:94]
	v_fma_f64 v[51:52], v[95:96], v[49:50], -v[51:52]
	v_mul_f64 v[95:96], v[95:96], v[93:94]
	v_add_f64 v[69:70], v[69:70], -v[51:52]
	v_fma_f64 v[95:96], v[97:98], v[49:50], v[95:96]
	v_mov_b32_e32 v51, v93
	v_mov_b32_e32 v52, v94
	v_add_f64 v[71:72], v[71:72], -v[95:96]
.LBB45_91:
	s_or_b64 exec, exec, s[2:3]
	v_cmp_eq_u32_e32 vcc, 10, v0
	s_waitcnt vmcnt(0)
	s_barrier
	s_and_saveexec_b64 s[4:5], vcc
	s_cbranch_execz .LBB45_98
; %bb.92:
	ds_write2_b64 v127, v[45:46], v[47:48] offset1:1
	ds_write2_b64 v125, v[41:42], v[43:44] offset0:22 offset1:23
	ds_write2_b64 v125, v[37:38], v[39:40] offset0:24 offset1:25
	;; [unrolled: 1-line block ×12, first 2 shown]
	ds_read2_b64 v[93:96], v127 offset1:1
	s_waitcnt lgkmcnt(0)
	v_cmp_neq_f64_e32 vcc, 0, v[93:94]
	v_cmp_neq_f64_e64 s[2:3], 0, v[95:96]
	s_or_b64 s[2:3], vcc, s[2:3]
	s_and_b64 exec, exec, s[2:3]
	s_cbranch_execz .LBB45_98
; %bb.93:
	v_cmp_ngt_f64_e64 s[2:3], |v[93:94]|, |v[95:96]|
                                        ; implicit-def: $vgpr97_vgpr98
	s_and_saveexec_b64 s[6:7], s[2:3]
	s_xor_b64 s[2:3], exec, s[6:7]
                                        ; implicit-def: $vgpr99_vgpr100
	s_cbranch_execz .LBB45_95
; %bb.94:
	v_div_scale_f64 v[97:98], s[6:7], v[95:96], v[95:96], v[93:94]
	v_rcp_f64_e32 v[99:100], v[97:98]
	v_fma_f64 v[101:102], -v[97:98], v[99:100], 1.0
	v_fma_f64 v[99:100], v[99:100], v[101:102], v[99:100]
	v_div_scale_f64 v[101:102], vcc, v[93:94], v[95:96], v[93:94]
	v_fma_f64 v[103:104], -v[97:98], v[99:100], 1.0
	v_fma_f64 v[99:100], v[99:100], v[103:104], v[99:100]
	v_mul_f64 v[103:104], v[101:102], v[99:100]
	v_fma_f64 v[97:98], -v[97:98], v[103:104], v[101:102]
	v_div_fmas_f64 v[97:98], v[97:98], v[99:100], v[103:104]
	v_div_fixup_f64 v[97:98], v[97:98], v[95:96], v[93:94]
	v_fma_f64 v[93:94], v[93:94], v[97:98], v[95:96]
	v_div_scale_f64 v[95:96], s[6:7], v[93:94], v[93:94], 1.0
	v_div_scale_f64 v[103:104], vcc, 1.0, v[93:94], 1.0
	v_rcp_f64_e32 v[99:100], v[95:96]
	v_fma_f64 v[101:102], -v[95:96], v[99:100], 1.0
	v_fma_f64 v[99:100], v[99:100], v[101:102], v[99:100]
	v_fma_f64 v[101:102], -v[95:96], v[99:100], 1.0
	v_fma_f64 v[99:100], v[99:100], v[101:102], v[99:100]
	v_mul_f64 v[101:102], v[103:104], v[99:100]
	v_fma_f64 v[95:96], -v[95:96], v[101:102], v[103:104]
	v_div_fmas_f64 v[95:96], v[95:96], v[99:100], v[101:102]
	v_div_fixup_f64 v[99:100], v[95:96], v[93:94], 1.0
                                        ; implicit-def: $vgpr93_vgpr94
	v_mul_f64 v[97:98], v[97:98], v[99:100]
	v_xor_b32_e32 v100, 0x80000000, v100
.LBB45_95:
	s_andn2_saveexec_b64 s[2:3], s[2:3]
	s_cbranch_execz .LBB45_97
; %bb.96:
	v_div_scale_f64 v[97:98], s[6:7], v[93:94], v[93:94], v[95:96]
	v_rcp_f64_e32 v[99:100], v[97:98]
	v_fma_f64 v[101:102], -v[97:98], v[99:100], 1.0
	v_fma_f64 v[99:100], v[99:100], v[101:102], v[99:100]
	v_div_scale_f64 v[101:102], vcc, v[95:96], v[93:94], v[95:96]
	v_fma_f64 v[103:104], -v[97:98], v[99:100], 1.0
	v_fma_f64 v[99:100], v[99:100], v[103:104], v[99:100]
	v_mul_f64 v[103:104], v[101:102], v[99:100]
	v_fma_f64 v[97:98], -v[97:98], v[103:104], v[101:102]
	v_div_fmas_f64 v[97:98], v[97:98], v[99:100], v[103:104]
	v_div_fixup_f64 v[99:100], v[97:98], v[93:94], v[95:96]
	v_fma_f64 v[93:94], v[95:96], v[99:100], v[93:94]
	v_div_scale_f64 v[95:96], s[6:7], v[93:94], v[93:94], 1.0
	v_div_scale_f64 v[103:104], vcc, 1.0, v[93:94], 1.0
	v_rcp_f64_e32 v[97:98], v[95:96]
	v_fma_f64 v[101:102], -v[95:96], v[97:98], 1.0
	v_fma_f64 v[97:98], v[97:98], v[101:102], v[97:98]
	v_fma_f64 v[101:102], -v[95:96], v[97:98], 1.0
	v_fma_f64 v[97:98], v[97:98], v[101:102], v[97:98]
	v_mul_f64 v[101:102], v[103:104], v[97:98]
	v_fma_f64 v[95:96], -v[95:96], v[101:102], v[103:104]
	v_div_fmas_f64 v[95:96], v[95:96], v[97:98], v[101:102]
	v_div_fixup_f64 v[97:98], v[95:96], v[93:94], 1.0
	v_mul_f64 v[99:100], v[99:100], -v[97:98]
.LBB45_97:
	s_or_b64 exec, exec, s[2:3]
	ds_write2_b64 v127, v[97:98], v[99:100] offset1:1
.LBB45_98:
	s_or_b64 exec, exec, s[4:5]
	s_waitcnt lgkmcnt(0)
	s_barrier
	ds_read2_b64 v[93:96], v127 offset1:1
	v_cmp_lt_u32_e32 vcc, 10, v0
	s_waitcnt lgkmcnt(0)
	buffer_store_dword v93, off, s[20:23], 0 offset:368 ; 4-byte Folded Spill
	s_nop 0
	buffer_store_dword v94, off, s[20:23], 0 offset:372 ; 4-byte Folded Spill
	buffer_store_dword v95, off, s[20:23], 0 offset:376 ; 4-byte Folded Spill
	;; [unrolled: 1-line block ×3, first 2 shown]
	s_and_saveexec_b64 s[2:3], vcc
	s_cbranch_execz .LBB45_100
; %bb.99:
	buffer_load_dword v95, off, s[20:23], 0 offset:368 ; 4-byte Folded Reload
	buffer_load_dword v96, off, s[20:23], 0 offset:372 ; 4-byte Folded Reload
	;; [unrolled: 1-line block ×4, first 2 shown]
	s_waitcnt vmcnt(2)
	v_mul_f64 v[93:94], v[95:96], v[47:48]
	s_waitcnt vmcnt(0)
	v_mul_f64 v[47:48], v[97:98], v[47:48]
	v_fma_f64 v[93:94], v[97:98], v[45:46], v[93:94]
	v_fma_f64 v[45:46], v[95:96], v[45:46], -v[47:48]
	ds_read2_b64 v[95:98], v125 offset0:22 offset1:23
	s_waitcnt lgkmcnt(0)
	v_mul_f64 v[47:48], v[97:98], v[93:94]
	v_fma_f64 v[47:48], v[95:96], v[45:46], -v[47:48]
	v_mul_f64 v[95:96], v[95:96], v[93:94]
	v_add_f64 v[41:42], v[41:42], -v[47:48]
	v_fma_f64 v[95:96], v[97:98], v[45:46], v[95:96]
	v_add_f64 v[43:44], v[43:44], -v[95:96]
	ds_read2_b64 v[95:98], v125 offset0:24 offset1:25
	s_waitcnt lgkmcnt(0)
	v_mul_f64 v[47:48], v[97:98], v[93:94]
	v_fma_f64 v[47:48], v[95:96], v[45:46], -v[47:48]
	v_mul_f64 v[95:96], v[95:96], v[93:94]
	v_add_f64 v[37:38], v[37:38], -v[47:48]
	v_fma_f64 v[95:96], v[97:98], v[45:46], v[95:96]
	v_add_f64 v[39:40], v[39:40], -v[95:96]
	;; [unrolled: 8-line block ×11, first 2 shown]
	ds_read2_b64 v[95:98], v125 offset0:44 offset1:45
	s_waitcnt lgkmcnt(0)
	v_mul_f64 v[47:48], v[97:98], v[93:94]
	v_fma_f64 v[47:48], v[95:96], v[45:46], -v[47:48]
	v_mul_f64 v[95:96], v[95:96], v[93:94]
	v_add_f64 v[69:70], v[69:70], -v[47:48]
	v_fma_f64 v[95:96], v[97:98], v[45:46], v[95:96]
	v_mov_b32_e32 v47, v93
	v_mov_b32_e32 v48, v94
	v_add_f64 v[71:72], v[71:72], -v[95:96]
.LBB45_100:
	s_or_b64 exec, exec, s[2:3]
	v_cmp_eq_u32_e32 vcc, 11, v0
	s_waitcnt vmcnt(0)
	s_barrier
	s_and_saveexec_b64 s[4:5], vcc
	s_cbranch_execz .LBB45_107
; %bb.101:
	ds_write2_b64 v127, v[41:42], v[43:44] offset1:1
	ds_write2_b64 v125, v[37:38], v[39:40] offset0:24 offset1:25
	ds_write2_b64 v125, v[33:34], v[35:36] offset0:26 offset1:27
	;; [unrolled: 1-line block ×11, first 2 shown]
	ds_read2_b64 v[93:96], v127 offset1:1
	s_waitcnt lgkmcnt(0)
	v_cmp_neq_f64_e32 vcc, 0, v[93:94]
	v_cmp_neq_f64_e64 s[2:3], 0, v[95:96]
	s_or_b64 s[2:3], vcc, s[2:3]
	s_and_b64 exec, exec, s[2:3]
	s_cbranch_execz .LBB45_107
; %bb.102:
	v_cmp_ngt_f64_e64 s[2:3], |v[93:94]|, |v[95:96]|
                                        ; implicit-def: $vgpr97_vgpr98
	s_and_saveexec_b64 s[6:7], s[2:3]
	s_xor_b64 s[2:3], exec, s[6:7]
                                        ; implicit-def: $vgpr99_vgpr100
	s_cbranch_execz .LBB45_104
; %bb.103:
	v_div_scale_f64 v[97:98], s[6:7], v[95:96], v[95:96], v[93:94]
	v_rcp_f64_e32 v[99:100], v[97:98]
	v_fma_f64 v[101:102], -v[97:98], v[99:100], 1.0
	v_fma_f64 v[99:100], v[99:100], v[101:102], v[99:100]
	v_div_scale_f64 v[101:102], vcc, v[93:94], v[95:96], v[93:94]
	v_fma_f64 v[103:104], -v[97:98], v[99:100], 1.0
	v_fma_f64 v[99:100], v[99:100], v[103:104], v[99:100]
	v_mul_f64 v[103:104], v[101:102], v[99:100]
	v_fma_f64 v[97:98], -v[97:98], v[103:104], v[101:102]
	v_div_fmas_f64 v[97:98], v[97:98], v[99:100], v[103:104]
	v_div_fixup_f64 v[97:98], v[97:98], v[95:96], v[93:94]
	v_fma_f64 v[93:94], v[93:94], v[97:98], v[95:96]
	v_div_scale_f64 v[95:96], s[6:7], v[93:94], v[93:94], 1.0
	v_div_scale_f64 v[103:104], vcc, 1.0, v[93:94], 1.0
	v_rcp_f64_e32 v[99:100], v[95:96]
	v_fma_f64 v[101:102], -v[95:96], v[99:100], 1.0
	v_fma_f64 v[99:100], v[99:100], v[101:102], v[99:100]
	v_fma_f64 v[101:102], -v[95:96], v[99:100], 1.0
	v_fma_f64 v[99:100], v[99:100], v[101:102], v[99:100]
	v_mul_f64 v[101:102], v[103:104], v[99:100]
	v_fma_f64 v[95:96], -v[95:96], v[101:102], v[103:104]
	v_div_fmas_f64 v[95:96], v[95:96], v[99:100], v[101:102]
	v_div_fixup_f64 v[99:100], v[95:96], v[93:94], 1.0
                                        ; implicit-def: $vgpr93_vgpr94
	v_mul_f64 v[97:98], v[97:98], v[99:100]
	v_xor_b32_e32 v100, 0x80000000, v100
.LBB45_104:
	s_andn2_saveexec_b64 s[2:3], s[2:3]
	s_cbranch_execz .LBB45_106
; %bb.105:
	v_div_scale_f64 v[97:98], s[6:7], v[93:94], v[93:94], v[95:96]
	v_rcp_f64_e32 v[99:100], v[97:98]
	v_fma_f64 v[101:102], -v[97:98], v[99:100], 1.0
	v_fma_f64 v[99:100], v[99:100], v[101:102], v[99:100]
	v_div_scale_f64 v[101:102], vcc, v[95:96], v[93:94], v[95:96]
	v_fma_f64 v[103:104], -v[97:98], v[99:100], 1.0
	v_fma_f64 v[99:100], v[99:100], v[103:104], v[99:100]
	v_mul_f64 v[103:104], v[101:102], v[99:100]
	v_fma_f64 v[97:98], -v[97:98], v[103:104], v[101:102]
	v_div_fmas_f64 v[97:98], v[97:98], v[99:100], v[103:104]
	v_div_fixup_f64 v[99:100], v[97:98], v[93:94], v[95:96]
	v_fma_f64 v[93:94], v[95:96], v[99:100], v[93:94]
	v_div_scale_f64 v[95:96], s[6:7], v[93:94], v[93:94], 1.0
	v_div_scale_f64 v[103:104], vcc, 1.0, v[93:94], 1.0
	v_rcp_f64_e32 v[97:98], v[95:96]
	v_fma_f64 v[101:102], -v[95:96], v[97:98], 1.0
	v_fma_f64 v[97:98], v[97:98], v[101:102], v[97:98]
	v_fma_f64 v[101:102], -v[95:96], v[97:98], 1.0
	v_fma_f64 v[97:98], v[97:98], v[101:102], v[97:98]
	v_mul_f64 v[101:102], v[103:104], v[97:98]
	v_fma_f64 v[95:96], -v[95:96], v[101:102], v[103:104]
	v_div_fmas_f64 v[95:96], v[95:96], v[97:98], v[101:102]
	v_div_fixup_f64 v[97:98], v[95:96], v[93:94], 1.0
	v_mul_f64 v[99:100], v[99:100], -v[97:98]
.LBB45_106:
	s_or_b64 exec, exec, s[2:3]
	ds_write2_b64 v127, v[97:98], v[99:100] offset1:1
.LBB45_107:
	s_or_b64 exec, exec, s[4:5]
	s_waitcnt lgkmcnt(0)
	s_barrier
	ds_read2_b64 v[93:96], v127 offset1:1
	v_cmp_lt_u32_e32 vcc, 11, v0
	s_waitcnt lgkmcnt(0)
	buffer_store_dword v93, off, s[20:23], 0 offset:384 ; 4-byte Folded Spill
	s_nop 0
	buffer_store_dword v94, off, s[20:23], 0 offset:388 ; 4-byte Folded Spill
	buffer_store_dword v95, off, s[20:23], 0 offset:392 ; 4-byte Folded Spill
	;; [unrolled: 1-line block ×3, first 2 shown]
	s_and_saveexec_b64 s[2:3], vcc
	s_cbranch_execz .LBB45_109
; %bb.108:
	buffer_load_dword v95, off, s[20:23], 0 offset:384 ; 4-byte Folded Reload
	buffer_load_dword v96, off, s[20:23], 0 offset:388 ; 4-byte Folded Reload
	;; [unrolled: 1-line block ×4, first 2 shown]
	s_waitcnt vmcnt(2)
	v_mul_f64 v[93:94], v[95:96], v[43:44]
	s_waitcnt vmcnt(0)
	v_mul_f64 v[43:44], v[97:98], v[43:44]
	v_fma_f64 v[93:94], v[97:98], v[41:42], v[93:94]
	v_fma_f64 v[41:42], v[95:96], v[41:42], -v[43:44]
	ds_read2_b64 v[95:98], v125 offset0:24 offset1:25
	s_waitcnt lgkmcnt(0)
	v_mul_f64 v[43:44], v[97:98], v[93:94]
	v_fma_f64 v[43:44], v[95:96], v[41:42], -v[43:44]
	v_mul_f64 v[95:96], v[95:96], v[93:94]
	v_add_f64 v[37:38], v[37:38], -v[43:44]
	v_fma_f64 v[95:96], v[97:98], v[41:42], v[95:96]
	v_add_f64 v[39:40], v[39:40], -v[95:96]
	ds_read2_b64 v[95:98], v125 offset0:26 offset1:27
	s_waitcnt lgkmcnt(0)
	v_mul_f64 v[43:44], v[97:98], v[93:94]
	v_fma_f64 v[43:44], v[95:96], v[41:42], -v[43:44]
	v_mul_f64 v[95:96], v[95:96], v[93:94]
	v_add_f64 v[33:34], v[33:34], -v[43:44]
	v_fma_f64 v[95:96], v[97:98], v[41:42], v[95:96]
	v_add_f64 v[35:36], v[35:36], -v[95:96]
	;; [unrolled: 8-line block ×10, first 2 shown]
	ds_read2_b64 v[95:98], v125 offset0:44 offset1:45
	s_waitcnt lgkmcnt(0)
	v_mul_f64 v[43:44], v[97:98], v[93:94]
	v_fma_f64 v[43:44], v[95:96], v[41:42], -v[43:44]
	v_mul_f64 v[95:96], v[95:96], v[93:94]
	v_add_f64 v[69:70], v[69:70], -v[43:44]
	v_fma_f64 v[95:96], v[97:98], v[41:42], v[95:96]
	v_mov_b32_e32 v43, v93
	v_mov_b32_e32 v44, v94
	v_add_f64 v[71:72], v[71:72], -v[95:96]
.LBB45_109:
	s_or_b64 exec, exec, s[2:3]
	v_cmp_eq_u32_e32 vcc, 12, v0
	s_waitcnt vmcnt(0)
	s_barrier
	s_and_saveexec_b64 s[4:5], vcc
	s_cbranch_execz .LBB45_116
; %bb.110:
	ds_write2_b64 v127, v[37:38], v[39:40] offset1:1
	ds_write2_b64 v125, v[33:34], v[35:36] offset0:26 offset1:27
	ds_write2_b64 v125, v[29:30], v[31:32] offset0:28 offset1:29
	;; [unrolled: 1-line block ×10, first 2 shown]
	ds_read2_b64 v[93:96], v127 offset1:1
	s_waitcnt lgkmcnt(0)
	v_cmp_neq_f64_e32 vcc, 0, v[93:94]
	v_cmp_neq_f64_e64 s[2:3], 0, v[95:96]
	s_or_b64 s[2:3], vcc, s[2:3]
	s_and_b64 exec, exec, s[2:3]
	s_cbranch_execz .LBB45_116
; %bb.111:
	v_cmp_ngt_f64_e64 s[2:3], |v[93:94]|, |v[95:96]|
                                        ; implicit-def: $vgpr97_vgpr98
	s_and_saveexec_b64 s[6:7], s[2:3]
	s_xor_b64 s[2:3], exec, s[6:7]
                                        ; implicit-def: $vgpr99_vgpr100
	s_cbranch_execz .LBB45_113
; %bb.112:
	v_div_scale_f64 v[97:98], s[6:7], v[95:96], v[95:96], v[93:94]
	v_rcp_f64_e32 v[99:100], v[97:98]
	v_fma_f64 v[101:102], -v[97:98], v[99:100], 1.0
	v_fma_f64 v[99:100], v[99:100], v[101:102], v[99:100]
	v_div_scale_f64 v[101:102], vcc, v[93:94], v[95:96], v[93:94]
	v_fma_f64 v[103:104], -v[97:98], v[99:100], 1.0
	v_fma_f64 v[99:100], v[99:100], v[103:104], v[99:100]
	v_mul_f64 v[103:104], v[101:102], v[99:100]
	v_fma_f64 v[97:98], -v[97:98], v[103:104], v[101:102]
	v_div_fmas_f64 v[97:98], v[97:98], v[99:100], v[103:104]
	v_div_fixup_f64 v[97:98], v[97:98], v[95:96], v[93:94]
	v_fma_f64 v[93:94], v[93:94], v[97:98], v[95:96]
	v_div_scale_f64 v[95:96], s[6:7], v[93:94], v[93:94], 1.0
	v_div_scale_f64 v[103:104], vcc, 1.0, v[93:94], 1.0
	v_rcp_f64_e32 v[99:100], v[95:96]
	v_fma_f64 v[101:102], -v[95:96], v[99:100], 1.0
	v_fma_f64 v[99:100], v[99:100], v[101:102], v[99:100]
	v_fma_f64 v[101:102], -v[95:96], v[99:100], 1.0
	v_fma_f64 v[99:100], v[99:100], v[101:102], v[99:100]
	v_mul_f64 v[101:102], v[103:104], v[99:100]
	v_fma_f64 v[95:96], -v[95:96], v[101:102], v[103:104]
	v_div_fmas_f64 v[95:96], v[95:96], v[99:100], v[101:102]
	v_div_fixup_f64 v[99:100], v[95:96], v[93:94], 1.0
                                        ; implicit-def: $vgpr93_vgpr94
	v_mul_f64 v[97:98], v[97:98], v[99:100]
	v_xor_b32_e32 v100, 0x80000000, v100
.LBB45_113:
	s_andn2_saveexec_b64 s[2:3], s[2:3]
	s_cbranch_execz .LBB45_115
; %bb.114:
	v_div_scale_f64 v[97:98], s[6:7], v[93:94], v[93:94], v[95:96]
	v_rcp_f64_e32 v[99:100], v[97:98]
	v_fma_f64 v[101:102], -v[97:98], v[99:100], 1.0
	v_fma_f64 v[99:100], v[99:100], v[101:102], v[99:100]
	v_div_scale_f64 v[101:102], vcc, v[95:96], v[93:94], v[95:96]
	v_fma_f64 v[103:104], -v[97:98], v[99:100], 1.0
	v_fma_f64 v[99:100], v[99:100], v[103:104], v[99:100]
	v_mul_f64 v[103:104], v[101:102], v[99:100]
	v_fma_f64 v[97:98], -v[97:98], v[103:104], v[101:102]
	v_div_fmas_f64 v[97:98], v[97:98], v[99:100], v[103:104]
	v_div_fixup_f64 v[99:100], v[97:98], v[93:94], v[95:96]
	v_fma_f64 v[93:94], v[95:96], v[99:100], v[93:94]
	v_div_scale_f64 v[95:96], s[6:7], v[93:94], v[93:94], 1.0
	v_div_scale_f64 v[103:104], vcc, 1.0, v[93:94], 1.0
	v_rcp_f64_e32 v[97:98], v[95:96]
	v_fma_f64 v[101:102], -v[95:96], v[97:98], 1.0
	v_fma_f64 v[97:98], v[97:98], v[101:102], v[97:98]
	v_fma_f64 v[101:102], -v[95:96], v[97:98], 1.0
	v_fma_f64 v[97:98], v[97:98], v[101:102], v[97:98]
	v_mul_f64 v[101:102], v[103:104], v[97:98]
	v_fma_f64 v[95:96], -v[95:96], v[101:102], v[103:104]
	v_div_fmas_f64 v[95:96], v[95:96], v[97:98], v[101:102]
	v_div_fixup_f64 v[97:98], v[95:96], v[93:94], 1.0
	v_mul_f64 v[99:100], v[99:100], -v[97:98]
.LBB45_115:
	s_or_b64 exec, exec, s[2:3]
	ds_write2_b64 v127, v[97:98], v[99:100] offset1:1
.LBB45_116:
	s_or_b64 exec, exec, s[4:5]
	s_waitcnt lgkmcnt(0)
	s_barrier
	ds_read2_b64 v[93:96], v127 offset1:1
	v_cmp_lt_u32_e32 vcc, 12, v0
	s_waitcnt lgkmcnt(0)
	buffer_store_dword v93, off, s[20:23], 0 offset:400 ; 4-byte Folded Spill
	s_nop 0
	buffer_store_dword v94, off, s[20:23], 0 offset:404 ; 4-byte Folded Spill
	buffer_store_dword v95, off, s[20:23], 0 offset:408 ; 4-byte Folded Spill
	;; [unrolled: 1-line block ×3, first 2 shown]
	s_and_saveexec_b64 s[2:3], vcc
	s_cbranch_execz .LBB45_118
; %bb.117:
	buffer_load_dword v95, off, s[20:23], 0 offset:400 ; 4-byte Folded Reload
	buffer_load_dword v96, off, s[20:23], 0 offset:404 ; 4-byte Folded Reload
	;; [unrolled: 1-line block ×4, first 2 shown]
	s_waitcnt vmcnt(2)
	v_mul_f64 v[93:94], v[95:96], v[39:40]
	s_waitcnt vmcnt(0)
	v_mul_f64 v[39:40], v[97:98], v[39:40]
	v_fma_f64 v[93:94], v[97:98], v[37:38], v[93:94]
	v_fma_f64 v[37:38], v[95:96], v[37:38], -v[39:40]
	ds_read2_b64 v[95:98], v125 offset0:26 offset1:27
	s_waitcnt lgkmcnt(0)
	v_mul_f64 v[39:40], v[97:98], v[93:94]
	v_fma_f64 v[39:40], v[95:96], v[37:38], -v[39:40]
	v_mul_f64 v[95:96], v[95:96], v[93:94]
	v_add_f64 v[33:34], v[33:34], -v[39:40]
	v_fma_f64 v[95:96], v[97:98], v[37:38], v[95:96]
	v_add_f64 v[35:36], v[35:36], -v[95:96]
	ds_read2_b64 v[95:98], v125 offset0:28 offset1:29
	s_waitcnt lgkmcnt(0)
	v_mul_f64 v[39:40], v[97:98], v[93:94]
	v_fma_f64 v[39:40], v[95:96], v[37:38], -v[39:40]
	v_mul_f64 v[95:96], v[95:96], v[93:94]
	v_add_f64 v[29:30], v[29:30], -v[39:40]
	v_fma_f64 v[95:96], v[97:98], v[37:38], v[95:96]
	v_add_f64 v[31:32], v[31:32], -v[95:96]
	;; [unrolled: 8-line block ×9, first 2 shown]
	ds_read2_b64 v[95:98], v125 offset0:44 offset1:45
	s_waitcnt lgkmcnt(0)
	v_mul_f64 v[39:40], v[97:98], v[93:94]
	v_fma_f64 v[39:40], v[95:96], v[37:38], -v[39:40]
	v_mul_f64 v[95:96], v[95:96], v[93:94]
	v_add_f64 v[69:70], v[69:70], -v[39:40]
	v_fma_f64 v[95:96], v[97:98], v[37:38], v[95:96]
	v_mov_b32_e32 v39, v93
	v_mov_b32_e32 v40, v94
	v_add_f64 v[71:72], v[71:72], -v[95:96]
.LBB45_118:
	s_or_b64 exec, exec, s[2:3]
	v_cmp_eq_u32_e32 vcc, 13, v0
	s_waitcnt vmcnt(0)
	s_barrier
	s_and_saveexec_b64 s[4:5], vcc
	s_cbranch_execz .LBB45_125
; %bb.119:
	ds_write2_b64 v127, v[33:34], v[35:36] offset1:1
	ds_write2_b64 v125, v[29:30], v[31:32] offset0:28 offset1:29
	ds_write2_b64 v125, v[25:26], v[27:28] offset0:30 offset1:31
	;; [unrolled: 1-line block ×9, first 2 shown]
	ds_read2_b64 v[93:96], v127 offset1:1
	s_waitcnt lgkmcnt(0)
	v_cmp_neq_f64_e32 vcc, 0, v[93:94]
	v_cmp_neq_f64_e64 s[2:3], 0, v[95:96]
	s_or_b64 s[2:3], vcc, s[2:3]
	s_and_b64 exec, exec, s[2:3]
	s_cbranch_execz .LBB45_125
; %bb.120:
	v_cmp_ngt_f64_e64 s[2:3], |v[93:94]|, |v[95:96]|
                                        ; implicit-def: $vgpr97_vgpr98
	s_and_saveexec_b64 s[6:7], s[2:3]
	s_xor_b64 s[2:3], exec, s[6:7]
                                        ; implicit-def: $vgpr99_vgpr100
	s_cbranch_execz .LBB45_122
; %bb.121:
	v_div_scale_f64 v[97:98], s[6:7], v[95:96], v[95:96], v[93:94]
	v_rcp_f64_e32 v[99:100], v[97:98]
	v_fma_f64 v[101:102], -v[97:98], v[99:100], 1.0
	v_fma_f64 v[99:100], v[99:100], v[101:102], v[99:100]
	v_div_scale_f64 v[101:102], vcc, v[93:94], v[95:96], v[93:94]
	v_fma_f64 v[103:104], -v[97:98], v[99:100], 1.0
	v_fma_f64 v[99:100], v[99:100], v[103:104], v[99:100]
	v_mul_f64 v[103:104], v[101:102], v[99:100]
	v_fma_f64 v[97:98], -v[97:98], v[103:104], v[101:102]
	v_div_fmas_f64 v[97:98], v[97:98], v[99:100], v[103:104]
	v_div_fixup_f64 v[97:98], v[97:98], v[95:96], v[93:94]
	v_fma_f64 v[93:94], v[93:94], v[97:98], v[95:96]
	v_div_scale_f64 v[95:96], s[6:7], v[93:94], v[93:94], 1.0
	v_div_scale_f64 v[103:104], vcc, 1.0, v[93:94], 1.0
	v_rcp_f64_e32 v[99:100], v[95:96]
	v_fma_f64 v[101:102], -v[95:96], v[99:100], 1.0
	v_fma_f64 v[99:100], v[99:100], v[101:102], v[99:100]
	v_fma_f64 v[101:102], -v[95:96], v[99:100], 1.0
	v_fma_f64 v[99:100], v[99:100], v[101:102], v[99:100]
	v_mul_f64 v[101:102], v[103:104], v[99:100]
	v_fma_f64 v[95:96], -v[95:96], v[101:102], v[103:104]
	v_div_fmas_f64 v[95:96], v[95:96], v[99:100], v[101:102]
	v_div_fixup_f64 v[99:100], v[95:96], v[93:94], 1.0
                                        ; implicit-def: $vgpr93_vgpr94
	v_mul_f64 v[97:98], v[97:98], v[99:100]
	v_xor_b32_e32 v100, 0x80000000, v100
.LBB45_122:
	s_andn2_saveexec_b64 s[2:3], s[2:3]
	s_cbranch_execz .LBB45_124
; %bb.123:
	v_div_scale_f64 v[97:98], s[6:7], v[93:94], v[93:94], v[95:96]
	v_rcp_f64_e32 v[99:100], v[97:98]
	v_fma_f64 v[101:102], -v[97:98], v[99:100], 1.0
	v_fma_f64 v[99:100], v[99:100], v[101:102], v[99:100]
	v_div_scale_f64 v[101:102], vcc, v[95:96], v[93:94], v[95:96]
	v_fma_f64 v[103:104], -v[97:98], v[99:100], 1.0
	v_fma_f64 v[99:100], v[99:100], v[103:104], v[99:100]
	v_mul_f64 v[103:104], v[101:102], v[99:100]
	v_fma_f64 v[97:98], -v[97:98], v[103:104], v[101:102]
	v_div_fmas_f64 v[97:98], v[97:98], v[99:100], v[103:104]
	v_div_fixup_f64 v[99:100], v[97:98], v[93:94], v[95:96]
	v_fma_f64 v[93:94], v[95:96], v[99:100], v[93:94]
	v_div_scale_f64 v[95:96], s[6:7], v[93:94], v[93:94], 1.0
	v_div_scale_f64 v[103:104], vcc, 1.0, v[93:94], 1.0
	v_rcp_f64_e32 v[97:98], v[95:96]
	v_fma_f64 v[101:102], -v[95:96], v[97:98], 1.0
	v_fma_f64 v[97:98], v[97:98], v[101:102], v[97:98]
	v_fma_f64 v[101:102], -v[95:96], v[97:98], 1.0
	v_fma_f64 v[97:98], v[97:98], v[101:102], v[97:98]
	v_mul_f64 v[101:102], v[103:104], v[97:98]
	v_fma_f64 v[95:96], -v[95:96], v[101:102], v[103:104]
	v_div_fmas_f64 v[95:96], v[95:96], v[97:98], v[101:102]
	v_div_fixup_f64 v[97:98], v[95:96], v[93:94], 1.0
	v_mul_f64 v[99:100], v[99:100], -v[97:98]
.LBB45_124:
	s_or_b64 exec, exec, s[2:3]
	ds_write2_b64 v127, v[97:98], v[99:100] offset1:1
.LBB45_125:
	s_or_b64 exec, exec, s[4:5]
	s_waitcnt lgkmcnt(0)
	s_barrier
	ds_read2_b64 v[93:96], v127 offset1:1
	v_cmp_lt_u32_e32 vcc, 13, v0
	s_waitcnt lgkmcnt(0)
	buffer_store_dword v93, off, s[20:23], 0 offset:416 ; 4-byte Folded Spill
	s_nop 0
	buffer_store_dword v94, off, s[20:23], 0 offset:420 ; 4-byte Folded Spill
	buffer_store_dword v95, off, s[20:23], 0 offset:424 ; 4-byte Folded Spill
	;; [unrolled: 1-line block ×3, first 2 shown]
	s_and_saveexec_b64 s[2:3], vcc
	s_cbranch_execz .LBB45_127
; %bb.126:
	buffer_load_dword v95, off, s[20:23], 0 offset:416 ; 4-byte Folded Reload
	buffer_load_dword v96, off, s[20:23], 0 offset:420 ; 4-byte Folded Reload
	buffer_load_dword v97, off, s[20:23], 0 offset:424 ; 4-byte Folded Reload
	buffer_load_dword v98, off, s[20:23], 0 offset:428 ; 4-byte Folded Reload
	s_waitcnt vmcnt(2)
	v_mul_f64 v[93:94], v[95:96], v[35:36]
	s_waitcnt vmcnt(0)
	v_mul_f64 v[35:36], v[97:98], v[35:36]
	v_fma_f64 v[93:94], v[97:98], v[33:34], v[93:94]
	v_fma_f64 v[33:34], v[95:96], v[33:34], -v[35:36]
	ds_read2_b64 v[95:98], v125 offset0:28 offset1:29
	s_waitcnt lgkmcnt(0)
	v_mul_f64 v[35:36], v[97:98], v[93:94]
	v_fma_f64 v[35:36], v[95:96], v[33:34], -v[35:36]
	v_mul_f64 v[95:96], v[95:96], v[93:94]
	v_add_f64 v[29:30], v[29:30], -v[35:36]
	v_fma_f64 v[95:96], v[97:98], v[33:34], v[95:96]
	v_add_f64 v[31:32], v[31:32], -v[95:96]
	ds_read2_b64 v[95:98], v125 offset0:30 offset1:31
	s_waitcnt lgkmcnt(0)
	v_mul_f64 v[35:36], v[97:98], v[93:94]
	v_fma_f64 v[35:36], v[95:96], v[33:34], -v[35:36]
	v_mul_f64 v[95:96], v[95:96], v[93:94]
	v_add_f64 v[25:26], v[25:26], -v[35:36]
	v_fma_f64 v[95:96], v[97:98], v[33:34], v[95:96]
	v_add_f64 v[27:28], v[27:28], -v[95:96]
	;; [unrolled: 8-line block ×8, first 2 shown]
	ds_read2_b64 v[95:98], v125 offset0:44 offset1:45
	s_waitcnt lgkmcnt(0)
	v_mul_f64 v[35:36], v[97:98], v[93:94]
	v_fma_f64 v[35:36], v[95:96], v[33:34], -v[35:36]
	v_mul_f64 v[95:96], v[95:96], v[93:94]
	v_add_f64 v[69:70], v[69:70], -v[35:36]
	v_fma_f64 v[95:96], v[97:98], v[33:34], v[95:96]
	v_mov_b32_e32 v35, v93
	v_mov_b32_e32 v36, v94
	v_add_f64 v[71:72], v[71:72], -v[95:96]
.LBB45_127:
	s_or_b64 exec, exec, s[2:3]
	v_cmp_eq_u32_e32 vcc, 14, v0
	s_waitcnt vmcnt(0)
	s_barrier
	s_and_saveexec_b64 s[4:5], vcc
	s_cbranch_execz .LBB45_134
; %bb.128:
	ds_write2_b64 v127, v[29:30], v[31:32] offset1:1
	ds_write2_b64 v125, v[25:26], v[27:28] offset0:30 offset1:31
	ds_write2_b64 v125, v[21:22], v[23:24] offset0:32 offset1:33
	;; [unrolled: 1-line block ×8, first 2 shown]
	ds_read2_b64 v[93:96], v127 offset1:1
	s_waitcnt lgkmcnt(0)
	v_cmp_neq_f64_e32 vcc, 0, v[93:94]
	v_cmp_neq_f64_e64 s[2:3], 0, v[95:96]
	s_or_b64 s[2:3], vcc, s[2:3]
	s_and_b64 exec, exec, s[2:3]
	s_cbranch_execz .LBB45_134
; %bb.129:
	v_cmp_ngt_f64_e64 s[2:3], |v[93:94]|, |v[95:96]|
                                        ; implicit-def: $vgpr97_vgpr98
	s_and_saveexec_b64 s[6:7], s[2:3]
	s_xor_b64 s[2:3], exec, s[6:7]
                                        ; implicit-def: $vgpr99_vgpr100
	s_cbranch_execz .LBB45_131
; %bb.130:
	v_div_scale_f64 v[97:98], s[6:7], v[95:96], v[95:96], v[93:94]
	v_rcp_f64_e32 v[99:100], v[97:98]
	v_fma_f64 v[101:102], -v[97:98], v[99:100], 1.0
	v_fma_f64 v[99:100], v[99:100], v[101:102], v[99:100]
	v_div_scale_f64 v[101:102], vcc, v[93:94], v[95:96], v[93:94]
	v_fma_f64 v[103:104], -v[97:98], v[99:100], 1.0
	v_fma_f64 v[99:100], v[99:100], v[103:104], v[99:100]
	v_mul_f64 v[103:104], v[101:102], v[99:100]
	v_fma_f64 v[97:98], -v[97:98], v[103:104], v[101:102]
	v_div_fmas_f64 v[97:98], v[97:98], v[99:100], v[103:104]
	v_div_fixup_f64 v[97:98], v[97:98], v[95:96], v[93:94]
	v_fma_f64 v[93:94], v[93:94], v[97:98], v[95:96]
	v_div_scale_f64 v[95:96], s[6:7], v[93:94], v[93:94], 1.0
	v_div_scale_f64 v[103:104], vcc, 1.0, v[93:94], 1.0
	v_rcp_f64_e32 v[99:100], v[95:96]
	v_fma_f64 v[101:102], -v[95:96], v[99:100], 1.0
	v_fma_f64 v[99:100], v[99:100], v[101:102], v[99:100]
	v_fma_f64 v[101:102], -v[95:96], v[99:100], 1.0
	v_fma_f64 v[99:100], v[99:100], v[101:102], v[99:100]
	v_mul_f64 v[101:102], v[103:104], v[99:100]
	v_fma_f64 v[95:96], -v[95:96], v[101:102], v[103:104]
	v_div_fmas_f64 v[95:96], v[95:96], v[99:100], v[101:102]
	v_div_fixup_f64 v[99:100], v[95:96], v[93:94], 1.0
                                        ; implicit-def: $vgpr93_vgpr94
	v_mul_f64 v[97:98], v[97:98], v[99:100]
	v_xor_b32_e32 v100, 0x80000000, v100
.LBB45_131:
	s_andn2_saveexec_b64 s[2:3], s[2:3]
	s_cbranch_execz .LBB45_133
; %bb.132:
	v_div_scale_f64 v[97:98], s[6:7], v[93:94], v[93:94], v[95:96]
	v_rcp_f64_e32 v[99:100], v[97:98]
	v_fma_f64 v[101:102], -v[97:98], v[99:100], 1.0
	v_fma_f64 v[99:100], v[99:100], v[101:102], v[99:100]
	v_div_scale_f64 v[101:102], vcc, v[95:96], v[93:94], v[95:96]
	v_fma_f64 v[103:104], -v[97:98], v[99:100], 1.0
	v_fma_f64 v[99:100], v[99:100], v[103:104], v[99:100]
	v_mul_f64 v[103:104], v[101:102], v[99:100]
	v_fma_f64 v[97:98], -v[97:98], v[103:104], v[101:102]
	v_div_fmas_f64 v[97:98], v[97:98], v[99:100], v[103:104]
	v_div_fixup_f64 v[99:100], v[97:98], v[93:94], v[95:96]
	v_fma_f64 v[93:94], v[95:96], v[99:100], v[93:94]
	v_div_scale_f64 v[95:96], s[6:7], v[93:94], v[93:94], 1.0
	v_div_scale_f64 v[103:104], vcc, 1.0, v[93:94], 1.0
	v_rcp_f64_e32 v[97:98], v[95:96]
	v_fma_f64 v[101:102], -v[95:96], v[97:98], 1.0
	v_fma_f64 v[97:98], v[97:98], v[101:102], v[97:98]
	v_fma_f64 v[101:102], -v[95:96], v[97:98], 1.0
	v_fma_f64 v[97:98], v[97:98], v[101:102], v[97:98]
	v_mul_f64 v[101:102], v[103:104], v[97:98]
	v_fma_f64 v[95:96], -v[95:96], v[101:102], v[103:104]
	v_div_fmas_f64 v[95:96], v[95:96], v[97:98], v[101:102]
	v_div_fixup_f64 v[97:98], v[95:96], v[93:94], 1.0
	v_mul_f64 v[99:100], v[99:100], -v[97:98]
.LBB45_133:
	s_or_b64 exec, exec, s[2:3]
	ds_write2_b64 v127, v[97:98], v[99:100] offset1:1
.LBB45_134:
	s_or_b64 exec, exec, s[4:5]
	s_waitcnt lgkmcnt(0)
	s_barrier
	ds_read2_b64 v[93:96], v127 offset1:1
	v_cmp_lt_u32_e32 vcc, 14, v0
	s_waitcnt lgkmcnt(0)
	buffer_store_dword v93, off, s[20:23], 0 offset:432 ; 4-byte Folded Spill
	s_nop 0
	buffer_store_dword v94, off, s[20:23], 0 offset:436 ; 4-byte Folded Spill
	buffer_store_dword v95, off, s[20:23], 0 offset:440 ; 4-byte Folded Spill
	;; [unrolled: 1-line block ×3, first 2 shown]
	s_and_saveexec_b64 s[2:3], vcc
	s_cbranch_execz .LBB45_136
; %bb.135:
	buffer_load_dword v95, off, s[20:23], 0 offset:432 ; 4-byte Folded Reload
	buffer_load_dword v96, off, s[20:23], 0 offset:436 ; 4-byte Folded Reload
	;; [unrolled: 1-line block ×4, first 2 shown]
	s_waitcnt vmcnt(2)
	v_mul_f64 v[93:94], v[95:96], v[31:32]
	s_waitcnt vmcnt(0)
	v_mul_f64 v[31:32], v[97:98], v[31:32]
	v_fma_f64 v[93:94], v[97:98], v[29:30], v[93:94]
	v_fma_f64 v[29:30], v[95:96], v[29:30], -v[31:32]
	ds_read2_b64 v[95:98], v125 offset0:30 offset1:31
	s_waitcnt lgkmcnt(0)
	v_mul_f64 v[31:32], v[97:98], v[93:94]
	v_fma_f64 v[31:32], v[95:96], v[29:30], -v[31:32]
	v_mul_f64 v[95:96], v[95:96], v[93:94]
	v_add_f64 v[25:26], v[25:26], -v[31:32]
	v_fma_f64 v[95:96], v[97:98], v[29:30], v[95:96]
	v_add_f64 v[27:28], v[27:28], -v[95:96]
	ds_read2_b64 v[95:98], v125 offset0:32 offset1:33
	s_waitcnt lgkmcnt(0)
	v_mul_f64 v[31:32], v[97:98], v[93:94]
	v_fma_f64 v[31:32], v[95:96], v[29:30], -v[31:32]
	v_mul_f64 v[95:96], v[95:96], v[93:94]
	v_add_f64 v[21:22], v[21:22], -v[31:32]
	v_fma_f64 v[95:96], v[97:98], v[29:30], v[95:96]
	v_add_f64 v[23:24], v[23:24], -v[95:96]
	;; [unrolled: 8-line block ×7, first 2 shown]
	ds_read2_b64 v[95:98], v125 offset0:44 offset1:45
	s_waitcnt lgkmcnt(0)
	v_mul_f64 v[31:32], v[97:98], v[93:94]
	v_fma_f64 v[31:32], v[95:96], v[29:30], -v[31:32]
	v_mul_f64 v[95:96], v[95:96], v[93:94]
	v_add_f64 v[69:70], v[69:70], -v[31:32]
	v_fma_f64 v[95:96], v[97:98], v[29:30], v[95:96]
	v_mov_b32_e32 v31, v93
	v_mov_b32_e32 v32, v94
	v_add_f64 v[71:72], v[71:72], -v[95:96]
.LBB45_136:
	s_or_b64 exec, exec, s[2:3]
	v_cmp_eq_u32_e32 vcc, 15, v0
	s_waitcnt vmcnt(0)
	s_barrier
	s_and_saveexec_b64 s[4:5], vcc
	s_cbranch_execz .LBB45_143
; %bb.137:
	ds_write2_b64 v127, v[25:26], v[27:28] offset1:1
	ds_write2_b64 v125, v[21:22], v[23:24] offset0:32 offset1:33
	ds_write2_b64 v125, v[17:18], v[19:20] offset0:34 offset1:35
	;; [unrolled: 1-line block ×7, first 2 shown]
	ds_read2_b64 v[93:96], v127 offset1:1
	s_waitcnt lgkmcnt(0)
	v_cmp_neq_f64_e32 vcc, 0, v[93:94]
	v_cmp_neq_f64_e64 s[2:3], 0, v[95:96]
	s_or_b64 s[2:3], vcc, s[2:3]
	s_and_b64 exec, exec, s[2:3]
	s_cbranch_execz .LBB45_143
; %bb.138:
	v_cmp_ngt_f64_e64 s[2:3], |v[93:94]|, |v[95:96]|
                                        ; implicit-def: $vgpr97_vgpr98
	s_and_saveexec_b64 s[6:7], s[2:3]
	s_xor_b64 s[2:3], exec, s[6:7]
                                        ; implicit-def: $vgpr99_vgpr100
	s_cbranch_execz .LBB45_140
; %bb.139:
	v_div_scale_f64 v[97:98], s[6:7], v[95:96], v[95:96], v[93:94]
	v_rcp_f64_e32 v[99:100], v[97:98]
	v_fma_f64 v[101:102], -v[97:98], v[99:100], 1.0
	v_fma_f64 v[99:100], v[99:100], v[101:102], v[99:100]
	v_div_scale_f64 v[101:102], vcc, v[93:94], v[95:96], v[93:94]
	v_fma_f64 v[103:104], -v[97:98], v[99:100], 1.0
	v_fma_f64 v[99:100], v[99:100], v[103:104], v[99:100]
	v_mul_f64 v[103:104], v[101:102], v[99:100]
	v_fma_f64 v[97:98], -v[97:98], v[103:104], v[101:102]
	v_div_fmas_f64 v[97:98], v[97:98], v[99:100], v[103:104]
	v_div_fixup_f64 v[97:98], v[97:98], v[95:96], v[93:94]
	v_fma_f64 v[93:94], v[93:94], v[97:98], v[95:96]
	v_div_scale_f64 v[95:96], s[6:7], v[93:94], v[93:94], 1.0
	v_div_scale_f64 v[103:104], vcc, 1.0, v[93:94], 1.0
	v_rcp_f64_e32 v[99:100], v[95:96]
	v_fma_f64 v[101:102], -v[95:96], v[99:100], 1.0
	v_fma_f64 v[99:100], v[99:100], v[101:102], v[99:100]
	v_fma_f64 v[101:102], -v[95:96], v[99:100], 1.0
	v_fma_f64 v[99:100], v[99:100], v[101:102], v[99:100]
	v_mul_f64 v[101:102], v[103:104], v[99:100]
	v_fma_f64 v[95:96], -v[95:96], v[101:102], v[103:104]
	v_div_fmas_f64 v[95:96], v[95:96], v[99:100], v[101:102]
	v_div_fixup_f64 v[99:100], v[95:96], v[93:94], 1.0
                                        ; implicit-def: $vgpr93_vgpr94
	v_mul_f64 v[97:98], v[97:98], v[99:100]
	v_xor_b32_e32 v100, 0x80000000, v100
.LBB45_140:
	s_andn2_saveexec_b64 s[2:3], s[2:3]
	s_cbranch_execz .LBB45_142
; %bb.141:
	v_div_scale_f64 v[97:98], s[6:7], v[93:94], v[93:94], v[95:96]
	v_rcp_f64_e32 v[99:100], v[97:98]
	v_fma_f64 v[101:102], -v[97:98], v[99:100], 1.0
	v_fma_f64 v[99:100], v[99:100], v[101:102], v[99:100]
	v_div_scale_f64 v[101:102], vcc, v[95:96], v[93:94], v[95:96]
	v_fma_f64 v[103:104], -v[97:98], v[99:100], 1.0
	v_fma_f64 v[99:100], v[99:100], v[103:104], v[99:100]
	v_mul_f64 v[103:104], v[101:102], v[99:100]
	v_fma_f64 v[97:98], -v[97:98], v[103:104], v[101:102]
	v_div_fmas_f64 v[97:98], v[97:98], v[99:100], v[103:104]
	v_div_fixup_f64 v[99:100], v[97:98], v[93:94], v[95:96]
	v_fma_f64 v[93:94], v[95:96], v[99:100], v[93:94]
	v_div_scale_f64 v[95:96], s[6:7], v[93:94], v[93:94], 1.0
	v_div_scale_f64 v[103:104], vcc, 1.0, v[93:94], 1.0
	v_rcp_f64_e32 v[97:98], v[95:96]
	v_fma_f64 v[101:102], -v[95:96], v[97:98], 1.0
	v_fma_f64 v[97:98], v[97:98], v[101:102], v[97:98]
	v_fma_f64 v[101:102], -v[95:96], v[97:98], 1.0
	v_fma_f64 v[97:98], v[97:98], v[101:102], v[97:98]
	v_mul_f64 v[101:102], v[103:104], v[97:98]
	v_fma_f64 v[95:96], -v[95:96], v[101:102], v[103:104]
	v_div_fmas_f64 v[95:96], v[95:96], v[97:98], v[101:102]
	v_div_fixup_f64 v[97:98], v[95:96], v[93:94], 1.0
	v_mul_f64 v[99:100], v[99:100], -v[97:98]
.LBB45_142:
	s_or_b64 exec, exec, s[2:3]
	ds_write2_b64 v127, v[97:98], v[99:100] offset1:1
.LBB45_143:
	s_or_b64 exec, exec, s[4:5]
	s_waitcnt lgkmcnt(0)
	s_barrier
	ds_read2_b64 v[93:96], v127 offset1:1
	v_cmp_lt_u32_e32 vcc, 15, v0
	s_waitcnt lgkmcnt(0)
	buffer_store_dword v93, off, s[20:23], 0 offset:448 ; 4-byte Folded Spill
	s_nop 0
	buffer_store_dword v94, off, s[20:23], 0 offset:452 ; 4-byte Folded Spill
	buffer_store_dword v95, off, s[20:23], 0 offset:456 ; 4-byte Folded Spill
	;; [unrolled: 1-line block ×3, first 2 shown]
	s_and_saveexec_b64 s[2:3], vcc
	s_cbranch_execz .LBB45_145
; %bb.144:
	buffer_load_dword v95, off, s[20:23], 0 offset:448 ; 4-byte Folded Reload
	buffer_load_dword v96, off, s[20:23], 0 offset:452 ; 4-byte Folded Reload
	;; [unrolled: 1-line block ×4, first 2 shown]
	s_waitcnt vmcnt(2)
	v_mul_f64 v[93:94], v[95:96], v[27:28]
	s_waitcnt vmcnt(0)
	v_mul_f64 v[27:28], v[97:98], v[27:28]
	v_fma_f64 v[93:94], v[97:98], v[25:26], v[93:94]
	v_fma_f64 v[25:26], v[95:96], v[25:26], -v[27:28]
	ds_read2_b64 v[95:98], v125 offset0:32 offset1:33
	s_waitcnt lgkmcnt(0)
	v_mul_f64 v[27:28], v[97:98], v[93:94]
	v_fma_f64 v[27:28], v[95:96], v[25:26], -v[27:28]
	v_mul_f64 v[95:96], v[95:96], v[93:94]
	v_add_f64 v[21:22], v[21:22], -v[27:28]
	v_fma_f64 v[95:96], v[97:98], v[25:26], v[95:96]
	v_add_f64 v[23:24], v[23:24], -v[95:96]
	ds_read2_b64 v[95:98], v125 offset0:34 offset1:35
	s_waitcnt lgkmcnt(0)
	v_mul_f64 v[27:28], v[97:98], v[93:94]
	v_fma_f64 v[27:28], v[95:96], v[25:26], -v[27:28]
	v_mul_f64 v[95:96], v[95:96], v[93:94]
	v_add_f64 v[17:18], v[17:18], -v[27:28]
	v_fma_f64 v[95:96], v[97:98], v[25:26], v[95:96]
	v_add_f64 v[19:20], v[19:20], -v[95:96]
	;; [unrolled: 8-line block ×6, first 2 shown]
	ds_read2_b64 v[95:98], v125 offset0:44 offset1:45
	s_waitcnt lgkmcnt(0)
	v_mul_f64 v[27:28], v[97:98], v[93:94]
	v_fma_f64 v[27:28], v[95:96], v[25:26], -v[27:28]
	v_mul_f64 v[95:96], v[95:96], v[93:94]
	v_add_f64 v[69:70], v[69:70], -v[27:28]
	v_fma_f64 v[95:96], v[97:98], v[25:26], v[95:96]
	v_mov_b32_e32 v27, v93
	v_mov_b32_e32 v28, v94
	v_add_f64 v[71:72], v[71:72], -v[95:96]
.LBB45_145:
	s_or_b64 exec, exec, s[2:3]
	v_cmp_eq_u32_e32 vcc, 16, v0
	s_waitcnt vmcnt(0)
	s_barrier
	s_and_saveexec_b64 s[4:5], vcc
	s_cbranch_execz .LBB45_152
; %bb.146:
	ds_write2_b64 v127, v[21:22], v[23:24] offset1:1
	ds_write2_b64 v125, v[17:18], v[19:20] offset0:34 offset1:35
	ds_write2_b64 v125, v[13:14], v[15:16] offset0:36 offset1:37
	;; [unrolled: 1-line block ×6, first 2 shown]
	ds_read2_b64 v[93:96], v127 offset1:1
	s_waitcnt lgkmcnt(0)
	v_cmp_neq_f64_e32 vcc, 0, v[93:94]
	v_cmp_neq_f64_e64 s[2:3], 0, v[95:96]
	s_or_b64 s[2:3], vcc, s[2:3]
	s_and_b64 exec, exec, s[2:3]
	s_cbranch_execz .LBB45_152
; %bb.147:
	v_cmp_ngt_f64_e64 s[2:3], |v[93:94]|, |v[95:96]|
                                        ; implicit-def: $vgpr97_vgpr98
	s_and_saveexec_b64 s[6:7], s[2:3]
	s_xor_b64 s[2:3], exec, s[6:7]
                                        ; implicit-def: $vgpr99_vgpr100
	s_cbranch_execz .LBB45_149
; %bb.148:
	v_div_scale_f64 v[97:98], s[6:7], v[95:96], v[95:96], v[93:94]
	v_rcp_f64_e32 v[99:100], v[97:98]
	v_fma_f64 v[101:102], -v[97:98], v[99:100], 1.0
	v_fma_f64 v[99:100], v[99:100], v[101:102], v[99:100]
	v_div_scale_f64 v[101:102], vcc, v[93:94], v[95:96], v[93:94]
	v_fma_f64 v[103:104], -v[97:98], v[99:100], 1.0
	v_fma_f64 v[99:100], v[99:100], v[103:104], v[99:100]
	v_mul_f64 v[103:104], v[101:102], v[99:100]
	v_fma_f64 v[97:98], -v[97:98], v[103:104], v[101:102]
	v_div_fmas_f64 v[97:98], v[97:98], v[99:100], v[103:104]
	v_div_fixup_f64 v[97:98], v[97:98], v[95:96], v[93:94]
	v_fma_f64 v[93:94], v[93:94], v[97:98], v[95:96]
	v_div_scale_f64 v[95:96], s[6:7], v[93:94], v[93:94], 1.0
	v_div_scale_f64 v[103:104], vcc, 1.0, v[93:94], 1.0
	v_rcp_f64_e32 v[99:100], v[95:96]
	v_fma_f64 v[101:102], -v[95:96], v[99:100], 1.0
	v_fma_f64 v[99:100], v[99:100], v[101:102], v[99:100]
	v_fma_f64 v[101:102], -v[95:96], v[99:100], 1.0
	v_fma_f64 v[99:100], v[99:100], v[101:102], v[99:100]
	v_mul_f64 v[101:102], v[103:104], v[99:100]
	v_fma_f64 v[95:96], -v[95:96], v[101:102], v[103:104]
	v_div_fmas_f64 v[95:96], v[95:96], v[99:100], v[101:102]
	v_div_fixup_f64 v[99:100], v[95:96], v[93:94], 1.0
                                        ; implicit-def: $vgpr93_vgpr94
	v_mul_f64 v[97:98], v[97:98], v[99:100]
	v_xor_b32_e32 v100, 0x80000000, v100
.LBB45_149:
	s_andn2_saveexec_b64 s[2:3], s[2:3]
	s_cbranch_execz .LBB45_151
; %bb.150:
	v_div_scale_f64 v[97:98], s[6:7], v[93:94], v[93:94], v[95:96]
	v_rcp_f64_e32 v[99:100], v[97:98]
	v_fma_f64 v[101:102], -v[97:98], v[99:100], 1.0
	v_fma_f64 v[99:100], v[99:100], v[101:102], v[99:100]
	v_div_scale_f64 v[101:102], vcc, v[95:96], v[93:94], v[95:96]
	v_fma_f64 v[103:104], -v[97:98], v[99:100], 1.0
	v_fma_f64 v[99:100], v[99:100], v[103:104], v[99:100]
	v_mul_f64 v[103:104], v[101:102], v[99:100]
	v_fma_f64 v[97:98], -v[97:98], v[103:104], v[101:102]
	v_div_fmas_f64 v[97:98], v[97:98], v[99:100], v[103:104]
	v_div_fixup_f64 v[99:100], v[97:98], v[93:94], v[95:96]
	v_fma_f64 v[93:94], v[95:96], v[99:100], v[93:94]
	v_div_scale_f64 v[95:96], s[6:7], v[93:94], v[93:94], 1.0
	v_div_scale_f64 v[103:104], vcc, 1.0, v[93:94], 1.0
	v_rcp_f64_e32 v[97:98], v[95:96]
	v_fma_f64 v[101:102], -v[95:96], v[97:98], 1.0
	v_fma_f64 v[97:98], v[97:98], v[101:102], v[97:98]
	v_fma_f64 v[101:102], -v[95:96], v[97:98], 1.0
	v_fma_f64 v[97:98], v[97:98], v[101:102], v[97:98]
	v_mul_f64 v[101:102], v[103:104], v[97:98]
	v_fma_f64 v[95:96], -v[95:96], v[101:102], v[103:104]
	v_div_fmas_f64 v[95:96], v[95:96], v[97:98], v[101:102]
	v_div_fixup_f64 v[97:98], v[95:96], v[93:94], 1.0
	v_mul_f64 v[99:100], v[99:100], -v[97:98]
.LBB45_151:
	s_or_b64 exec, exec, s[2:3]
	ds_write2_b64 v127, v[97:98], v[99:100] offset1:1
.LBB45_152:
	s_or_b64 exec, exec, s[4:5]
	s_waitcnt lgkmcnt(0)
	s_barrier
	ds_read2_b64 v[93:96], v127 offset1:1
	v_cmp_lt_u32_e32 vcc, 16, v0
	s_and_saveexec_b64 s[2:3], vcc
	s_cbranch_execz .LBB45_154
; %bb.153:
	s_waitcnt lgkmcnt(0)
	v_mul_f64 v[97:98], v[93:94], v[23:24]
	v_mul_f64 v[23:24], v[95:96], v[23:24]
	ds_read2_b64 v[99:102], v125 offset0:34 offset1:35
	v_fma_f64 v[97:98], v[95:96], v[21:22], v[97:98]
	v_fma_f64 v[21:22], v[93:94], v[21:22], -v[23:24]
	s_waitcnt lgkmcnt(0)
	v_mul_f64 v[23:24], v[101:102], v[97:98]
	v_fma_f64 v[23:24], v[99:100], v[21:22], -v[23:24]
	v_mul_f64 v[99:100], v[99:100], v[97:98]
	v_add_f64 v[17:18], v[17:18], -v[23:24]
	v_fma_f64 v[99:100], v[101:102], v[21:22], v[99:100]
	v_add_f64 v[19:20], v[19:20], -v[99:100]
	ds_read2_b64 v[99:102], v125 offset0:36 offset1:37
	s_waitcnt lgkmcnt(0)
	v_mul_f64 v[23:24], v[101:102], v[97:98]
	v_fma_f64 v[23:24], v[99:100], v[21:22], -v[23:24]
	v_mul_f64 v[99:100], v[99:100], v[97:98]
	v_add_f64 v[13:14], v[13:14], -v[23:24]
	v_fma_f64 v[99:100], v[101:102], v[21:22], v[99:100]
	v_add_f64 v[15:16], v[15:16], -v[99:100]
	ds_read2_b64 v[99:102], v125 offset0:38 offset1:39
	;; [unrolled: 8-line block ×5, first 2 shown]
	s_waitcnt lgkmcnt(0)
	v_mul_f64 v[23:24], v[101:102], v[97:98]
	v_fma_f64 v[23:24], v[99:100], v[21:22], -v[23:24]
	v_mul_f64 v[99:100], v[99:100], v[97:98]
	v_add_f64 v[69:70], v[69:70], -v[23:24]
	v_fma_f64 v[99:100], v[101:102], v[21:22], v[99:100]
	v_mov_b32_e32 v23, v97
	v_mov_b32_e32 v24, v98
	v_add_f64 v[71:72], v[71:72], -v[99:100]
.LBB45_154:
	s_or_b64 exec, exec, s[2:3]
	v_cmp_eq_u32_e32 vcc, 17, v0
	s_waitcnt lgkmcnt(0)
	s_barrier
	s_and_saveexec_b64 s[4:5], vcc
	s_cbranch_execz .LBB45_161
; %bb.155:
	ds_write2_b64 v127, v[17:18], v[19:20] offset1:1
	ds_write2_b64 v125, v[13:14], v[15:16] offset0:36 offset1:37
	ds_write2_b64 v125, v[9:10], v[11:12] offset0:38 offset1:39
	;; [unrolled: 1-line block ×5, first 2 shown]
	ds_read2_b64 v[97:100], v127 offset1:1
	s_waitcnt lgkmcnt(0)
	v_cmp_neq_f64_e32 vcc, 0, v[97:98]
	v_cmp_neq_f64_e64 s[2:3], 0, v[99:100]
	s_or_b64 s[2:3], vcc, s[2:3]
	s_and_b64 exec, exec, s[2:3]
	s_cbranch_execz .LBB45_161
; %bb.156:
	v_cmp_ngt_f64_e64 s[2:3], |v[97:98]|, |v[99:100]|
                                        ; implicit-def: $vgpr101_vgpr102
	s_and_saveexec_b64 s[6:7], s[2:3]
	s_xor_b64 s[2:3], exec, s[6:7]
                                        ; implicit-def: $vgpr103_vgpr104
	s_cbranch_execz .LBB45_158
; %bb.157:
	v_div_scale_f64 v[101:102], s[6:7], v[99:100], v[99:100], v[97:98]
	v_rcp_f64_e32 v[103:104], v[101:102]
	v_fma_f64 v[105:106], -v[101:102], v[103:104], 1.0
	v_fma_f64 v[103:104], v[103:104], v[105:106], v[103:104]
	v_div_scale_f64 v[105:106], vcc, v[97:98], v[99:100], v[97:98]
	v_fma_f64 v[107:108], -v[101:102], v[103:104], 1.0
	v_fma_f64 v[103:104], v[103:104], v[107:108], v[103:104]
	v_mul_f64 v[107:108], v[105:106], v[103:104]
	v_fma_f64 v[101:102], -v[101:102], v[107:108], v[105:106]
	v_div_fmas_f64 v[101:102], v[101:102], v[103:104], v[107:108]
	v_div_fixup_f64 v[101:102], v[101:102], v[99:100], v[97:98]
	v_fma_f64 v[97:98], v[97:98], v[101:102], v[99:100]
	v_div_scale_f64 v[99:100], s[6:7], v[97:98], v[97:98], 1.0
	v_div_scale_f64 v[107:108], vcc, 1.0, v[97:98], 1.0
	v_rcp_f64_e32 v[103:104], v[99:100]
	v_fma_f64 v[105:106], -v[99:100], v[103:104], 1.0
	v_fma_f64 v[103:104], v[103:104], v[105:106], v[103:104]
	v_fma_f64 v[105:106], -v[99:100], v[103:104], 1.0
	v_fma_f64 v[103:104], v[103:104], v[105:106], v[103:104]
	v_mul_f64 v[105:106], v[107:108], v[103:104]
	v_fma_f64 v[99:100], -v[99:100], v[105:106], v[107:108]
	v_div_fmas_f64 v[99:100], v[99:100], v[103:104], v[105:106]
	v_div_fixup_f64 v[103:104], v[99:100], v[97:98], 1.0
                                        ; implicit-def: $vgpr97_vgpr98
	v_mul_f64 v[101:102], v[101:102], v[103:104]
	v_xor_b32_e32 v104, 0x80000000, v104
.LBB45_158:
	s_andn2_saveexec_b64 s[2:3], s[2:3]
	s_cbranch_execz .LBB45_160
; %bb.159:
	v_div_scale_f64 v[101:102], s[6:7], v[97:98], v[97:98], v[99:100]
	v_rcp_f64_e32 v[103:104], v[101:102]
	v_fma_f64 v[105:106], -v[101:102], v[103:104], 1.0
	v_fma_f64 v[103:104], v[103:104], v[105:106], v[103:104]
	v_div_scale_f64 v[105:106], vcc, v[99:100], v[97:98], v[99:100]
	v_fma_f64 v[107:108], -v[101:102], v[103:104], 1.0
	v_fma_f64 v[103:104], v[103:104], v[107:108], v[103:104]
	v_mul_f64 v[107:108], v[105:106], v[103:104]
	v_fma_f64 v[101:102], -v[101:102], v[107:108], v[105:106]
	v_div_fmas_f64 v[101:102], v[101:102], v[103:104], v[107:108]
	v_div_fixup_f64 v[103:104], v[101:102], v[97:98], v[99:100]
	v_fma_f64 v[97:98], v[99:100], v[103:104], v[97:98]
	v_div_scale_f64 v[99:100], s[6:7], v[97:98], v[97:98], 1.0
	v_div_scale_f64 v[107:108], vcc, 1.0, v[97:98], 1.0
	v_rcp_f64_e32 v[101:102], v[99:100]
	v_fma_f64 v[105:106], -v[99:100], v[101:102], 1.0
	v_fma_f64 v[101:102], v[101:102], v[105:106], v[101:102]
	v_fma_f64 v[105:106], -v[99:100], v[101:102], 1.0
	v_fma_f64 v[101:102], v[101:102], v[105:106], v[101:102]
	v_mul_f64 v[105:106], v[107:108], v[101:102]
	v_fma_f64 v[99:100], -v[99:100], v[105:106], v[107:108]
	v_div_fmas_f64 v[99:100], v[99:100], v[101:102], v[105:106]
	v_div_fixup_f64 v[101:102], v[99:100], v[97:98], 1.0
	v_mul_f64 v[103:104], v[103:104], -v[101:102]
.LBB45_160:
	s_or_b64 exec, exec, s[2:3]
	ds_write2_b64 v127, v[101:102], v[103:104] offset1:1
.LBB45_161:
	s_or_b64 exec, exec, s[4:5]
	s_waitcnt lgkmcnt(0)
	s_barrier
	ds_read2_b64 v[97:100], v127 offset1:1
	v_cmp_lt_u32_e32 vcc, 17, v0
	s_and_saveexec_b64 s[2:3], vcc
	s_cbranch_execz .LBB45_163
; %bb.162:
	s_waitcnt lgkmcnt(0)
	v_mul_f64 v[101:102], v[97:98], v[19:20]
	v_mul_f64 v[19:20], v[99:100], v[19:20]
	v_fma_f64 v[105:106], v[99:100], v[17:18], v[101:102]
	ds_read2_b64 v[101:104], v125 offset0:36 offset1:37
	v_fma_f64 v[17:18], v[97:98], v[17:18], -v[19:20]
	s_waitcnt lgkmcnt(0)
	v_mul_f64 v[19:20], v[103:104], v[105:106]
	v_fma_f64 v[19:20], v[101:102], v[17:18], -v[19:20]
	v_mul_f64 v[101:102], v[101:102], v[105:106]
	v_add_f64 v[13:14], v[13:14], -v[19:20]
	v_fma_f64 v[101:102], v[103:104], v[17:18], v[101:102]
	v_add_f64 v[15:16], v[15:16], -v[101:102]
	ds_read2_b64 v[101:104], v125 offset0:38 offset1:39
	s_waitcnt lgkmcnt(0)
	v_mul_f64 v[19:20], v[103:104], v[105:106]
	v_fma_f64 v[19:20], v[101:102], v[17:18], -v[19:20]
	v_mul_f64 v[101:102], v[101:102], v[105:106]
	v_add_f64 v[9:10], v[9:10], -v[19:20]
	v_fma_f64 v[101:102], v[103:104], v[17:18], v[101:102]
	v_add_f64 v[11:12], v[11:12], -v[101:102]
	ds_read2_b64 v[101:104], v125 offset0:40 offset1:41
	;; [unrolled: 8-line block ×4, first 2 shown]
	s_waitcnt lgkmcnt(0)
	v_mul_f64 v[19:20], v[103:104], v[105:106]
	v_fma_f64 v[19:20], v[101:102], v[17:18], -v[19:20]
	v_mul_f64 v[101:102], v[101:102], v[105:106]
	v_add_f64 v[69:70], v[69:70], -v[19:20]
	v_fma_f64 v[101:102], v[103:104], v[17:18], v[101:102]
	v_mov_b32_e32 v19, v105
	v_mov_b32_e32 v20, v106
	v_add_f64 v[71:72], v[71:72], -v[101:102]
.LBB45_163:
	s_or_b64 exec, exec, s[2:3]
	v_cmp_eq_u32_e32 vcc, 18, v0
	s_waitcnt lgkmcnt(0)
	s_barrier
	s_and_saveexec_b64 s[4:5], vcc
	s_cbranch_execz .LBB45_170
; %bb.164:
	ds_write2_b64 v127, v[13:14], v[15:16] offset1:1
	ds_write2_b64 v125, v[9:10], v[11:12] offset0:38 offset1:39
	ds_write2_b64 v125, v[5:6], v[7:8] offset0:40 offset1:41
	;; [unrolled: 1-line block ×4, first 2 shown]
	ds_read2_b64 v[101:104], v127 offset1:1
	s_waitcnt lgkmcnt(0)
	v_cmp_neq_f64_e32 vcc, 0, v[101:102]
	v_cmp_neq_f64_e64 s[2:3], 0, v[103:104]
	s_or_b64 s[2:3], vcc, s[2:3]
	s_and_b64 exec, exec, s[2:3]
	s_cbranch_execz .LBB45_170
; %bb.165:
	v_cmp_ngt_f64_e64 s[2:3], |v[101:102]|, |v[103:104]|
                                        ; implicit-def: $vgpr105_vgpr106
	s_and_saveexec_b64 s[6:7], s[2:3]
	s_xor_b64 s[2:3], exec, s[6:7]
                                        ; implicit-def: $vgpr107_vgpr108
	s_cbranch_execz .LBB45_167
; %bb.166:
	v_div_scale_f64 v[105:106], s[6:7], v[103:104], v[103:104], v[101:102]
	v_rcp_f64_e32 v[107:108], v[105:106]
	v_fma_f64 v[109:110], -v[105:106], v[107:108], 1.0
	v_fma_f64 v[107:108], v[107:108], v[109:110], v[107:108]
	v_div_scale_f64 v[109:110], vcc, v[101:102], v[103:104], v[101:102]
	v_fma_f64 v[111:112], -v[105:106], v[107:108], 1.0
	v_fma_f64 v[107:108], v[107:108], v[111:112], v[107:108]
	v_mul_f64 v[111:112], v[109:110], v[107:108]
	v_fma_f64 v[105:106], -v[105:106], v[111:112], v[109:110]
	v_div_fmas_f64 v[105:106], v[105:106], v[107:108], v[111:112]
	v_div_fixup_f64 v[105:106], v[105:106], v[103:104], v[101:102]
	v_fma_f64 v[101:102], v[101:102], v[105:106], v[103:104]
	v_div_scale_f64 v[103:104], s[6:7], v[101:102], v[101:102], 1.0
	v_div_scale_f64 v[111:112], vcc, 1.0, v[101:102], 1.0
	v_rcp_f64_e32 v[107:108], v[103:104]
	v_fma_f64 v[109:110], -v[103:104], v[107:108], 1.0
	v_fma_f64 v[107:108], v[107:108], v[109:110], v[107:108]
	v_fma_f64 v[109:110], -v[103:104], v[107:108], 1.0
	v_fma_f64 v[107:108], v[107:108], v[109:110], v[107:108]
	v_mul_f64 v[109:110], v[111:112], v[107:108]
	v_fma_f64 v[103:104], -v[103:104], v[109:110], v[111:112]
	v_div_fmas_f64 v[103:104], v[103:104], v[107:108], v[109:110]
	v_div_fixup_f64 v[107:108], v[103:104], v[101:102], 1.0
                                        ; implicit-def: $vgpr101_vgpr102
	v_mul_f64 v[105:106], v[105:106], v[107:108]
	v_xor_b32_e32 v108, 0x80000000, v108
.LBB45_167:
	s_andn2_saveexec_b64 s[2:3], s[2:3]
	s_cbranch_execz .LBB45_169
; %bb.168:
	v_div_scale_f64 v[105:106], s[6:7], v[101:102], v[101:102], v[103:104]
	v_rcp_f64_e32 v[107:108], v[105:106]
	v_fma_f64 v[109:110], -v[105:106], v[107:108], 1.0
	v_fma_f64 v[107:108], v[107:108], v[109:110], v[107:108]
	v_div_scale_f64 v[109:110], vcc, v[103:104], v[101:102], v[103:104]
	v_fma_f64 v[111:112], -v[105:106], v[107:108], 1.0
	v_fma_f64 v[107:108], v[107:108], v[111:112], v[107:108]
	v_mul_f64 v[111:112], v[109:110], v[107:108]
	v_fma_f64 v[105:106], -v[105:106], v[111:112], v[109:110]
	v_div_fmas_f64 v[105:106], v[105:106], v[107:108], v[111:112]
	v_div_fixup_f64 v[107:108], v[105:106], v[101:102], v[103:104]
	v_fma_f64 v[101:102], v[103:104], v[107:108], v[101:102]
	v_div_scale_f64 v[103:104], s[6:7], v[101:102], v[101:102], 1.0
	v_div_scale_f64 v[111:112], vcc, 1.0, v[101:102], 1.0
	v_rcp_f64_e32 v[105:106], v[103:104]
	v_fma_f64 v[109:110], -v[103:104], v[105:106], 1.0
	v_fma_f64 v[105:106], v[105:106], v[109:110], v[105:106]
	v_fma_f64 v[109:110], -v[103:104], v[105:106], 1.0
	v_fma_f64 v[105:106], v[105:106], v[109:110], v[105:106]
	v_mul_f64 v[109:110], v[111:112], v[105:106]
	v_fma_f64 v[103:104], -v[103:104], v[109:110], v[111:112]
	v_div_fmas_f64 v[103:104], v[103:104], v[105:106], v[109:110]
	v_div_fixup_f64 v[105:106], v[103:104], v[101:102], 1.0
	v_mul_f64 v[107:108], v[107:108], -v[105:106]
.LBB45_169:
	s_or_b64 exec, exec, s[2:3]
	ds_write2_b64 v127, v[105:106], v[107:108] offset1:1
.LBB45_170:
	s_or_b64 exec, exec, s[4:5]
	s_waitcnt lgkmcnt(0)
	s_barrier
	ds_read2_b64 v[101:104], v127 offset1:1
	v_cmp_lt_u32_e32 vcc, 18, v0
	s_and_saveexec_b64 s[2:3], vcc
	s_cbranch_execz .LBB45_172
; %bb.171:
	s_waitcnt lgkmcnt(0)
	v_mul_f64 v[105:106], v[101:102], v[15:16]
	v_mul_f64 v[15:16], v[103:104], v[15:16]
	v_fma_f64 v[109:110], v[103:104], v[13:14], v[105:106]
	ds_read2_b64 v[105:108], v125 offset0:38 offset1:39
	v_fma_f64 v[13:14], v[101:102], v[13:14], -v[15:16]
	s_waitcnt lgkmcnt(0)
	v_mul_f64 v[15:16], v[107:108], v[109:110]
	v_fma_f64 v[15:16], v[105:106], v[13:14], -v[15:16]
	v_mul_f64 v[105:106], v[105:106], v[109:110]
	v_add_f64 v[9:10], v[9:10], -v[15:16]
	v_fma_f64 v[105:106], v[107:108], v[13:14], v[105:106]
	v_add_f64 v[11:12], v[11:12], -v[105:106]
	ds_read2_b64 v[105:108], v125 offset0:40 offset1:41
	s_waitcnt lgkmcnt(0)
	v_mul_f64 v[15:16], v[107:108], v[109:110]
	v_fma_f64 v[15:16], v[105:106], v[13:14], -v[15:16]
	v_mul_f64 v[105:106], v[105:106], v[109:110]
	v_add_f64 v[5:6], v[5:6], -v[15:16]
	v_fma_f64 v[105:106], v[107:108], v[13:14], v[105:106]
	v_add_f64 v[7:8], v[7:8], -v[105:106]
	ds_read2_b64 v[105:108], v125 offset0:42 offset1:43
	;; [unrolled: 8-line block ×3, first 2 shown]
	s_waitcnt lgkmcnt(0)
	v_mul_f64 v[15:16], v[107:108], v[109:110]
	v_fma_f64 v[15:16], v[105:106], v[13:14], -v[15:16]
	v_mul_f64 v[105:106], v[105:106], v[109:110]
	v_add_f64 v[69:70], v[69:70], -v[15:16]
	v_fma_f64 v[105:106], v[107:108], v[13:14], v[105:106]
	v_mov_b32_e32 v15, v109
	v_mov_b32_e32 v16, v110
	v_add_f64 v[71:72], v[71:72], -v[105:106]
.LBB45_172:
	s_or_b64 exec, exec, s[2:3]
	v_cmp_eq_u32_e32 vcc, 19, v0
	s_waitcnt lgkmcnt(0)
	s_barrier
	s_and_saveexec_b64 s[4:5], vcc
	s_cbranch_execz .LBB45_179
; %bb.173:
	ds_write2_b64 v127, v[9:10], v[11:12] offset1:1
	ds_write2_b64 v125, v[5:6], v[7:8] offset0:40 offset1:41
	ds_write2_b64 v125, v[1:2], v[3:4] offset0:42 offset1:43
	;; [unrolled: 1-line block ×3, first 2 shown]
	ds_read2_b64 v[105:108], v127 offset1:1
	s_waitcnt lgkmcnt(0)
	v_cmp_neq_f64_e32 vcc, 0, v[105:106]
	v_cmp_neq_f64_e64 s[2:3], 0, v[107:108]
	s_or_b64 s[2:3], vcc, s[2:3]
	s_and_b64 exec, exec, s[2:3]
	s_cbranch_execz .LBB45_179
; %bb.174:
	v_cmp_ngt_f64_e64 s[2:3], |v[105:106]|, |v[107:108]|
                                        ; implicit-def: $vgpr109_vgpr110
	s_and_saveexec_b64 s[6:7], s[2:3]
	s_xor_b64 s[2:3], exec, s[6:7]
                                        ; implicit-def: $vgpr111_vgpr112
	s_cbranch_execz .LBB45_176
; %bb.175:
	v_div_scale_f64 v[109:110], s[6:7], v[107:108], v[107:108], v[105:106]
	v_rcp_f64_e32 v[111:112], v[109:110]
	v_fma_f64 v[113:114], -v[109:110], v[111:112], 1.0
	v_fma_f64 v[111:112], v[111:112], v[113:114], v[111:112]
	v_div_scale_f64 v[113:114], vcc, v[105:106], v[107:108], v[105:106]
	v_fma_f64 v[115:116], -v[109:110], v[111:112], 1.0
	v_fma_f64 v[111:112], v[111:112], v[115:116], v[111:112]
	v_mul_f64 v[115:116], v[113:114], v[111:112]
	v_fma_f64 v[109:110], -v[109:110], v[115:116], v[113:114]
	v_div_fmas_f64 v[109:110], v[109:110], v[111:112], v[115:116]
	v_div_fixup_f64 v[109:110], v[109:110], v[107:108], v[105:106]
	v_fma_f64 v[105:106], v[105:106], v[109:110], v[107:108]
	v_div_scale_f64 v[107:108], s[6:7], v[105:106], v[105:106], 1.0
	v_div_scale_f64 v[115:116], vcc, 1.0, v[105:106], 1.0
	v_rcp_f64_e32 v[111:112], v[107:108]
	v_fma_f64 v[113:114], -v[107:108], v[111:112], 1.0
	v_fma_f64 v[111:112], v[111:112], v[113:114], v[111:112]
	v_fma_f64 v[113:114], -v[107:108], v[111:112], 1.0
	v_fma_f64 v[111:112], v[111:112], v[113:114], v[111:112]
	v_mul_f64 v[113:114], v[115:116], v[111:112]
	v_fma_f64 v[107:108], -v[107:108], v[113:114], v[115:116]
	v_div_fmas_f64 v[107:108], v[107:108], v[111:112], v[113:114]
	v_div_fixup_f64 v[111:112], v[107:108], v[105:106], 1.0
                                        ; implicit-def: $vgpr105_vgpr106
	v_mul_f64 v[109:110], v[109:110], v[111:112]
	v_xor_b32_e32 v112, 0x80000000, v112
.LBB45_176:
	s_andn2_saveexec_b64 s[2:3], s[2:3]
	s_cbranch_execz .LBB45_178
; %bb.177:
	v_div_scale_f64 v[109:110], s[6:7], v[105:106], v[105:106], v[107:108]
	v_rcp_f64_e32 v[111:112], v[109:110]
	v_fma_f64 v[113:114], -v[109:110], v[111:112], 1.0
	v_fma_f64 v[111:112], v[111:112], v[113:114], v[111:112]
	v_div_scale_f64 v[113:114], vcc, v[107:108], v[105:106], v[107:108]
	v_fma_f64 v[115:116], -v[109:110], v[111:112], 1.0
	v_fma_f64 v[111:112], v[111:112], v[115:116], v[111:112]
	v_mul_f64 v[115:116], v[113:114], v[111:112]
	v_fma_f64 v[109:110], -v[109:110], v[115:116], v[113:114]
	v_div_fmas_f64 v[109:110], v[109:110], v[111:112], v[115:116]
	v_div_fixup_f64 v[111:112], v[109:110], v[105:106], v[107:108]
	v_fma_f64 v[105:106], v[107:108], v[111:112], v[105:106]
	v_div_scale_f64 v[107:108], s[6:7], v[105:106], v[105:106], 1.0
	v_div_scale_f64 v[115:116], vcc, 1.0, v[105:106], 1.0
	v_rcp_f64_e32 v[109:110], v[107:108]
	v_fma_f64 v[113:114], -v[107:108], v[109:110], 1.0
	v_fma_f64 v[109:110], v[109:110], v[113:114], v[109:110]
	v_fma_f64 v[113:114], -v[107:108], v[109:110], 1.0
	v_fma_f64 v[109:110], v[109:110], v[113:114], v[109:110]
	v_mul_f64 v[113:114], v[115:116], v[109:110]
	v_fma_f64 v[107:108], -v[107:108], v[113:114], v[115:116]
	v_div_fmas_f64 v[107:108], v[107:108], v[109:110], v[113:114]
	v_div_fixup_f64 v[109:110], v[107:108], v[105:106], 1.0
	v_mul_f64 v[111:112], v[111:112], -v[109:110]
.LBB45_178:
	s_or_b64 exec, exec, s[2:3]
	ds_write2_b64 v127, v[109:110], v[111:112] offset1:1
.LBB45_179:
	s_or_b64 exec, exec, s[4:5]
	s_waitcnt lgkmcnt(0)
	s_barrier
	ds_read2_b64 v[105:108], v127 offset1:1
	v_cmp_lt_u32_e32 vcc, 19, v0
	s_and_saveexec_b64 s[2:3], vcc
	s_cbranch_execz .LBB45_181
; %bb.180:
	s_waitcnt lgkmcnt(0)
	v_mul_f64 v[109:110], v[105:106], v[11:12]
	v_mul_f64 v[11:12], v[107:108], v[11:12]
	v_fma_f64 v[113:114], v[107:108], v[9:10], v[109:110]
	ds_read2_b64 v[109:112], v125 offset0:40 offset1:41
	v_fma_f64 v[9:10], v[105:106], v[9:10], -v[11:12]
	s_waitcnt lgkmcnt(0)
	v_mul_f64 v[11:12], v[111:112], v[113:114]
	v_fma_f64 v[11:12], v[109:110], v[9:10], -v[11:12]
	v_mul_f64 v[109:110], v[109:110], v[113:114]
	v_add_f64 v[5:6], v[5:6], -v[11:12]
	v_fma_f64 v[109:110], v[111:112], v[9:10], v[109:110]
	v_add_f64 v[7:8], v[7:8], -v[109:110]
	ds_read2_b64 v[109:112], v125 offset0:42 offset1:43
	s_waitcnt lgkmcnt(0)
	v_mul_f64 v[11:12], v[111:112], v[113:114]
	v_fma_f64 v[11:12], v[109:110], v[9:10], -v[11:12]
	v_mul_f64 v[109:110], v[109:110], v[113:114]
	v_add_f64 v[1:2], v[1:2], -v[11:12]
	v_fma_f64 v[109:110], v[111:112], v[9:10], v[109:110]
	v_add_f64 v[3:4], v[3:4], -v[109:110]
	ds_read2_b64 v[109:112], v125 offset0:44 offset1:45
	s_waitcnt lgkmcnt(0)
	v_mul_f64 v[11:12], v[111:112], v[113:114]
	v_fma_f64 v[11:12], v[109:110], v[9:10], -v[11:12]
	v_mul_f64 v[109:110], v[109:110], v[113:114]
	v_add_f64 v[69:70], v[69:70], -v[11:12]
	v_fma_f64 v[109:110], v[111:112], v[9:10], v[109:110]
	v_mov_b32_e32 v11, v113
	v_mov_b32_e32 v12, v114
	v_add_f64 v[71:72], v[71:72], -v[109:110]
.LBB45_181:
	s_or_b64 exec, exec, s[2:3]
	v_cmp_eq_u32_e32 vcc, 20, v0
	s_waitcnt lgkmcnt(0)
	s_barrier
	s_and_saveexec_b64 s[4:5], vcc
	s_cbranch_execz .LBB45_188
; %bb.182:
	ds_write2_b64 v127, v[5:6], v[7:8] offset1:1
	ds_write2_b64 v125, v[1:2], v[3:4] offset0:42 offset1:43
	ds_write2_b64 v125, v[69:70], v[71:72] offset0:44 offset1:45
	ds_read2_b64 v[109:112], v127 offset1:1
	s_waitcnt lgkmcnt(0)
	v_cmp_neq_f64_e32 vcc, 0, v[109:110]
	v_cmp_neq_f64_e64 s[2:3], 0, v[111:112]
	s_or_b64 s[2:3], vcc, s[2:3]
	s_and_b64 exec, exec, s[2:3]
	s_cbranch_execz .LBB45_188
; %bb.183:
	v_cmp_ngt_f64_e64 s[2:3], |v[109:110]|, |v[111:112]|
                                        ; implicit-def: $vgpr113_vgpr114
	s_and_saveexec_b64 s[6:7], s[2:3]
	s_xor_b64 s[2:3], exec, s[6:7]
                                        ; implicit-def: $vgpr115_vgpr116
	s_cbranch_execz .LBB45_185
; %bb.184:
	v_div_scale_f64 v[113:114], s[6:7], v[111:112], v[111:112], v[109:110]
	v_rcp_f64_e32 v[115:116], v[113:114]
	v_fma_f64 v[117:118], -v[113:114], v[115:116], 1.0
	v_fma_f64 v[115:116], v[115:116], v[117:118], v[115:116]
	v_div_scale_f64 v[117:118], vcc, v[109:110], v[111:112], v[109:110]
	v_fma_f64 v[119:120], -v[113:114], v[115:116], 1.0
	v_fma_f64 v[115:116], v[115:116], v[119:120], v[115:116]
	v_mul_f64 v[119:120], v[117:118], v[115:116]
	v_fma_f64 v[113:114], -v[113:114], v[119:120], v[117:118]
	v_div_fmas_f64 v[113:114], v[113:114], v[115:116], v[119:120]
	v_div_fixup_f64 v[113:114], v[113:114], v[111:112], v[109:110]
	v_fma_f64 v[109:110], v[109:110], v[113:114], v[111:112]
	v_div_scale_f64 v[111:112], s[6:7], v[109:110], v[109:110], 1.0
	v_div_scale_f64 v[119:120], vcc, 1.0, v[109:110], 1.0
	v_rcp_f64_e32 v[115:116], v[111:112]
	v_fma_f64 v[117:118], -v[111:112], v[115:116], 1.0
	v_fma_f64 v[115:116], v[115:116], v[117:118], v[115:116]
	v_fma_f64 v[117:118], -v[111:112], v[115:116], 1.0
	v_fma_f64 v[115:116], v[115:116], v[117:118], v[115:116]
	v_mul_f64 v[117:118], v[119:120], v[115:116]
	v_fma_f64 v[111:112], -v[111:112], v[117:118], v[119:120]
	v_div_fmas_f64 v[111:112], v[111:112], v[115:116], v[117:118]
	v_div_fixup_f64 v[115:116], v[111:112], v[109:110], 1.0
                                        ; implicit-def: $vgpr109_vgpr110
	v_mul_f64 v[113:114], v[113:114], v[115:116]
	v_xor_b32_e32 v116, 0x80000000, v116
.LBB45_185:
	s_andn2_saveexec_b64 s[2:3], s[2:3]
	s_cbranch_execz .LBB45_187
; %bb.186:
	v_div_scale_f64 v[113:114], s[6:7], v[109:110], v[109:110], v[111:112]
	v_rcp_f64_e32 v[115:116], v[113:114]
	v_fma_f64 v[117:118], -v[113:114], v[115:116], 1.0
	v_fma_f64 v[115:116], v[115:116], v[117:118], v[115:116]
	v_div_scale_f64 v[117:118], vcc, v[111:112], v[109:110], v[111:112]
	v_fma_f64 v[119:120], -v[113:114], v[115:116], 1.0
	v_fma_f64 v[115:116], v[115:116], v[119:120], v[115:116]
	v_mul_f64 v[119:120], v[117:118], v[115:116]
	v_fma_f64 v[113:114], -v[113:114], v[119:120], v[117:118]
	v_div_fmas_f64 v[113:114], v[113:114], v[115:116], v[119:120]
	v_div_fixup_f64 v[115:116], v[113:114], v[109:110], v[111:112]
	v_fma_f64 v[109:110], v[111:112], v[115:116], v[109:110]
	v_div_scale_f64 v[111:112], s[6:7], v[109:110], v[109:110], 1.0
	v_div_scale_f64 v[119:120], vcc, 1.0, v[109:110], 1.0
	v_rcp_f64_e32 v[113:114], v[111:112]
	v_fma_f64 v[117:118], -v[111:112], v[113:114], 1.0
	v_fma_f64 v[113:114], v[113:114], v[117:118], v[113:114]
	v_fma_f64 v[117:118], -v[111:112], v[113:114], 1.0
	v_fma_f64 v[113:114], v[113:114], v[117:118], v[113:114]
	v_mul_f64 v[117:118], v[119:120], v[113:114]
	v_fma_f64 v[111:112], -v[111:112], v[117:118], v[119:120]
	v_div_fmas_f64 v[111:112], v[111:112], v[113:114], v[117:118]
	v_div_fixup_f64 v[113:114], v[111:112], v[109:110], 1.0
	v_mul_f64 v[115:116], v[115:116], -v[113:114]
.LBB45_187:
	s_or_b64 exec, exec, s[2:3]
	ds_write2_b64 v127, v[113:114], v[115:116] offset1:1
.LBB45_188:
	s_or_b64 exec, exec, s[4:5]
	s_waitcnt lgkmcnt(0)
	s_barrier
	ds_read2_b64 v[113:116], v127 offset1:1
	v_cmp_lt_u32_e32 vcc, 20, v0
	s_and_saveexec_b64 s[2:3], vcc
	s_cbranch_execz .LBB45_190
; %bb.189:
	s_waitcnt lgkmcnt(0)
	v_mul_f64 v[109:110], v[113:114], v[7:8]
	v_mul_f64 v[7:8], v[115:116], v[7:8]
	v_fma_f64 v[117:118], v[115:116], v[5:6], v[109:110]
	ds_read2_b64 v[109:112], v125 offset0:42 offset1:43
	v_fma_f64 v[5:6], v[113:114], v[5:6], -v[7:8]
	s_waitcnt lgkmcnt(0)
	v_mul_f64 v[7:8], v[111:112], v[117:118]
	v_fma_f64 v[7:8], v[109:110], v[5:6], -v[7:8]
	v_mul_f64 v[109:110], v[109:110], v[117:118]
	v_add_f64 v[1:2], v[1:2], -v[7:8]
	v_fma_f64 v[109:110], v[111:112], v[5:6], v[109:110]
	v_add_f64 v[3:4], v[3:4], -v[109:110]
	ds_read2_b64 v[109:112], v125 offset0:44 offset1:45
	s_waitcnt lgkmcnt(0)
	v_mul_f64 v[7:8], v[111:112], v[117:118]
	v_fma_f64 v[7:8], v[109:110], v[5:6], -v[7:8]
	v_mul_f64 v[109:110], v[109:110], v[117:118]
	v_add_f64 v[69:70], v[69:70], -v[7:8]
	v_fma_f64 v[109:110], v[111:112], v[5:6], v[109:110]
	v_mov_b32_e32 v7, v117
	v_mov_b32_e32 v8, v118
	v_add_f64 v[71:72], v[71:72], -v[109:110]
.LBB45_190:
	s_or_b64 exec, exec, s[2:3]
	s_waitcnt lgkmcnt(0)
	s_barrier
	v_cmp_eq_u32_e32 vcc, 21, v0
	s_mov_b64 s[4:5], exec
	v_mov_b32_e32 v77, v121
	s_and_b64 s[2:3], s[4:5], vcc
	v_mov_b32_e32 v78, v122
	v_mov_b32_e32 v79, v123
	;; [unrolled: 1-line block ×3, first 2 shown]
	s_mov_b64 exec, s[2:3]
	s_cbranch_execz .LBB45_197
; %bb.191:
	ds_write2_b64 v127, v[1:2], v[3:4] offset1:1
	ds_write2_b64 v125, v[69:70], v[71:72] offset0:44 offset1:45
	ds_read2_b64 v[109:112], v127 offset1:1
	s_waitcnt lgkmcnt(0)
	v_cmp_neq_f64_e32 vcc, 0, v[109:110]
	v_cmp_neq_f64_e64 s[2:3], 0, v[111:112]
	s_or_b64 s[2:3], vcc, s[2:3]
	s_and_b64 exec, exec, s[2:3]
	s_cbranch_execz .LBB45_197
; %bb.192:
	v_cmp_ngt_f64_e64 s[2:3], |v[109:110]|, |v[111:112]|
                                        ; implicit-def: $vgpr117_vgpr118
	s_and_saveexec_b64 s[6:7], s[2:3]
	s_xor_b64 s[2:3], exec, s[6:7]
                                        ; implicit-def: $vgpr119_vgpr120
	s_cbranch_execz .LBB45_194
; %bb.193:
	v_div_scale_f64 v[117:118], s[6:7], v[111:112], v[111:112], v[109:110]
	v_rcp_f64_e32 v[119:120], v[117:118]
	v_fma_f64 v[121:122], -v[117:118], v[119:120], 1.0
	v_fma_f64 v[119:120], v[119:120], v[121:122], v[119:120]
	v_div_scale_f64 v[121:122], vcc, v[109:110], v[111:112], v[109:110]
	v_fma_f64 v[123:124], -v[117:118], v[119:120], 1.0
	v_fma_f64 v[119:120], v[119:120], v[123:124], v[119:120]
	v_mul_f64 v[123:124], v[121:122], v[119:120]
	v_fma_f64 v[117:118], -v[117:118], v[123:124], v[121:122]
	v_div_fmas_f64 v[117:118], v[117:118], v[119:120], v[123:124]
	v_div_fixup_f64 v[117:118], v[117:118], v[111:112], v[109:110]
	v_fma_f64 v[109:110], v[109:110], v[117:118], v[111:112]
	v_div_scale_f64 v[111:112], s[6:7], v[109:110], v[109:110], 1.0
	v_div_scale_f64 v[123:124], vcc, 1.0, v[109:110], 1.0
	v_rcp_f64_e32 v[119:120], v[111:112]
	v_fma_f64 v[121:122], -v[111:112], v[119:120], 1.0
	v_fma_f64 v[119:120], v[119:120], v[121:122], v[119:120]
	v_fma_f64 v[121:122], -v[111:112], v[119:120], 1.0
	v_fma_f64 v[119:120], v[119:120], v[121:122], v[119:120]
	v_mul_f64 v[121:122], v[123:124], v[119:120]
	v_fma_f64 v[111:112], -v[111:112], v[121:122], v[123:124]
	v_div_fmas_f64 v[111:112], v[111:112], v[119:120], v[121:122]
	v_mov_b32_e32 v124, v80
	v_mov_b32_e32 v123, v79
	;; [unrolled: 1-line block ×4, first 2 shown]
	v_div_fixup_f64 v[119:120], v[111:112], v[109:110], 1.0
                                        ; implicit-def: $vgpr109_vgpr110
	v_mul_f64 v[117:118], v[117:118], v[119:120]
	v_xor_b32_e32 v120, 0x80000000, v120
.LBB45_194:
	s_andn2_saveexec_b64 s[2:3], s[2:3]
	s_cbranch_execz .LBB45_196
; %bb.195:
	v_div_scale_f64 v[117:118], s[6:7], v[109:110], v[109:110], v[111:112]
	v_rcp_f64_e32 v[119:120], v[117:118]
	v_fma_f64 v[121:122], -v[117:118], v[119:120], 1.0
	v_fma_f64 v[119:120], v[119:120], v[121:122], v[119:120]
	v_div_scale_f64 v[121:122], vcc, v[111:112], v[109:110], v[111:112]
	v_fma_f64 v[123:124], -v[117:118], v[119:120], 1.0
	v_fma_f64 v[119:120], v[119:120], v[123:124], v[119:120]
	v_mul_f64 v[123:124], v[121:122], v[119:120]
	v_fma_f64 v[117:118], -v[117:118], v[123:124], v[121:122]
	v_div_fmas_f64 v[117:118], v[117:118], v[119:120], v[123:124]
	v_div_fixup_f64 v[119:120], v[117:118], v[109:110], v[111:112]
	v_fma_f64 v[109:110], v[111:112], v[119:120], v[109:110]
	v_div_scale_f64 v[111:112], s[6:7], v[109:110], v[109:110], 1.0
	v_div_scale_f64 v[123:124], vcc, 1.0, v[109:110], 1.0
	v_rcp_f64_e32 v[117:118], v[111:112]
	v_fma_f64 v[121:122], -v[111:112], v[117:118], 1.0
	v_fma_f64 v[117:118], v[117:118], v[121:122], v[117:118]
	v_fma_f64 v[121:122], -v[111:112], v[117:118], 1.0
	v_fma_f64 v[117:118], v[117:118], v[121:122], v[117:118]
	v_mul_f64 v[121:122], v[123:124], v[117:118]
	v_fma_f64 v[111:112], -v[111:112], v[121:122], v[123:124]
	v_div_fmas_f64 v[111:112], v[111:112], v[117:118], v[121:122]
	v_mov_b32_e32 v124, v80
	v_mov_b32_e32 v123, v79
	;; [unrolled: 1-line block ×4, first 2 shown]
	v_div_fixup_f64 v[117:118], v[111:112], v[109:110], 1.0
	v_mul_f64 v[119:120], v[119:120], -v[117:118]
.LBB45_196:
	s_or_b64 exec, exec, s[2:3]
	ds_write2_b64 v127, v[117:118], v[119:120] offset1:1
.LBB45_197:
	s_or_b64 exec, exec, s[4:5]
	s_waitcnt lgkmcnt(0)
	s_barrier
	ds_read2_b64 v[117:120], v127 offset1:1
	v_cmp_lt_u32_e32 vcc, 21, v0
	s_and_saveexec_b64 s[2:3], vcc
	s_cbranch_execz .LBB45_199
; %bb.198:
	s_waitcnt lgkmcnt(0)
	v_mul_f64 v[109:110], v[117:118], v[3:4]
	v_mul_f64 v[3:4], v[119:120], v[3:4]
	v_fma_f64 v[121:122], v[119:120], v[1:2], v[109:110]
	ds_read2_b64 v[109:112], v125 offset0:44 offset1:45
	v_fma_f64 v[1:2], v[117:118], v[1:2], -v[3:4]
	s_waitcnt lgkmcnt(0)
	v_mul_f64 v[3:4], v[111:112], v[121:122]
	v_fma_f64 v[3:4], v[109:110], v[1:2], -v[3:4]
	v_mul_f64 v[109:110], v[109:110], v[121:122]
	v_add_f64 v[69:70], v[69:70], -v[3:4]
	v_fma_f64 v[109:110], v[111:112], v[1:2], v[109:110]
	v_mov_b32_e32 v3, v121
	v_mov_b32_e32 v4, v122
	;; [unrolled: 1-line block ×6, first 2 shown]
	v_add_f64 v[71:72], v[71:72], -v[109:110]
.LBB45_199:
	s_or_b64 exec, exec, s[2:3]
	v_cmp_eq_u32_e32 vcc, 22, v0
	s_waitcnt lgkmcnt(0)
	s_barrier
	s_and_saveexec_b64 s[4:5], vcc
	s_cbranch_execz .LBB45_206
; %bb.200:
	v_cmp_neq_f64_e32 vcc, 0, v[69:70]
	v_cmp_neq_f64_e64 s[2:3], 0, v[71:72]
	ds_write2_b64 v127, v[69:70], v[71:72] offset1:1
	s_or_b64 s[2:3], vcc, s[2:3]
	s_and_b64 exec, exec, s[2:3]
	s_cbranch_execz .LBB45_206
; %bb.201:
	v_cmp_ngt_f64_e64 s[2:3], |v[69:70]|, |v[71:72]|
                                        ; implicit-def: $vgpr109_vgpr110
	s_and_saveexec_b64 s[6:7], s[2:3]
	s_xor_b64 s[2:3], exec, s[6:7]
                                        ; implicit-def: $vgpr111_vgpr112
	s_cbranch_execz .LBB45_203
; %bb.202:
	v_div_scale_f64 v[109:110], s[6:7], v[71:72], v[71:72], v[69:70]
	v_mov_b32_e32 v73, v81
	v_mov_b32_e32 v74, v82
	;; [unrolled: 1-line block ×12, first 2 shown]
	v_rcp_f64_e32 v[111:112], v[109:110]
	v_fma_f64 v[121:122], -v[109:110], v[111:112], 1.0
	v_fma_f64 v[111:112], v[111:112], v[121:122], v[111:112]
	v_div_scale_f64 v[121:122], vcc, v[69:70], v[71:72], v[69:70]
	v_fma_f64 v[123:124], -v[109:110], v[111:112], 1.0
	v_fma_f64 v[111:112], v[111:112], v[123:124], v[111:112]
	v_mul_f64 v[123:124], v[121:122], v[111:112]
	v_fma_f64 v[109:110], -v[109:110], v[123:124], v[121:122]
	v_div_fmas_f64 v[109:110], v[109:110], v[111:112], v[123:124]
	v_div_fixup_f64 v[109:110], v[109:110], v[71:72], v[69:70]
	v_fma_f64 v[111:112], v[69:70], v[109:110], v[71:72]
	v_div_scale_f64 v[121:122], s[6:7], v[111:112], v[111:112], 1.0
	v_div_scale_f64 v[89:90], vcc, 1.0, v[111:112], 1.0
	v_rcp_f64_e32 v[123:124], v[121:122]
	v_fma_f64 v[125:126], -v[121:122], v[123:124], 1.0
	v_fma_f64 v[123:124], v[123:124], v[125:126], v[123:124]
	v_fma_f64 v[125:126], -v[121:122], v[123:124], 1.0
	v_fma_f64 v[91:92], v[123:124], v[125:126], v[123:124]
	v_mul_f64 v[123:124], v[89:90], v[91:92]
	v_fma_f64 v[89:90], -v[121:122], v[123:124], v[89:90]
	v_div_fmas_f64 v[89:90], v[89:90], v[91:92], v[123:124]
	v_mov_b32_e32 v92, v88
	v_mov_b32_e32 v91, v87
	;; [unrolled: 1-line block ×15, first 2 shown]
	v_div_fixup_f64 v[111:112], v[89:90], v[111:112], 1.0
	v_mov_b32_e32 v81, v73
	v_mul_f64 v[109:110], v[109:110], v[111:112]
	v_xor_b32_e32 v112, 0x80000000, v112
.LBB45_203:
	s_andn2_saveexec_b64 s[2:3], s[2:3]
	s_cbranch_execz .LBB45_205
; %bb.204:
	v_div_scale_f64 v[89:90], s[6:7], v[69:70], v[69:70], v[71:72]
	v_mov_b32_e32 v126, v92
	v_mov_b32_e32 v125, v91
	v_rcp_f64_e32 v[91:92], v[89:90]
	v_fma_f64 v[109:110], -v[89:90], v[91:92], 1.0
	v_fma_f64 v[91:92], v[91:92], v[109:110], v[91:92]
	v_div_scale_f64 v[109:110], vcc, v[71:72], v[69:70], v[71:72]
	v_fma_f64 v[111:112], -v[89:90], v[91:92], 1.0
	v_fma_f64 v[91:92], v[91:92], v[111:112], v[91:92]
	v_mul_f64 v[111:112], v[109:110], v[91:92]
	v_fma_f64 v[89:90], -v[89:90], v[111:112], v[109:110]
	v_div_fmas_f64 v[89:90], v[89:90], v[91:92], v[111:112]
	v_div_fixup_f64 v[89:90], v[89:90], v[69:70], v[71:72]
	v_fma_f64 v[91:92], v[71:72], v[89:90], v[69:70]
	v_div_scale_f64 v[109:110], s[6:7], v[91:92], v[91:92], 1.0
	v_div_scale_f64 v[123:124], vcc, 1.0, v[91:92], 1.0
	v_rcp_f64_e32 v[111:112], v[109:110]
	v_fma_f64 v[121:122], -v[109:110], v[111:112], 1.0
	v_fma_f64 v[111:112], v[111:112], v[121:122], v[111:112]
	v_fma_f64 v[121:122], -v[109:110], v[111:112], 1.0
	v_fma_f64 v[111:112], v[111:112], v[121:122], v[111:112]
	v_mul_f64 v[121:122], v[123:124], v[111:112]
	v_fma_f64 v[109:110], -v[109:110], v[121:122], v[123:124]
	v_div_fmas_f64 v[109:110], v[109:110], v[111:112], v[121:122]
	v_mov_b32_e32 v124, v80
	v_mov_b32_e32 v123, v79
	;; [unrolled: 1-line block ×4, first 2 shown]
	v_div_fixup_f64 v[109:110], v[109:110], v[91:92], 1.0
	v_mov_b32_e32 v91, v125
	v_mov_b32_e32 v92, v126
	v_mul_f64 v[111:112], v[89:90], -v[109:110]
.LBB45_205:
	s_or_b64 exec, exec, s[2:3]
	ds_write2_b64 v127, v[109:110], v[111:112] offset1:1
.LBB45_206:
	s_or_b64 exec, exec, s[4:5]
	s_waitcnt lgkmcnt(0)
	s_barrier
	ds_read2_b64 v[109:112], v127 offset1:1
	v_mov_b32_e32 v73, v81
	v_mov_b32_e32 v74, v82
	;; [unrolled: 1-line block ×4, first 2 shown]
	s_waitcnt lgkmcnt(0)
	s_barrier
	s_and_saveexec_b64 s[2:3], s[0:1]
	s_cbranch_execz .LBB45_209
; %bb.207:
	v_mov_b32_e32 v124, v96
	v_mov_b32_e32 v123, v95
	;; [unrolled: 1-line block ×4, first 2 shown]
	buffer_load_dword v93, off, s[20:23], 0 offset:208 ; 4-byte Folded Reload
	buffer_load_dword v94, off, s[20:23], 0 offset:212 ; 4-byte Folded Reload
	;; [unrolled: 1-line block ×4, first 2 shown]
	s_waitcnt vmcnt(2)
	v_cmp_eq_f64_e32 vcc, 0, v[93:94]
	s_waitcnt vmcnt(0)
	v_cmp_eq_f64_e64 s[0:1], 0, v[95:96]
	buffer_load_dword v93, off, s[20:23], 0 offset:224 ; 4-byte Folded Reload
	buffer_load_dword v94, off, s[20:23], 0 offset:228 ; 4-byte Folded Reload
	;; [unrolled: 1-line block ×4, first 2 shown]
	s_and_b64 s[4:5], vcc, s[0:1]
	v_cndmask_b32_e64 v89, 0, 1, s[4:5]
	s_waitcnt vmcnt(2)
	v_cmp_neq_f64_e32 vcc, 0, v[93:94]
	s_waitcnt vmcnt(0)
	v_cmp_neq_f64_e64 s[0:1], 0, v[95:96]
	buffer_load_dword v93, off, s[20:23], 0 offset:240 ; 4-byte Folded Reload
	buffer_load_dword v94, off, s[20:23], 0 offset:244 ; 4-byte Folded Reload
	;; [unrolled: 1-line block ×4, first 2 shown]
	s_or_b64 s[0:1], vcc, s[0:1]
	s_or_b64 vcc, s[0:1], s[4:5]
	v_cndmask_b32_e32 v89, 2, v89, vcc
	s_waitcnt vmcnt(2)
	v_cmp_eq_f64_e32 vcc, 0, v[93:94]
	s_waitcnt vmcnt(0)
	v_cmp_eq_f64_e64 s[0:1], 0, v[95:96]
	buffer_load_dword v93, off, s[20:23], 0 offset:256 ; 4-byte Folded Reload
	buffer_load_dword v94, off, s[20:23], 0 offset:260 ; 4-byte Folded Reload
	buffer_load_dword v95, off, s[20:23], 0 offset:264 ; 4-byte Folded Reload
	buffer_load_dword v96, off, s[20:23], 0 offset:268 ; 4-byte Folded Reload
	s_and_b64 s[0:1], vcc, s[0:1]
	v_cmp_eq_u32_e32 vcc, 0, v89
	s_and_b64 s[0:1], s[0:1], vcc
	v_cndmask_b32_e64 v89, v89, 3, s[0:1]
	s_waitcnt vmcnt(2)
	v_cmp_eq_f64_e32 vcc, 0, v[93:94]
	s_waitcnt vmcnt(0)
	v_cmp_eq_f64_e64 s[0:1], 0, v[95:96]
	buffer_load_dword v93, off, s[20:23], 0 offset:272 ; 4-byte Folded Reload
	buffer_load_dword v94, off, s[20:23], 0 offset:276 ; 4-byte Folded Reload
	buffer_load_dword v95, off, s[20:23], 0 offset:280 ; 4-byte Folded Reload
	buffer_load_dword v96, off, s[20:23], 0 offset:284 ; 4-byte Folded Reload
	s_and_b64 s[0:1], vcc, s[0:1]
	v_cmp_eq_u32_e32 vcc, 0, v89
	s_and_b64 s[0:1], s[0:1], vcc
	v_cndmask_b32_e64 v89, v89, 4, s[0:1]
	;; [unrolled: 12-line block ×12, first 2 shown]
	s_waitcnt vmcnt(2)
	v_cmp_eq_f64_e32 vcc, 0, v[93:94]
	s_waitcnt vmcnt(0)
	v_cmp_eq_f64_e64 s[0:1], 0, v[95:96]
	buffer_load_dword v93, off, s[20:23], 0 offset:448 ; 4-byte Folded Reload
	buffer_load_dword v94, off, s[20:23], 0 offset:452 ; 4-byte Folded Reload
	;; [unrolled: 1-line block ×6, first 2 shown]
	s_and_b64 s[0:1], vcc, s[0:1]
	v_cmp_eq_u32_e32 vcc, 0, v89
	s_and_b64 s[0:1], s[0:1], vcc
	v_cndmask_b32_e64 v89, v89, 15, s[0:1]
	s_waitcnt vmcnt(4)
	v_cmp_eq_f64_e32 vcc, 0, v[93:94]
	s_waitcnt vmcnt(2)
	v_cmp_eq_f64_e64 s[0:1], 0, v[95:96]
	s_and_b64 s[0:1], vcc, s[0:1]
	v_cmp_eq_u32_e32 vcc, 0, v89
	s_and_b64 s[0:1], s[0:1], vcc
	v_cndmask_b32_e64 v89, v89, 16, s[0:1]
	v_cmp_eq_f64_e32 vcc, 0, v[121:122]
	v_cmp_eq_f64_e64 s[0:1], 0, v[123:124]
	v_mov_b32_e32 v124, v80
	v_mov_b32_e32 v123, v79
	;; [unrolled: 1-line block ×4, first 2 shown]
	s_and_b64 s[0:1], vcc, s[0:1]
	v_cmp_eq_u32_e32 vcc, 0, v89
	s_and_b64 s[0:1], s[0:1], vcc
	v_cndmask_b32_e64 v89, v89, 17, s[0:1]
	v_cmp_eq_f64_e32 vcc, 0, v[97:98]
	v_cmp_eq_f64_e64 s[0:1], 0, v[99:100]
	s_and_b64 s[0:1], vcc, s[0:1]
	v_cmp_eq_u32_e32 vcc, 0, v89
	s_and_b64 s[0:1], s[0:1], vcc
	v_cndmask_b32_e64 v89, v89, 18, s[0:1]
	v_cmp_eq_f64_e32 vcc, 0, v[101:102]
	v_cmp_eq_f64_e64 s[0:1], 0, v[103:104]
	;; [unrolled: 6-line block ×6, first 2 shown]
	s_and_b64 s[0:1], vcc, s[0:1]
	v_cmp_eq_u32_e32 vcc, 0, v89
	s_and_b64 s[0:1], s[0:1], vcc
	v_cndmask_b32_e64 v95, v89, 23, s[0:1]
	s_waitcnt vmcnt(0)
	v_lshlrev_b64 v[89:90], 2, v[85:86]
	v_cmp_ne_u32_e64 s[0:1], 0, v95
	v_add_co_u32_e32 v93, vcc, s10, v89
	v_mov_b32_e32 v89, s11
	v_addc_co_u32_e32 v94, vcc, v89, v90, vcc
	global_load_dword v89, v[93:94], off
	s_waitcnt vmcnt(0)
	v_cmp_eq_u32_e32 vcc, 0, v89
	s_and_b64 s[0:1], vcc, s[0:1]
	s_and_b64 exec, exec, s[0:1]
	s_cbranch_execz .LBB45_209
; %bb.208:
	v_add_u32_e32 v89, s13, v95
	global_store_dword v[93:94], v89, off
.LBB45_209:
	s_or_b64 exec, exec, s[2:3]
	buffer_load_dword v85, off, s[20:23], 0 offset:192 ; 4-byte Folded Reload
	buffer_load_dword v86, off, s[20:23], 0 offset:196 ; 4-byte Folded Reload
	;; [unrolled: 1-line block ×6, first 2 shown]
	v_cmp_lt_u32_e32 vcc, 22, v0
	v_mul_f64 v[77:78], v[109:110], v[71:72]
	v_mul_f64 v[79:80], v[111:112], v[71:72]
	v_fma_f64 v[77:78], v[111:112], v[69:70], v[77:78]
	v_fma_f64 v[79:80], v[109:110], v[69:70], -v[79:80]
	s_waitcnt vmcnt(0)
	global_store_dwordx4 v[85:86], v[93:96], off
	buffer_load_dword v85, off, s[20:23], 0 offset:200 ; 4-byte Folded Reload
	s_nop 0
	buffer_load_dword v86, off, s[20:23], 0 offset:204 ; 4-byte Folded Reload
	buffer_load_dword v93, off, s[20:23], 0 offset:16 ; 4-byte Folded Reload
	;; [unrolled: 1-line block ×5, first 2 shown]
	s_waitcnt vmcnt(0)
	global_store_dwordx4 v[85:86], v[93:96], off
	buffer_load_dword v81, off, s[20:23], 0 offset:464 ; 4-byte Folded Reload
	buffer_load_dword v82, off, s[20:23], 0 offset:468 ; 4-byte Folded Reload
	s_waitcnt vmcnt(0)
	global_store_dwordx4 v[81:82], v[121:124], off
	buffer_load_dword v81, off, s[20:23], 0 offset:48 ; 4-byte Folded Reload
	s_nop 0
	buffer_load_dword v82, off, s[20:23], 0 offset:52 ; 4-byte Folded Reload
	s_waitcnt vmcnt(0)
	global_store_dwordx4 v[81:82], v[73:76], off
	buffer_load_dword v73, off, s[20:23], 0 ; 4-byte Folded Reload
	s_nop 0
	buffer_load_dword v74, off, s[20:23], 0 offset:4 ; 4-byte Folded Reload
	buffer_load_dword v75, off, s[20:23], 0 offset:8 ; 4-byte Folded Reload
	;; [unrolled: 1-line block ×3, first 2 shown]
	s_waitcnt vmcnt(0)
	global_store_dwordx4 v[91:92], v[73:76], off
	global_store_dwordx4 v[87:88], v[65:68], off
	buffer_load_dword v65, off, s[20:23], 0 offset:56 ; 4-byte Folded Reload
	s_nop 0
	buffer_load_dword v66, off, s[20:23], 0 offset:60 ; 4-byte Folded Reload
	s_waitcnt vmcnt(0)
	global_store_dwordx4 v[65:66], v[61:64], off
	buffer_load_dword v61, off, s[20:23], 0 offset:64 ; 4-byte Folded Reload
	s_nop 0
	buffer_load_dword v62, off, s[20:23], 0 offset:68 ; 4-byte Folded Reload
	s_waitcnt vmcnt(0)
	global_store_dwordx4 v[61:62], v[57:60], off
	buffer_load_dword v61, off, s[20:23], 0 offset:72 ; 4-byte Folded Reload
	s_nop 0
	buffer_load_dword v62, off, s[20:23], 0 offset:76 ; 4-byte Folded Reload
	v_cndmask_b32_e32 v60, v72, v78, vcc
	v_cndmask_b32_e32 v59, v71, v77, vcc
	;; [unrolled: 1-line block ×4, first 2 shown]
	s_waitcnt vmcnt(0)
	global_store_dwordx4 v[61:62], v[53:56], off
	buffer_load_dword v53, off, s[20:23], 0 offset:80 ; 4-byte Folded Reload
	s_nop 0
	buffer_load_dword v54, off, s[20:23], 0 offset:84 ; 4-byte Folded Reload
	s_waitcnt vmcnt(0)
	global_store_dwordx4 v[53:54], v[49:52], off
	buffer_load_dword v49, off, s[20:23], 0 offset:88 ; 4-byte Folded Reload
	s_nop 0
	buffer_load_dword v50, off, s[20:23], 0 offset:92 ; 4-byte Folded Reload
	;; [unrolled: 5-line block ×14, first 2 shown]
	s_waitcnt vmcnt(0)
	global_store_dwordx4 v[0:1], v[57:60], off
.LBB45_210:
	s_endpgm
	.section	.rodata,"a",@progbits
	.p2align	6, 0x0
	.amdhsa_kernel _ZN9rocsolver6v33100L23getf2_npvt_small_kernelILi23E19rocblas_complex_numIdEiiPS3_EEvT1_T3_lS5_lPT2_S5_S5_
		.amdhsa_group_segment_fixed_size 0
		.amdhsa_private_segment_fixed_size 484
		.amdhsa_kernarg_size 312
		.amdhsa_user_sgpr_count 6
		.amdhsa_user_sgpr_private_segment_buffer 1
		.amdhsa_user_sgpr_dispatch_ptr 0
		.amdhsa_user_sgpr_queue_ptr 0
		.amdhsa_user_sgpr_kernarg_segment_ptr 1
		.amdhsa_user_sgpr_dispatch_id 0
		.amdhsa_user_sgpr_flat_scratch_init 0
		.amdhsa_user_sgpr_private_segment_size 0
		.amdhsa_uses_dynamic_stack 0
		.amdhsa_system_sgpr_private_segment_wavefront_offset 1
		.amdhsa_system_sgpr_workgroup_id_x 1
		.amdhsa_system_sgpr_workgroup_id_y 1
		.amdhsa_system_sgpr_workgroup_id_z 0
		.amdhsa_system_sgpr_workgroup_info 0
		.amdhsa_system_vgpr_workitem_id 1
		.amdhsa_next_free_vgpr 128
		.amdhsa_next_free_sgpr 24
		.amdhsa_reserve_vcc 1
		.amdhsa_reserve_flat_scratch 0
		.amdhsa_float_round_mode_32 0
		.amdhsa_float_round_mode_16_64 0
		.amdhsa_float_denorm_mode_32 3
		.amdhsa_float_denorm_mode_16_64 3
		.amdhsa_dx10_clamp 1
		.amdhsa_ieee_mode 1
		.amdhsa_fp16_overflow 0
		.amdhsa_exception_fp_ieee_invalid_op 0
		.amdhsa_exception_fp_denorm_src 0
		.amdhsa_exception_fp_ieee_div_zero 0
		.amdhsa_exception_fp_ieee_overflow 0
		.amdhsa_exception_fp_ieee_underflow 0
		.amdhsa_exception_fp_ieee_inexact 0
		.amdhsa_exception_int_div_zero 0
	.end_amdhsa_kernel
	.section	.text._ZN9rocsolver6v33100L23getf2_npvt_small_kernelILi23E19rocblas_complex_numIdEiiPS3_EEvT1_T3_lS5_lPT2_S5_S5_,"axG",@progbits,_ZN9rocsolver6v33100L23getf2_npvt_small_kernelILi23E19rocblas_complex_numIdEiiPS3_EEvT1_T3_lS5_lPT2_S5_S5_,comdat
.Lfunc_end45:
	.size	_ZN9rocsolver6v33100L23getf2_npvt_small_kernelILi23E19rocblas_complex_numIdEiiPS3_EEvT1_T3_lS5_lPT2_S5_S5_, .Lfunc_end45-_ZN9rocsolver6v33100L23getf2_npvt_small_kernelILi23E19rocblas_complex_numIdEiiPS3_EEvT1_T3_lS5_lPT2_S5_S5_
                                        ; -- End function
	.set _ZN9rocsolver6v33100L23getf2_npvt_small_kernelILi23E19rocblas_complex_numIdEiiPS3_EEvT1_T3_lS5_lPT2_S5_S5_.num_vgpr, 128
	.set _ZN9rocsolver6v33100L23getf2_npvt_small_kernelILi23E19rocblas_complex_numIdEiiPS3_EEvT1_T3_lS5_lPT2_S5_S5_.num_agpr, 0
	.set _ZN9rocsolver6v33100L23getf2_npvt_small_kernelILi23E19rocblas_complex_numIdEiiPS3_EEvT1_T3_lS5_lPT2_S5_S5_.numbered_sgpr, 24
	.set _ZN9rocsolver6v33100L23getf2_npvt_small_kernelILi23E19rocblas_complex_numIdEiiPS3_EEvT1_T3_lS5_lPT2_S5_S5_.num_named_barrier, 0
	.set _ZN9rocsolver6v33100L23getf2_npvt_small_kernelILi23E19rocblas_complex_numIdEiiPS3_EEvT1_T3_lS5_lPT2_S5_S5_.private_seg_size, 484
	.set _ZN9rocsolver6v33100L23getf2_npvt_small_kernelILi23E19rocblas_complex_numIdEiiPS3_EEvT1_T3_lS5_lPT2_S5_S5_.uses_vcc, 1
	.set _ZN9rocsolver6v33100L23getf2_npvt_small_kernelILi23E19rocblas_complex_numIdEiiPS3_EEvT1_T3_lS5_lPT2_S5_S5_.uses_flat_scratch, 0
	.set _ZN9rocsolver6v33100L23getf2_npvt_small_kernelILi23E19rocblas_complex_numIdEiiPS3_EEvT1_T3_lS5_lPT2_S5_S5_.has_dyn_sized_stack, 0
	.set _ZN9rocsolver6v33100L23getf2_npvt_small_kernelILi23E19rocblas_complex_numIdEiiPS3_EEvT1_T3_lS5_lPT2_S5_S5_.has_recursion, 0
	.set _ZN9rocsolver6v33100L23getf2_npvt_small_kernelILi23E19rocblas_complex_numIdEiiPS3_EEvT1_T3_lS5_lPT2_S5_S5_.has_indirect_call, 0
	.section	.AMDGPU.csdata,"",@progbits
; Kernel info:
; codeLenInByte = 36276
; TotalNumSgprs: 28
; NumVgprs: 128
; ScratchSize: 484
; MemoryBound: 1
; FloatMode: 240
; IeeeMode: 1
; LDSByteSize: 0 bytes/workgroup (compile time only)
; SGPRBlocks: 3
; VGPRBlocks: 31
; NumSGPRsForWavesPerEU: 28
; NumVGPRsForWavesPerEU: 128
; Occupancy: 2
; WaveLimiterHint : 0
; COMPUTE_PGM_RSRC2:SCRATCH_EN: 1
; COMPUTE_PGM_RSRC2:USER_SGPR: 6
; COMPUTE_PGM_RSRC2:TRAP_HANDLER: 0
; COMPUTE_PGM_RSRC2:TGID_X_EN: 1
; COMPUTE_PGM_RSRC2:TGID_Y_EN: 1
; COMPUTE_PGM_RSRC2:TGID_Z_EN: 0
; COMPUTE_PGM_RSRC2:TIDIG_COMP_CNT: 1
	.section	.text._ZN9rocsolver6v33100L18getf2_small_kernelILi24E19rocblas_complex_numIdEiiPS3_EEvT1_T3_lS5_lPS5_llPT2_S5_S5_S7_l,"axG",@progbits,_ZN9rocsolver6v33100L18getf2_small_kernelILi24E19rocblas_complex_numIdEiiPS3_EEvT1_T3_lS5_lPS5_llPT2_S5_S5_S7_l,comdat
	.globl	_ZN9rocsolver6v33100L18getf2_small_kernelILi24E19rocblas_complex_numIdEiiPS3_EEvT1_T3_lS5_lPS5_llPT2_S5_S5_S7_l ; -- Begin function _ZN9rocsolver6v33100L18getf2_small_kernelILi24E19rocblas_complex_numIdEiiPS3_EEvT1_T3_lS5_lPS5_llPT2_S5_S5_S7_l
	.p2align	8
	.type	_ZN9rocsolver6v33100L18getf2_small_kernelILi24E19rocblas_complex_numIdEiiPS3_EEvT1_T3_lS5_lPS5_llPT2_S5_S5_S7_l,@function
_ZN9rocsolver6v33100L18getf2_small_kernelILi24E19rocblas_complex_numIdEiiPS3_EEvT1_T3_lS5_lPS5_llPT2_S5_S5_S7_l: ; @_ZN9rocsolver6v33100L18getf2_small_kernelILi24E19rocblas_complex_numIdEiiPS3_EEvT1_T3_lS5_lPS5_llPT2_S5_S5_S7_l
; %bb.0:
	s_load_dword s0, s[4:5], 0x6c
	s_load_dwordx2 s[16:17], s[4:5], 0x48
	s_waitcnt lgkmcnt(0)
	s_lshr_b32 s0, s0, 16
	s_mul_i32 s7, s7, s0
	v_add_u32_e32 v102, s7, v1
	v_cmp_gt_i32_e32 vcc, s16, v102
	s_and_saveexec_b64 s[0:1], vcc
	s_cbranch_execz .LBB46_505
; %bb.1:
	s_load_dwordx4 s[0:3], s[4:5], 0x50
	v_mov_b32_e32 v104, 0
	v_ashrrev_i32_e32 v103, 31, v102
	v_mov_b32_e32 v105, 0
	s_waitcnt lgkmcnt(0)
	s_cmp_eq_u64 s[0:1], 0
	s_cselect_b64 s[18:19], -1, 0
	s_and_b64 vcc, exec, s[18:19]
	s_cbranch_vccnz .LBB46_3
; %bb.2:
	v_mul_lo_u32 v4, s3, v102
	v_mul_lo_u32 v5, s2, v103
	v_mad_u64_u32 v[2:3], s[2:3], s2, v102, 0
	v_add3_u32 v3, v3, v5, v4
	v_lshlrev_b64 v[2:3], 2, v[2:3]
	v_mov_b32_e32 v4, s1
	v_add_co_u32_e32 v104, vcc, s0, v2
	v_addc_co_u32_e32 v105, vcc, v4, v3, vcc
.LBB46_3:
	s_load_dwordx8 s[8:15], s[4:5], 0x20
	s_load_dwordx4 s[0:3], s[4:5], 0x8
	v_lshlrev_b32_e32 v108, 4, v0
	s_waitcnt lgkmcnt(0)
	v_mul_lo_u32 v4, s9, v102
	v_mul_lo_u32 v5, s8, v103
	v_mad_u64_u32 v[2:3], s[6:7], s8, v102, 0
	s_load_dword s6, s[4:5], 0x18
	s_load_dword s22, s[4:5], 0x0
	v_mov_b32_e32 v6, s1
	v_add3_u32 v3, v3, v5, v4
	v_lshlrev_b64 v[2:3], 4, v[2:3]
	s_waitcnt lgkmcnt(0)
	s_add_i32 s16, s6, s6
	v_add_co_u32_e32 v2, vcc, s0, v2
	v_addc_co_u32_e32 v3, vcc, v6, v3, vcc
	s_lshl_b64 s[0:1], s[2:3], 4
	v_mov_b32_e32 v4, s1
	v_add_co_u32_e32 v109, vcc, s0, v2
	v_add_u32_e32 v2, s16, v0
	v_addc_co_u32_e32 v110, vcc, v3, v4, vcc
	v_ashrrev_i32_e32 v3, 31, v2
	v_lshlrev_b64 v[3:4], 4, v[2:3]
	v_add_u32_e32 v5, s6, v2
	v_ashrrev_i32_e32 v6, 31, v5
	v_add_co_u32_e32 v3, vcc, v109, v3
	v_lshlrev_b64 v[6:7], 4, v[5:6]
	v_add_u32_e32 v8, s6, v5
	v_addc_co_u32_e32 v4, vcc, v110, v4, vcc
	v_ashrrev_i32_e32 v9, 31, v8
	v_add_co_u32_e32 v6, vcc, v109, v6
	v_lshlrev_b64 v[9:10], 4, v[8:9]
	v_add_u32_e32 v11, s6, v8
	v_addc_co_u32_e32 v7, vcc, v110, v7, vcc
	;; [unrolled: 5-line block ×10, first 2 shown]
	v_ashrrev_i32_e32 v36, 31, v35
	v_add_co_u32_e32 v33, vcc, v109, v33
	v_lshlrev_b64 v[36:37], 4, v[35:36]
	v_addc_co_u32_e32 v34, vcc, v110, v34, vcc
	v_add_co_u32_e32 v36, vcc, v109, v36
	v_add_u32_e32 v38, s6, v35
	v_addc_co_u32_e32 v37, vcc, v110, v37, vcc
	v_ashrrev_i32_e32 v39, 31, v38
	v_lshlrev_b64 v[39:40], 4, v[38:39]
	v_add_co_u32_e32 v41, vcc, v109, v108
	v_addc_co_u32_e32 v42, vcc, 0, v110, vcc
	v_add_u32_e32 v38, s6, v38
	v_add_co_u32_e32 v94, vcc, v109, v39
	v_ashrrev_i32_e32 v39, 31, v38
	v_addc_co_u32_e32 v95, vcc, v110, v40, vcc
	v_lshlrev_b64 v[39:40], 4, v[38:39]
	v_add_u32_e32 v38, s6, v38
	v_add_co_u32_e32 v96, vcc, v109, v39
	v_ashrrev_i32_e32 v39, 31, v38
	v_addc_co_u32_e32 v97, vcc, v110, v40, vcc
	v_lshlrev_b64 v[39:40], 4, v[38:39]
	;; [unrolled: 5-line block ×8, first 2 shown]
	v_add_u32_e32 v38, s6, v38
	v_add_co_u32_e32 v117, vcc, v109, v39
	v_ashrrev_i32_e32 v39, 31, v38
	v_lshlrev_b64 v[38:39], 4, v[38:39]
	v_addc_co_u32_e32 v118, vcc, v110, v40, vcc
	v_add_co_u32_e32 v119, vcc, v109, v38
	s_ashr_i32 s7, s6, 31
	v_addc_co_u32_e32 v120, vcc, v110, v39, vcc
	s_lshl_b64 s[2:3], s[6:7], 4
	v_mov_b32_e32 v2, s3
	v_add_co_u32_e32 v38, vcc, s2, v41
	v_addc_co_u32_e32 v39, vcc, v42, v2, vcc
	global_load_dwordx4 v[90:93], v[41:42], off
	global_load_dwordx4 v[86:89], v[38:39], off
	;; [unrolled: 1-line block ×14, first 2 shown]
	s_nop 0
	global_load_dwordx4 v[34:37], v[94:95], off
	global_load_dwordx4 v[30:33], v[96:97], off
	;; [unrolled: 1-line block ×10, first 2 shown]
	s_max_i32 s0, s22, 24
	v_mul_lo_u32 v106, s0, v1
	s_load_dwordx2 s[4:5], s[4:5], 0x40
	s_cmp_lt_i32 s22, 2
	v_lshl_add_u32 v1, v106, 4, 0
	v_add_u32_e32 v98, v1, v108
	v_lshlrev_b32_e32 v112, 4, v106
	v_mov_b32_e32 v106, 0
	s_waitcnt vmcnt(23)
	ds_write2_b64 v98, v[90:91], v[92:93] offset1:1
	s_waitcnt vmcnt(0) lgkmcnt(0)
	s_barrier
	ds_read2_b64 v[98:101], v1 offset1:1
	s_cbranch_scc1 .LBB46_6
; %bb.4:
	v_add3_u32 v107, v112, 0, 16
	s_mov_b32 s7, 1
	v_mov_b32_e32 v106, 0
.LBB46_5:                               ; =>This Inner Loop Header: Depth=1
	s_waitcnt lgkmcnt(0)
	v_cmp_gt_f64_e32 vcc, 0, v[100:101]
	v_cmp_gt_f64_e64 s[0:1], 0, v[98:99]
	ds_read2_b64 v[113:116], v107 offset1:1
	v_xor_b32_e32 v108, 0x80000000, v99
	v_xor_b32_e32 v111, 0x80000000, v101
	v_mov_b32_e32 v117, v98
	v_mov_b32_e32 v119, v100
	s_waitcnt lgkmcnt(0)
	v_mov_b32_e32 v121, v115
	v_cndmask_b32_e32 v120, v101, v111, vcc
	v_cndmask_b32_e64 v118, v99, v108, s[0:1]
	v_cmp_gt_f64_e32 vcc, 0, v[115:116]
	v_cmp_gt_f64_e64 s[0:1], 0, v[113:114]
	v_xor_b32_e32 v108, 0x80000000, v114
	v_xor_b32_e32 v111, 0x80000000, v116
	v_add_f64 v[117:118], v[117:118], v[119:120]
	v_mov_b32_e32 v119, v113
	v_add_u32_e32 v107, 16, v107
	v_cndmask_b32_e32 v122, v116, v111, vcc
	v_cndmask_b32_e64 v120, v114, v108, s[0:1]
	v_add_f64 v[119:120], v[119:120], v[121:122]
	v_mov_b32_e32 v108, s7
	s_add_i32 s7, s7, 1
	s_cmp_eq_u32 s22, s7
	v_cmp_lt_f64_e32 vcc, v[117:118], v[119:120]
	v_cndmask_b32_e32 v99, v99, v114, vcc
	v_cndmask_b32_e32 v98, v98, v113, vcc
	;; [unrolled: 1-line block ×5, first 2 shown]
	s_cbranch_scc0 .LBB46_5
.LBB46_6:
	s_waitcnt lgkmcnt(0)
	v_cmp_neq_f64_e32 vcc, 0, v[98:99]
	v_cmp_neq_f64_e64 s[0:1], 0, v[100:101]
	v_mov_b32_e32 v111, 1
	v_mov_b32_e32 v113, 1
	s_or_b64 s[8:9], vcc, s[0:1]
	s_and_saveexec_b64 s[0:1], s[8:9]
	s_cbranch_execz .LBB46_12
; %bb.7:
	v_cmp_ngt_f64_e64 s[8:9], |v[98:99]|, |v[100:101]|
	s_and_saveexec_b64 s[20:21], s[8:9]
	s_xor_b64 s[8:9], exec, s[20:21]
	s_cbranch_execz .LBB46_9
; %bb.8:
	v_div_scale_f64 v[107:108], s[20:21], v[100:101], v[100:101], v[98:99]
	v_rcp_f64_e32 v[113:114], v[107:108]
	v_fma_f64 v[115:116], -v[107:108], v[113:114], 1.0
	v_fma_f64 v[113:114], v[113:114], v[115:116], v[113:114]
	v_div_scale_f64 v[115:116], vcc, v[98:99], v[100:101], v[98:99]
	v_fma_f64 v[117:118], -v[107:108], v[113:114], 1.0
	v_fma_f64 v[113:114], v[113:114], v[117:118], v[113:114]
	v_mul_f64 v[117:118], v[115:116], v[113:114]
	v_fma_f64 v[107:108], -v[107:108], v[117:118], v[115:116]
	v_div_fmas_f64 v[107:108], v[107:108], v[113:114], v[117:118]
	v_div_fixup_f64 v[107:108], v[107:108], v[100:101], v[98:99]
	v_fma_f64 v[98:99], v[98:99], v[107:108], v[100:101]
	v_div_scale_f64 v[100:101], s[20:21], v[98:99], v[98:99], 1.0
	v_div_scale_f64 v[117:118], vcc, 1.0, v[98:99], 1.0
	v_rcp_f64_e32 v[113:114], v[100:101]
	v_fma_f64 v[115:116], -v[100:101], v[113:114], 1.0
	v_fma_f64 v[113:114], v[113:114], v[115:116], v[113:114]
	v_fma_f64 v[115:116], -v[100:101], v[113:114], 1.0
	v_fma_f64 v[113:114], v[113:114], v[115:116], v[113:114]
	v_mul_f64 v[115:116], v[117:118], v[113:114]
	v_fma_f64 v[100:101], -v[100:101], v[115:116], v[117:118]
	v_div_fmas_f64 v[100:101], v[100:101], v[113:114], v[115:116]
	v_div_fixup_f64 v[100:101], v[100:101], v[98:99], 1.0
	v_mul_f64 v[98:99], v[107:108], v[100:101]
	v_xor_b32_e32 v101, 0x80000000, v101
.LBB46_9:
	s_andn2_saveexec_b64 s[8:9], s[8:9]
	s_cbranch_execz .LBB46_11
; %bb.10:
	v_div_scale_f64 v[107:108], s[20:21], v[98:99], v[98:99], v[100:101]
	v_rcp_f64_e32 v[113:114], v[107:108]
	v_fma_f64 v[115:116], -v[107:108], v[113:114], 1.0
	v_fma_f64 v[113:114], v[113:114], v[115:116], v[113:114]
	v_div_scale_f64 v[115:116], vcc, v[100:101], v[98:99], v[100:101]
	v_fma_f64 v[117:118], -v[107:108], v[113:114], 1.0
	v_fma_f64 v[113:114], v[113:114], v[117:118], v[113:114]
	v_mul_f64 v[117:118], v[115:116], v[113:114]
	v_fma_f64 v[107:108], -v[107:108], v[117:118], v[115:116]
	v_div_fmas_f64 v[107:108], v[107:108], v[113:114], v[117:118]
	v_div_fixup_f64 v[107:108], v[107:108], v[98:99], v[100:101]
	v_fma_f64 v[98:99], v[100:101], v[107:108], v[98:99]
	v_div_scale_f64 v[100:101], s[20:21], v[98:99], v[98:99], 1.0
	v_div_scale_f64 v[117:118], vcc, 1.0, v[98:99], 1.0
	v_rcp_f64_e32 v[113:114], v[100:101]
	v_fma_f64 v[115:116], -v[100:101], v[113:114], 1.0
	v_fma_f64 v[113:114], v[113:114], v[115:116], v[113:114]
	v_fma_f64 v[115:116], -v[100:101], v[113:114], 1.0
	v_fma_f64 v[113:114], v[113:114], v[115:116], v[113:114]
	v_mul_f64 v[115:116], v[117:118], v[113:114]
	v_fma_f64 v[100:101], -v[100:101], v[115:116], v[117:118]
	v_div_fmas_f64 v[100:101], v[100:101], v[113:114], v[115:116]
	v_div_fixup_f64 v[98:99], v[100:101], v[98:99], 1.0
	v_mul_f64 v[100:101], v[107:108], -v[98:99]
.LBB46_11:
	s_or_b64 exec, exec, s[8:9]
	v_mov_b32_e32 v113, 0
	v_mov_b32_e32 v111, 2
.LBB46_12:
	s_or_b64 exec, exec, s[0:1]
	v_cmp_ne_u32_e32 vcc, v0, v106
	s_and_saveexec_b64 s[0:1], vcc
	s_xor_b64 s[0:1], exec, s[0:1]
	s_cbranch_execz .LBB46_18
; %bb.13:
	v_cmp_eq_u32_e32 vcc, 0, v0
	s_and_saveexec_b64 s[8:9], vcc
	s_cbranch_execz .LBB46_17
; %bb.14:
	v_cmp_ne_u32_e32 vcc, 0, v106
	s_xor_b64 s[20:21], s[18:19], -1
	s_and_b64 s[24:25], s[20:21], vcc
	s_and_saveexec_b64 s[20:21], s[24:25]
	s_cbranch_execz .LBB46_16
; %bb.15:
	v_ashrrev_i32_e32 v107, 31, v106
	v_lshlrev_b64 v[107:108], 2, v[106:107]
	v_add_co_u32_e32 v107, vcc, v104, v107
	v_addc_co_u32_e32 v108, vcc, v105, v108, vcc
	global_load_dword v0, v[107:108], off
	global_load_dword v114, v[104:105], off
	s_waitcnt vmcnt(1)
	global_store_dword v[104:105], v0, off
	s_waitcnt vmcnt(1)
	global_store_dword v[107:108], v114, off
.LBB46_16:
	s_or_b64 exec, exec, s[20:21]
	v_mov_b32_e32 v0, v106
.LBB46_17:
	s_or_b64 exec, exec, s[8:9]
.LBB46_18:
	s_or_saveexec_b64 s[0:1], s[0:1]
	v_mov_b32_e32 v108, v0
	s_xor_b64 exec, exec, s[0:1]
	s_cbranch_execz .LBB46_20
; %bb.19:
	v_mov_b32_e32 v108, 0
	ds_write2_b64 v1, v[86:87], v[88:89] offset0:2 offset1:3
	ds_write2_b64 v1, v[82:83], v[84:85] offset0:4 offset1:5
	;; [unrolled: 1-line block ×23, first 2 shown]
.LBB46_20:
	s_or_b64 exec, exec, s[0:1]
	v_cmp_lt_i32_e32 vcc, 0, v108
	s_waitcnt vmcnt(0) lgkmcnt(0)
	s_barrier
	s_and_saveexec_b64 s[0:1], vcc
	s_cbranch_execz .LBB46_22
; %bb.21:
	v_mul_f64 v[106:107], v[100:101], v[92:93]
	v_mul_f64 v[92:93], v[98:99], v[92:93]
	v_fma_f64 v[106:107], v[98:99], v[90:91], -v[106:107]
	v_fma_f64 v[92:93], v[100:101], v[90:91], v[92:93]
	ds_read2_b64 v[98:101], v1 offset0:2 offset1:3
	s_waitcnt lgkmcnt(0)
	v_mul_f64 v[90:91], v[100:101], v[92:93]
	v_fma_f64 v[90:91], v[98:99], v[106:107], -v[90:91]
	v_mul_f64 v[98:99], v[98:99], v[92:93]
	v_add_f64 v[86:87], v[86:87], -v[90:91]
	v_fma_f64 v[98:99], v[100:101], v[106:107], v[98:99]
	v_add_f64 v[88:89], v[88:89], -v[98:99]
	ds_read2_b64 v[98:101], v1 offset0:4 offset1:5
	s_waitcnt lgkmcnt(0)
	v_mul_f64 v[90:91], v[100:101], v[92:93]
	v_fma_f64 v[90:91], v[98:99], v[106:107], -v[90:91]
	v_mul_f64 v[98:99], v[98:99], v[92:93]
	v_add_f64 v[82:83], v[82:83], -v[90:91]
	v_fma_f64 v[98:99], v[100:101], v[106:107], v[98:99]
	v_add_f64 v[84:85], v[84:85], -v[98:99]
	;; [unrolled: 8-line block ×22, first 2 shown]
	ds_read2_b64 v[98:101], v1 offset0:46 offset1:47
	s_waitcnt lgkmcnt(0)
	v_mul_f64 v[90:91], v[100:101], v[92:93]
	v_fma_f64 v[90:91], v[98:99], v[106:107], -v[90:91]
	v_mul_f64 v[98:99], v[98:99], v[92:93]
	v_add_f64 v[94:95], v[94:95], -v[90:91]
	v_fma_f64 v[98:99], v[100:101], v[106:107], v[98:99]
	v_mov_b32_e32 v90, v106
	v_mov_b32_e32 v91, v107
	v_add_f64 v[96:97], v[96:97], -v[98:99]
.LBB46_22:
	s_or_b64 exec, exec, s[0:1]
	v_lshl_add_u32 v98, v108, 4, v1
	s_barrier
	ds_write2_b64 v98, v[86:87], v[88:89] offset1:1
	s_waitcnt lgkmcnt(0)
	s_barrier
	ds_read2_b64 v[98:101], v1 offset0:2 offset1:3
	s_cmp_lt_i32 s22, 3
	v_mov_b32_e32 v106, 1
	s_cbranch_scc1 .LBB46_25
; %bb.23:
	v_add3_u32 v107, v112, 0, 32
	s_mov_b32 s7, 2
	v_mov_b32_e32 v106, 1
.LBB46_24:                              ; =>This Inner Loop Header: Depth=1
	s_waitcnt lgkmcnt(0)
	v_cmp_gt_f64_e32 vcc, 0, v[100:101]
	v_cmp_gt_f64_e64 s[0:1], 0, v[98:99]
	ds_read2_b64 v[114:117], v107 offset1:1
	v_xor_b32_e32 v119, 0x80000000, v99
	v_xor_b32_e32 v121, 0x80000000, v101
	v_mov_b32_e32 v118, v98
	v_mov_b32_e32 v120, v100
	s_waitcnt lgkmcnt(0)
	v_xor_b32_e32 v123, 0x80000000, v117
	v_cndmask_b32_e32 v121, v101, v121, vcc
	v_cndmask_b32_e64 v119, v99, v119, s[0:1]
	v_cmp_gt_f64_e32 vcc, 0, v[116:117]
	v_cmp_gt_f64_e64 s[0:1], 0, v[114:115]
	v_add_f64 v[118:119], v[118:119], v[120:121]
	v_xor_b32_e32 v121, 0x80000000, v115
	v_mov_b32_e32 v120, v114
	v_mov_b32_e32 v122, v116
	v_add_u32_e32 v107, 16, v107
	v_cndmask_b32_e32 v123, v117, v123, vcc
	v_cndmask_b32_e64 v121, v115, v121, s[0:1]
	v_add_f64 v[120:121], v[120:121], v[122:123]
	v_mov_b32_e32 v122, s7
	s_add_i32 s7, s7, 1
	s_cmp_lg_u32 s22, s7
	v_cmp_lt_f64_e32 vcc, v[118:119], v[120:121]
	v_cndmask_b32_e32 v99, v99, v115, vcc
	v_cndmask_b32_e32 v98, v98, v114, vcc
	;; [unrolled: 1-line block ×5, first 2 shown]
	s_cbranch_scc1 .LBB46_24
.LBB46_25:
	s_waitcnt lgkmcnt(0)
	v_cmp_neq_f64_e32 vcc, 0, v[98:99]
	v_cmp_neq_f64_e64 s[0:1], 0, v[100:101]
	s_or_b64 s[8:9], vcc, s[0:1]
	s_and_saveexec_b64 s[0:1], s[8:9]
	s_cbranch_execz .LBB46_31
; %bb.26:
	v_cmp_ngt_f64_e64 s[8:9], |v[98:99]|, |v[100:101]|
	s_and_saveexec_b64 s[20:21], s[8:9]
	s_xor_b64 s[8:9], exec, s[20:21]
	s_cbranch_execz .LBB46_28
; %bb.27:
	v_div_scale_f64 v[114:115], s[20:21], v[100:101], v[100:101], v[98:99]
	v_rcp_f64_e32 v[116:117], v[114:115]
	v_fma_f64 v[118:119], -v[114:115], v[116:117], 1.0
	v_fma_f64 v[116:117], v[116:117], v[118:119], v[116:117]
	v_div_scale_f64 v[118:119], vcc, v[98:99], v[100:101], v[98:99]
	v_fma_f64 v[120:121], -v[114:115], v[116:117], 1.0
	v_fma_f64 v[116:117], v[116:117], v[120:121], v[116:117]
	v_mul_f64 v[120:121], v[118:119], v[116:117]
	v_fma_f64 v[114:115], -v[114:115], v[120:121], v[118:119]
	v_div_fmas_f64 v[114:115], v[114:115], v[116:117], v[120:121]
	v_div_fixup_f64 v[114:115], v[114:115], v[100:101], v[98:99]
	v_fma_f64 v[98:99], v[98:99], v[114:115], v[100:101]
	v_div_scale_f64 v[100:101], s[20:21], v[98:99], v[98:99], 1.0
	v_div_scale_f64 v[120:121], vcc, 1.0, v[98:99], 1.0
	v_rcp_f64_e32 v[116:117], v[100:101]
	v_fma_f64 v[118:119], -v[100:101], v[116:117], 1.0
	v_fma_f64 v[116:117], v[116:117], v[118:119], v[116:117]
	v_fma_f64 v[118:119], -v[100:101], v[116:117], 1.0
	v_fma_f64 v[116:117], v[116:117], v[118:119], v[116:117]
	v_mul_f64 v[118:119], v[120:121], v[116:117]
	v_fma_f64 v[100:101], -v[100:101], v[118:119], v[120:121]
	v_div_fmas_f64 v[100:101], v[100:101], v[116:117], v[118:119]
	v_div_fixup_f64 v[100:101], v[100:101], v[98:99], 1.0
	v_mul_f64 v[98:99], v[114:115], v[100:101]
	v_xor_b32_e32 v101, 0x80000000, v101
.LBB46_28:
	s_andn2_saveexec_b64 s[8:9], s[8:9]
	s_cbranch_execz .LBB46_30
; %bb.29:
	v_div_scale_f64 v[114:115], s[20:21], v[98:99], v[98:99], v[100:101]
	v_rcp_f64_e32 v[116:117], v[114:115]
	v_fma_f64 v[118:119], -v[114:115], v[116:117], 1.0
	v_fma_f64 v[116:117], v[116:117], v[118:119], v[116:117]
	v_div_scale_f64 v[118:119], vcc, v[100:101], v[98:99], v[100:101]
	v_fma_f64 v[120:121], -v[114:115], v[116:117], 1.0
	v_fma_f64 v[116:117], v[116:117], v[120:121], v[116:117]
	v_mul_f64 v[120:121], v[118:119], v[116:117]
	v_fma_f64 v[114:115], -v[114:115], v[120:121], v[118:119]
	v_div_fmas_f64 v[114:115], v[114:115], v[116:117], v[120:121]
	v_div_fixup_f64 v[114:115], v[114:115], v[98:99], v[100:101]
	v_fma_f64 v[98:99], v[100:101], v[114:115], v[98:99]
	v_div_scale_f64 v[100:101], s[20:21], v[98:99], v[98:99], 1.0
	v_div_scale_f64 v[120:121], vcc, 1.0, v[98:99], 1.0
	v_rcp_f64_e32 v[116:117], v[100:101]
	v_fma_f64 v[118:119], -v[100:101], v[116:117], 1.0
	v_fma_f64 v[116:117], v[116:117], v[118:119], v[116:117]
	v_fma_f64 v[118:119], -v[100:101], v[116:117], 1.0
	v_fma_f64 v[116:117], v[116:117], v[118:119], v[116:117]
	v_mul_f64 v[118:119], v[120:121], v[116:117]
	v_fma_f64 v[100:101], -v[100:101], v[118:119], v[120:121]
	v_div_fmas_f64 v[100:101], v[100:101], v[116:117], v[118:119]
	v_div_fixup_f64 v[98:99], v[100:101], v[98:99], 1.0
	v_mul_f64 v[100:101], v[114:115], -v[98:99]
.LBB46_30:
	s_or_b64 exec, exec, s[8:9]
	v_mov_b32_e32 v111, v113
.LBB46_31:
	s_or_b64 exec, exec, s[0:1]
	v_cmp_ne_u32_e32 vcc, v108, v106
	s_and_saveexec_b64 s[0:1], vcc
	s_xor_b64 s[0:1], exec, s[0:1]
	s_cbranch_execz .LBB46_37
; %bb.32:
	v_cmp_eq_u32_e32 vcc, 1, v108
	s_and_saveexec_b64 s[8:9], vcc
	s_cbranch_execz .LBB46_36
; %bb.33:
	v_cmp_ne_u32_e32 vcc, 1, v106
	s_xor_b64 s[20:21], s[18:19], -1
	s_and_b64 s[24:25], s[20:21], vcc
	s_and_saveexec_b64 s[20:21], s[24:25]
	s_cbranch_execz .LBB46_35
; %bb.34:
	v_ashrrev_i32_e32 v107, 31, v106
	v_lshlrev_b64 v[107:108], 2, v[106:107]
	v_add_co_u32_e32 v107, vcc, v104, v107
	v_addc_co_u32_e32 v108, vcc, v105, v108, vcc
	global_load_dword v0, v[107:108], off
	global_load_dword v113, v[104:105], off offset:4
	s_waitcnt vmcnt(1)
	global_store_dword v[104:105], v0, off offset:4
	s_waitcnt vmcnt(1)
	global_store_dword v[107:108], v113, off
.LBB46_35:
	s_or_b64 exec, exec, s[20:21]
	v_mov_b32_e32 v108, v106
	v_mov_b32_e32 v0, v106
.LBB46_36:
	s_or_b64 exec, exec, s[8:9]
.LBB46_37:
	s_andn2_saveexec_b64 s[0:1], s[0:1]
	s_cbranch_execz .LBB46_39
; %bb.38:
	v_mov_b32_e32 v108, 1
	ds_write2_b64 v1, v[82:83], v[84:85] offset0:4 offset1:5
	ds_write2_b64 v1, v[78:79], v[80:81] offset0:6 offset1:7
	;; [unrolled: 1-line block ×22, first 2 shown]
.LBB46_39:
	s_or_b64 exec, exec, s[0:1]
	v_cmp_lt_i32_e32 vcc, 1, v108
	s_waitcnt vmcnt(0) lgkmcnt(0)
	s_barrier
	s_and_saveexec_b64 s[0:1], vcc
	s_cbranch_execz .LBB46_41
; %bb.40:
	v_mul_f64 v[106:107], v[100:101], v[88:89]
	v_mul_f64 v[88:89], v[98:99], v[88:89]
	v_fma_f64 v[106:107], v[98:99], v[86:87], -v[106:107]
	v_fma_f64 v[88:89], v[100:101], v[86:87], v[88:89]
	ds_read2_b64 v[98:101], v1 offset0:4 offset1:5
	s_waitcnt lgkmcnt(0)
	v_mul_f64 v[86:87], v[100:101], v[88:89]
	v_fma_f64 v[86:87], v[98:99], v[106:107], -v[86:87]
	v_mul_f64 v[98:99], v[98:99], v[88:89]
	v_add_f64 v[82:83], v[82:83], -v[86:87]
	v_fma_f64 v[98:99], v[100:101], v[106:107], v[98:99]
	v_add_f64 v[84:85], v[84:85], -v[98:99]
	ds_read2_b64 v[98:101], v1 offset0:6 offset1:7
	s_waitcnt lgkmcnt(0)
	v_mul_f64 v[86:87], v[100:101], v[88:89]
	v_fma_f64 v[86:87], v[98:99], v[106:107], -v[86:87]
	v_mul_f64 v[98:99], v[98:99], v[88:89]
	v_add_f64 v[78:79], v[78:79], -v[86:87]
	v_fma_f64 v[98:99], v[100:101], v[106:107], v[98:99]
	v_add_f64 v[80:81], v[80:81], -v[98:99]
	;; [unrolled: 8-line block ×21, first 2 shown]
	ds_read2_b64 v[98:101], v1 offset0:46 offset1:47
	s_waitcnt lgkmcnt(0)
	v_mul_f64 v[86:87], v[100:101], v[88:89]
	v_fma_f64 v[86:87], v[98:99], v[106:107], -v[86:87]
	v_mul_f64 v[98:99], v[98:99], v[88:89]
	v_add_f64 v[94:95], v[94:95], -v[86:87]
	v_fma_f64 v[98:99], v[100:101], v[106:107], v[98:99]
	v_mov_b32_e32 v86, v106
	v_mov_b32_e32 v87, v107
	v_add_f64 v[96:97], v[96:97], -v[98:99]
.LBB46_41:
	s_or_b64 exec, exec, s[0:1]
	v_lshl_add_u32 v98, v108, 4, v1
	s_barrier
	ds_write2_b64 v98, v[82:83], v[84:85] offset1:1
	s_waitcnt lgkmcnt(0)
	s_barrier
	ds_read2_b64 v[98:101], v1 offset0:4 offset1:5
	s_cmp_lt_i32 s22, 4
	v_mov_b32_e32 v106, 2
	s_cbranch_scc1 .LBB46_44
; %bb.42:
	v_add3_u32 v107, v112, 0, 48
	s_mov_b32 s7, 3
	v_mov_b32_e32 v106, 2
.LBB46_43:                              ; =>This Inner Loop Header: Depth=1
	s_waitcnt lgkmcnt(0)
	v_cmp_gt_f64_e32 vcc, 0, v[100:101]
	v_cmp_gt_f64_e64 s[0:1], 0, v[98:99]
	ds_read2_b64 v[113:116], v107 offset1:1
	v_xor_b32_e32 v118, 0x80000000, v99
	v_xor_b32_e32 v120, 0x80000000, v101
	v_mov_b32_e32 v117, v98
	v_mov_b32_e32 v119, v100
	s_waitcnt lgkmcnt(0)
	v_xor_b32_e32 v122, 0x80000000, v116
	v_cndmask_b32_e32 v120, v101, v120, vcc
	v_cndmask_b32_e64 v118, v99, v118, s[0:1]
	v_cmp_gt_f64_e32 vcc, 0, v[115:116]
	v_cmp_gt_f64_e64 s[0:1], 0, v[113:114]
	v_add_f64 v[117:118], v[117:118], v[119:120]
	v_xor_b32_e32 v120, 0x80000000, v114
	v_mov_b32_e32 v119, v113
	v_mov_b32_e32 v121, v115
	v_add_u32_e32 v107, 16, v107
	v_cndmask_b32_e32 v122, v116, v122, vcc
	v_cndmask_b32_e64 v120, v114, v120, s[0:1]
	v_add_f64 v[119:120], v[119:120], v[121:122]
	v_mov_b32_e32 v121, s7
	s_add_i32 s7, s7, 1
	s_cmp_lg_u32 s22, s7
	v_cmp_lt_f64_e32 vcc, v[117:118], v[119:120]
	v_cndmask_b32_e32 v99, v99, v114, vcc
	v_cndmask_b32_e32 v98, v98, v113, vcc
	;; [unrolled: 1-line block ×5, first 2 shown]
	s_cbranch_scc1 .LBB46_43
.LBB46_44:
	s_waitcnt lgkmcnt(0)
	v_cmp_eq_f64_e32 vcc, 0, v[98:99]
	v_cmp_eq_f64_e64 s[0:1], 0, v[100:101]
	s_and_b64 s[0:1], vcc, s[0:1]
	s_and_saveexec_b64 s[8:9], s[0:1]
	s_xor_b64 s[0:1], exec, s[8:9]
; %bb.45:
	v_cmp_ne_u32_e32 vcc, 0, v111
	v_cndmask_b32_e32 v111, 3, v111, vcc
; %bb.46:
	s_andn2_saveexec_b64 s[0:1], s[0:1]
	s_cbranch_execz .LBB46_52
; %bb.47:
	v_cmp_ngt_f64_e64 s[8:9], |v[98:99]|, |v[100:101]|
	s_and_saveexec_b64 s[20:21], s[8:9]
	s_xor_b64 s[8:9], exec, s[20:21]
	s_cbranch_execz .LBB46_49
; %bb.48:
	v_div_scale_f64 v[113:114], s[20:21], v[100:101], v[100:101], v[98:99]
	v_rcp_f64_e32 v[115:116], v[113:114]
	v_fma_f64 v[117:118], -v[113:114], v[115:116], 1.0
	v_fma_f64 v[115:116], v[115:116], v[117:118], v[115:116]
	v_div_scale_f64 v[117:118], vcc, v[98:99], v[100:101], v[98:99]
	v_fma_f64 v[119:120], -v[113:114], v[115:116], 1.0
	v_fma_f64 v[115:116], v[115:116], v[119:120], v[115:116]
	v_mul_f64 v[119:120], v[117:118], v[115:116]
	v_fma_f64 v[113:114], -v[113:114], v[119:120], v[117:118]
	v_div_fmas_f64 v[113:114], v[113:114], v[115:116], v[119:120]
	v_div_fixup_f64 v[113:114], v[113:114], v[100:101], v[98:99]
	v_fma_f64 v[98:99], v[98:99], v[113:114], v[100:101]
	v_div_scale_f64 v[100:101], s[20:21], v[98:99], v[98:99], 1.0
	v_div_scale_f64 v[119:120], vcc, 1.0, v[98:99], 1.0
	v_rcp_f64_e32 v[115:116], v[100:101]
	v_fma_f64 v[117:118], -v[100:101], v[115:116], 1.0
	v_fma_f64 v[115:116], v[115:116], v[117:118], v[115:116]
	v_fma_f64 v[117:118], -v[100:101], v[115:116], 1.0
	v_fma_f64 v[115:116], v[115:116], v[117:118], v[115:116]
	v_mul_f64 v[117:118], v[119:120], v[115:116]
	v_fma_f64 v[100:101], -v[100:101], v[117:118], v[119:120]
	v_div_fmas_f64 v[100:101], v[100:101], v[115:116], v[117:118]
	v_div_fixup_f64 v[100:101], v[100:101], v[98:99], 1.0
	v_mul_f64 v[98:99], v[113:114], v[100:101]
	v_xor_b32_e32 v101, 0x80000000, v101
.LBB46_49:
	s_andn2_saveexec_b64 s[8:9], s[8:9]
	s_cbranch_execz .LBB46_51
; %bb.50:
	v_div_scale_f64 v[113:114], s[20:21], v[98:99], v[98:99], v[100:101]
	v_rcp_f64_e32 v[115:116], v[113:114]
	v_fma_f64 v[117:118], -v[113:114], v[115:116], 1.0
	v_fma_f64 v[115:116], v[115:116], v[117:118], v[115:116]
	v_div_scale_f64 v[117:118], vcc, v[100:101], v[98:99], v[100:101]
	v_fma_f64 v[119:120], -v[113:114], v[115:116], 1.0
	v_fma_f64 v[115:116], v[115:116], v[119:120], v[115:116]
	v_mul_f64 v[119:120], v[117:118], v[115:116]
	v_fma_f64 v[113:114], -v[113:114], v[119:120], v[117:118]
	v_div_fmas_f64 v[113:114], v[113:114], v[115:116], v[119:120]
	v_div_fixup_f64 v[113:114], v[113:114], v[98:99], v[100:101]
	v_fma_f64 v[98:99], v[100:101], v[113:114], v[98:99]
	v_div_scale_f64 v[100:101], s[20:21], v[98:99], v[98:99], 1.0
	v_div_scale_f64 v[119:120], vcc, 1.0, v[98:99], 1.0
	v_rcp_f64_e32 v[115:116], v[100:101]
	v_fma_f64 v[117:118], -v[100:101], v[115:116], 1.0
	v_fma_f64 v[115:116], v[115:116], v[117:118], v[115:116]
	v_fma_f64 v[117:118], -v[100:101], v[115:116], 1.0
	v_fma_f64 v[115:116], v[115:116], v[117:118], v[115:116]
	v_mul_f64 v[117:118], v[119:120], v[115:116]
	v_fma_f64 v[100:101], -v[100:101], v[117:118], v[119:120]
	v_div_fmas_f64 v[100:101], v[100:101], v[115:116], v[117:118]
	v_div_fixup_f64 v[98:99], v[100:101], v[98:99], 1.0
	v_mul_f64 v[100:101], v[113:114], -v[98:99]
.LBB46_51:
	s_or_b64 exec, exec, s[8:9]
.LBB46_52:
	s_or_b64 exec, exec, s[0:1]
	v_cmp_ne_u32_e32 vcc, v108, v106
	s_and_saveexec_b64 s[0:1], vcc
	s_xor_b64 s[0:1], exec, s[0:1]
	s_cbranch_execz .LBB46_58
; %bb.53:
	v_cmp_eq_u32_e32 vcc, 2, v108
	s_and_saveexec_b64 s[8:9], vcc
	s_cbranch_execz .LBB46_57
; %bb.54:
	v_cmp_ne_u32_e32 vcc, 2, v106
	s_xor_b64 s[20:21], s[18:19], -1
	s_and_b64 s[24:25], s[20:21], vcc
	s_and_saveexec_b64 s[20:21], s[24:25]
	s_cbranch_execz .LBB46_56
; %bb.55:
	v_ashrrev_i32_e32 v107, 31, v106
	v_lshlrev_b64 v[107:108], 2, v[106:107]
	v_add_co_u32_e32 v107, vcc, v104, v107
	v_addc_co_u32_e32 v108, vcc, v105, v108, vcc
	global_load_dword v0, v[107:108], off
	global_load_dword v113, v[104:105], off offset:8
	s_waitcnt vmcnt(1)
	global_store_dword v[104:105], v0, off offset:8
	s_waitcnt vmcnt(1)
	global_store_dword v[107:108], v113, off
.LBB46_56:
	s_or_b64 exec, exec, s[20:21]
	v_mov_b32_e32 v108, v106
	v_mov_b32_e32 v0, v106
.LBB46_57:
	s_or_b64 exec, exec, s[8:9]
.LBB46_58:
	s_andn2_saveexec_b64 s[0:1], s[0:1]
	s_cbranch_execz .LBB46_60
; %bb.59:
	v_mov_b32_e32 v108, 2
	ds_write2_b64 v1, v[78:79], v[80:81] offset0:6 offset1:7
	ds_write2_b64 v1, v[74:75], v[76:77] offset0:8 offset1:9
	;; [unrolled: 1-line block ×21, first 2 shown]
.LBB46_60:
	s_or_b64 exec, exec, s[0:1]
	v_cmp_lt_i32_e32 vcc, 2, v108
	s_waitcnt vmcnt(0) lgkmcnt(0)
	s_barrier
	s_and_saveexec_b64 s[0:1], vcc
	s_cbranch_execz .LBB46_62
; %bb.61:
	v_mul_f64 v[106:107], v[100:101], v[84:85]
	v_mul_f64 v[84:85], v[98:99], v[84:85]
	v_fma_f64 v[106:107], v[98:99], v[82:83], -v[106:107]
	v_fma_f64 v[84:85], v[100:101], v[82:83], v[84:85]
	ds_read2_b64 v[98:101], v1 offset0:6 offset1:7
	s_waitcnt lgkmcnt(0)
	v_mul_f64 v[82:83], v[100:101], v[84:85]
	v_fma_f64 v[82:83], v[98:99], v[106:107], -v[82:83]
	v_mul_f64 v[98:99], v[98:99], v[84:85]
	v_add_f64 v[78:79], v[78:79], -v[82:83]
	v_fma_f64 v[98:99], v[100:101], v[106:107], v[98:99]
	v_add_f64 v[80:81], v[80:81], -v[98:99]
	ds_read2_b64 v[98:101], v1 offset0:8 offset1:9
	s_waitcnt lgkmcnt(0)
	v_mul_f64 v[82:83], v[100:101], v[84:85]
	v_fma_f64 v[82:83], v[98:99], v[106:107], -v[82:83]
	v_mul_f64 v[98:99], v[98:99], v[84:85]
	v_add_f64 v[74:75], v[74:75], -v[82:83]
	v_fma_f64 v[98:99], v[100:101], v[106:107], v[98:99]
	v_add_f64 v[76:77], v[76:77], -v[98:99]
	;; [unrolled: 8-line block ×20, first 2 shown]
	ds_read2_b64 v[98:101], v1 offset0:46 offset1:47
	s_waitcnt lgkmcnt(0)
	v_mul_f64 v[82:83], v[100:101], v[84:85]
	v_fma_f64 v[82:83], v[98:99], v[106:107], -v[82:83]
	v_mul_f64 v[98:99], v[98:99], v[84:85]
	v_add_f64 v[94:95], v[94:95], -v[82:83]
	v_fma_f64 v[98:99], v[100:101], v[106:107], v[98:99]
	v_mov_b32_e32 v82, v106
	v_mov_b32_e32 v83, v107
	v_add_f64 v[96:97], v[96:97], -v[98:99]
.LBB46_62:
	s_or_b64 exec, exec, s[0:1]
	v_lshl_add_u32 v98, v108, 4, v1
	s_barrier
	ds_write2_b64 v98, v[78:79], v[80:81] offset1:1
	s_waitcnt lgkmcnt(0)
	s_barrier
	ds_read2_b64 v[98:101], v1 offset0:6 offset1:7
	s_mov_b32 s7, 4
	s_cmp_lt_i32 s22, 5
	v_mov_b32_e32 v106, 3
	s_cbranch_scc1 .LBB46_65
; %bb.63:
	v_add3_u32 v107, v112, 0, 64
	v_mov_b32_e32 v106, 3
.LBB46_64:                              ; =>This Inner Loop Header: Depth=1
	s_waitcnt lgkmcnt(0)
	v_cmp_gt_f64_e32 vcc, 0, v[100:101]
	v_cmp_gt_f64_e64 s[0:1], 0, v[98:99]
	ds_read2_b64 v[112:115], v107 offset1:1
	v_xor_b32_e32 v117, 0x80000000, v99
	v_xor_b32_e32 v119, 0x80000000, v101
	v_mov_b32_e32 v116, v98
	v_mov_b32_e32 v118, v100
	s_waitcnt lgkmcnt(0)
	v_xor_b32_e32 v121, 0x80000000, v115
	v_cndmask_b32_e32 v119, v101, v119, vcc
	v_cndmask_b32_e64 v117, v99, v117, s[0:1]
	v_cmp_gt_f64_e32 vcc, 0, v[114:115]
	v_cmp_gt_f64_e64 s[0:1], 0, v[112:113]
	v_add_f64 v[116:117], v[116:117], v[118:119]
	v_xor_b32_e32 v119, 0x80000000, v113
	v_mov_b32_e32 v118, v112
	v_mov_b32_e32 v120, v114
	v_add_u32_e32 v107, 16, v107
	v_cndmask_b32_e32 v121, v115, v121, vcc
	v_cndmask_b32_e64 v119, v113, v119, s[0:1]
	v_add_f64 v[118:119], v[118:119], v[120:121]
	v_mov_b32_e32 v120, s7
	s_add_i32 s7, s7, 1
	s_cmp_lg_u32 s22, s7
	v_cmp_lt_f64_e32 vcc, v[116:117], v[118:119]
	v_cndmask_b32_e32 v99, v99, v113, vcc
	v_cndmask_b32_e32 v98, v98, v112, vcc
	;; [unrolled: 1-line block ×5, first 2 shown]
	s_cbranch_scc1 .LBB46_64
.LBB46_65:
	s_waitcnt lgkmcnt(0)
	v_cmp_eq_f64_e32 vcc, 0, v[98:99]
	v_cmp_eq_f64_e64 s[0:1], 0, v[100:101]
	s_and_b64 s[0:1], vcc, s[0:1]
	s_and_saveexec_b64 s[8:9], s[0:1]
	s_xor_b64 s[0:1], exec, s[8:9]
; %bb.66:
	v_cmp_ne_u32_e32 vcc, 0, v111
	v_cndmask_b32_e32 v111, 4, v111, vcc
; %bb.67:
	s_andn2_saveexec_b64 s[0:1], s[0:1]
	s_cbranch_execz .LBB46_73
; %bb.68:
	v_cmp_ngt_f64_e64 s[8:9], |v[98:99]|, |v[100:101]|
	s_and_saveexec_b64 s[20:21], s[8:9]
	s_xor_b64 s[8:9], exec, s[20:21]
	s_cbranch_execz .LBB46_70
; %bb.69:
	v_div_scale_f64 v[112:113], s[20:21], v[100:101], v[100:101], v[98:99]
	v_rcp_f64_e32 v[114:115], v[112:113]
	v_fma_f64 v[116:117], -v[112:113], v[114:115], 1.0
	v_fma_f64 v[114:115], v[114:115], v[116:117], v[114:115]
	v_div_scale_f64 v[116:117], vcc, v[98:99], v[100:101], v[98:99]
	v_fma_f64 v[118:119], -v[112:113], v[114:115], 1.0
	v_fma_f64 v[114:115], v[114:115], v[118:119], v[114:115]
	v_mul_f64 v[118:119], v[116:117], v[114:115]
	v_fma_f64 v[112:113], -v[112:113], v[118:119], v[116:117]
	v_div_fmas_f64 v[112:113], v[112:113], v[114:115], v[118:119]
	v_div_fixup_f64 v[112:113], v[112:113], v[100:101], v[98:99]
	v_fma_f64 v[98:99], v[98:99], v[112:113], v[100:101]
	v_div_scale_f64 v[100:101], s[20:21], v[98:99], v[98:99], 1.0
	v_div_scale_f64 v[118:119], vcc, 1.0, v[98:99], 1.0
	v_rcp_f64_e32 v[114:115], v[100:101]
	v_fma_f64 v[116:117], -v[100:101], v[114:115], 1.0
	v_fma_f64 v[114:115], v[114:115], v[116:117], v[114:115]
	v_fma_f64 v[116:117], -v[100:101], v[114:115], 1.0
	v_fma_f64 v[114:115], v[114:115], v[116:117], v[114:115]
	v_mul_f64 v[116:117], v[118:119], v[114:115]
	v_fma_f64 v[100:101], -v[100:101], v[116:117], v[118:119]
	v_div_fmas_f64 v[100:101], v[100:101], v[114:115], v[116:117]
	v_div_fixup_f64 v[100:101], v[100:101], v[98:99], 1.0
	v_mul_f64 v[98:99], v[112:113], v[100:101]
	v_xor_b32_e32 v101, 0x80000000, v101
.LBB46_70:
	s_andn2_saveexec_b64 s[8:9], s[8:9]
	s_cbranch_execz .LBB46_72
; %bb.71:
	v_div_scale_f64 v[112:113], s[20:21], v[98:99], v[98:99], v[100:101]
	v_rcp_f64_e32 v[114:115], v[112:113]
	v_fma_f64 v[116:117], -v[112:113], v[114:115], 1.0
	v_fma_f64 v[114:115], v[114:115], v[116:117], v[114:115]
	v_div_scale_f64 v[116:117], vcc, v[100:101], v[98:99], v[100:101]
	v_fma_f64 v[118:119], -v[112:113], v[114:115], 1.0
	v_fma_f64 v[114:115], v[114:115], v[118:119], v[114:115]
	v_mul_f64 v[118:119], v[116:117], v[114:115]
	v_fma_f64 v[112:113], -v[112:113], v[118:119], v[116:117]
	v_div_fmas_f64 v[112:113], v[112:113], v[114:115], v[118:119]
	v_div_fixup_f64 v[112:113], v[112:113], v[98:99], v[100:101]
	v_fma_f64 v[98:99], v[100:101], v[112:113], v[98:99]
	v_div_scale_f64 v[100:101], s[20:21], v[98:99], v[98:99], 1.0
	v_div_scale_f64 v[118:119], vcc, 1.0, v[98:99], 1.0
	v_rcp_f64_e32 v[114:115], v[100:101]
	v_fma_f64 v[116:117], -v[100:101], v[114:115], 1.0
	v_fma_f64 v[114:115], v[114:115], v[116:117], v[114:115]
	v_fma_f64 v[116:117], -v[100:101], v[114:115], 1.0
	v_fma_f64 v[114:115], v[114:115], v[116:117], v[114:115]
	v_mul_f64 v[116:117], v[118:119], v[114:115]
	v_fma_f64 v[100:101], -v[100:101], v[116:117], v[118:119]
	v_div_fmas_f64 v[100:101], v[100:101], v[114:115], v[116:117]
	v_div_fixup_f64 v[98:99], v[100:101], v[98:99], 1.0
	v_mul_f64 v[100:101], v[112:113], -v[98:99]
.LBB46_72:
	s_or_b64 exec, exec, s[8:9]
.LBB46_73:
	s_or_b64 exec, exec, s[0:1]
	v_cmp_ne_u32_e32 vcc, v108, v106
	s_and_saveexec_b64 s[0:1], vcc
	s_xor_b64 s[0:1], exec, s[0:1]
	s_cbranch_execz .LBB46_79
; %bb.74:
	v_cmp_eq_u32_e32 vcc, 3, v108
	s_and_saveexec_b64 s[8:9], vcc
	s_cbranch_execz .LBB46_78
; %bb.75:
	v_cmp_ne_u32_e32 vcc, 3, v106
	s_xor_b64 s[20:21], s[18:19], -1
	s_and_b64 s[24:25], s[20:21], vcc
	s_and_saveexec_b64 s[20:21], s[24:25]
	s_cbranch_execz .LBB46_77
; %bb.76:
	v_ashrrev_i32_e32 v107, 31, v106
	v_lshlrev_b64 v[107:108], 2, v[106:107]
	v_add_co_u32_e32 v107, vcc, v104, v107
	v_addc_co_u32_e32 v108, vcc, v105, v108, vcc
	global_load_dword v0, v[107:108], off
	global_load_dword v112, v[104:105], off offset:12
	s_waitcnt vmcnt(1)
	global_store_dword v[104:105], v0, off offset:12
	s_waitcnt vmcnt(1)
	global_store_dword v[107:108], v112, off
.LBB46_77:
	s_or_b64 exec, exec, s[20:21]
	v_mov_b32_e32 v108, v106
	v_mov_b32_e32 v0, v106
.LBB46_78:
	s_or_b64 exec, exec, s[8:9]
.LBB46_79:
	s_andn2_saveexec_b64 s[0:1], s[0:1]
	s_cbranch_execz .LBB46_81
; %bb.80:
	v_mov_b32_e32 v108, 3
	ds_write2_b64 v1, v[74:75], v[76:77] offset0:8 offset1:9
	ds_write2_b64 v1, v[70:71], v[72:73] offset0:10 offset1:11
	;; [unrolled: 1-line block ×20, first 2 shown]
.LBB46_81:
	s_or_b64 exec, exec, s[0:1]
	v_cmp_lt_i32_e32 vcc, 3, v108
	s_waitcnt vmcnt(0) lgkmcnt(0)
	s_barrier
	s_and_saveexec_b64 s[0:1], vcc
	s_cbranch_execz .LBB46_83
; %bb.82:
	v_mul_f64 v[106:107], v[100:101], v[80:81]
	v_mul_f64 v[80:81], v[98:99], v[80:81]
	v_fma_f64 v[106:107], v[98:99], v[78:79], -v[106:107]
	v_fma_f64 v[80:81], v[100:101], v[78:79], v[80:81]
	ds_read2_b64 v[98:101], v1 offset0:8 offset1:9
	s_waitcnt lgkmcnt(0)
	v_mul_f64 v[78:79], v[100:101], v[80:81]
	v_fma_f64 v[78:79], v[98:99], v[106:107], -v[78:79]
	v_mul_f64 v[98:99], v[98:99], v[80:81]
	v_add_f64 v[74:75], v[74:75], -v[78:79]
	v_fma_f64 v[98:99], v[100:101], v[106:107], v[98:99]
	v_add_f64 v[76:77], v[76:77], -v[98:99]
	ds_read2_b64 v[98:101], v1 offset0:10 offset1:11
	s_waitcnt lgkmcnt(0)
	v_mul_f64 v[78:79], v[100:101], v[80:81]
	v_fma_f64 v[78:79], v[98:99], v[106:107], -v[78:79]
	v_mul_f64 v[98:99], v[98:99], v[80:81]
	v_add_f64 v[70:71], v[70:71], -v[78:79]
	v_fma_f64 v[98:99], v[100:101], v[106:107], v[98:99]
	v_add_f64 v[72:73], v[72:73], -v[98:99]
	;; [unrolled: 8-line block ×19, first 2 shown]
	ds_read2_b64 v[98:101], v1 offset0:46 offset1:47
	s_waitcnt lgkmcnt(0)
	v_mul_f64 v[78:79], v[100:101], v[80:81]
	v_fma_f64 v[78:79], v[98:99], v[106:107], -v[78:79]
	v_mul_f64 v[98:99], v[98:99], v[80:81]
	v_add_f64 v[94:95], v[94:95], -v[78:79]
	v_fma_f64 v[98:99], v[100:101], v[106:107], v[98:99]
	v_mov_b32_e32 v78, v106
	v_mov_b32_e32 v79, v107
	v_add_f64 v[96:97], v[96:97], -v[98:99]
.LBB46_83:
	s_or_b64 exec, exec, s[0:1]
	v_lshl_add_u32 v98, v108, 4, v1
	s_barrier
	ds_write2_b64 v98, v[74:75], v[76:77] offset1:1
	s_waitcnt lgkmcnt(0)
	s_barrier
	ds_read2_b64 v[98:101], v1 offset0:8 offset1:9
	s_cmp_lt_i32 s22, 6
	v_mov_b32_e32 v106, 4
	s_cbranch_scc1 .LBB46_86
; %bb.84:
	v_mov_b32_e32 v106, 4
	v_add_u32_e32 v107, 0x50, v1
	s_mov_b32 s7, 5
.LBB46_85:                              ; =>This Inner Loop Header: Depth=1
	s_waitcnt lgkmcnt(0)
	v_cmp_gt_f64_e32 vcc, 0, v[100:101]
	v_cmp_gt_f64_e64 s[0:1], 0, v[98:99]
	ds_read2_b64 v[112:115], v107 offset1:1
	v_xor_b32_e32 v117, 0x80000000, v99
	v_xor_b32_e32 v119, 0x80000000, v101
	v_mov_b32_e32 v116, v98
	v_mov_b32_e32 v118, v100
	s_waitcnt lgkmcnt(0)
	v_xor_b32_e32 v121, 0x80000000, v115
	v_cndmask_b32_e32 v119, v101, v119, vcc
	v_cndmask_b32_e64 v117, v99, v117, s[0:1]
	v_cmp_gt_f64_e32 vcc, 0, v[114:115]
	v_cmp_gt_f64_e64 s[0:1], 0, v[112:113]
	v_add_f64 v[116:117], v[116:117], v[118:119]
	v_xor_b32_e32 v119, 0x80000000, v113
	v_mov_b32_e32 v118, v112
	v_mov_b32_e32 v120, v114
	v_add_u32_e32 v107, 16, v107
	v_cndmask_b32_e32 v121, v115, v121, vcc
	v_cndmask_b32_e64 v119, v113, v119, s[0:1]
	v_add_f64 v[118:119], v[118:119], v[120:121]
	v_mov_b32_e32 v120, s7
	s_add_i32 s7, s7, 1
	s_cmp_lg_u32 s22, s7
	v_cmp_lt_f64_e32 vcc, v[116:117], v[118:119]
	v_cndmask_b32_e32 v99, v99, v113, vcc
	v_cndmask_b32_e32 v98, v98, v112, vcc
	;; [unrolled: 1-line block ×5, first 2 shown]
	s_cbranch_scc1 .LBB46_85
.LBB46_86:
	s_waitcnt lgkmcnt(0)
	v_cmp_eq_f64_e32 vcc, 0, v[98:99]
	v_cmp_eq_f64_e64 s[0:1], 0, v[100:101]
	s_and_b64 s[0:1], vcc, s[0:1]
	s_and_saveexec_b64 s[8:9], s[0:1]
	s_xor_b64 s[0:1], exec, s[8:9]
; %bb.87:
	v_cmp_ne_u32_e32 vcc, 0, v111
	v_cndmask_b32_e32 v111, 5, v111, vcc
; %bb.88:
	s_andn2_saveexec_b64 s[0:1], s[0:1]
	s_cbranch_execz .LBB46_94
; %bb.89:
	v_cmp_ngt_f64_e64 s[8:9], |v[98:99]|, |v[100:101]|
	s_and_saveexec_b64 s[20:21], s[8:9]
	s_xor_b64 s[8:9], exec, s[20:21]
	s_cbranch_execz .LBB46_91
; %bb.90:
	v_div_scale_f64 v[112:113], s[20:21], v[100:101], v[100:101], v[98:99]
	v_rcp_f64_e32 v[114:115], v[112:113]
	v_fma_f64 v[116:117], -v[112:113], v[114:115], 1.0
	v_fma_f64 v[114:115], v[114:115], v[116:117], v[114:115]
	v_div_scale_f64 v[116:117], vcc, v[98:99], v[100:101], v[98:99]
	v_fma_f64 v[118:119], -v[112:113], v[114:115], 1.0
	v_fma_f64 v[114:115], v[114:115], v[118:119], v[114:115]
	v_mul_f64 v[118:119], v[116:117], v[114:115]
	v_fma_f64 v[112:113], -v[112:113], v[118:119], v[116:117]
	v_div_fmas_f64 v[112:113], v[112:113], v[114:115], v[118:119]
	v_div_fixup_f64 v[112:113], v[112:113], v[100:101], v[98:99]
	v_fma_f64 v[98:99], v[98:99], v[112:113], v[100:101]
	v_div_scale_f64 v[100:101], s[20:21], v[98:99], v[98:99], 1.0
	v_div_scale_f64 v[118:119], vcc, 1.0, v[98:99], 1.0
	v_rcp_f64_e32 v[114:115], v[100:101]
	v_fma_f64 v[116:117], -v[100:101], v[114:115], 1.0
	v_fma_f64 v[114:115], v[114:115], v[116:117], v[114:115]
	v_fma_f64 v[116:117], -v[100:101], v[114:115], 1.0
	v_fma_f64 v[114:115], v[114:115], v[116:117], v[114:115]
	v_mul_f64 v[116:117], v[118:119], v[114:115]
	v_fma_f64 v[100:101], -v[100:101], v[116:117], v[118:119]
	v_div_fmas_f64 v[100:101], v[100:101], v[114:115], v[116:117]
	v_div_fixup_f64 v[100:101], v[100:101], v[98:99], 1.0
	v_mul_f64 v[98:99], v[112:113], v[100:101]
	v_xor_b32_e32 v101, 0x80000000, v101
.LBB46_91:
	s_andn2_saveexec_b64 s[8:9], s[8:9]
	s_cbranch_execz .LBB46_93
; %bb.92:
	v_div_scale_f64 v[112:113], s[20:21], v[98:99], v[98:99], v[100:101]
	v_rcp_f64_e32 v[114:115], v[112:113]
	v_fma_f64 v[116:117], -v[112:113], v[114:115], 1.0
	v_fma_f64 v[114:115], v[114:115], v[116:117], v[114:115]
	v_div_scale_f64 v[116:117], vcc, v[100:101], v[98:99], v[100:101]
	v_fma_f64 v[118:119], -v[112:113], v[114:115], 1.0
	v_fma_f64 v[114:115], v[114:115], v[118:119], v[114:115]
	v_mul_f64 v[118:119], v[116:117], v[114:115]
	v_fma_f64 v[112:113], -v[112:113], v[118:119], v[116:117]
	v_div_fmas_f64 v[112:113], v[112:113], v[114:115], v[118:119]
	v_div_fixup_f64 v[112:113], v[112:113], v[98:99], v[100:101]
	v_fma_f64 v[98:99], v[100:101], v[112:113], v[98:99]
	v_div_scale_f64 v[100:101], s[20:21], v[98:99], v[98:99], 1.0
	v_div_scale_f64 v[118:119], vcc, 1.0, v[98:99], 1.0
	v_rcp_f64_e32 v[114:115], v[100:101]
	v_fma_f64 v[116:117], -v[100:101], v[114:115], 1.0
	v_fma_f64 v[114:115], v[114:115], v[116:117], v[114:115]
	v_fma_f64 v[116:117], -v[100:101], v[114:115], 1.0
	v_fma_f64 v[114:115], v[114:115], v[116:117], v[114:115]
	v_mul_f64 v[116:117], v[118:119], v[114:115]
	v_fma_f64 v[100:101], -v[100:101], v[116:117], v[118:119]
	v_div_fmas_f64 v[100:101], v[100:101], v[114:115], v[116:117]
	v_div_fixup_f64 v[98:99], v[100:101], v[98:99], 1.0
	v_mul_f64 v[100:101], v[112:113], -v[98:99]
.LBB46_93:
	s_or_b64 exec, exec, s[8:9]
.LBB46_94:
	s_or_b64 exec, exec, s[0:1]
	v_cmp_ne_u32_e32 vcc, v108, v106
	s_and_saveexec_b64 s[0:1], vcc
	s_xor_b64 s[0:1], exec, s[0:1]
	s_cbranch_execz .LBB46_100
; %bb.95:
	v_cmp_eq_u32_e32 vcc, 4, v108
	s_and_saveexec_b64 s[8:9], vcc
	s_cbranch_execz .LBB46_99
; %bb.96:
	v_cmp_ne_u32_e32 vcc, 4, v106
	s_xor_b64 s[20:21], s[18:19], -1
	s_and_b64 s[24:25], s[20:21], vcc
	s_and_saveexec_b64 s[20:21], s[24:25]
	s_cbranch_execz .LBB46_98
; %bb.97:
	v_ashrrev_i32_e32 v107, 31, v106
	v_lshlrev_b64 v[107:108], 2, v[106:107]
	v_add_co_u32_e32 v107, vcc, v104, v107
	v_addc_co_u32_e32 v108, vcc, v105, v108, vcc
	global_load_dword v0, v[107:108], off
	global_load_dword v112, v[104:105], off offset:16
	s_waitcnt vmcnt(1)
	global_store_dword v[104:105], v0, off offset:16
	s_waitcnt vmcnt(1)
	global_store_dword v[107:108], v112, off
.LBB46_98:
	s_or_b64 exec, exec, s[20:21]
	v_mov_b32_e32 v108, v106
	v_mov_b32_e32 v0, v106
.LBB46_99:
	s_or_b64 exec, exec, s[8:9]
.LBB46_100:
	s_andn2_saveexec_b64 s[0:1], s[0:1]
	s_cbranch_execz .LBB46_102
; %bb.101:
	v_mov_b32_e32 v108, 4
	ds_write2_b64 v1, v[70:71], v[72:73] offset0:10 offset1:11
	ds_write2_b64 v1, v[66:67], v[68:69] offset0:12 offset1:13
	;; [unrolled: 1-line block ×19, first 2 shown]
.LBB46_102:
	s_or_b64 exec, exec, s[0:1]
	v_cmp_lt_i32_e32 vcc, 4, v108
	s_waitcnt vmcnt(0) lgkmcnt(0)
	s_barrier
	s_and_saveexec_b64 s[0:1], vcc
	s_cbranch_execz .LBB46_104
; %bb.103:
	v_mul_f64 v[106:107], v[100:101], v[76:77]
	v_mul_f64 v[76:77], v[98:99], v[76:77]
	v_fma_f64 v[106:107], v[98:99], v[74:75], -v[106:107]
	v_fma_f64 v[76:77], v[100:101], v[74:75], v[76:77]
	ds_read2_b64 v[98:101], v1 offset0:10 offset1:11
	s_waitcnt lgkmcnt(0)
	v_mul_f64 v[74:75], v[100:101], v[76:77]
	v_fma_f64 v[74:75], v[98:99], v[106:107], -v[74:75]
	v_mul_f64 v[98:99], v[98:99], v[76:77]
	v_add_f64 v[70:71], v[70:71], -v[74:75]
	v_fma_f64 v[98:99], v[100:101], v[106:107], v[98:99]
	v_add_f64 v[72:73], v[72:73], -v[98:99]
	ds_read2_b64 v[98:101], v1 offset0:12 offset1:13
	s_waitcnt lgkmcnt(0)
	v_mul_f64 v[74:75], v[100:101], v[76:77]
	v_fma_f64 v[74:75], v[98:99], v[106:107], -v[74:75]
	v_mul_f64 v[98:99], v[98:99], v[76:77]
	v_add_f64 v[66:67], v[66:67], -v[74:75]
	v_fma_f64 v[98:99], v[100:101], v[106:107], v[98:99]
	v_add_f64 v[68:69], v[68:69], -v[98:99]
	;; [unrolled: 8-line block ×18, first 2 shown]
	ds_read2_b64 v[98:101], v1 offset0:46 offset1:47
	s_waitcnt lgkmcnt(0)
	v_mul_f64 v[74:75], v[100:101], v[76:77]
	v_fma_f64 v[74:75], v[98:99], v[106:107], -v[74:75]
	v_mul_f64 v[98:99], v[98:99], v[76:77]
	v_add_f64 v[94:95], v[94:95], -v[74:75]
	v_fma_f64 v[98:99], v[100:101], v[106:107], v[98:99]
	v_mov_b32_e32 v74, v106
	v_mov_b32_e32 v75, v107
	v_add_f64 v[96:97], v[96:97], -v[98:99]
.LBB46_104:
	s_or_b64 exec, exec, s[0:1]
	v_lshl_add_u32 v98, v108, 4, v1
	s_barrier
	ds_write2_b64 v98, v[70:71], v[72:73] offset1:1
	s_waitcnt lgkmcnt(0)
	s_barrier
	ds_read2_b64 v[98:101], v1 offset0:10 offset1:11
	s_cmp_lt_i32 s22, 7
	v_mov_b32_e32 v106, 5
	s_cbranch_scc1 .LBB46_107
; %bb.105:
	v_add_u32_e32 v107, 0x60, v1
	s_mov_b32 s7, 6
	v_mov_b32_e32 v106, 5
.LBB46_106:                             ; =>This Inner Loop Header: Depth=1
	s_waitcnt lgkmcnt(0)
	v_cmp_gt_f64_e32 vcc, 0, v[100:101]
	v_cmp_gt_f64_e64 s[0:1], 0, v[98:99]
	ds_read2_b64 v[112:115], v107 offset1:1
	v_xor_b32_e32 v117, 0x80000000, v99
	v_xor_b32_e32 v119, 0x80000000, v101
	v_mov_b32_e32 v116, v98
	v_mov_b32_e32 v118, v100
	s_waitcnt lgkmcnt(0)
	v_xor_b32_e32 v121, 0x80000000, v115
	v_cndmask_b32_e32 v119, v101, v119, vcc
	v_cndmask_b32_e64 v117, v99, v117, s[0:1]
	v_cmp_gt_f64_e32 vcc, 0, v[114:115]
	v_cmp_gt_f64_e64 s[0:1], 0, v[112:113]
	v_add_f64 v[116:117], v[116:117], v[118:119]
	v_xor_b32_e32 v119, 0x80000000, v113
	v_mov_b32_e32 v118, v112
	v_mov_b32_e32 v120, v114
	v_add_u32_e32 v107, 16, v107
	v_cndmask_b32_e32 v121, v115, v121, vcc
	v_cndmask_b32_e64 v119, v113, v119, s[0:1]
	v_add_f64 v[118:119], v[118:119], v[120:121]
	v_mov_b32_e32 v120, s7
	s_add_i32 s7, s7, 1
	s_cmp_lg_u32 s22, s7
	v_cmp_lt_f64_e32 vcc, v[116:117], v[118:119]
	v_cndmask_b32_e32 v99, v99, v113, vcc
	v_cndmask_b32_e32 v98, v98, v112, vcc
	;; [unrolled: 1-line block ×5, first 2 shown]
	s_cbranch_scc1 .LBB46_106
.LBB46_107:
	s_waitcnt lgkmcnt(0)
	v_cmp_eq_f64_e32 vcc, 0, v[98:99]
	v_cmp_eq_f64_e64 s[0:1], 0, v[100:101]
	s_and_b64 s[0:1], vcc, s[0:1]
	s_and_saveexec_b64 s[8:9], s[0:1]
	s_xor_b64 s[0:1], exec, s[8:9]
; %bb.108:
	v_cmp_ne_u32_e32 vcc, 0, v111
	v_cndmask_b32_e32 v111, 6, v111, vcc
; %bb.109:
	s_andn2_saveexec_b64 s[0:1], s[0:1]
	s_cbranch_execz .LBB46_115
; %bb.110:
	v_cmp_ngt_f64_e64 s[8:9], |v[98:99]|, |v[100:101]|
	s_and_saveexec_b64 s[20:21], s[8:9]
	s_xor_b64 s[8:9], exec, s[20:21]
	s_cbranch_execz .LBB46_112
; %bb.111:
	v_div_scale_f64 v[112:113], s[20:21], v[100:101], v[100:101], v[98:99]
	v_rcp_f64_e32 v[114:115], v[112:113]
	v_fma_f64 v[116:117], -v[112:113], v[114:115], 1.0
	v_fma_f64 v[114:115], v[114:115], v[116:117], v[114:115]
	v_div_scale_f64 v[116:117], vcc, v[98:99], v[100:101], v[98:99]
	v_fma_f64 v[118:119], -v[112:113], v[114:115], 1.0
	v_fma_f64 v[114:115], v[114:115], v[118:119], v[114:115]
	v_mul_f64 v[118:119], v[116:117], v[114:115]
	v_fma_f64 v[112:113], -v[112:113], v[118:119], v[116:117]
	v_div_fmas_f64 v[112:113], v[112:113], v[114:115], v[118:119]
	v_div_fixup_f64 v[112:113], v[112:113], v[100:101], v[98:99]
	v_fma_f64 v[98:99], v[98:99], v[112:113], v[100:101]
	v_div_scale_f64 v[100:101], s[20:21], v[98:99], v[98:99], 1.0
	v_div_scale_f64 v[118:119], vcc, 1.0, v[98:99], 1.0
	v_rcp_f64_e32 v[114:115], v[100:101]
	v_fma_f64 v[116:117], -v[100:101], v[114:115], 1.0
	v_fma_f64 v[114:115], v[114:115], v[116:117], v[114:115]
	v_fma_f64 v[116:117], -v[100:101], v[114:115], 1.0
	v_fma_f64 v[114:115], v[114:115], v[116:117], v[114:115]
	v_mul_f64 v[116:117], v[118:119], v[114:115]
	v_fma_f64 v[100:101], -v[100:101], v[116:117], v[118:119]
	v_div_fmas_f64 v[100:101], v[100:101], v[114:115], v[116:117]
	v_div_fixup_f64 v[100:101], v[100:101], v[98:99], 1.0
	v_mul_f64 v[98:99], v[112:113], v[100:101]
	v_xor_b32_e32 v101, 0x80000000, v101
.LBB46_112:
	s_andn2_saveexec_b64 s[8:9], s[8:9]
	s_cbranch_execz .LBB46_114
; %bb.113:
	v_div_scale_f64 v[112:113], s[20:21], v[98:99], v[98:99], v[100:101]
	v_rcp_f64_e32 v[114:115], v[112:113]
	v_fma_f64 v[116:117], -v[112:113], v[114:115], 1.0
	v_fma_f64 v[114:115], v[114:115], v[116:117], v[114:115]
	v_div_scale_f64 v[116:117], vcc, v[100:101], v[98:99], v[100:101]
	v_fma_f64 v[118:119], -v[112:113], v[114:115], 1.0
	v_fma_f64 v[114:115], v[114:115], v[118:119], v[114:115]
	v_mul_f64 v[118:119], v[116:117], v[114:115]
	v_fma_f64 v[112:113], -v[112:113], v[118:119], v[116:117]
	v_div_fmas_f64 v[112:113], v[112:113], v[114:115], v[118:119]
	v_div_fixup_f64 v[112:113], v[112:113], v[98:99], v[100:101]
	v_fma_f64 v[98:99], v[100:101], v[112:113], v[98:99]
	v_div_scale_f64 v[100:101], s[20:21], v[98:99], v[98:99], 1.0
	v_div_scale_f64 v[118:119], vcc, 1.0, v[98:99], 1.0
	v_rcp_f64_e32 v[114:115], v[100:101]
	v_fma_f64 v[116:117], -v[100:101], v[114:115], 1.0
	v_fma_f64 v[114:115], v[114:115], v[116:117], v[114:115]
	v_fma_f64 v[116:117], -v[100:101], v[114:115], 1.0
	v_fma_f64 v[114:115], v[114:115], v[116:117], v[114:115]
	v_mul_f64 v[116:117], v[118:119], v[114:115]
	v_fma_f64 v[100:101], -v[100:101], v[116:117], v[118:119]
	v_div_fmas_f64 v[100:101], v[100:101], v[114:115], v[116:117]
	v_div_fixup_f64 v[98:99], v[100:101], v[98:99], 1.0
	v_mul_f64 v[100:101], v[112:113], -v[98:99]
.LBB46_114:
	s_or_b64 exec, exec, s[8:9]
.LBB46_115:
	s_or_b64 exec, exec, s[0:1]
	v_cmp_ne_u32_e32 vcc, v108, v106
	s_and_saveexec_b64 s[0:1], vcc
	s_xor_b64 s[0:1], exec, s[0:1]
	s_cbranch_execz .LBB46_121
; %bb.116:
	v_cmp_eq_u32_e32 vcc, 5, v108
	s_and_saveexec_b64 s[8:9], vcc
	s_cbranch_execz .LBB46_120
; %bb.117:
	v_cmp_ne_u32_e32 vcc, 5, v106
	s_xor_b64 s[20:21], s[18:19], -1
	s_and_b64 s[24:25], s[20:21], vcc
	s_and_saveexec_b64 s[20:21], s[24:25]
	s_cbranch_execz .LBB46_119
; %bb.118:
	v_ashrrev_i32_e32 v107, 31, v106
	v_lshlrev_b64 v[107:108], 2, v[106:107]
	v_add_co_u32_e32 v107, vcc, v104, v107
	v_addc_co_u32_e32 v108, vcc, v105, v108, vcc
	global_load_dword v0, v[107:108], off
	global_load_dword v112, v[104:105], off offset:20
	s_waitcnt vmcnt(1)
	global_store_dword v[104:105], v0, off offset:20
	s_waitcnt vmcnt(1)
	global_store_dword v[107:108], v112, off
.LBB46_119:
	s_or_b64 exec, exec, s[20:21]
	v_mov_b32_e32 v108, v106
	v_mov_b32_e32 v0, v106
.LBB46_120:
	s_or_b64 exec, exec, s[8:9]
.LBB46_121:
	s_andn2_saveexec_b64 s[0:1], s[0:1]
	s_cbranch_execz .LBB46_123
; %bb.122:
	v_mov_b32_e32 v108, 5
	ds_write2_b64 v1, v[66:67], v[68:69] offset0:12 offset1:13
	ds_write2_b64 v1, v[62:63], v[64:65] offset0:14 offset1:15
	;; [unrolled: 1-line block ×18, first 2 shown]
.LBB46_123:
	s_or_b64 exec, exec, s[0:1]
	v_cmp_lt_i32_e32 vcc, 5, v108
	s_waitcnt vmcnt(0) lgkmcnt(0)
	s_barrier
	s_and_saveexec_b64 s[0:1], vcc
	s_cbranch_execz .LBB46_125
; %bb.124:
	v_mul_f64 v[106:107], v[100:101], v[72:73]
	v_mul_f64 v[72:73], v[98:99], v[72:73]
	v_fma_f64 v[106:107], v[98:99], v[70:71], -v[106:107]
	v_fma_f64 v[72:73], v[100:101], v[70:71], v[72:73]
	ds_read2_b64 v[98:101], v1 offset0:12 offset1:13
	s_waitcnt lgkmcnt(0)
	v_mul_f64 v[70:71], v[100:101], v[72:73]
	v_fma_f64 v[70:71], v[98:99], v[106:107], -v[70:71]
	v_mul_f64 v[98:99], v[98:99], v[72:73]
	v_add_f64 v[66:67], v[66:67], -v[70:71]
	v_fma_f64 v[98:99], v[100:101], v[106:107], v[98:99]
	v_add_f64 v[68:69], v[68:69], -v[98:99]
	ds_read2_b64 v[98:101], v1 offset0:14 offset1:15
	s_waitcnt lgkmcnt(0)
	v_mul_f64 v[70:71], v[100:101], v[72:73]
	v_fma_f64 v[70:71], v[98:99], v[106:107], -v[70:71]
	v_mul_f64 v[98:99], v[98:99], v[72:73]
	v_add_f64 v[62:63], v[62:63], -v[70:71]
	v_fma_f64 v[98:99], v[100:101], v[106:107], v[98:99]
	v_add_f64 v[64:65], v[64:65], -v[98:99]
	;; [unrolled: 8-line block ×17, first 2 shown]
	ds_read2_b64 v[98:101], v1 offset0:46 offset1:47
	s_waitcnt lgkmcnt(0)
	v_mul_f64 v[70:71], v[100:101], v[72:73]
	v_fma_f64 v[70:71], v[98:99], v[106:107], -v[70:71]
	v_mul_f64 v[98:99], v[98:99], v[72:73]
	v_add_f64 v[94:95], v[94:95], -v[70:71]
	v_fma_f64 v[98:99], v[100:101], v[106:107], v[98:99]
	v_mov_b32_e32 v70, v106
	v_mov_b32_e32 v71, v107
	v_add_f64 v[96:97], v[96:97], -v[98:99]
.LBB46_125:
	s_or_b64 exec, exec, s[0:1]
	v_lshl_add_u32 v98, v108, 4, v1
	s_barrier
	ds_write2_b64 v98, v[66:67], v[68:69] offset1:1
	s_waitcnt lgkmcnt(0)
	s_barrier
	ds_read2_b64 v[98:101], v1 offset0:12 offset1:13
	s_cmp_lt_i32 s22, 8
	v_mov_b32_e32 v106, 6
	s_cbranch_scc1 .LBB46_128
; %bb.126:
	v_add_u32_e32 v107, 0x70, v1
	s_mov_b32 s7, 7
	v_mov_b32_e32 v106, 6
.LBB46_127:                             ; =>This Inner Loop Header: Depth=1
	s_waitcnt lgkmcnt(0)
	v_cmp_gt_f64_e32 vcc, 0, v[100:101]
	v_cmp_gt_f64_e64 s[0:1], 0, v[98:99]
	ds_read2_b64 v[112:115], v107 offset1:1
	v_xor_b32_e32 v117, 0x80000000, v99
	v_xor_b32_e32 v119, 0x80000000, v101
	v_mov_b32_e32 v116, v98
	v_mov_b32_e32 v118, v100
	s_waitcnt lgkmcnt(0)
	v_xor_b32_e32 v121, 0x80000000, v115
	v_cndmask_b32_e32 v119, v101, v119, vcc
	v_cndmask_b32_e64 v117, v99, v117, s[0:1]
	v_cmp_gt_f64_e32 vcc, 0, v[114:115]
	v_cmp_gt_f64_e64 s[0:1], 0, v[112:113]
	v_add_f64 v[116:117], v[116:117], v[118:119]
	v_xor_b32_e32 v119, 0x80000000, v113
	v_mov_b32_e32 v118, v112
	v_mov_b32_e32 v120, v114
	v_add_u32_e32 v107, 16, v107
	v_cndmask_b32_e32 v121, v115, v121, vcc
	v_cndmask_b32_e64 v119, v113, v119, s[0:1]
	v_add_f64 v[118:119], v[118:119], v[120:121]
	v_mov_b32_e32 v120, s7
	s_add_i32 s7, s7, 1
	s_cmp_lg_u32 s22, s7
	v_cmp_lt_f64_e32 vcc, v[116:117], v[118:119]
	v_cndmask_b32_e32 v99, v99, v113, vcc
	v_cndmask_b32_e32 v98, v98, v112, vcc
	v_cndmask_b32_e32 v101, v101, v115, vcc
	v_cndmask_b32_e32 v100, v100, v114, vcc
	v_cndmask_b32_e32 v106, v106, v120, vcc
	s_cbranch_scc1 .LBB46_127
.LBB46_128:
	s_waitcnt lgkmcnt(0)
	v_cmp_eq_f64_e32 vcc, 0, v[98:99]
	v_cmp_eq_f64_e64 s[0:1], 0, v[100:101]
	s_and_b64 s[0:1], vcc, s[0:1]
	s_and_saveexec_b64 s[8:9], s[0:1]
	s_xor_b64 s[0:1], exec, s[8:9]
; %bb.129:
	v_cmp_ne_u32_e32 vcc, 0, v111
	v_cndmask_b32_e32 v111, 7, v111, vcc
; %bb.130:
	s_andn2_saveexec_b64 s[0:1], s[0:1]
	s_cbranch_execz .LBB46_136
; %bb.131:
	v_cmp_ngt_f64_e64 s[8:9], |v[98:99]|, |v[100:101]|
	s_and_saveexec_b64 s[20:21], s[8:9]
	s_xor_b64 s[8:9], exec, s[20:21]
	s_cbranch_execz .LBB46_133
; %bb.132:
	v_div_scale_f64 v[112:113], s[20:21], v[100:101], v[100:101], v[98:99]
	v_rcp_f64_e32 v[114:115], v[112:113]
	v_fma_f64 v[116:117], -v[112:113], v[114:115], 1.0
	v_fma_f64 v[114:115], v[114:115], v[116:117], v[114:115]
	v_div_scale_f64 v[116:117], vcc, v[98:99], v[100:101], v[98:99]
	v_fma_f64 v[118:119], -v[112:113], v[114:115], 1.0
	v_fma_f64 v[114:115], v[114:115], v[118:119], v[114:115]
	v_mul_f64 v[118:119], v[116:117], v[114:115]
	v_fma_f64 v[112:113], -v[112:113], v[118:119], v[116:117]
	v_div_fmas_f64 v[112:113], v[112:113], v[114:115], v[118:119]
	v_div_fixup_f64 v[112:113], v[112:113], v[100:101], v[98:99]
	v_fma_f64 v[98:99], v[98:99], v[112:113], v[100:101]
	v_div_scale_f64 v[100:101], s[20:21], v[98:99], v[98:99], 1.0
	v_div_scale_f64 v[118:119], vcc, 1.0, v[98:99], 1.0
	v_rcp_f64_e32 v[114:115], v[100:101]
	v_fma_f64 v[116:117], -v[100:101], v[114:115], 1.0
	v_fma_f64 v[114:115], v[114:115], v[116:117], v[114:115]
	v_fma_f64 v[116:117], -v[100:101], v[114:115], 1.0
	v_fma_f64 v[114:115], v[114:115], v[116:117], v[114:115]
	v_mul_f64 v[116:117], v[118:119], v[114:115]
	v_fma_f64 v[100:101], -v[100:101], v[116:117], v[118:119]
	v_div_fmas_f64 v[100:101], v[100:101], v[114:115], v[116:117]
	v_div_fixup_f64 v[100:101], v[100:101], v[98:99], 1.0
	v_mul_f64 v[98:99], v[112:113], v[100:101]
	v_xor_b32_e32 v101, 0x80000000, v101
.LBB46_133:
	s_andn2_saveexec_b64 s[8:9], s[8:9]
	s_cbranch_execz .LBB46_135
; %bb.134:
	v_div_scale_f64 v[112:113], s[20:21], v[98:99], v[98:99], v[100:101]
	v_rcp_f64_e32 v[114:115], v[112:113]
	v_fma_f64 v[116:117], -v[112:113], v[114:115], 1.0
	v_fma_f64 v[114:115], v[114:115], v[116:117], v[114:115]
	v_div_scale_f64 v[116:117], vcc, v[100:101], v[98:99], v[100:101]
	v_fma_f64 v[118:119], -v[112:113], v[114:115], 1.0
	v_fma_f64 v[114:115], v[114:115], v[118:119], v[114:115]
	v_mul_f64 v[118:119], v[116:117], v[114:115]
	v_fma_f64 v[112:113], -v[112:113], v[118:119], v[116:117]
	v_div_fmas_f64 v[112:113], v[112:113], v[114:115], v[118:119]
	v_div_fixup_f64 v[112:113], v[112:113], v[98:99], v[100:101]
	v_fma_f64 v[98:99], v[100:101], v[112:113], v[98:99]
	v_div_scale_f64 v[100:101], s[20:21], v[98:99], v[98:99], 1.0
	v_div_scale_f64 v[118:119], vcc, 1.0, v[98:99], 1.0
	v_rcp_f64_e32 v[114:115], v[100:101]
	v_fma_f64 v[116:117], -v[100:101], v[114:115], 1.0
	v_fma_f64 v[114:115], v[114:115], v[116:117], v[114:115]
	v_fma_f64 v[116:117], -v[100:101], v[114:115], 1.0
	v_fma_f64 v[114:115], v[114:115], v[116:117], v[114:115]
	v_mul_f64 v[116:117], v[118:119], v[114:115]
	v_fma_f64 v[100:101], -v[100:101], v[116:117], v[118:119]
	v_div_fmas_f64 v[100:101], v[100:101], v[114:115], v[116:117]
	v_div_fixup_f64 v[98:99], v[100:101], v[98:99], 1.0
	v_mul_f64 v[100:101], v[112:113], -v[98:99]
.LBB46_135:
	s_or_b64 exec, exec, s[8:9]
.LBB46_136:
	s_or_b64 exec, exec, s[0:1]
	v_cmp_ne_u32_e32 vcc, v108, v106
	s_and_saveexec_b64 s[0:1], vcc
	s_xor_b64 s[0:1], exec, s[0:1]
	s_cbranch_execz .LBB46_142
; %bb.137:
	v_cmp_eq_u32_e32 vcc, 6, v108
	s_and_saveexec_b64 s[8:9], vcc
	s_cbranch_execz .LBB46_141
; %bb.138:
	v_cmp_ne_u32_e32 vcc, 6, v106
	s_xor_b64 s[20:21], s[18:19], -1
	s_and_b64 s[24:25], s[20:21], vcc
	s_and_saveexec_b64 s[20:21], s[24:25]
	s_cbranch_execz .LBB46_140
; %bb.139:
	v_ashrrev_i32_e32 v107, 31, v106
	v_lshlrev_b64 v[107:108], 2, v[106:107]
	v_add_co_u32_e32 v107, vcc, v104, v107
	v_addc_co_u32_e32 v108, vcc, v105, v108, vcc
	global_load_dword v0, v[107:108], off
	global_load_dword v112, v[104:105], off offset:24
	s_waitcnt vmcnt(1)
	global_store_dword v[104:105], v0, off offset:24
	s_waitcnt vmcnt(1)
	global_store_dword v[107:108], v112, off
.LBB46_140:
	s_or_b64 exec, exec, s[20:21]
	v_mov_b32_e32 v108, v106
	v_mov_b32_e32 v0, v106
.LBB46_141:
	s_or_b64 exec, exec, s[8:9]
.LBB46_142:
	s_andn2_saveexec_b64 s[0:1], s[0:1]
	s_cbranch_execz .LBB46_144
; %bb.143:
	v_mov_b32_e32 v108, 6
	ds_write2_b64 v1, v[62:63], v[64:65] offset0:14 offset1:15
	ds_write2_b64 v1, v[58:59], v[60:61] offset0:16 offset1:17
	;; [unrolled: 1-line block ×17, first 2 shown]
.LBB46_144:
	s_or_b64 exec, exec, s[0:1]
	v_cmp_lt_i32_e32 vcc, 6, v108
	s_waitcnt vmcnt(0) lgkmcnt(0)
	s_barrier
	s_and_saveexec_b64 s[0:1], vcc
	s_cbranch_execz .LBB46_146
; %bb.145:
	v_mul_f64 v[106:107], v[100:101], v[68:69]
	v_mul_f64 v[68:69], v[98:99], v[68:69]
	v_fma_f64 v[106:107], v[98:99], v[66:67], -v[106:107]
	v_fma_f64 v[68:69], v[100:101], v[66:67], v[68:69]
	ds_read2_b64 v[98:101], v1 offset0:14 offset1:15
	s_waitcnt lgkmcnt(0)
	v_mul_f64 v[66:67], v[100:101], v[68:69]
	v_fma_f64 v[66:67], v[98:99], v[106:107], -v[66:67]
	v_mul_f64 v[98:99], v[98:99], v[68:69]
	v_add_f64 v[62:63], v[62:63], -v[66:67]
	v_fma_f64 v[98:99], v[100:101], v[106:107], v[98:99]
	v_add_f64 v[64:65], v[64:65], -v[98:99]
	ds_read2_b64 v[98:101], v1 offset0:16 offset1:17
	s_waitcnt lgkmcnt(0)
	v_mul_f64 v[66:67], v[100:101], v[68:69]
	v_fma_f64 v[66:67], v[98:99], v[106:107], -v[66:67]
	v_mul_f64 v[98:99], v[98:99], v[68:69]
	v_add_f64 v[58:59], v[58:59], -v[66:67]
	v_fma_f64 v[98:99], v[100:101], v[106:107], v[98:99]
	v_add_f64 v[60:61], v[60:61], -v[98:99]
	;; [unrolled: 8-line block ×16, first 2 shown]
	ds_read2_b64 v[98:101], v1 offset0:46 offset1:47
	s_waitcnt lgkmcnt(0)
	v_mul_f64 v[66:67], v[100:101], v[68:69]
	v_fma_f64 v[66:67], v[98:99], v[106:107], -v[66:67]
	v_mul_f64 v[98:99], v[98:99], v[68:69]
	v_add_f64 v[94:95], v[94:95], -v[66:67]
	v_fma_f64 v[98:99], v[100:101], v[106:107], v[98:99]
	v_mov_b32_e32 v66, v106
	v_mov_b32_e32 v67, v107
	v_add_f64 v[96:97], v[96:97], -v[98:99]
.LBB46_146:
	s_or_b64 exec, exec, s[0:1]
	v_lshl_add_u32 v98, v108, 4, v1
	s_barrier
	ds_write2_b64 v98, v[62:63], v[64:65] offset1:1
	s_waitcnt lgkmcnt(0)
	s_barrier
	ds_read2_b64 v[98:101], v1 offset0:14 offset1:15
	s_cmp_lt_i32 s22, 9
	v_mov_b32_e32 v106, 7
	s_cbranch_scc1 .LBB46_149
; %bb.147:
	v_add_u32_e32 v107, 0x80, v1
	s_mov_b32 s7, 8
	v_mov_b32_e32 v106, 7
.LBB46_148:                             ; =>This Inner Loop Header: Depth=1
	s_waitcnt lgkmcnt(0)
	v_cmp_gt_f64_e32 vcc, 0, v[100:101]
	v_cmp_gt_f64_e64 s[0:1], 0, v[98:99]
	ds_read2_b64 v[112:115], v107 offset1:1
	v_xor_b32_e32 v117, 0x80000000, v99
	v_xor_b32_e32 v119, 0x80000000, v101
	v_mov_b32_e32 v116, v98
	v_mov_b32_e32 v118, v100
	s_waitcnt lgkmcnt(0)
	v_xor_b32_e32 v121, 0x80000000, v115
	v_cndmask_b32_e32 v119, v101, v119, vcc
	v_cndmask_b32_e64 v117, v99, v117, s[0:1]
	v_cmp_gt_f64_e32 vcc, 0, v[114:115]
	v_cmp_gt_f64_e64 s[0:1], 0, v[112:113]
	v_add_f64 v[116:117], v[116:117], v[118:119]
	v_xor_b32_e32 v119, 0x80000000, v113
	v_mov_b32_e32 v118, v112
	v_mov_b32_e32 v120, v114
	v_add_u32_e32 v107, 16, v107
	v_cndmask_b32_e32 v121, v115, v121, vcc
	v_cndmask_b32_e64 v119, v113, v119, s[0:1]
	v_add_f64 v[118:119], v[118:119], v[120:121]
	v_mov_b32_e32 v120, s7
	s_add_i32 s7, s7, 1
	s_cmp_lg_u32 s22, s7
	v_cmp_lt_f64_e32 vcc, v[116:117], v[118:119]
	v_cndmask_b32_e32 v99, v99, v113, vcc
	v_cndmask_b32_e32 v98, v98, v112, vcc
	;; [unrolled: 1-line block ×5, first 2 shown]
	s_cbranch_scc1 .LBB46_148
.LBB46_149:
	s_waitcnt lgkmcnt(0)
	v_cmp_eq_f64_e32 vcc, 0, v[98:99]
	v_cmp_eq_f64_e64 s[0:1], 0, v[100:101]
	s_and_b64 s[0:1], vcc, s[0:1]
	s_and_saveexec_b64 s[8:9], s[0:1]
	s_xor_b64 s[0:1], exec, s[8:9]
; %bb.150:
	v_cmp_ne_u32_e32 vcc, 0, v111
	v_cndmask_b32_e32 v111, 8, v111, vcc
; %bb.151:
	s_andn2_saveexec_b64 s[0:1], s[0:1]
	s_cbranch_execz .LBB46_157
; %bb.152:
	v_cmp_ngt_f64_e64 s[8:9], |v[98:99]|, |v[100:101]|
	s_and_saveexec_b64 s[20:21], s[8:9]
	s_xor_b64 s[8:9], exec, s[20:21]
	s_cbranch_execz .LBB46_154
; %bb.153:
	v_div_scale_f64 v[112:113], s[20:21], v[100:101], v[100:101], v[98:99]
	v_rcp_f64_e32 v[114:115], v[112:113]
	v_fma_f64 v[116:117], -v[112:113], v[114:115], 1.0
	v_fma_f64 v[114:115], v[114:115], v[116:117], v[114:115]
	v_div_scale_f64 v[116:117], vcc, v[98:99], v[100:101], v[98:99]
	v_fma_f64 v[118:119], -v[112:113], v[114:115], 1.0
	v_fma_f64 v[114:115], v[114:115], v[118:119], v[114:115]
	v_mul_f64 v[118:119], v[116:117], v[114:115]
	v_fma_f64 v[112:113], -v[112:113], v[118:119], v[116:117]
	v_div_fmas_f64 v[112:113], v[112:113], v[114:115], v[118:119]
	v_div_fixup_f64 v[112:113], v[112:113], v[100:101], v[98:99]
	v_fma_f64 v[98:99], v[98:99], v[112:113], v[100:101]
	v_div_scale_f64 v[100:101], s[20:21], v[98:99], v[98:99], 1.0
	v_div_scale_f64 v[118:119], vcc, 1.0, v[98:99], 1.0
	v_rcp_f64_e32 v[114:115], v[100:101]
	v_fma_f64 v[116:117], -v[100:101], v[114:115], 1.0
	v_fma_f64 v[114:115], v[114:115], v[116:117], v[114:115]
	v_fma_f64 v[116:117], -v[100:101], v[114:115], 1.0
	v_fma_f64 v[114:115], v[114:115], v[116:117], v[114:115]
	v_mul_f64 v[116:117], v[118:119], v[114:115]
	v_fma_f64 v[100:101], -v[100:101], v[116:117], v[118:119]
	v_div_fmas_f64 v[100:101], v[100:101], v[114:115], v[116:117]
	v_div_fixup_f64 v[100:101], v[100:101], v[98:99], 1.0
	v_mul_f64 v[98:99], v[112:113], v[100:101]
	v_xor_b32_e32 v101, 0x80000000, v101
.LBB46_154:
	s_andn2_saveexec_b64 s[8:9], s[8:9]
	s_cbranch_execz .LBB46_156
; %bb.155:
	v_div_scale_f64 v[112:113], s[20:21], v[98:99], v[98:99], v[100:101]
	v_rcp_f64_e32 v[114:115], v[112:113]
	v_fma_f64 v[116:117], -v[112:113], v[114:115], 1.0
	v_fma_f64 v[114:115], v[114:115], v[116:117], v[114:115]
	v_div_scale_f64 v[116:117], vcc, v[100:101], v[98:99], v[100:101]
	v_fma_f64 v[118:119], -v[112:113], v[114:115], 1.0
	v_fma_f64 v[114:115], v[114:115], v[118:119], v[114:115]
	v_mul_f64 v[118:119], v[116:117], v[114:115]
	v_fma_f64 v[112:113], -v[112:113], v[118:119], v[116:117]
	v_div_fmas_f64 v[112:113], v[112:113], v[114:115], v[118:119]
	v_div_fixup_f64 v[112:113], v[112:113], v[98:99], v[100:101]
	v_fma_f64 v[98:99], v[100:101], v[112:113], v[98:99]
	v_div_scale_f64 v[100:101], s[20:21], v[98:99], v[98:99], 1.0
	v_div_scale_f64 v[118:119], vcc, 1.0, v[98:99], 1.0
	v_rcp_f64_e32 v[114:115], v[100:101]
	v_fma_f64 v[116:117], -v[100:101], v[114:115], 1.0
	v_fma_f64 v[114:115], v[114:115], v[116:117], v[114:115]
	v_fma_f64 v[116:117], -v[100:101], v[114:115], 1.0
	v_fma_f64 v[114:115], v[114:115], v[116:117], v[114:115]
	v_mul_f64 v[116:117], v[118:119], v[114:115]
	v_fma_f64 v[100:101], -v[100:101], v[116:117], v[118:119]
	v_div_fmas_f64 v[100:101], v[100:101], v[114:115], v[116:117]
	v_div_fixup_f64 v[98:99], v[100:101], v[98:99], 1.0
	v_mul_f64 v[100:101], v[112:113], -v[98:99]
.LBB46_156:
	s_or_b64 exec, exec, s[8:9]
.LBB46_157:
	s_or_b64 exec, exec, s[0:1]
	v_cmp_ne_u32_e32 vcc, v108, v106
	s_and_saveexec_b64 s[0:1], vcc
	s_xor_b64 s[0:1], exec, s[0:1]
	s_cbranch_execz .LBB46_163
; %bb.158:
	v_cmp_eq_u32_e32 vcc, 7, v108
	s_and_saveexec_b64 s[8:9], vcc
	s_cbranch_execz .LBB46_162
; %bb.159:
	v_cmp_ne_u32_e32 vcc, 7, v106
	s_xor_b64 s[20:21], s[18:19], -1
	s_and_b64 s[24:25], s[20:21], vcc
	s_and_saveexec_b64 s[20:21], s[24:25]
	s_cbranch_execz .LBB46_161
; %bb.160:
	v_ashrrev_i32_e32 v107, 31, v106
	v_lshlrev_b64 v[107:108], 2, v[106:107]
	v_add_co_u32_e32 v107, vcc, v104, v107
	v_addc_co_u32_e32 v108, vcc, v105, v108, vcc
	global_load_dword v0, v[107:108], off
	global_load_dword v112, v[104:105], off offset:28
	s_waitcnt vmcnt(1)
	global_store_dword v[104:105], v0, off offset:28
	s_waitcnt vmcnt(1)
	global_store_dword v[107:108], v112, off
.LBB46_161:
	s_or_b64 exec, exec, s[20:21]
	v_mov_b32_e32 v108, v106
	v_mov_b32_e32 v0, v106
.LBB46_162:
	s_or_b64 exec, exec, s[8:9]
.LBB46_163:
	s_andn2_saveexec_b64 s[0:1], s[0:1]
	s_cbranch_execz .LBB46_165
; %bb.164:
	v_mov_b32_e32 v108, 7
	ds_write2_b64 v1, v[58:59], v[60:61] offset0:16 offset1:17
	ds_write2_b64 v1, v[54:55], v[56:57] offset0:18 offset1:19
	;; [unrolled: 1-line block ×16, first 2 shown]
.LBB46_165:
	s_or_b64 exec, exec, s[0:1]
	v_cmp_lt_i32_e32 vcc, 7, v108
	s_waitcnt vmcnt(0) lgkmcnt(0)
	s_barrier
	s_and_saveexec_b64 s[0:1], vcc
	s_cbranch_execz .LBB46_167
; %bb.166:
	v_mul_f64 v[106:107], v[98:99], v[64:65]
	v_mul_f64 v[64:65], v[100:101], v[64:65]
	v_fma_f64 v[106:107], v[100:101], v[62:63], v[106:107]
	v_fma_f64 v[62:63], v[98:99], v[62:63], -v[64:65]
	ds_read2_b64 v[98:101], v1 offset0:16 offset1:17
	s_waitcnt lgkmcnt(0)
	v_mul_f64 v[64:65], v[100:101], v[106:107]
	v_fma_f64 v[64:65], v[98:99], v[62:63], -v[64:65]
	v_mul_f64 v[98:99], v[98:99], v[106:107]
	v_add_f64 v[58:59], v[58:59], -v[64:65]
	v_fma_f64 v[98:99], v[100:101], v[62:63], v[98:99]
	v_add_f64 v[60:61], v[60:61], -v[98:99]
	ds_read2_b64 v[98:101], v1 offset0:18 offset1:19
	s_waitcnt lgkmcnt(0)
	v_mul_f64 v[64:65], v[100:101], v[106:107]
	v_fma_f64 v[64:65], v[98:99], v[62:63], -v[64:65]
	v_mul_f64 v[98:99], v[98:99], v[106:107]
	v_add_f64 v[54:55], v[54:55], -v[64:65]
	v_fma_f64 v[98:99], v[100:101], v[62:63], v[98:99]
	v_add_f64 v[56:57], v[56:57], -v[98:99]
	;; [unrolled: 8-line block ×15, first 2 shown]
	ds_read2_b64 v[98:101], v1 offset0:46 offset1:47
	s_waitcnt lgkmcnt(0)
	v_mul_f64 v[64:65], v[100:101], v[106:107]
	v_fma_f64 v[64:65], v[98:99], v[62:63], -v[64:65]
	v_mul_f64 v[98:99], v[98:99], v[106:107]
	v_add_f64 v[94:95], v[94:95], -v[64:65]
	v_fma_f64 v[98:99], v[100:101], v[62:63], v[98:99]
	v_mov_b32_e32 v64, v106
	v_mov_b32_e32 v65, v107
	v_add_f64 v[96:97], v[96:97], -v[98:99]
.LBB46_167:
	s_or_b64 exec, exec, s[0:1]
	v_lshl_add_u32 v98, v108, 4, v1
	s_barrier
	ds_write2_b64 v98, v[58:59], v[60:61] offset1:1
	s_waitcnt lgkmcnt(0)
	s_barrier
	ds_read2_b64 v[98:101], v1 offset0:16 offset1:17
	s_cmp_lt_i32 s22, 10
	v_mov_b32_e32 v106, 8
	s_cbranch_scc1 .LBB46_170
; %bb.168:
	v_add_u32_e32 v107, 0x90, v1
	s_mov_b32 s7, 9
	v_mov_b32_e32 v106, 8
.LBB46_169:                             ; =>This Inner Loop Header: Depth=1
	s_waitcnt lgkmcnt(0)
	v_cmp_gt_f64_e32 vcc, 0, v[100:101]
	v_cmp_gt_f64_e64 s[0:1], 0, v[98:99]
	ds_read2_b64 v[112:115], v107 offset1:1
	v_xor_b32_e32 v117, 0x80000000, v99
	v_xor_b32_e32 v119, 0x80000000, v101
	v_mov_b32_e32 v116, v98
	v_mov_b32_e32 v118, v100
	s_waitcnt lgkmcnt(0)
	v_xor_b32_e32 v121, 0x80000000, v115
	v_cndmask_b32_e32 v119, v101, v119, vcc
	v_cndmask_b32_e64 v117, v99, v117, s[0:1]
	v_cmp_gt_f64_e32 vcc, 0, v[114:115]
	v_cmp_gt_f64_e64 s[0:1], 0, v[112:113]
	v_add_f64 v[116:117], v[116:117], v[118:119]
	v_xor_b32_e32 v119, 0x80000000, v113
	v_mov_b32_e32 v118, v112
	v_mov_b32_e32 v120, v114
	v_add_u32_e32 v107, 16, v107
	v_cndmask_b32_e32 v121, v115, v121, vcc
	v_cndmask_b32_e64 v119, v113, v119, s[0:1]
	v_add_f64 v[118:119], v[118:119], v[120:121]
	v_mov_b32_e32 v120, s7
	s_add_i32 s7, s7, 1
	s_cmp_lg_u32 s22, s7
	v_cmp_lt_f64_e32 vcc, v[116:117], v[118:119]
	v_cndmask_b32_e32 v99, v99, v113, vcc
	v_cndmask_b32_e32 v98, v98, v112, vcc
	;; [unrolled: 1-line block ×5, first 2 shown]
	s_cbranch_scc1 .LBB46_169
.LBB46_170:
	s_waitcnt lgkmcnt(0)
	v_cmp_eq_f64_e32 vcc, 0, v[98:99]
	v_cmp_eq_f64_e64 s[0:1], 0, v[100:101]
	s_and_b64 s[0:1], vcc, s[0:1]
	s_and_saveexec_b64 s[8:9], s[0:1]
	s_xor_b64 s[0:1], exec, s[8:9]
; %bb.171:
	v_cmp_ne_u32_e32 vcc, 0, v111
	v_cndmask_b32_e32 v111, 9, v111, vcc
; %bb.172:
	s_andn2_saveexec_b64 s[0:1], s[0:1]
	s_cbranch_execz .LBB46_178
; %bb.173:
	v_cmp_ngt_f64_e64 s[8:9], |v[98:99]|, |v[100:101]|
	s_and_saveexec_b64 s[20:21], s[8:9]
	s_xor_b64 s[8:9], exec, s[20:21]
	s_cbranch_execz .LBB46_175
; %bb.174:
	v_div_scale_f64 v[112:113], s[20:21], v[100:101], v[100:101], v[98:99]
	v_rcp_f64_e32 v[114:115], v[112:113]
	v_fma_f64 v[116:117], -v[112:113], v[114:115], 1.0
	v_fma_f64 v[114:115], v[114:115], v[116:117], v[114:115]
	v_div_scale_f64 v[116:117], vcc, v[98:99], v[100:101], v[98:99]
	v_fma_f64 v[118:119], -v[112:113], v[114:115], 1.0
	v_fma_f64 v[114:115], v[114:115], v[118:119], v[114:115]
	v_mul_f64 v[118:119], v[116:117], v[114:115]
	v_fma_f64 v[112:113], -v[112:113], v[118:119], v[116:117]
	v_div_fmas_f64 v[112:113], v[112:113], v[114:115], v[118:119]
	v_div_fixup_f64 v[112:113], v[112:113], v[100:101], v[98:99]
	v_fma_f64 v[98:99], v[98:99], v[112:113], v[100:101]
	v_div_scale_f64 v[100:101], s[20:21], v[98:99], v[98:99], 1.0
	v_div_scale_f64 v[118:119], vcc, 1.0, v[98:99], 1.0
	v_rcp_f64_e32 v[114:115], v[100:101]
	v_fma_f64 v[116:117], -v[100:101], v[114:115], 1.0
	v_fma_f64 v[114:115], v[114:115], v[116:117], v[114:115]
	v_fma_f64 v[116:117], -v[100:101], v[114:115], 1.0
	v_fma_f64 v[114:115], v[114:115], v[116:117], v[114:115]
	v_mul_f64 v[116:117], v[118:119], v[114:115]
	v_fma_f64 v[100:101], -v[100:101], v[116:117], v[118:119]
	v_div_fmas_f64 v[100:101], v[100:101], v[114:115], v[116:117]
	v_div_fixup_f64 v[100:101], v[100:101], v[98:99], 1.0
	v_mul_f64 v[98:99], v[112:113], v[100:101]
	v_xor_b32_e32 v101, 0x80000000, v101
.LBB46_175:
	s_andn2_saveexec_b64 s[8:9], s[8:9]
	s_cbranch_execz .LBB46_177
; %bb.176:
	v_div_scale_f64 v[112:113], s[20:21], v[98:99], v[98:99], v[100:101]
	v_rcp_f64_e32 v[114:115], v[112:113]
	v_fma_f64 v[116:117], -v[112:113], v[114:115], 1.0
	v_fma_f64 v[114:115], v[114:115], v[116:117], v[114:115]
	v_div_scale_f64 v[116:117], vcc, v[100:101], v[98:99], v[100:101]
	v_fma_f64 v[118:119], -v[112:113], v[114:115], 1.0
	v_fma_f64 v[114:115], v[114:115], v[118:119], v[114:115]
	v_mul_f64 v[118:119], v[116:117], v[114:115]
	v_fma_f64 v[112:113], -v[112:113], v[118:119], v[116:117]
	v_div_fmas_f64 v[112:113], v[112:113], v[114:115], v[118:119]
	v_div_fixup_f64 v[112:113], v[112:113], v[98:99], v[100:101]
	v_fma_f64 v[98:99], v[100:101], v[112:113], v[98:99]
	v_div_scale_f64 v[100:101], s[20:21], v[98:99], v[98:99], 1.0
	v_div_scale_f64 v[118:119], vcc, 1.0, v[98:99], 1.0
	v_rcp_f64_e32 v[114:115], v[100:101]
	v_fma_f64 v[116:117], -v[100:101], v[114:115], 1.0
	v_fma_f64 v[114:115], v[114:115], v[116:117], v[114:115]
	v_fma_f64 v[116:117], -v[100:101], v[114:115], 1.0
	v_fma_f64 v[114:115], v[114:115], v[116:117], v[114:115]
	v_mul_f64 v[116:117], v[118:119], v[114:115]
	v_fma_f64 v[100:101], -v[100:101], v[116:117], v[118:119]
	v_div_fmas_f64 v[100:101], v[100:101], v[114:115], v[116:117]
	v_div_fixup_f64 v[98:99], v[100:101], v[98:99], 1.0
	v_mul_f64 v[100:101], v[112:113], -v[98:99]
.LBB46_177:
	s_or_b64 exec, exec, s[8:9]
.LBB46_178:
	s_or_b64 exec, exec, s[0:1]
	v_cmp_ne_u32_e32 vcc, v108, v106
	s_and_saveexec_b64 s[0:1], vcc
	s_xor_b64 s[0:1], exec, s[0:1]
	s_cbranch_execz .LBB46_184
; %bb.179:
	v_cmp_eq_u32_e32 vcc, 8, v108
	s_and_saveexec_b64 s[8:9], vcc
	s_cbranch_execz .LBB46_183
; %bb.180:
	v_cmp_ne_u32_e32 vcc, 8, v106
	s_xor_b64 s[20:21], s[18:19], -1
	s_and_b64 s[24:25], s[20:21], vcc
	s_and_saveexec_b64 s[20:21], s[24:25]
	s_cbranch_execz .LBB46_182
; %bb.181:
	v_ashrrev_i32_e32 v107, 31, v106
	v_lshlrev_b64 v[107:108], 2, v[106:107]
	v_add_co_u32_e32 v107, vcc, v104, v107
	v_addc_co_u32_e32 v108, vcc, v105, v108, vcc
	global_load_dword v0, v[107:108], off
	global_load_dword v112, v[104:105], off offset:32
	s_waitcnt vmcnt(1)
	global_store_dword v[104:105], v0, off offset:32
	s_waitcnt vmcnt(1)
	global_store_dword v[107:108], v112, off
.LBB46_182:
	s_or_b64 exec, exec, s[20:21]
	v_mov_b32_e32 v108, v106
	v_mov_b32_e32 v0, v106
.LBB46_183:
	s_or_b64 exec, exec, s[8:9]
.LBB46_184:
	s_andn2_saveexec_b64 s[0:1], s[0:1]
	s_cbranch_execz .LBB46_186
; %bb.185:
	v_mov_b32_e32 v108, 8
	ds_write2_b64 v1, v[54:55], v[56:57] offset0:18 offset1:19
	ds_write2_b64 v1, v[50:51], v[52:53] offset0:20 offset1:21
	;; [unrolled: 1-line block ×15, first 2 shown]
.LBB46_186:
	s_or_b64 exec, exec, s[0:1]
	v_cmp_lt_i32_e32 vcc, 8, v108
	s_waitcnt vmcnt(0) lgkmcnt(0)
	s_barrier
	s_and_saveexec_b64 s[0:1], vcc
	s_cbranch_execz .LBB46_188
; %bb.187:
	v_mul_f64 v[106:107], v[98:99], v[60:61]
	v_mul_f64 v[60:61], v[100:101], v[60:61]
	v_fma_f64 v[106:107], v[100:101], v[58:59], v[106:107]
	v_fma_f64 v[58:59], v[98:99], v[58:59], -v[60:61]
	ds_read2_b64 v[98:101], v1 offset0:18 offset1:19
	s_waitcnt lgkmcnt(0)
	v_mul_f64 v[60:61], v[100:101], v[106:107]
	v_fma_f64 v[60:61], v[98:99], v[58:59], -v[60:61]
	v_mul_f64 v[98:99], v[98:99], v[106:107]
	v_add_f64 v[54:55], v[54:55], -v[60:61]
	v_fma_f64 v[98:99], v[100:101], v[58:59], v[98:99]
	v_add_f64 v[56:57], v[56:57], -v[98:99]
	ds_read2_b64 v[98:101], v1 offset0:20 offset1:21
	s_waitcnt lgkmcnt(0)
	v_mul_f64 v[60:61], v[100:101], v[106:107]
	v_fma_f64 v[60:61], v[98:99], v[58:59], -v[60:61]
	v_mul_f64 v[98:99], v[98:99], v[106:107]
	v_add_f64 v[50:51], v[50:51], -v[60:61]
	v_fma_f64 v[98:99], v[100:101], v[58:59], v[98:99]
	v_add_f64 v[52:53], v[52:53], -v[98:99]
	;; [unrolled: 8-line block ×14, first 2 shown]
	ds_read2_b64 v[98:101], v1 offset0:46 offset1:47
	s_waitcnt lgkmcnt(0)
	v_mul_f64 v[60:61], v[100:101], v[106:107]
	v_fma_f64 v[60:61], v[98:99], v[58:59], -v[60:61]
	v_mul_f64 v[98:99], v[98:99], v[106:107]
	v_add_f64 v[94:95], v[94:95], -v[60:61]
	v_fma_f64 v[98:99], v[100:101], v[58:59], v[98:99]
	v_mov_b32_e32 v60, v106
	v_mov_b32_e32 v61, v107
	v_add_f64 v[96:97], v[96:97], -v[98:99]
.LBB46_188:
	s_or_b64 exec, exec, s[0:1]
	v_lshl_add_u32 v98, v108, 4, v1
	s_barrier
	ds_write2_b64 v98, v[54:55], v[56:57] offset1:1
	s_waitcnt lgkmcnt(0)
	s_barrier
	ds_read2_b64 v[98:101], v1 offset0:18 offset1:19
	s_cmp_lt_i32 s22, 11
	v_mov_b32_e32 v106, 9
	s_cbranch_scc1 .LBB46_191
; %bb.189:
	v_add_u32_e32 v107, 0xa0, v1
	s_mov_b32 s7, 10
	v_mov_b32_e32 v106, 9
.LBB46_190:                             ; =>This Inner Loop Header: Depth=1
	s_waitcnt lgkmcnt(0)
	v_cmp_gt_f64_e32 vcc, 0, v[100:101]
	v_cmp_gt_f64_e64 s[0:1], 0, v[98:99]
	ds_read2_b64 v[112:115], v107 offset1:1
	v_xor_b32_e32 v117, 0x80000000, v99
	v_xor_b32_e32 v119, 0x80000000, v101
	v_mov_b32_e32 v116, v98
	v_mov_b32_e32 v118, v100
	s_waitcnt lgkmcnt(0)
	v_xor_b32_e32 v121, 0x80000000, v115
	v_cndmask_b32_e32 v119, v101, v119, vcc
	v_cndmask_b32_e64 v117, v99, v117, s[0:1]
	v_cmp_gt_f64_e32 vcc, 0, v[114:115]
	v_cmp_gt_f64_e64 s[0:1], 0, v[112:113]
	v_add_f64 v[116:117], v[116:117], v[118:119]
	v_xor_b32_e32 v119, 0x80000000, v113
	v_mov_b32_e32 v118, v112
	v_mov_b32_e32 v120, v114
	v_add_u32_e32 v107, 16, v107
	v_cndmask_b32_e32 v121, v115, v121, vcc
	v_cndmask_b32_e64 v119, v113, v119, s[0:1]
	v_add_f64 v[118:119], v[118:119], v[120:121]
	v_mov_b32_e32 v120, s7
	s_add_i32 s7, s7, 1
	s_cmp_lg_u32 s22, s7
	v_cmp_lt_f64_e32 vcc, v[116:117], v[118:119]
	v_cndmask_b32_e32 v99, v99, v113, vcc
	v_cndmask_b32_e32 v98, v98, v112, vcc
	;; [unrolled: 1-line block ×5, first 2 shown]
	s_cbranch_scc1 .LBB46_190
.LBB46_191:
	s_waitcnt lgkmcnt(0)
	v_cmp_eq_f64_e32 vcc, 0, v[98:99]
	v_cmp_eq_f64_e64 s[0:1], 0, v[100:101]
	s_and_b64 s[0:1], vcc, s[0:1]
	s_and_saveexec_b64 s[8:9], s[0:1]
	s_xor_b64 s[0:1], exec, s[8:9]
; %bb.192:
	v_cmp_ne_u32_e32 vcc, 0, v111
	v_cndmask_b32_e32 v111, 10, v111, vcc
; %bb.193:
	s_andn2_saveexec_b64 s[0:1], s[0:1]
	s_cbranch_execz .LBB46_199
; %bb.194:
	v_cmp_ngt_f64_e64 s[8:9], |v[98:99]|, |v[100:101]|
	s_and_saveexec_b64 s[20:21], s[8:9]
	s_xor_b64 s[8:9], exec, s[20:21]
	s_cbranch_execz .LBB46_196
; %bb.195:
	v_div_scale_f64 v[112:113], s[20:21], v[100:101], v[100:101], v[98:99]
	v_rcp_f64_e32 v[114:115], v[112:113]
	v_fma_f64 v[116:117], -v[112:113], v[114:115], 1.0
	v_fma_f64 v[114:115], v[114:115], v[116:117], v[114:115]
	v_div_scale_f64 v[116:117], vcc, v[98:99], v[100:101], v[98:99]
	v_fma_f64 v[118:119], -v[112:113], v[114:115], 1.0
	v_fma_f64 v[114:115], v[114:115], v[118:119], v[114:115]
	v_mul_f64 v[118:119], v[116:117], v[114:115]
	v_fma_f64 v[112:113], -v[112:113], v[118:119], v[116:117]
	v_div_fmas_f64 v[112:113], v[112:113], v[114:115], v[118:119]
	v_div_fixup_f64 v[112:113], v[112:113], v[100:101], v[98:99]
	v_fma_f64 v[98:99], v[98:99], v[112:113], v[100:101]
	v_div_scale_f64 v[100:101], s[20:21], v[98:99], v[98:99], 1.0
	v_div_scale_f64 v[118:119], vcc, 1.0, v[98:99], 1.0
	v_rcp_f64_e32 v[114:115], v[100:101]
	v_fma_f64 v[116:117], -v[100:101], v[114:115], 1.0
	v_fma_f64 v[114:115], v[114:115], v[116:117], v[114:115]
	v_fma_f64 v[116:117], -v[100:101], v[114:115], 1.0
	v_fma_f64 v[114:115], v[114:115], v[116:117], v[114:115]
	v_mul_f64 v[116:117], v[118:119], v[114:115]
	v_fma_f64 v[100:101], -v[100:101], v[116:117], v[118:119]
	v_div_fmas_f64 v[100:101], v[100:101], v[114:115], v[116:117]
	v_div_fixup_f64 v[100:101], v[100:101], v[98:99], 1.0
	v_mul_f64 v[98:99], v[112:113], v[100:101]
	v_xor_b32_e32 v101, 0x80000000, v101
.LBB46_196:
	s_andn2_saveexec_b64 s[8:9], s[8:9]
	s_cbranch_execz .LBB46_198
; %bb.197:
	v_div_scale_f64 v[112:113], s[20:21], v[98:99], v[98:99], v[100:101]
	v_rcp_f64_e32 v[114:115], v[112:113]
	v_fma_f64 v[116:117], -v[112:113], v[114:115], 1.0
	v_fma_f64 v[114:115], v[114:115], v[116:117], v[114:115]
	v_div_scale_f64 v[116:117], vcc, v[100:101], v[98:99], v[100:101]
	v_fma_f64 v[118:119], -v[112:113], v[114:115], 1.0
	v_fma_f64 v[114:115], v[114:115], v[118:119], v[114:115]
	v_mul_f64 v[118:119], v[116:117], v[114:115]
	v_fma_f64 v[112:113], -v[112:113], v[118:119], v[116:117]
	v_div_fmas_f64 v[112:113], v[112:113], v[114:115], v[118:119]
	v_div_fixup_f64 v[112:113], v[112:113], v[98:99], v[100:101]
	v_fma_f64 v[98:99], v[100:101], v[112:113], v[98:99]
	v_div_scale_f64 v[100:101], s[20:21], v[98:99], v[98:99], 1.0
	v_div_scale_f64 v[118:119], vcc, 1.0, v[98:99], 1.0
	v_rcp_f64_e32 v[114:115], v[100:101]
	v_fma_f64 v[116:117], -v[100:101], v[114:115], 1.0
	v_fma_f64 v[114:115], v[114:115], v[116:117], v[114:115]
	v_fma_f64 v[116:117], -v[100:101], v[114:115], 1.0
	v_fma_f64 v[114:115], v[114:115], v[116:117], v[114:115]
	v_mul_f64 v[116:117], v[118:119], v[114:115]
	v_fma_f64 v[100:101], -v[100:101], v[116:117], v[118:119]
	v_div_fmas_f64 v[100:101], v[100:101], v[114:115], v[116:117]
	v_div_fixup_f64 v[98:99], v[100:101], v[98:99], 1.0
	v_mul_f64 v[100:101], v[112:113], -v[98:99]
.LBB46_198:
	s_or_b64 exec, exec, s[8:9]
.LBB46_199:
	s_or_b64 exec, exec, s[0:1]
	v_cmp_ne_u32_e32 vcc, v108, v106
	s_and_saveexec_b64 s[0:1], vcc
	s_xor_b64 s[0:1], exec, s[0:1]
	s_cbranch_execz .LBB46_205
; %bb.200:
	v_cmp_eq_u32_e32 vcc, 9, v108
	s_and_saveexec_b64 s[8:9], vcc
	s_cbranch_execz .LBB46_204
; %bb.201:
	v_cmp_ne_u32_e32 vcc, 9, v106
	s_xor_b64 s[20:21], s[18:19], -1
	s_and_b64 s[24:25], s[20:21], vcc
	s_and_saveexec_b64 s[20:21], s[24:25]
	s_cbranch_execz .LBB46_203
; %bb.202:
	v_ashrrev_i32_e32 v107, 31, v106
	v_lshlrev_b64 v[107:108], 2, v[106:107]
	v_add_co_u32_e32 v107, vcc, v104, v107
	v_addc_co_u32_e32 v108, vcc, v105, v108, vcc
	global_load_dword v0, v[107:108], off
	global_load_dword v112, v[104:105], off offset:36
	s_waitcnt vmcnt(1)
	global_store_dword v[104:105], v0, off offset:36
	s_waitcnt vmcnt(1)
	global_store_dword v[107:108], v112, off
.LBB46_203:
	s_or_b64 exec, exec, s[20:21]
	v_mov_b32_e32 v108, v106
	v_mov_b32_e32 v0, v106
.LBB46_204:
	s_or_b64 exec, exec, s[8:9]
.LBB46_205:
	s_andn2_saveexec_b64 s[0:1], s[0:1]
	s_cbranch_execz .LBB46_207
; %bb.206:
	v_mov_b32_e32 v108, 9
	ds_write2_b64 v1, v[50:51], v[52:53] offset0:20 offset1:21
	ds_write2_b64 v1, v[46:47], v[48:49] offset0:22 offset1:23
	ds_write2_b64 v1, v[42:43], v[44:45] offset0:24 offset1:25
	ds_write2_b64 v1, v[38:39], v[40:41] offset0:26 offset1:27
	ds_write2_b64 v1, v[34:35], v[36:37] offset0:28 offset1:29
	ds_write2_b64 v1, v[30:31], v[32:33] offset0:30 offset1:31
	ds_write2_b64 v1, v[26:27], v[28:29] offset0:32 offset1:33
	ds_write2_b64 v1, v[22:23], v[24:25] offset0:34 offset1:35
	ds_write2_b64 v1, v[18:19], v[20:21] offset0:36 offset1:37
	ds_write2_b64 v1, v[14:15], v[16:17] offset0:38 offset1:39
	ds_write2_b64 v1, v[10:11], v[12:13] offset0:40 offset1:41
	ds_write2_b64 v1, v[6:7], v[8:9] offset0:42 offset1:43
	ds_write2_b64 v1, v[2:3], v[4:5] offset0:44 offset1:45
	ds_write2_b64 v1, v[94:95], v[96:97] offset0:46 offset1:47
.LBB46_207:
	s_or_b64 exec, exec, s[0:1]
	v_cmp_lt_i32_e32 vcc, 9, v108
	s_waitcnt vmcnt(0) lgkmcnt(0)
	s_barrier
	s_and_saveexec_b64 s[0:1], vcc
	s_cbranch_execz .LBB46_209
; %bb.208:
	v_mul_f64 v[106:107], v[98:99], v[56:57]
	v_mul_f64 v[56:57], v[100:101], v[56:57]
	v_fma_f64 v[106:107], v[100:101], v[54:55], v[106:107]
	v_fma_f64 v[54:55], v[98:99], v[54:55], -v[56:57]
	ds_read2_b64 v[98:101], v1 offset0:20 offset1:21
	s_waitcnt lgkmcnt(0)
	v_mul_f64 v[56:57], v[100:101], v[106:107]
	v_fma_f64 v[56:57], v[98:99], v[54:55], -v[56:57]
	v_mul_f64 v[98:99], v[98:99], v[106:107]
	v_add_f64 v[50:51], v[50:51], -v[56:57]
	v_fma_f64 v[98:99], v[100:101], v[54:55], v[98:99]
	v_add_f64 v[52:53], v[52:53], -v[98:99]
	ds_read2_b64 v[98:101], v1 offset0:22 offset1:23
	s_waitcnt lgkmcnt(0)
	v_mul_f64 v[56:57], v[100:101], v[106:107]
	v_fma_f64 v[56:57], v[98:99], v[54:55], -v[56:57]
	v_mul_f64 v[98:99], v[98:99], v[106:107]
	v_add_f64 v[46:47], v[46:47], -v[56:57]
	v_fma_f64 v[98:99], v[100:101], v[54:55], v[98:99]
	v_add_f64 v[48:49], v[48:49], -v[98:99]
	;; [unrolled: 8-line block ×13, first 2 shown]
	ds_read2_b64 v[98:101], v1 offset0:46 offset1:47
	s_waitcnt lgkmcnt(0)
	v_mul_f64 v[56:57], v[100:101], v[106:107]
	v_fma_f64 v[56:57], v[98:99], v[54:55], -v[56:57]
	v_mul_f64 v[98:99], v[98:99], v[106:107]
	v_add_f64 v[94:95], v[94:95], -v[56:57]
	v_fma_f64 v[98:99], v[100:101], v[54:55], v[98:99]
	v_mov_b32_e32 v56, v106
	v_mov_b32_e32 v57, v107
	v_add_f64 v[96:97], v[96:97], -v[98:99]
.LBB46_209:
	s_or_b64 exec, exec, s[0:1]
	v_lshl_add_u32 v98, v108, 4, v1
	s_barrier
	ds_write2_b64 v98, v[50:51], v[52:53] offset1:1
	s_waitcnt lgkmcnt(0)
	s_barrier
	ds_read2_b64 v[98:101], v1 offset0:20 offset1:21
	s_cmp_lt_i32 s22, 12
	v_mov_b32_e32 v106, 10
	s_cbranch_scc1 .LBB46_212
; %bb.210:
	v_add_u32_e32 v107, 0xb0, v1
	s_mov_b32 s7, 11
	v_mov_b32_e32 v106, 10
.LBB46_211:                             ; =>This Inner Loop Header: Depth=1
	s_waitcnt lgkmcnt(0)
	v_cmp_gt_f64_e32 vcc, 0, v[100:101]
	v_cmp_gt_f64_e64 s[0:1], 0, v[98:99]
	ds_read2_b64 v[112:115], v107 offset1:1
	v_xor_b32_e32 v117, 0x80000000, v99
	v_xor_b32_e32 v119, 0x80000000, v101
	v_mov_b32_e32 v116, v98
	v_mov_b32_e32 v118, v100
	s_waitcnt lgkmcnt(0)
	v_xor_b32_e32 v121, 0x80000000, v115
	v_cndmask_b32_e32 v119, v101, v119, vcc
	v_cndmask_b32_e64 v117, v99, v117, s[0:1]
	v_cmp_gt_f64_e32 vcc, 0, v[114:115]
	v_cmp_gt_f64_e64 s[0:1], 0, v[112:113]
	v_add_f64 v[116:117], v[116:117], v[118:119]
	v_xor_b32_e32 v119, 0x80000000, v113
	v_mov_b32_e32 v118, v112
	v_mov_b32_e32 v120, v114
	v_add_u32_e32 v107, 16, v107
	v_cndmask_b32_e32 v121, v115, v121, vcc
	v_cndmask_b32_e64 v119, v113, v119, s[0:1]
	v_add_f64 v[118:119], v[118:119], v[120:121]
	v_mov_b32_e32 v120, s7
	s_add_i32 s7, s7, 1
	s_cmp_lg_u32 s22, s7
	v_cmp_lt_f64_e32 vcc, v[116:117], v[118:119]
	v_cndmask_b32_e32 v99, v99, v113, vcc
	v_cndmask_b32_e32 v98, v98, v112, vcc
	;; [unrolled: 1-line block ×5, first 2 shown]
	s_cbranch_scc1 .LBB46_211
.LBB46_212:
	s_waitcnt lgkmcnt(0)
	v_cmp_eq_f64_e32 vcc, 0, v[98:99]
	v_cmp_eq_f64_e64 s[0:1], 0, v[100:101]
	s_and_b64 s[0:1], vcc, s[0:1]
	s_and_saveexec_b64 s[8:9], s[0:1]
	s_xor_b64 s[0:1], exec, s[8:9]
; %bb.213:
	v_cmp_ne_u32_e32 vcc, 0, v111
	v_cndmask_b32_e32 v111, 11, v111, vcc
; %bb.214:
	s_andn2_saveexec_b64 s[0:1], s[0:1]
	s_cbranch_execz .LBB46_220
; %bb.215:
	v_cmp_ngt_f64_e64 s[8:9], |v[98:99]|, |v[100:101]|
	s_and_saveexec_b64 s[20:21], s[8:9]
	s_xor_b64 s[8:9], exec, s[20:21]
	s_cbranch_execz .LBB46_217
; %bb.216:
	v_div_scale_f64 v[112:113], s[20:21], v[100:101], v[100:101], v[98:99]
	v_rcp_f64_e32 v[114:115], v[112:113]
	v_fma_f64 v[116:117], -v[112:113], v[114:115], 1.0
	v_fma_f64 v[114:115], v[114:115], v[116:117], v[114:115]
	v_div_scale_f64 v[116:117], vcc, v[98:99], v[100:101], v[98:99]
	v_fma_f64 v[118:119], -v[112:113], v[114:115], 1.0
	v_fma_f64 v[114:115], v[114:115], v[118:119], v[114:115]
	v_mul_f64 v[118:119], v[116:117], v[114:115]
	v_fma_f64 v[112:113], -v[112:113], v[118:119], v[116:117]
	v_div_fmas_f64 v[112:113], v[112:113], v[114:115], v[118:119]
	v_div_fixup_f64 v[112:113], v[112:113], v[100:101], v[98:99]
	v_fma_f64 v[98:99], v[98:99], v[112:113], v[100:101]
	v_div_scale_f64 v[100:101], s[20:21], v[98:99], v[98:99], 1.0
	v_div_scale_f64 v[118:119], vcc, 1.0, v[98:99], 1.0
	v_rcp_f64_e32 v[114:115], v[100:101]
	v_fma_f64 v[116:117], -v[100:101], v[114:115], 1.0
	v_fma_f64 v[114:115], v[114:115], v[116:117], v[114:115]
	v_fma_f64 v[116:117], -v[100:101], v[114:115], 1.0
	v_fma_f64 v[114:115], v[114:115], v[116:117], v[114:115]
	v_mul_f64 v[116:117], v[118:119], v[114:115]
	v_fma_f64 v[100:101], -v[100:101], v[116:117], v[118:119]
	v_div_fmas_f64 v[100:101], v[100:101], v[114:115], v[116:117]
	v_div_fixup_f64 v[100:101], v[100:101], v[98:99], 1.0
	v_mul_f64 v[98:99], v[112:113], v[100:101]
	v_xor_b32_e32 v101, 0x80000000, v101
.LBB46_217:
	s_andn2_saveexec_b64 s[8:9], s[8:9]
	s_cbranch_execz .LBB46_219
; %bb.218:
	v_div_scale_f64 v[112:113], s[20:21], v[98:99], v[98:99], v[100:101]
	v_rcp_f64_e32 v[114:115], v[112:113]
	v_fma_f64 v[116:117], -v[112:113], v[114:115], 1.0
	v_fma_f64 v[114:115], v[114:115], v[116:117], v[114:115]
	v_div_scale_f64 v[116:117], vcc, v[100:101], v[98:99], v[100:101]
	v_fma_f64 v[118:119], -v[112:113], v[114:115], 1.0
	v_fma_f64 v[114:115], v[114:115], v[118:119], v[114:115]
	v_mul_f64 v[118:119], v[116:117], v[114:115]
	v_fma_f64 v[112:113], -v[112:113], v[118:119], v[116:117]
	v_div_fmas_f64 v[112:113], v[112:113], v[114:115], v[118:119]
	v_div_fixup_f64 v[112:113], v[112:113], v[98:99], v[100:101]
	v_fma_f64 v[98:99], v[100:101], v[112:113], v[98:99]
	v_div_scale_f64 v[100:101], s[20:21], v[98:99], v[98:99], 1.0
	v_div_scale_f64 v[118:119], vcc, 1.0, v[98:99], 1.0
	v_rcp_f64_e32 v[114:115], v[100:101]
	v_fma_f64 v[116:117], -v[100:101], v[114:115], 1.0
	v_fma_f64 v[114:115], v[114:115], v[116:117], v[114:115]
	v_fma_f64 v[116:117], -v[100:101], v[114:115], 1.0
	v_fma_f64 v[114:115], v[114:115], v[116:117], v[114:115]
	v_mul_f64 v[116:117], v[118:119], v[114:115]
	v_fma_f64 v[100:101], -v[100:101], v[116:117], v[118:119]
	v_div_fmas_f64 v[100:101], v[100:101], v[114:115], v[116:117]
	v_div_fixup_f64 v[98:99], v[100:101], v[98:99], 1.0
	v_mul_f64 v[100:101], v[112:113], -v[98:99]
.LBB46_219:
	s_or_b64 exec, exec, s[8:9]
.LBB46_220:
	s_or_b64 exec, exec, s[0:1]
	v_cmp_ne_u32_e32 vcc, v108, v106
	s_and_saveexec_b64 s[0:1], vcc
	s_xor_b64 s[0:1], exec, s[0:1]
	s_cbranch_execz .LBB46_226
; %bb.221:
	v_cmp_eq_u32_e32 vcc, 10, v108
	s_and_saveexec_b64 s[8:9], vcc
	s_cbranch_execz .LBB46_225
; %bb.222:
	v_cmp_ne_u32_e32 vcc, 10, v106
	s_xor_b64 s[20:21], s[18:19], -1
	s_and_b64 s[24:25], s[20:21], vcc
	s_and_saveexec_b64 s[20:21], s[24:25]
	s_cbranch_execz .LBB46_224
; %bb.223:
	v_ashrrev_i32_e32 v107, 31, v106
	v_lshlrev_b64 v[107:108], 2, v[106:107]
	v_add_co_u32_e32 v107, vcc, v104, v107
	v_addc_co_u32_e32 v108, vcc, v105, v108, vcc
	global_load_dword v0, v[107:108], off
	global_load_dword v112, v[104:105], off offset:40
	s_waitcnt vmcnt(1)
	global_store_dword v[104:105], v0, off offset:40
	s_waitcnt vmcnt(1)
	global_store_dword v[107:108], v112, off
.LBB46_224:
	s_or_b64 exec, exec, s[20:21]
	v_mov_b32_e32 v108, v106
	v_mov_b32_e32 v0, v106
.LBB46_225:
	s_or_b64 exec, exec, s[8:9]
.LBB46_226:
	s_andn2_saveexec_b64 s[0:1], s[0:1]
	s_cbranch_execz .LBB46_228
; %bb.227:
	v_mov_b32_e32 v108, 10
	ds_write2_b64 v1, v[46:47], v[48:49] offset0:22 offset1:23
	ds_write2_b64 v1, v[42:43], v[44:45] offset0:24 offset1:25
	;; [unrolled: 1-line block ×13, first 2 shown]
.LBB46_228:
	s_or_b64 exec, exec, s[0:1]
	v_cmp_lt_i32_e32 vcc, 10, v108
	s_waitcnt vmcnt(0) lgkmcnt(0)
	s_barrier
	s_and_saveexec_b64 s[0:1], vcc
	s_cbranch_execz .LBB46_230
; %bb.229:
	v_mul_f64 v[106:107], v[98:99], v[52:53]
	v_mul_f64 v[52:53], v[100:101], v[52:53]
	v_fma_f64 v[106:107], v[100:101], v[50:51], v[106:107]
	v_fma_f64 v[50:51], v[98:99], v[50:51], -v[52:53]
	ds_read2_b64 v[98:101], v1 offset0:22 offset1:23
	s_waitcnt lgkmcnt(0)
	v_mul_f64 v[52:53], v[100:101], v[106:107]
	v_fma_f64 v[52:53], v[98:99], v[50:51], -v[52:53]
	v_mul_f64 v[98:99], v[98:99], v[106:107]
	v_add_f64 v[46:47], v[46:47], -v[52:53]
	v_fma_f64 v[98:99], v[100:101], v[50:51], v[98:99]
	v_add_f64 v[48:49], v[48:49], -v[98:99]
	ds_read2_b64 v[98:101], v1 offset0:24 offset1:25
	s_waitcnt lgkmcnt(0)
	v_mul_f64 v[52:53], v[100:101], v[106:107]
	v_fma_f64 v[52:53], v[98:99], v[50:51], -v[52:53]
	v_mul_f64 v[98:99], v[98:99], v[106:107]
	v_add_f64 v[42:43], v[42:43], -v[52:53]
	v_fma_f64 v[98:99], v[100:101], v[50:51], v[98:99]
	v_add_f64 v[44:45], v[44:45], -v[98:99]
	;; [unrolled: 8-line block ×12, first 2 shown]
	ds_read2_b64 v[98:101], v1 offset0:46 offset1:47
	s_waitcnt lgkmcnt(0)
	v_mul_f64 v[52:53], v[100:101], v[106:107]
	v_fma_f64 v[52:53], v[98:99], v[50:51], -v[52:53]
	v_mul_f64 v[98:99], v[98:99], v[106:107]
	v_add_f64 v[94:95], v[94:95], -v[52:53]
	v_fma_f64 v[98:99], v[100:101], v[50:51], v[98:99]
	v_mov_b32_e32 v52, v106
	v_mov_b32_e32 v53, v107
	v_add_f64 v[96:97], v[96:97], -v[98:99]
.LBB46_230:
	s_or_b64 exec, exec, s[0:1]
	v_lshl_add_u32 v98, v108, 4, v1
	s_barrier
	ds_write2_b64 v98, v[46:47], v[48:49] offset1:1
	s_waitcnt lgkmcnt(0)
	s_barrier
	ds_read2_b64 v[98:101], v1 offset0:22 offset1:23
	s_cmp_lt_i32 s22, 13
	v_mov_b32_e32 v106, 11
	s_cbranch_scc1 .LBB46_233
; %bb.231:
	v_add_u32_e32 v107, 0xc0, v1
	s_mov_b32 s7, 12
	v_mov_b32_e32 v106, 11
.LBB46_232:                             ; =>This Inner Loop Header: Depth=1
	s_waitcnt lgkmcnt(0)
	v_cmp_gt_f64_e32 vcc, 0, v[100:101]
	v_cmp_gt_f64_e64 s[0:1], 0, v[98:99]
	ds_read2_b64 v[112:115], v107 offset1:1
	v_xor_b32_e32 v117, 0x80000000, v99
	v_xor_b32_e32 v119, 0x80000000, v101
	v_mov_b32_e32 v116, v98
	v_mov_b32_e32 v118, v100
	s_waitcnt lgkmcnt(0)
	v_xor_b32_e32 v121, 0x80000000, v115
	v_cndmask_b32_e32 v119, v101, v119, vcc
	v_cndmask_b32_e64 v117, v99, v117, s[0:1]
	v_cmp_gt_f64_e32 vcc, 0, v[114:115]
	v_cmp_gt_f64_e64 s[0:1], 0, v[112:113]
	v_add_f64 v[116:117], v[116:117], v[118:119]
	v_xor_b32_e32 v119, 0x80000000, v113
	v_mov_b32_e32 v118, v112
	v_mov_b32_e32 v120, v114
	v_add_u32_e32 v107, 16, v107
	v_cndmask_b32_e32 v121, v115, v121, vcc
	v_cndmask_b32_e64 v119, v113, v119, s[0:1]
	v_add_f64 v[118:119], v[118:119], v[120:121]
	v_mov_b32_e32 v120, s7
	s_add_i32 s7, s7, 1
	s_cmp_lg_u32 s22, s7
	v_cmp_lt_f64_e32 vcc, v[116:117], v[118:119]
	v_cndmask_b32_e32 v99, v99, v113, vcc
	v_cndmask_b32_e32 v98, v98, v112, vcc
	v_cndmask_b32_e32 v101, v101, v115, vcc
	v_cndmask_b32_e32 v100, v100, v114, vcc
	v_cndmask_b32_e32 v106, v106, v120, vcc
	s_cbranch_scc1 .LBB46_232
.LBB46_233:
	s_waitcnt lgkmcnt(0)
	v_cmp_eq_f64_e32 vcc, 0, v[98:99]
	v_cmp_eq_f64_e64 s[0:1], 0, v[100:101]
	s_and_b64 s[0:1], vcc, s[0:1]
	s_and_saveexec_b64 s[8:9], s[0:1]
	s_xor_b64 s[0:1], exec, s[8:9]
; %bb.234:
	v_cmp_ne_u32_e32 vcc, 0, v111
	v_cndmask_b32_e32 v111, 12, v111, vcc
; %bb.235:
	s_andn2_saveexec_b64 s[0:1], s[0:1]
	s_cbranch_execz .LBB46_241
; %bb.236:
	v_cmp_ngt_f64_e64 s[8:9], |v[98:99]|, |v[100:101]|
	s_and_saveexec_b64 s[20:21], s[8:9]
	s_xor_b64 s[8:9], exec, s[20:21]
	s_cbranch_execz .LBB46_238
; %bb.237:
	v_div_scale_f64 v[112:113], s[20:21], v[100:101], v[100:101], v[98:99]
	v_rcp_f64_e32 v[114:115], v[112:113]
	v_fma_f64 v[116:117], -v[112:113], v[114:115], 1.0
	v_fma_f64 v[114:115], v[114:115], v[116:117], v[114:115]
	v_div_scale_f64 v[116:117], vcc, v[98:99], v[100:101], v[98:99]
	v_fma_f64 v[118:119], -v[112:113], v[114:115], 1.0
	v_fma_f64 v[114:115], v[114:115], v[118:119], v[114:115]
	v_mul_f64 v[118:119], v[116:117], v[114:115]
	v_fma_f64 v[112:113], -v[112:113], v[118:119], v[116:117]
	v_div_fmas_f64 v[112:113], v[112:113], v[114:115], v[118:119]
	v_div_fixup_f64 v[112:113], v[112:113], v[100:101], v[98:99]
	v_fma_f64 v[98:99], v[98:99], v[112:113], v[100:101]
	v_div_scale_f64 v[100:101], s[20:21], v[98:99], v[98:99], 1.0
	v_div_scale_f64 v[118:119], vcc, 1.0, v[98:99], 1.0
	v_rcp_f64_e32 v[114:115], v[100:101]
	v_fma_f64 v[116:117], -v[100:101], v[114:115], 1.0
	v_fma_f64 v[114:115], v[114:115], v[116:117], v[114:115]
	v_fma_f64 v[116:117], -v[100:101], v[114:115], 1.0
	v_fma_f64 v[114:115], v[114:115], v[116:117], v[114:115]
	v_mul_f64 v[116:117], v[118:119], v[114:115]
	v_fma_f64 v[100:101], -v[100:101], v[116:117], v[118:119]
	v_div_fmas_f64 v[100:101], v[100:101], v[114:115], v[116:117]
	v_div_fixup_f64 v[100:101], v[100:101], v[98:99], 1.0
	v_mul_f64 v[98:99], v[112:113], v[100:101]
	v_xor_b32_e32 v101, 0x80000000, v101
.LBB46_238:
	s_andn2_saveexec_b64 s[8:9], s[8:9]
	s_cbranch_execz .LBB46_240
; %bb.239:
	v_div_scale_f64 v[112:113], s[20:21], v[98:99], v[98:99], v[100:101]
	v_rcp_f64_e32 v[114:115], v[112:113]
	v_fma_f64 v[116:117], -v[112:113], v[114:115], 1.0
	v_fma_f64 v[114:115], v[114:115], v[116:117], v[114:115]
	v_div_scale_f64 v[116:117], vcc, v[100:101], v[98:99], v[100:101]
	v_fma_f64 v[118:119], -v[112:113], v[114:115], 1.0
	v_fma_f64 v[114:115], v[114:115], v[118:119], v[114:115]
	v_mul_f64 v[118:119], v[116:117], v[114:115]
	v_fma_f64 v[112:113], -v[112:113], v[118:119], v[116:117]
	v_div_fmas_f64 v[112:113], v[112:113], v[114:115], v[118:119]
	v_div_fixup_f64 v[112:113], v[112:113], v[98:99], v[100:101]
	v_fma_f64 v[98:99], v[100:101], v[112:113], v[98:99]
	v_div_scale_f64 v[100:101], s[20:21], v[98:99], v[98:99], 1.0
	v_div_scale_f64 v[118:119], vcc, 1.0, v[98:99], 1.0
	v_rcp_f64_e32 v[114:115], v[100:101]
	v_fma_f64 v[116:117], -v[100:101], v[114:115], 1.0
	v_fma_f64 v[114:115], v[114:115], v[116:117], v[114:115]
	v_fma_f64 v[116:117], -v[100:101], v[114:115], 1.0
	v_fma_f64 v[114:115], v[114:115], v[116:117], v[114:115]
	v_mul_f64 v[116:117], v[118:119], v[114:115]
	v_fma_f64 v[100:101], -v[100:101], v[116:117], v[118:119]
	v_div_fmas_f64 v[100:101], v[100:101], v[114:115], v[116:117]
	v_div_fixup_f64 v[98:99], v[100:101], v[98:99], 1.0
	v_mul_f64 v[100:101], v[112:113], -v[98:99]
.LBB46_240:
	s_or_b64 exec, exec, s[8:9]
.LBB46_241:
	s_or_b64 exec, exec, s[0:1]
	v_cmp_ne_u32_e32 vcc, v108, v106
	s_and_saveexec_b64 s[0:1], vcc
	s_xor_b64 s[0:1], exec, s[0:1]
	s_cbranch_execz .LBB46_247
; %bb.242:
	v_cmp_eq_u32_e32 vcc, 11, v108
	s_and_saveexec_b64 s[8:9], vcc
	s_cbranch_execz .LBB46_246
; %bb.243:
	v_cmp_ne_u32_e32 vcc, 11, v106
	s_xor_b64 s[20:21], s[18:19], -1
	s_and_b64 s[24:25], s[20:21], vcc
	s_and_saveexec_b64 s[20:21], s[24:25]
	s_cbranch_execz .LBB46_245
; %bb.244:
	v_ashrrev_i32_e32 v107, 31, v106
	v_lshlrev_b64 v[107:108], 2, v[106:107]
	v_add_co_u32_e32 v107, vcc, v104, v107
	v_addc_co_u32_e32 v108, vcc, v105, v108, vcc
	global_load_dword v0, v[107:108], off
	global_load_dword v112, v[104:105], off offset:44
	s_waitcnt vmcnt(1)
	global_store_dword v[104:105], v0, off offset:44
	s_waitcnt vmcnt(1)
	global_store_dword v[107:108], v112, off
.LBB46_245:
	s_or_b64 exec, exec, s[20:21]
	v_mov_b32_e32 v108, v106
	v_mov_b32_e32 v0, v106
.LBB46_246:
	s_or_b64 exec, exec, s[8:9]
.LBB46_247:
	s_andn2_saveexec_b64 s[0:1], s[0:1]
	s_cbranch_execz .LBB46_249
; %bb.248:
	v_mov_b32_e32 v108, 11
	ds_write2_b64 v1, v[42:43], v[44:45] offset0:24 offset1:25
	ds_write2_b64 v1, v[38:39], v[40:41] offset0:26 offset1:27
	;; [unrolled: 1-line block ×12, first 2 shown]
.LBB46_249:
	s_or_b64 exec, exec, s[0:1]
	v_cmp_lt_i32_e32 vcc, 11, v108
	s_waitcnt vmcnt(0) lgkmcnt(0)
	s_barrier
	s_and_saveexec_b64 s[0:1], vcc
	s_cbranch_execz .LBB46_251
; %bb.250:
	v_mul_f64 v[106:107], v[98:99], v[48:49]
	v_mul_f64 v[48:49], v[100:101], v[48:49]
	v_fma_f64 v[106:107], v[100:101], v[46:47], v[106:107]
	v_fma_f64 v[46:47], v[98:99], v[46:47], -v[48:49]
	ds_read2_b64 v[98:101], v1 offset0:24 offset1:25
	s_waitcnt lgkmcnt(0)
	v_mul_f64 v[48:49], v[100:101], v[106:107]
	v_fma_f64 v[48:49], v[98:99], v[46:47], -v[48:49]
	v_mul_f64 v[98:99], v[98:99], v[106:107]
	v_add_f64 v[42:43], v[42:43], -v[48:49]
	v_fma_f64 v[98:99], v[100:101], v[46:47], v[98:99]
	v_add_f64 v[44:45], v[44:45], -v[98:99]
	ds_read2_b64 v[98:101], v1 offset0:26 offset1:27
	s_waitcnt lgkmcnt(0)
	v_mul_f64 v[48:49], v[100:101], v[106:107]
	v_fma_f64 v[48:49], v[98:99], v[46:47], -v[48:49]
	v_mul_f64 v[98:99], v[98:99], v[106:107]
	v_add_f64 v[38:39], v[38:39], -v[48:49]
	v_fma_f64 v[98:99], v[100:101], v[46:47], v[98:99]
	v_add_f64 v[40:41], v[40:41], -v[98:99]
	;; [unrolled: 8-line block ×11, first 2 shown]
	ds_read2_b64 v[98:101], v1 offset0:46 offset1:47
	s_waitcnt lgkmcnt(0)
	v_mul_f64 v[48:49], v[100:101], v[106:107]
	v_fma_f64 v[48:49], v[98:99], v[46:47], -v[48:49]
	v_mul_f64 v[98:99], v[98:99], v[106:107]
	v_add_f64 v[94:95], v[94:95], -v[48:49]
	v_fma_f64 v[98:99], v[100:101], v[46:47], v[98:99]
	v_mov_b32_e32 v48, v106
	v_mov_b32_e32 v49, v107
	v_add_f64 v[96:97], v[96:97], -v[98:99]
.LBB46_251:
	s_or_b64 exec, exec, s[0:1]
	v_lshl_add_u32 v98, v108, 4, v1
	s_barrier
	ds_write2_b64 v98, v[42:43], v[44:45] offset1:1
	s_waitcnt lgkmcnt(0)
	s_barrier
	ds_read2_b64 v[98:101], v1 offset0:24 offset1:25
	s_cmp_lt_i32 s22, 14
	v_mov_b32_e32 v106, 12
	s_cbranch_scc1 .LBB46_254
; %bb.252:
	v_add_u32_e32 v107, 0xd0, v1
	s_mov_b32 s7, 13
	v_mov_b32_e32 v106, 12
.LBB46_253:                             ; =>This Inner Loop Header: Depth=1
	s_waitcnt lgkmcnt(0)
	v_cmp_gt_f64_e32 vcc, 0, v[100:101]
	v_cmp_gt_f64_e64 s[0:1], 0, v[98:99]
	ds_read2_b64 v[112:115], v107 offset1:1
	v_xor_b32_e32 v117, 0x80000000, v99
	v_xor_b32_e32 v119, 0x80000000, v101
	v_mov_b32_e32 v116, v98
	v_mov_b32_e32 v118, v100
	s_waitcnt lgkmcnt(0)
	v_xor_b32_e32 v121, 0x80000000, v115
	v_cndmask_b32_e32 v119, v101, v119, vcc
	v_cndmask_b32_e64 v117, v99, v117, s[0:1]
	v_cmp_gt_f64_e32 vcc, 0, v[114:115]
	v_cmp_gt_f64_e64 s[0:1], 0, v[112:113]
	v_add_f64 v[116:117], v[116:117], v[118:119]
	v_xor_b32_e32 v119, 0x80000000, v113
	v_mov_b32_e32 v118, v112
	v_mov_b32_e32 v120, v114
	v_add_u32_e32 v107, 16, v107
	v_cndmask_b32_e32 v121, v115, v121, vcc
	v_cndmask_b32_e64 v119, v113, v119, s[0:1]
	v_add_f64 v[118:119], v[118:119], v[120:121]
	v_mov_b32_e32 v120, s7
	s_add_i32 s7, s7, 1
	s_cmp_lg_u32 s22, s7
	v_cmp_lt_f64_e32 vcc, v[116:117], v[118:119]
	v_cndmask_b32_e32 v99, v99, v113, vcc
	v_cndmask_b32_e32 v98, v98, v112, vcc
	;; [unrolled: 1-line block ×5, first 2 shown]
	s_cbranch_scc1 .LBB46_253
.LBB46_254:
	s_waitcnt lgkmcnt(0)
	v_cmp_eq_f64_e32 vcc, 0, v[98:99]
	v_cmp_eq_f64_e64 s[0:1], 0, v[100:101]
	s_and_b64 s[0:1], vcc, s[0:1]
	s_and_saveexec_b64 s[8:9], s[0:1]
	s_xor_b64 s[0:1], exec, s[8:9]
; %bb.255:
	v_cmp_ne_u32_e32 vcc, 0, v111
	v_cndmask_b32_e32 v111, 13, v111, vcc
; %bb.256:
	s_andn2_saveexec_b64 s[0:1], s[0:1]
	s_cbranch_execz .LBB46_262
; %bb.257:
	v_cmp_ngt_f64_e64 s[8:9], |v[98:99]|, |v[100:101]|
	s_and_saveexec_b64 s[20:21], s[8:9]
	s_xor_b64 s[8:9], exec, s[20:21]
	s_cbranch_execz .LBB46_259
; %bb.258:
	v_div_scale_f64 v[112:113], s[20:21], v[100:101], v[100:101], v[98:99]
	v_rcp_f64_e32 v[114:115], v[112:113]
	v_fma_f64 v[116:117], -v[112:113], v[114:115], 1.0
	v_fma_f64 v[114:115], v[114:115], v[116:117], v[114:115]
	v_div_scale_f64 v[116:117], vcc, v[98:99], v[100:101], v[98:99]
	v_fma_f64 v[118:119], -v[112:113], v[114:115], 1.0
	v_fma_f64 v[114:115], v[114:115], v[118:119], v[114:115]
	v_mul_f64 v[118:119], v[116:117], v[114:115]
	v_fma_f64 v[112:113], -v[112:113], v[118:119], v[116:117]
	v_div_fmas_f64 v[112:113], v[112:113], v[114:115], v[118:119]
	v_div_fixup_f64 v[112:113], v[112:113], v[100:101], v[98:99]
	v_fma_f64 v[98:99], v[98:99], v[112:113], v[100:101]
	v_div_scale_f64 v[100:101], s[20:21], v[98:99], v[98:99], 1.0
	v_div_scale_f64 v[118:119], vcc, 1.0, v[98:99], 1.0
	v_rcp_f64_e32 v[114:115], v[100:101]
	v_fma_f64 v[116:117], -v[100:101], v[114:115], 1.0
	v_fma_f64 v[114:115], v[114:115], v[116:117], v[114:115]
	v_fma_f64 v[116:117], -v[100:101], v[114:115], 1.0
	v_fma_f64 v[114:115], v[114:115], v[116:117], v[114:115]
	v_mul_f64 v[116:117], v[118:119], v[114:115]
	v_fma_f64 v[100:101], -v[100:101], v[116:117], v[118:119]
	v_div_fmas_f64 v[100:101], v[100:101], v[114:115], v[116:117]
	v_div_fixup_f64 v[100:101], v[100:101], v[98:99], 1.0
	v_mul_f64 v[98:99], v[112:113], v[100:101]
	v_xor_b32_e32 v101, 0x80000000, v101
.LBB46_259:
	s_andn2_saveexec_b64 s[8:9], s[8:9]
	s_cbranch_execz .LBB46_261
; %bb.260:
	v_div_scale_f64 v[112:113], s[20:21], v[98:99], v[98:99], v[100:101]
	v_rcp_f64_e32 v[114:115], v[112:113]
	v_fma_f64 v[116:117], -v[112:113], v[114:115], 1.0
	v_fma_f64 v[114:115], v[114:115], v[116:117], v[114:115]
	v_div_scale_f64 v[116:117], vcc, v[100:101], v[98:99], v[100:101]
	v_fma_f64 v[118:119], -v[112:113], v[114:115], 1.0
	v_fma_f64 v[114:115], v[114:115], v[118:119], v[114:115]
	v_mul_f64 v[118:119], v[116:117], v[114:115]
	v_fma_f64 v[112:113], -v[112:113], v[118:119], v[116:117]
	v_div_fmas_f64 v[112:113], v[112:113], v[114:115], v[118:119]
	v_div_fixup_f64 v[112:113], v[112:113], v[98:99], v[100:101]
	v_fma_f64 v[98:99], v[100:101], v[112:113], v[98:99]
	v_div_scale_f64 v[100:101], s[20:21], v[98:99], v[98:99], 1.0
	v_div_scale_f64 v[118:119], vcc, 1.0, v[98:99], 1.0
	v_rcp_f64_e32 v[114:115], v[100:101]
	v_fma_f64 v[116:117], -v[100:101], v[114:115], 1.0
	v_fma_f64 v[114:115], v[114:115], v[116:117], v[114:115]
	v_fma_f64 v[116:117], -v[100:101], v[114:115], 1.0
	v_fma_f64 v[114:115], v[114:115], v[116:117], v[114:115]
	v_mul_f64 v[116:117], v[118:119], v[114:115]
	v_fma_f64 v[100:101], -v[100:101], v[116:117], v[118:119]
	v_div_fmas_f64 v[100:101], v[100:101], v[114:115], v[116:117]
	v_div_fixup_f64 v[98:99], v[100:101], v[98:99], 1.0
	v_mul_f64 v[100:101], v[112:113], -v[98:99]
.LBB46_261:
	s_or_b64 exec, exec, s[8:9]
.LBB46_262:
	s_or_b64 exec, exec, s[0:1]
	v_cmp_ne_u32_e32 vcc, v108, v106
	s_and_saveexec_b64 s[0:1], vcc
	s_xor_b64 s[0:1], exec, s[0:1]
	s_cbranch_execz .LBB46_268
; %bb.263:
	v_cmp_eq_u32_e32 vcc, 12, v108
	s_and_saveexec_b64 s[8:9], vcc
	s_cbranch_execz .LBB46_267
; %bb.264:
	v_cmp_ne_u32_e32 vcc, 12, v106
	s_xor_b64 s[20:21], s[18:19], -1
	s_and_b64 s[24:25], s[20:21], vcc
	s_and_saveexec_b64 s[20:21], s[24:25]
	s_cbranch_execz .LBB46_266
; %bb.265:
	v_ashrrev_i32_e32 v107, 31, v106
	v_lshlrev_b64 v[107:108], 2, v[106:107]
	v_add_co_u32_e32 v107, vcc, v104, v107
	v_addc_co_u32_e32 v108, vcc, v105, v108, vcc
	global_load_dword v0, v[107:108], off
	global_load_dword v112, v[104:105], off offset:48
	s_waitcnt vmcnt(1)
	global_store_dword v[104:105], v0, off offset:48
	s_waitcnt vmcnt(1)
	global_store_dword v[107:108], v112, off
.LBB46_266:
	s_or_b64 exec, exec, s[20:21]
	v_mov_b32_e32 v108, v106
	v_mov_b32_e32 v0, v106
.LBB46_267:
	s_or_b64 exec, exec, s[8:9]
.LBB46_268:
	s_andn2_saveexec_b64 s[0:1], s[0:1]
	s_cbranch_execz .LBB46_270
; %bb.269:
	v_mov_b32_e32 v108, 12
	ds_write2_b64 v1, v[38:39], v[40:41] offset0:26 offset1:27
	ds_write2_b64 v1, v[34:35], v[36:37] offset0:28 offset1:29
	;; [unrolled: 1-line block ×11, first 2 shown]
.LBB46_270:
	s_or_b64 exec, exec, s[0:1]
	v_cmp_lt_i32_e32 vcc, 12, v108
	s_waitcnt vmcnt(0) lgkmcnt(0)
	s_barrier
	s_and_saveexec_b64 s[0:1], vcc
	s_cbranch_execz .LBB46_272
; %bb.271:
	v_mul_f64 v[106:107], v[98:99], v[44:45]
	v_mul_f64 v[44:45], v[100:101], v[44:45]
	v_fma_f64 v[106:107], v[100:101], v[42:43], v[106:107]
	v_fma_f64 v[42:43], v[98:99], v[42:43], -v[44:45]
	ds_read2_b64 v[98:101], v1 offset0:26 offset1:27
	s_waitcnt lgkmcnt(0)
	v_mul_f64 v[44:45], v[100:101], v[106:107]
	v_fma_f64 v[44:45], v[98:99], v[42:43], -v[44:45]
	v_mul_f64 v[98:99], v[98:99], v[106:107]
	v_add_f64 v[38:39], v[38:39], -v[44:45]
	v_fma_f64 v[98:99], v[100:101], v[42:43], v[98:99]
	v_add_f64 v[40:41], v[40:41], -v[98:99]
	ds_read2_b64 v[98:101], v1 offset0:28 offset1:29
	s_waitcnt lgkmcnt(0)
	v_mul_f64 v[44:45], v[100:101], v[106:107]
	v_fma_f64 v[44:45], v[98:99], v[42:43], -v[44:45]
	v_mul_f64 v[98:99], v[98:99], v[106:107]
	v_add_f64 v[34:35], v[34:35], -v[44:45]
	v_fma_f64 v[98:99], v[100:101], v[42:43], v[98:99]
	v_add_f64 v[36:37], v[36:37], -v[98:99]
	ds_read2_b64 v[98:101], v1 offset0:30 offset1:31
	s_waitcnt lgkmcnt(0)
	v_mul_f64 v[44:45], v[100:101], v[106:107]
	v_fma_f64 v[44:45], v[98:99], v[42:43], -v[44:45]
	v_mul_f64 v[98:99], v[98:99], v[106:107]
	v_add_f64 v[30:31], v[30:31], -v[44:45]
	v_fma_f64 v[98:99], v[100:101], v[42:43], v[98:99]
	v_add_f64 v[32:33], v[32:33], -v[98:99]
	ds_read2_b64 v[98:101], v1 offset0:32 offset1:33
	s_waitcnt lgkmcnt(0)
	v_mul_f64 v[44:45], v[100:101], v[106:107]
	v_fma_f64 v[44:45], v[98:99], v[42:43], -v[44:45]
	v_mul_f64 v[98:99], v[98:99], v[106:107]
	v_add_f64 v[26:27], v[26:27], -v[44:45]
	v_fma_f64 v[98:99], v[100:101], v[42:43], v[98:99]
	v_add_f64 v[28:29], v[28:29], -v[98:99]
	ds_read2_b64 v[98:101], v1 offset0:34 offset1:35
	s_waitcnt lgkmcnt(0)
	v_mul_f64 v[44:45], v[100:101], v[106:107]
	v_fma_f64 v[44:45], v[98:99], v[42:43], -v[44:45]
	v_mul_f64 v[98:99], v[98:99], v[106:107]
	v_add_f64 v[22:23], v[22:23], -v[44:45]
	v_fma_f64 v[98:99], v[100:101], v[42:43], v[98:99]
	v_add_f64 v[24:25], v[24:25], -v[98:99]
	ds_read2_b64 v[98:101], v1 offset0:36 offset1:37
	s_waitcnt lgkmcnt(0)
	v_mul_f64 v[44:45], v[100:101], v[106:107]
	v_fma_f64 v[44:45], v[98:99], v[42:43], -v[44:45]
	v_mul_f64 v[98:99], v[98:99], v[106:107]
	v_add_f64 v[18:19], v[18:19], -v[44:45]
	v_fma_f64 v[98:99], v[100:101], v[42:43], v[98:99]
	v_add_f64 v[20:21], v[20:21], -v[98:99]
	ds_read2_b64 v[98:101], v1 offset0:38 offset1:39
	s_waitcnt lgkmcnt(0)
	v_mul_f64 v[44:45], v[100:101], v[106:107]
	v_fma_f64 v[44:45], v[98:99], v[42:43], -v[44:45]
	v_mul_f64 v[98:99], v[98:99], v[106:107]
	v_add_f64 v[14:15], v[14:15], -v[44:45]
	v_fma_f64 v[98:99], v[100:101], v[42:43], v[98:99]
	v_add_f64 v[16:17], v[16:17], -v[98:99]
	ds_read2_b64 v[98:101], v1 offset0:40 offset1:41
	s_waitcnt lgkmcnt(0)
	v_mul_f64 v[44:45], v[100:101], v[106:107]
	v_fma_f64 v[44:45], v[98:99], v[42:43], -v[44:45]
	v_mul_f64 v[98:99], v[98:99], v[106:107]
	v_add_f64 v[10:11], v[10:11], -v[44:45]
	v_fma_f64 v[98:99], v[100:101], v[42:43], v[98:99]
	v_add_f64 v[12:13], v[12:13], -v[98:99]
	ds_read2_b64 v[98:101], v1 offset0:42 offset1:43
	s_waitcnt lgkmcnt(0)
	v_mul_f64 v[44:45], v[100:101], v[106:107]
	v_fma_f64 v[44:45], v[98:99], v[42:43], -v[44:45]
	v_mul_f64 v[98:99], v[98:99], v[106:107]
	v_add_f64 v[6:7], v[6:7], -v[44:45]
	v_fma_f64 v[98:99], v[100:101], v[42:43], v[98:99]
	v_add_f64 v[8:9], v[8:9], -v[98:99]
	ds_read2_b64 v[98:101], v1 offset0:44 offset1:45
	s_waitcnt lgkmcnt(0)
	v_mul_f64 v[44:45], v[100:101], v[106:107]
	v_fma_f64 v[44:45], v[98:99], v[42:43], -v[44:45]
	v_mul_f64 v[98:99], v[98:99], v[106:107]
	v_add_f64 v[2:3], v[2:3], -v[44:45]
	v_fma_f64 v[98:99], v[100:101], v[42:43], v[98:99]
	v_add_f64 v[4:5], v[4:5], -v[98:99]
	ds_read2_b64 v[98:101], v1 offset0:46 offset1:47
	s_waitcnt lgkmcnt(0)
	v_mul_f64 v[44:45], v[100:101], v[106:107]
	v_fma_f64 v[44:45], v[98:99], v[42:43], -v[44:45]
	v_mul_f64 v[98:99], v[98:99], v[106:107]
	v_add_f64 v[94:95], v[94:95], -v[44:45]
	v_fma_f64 v[98:99], v[100:101], v[42:43], v[98:99]
	v_mov_b32_e32 v44, v106
	v_mov_b32_e32 v45, v107
	v_add_f64 v[96:97], v[96:97], -v[98:99]
.LBB46_272:
	s_or_b64 exec, exec, s[0:1]
	v_lshl_add_u32 v98, v108, 4, v1
	s_barrier
	ds_write2_b64 v98, v[38:39], v[40:41] offset1:1
	s_waitcnt lgkmcnt(0)
	s_barrier
	ds_read2_b64 v[98:101], v1 offset0:26 offset1:27
	s_cmp_lt_i32 s22, 15
	v_mov_b32_e32 v106, 13
	s_cbranch_scc1 .LBB46_275
; %bb.273:
	v_add_u32_e32 v107, 0xe0, v1
	s_mov_b32 s7, 14
	v_mov_b32_e32 v106, 13
.LBB46_274:                             ; =>This Inner Loop Header: Depth=1
	s_waitcnt lgkmcnt(0)
	v_cmp_gt_f64_e32 vcc, 0, v[100:101]
	v_cmp_gt_f64_e64 s[0:1], 0, v[98:99]
	ds_read2_b64 v[112:115], v107 offset1:1
	v_xor_b32_e32 v117, 0x80000000, v99
	v_xor_b32_e32 v119, 0x80000000, v101
	v_mov_b32_e32 v116, v98
	v_mov_b32_e32 v118, v100
	s_waitcnt lgkmcnt(0)
	v_xor_b32_e32 v121, 0x80000000, v115
	v_cndmask_b32_e32 v119, v101, v119, vcc
	v_cndmask_b32_e64 v117, v99, v117, s[0:1]
	v_cmp_gt_f64_e32 vcc, 0, v[114:115]
	v_cmp_gt_f64_e64 s[0:1], 0, v[112:113]
	v_add_f64 v[116:117], v[116:117], v[118:119]
	v_xor_b32_e32 v119, 0x80000000, v113
	v_mov_b32_e32 v118, v112
	v_mov_b32_e32 v120, v114
	v_add_u32_e32 v107, 16, v107
	v_cndmask_b32_e32 v121, v115, v121, vcc
	v_cndmask_b32_e64 v119, v113, v119, s[0:1]
	v_add_f64 v[118:119], v[118:119], v[120:121]
	v_mov_b32_e32 v120, s7
	s_add_i32 s7, s7, 1
	s_cmp_lg_u32 s22, s7
	v_cmp_lt_f64_e32 vcc, v[116:117], v[118:119]
	v_cndmask_b32_e32 v99, v99, v113, vcc
	v_cndmask_b32_e32 v98, v98, v112, vcc
	;; [unrolled: 1-line block ×5, first 2 shown]
	s_cbranch_scc1 .LBB46_274
.LBB46_275:
	s_waitcnt lgkmcnt(0)
	v_cmp_eq_f64_e32 vcc, 0, v[98:99]
	v_cmp_eq_f64_e64 s[0:1], 0, v[100:101]
	s_and_b64 s[0:1], vcc, s[0:1]
	s_and_saveexec_b64 s[8:9], s[0:1]
	s_xor_b64 s[0:1], exec, s[8:9]
; %bb.276:
	v_cmp_ne_u32_e32 vcc, 0, v111
	v_cndmask_b32_e32 v111, 14, v111, vcc
; %bb.277:
	s_andn2_saveexec_b64 s[0:1], s[0:1]
	s_cbranch_execz .LBB46_283
; %bb.278:
	v_cmp_ngt_f64_e64 s[8:9], |v[98:99]|, |v[100:101]|
	s_and_saveexec_b64 s[20:21], s[8:9]
	s_xor_b64 s[8:9], exec, s[20:21]
	s_cbranch_execz .LBB46_280
; %bb.279:
	v_div_scale_f64 v[112:113], s[20:21], v[100:101], v[100:101], v[98:99]
	v_rcp_f64_e32 v[114:115], v[112:113]
	v_fma_f64 v[116:117], -v[112:113], v[114:115], 1.0
	v_fma_f64 v[114:115], v[114:115], v[116:117], v[114:115]
	v_div_scale_f64 v[116:117], vcc, v[98:99], v[100:101], v[98:99]
	v_fma_f64 v[118:119], -v[112:113], v[114:115], 1.0
	v_fma_f64 v[114:115], v[114:115], v[118:119], v[114:115]
	v_mul_f64 v[118:119], v[116:117], v[114:115]
	v_fma_f64 v[112:113], -v[112:113], v[118:119], v[116:117]
	v_div_fmas_f64 v[112:113], v[112:113], v[114:115], v[118:119]
	v_div_fixup_f64 v[112:113], v[112:113], v[100:101], v[98:99]
	v_fma_f64 v[98:99], v[98:99], v[112:113], v[100:101]
	v_div_scale_f64 v[100:101], s[20:21], v[98:99], v[98:99], 1.0
	v_div_scale_f64 v[118:119], vcc, 1.0, v[98:99], 1.0
	v_rcp_f64_e32 v[114:115], v[100:101]
	v_fma_f64 v[116:117], -v[100:101], v[114:115], 1.0
	v_fma_f64 v[114:115], v[114:115], v[116:117], v[114:115]
	v_fma_f64 v[116:117], -v[100:101], v[114:115], 1.0
	v_fma_f64 v[114:115], v[114:115], v[116:117], v[114:115]
	v_mul_f64 v[116:117], v[118:119], v[114:115]
	v_fma_f64 v[100:101], -v[100:101], v[116:117], v[118:119]
	v_div_fmas_f64 v[100:101], v[100:101], v[114:115], v[116:117]
	v_div_fixup_f64 v[100:101], v[100:101], v[98:99], 1.0
	v_mul_f64 v[98:99], v[112:113], v[100:101]
	v_xor_b32_e32 v101, 0x80000000, v101
.LBB46_280:
	s_andn2_saveexec_b64 s[8:9], s[8:9]
	s_cbranch_execz .LBB46_282
; %bb.281:
	v_div_scale_f64 v[112:113], s[20:21], v[98:99], v[98:99], v[100:101]
	v_rcp_f64_e32 v[114:115], v[112:113]
	v_fma_f64 v[116:117], -v[112:113], v[114:115], 1.0
	v_fma_f64 v[114:115], v[114:115], v[116:117], v[114:115]
	v_div_scale_f64 v[116:117], vcc, v[100:101], v[98:99], v[100:101]
	v_fma_f64 v[118:119], -v[112:113], v[114:115], 1.0
	v_fma_f64 v[114:115], v[114:115], v[118:119], v[114:115]
	v_mul_f64 v[118:119], v[116:117], v[114:115]
	v_fma_f64 v[112:113], -v[112:113], v[118:119], v[116:117]
	v_div_fmas_f64 v[112:113], v[112:113], v[114:115], v[118:119]
	v_div_fixup_f64 v[112:113], v[112:113], v[98:99], v[100:101]
	v_fma_f64 v[98:99], v[100:101], v[112:113], v[98:99]
	v_div_scale_f64 v[100:101], s[20:21], v[98:99], v[98:99], 1.0
	v_div_scale_f64 v[118:119], vcc, 1.0, v[98:99], 1.0
	v_rcp_f64_e32 v[114:115], v[100:101]
	v_fma_f64 v[116:117], -v[100:101], v[114:115], 1.0
	v_fma_f64 v[114:115], v[114:115], v[116:117], v[114:115]
	v_fma_f64 v[116:117], -v[100:101], v[114:115], 1.0
	v_fma_f64 v[114:115], v[114:115], v[116:117], v[114:115]
	v_mul_f64 v[116:117], v[118:119], v[114:115]
	v_fma_f64 v[100:101], -v[100:101], v[116:117], v[118:119]
	v_div_fmas_f64 v[100:101], v[100:101], v[114:115], v[116:117]
	v_div_fixup_f64 v[98:99], v[100:101], v[98:99], 1.0
	v_mul_f64 v[100:101], v[112:113], -v[98:99]
.LBB46_282:
	s_or_b64 exec, exec, s[8:9]
.LBB46_283:
	s_or_b64 exec, exec, s[0:1]
	v_cmp_ne_u32_e32 vcc, v108, v106
	s_and_saveexec_b64 s[0:1], vcc
	s_xor_b64 s[0:1], exec, s[0:1]
	s_cbranch_execz .LBB46_289
; %bb.284:
	v_cmp_eq_u32_e32 vcc, 13, v108
	s_and_saveexec_b64 s[8:9], vcc
	s_cbranch_execz .LBB46_288
; %bb.285:
	v_cmp_ne_u32_e32 vcc, 13, v106
	s_xor_b64 s[20:21], s[18:19], -1
	s_and_b64 s[24:25], s[20:21], vcc
	s_and_saveexec_b64 s[20:21], s[24:25]
	s_cbranch_execz .LBB46_287
; %bb.286:
	v_ashrrev_i32_e32 v107, 31, v106
	v_lshlrev_b64 v[107:108], 2, v[106:107]
	v_add_co_u32_e32 v107, vcc, v104, v107
	v_addc_co_u32_e32 v108, vcc, v105, v108, vcc
	global_load_dword v0, v[107:108], off
	global_load_dword v112, v[104:105], off offset:52
	s_waitcnt vmcnt(1)
	global_store_dword v[104:105], v0, off offset:52
	s_waitcnt vmcnt(1)
	global_store_dword v[107:108], v112, off
.LBB46_287:
	s_or_b64 exec, exec, s[20:21]
	v_mov_b32_e32 v108, v106
	v_mov_b32_e32 v0, v106
.LBB46_288:
	s_or_b64 exec, exec, s[8:9]
.LBB46_289:
	s_andn2_saveexec_b64 s[0:1], s[0:1]
	s_cbranch_execz .LBB46_291
; %bb.290:
	v_mov_b32_e32 v108, 13
	ds_write2_b64 v1, v[34:35], v[36:37] offset0:28 offset1:29
	ds_write2_b64 v1, v[30:31], v[32:33] offset0:30 offset1:31
	;; [unrolled: 1-line block ×10, first 2 shown]
.LBB46_291:
	s_or_b64 exec, exec, s[0:1]
	v_cmp_lt_i32_e32 vcc, 13, v108
	s_waitcnt vmcnt(0) lgkmcnt(0)
	s_barrier
	s_and_saveexec_b64 s[0:1], vcc
	s_cbranch_execz .LBB46_293
; %bb.292:
	v_mul_f64 v[106:107], v[98:99], v[40:41]
	v_mul_f64 v[40:41], v[100:101], v[40:41]
	v_fma_f64 v[106:107], v[100:101], v[38:39], v[106:107]
	v_fma_f64 v[38:39], v[98:99], v[38:39], -v[40:41]
	ds_read2_b64 v[98:101], v1 offset0:28 offset1:29
	s_waitcnt lgkmcnt(0)
	v_mul_f64 v[40:41], v[100:101], v[106:107]
	v_fma_f64 v[40:41], v[98:99], v[38:39], -v[40:41]
	v_mul_f64 v[98:99], v[98:99], v[106:107]
	v_add_f64 v[34:35], v[34:35], -v[40:41]
	v_fma_f64 v[98:99], v[100:101], v[38:39], v[98:99]
	v_add_f64 v[36:37], v[36:37], -v[98:99]
	ds_read2_b64 v[98:101], v1 offset0:30 offset1:31
	s_waitcnt lgkmcnt(0)
	v_mul_f64 v[40:41], v[100:101], v[106:107]
	v_fma_f64 v[40:41], v[98:99], v[38:39], -v[40:41]
	v_mul_f64 v[98:99], v[98:99], v[106:107]
	v_add_f64 v[30:31], v[30:31], -v[40:41]
	v_fma_f64 v[98:99], v[100:101], v[38:39], v[98:99]
	v_add_f64 v[32:33], v[32:33], -v[98:99]
	;; [unrolled: 8-line block ×9, first 2 shown]
	ds_read2_b64 v[98:101], v1 offset0:46 offset1:47
	s_waitcnt lgkmcnt(0)
	v_mul_f64 v[40:41], v[100:101], v[106:107]
	v_fma_f64 v[40:41], v[98:99], v[38:39], -v[40:41]
	v_mul_f64 v[98:99], v[98:99], v[106:107]
	v_add_f64 v[94:95], v[94:95], -v[40:41]
	v_fma_f64 v[98:99], v[100:101], v[38:39], v[98:99]
	v_mov_b32_e32 v40, v106
	v_mov_b32_e32 v41, v107
	v_add_f64 v[96:97], v[96:97], -v[98:99]
.LBB46_293:
	s_or_b64 exec, exec, s[0:1]
	v_lshl_add_u32 v98, v108, 4, v1
	s_barrier
	ds_write2_b64 v98, v[34:35], v[36:37] offset1:1
	s_waitcnt lgkmcnt(0)
	s_barrier
	ds_read2_b64 v[98:101], v1 offset0:28 offset1:29
	s_cmp_lt_i32 s22, 16
	v_mov_b32_e32 v106, 14
	s_cbranch_scc1 .LBB46_296
; %bb.294:
	v_add_u32_e32 v107, 0xf0, v1
	s_mov_b32 s7, 15
	v_mov_b32_e32 v106, 14
.LBB46_295:                             ; =>This Inner Loop Header: Depth=1
	s_waitcnt lgkmcnt(0)
	v_cmp_gt_f64_e32 vcc, 0, v[100:101]
	v_cmp_gt_f64_e64 s[0:1], 0, v[98:99]
	ds_read2_b64 v[112:115], v107 offset1:1
	v_xor_b32_e32 v117, 0x80000000, v99
	v_xor_b32_e32 v119, 0x80000000, v101
	v_mov_b32_e32 v116, v98
	v_mov_b32_e32 v118, v100
	s_waitcnt lgkmcnt(0)
	v_xor_b32_e32 v121, 0x80000000, v115
	v_cndmask_b32_e32 v119, v101, v119, vcc
	v_cndmask_b32_e64 v117, v99, v117, s[0:1]
	v_cmp_gt_f64_e32 vcc, 0, v[114:115]
	v_cmp_gt_f64_e64 s[0:1], 0, v[112:113]
	v_add_f64 v[116:117], v[116:117], v[118:119]
	v_xor_b32_e32 v119, 0x80000000, v113
	v_mov_b32_e32 v118, v112
	v_mov_b32_e32 v120, v114
	v_add_u32_e32 v107, 16, v107
	v_cndmask_b32_e32 v121, v115, v121, vcc
	v_cndmask_b32_e64 v119, v113, v119, s[0:1]
	v_add_f64 v[118:119], v[118:119], v[120:121]
	v_mov_b32_e32 v120, s7
	s_add_i32 s7, s7, 1
	s_cmp_lg_u32 s22, s7
	v_cmp_lt_f64_e32 vcc, v[116:117], v[118:119]
	v_cndmask_b32_e32 v99, v99, v113, vcc
	v_cndmask_b32_e32 v98, v98, v112, vcc
	;; [unrolled: 1-line block ×5, first 2 shown]
	s_cbranch_scc1 .LBB46_295
.LBB46_296:
	s_waitcnt lgkmcnt(0)
	v_cmp_eq_f64_e32 vcc, 0, v[98:99]
	v_cmp_eq_f64_e64 s[0:1], 0, v[100:101]
	s_and_b64 s[0:1], vcc, s[0:1]
	s_and_saveexec_b64 s[8:9], s[0:1]
	s_xor_b64 s[0:1], exec, s[8:9]
; %bb.297:
	v_cmp_ne_u32_e32 vcc, 0, v111
	v_cndmask_b32_e32 v111, 15, v111, vcc
; %bb.298:
	s_andn2_saveexec_b64 s[0:1], s[0:1]
	s_cbranch_execz .LBB46_304
; %bb.299:
	v_cmp_ngt_f64_e64 s[8:9], |v[98:99]|, |v[100:101]|
	s_and_saveexec_b64 s[20:21], s[8:9]
	s_xor_b64 s[8:9], exec, s[20:21]
	s_cbranch_execz .LBB46_301
; %bb.300:
	v_div_scale_f64 v[112:113], s[20:21], v[100:101], v[100:101], v[98:99]
	v_rcp_f64_e32 v[114:115], v[112:113]
	v_fma_f64 v[116:117], -v[112:113], v[114:115], 1.0
	v_fma_f64 v[114:115], v[114:115], v[116:117], v[114:115]
	v_div_scale_f64 v[116:117], vcc, v[98:99], v[100:101], v[98:99]
	v_fma_f64 v[118:119], -v[112:113], v[114:115], 1.0
	v_fma_f64 v[114:115], v[114:115], v[118:119], v[114:115]
	v_mul_f64 v[118:119], v[116:117], v[114:115]
	v_fma_f64 v[112:113], -v[112:113], v[118:119], v[116:117]
	v_div_fmas_f64 v[112:113], v[112:113], v[114:115], v[118:119]
	v_div_fixup_f64 v[112:113], v[112:113], v[100:101], v[98:99]
	v_fma_f64 v[98:99], v[98:99], v[112:113], v[100:101]
	v_div_scale_f64 v[100:101], s[20:21], v[98:99], v[98:99], 1.0
	v_div_scale_f64 v[118:119], vcc, 1.0, v[98:99], 1.0
	v_rcp_f64_e32 v[114:115], v[100:101]
	v_fma_f64 v[116:117], -v[100:101], v[114:115], 1.0
	v_fma_f64 v[114:115], v[114:115], v[116:117], v[114:115]
	v_fma_f64 v[116:117], -v[100:101], v[114:115], 1.0
	v_fma_f64 v[114:115], v[114:115], v[116:117], v[114:115]
	v_mul_f64 v[116:117], v[118:119], v[114:115]
	v_fma_f64 v[100:101], -v[100:101], v[116:117], v[118:119]
	v_div_fmas_f64 v[100:101], v[100:101], v[114:115], v[116:117]
	v_div_fixup_f64 v[100:101], v[100:101], v[98:99], 1.0
	v_mul_f64 v[98:99], v[112:113], v[100:101]
	v_xor_b32_e32 v101, 0x80000000, v101
.LBB46_301:
	s_andn2_saveexec_b64 s[8:9], s[8:9]
	s_cbranch_execz .LBB46_303
; %bb.302:
	v_div_scale_f64 v[112:113], s[20:21], v[98:99], v[98:99], v[100:101]
	v_rcp_f64_e32 v[114:115], v[112:113]
	v_fma_f64 v[116:117], -v[112:113], v[114:115], 1.0
	v_fma_f64 v[114:115], v[114:115], v[116:117], v[114:115]
	v_div_scale_f64 v[116:117], vcc, v[100:101], v[98:99], v[100:101]
	v_fma_f64 v[118:119], -v[112:113], v[114:115], 1.0
	v_fma_f64 v[114:115], v[114:115], v[118:119], v[114:115]
	v_mul_f64 v[118:119], v[116:117], v[114:115]
	v_fma_f64 v[112:113], -v[112:113], v[118:119], v[116:117]
	v_div_fmas_f64 v[112:113], v[112:113], v[114:115], v[118:119]
	v_div_fixup_f64 v[112:113], v[112:113], v[98:99], v[100:101]
	v_fma_f64 v[98:99], v[100:101], v[112:113], v[98:99]
	v_div_scale_f64 v[100:101], s[20:21], v[98:99], v[98:99], 1.0
	v_div_scale_f64 v[118:119], vcc, 1.0, v[98:99], 1.0
	v_rcp_f64_e32 v[114:115], v[100:101]
	v_fma_f64 v[116:117], -v[100:101], v[114:115], 1.0
	v_fma_f64 v[114:115], v[114:115], v[116:117], v[114:115]
	v_fma_f64 v[116:117], -v[100:101], v[114:115], 1.0
	v_fma_f64 v[114:115], v[114:115], v[116:117], v[114:115]
	v_mul_f64 v[116:117], v[118:119], v[114:115]
	v_fma_f64 v[100:101], -v[100:101], v[116:117], v[118:119]
	v_div_fmas_f64 v[100:101], v[100:101], v[114:115], v[116:117]
	v_div_fixup_f64 v[98:99], v[100:101], v[98:99], 1.0
	v_mul_f64 v[100:101], v[112:113], -v[98:99]
.LBB46_303:
	s_or_b64 exec, exec, s[8:9]
.LBB46_304:
	s_or_b64 exec, exec, s[0:1]
	v_cmp_ne_u32_e32 vcc, v108, v106
	s_and_saveexec_b64 s[0:1], vcc
	s_xor_b64 s[0:1], exec, s[0:1]
	s_cbranch_execz .LBB46_310
; %bb.305:
	v_cmp_eq_u32_e32 vcc, 14, v108
	s_and_saveexec_b64 s[8:9], vcc
	s_cbranch_execz .LBB46_309
; %bb.306:
	v_cmp_ne_u32_e32 vcc, 14, v106
	s_xor_b64 s[20:21], s[18:19], -1
	s_and_b64 s[24:25], s[20:21], vcc
	s_and_saveexec_b64 s[20:21], s[24:25]
	s_cbranch_execz .LBB46_308
; %bb.307:
	v_ashrrev_i32_e32 v107, 31, v106
	v_lshlrev_b64 v[107:108], 2, v[106:107]
	v_add_co_u32_e32 v107, vcc, v104, v107
	v_addc_co_u32_e32 v108, vcc, v105, v108, vcc
	global_load_dword v0, v[107:108], off
	global_load_dword v112, v[104:105], off offset:56
	s_waitcnt vmcnt(1)
	global_store_dword v[104:105], v0, off offset:56
	s_waitcnt vmcnt(1)
	global_store_dword v[107:108], v112, off
.LBB46_308:
	s_or_b64 exec, exec, s[20:21]
	v_mov_b32_e32 v108, v106
	v_mov_b32_e32 v0, v106
.LBB46_309:
	s_or_b64 exec, exec, s[8:9]
.LBB46_310:
	s_andn2_saveexec_b64 s[0:1], s[0:1]
	s_cbranch_execz .LBB46_312
; %bb.311:
	v_mov_b32_e32 v108, 14
	ds_write2_b64 v1, v[30:31], v[32:33] offset0:30 offset1:31
	ds_write2_b64 v1, v[26:27], v[28:29] offset0:32 offset1:33
	;; [unrolled: 1-line block ×9, first 2 shown]
.LBB46_312:
	s_or_b64 exec, exec, s[0:1]
	v_cmp_lt_i32_e32 vcc, 14, v108
	s_waitcnt vmcnt(0) lgkmcnt(0)
	s_barrier
	s_and_saveexec_b64 s[0:1], vcc
	s_cbranch_execz .LBB46_314
; %bb.313:
	v_mul_f64 v[106:107], v[98:99], v[36:37]
	v_mul_f64 v[36:37], v[100:101], v[36:37]
	v_fma_f64 v[106:107], v[100:101], v[34:35], v[106:107]
	v_fma_f64 v[34:35], v[98:99], v[34:35], -v[36:37]
	ds_read2_b64 v[98:101], v1 offset0:30 offset1:31
	s_waitcnt lgkmcnt(0)
	v_mul_f64 v[36:37], v[100:101], v[106:107]
	v_fma_f64 v[36:37], v[98:99], v[34:35], -v[36:37]
	v_mul_f64 v[98:99], v[98:99], v[106:107]
	v_add_f64 v[30:31], v[30:31], -v[36:37]
	v_fma_f64 v[98:99], v[100:101], v[34:35], v[98:99]
	v_add_f64 v[32:33], v[32:33], -v[98:99]
	ds_read2_b64 v[98:101], v1 offset0:32 offset1:33
	s_waitcnt lgkmcnt(0)
	v_mul_f64 v[36:37], v[100:101], v[106:107]
	v_fma_f64 v[36:37], v[98:99], v[34:35], -v[36:37]
	v_mul_f64 v[98:99], v[98:99], v[106:107]
	v_add_f64 v[26:27], v[26:27], -v[36:37]
	v_fma_f64 v[98:99], v[100:101], v[34:35], v[98:99]
	v_add_f64 v[28:29], v[28:29], -v[98:99]
	;; [unrolled: 8-line block ×8, first 2 shown]
	ds_read2_b64 v[98:101], v1 offset0:46 offset1:47
	s_waitcnt lgkmcnt(0)
	v_mul_f64 v[36:37], v[100:101], v[106:107]
	v_fma_f64 v[36:37], v[98:99], v[34:35], -v[36:37]
	v_mul_f64 v[98:99], v[98:99], v[106:107]
	v_add_f64 v[94:95], v[94:95], -v[36:37]
	v_fma_f64 v[98:99], v[100:101], v[34:35], v[98:99]
	v_mov_b32_e32 v36, v106
	v_mov_b32_e32 v37, v107
	v_add_f64 v[96:97], v[96:97], -v[98:99]
.LBB46_314:
	s_or_b64 exec, exec, s[0:1]
	v_lshl_add_u32 v98, v108, 4, v1
	s_barrier
	ds_write2_b64 v98, v[30:31], v[32:33] offset1:1
	s_waitcnt lgkmcnt(0)
	s_barrier
	ds_read2_b64 v[98:101], v1 offset0:30 offset1:31
	s_cmp_lt_i32 s22, 17
	v_mov_b32_e32 v106, 15
	s_cbranch_scc1 .LBB46_317
; %bb.315:
	v_add_u32_e32 v107, 0x100, v1
	s_mov_b32 s7, 16
	v_mov_b32_e32 v106, 15
.LBB46_316:                             ; =>This Inner Loop Header: Depth=1
	s_waitcnt lgkmcnt(0)
	v_cmp_gt_f64_e32 vcc, 0, v[100:101]
	v_cmp_gt_f64_e64 s[0:1], 0, v[98:99]
	ds_read2_b64 v[112:115], v107 offset1:1
	v_xor_b32_e32 v117, 0x80000000, v99
	v_xor_b32_e32 v119, 0x80000000, v101
	v_mov_b32_e32 v116, v98
	v_mov_b32_e32 v118, v100
	s_waitcnt lgkmcnt(0)
	v_xor_b32_e32 v121, 0x80000000, v115
	v_cndmask_b32_e32 v119, v101, v119, vcc
	v_cndmask_b32_e64 v117, v99, v117, s[0:1]
	v_cmp_gt_f64_e32 vcc, 0, v[114:115]
	v_cmp_gt_f64_e64 s[0:1], 0, v[112:113]
	v_add_f64 v[116:117], v[116:117], v[118:119]
	v_xor_b32_e32 v119, 0x80000000, v113
	v_mov_b32_e32 v118, v112
	v_mov_b32_e32 v120, v114
	v_add_u32_e32 v107, 16, v107
	v_cndmask_b32_e32 v121, v115, v121, vcc
	v_cndmask_b32_e64 v119, v113, v119, s[0:1]
	v_add_f64 v[118:119], v[118:119], v[120:121]
	v_mov_b32_e32 v120, s7
	s_add_i32 s7, s7, 1
	s_cmp_lg_u32 s22, s7
	v_cmp_lt_f64_e32 vcc, v[116:117], v[118:119]
	v_cndmask_b32_e32 v99, v99, v113, vcc
	v_cndmask_b32_e32 v98, v98, v112, vcc
	;; [unrolled: 1-line block ×5, first 2 shown]
	s_cbranch_scc1 .LBB46_316
.LBB46_317:
	s_waitcnt lgkmcnt(0)
	v_cmp_eq_f64_e32 vcc, 0, v[98:99]
	v_cmp_eq_f64_e64 s[0:1], 0, v[100:101]
	s_and_b64 s[0:1], vcc, s[0:1]
	s_and_saveexec_b64 s[8:9], s[0:1]
	s_xor_b64 s[0:1], exec, s[8:9]
; %bb.318:
	v_cmp_ne_u32_e32 vcc, 0, v111
	v_cndmask_b32_e32 v111, 16, v111, vcc
; %bb.319:
	s_andn2_saveexec_b64 s[0:1], s[0:1]
	s_cbranch_execz .LBB46_325
; %bb.320:
	v_cmp_ngt_f64_e64 s[8:9], |v[98:99]|, |v[100:101]|
	s_and_saveexec_b64 s[20:21], s[8:9]
	s_xor_b64 s[8:9], exec, s[20:21]
	s_cbranch_execz .LBB46_322
; %bb.321:
	v_div_scale_f64 v[112:113], s[20:21], v[100:101], v[100:101], v[98:99]
	v_rcp_f64_e32 v[114:115], v[112:113]
	v_fma_f64 v[116:117], -v[112:113], v[114:115], 1.0
	v_fma_f64 v[114:115], v[114:115], v[116:117], v[114:115]
	v_div_scale_f64 v[116:117], vcc, v[98:99], v[100:101], v[98:99]
	v_fma_f64 v[118:119], -v[112:113], v[114:115], 1.0
	v_fma_f64 v[114:115], v[114:115], v[118:119], v[114:115]
	v_mul_f64 v[118:119], v[116:117], v[114:115]
	v_fma_f64 v[112:113], -v[112:113], v[118:119], v[116:117]
	v_div_fmas_f64 v[112:113], v[112:113], v[114:115], v[118:119]
	v_div_fixup_f64 v[112:113], v[112:113], v[100:101], v[98:99]
	v_fma_f64 v[98:99], v[98:99], v[112:113], v[100:101]
	v_div_scale_f64 v[100:101], s[20:21], v[98:99], v[98:99], 1.0
	v_div_scale_f64 v[118:119], vcc, 1.0, v[98:99], 1.0
	v_rcp_f64_e32 v[114:115], v[100:101]
	v_fma_f64 v[116:117], -v[100:101], v[114:115], 1.0
	v_fma_f64 v[114:115], v[114:115], v[116:117], v[114:115]
	v_fma_f64 v[116:117], -v[100:101], v[114:115], 1.0
	v_fma_f64 v[114:115], v[114:115], v[116:117], v[114:115]
	v_mul_f64 v[116:117], v[118:119], v[114:115]
	v_fma_f64 v[100:101], -v[100:101], v[116:117], v[118:119]
	v_div_fmas_f64 v[100:101], v[100:101], v[114:115], v[116:117]
	v_div_fixup_f64 v[100:101], v[100:101], v[98:99], 1.0
	v_mul_f64 v[98:99], v[112:113], v[100:101]
	v_xor_b32_e32 v101, 0x80000000, v101
.LBB46_322:
	s_andn2_saveexec_b64 s[8:9], s[8:9]
	s_cbranch_execz .LBB46_324
; %bb.323:
	v_div_scale_f64 v[112:113], s[20:21], v[98:99], v[98:99], v[100:101]
	v_rcp_f64_e32 v[114:115], v[112:113]
	v_fma_f64 v[116:117], -v[112:113], v[114:115], 1.0
	v_fma_f64 v[114:115], v[114:115], v[116:117], v[114:115]
	v_div_scale_f64 v[116:117], vcc, v[100:101], v[98:99], v[100:101]
	v_fma_f64 v[118:119], -v[112:113], v[114:115], 1.0
	v_fma_f64 v[114:115], v[114:115], v[118:119], v[114:115]
	v_mul_f64 v[118:119], v[116:117], v[114:115]
	v_fma_f64 v[112:113], -v[112:113], v[118:119], v[116:117]
	v_div_fmas_f64 v[112:113], v[112:113], v[114:115], v[118:119]
	v_div_fixup_f64 v[112:113], v[112:113], v[98:99], v[100:101]
	v_fma_f64 v[98:99], v[100:101], v[112:113], v[98:99]
	v_div_scale_f64 v[100:101], s[20:21], v[98:99], v[98:99], 1.0
	v_div_scale_f64 v[118:119], vcc, 1.0, v[98:99], 1.0
	v_rcp_f64_e32 v[114:115], v[100:101]
	v_fma_f64 v[116:117], -v[100:101], v[114:115], 1.0
	v_fma_f64 v[114:115], v[114:115], v[116:117], v[114:115]
	v_fma_f64 v[116:117], -v[100:101], v[114:115], 1.0
	v_fma_f64 v[114:115], v[114:115], v[116:117], v[114:115]
	v_mul_f64 v[116:117], v[118:119], v[114:115]
	v_fma_f64 v[100:101], -v[100:101], v[116:117], v[118:119]
	v_div_fmas_f64 v[100:101], v[100:101], v[114:115], v[116:117]
	v_div_fixup_f64 v[98:99], v[100:101], v[98:99], 1.0
	v_mul_f64 v[100:101], v[112:113], -v[98:99]
.LBB46_324:
	s_or_b64 exec, exec, s[8:9]
.LBB46_325:
	s_or_b64 exec, exec, s[0:1]
	v_cmp_ne_u32_e32 vcc, v108, v106
	s_and_saveexec_b64 s[0:1], vcc
	s_xor_b64 s[0:1], exec, s[0:1]
	s_cbranch_execz .LBB46_331
; %bb.326:
	v_cmp_eq_u32_e32 vcc, 15, v108
	s_and_saveexec_b64 s[8:9], vcc
	s_cbranch_execz .LBB46_330
; %bb.327:
	v_cmp_ne_u32_e32 vcc, 15, v106
	s_xor_b64 s[20:21], s[18:19], -1
	s_and_b64 s[24:25], s[20:21], vcc
	s_and_saveexec_b64 s[20:21], s[24:25]
	s_cbranch_execz .LBB46_329
; %bb.328:
	v_ashrrev_i32_e32 v107, 31, v106
	v_lshlrev_b64 v[107:108], 2, v[106:107]
	v_add_co_u32_e32 v107, vcc, v104, v107
	v_addc_co_u32_e32 v108, vcc, v105, v108, vcc
	global_load_dword v0, v[107:108], off
	global_load_dword v112, v[104:105], off offset:60
	s_waitcnt vmcnt(1)
	global_store_dword v[104:105], v0, off offset:60
	s_waitcnt vmcnt(1)
	global_store_dword v[107:108], v112, off
.LBB46_329:
	s_or_b64 exec, exec, s[20:21]
	v_mov_b32_e32 v108, v106
	v_mov_b32_e32 v0, v106
.LBB46_330:
	s_or_b64 exec, exec, s[8:9]
.LBB46_331:
	s_andn2_saveexec_b64 s[0:1], s[0:1]
	s_cbranch_execz .LBB46_333
; %bb.332:
	v_mov_b32_e32 v108, 15
	ds_write2_b64 v1, v[26:27], v[28:29] offset0:32 offset1:33
	ds_write2_b64 v1, v[22:23], v[24:25] offset0:34 offset1:35
	;; [unrolled: 1-line block ×8, first 2 shown]
.LBB46_333:
	s_or_b64 exec, exec, s[0:1]
	v_cmp_lt_i32_e32 vcc, 15, v108
	s_waitcnt vmcnt(0) lgkmcnt(0)
	s_barrier
	s_and_saveexec_b64 s[0:1], vcc
	s_cbranch_execz .LBB46_335
; %bb.334:
	v_mul_f64 v[106:107], v[98:99], v[32:33]
	v_mul_f64 v[32:33], v[100:101], v[32:33]
	v_fma_f64 v[106:107], v[100:101], v[30:31], v[106:107]
	v_fma_f64 v[30:31], v[98:99], v[30:31], -v[32:33]
	ds_read2_b64 v[98:101], v1 offset0:32 offset1:33
	s_waitcnt lgkmcnt(0)
	v_mul_f64 v[32:33], v[100:101], v[106:107]
	v_fma_f64 v[32:33], v[98:99], v[30:31], -v[32:33]
	v_mul_f64 v[98:99], v[98:99], v[106:107]
	v_add_f64 v[26:27], v[26:27], -v[32:33]
	v_fma_f64 v[98:99], v[100:101], v[30:31], v[98:99]
	v_add_f64 v[28:29], v[28:29], -v[98:99]
	ds_read2_b64 v[98:101], v1 offset0:34 offset1:35
	s_waitcnt lgkmcnt(0)
	v_mul_f64 v[32:33], v[100:101], v[106:107]
	v_fma_f64 v[32:33], v[98:99], v[30:31], -v[32:33]
	v_mul_f64 v[98:99], v[98:99], v[106:107]
	v_add_f64 v[22:23], v[22:23], -v[32:33]
	v_fma_f64 v[98:99], v[100:101], v[30:31], v[98:99]
	v_add_f64 v[24:25], v[24:25], -v[98:99]
	;; [unrolled: 8-line block ×7, first 2 shown]
	ds_read2_b64 v[98:101], v1 offset0:46 offset1:47
	s_waitcnt lgkmcnt(0)
	v_mul_f64 v[32:33], v[100:101], v[106:107]
	v_fma_f64 v[32:33], v[98:99], v[30:31], -v[32:33]
	v_mul_f64 v[98:99], v[98:99], v[106:107]
	v_add_f64 v[94:95], v[94:95], -v[32:33]
	v_fma_f64 v[98:99], v[100:101], v[30:31], v[98:99]
	v_mov_b32_e32 v32, v106
	v_mov_b32_e32 v33, v107
	v_add_f64 v[96:97], v[96:97], -v[98:99]
.LBB46_335:
	s_or_b64 exec, exec, s[0:1]
	v_lshl_add_u32 v98, v108, 4, v1
	s_barrier
	ds_write2_b64 v98, v[26:27], v[28:29] offset1:1
	s_waitcnt lgkmcnt(0)
	s_barrier
	ds_read2_b64 v[98:101], v1 offset0:32 offset1:33
	s_cmp_lt_i32 s22, 18
	v_mov_b32_e32 v106, 16
	s_cbranch_scc1 .LBB46_338
; %bb.336:
	v_add_u32_e32 v107, 0x110, v1
	s_mov_b32 s7, 17
	v_mov_b32_e32 v106, 16
.LBB46_337:                             ; =>This Inner Loop Header: Depth=1
	s_waitcnt lgkmcnt(0)
	v_cmp_gt_f64_e32 vcc, 0, v[100:101]
	v_cmp_gt_f64_e64 s[0:1], 0, v[98:99]
	ds_read2_b64 v[112:115], v107 offset1:1
	v_xor_b32_e32 v117, 0x80000000, v99
	v_xor_b32_e32 v119, 0x80000000, v101
	v_mov_b32_e32 v116, v98
	v_mov_b32_e32 v118, v100
	s_waitcnt lgkmcnt(0)
	v_xor_b32_e32 v121, 0x80000000, v115
	v_cndmask_b32_e32 v119, v101, v119, vcc
	v_cndmask_b32_e64 v117, v99, v117, s[0:1]
	v_cmp_gt_f64_e32 vcc, 0, v[114:115]
	v_cmp_gt_f64_e64 s[0:1], 0, v[112:113]
	v_add_f64 v[116:117], v[116:117], v[118:119]
	v_xor_b32_e32 v119, 0x80000000, v113
	v_mov_b32_e32 v118, v112
	v_mov_b32_e32 v120, v114
	v_add_u32_e32 v107, 16, v107
	v_cndmask_b32_e32 v121, v115, v121, vcc
	v_cndmask_b32_e64 v119, v113, v119, s[0:1]
	v_add_f64 v[118:119], v[118:119], v[120:121]
	v_mov_b32_e32 v120, s7
	s_add_i32 s7, s7, 1
	s_cmp_lg_u32 s22, s7
	v_cmp_lt_f64_e32 vcc, v[116:117], v[118:119]
	v_cndmask_b32_e32 v99, v99, v113, vcc
	v_cndmask_b32_e32 v98, v98, v112, vcc
	;; [unrolled: 1-line block ×5, first 2 shown]
	s_cbranch_scc1 .LBB46_337
.LBB46_338:
	s_waitcnt lgkmcnt(0)
	v_cmp_eq_f64_e32 vcc, 0, v[98:99]
	v_cmp_eq_f64_e64 s[0:1], 0, v[100:101]
	s_and_b64 s[0:1], vcc, s[0:1]
	s_and_saveexec_b64 s[8:9], s[0:1]
	s_xor_b64 s[0:1], exec, s[8:9]
; %bb.339:
	v_cmp_ne_u32_e32 vcc, 0, v111
	v_cndmask_b32_e32 v111, 17, v111, vcc
; %bb.340:
	s_andn2_saveexec_b64 s[0:1], s[0:1]
	s_cbranch_execz .LBB46_346
; %bb.341:
	v_cmp_ngt_f64_e64 s[8:9], |v[98:99]|, |v[100:101]|
	s_and_saveexec_b64 s[20:21], s[8:9]
	s_xor_b64 s[8:9], exec, s[20:21]
	s_cbranch_execz .LBB46_343
; %bb.342:
	v_div_scale_f64 v[112:113], s[20:21], v[100:101], v[100:101], v[98:99]
	v_rcp_f64_e32 v[114:115], v[112:113]
	v_fma_f64 v[116:117], -v[112:113], v[114:115], 1.0
	v_fma_f64 v[114:115], v[114:115], v[116:117], v[114:115]
	v_div_scale_f64 v[116:117], vcc, v[98:99], v[100:101], v[98:99]
	v_fma_f64 v[118:119], -v[112:113], v[114:115], 1.0
	v_fma_f64 v[114:115], v[114:115], v[118:119], v[114:115]
	v_mul_f64 v[118:119], v[116:117], v[114:115]
	v_fma_f64 v[112:113], -v[112:113], v[118:119], v[116:117]
	v_div_fmas_f64 v[112:113], v[112:113], v[114:115], v[118:119]
	v_div_fixup_f64 v[112:113], v[112:113], v[100:101], v[98:99]
	v_fma_f64 v[98:99], v[98:99], v[112:113], v[100:101]
	v_div_scale_f64 v[100:101], s[20:21], v[98:99], v[98:99], 1.0
	v_div_scale_f64 v[118:119], vcc, 1.0, v[98:99], 1.0
	v_rcp_f64_e32 v[114:115], v[100:101]
	v_fma_f64 v[116:117], -v[100:101], v[114:115], 1.0
	v_fma_f64 v[114:115], v[114:115], v[116:117], v[114:115]
	v_fma_f64 v[116:117], -v[100:101], v[114:115], 1.0
	v_fma_f64 v[114:115], v[114:115], v[116:117], v[114:115]
	v_mul_f64 v[116:117], v[118:119], v[114:115]
	v_fma_f64 v[100:101], -v[100:101], v[116:117], v[118:119]
	v_div_fmas_f64 v[100:101], v[100:101], v[114:115], v[116:117]
	v_div_fixup_f64 v[100:101], v[100:101], v[98:99], 1.0
	v_mul_f64 v[98:99], v[112:113], v[100:101]
	v_xor_b32_e32 v101, 0x80000000, v101
.LBB46_343:
	s_andn2_saveexec_b64 s[8:9], s[8:9]
	s_cbranch_execz .LBB46_345
; %bb.344:
	v_div_scale_f64 v[112:113], s[20:21], v[98:99], v[98:99], v[100:101]
	v_rcp_f64_e32 v[114:115], v[112:113]
	v_fma_f64 v[116:117], -v[112:113], v[114:115], 1.0
	v_fma_f64 v[114:115], v[114:115], v[116:117], v[114:115]
	v_div_scale_f64 v[116:117], vcc, v[100:101], v[98:99], v[100:101]
	v_fma_f64 v[118:119], -v[112:113], v[114:115], 1.0
	v_fma_f64 v[114:115], v[114:115], v[118:119], v[114:115]
	v_mul_f64 v[118:119], v[116:117], v[114:115]
	v_fma_f64 v[112:113], -v[112:113], v[118:119], v[116:117]
	v_div_fmas_f64 v[112:113], v[112:113], v[114:115], v[118:119]
	v_div_fixup_f64 v[112:113], v[112:113], v[98:99], v[100:101]
	v_fma_f64 v[98:99], v[100:101], v[112:113], v[98:99]
	v_div_scale_f64 v[100:101], s[20:21], v[98:99], v[98:99], 1.0
	v_div_scale_f64 v[118:119], vcc, 1.0, v[98:99], 1.0
	v_rcp_f64_e32 v[114:115], v[100:101]
	v_fma_f64 v[116:117], -v[100:101], v[114:115], 1.0
	v_fma_f64 v[114:115], v[114:115], v[116:117], v[114:115]
	v_fma_f64 v[116:117], -v[100:101], v[114:115], 1.0
	v_fma_f64 v[114:115], v[114:115], v[116:117], v[114:115]
	v_mul_f64 v[116:117], v[118:119], v[114:115]
	v_fma_f64 v[100:101], -v[100:101], v[116:117], v[118:119]
	v_div_fmas_f64 v[100:101], v[100:101], v[114:115], v[116:117]
	v_div_fixup_f64 v[98:99], v[100:101], v[98:99], 1.0
	v_mul_f64 v[100:101], v[112:113], -v[98:99]
.LBB46_345:
	s_or_b64 exec, exec, s[8:9]
.LBB46_346:
	s_or_b64 exec, exec, s[0:1]
	v_cmp_ne_u32_e32 vcc, v108, v106
	s_and_saveexec_b64 s[0:1], vcc
	s_xor_b64 s[0:1], exec, s[0:1]
	s_cbranch_execz .LBB46_352
; %bb.347:
	v_cmp_eq_u32_e32 vcc, 16, v108
	s_and_saveexec_b64 s[8:9], vcc
	s_cbranch_execz .LBB46_351
; %bb.348:
	v_cmp_ne_u32_e32 vcc, 16, v106
	s_xor_b64 s[20:21], s[18:19], -1
	s_and_b64 s[24:25], s[20:21], vcc
	s_and_saveexec_b64 s[20:21], s[24:25]
	s_cbranch_execz .LBB46_350
; %bb.349:
	v_ashrrev_i32_e32 v107, 31, v106
	v_lshlrev_b64 v[107:108], 2, v[106:107]
	v_add_co_u32_e32 v107, vcc, v104, v107
	v_addc_co_u32_e32 v108, vcc, v105, v108, vcc
	global_load_dword v0, v[107:108], off
	global_load_dword v112, v[104:105], off offset:64
	s_waitcnt vmcnt(1)
	global_store_dword v[104:105], v0, off offset:64
	s_waitcnt vmcnt(1)
	global_store_dword v[107:108], v112, off
.LBB46_350:
	s_or_b64 exec, exec, s[20:21]
	v_mov_b32_e32 v108, v106
	v_mov_b32_e32 v0, v106
.LBB46_351:
	s_or_b64 exec, exec, s[8:9]
.LBB46_352:
	s_andn2_saveexec_b64 s[0:1], s[0:1]
	s_cbranch_execz .LBB46_354
; %bb.353:
	v_mov_b32_e32 v108, 16
	ds_write2_b64 v1, v[22:23], v[24:25] offset0:34 offset1:35
	ds_write2_b64 v1, v[18:19], v[20:21] offset0:36 offset1:37
	ds_write2_b64 v1, v[14:15], v[16:17] offset0:38 offset1:39
	ds_write2_b64 v1, v[10:11], v[12:13] offset0:40 offset1:41
	ds_write2_b64 v1, v[6:7], v[8:9] offset0:42 offset1:43
	ds_write2_b64 v1, v[2:3], v[4:5] offset0:44 offset1:45
	ds_write2_b64 v1, v[94:95], v[96:97] offset0:46 offset1:47
.LBB46_354:
	s_or_b64 exec, exec, s[0:1]
	v_cmp_lt_i32_e32 vcc, 16, v108
	s_waitcnt vmcnt(0) lgkmcnt(0)
	s_barrier
	s_and_saveexec_b64 s[0:1], vcc
	s_cbranch_execz .LBB46_356
; %bb.355:
	v_mul_f64 v[106:107], v[98:99], v[28:29]
	v_mul_f64 v[28:29], v[100:101], v[28:29]
	v_fma_f64 v[106:107], v[100:101], v[26:27], v[106:107]
	v_fma_f64 v[26:27], v[98:99], v[26:27], -v[28:29]
	ds_read2_b64 v[98:101], v1 offset0:34 offset1:35
	s_waitcnt lgkmcnt(0)
	v_mul_f64 v[28:29], v[100:101], v[106:107]
	v_fma_f64 v[28:29], v[98:99], v[26:27], -v[28:29]
	v_mul_f64 v[98:99], v[98:99], v[106:107]
	v_add_f64 v[22:23], v[22:23], -v[28:29]
	v_fma_f64 v[98:99], v[100:101], v[26:27], v[98:99]
	v_add_f64 v[24:25], v[24:25], -v[98:99]
	ds_read2_b64 v[98:101], v1 offset0:36 offset1:37
	s_waitcnt lgkmcnt(0)
	v_mul_f64 v[28:29], v[100:101], v[106:107]
	v_fma_f64 v[28:29], v[98:99], v[26:27], -v[28:29]
	v_mul_f64 v[98:99], v[98:99], v[106:107]
	v_add_f64 v[18:19], v[18:19], -v[28:29]
	v_fma_f64 v[98:99], v[100:101], v[26:27], v[98:99]
	v_add_f64 v[20:21], v[20:21], -v[98:99]
	;; [unrolled: 8-line block ×6, first 2 shown]
	ds_read2_b64 v[98:101], v1 offset0:46 offset1:47
	s_waitcnt lgkmcnt(0)
	v_mul_f64 v[28:29], v[100:101], v[106:107]
	v_fma_f64 v[28:29], v[98:99], v[26:27], -v[28:29]
	v_mul_f64 v[98:99], v[98:99], v[106:107]
	v_add_f64 v[94:95], v[94:95], -v[28:29]
	v_fma_f64 v[98:99], v[100:101], v[26:27], v[98:99]
	v_mov_b32_e32 v28, v106
	v_mov_b32_e32 v29, v107
	v_add_f64 v[96:97], v[96:97], -v[98:99]
.LBB46_356:
	s_or_b64 exec, exec, s[0:1]
	v_lshl_add_u32 v98, v108, 4, v1
	s_barrier
	ds_write2_b64 v98, v[22:23], v[24:25] offset1:1
	s_waitcnt lgkmcnt(0)
	s_barrier
	ds_read2_b64 v[98:101], v1 offset0:34 offset1:35
	s_cmp_lt_i32 s22, 19
	v_mov_b32_e32 v106, 17
	s_cbranch_scc1 .LBB46_359
; %bb.357:
	v_add_u32_e32 v107, 0x120, v1
	s_mov_b32 s7, 18
	v_mov_b32_e32 v106, 17
.LBB46_358:                             ; =>This Inner Loop Header: Depth=1
	s_waitcnt lgkmcnt(0)
	v_cmp_gt_f64_e32 vcc, 0, v[100:101]
	v_cmp_gt_f64_e64 s[0:1], 0, v[98:99]
	ds_read2_b64 v[112:115], v107 offset1:1
	v_xor_b32_e32 v117, 0x80000000, v99
	v_xor_b32_e32 v119, 0x80000000, v101
	v_mov_b32_e32 v116, v98
	v_mov_b32_e32 v118, v100
	s_waitcnt lgkmcnt(0)
	v_xor_b32_e32 v121, 0x80000000, v115
	v_cndmask_b32_e32 v119, v101, v119, vcc
	v_cndmask_b32_e64 v117, v99, v117, s[0:1]
	v_cmp_gt_f64_e32 vcc, 0, v[114:115]
	v_cmp_gt_f64_e64 s[0:1], 0, v[112:113]
	v_add_f64 v[116:117], v[116:117], v[118:119]
	v_xor_b32_e32 v119, 0x80000000, v113
	v_mov_b32_e32 v118, v112
	v_mov_b32_e32 v120, v114
	v_add_u32_e32 v107, 16, v107
	v_cndmask_b32_e32 v121, v115, v121, vcc
	v_cndmask_b32_e64 v119, v113, v119, s[0:1]
	v_add_f64 v[118:119], v[118:119], v[120:121]
	v_mov_b32_e32 v120, s7
	s_add_i32 s7, s7, 1
	s_cmp_lg_u32 s22, s7
	v_cmp_lt_f64_e32 vcc, v[116:117], v[118:119]
	v_cndmask_b32_e32 v99, v99, v113, vcc
	v_cndmask_b32_e32 v98, v98, v112, vcc
	v_cndmask_b32_e32 v101, v101, v115, vcc
	v_cndmask_b32_e32 v100, v100, v114, vcc
	v_cndmask_b32_e32 v106, v106, v120, vcc
	s_cbranch_scc1 .LBB46_358
.LBB46_359:
	s_waitcnt lgkmcnt(0)
	v_cmp_eq_f64_e32 vcc, 0, v[98:99]
	v_cmp_eq_f64_e64 s[0:1], 0, v[100:101]
	s_and_b64 s[0:1], vcc, s[0:1]
	s_and_saveexec_b64 s[8:9], s[0:1]
	s_xor_b64 s[0:1], exec, s[8:9]
; %bb.360:
	v_cmp_ne_u32_e32 vcc, 0, v111
	v_cndmask_b32_e32 v111, 18, v111, vcc
; %bb.361:
	s_andn2_saveexec_b64 s[0:1], s[0:1]
	s_cbranch_execz .LBB46_367
; %bb.362:
	v_cmp_ngt_f64_e64 s[8:9], |v[98:99]|, |v[100:101]|
	s_and_saveexec_b64 s[20:21], s[8:9]
	s_xor_b64 s[8:9], exec, s[20:21]
	s_cbranch_execz .LBB46_364
; %bb.363:
	v_div_scale_f64 v[112:113], s[20:21], v[100:101], v[100:101], v[98:99]
	v_rcp_f64_e32 v[114:115], v[112:113]
	v_fma_f64 v[116:117], -v[112:113], v[114:115], 1.0
	v_fma_f64 v[114:115], v[114:115], v[116:117], v[114:115]
	v_div_scale_f64 v[116:117], vcc, v[98:99], v[100:101], v[98:99]
	v_fma_f64 v[118:119], -v[112:113], v[114:115], 1.0
	v_fma_f64 v[114:115], v[114:115], v[118:119], v[114:115]
	v_mul_f64 v[118:119], v[116:117], v[114:115]
	v_fma_f64 v[112:113], -v[112:113], v[118:119], v[116:117]
	v_div_fmas_f64 v[112:113], v[112:113], v[114:115], v[118:119]
	v_div_fixup_f64 v[112:113], v[112:113], v[100:101], v[98:99]
	v_fma_f64 v[98:99], v[98:99], v[112:113], v[100:101]
	v_div_scale_f64 v[100:101], s[20:21], v[98:99], v[98:99], 1.0
	v_div_scale_f64 v[118:119], vcc, 1.0, v[98:99], 1.0
	v_rcp_f64_e32 v[114:115], v[100:101]
	v_fma_f64 v[116:117], -v[100:101], v[114:115], 1.0
	v_fma_f64 v[114:115], v[114:115], v[116:117], v[114:115]
	v_fma_f64 v[116:117], -v[100:101], v[114:115], 1.0
	v_fma_f64 v[114:115], v[114:115], v[116:117], v[114:115]
	v_mul_f64 v[116:117], v[118:119], v[114:115]
	v_fma_f64 v[100:101], -v[100:101], v[116:117], v[118:119]
	v_div_fmas_f64 v[100:101], v[100:101], v[114:115], v[116:117]
	v_div_fixup_f64 v[100:101], v[100:101], v[98:99], 1.0
	v_mul_f64 v[98:99], v[112:113], v[100:101]
	v_xor_b32_e32 v101, 0x80000000, v101
.LBB46_364:
	s_andn2_saveexec_b64 s[8:9], s[8:9]
	s_cbranch_execz .LBB46_366
; %bb.365:
	v_div_scale_f64 v[112:113], s[20:21], v[98:99], v[98:99], v[100:101]
	v_rcp_f64_e32 v[114:115], v[112:113]
	v_fma_f64 v[116:117], -v[112:113], v[114:115], 1.0
	v_fma_f64 v[114:115], v[114:115], v[116:117], v[114:115]
	v_div_scale_f64 v[116:117], vcc, v[100:101], v[98:99], v[100:101]
	v_fma_f64 v[118:119], -v[112:113], v[114:115], 1.0
	v_fma_f64 v[114:115], v[114:115], v[118:119], v[114:115]
	v_mul_f64 v[118:119], v[116:117], v[114:115]
	v_fma_f64 v[112:113], -v[112:113], v[118:119], v[116:117]
	v_div_fmas_f64 v[112:113], v[112:113], v[114:115], v[118:119]
	v_div_fixup_f64 v[112:113], v[112:113], v[98:99], v[100:101]
	v_fma_f64 v[98:99], v[100:101], v[112:113], v[98:99]
	v_div_scale_f64 v[100:101], s[20:21], v[98:99], v[98:99], 1.0
	v_div_scale_f64 v[118:119], vcc, 1.0, v[98:99], 1.0
	v_rcp_f64_e32 v[114:115], v[100:101]
	v_fma_f64 v[116:117], -v[100:101], v[114:115], 1.0
	v_fma_f64 v[114:115], v[114:115], v[116:117], v[114:115]
	v_fma_f64 v[116:117], -v[100:101], v[114:115], 1.0
	v_fma_f64 v[114:115], v[114:115], v[116:117], v[114:115]
	v_mul_f64 v[116:117], v[118:119], v[114:115]
	v_fma_f64 v[100:101], -v[100:101], v[116:117], v[118:119]
	v_div_fmas_f64 v[100:101], v[100:101], v[114:115], v[116:117]
	v_div_fixup_f64 v[98:99], v[100:101], v[98:99], 1.0
	v_mul_f64 v[100:101], v[112:113], -v[98:99]
.LBB46_366:
	s_or_b64 exec, exec, s[8:9]
.LBB46_367:
	s_or_b64 exec, exec, s[0:1]
	v_cmp_ne_u32_e32 vcc, v108, v106
	s_and_saveexec_b64 s[0:1], vcc
	s_xor_b64 s[0:1], exec, s[0:1]
	s_cbranch_execz .LBB46_373
; %bb.368:
	v_cmp_eq_u32_e32 vcc, 17, v108
	s_and_saveexec_b64 s[8:9], vcc
	s_cbranch_execz .LBB46_372
; %bb.369:
	v_cmp_ne_u32_e32 vcc, 17, v106
	s_xor_b64 s[20:21], s[18:19], -1
	s_and_b64 s[24:25], s[20:21], vcc
	s_and_saveexec_b64 s[20:21], s[24:25]
	s_cbranch_execz .LBB46_371
; %bb.370:
	v_ashrrev_i32_e32 v107, 31, v106
	v_lshlrev_b64 v[107:108], 2, v[106:107]
	v_add_co_u32_e32 v107, vcc, v104, v107
	v_addc_co_u32_e32 v108, vcc, v105, v108, vcc
	global_load_dword v0, v[107:108], off
	global_load_dword v112, v[104:105], off offset:68
	s_waitcnt vmcnt(1)
	global_store_dword v[104:105], v0, off offset:68
	s_waitcnt vmcnt(1)
	global_store_dword v[107:108], v112, off
.LBB46_371:
	s_or_b64 exec, exec, s[20:21]
	v_mov_b32_e32 v108, v106
	v_mov_b32_e32 v0, v106
.LBB46_372:
	s_or_b64 exec, exec, s[8:9]
.LBB46_373:
	s_andn2_saveexec_b64 s[0:1], s[0:1]
	s_cbranch_execz .LBB46_375
; %bb.374:
	v_mov_b32_e32 v108, 17
	ds_write2_b64 v1, v[18:19], v[20:21] offset0:36 offset1:37
	ds_write2_b64 v1, v[14:15], v[16:17] offset0:38 offset1:39
	;; [unrolled: 1-line block ×6, first 2 shown]
.LBB46_375:
	s_or_b64 exec, exec, s[0:1]
	v_cmp_lt_i32_e32 vcc, 17, v108
	s_waitcnt vmcnt(0) lgkmcnt(0)
	s_barrier
	s_and_saveexec_b64 s[0:1], vcc
	s_cbranch_execz .LBB46_377
; %bb.376:
	v_mul_f64 v[106:107], v[98:99], v[24:25]
	v_mul_f64 v[24:25], v[100:101], v[24:25]
	v_fma_f64 v[106:107], v[100:101], v[22:23], v[106:107]
	v_fma_f64 v[22:23], v[98:99], v[22:23], -v[24:25]
	ds_read2_b64 v[98:101], v1 offset0:36 offset1:37
	s_waitcnt lgkmcnt(0)
	v_mul_f64 v[24:25], v[100:101], v[106:107]
	v_fma_f64 v[24:25], v[98:99], v[22:23], -v[24:25]
	v_mul_f64 v[98:99], v[98:99], v[106:107]
	v_add_f64 v[18:19], v[18:19], -v[24:25]
	v_fma_f64 v[98:99], v[100:101], v[22:23], v[98:99]
	v_add_f64 v[20:21], v[20:21], -v[98:99]
	ds_read2_b64 v[98:101], v1 offset0:38 offset1:39
	s_waitcnt lgkmcnt(0)
	v_mul_f64 v[24:25], v[100:101], v[106:107]
	v_fma_f64 v[24:25], v[98:99], v[22:23], -v[24:25]
	v_mul_f64 v[98:99], v[98:99], v[106:107]
	v_add_f64 v[14:15], v[14:15], -v[24:25]
	v_fma_f64 v[98:99], v[100:101], v[22:23], v[98:99]
	v_add_f64 v[16:17], v[16:17], -v[98:99]
	;; [unrolled: 8-line block ×5, first 2 shown]
	ds_read2_b64 v[98:101], v1 offset0:46 offset1:47
	s_waitcnt lgkmcnt(0)
	v_mul_f64 v[24:25], v[100:101], v[106:107]
	v_fma_f64 v[24:25], v[98:99], v[22:23], -v[24:25]
	v_mul_f64 v[98:99], v[98:99], v[106:107]
	v_add_f64 v[94:95], v[94:95], -v[24:25]
	v_fma_f64 v[98:99], v[100:101], v[22:23], v[98:99]
	v_mov_b32_e32 v24, v106
	v_mov_b32_e32 v25, v107
	v_add_f64 v[96:97], v[96:97], -v[98:99]
.LBB46_377:
	s_or_b64 exec, exec, s[0:1]
	v_lshl_add_u32 v98, v108, 4, v1
	s_barrier
	ds_write2_b64 v98, v[18:19], v[20:21] offset1:1
	s_waitcnt lgkmcnt(0)
	s_barrier
	ds_read2_b64 v[98:101], v1 offset0:36 offset1:37
	s_cmp_lt_i32 s22, 20
	v_mov_b32_e32 v106, 18
	s_cbranch_scc1 .LBB46_380
; %bb.378:
	v_add_u32_e32 v107, 0x130, v1
	s_mov_b32 s7, 19
	v_mov_b32_e32 v106, 18
.LBB46_379:                             ; =>This Inner Loop Header: Depth=1
	s_waitcnt lgkmcnt(0)
	v_cmp_gt_f64_e32 vcc, 0, v[100:101]
	v_cmp_gt_f64_e64 s[0:1], 0, v[98:99]
	ds_read2_b64 v[112:115], v107 offset1:1
	v_xor_b32_e32 v117, 0x80000000, v99
	v_xor_b32_e32 v119, 0x80000000, v101
	v_mov_b32_e32 v116, v98
	v_mov_b32_e32 v118, v100
	s_waitcnt lgkmcnt(0)
	v_xor_b32_e32 v121, 0x80000000, v115
	v_cndmask_b32_e32 v119, v101, v119, vcc
	v_cndmask_b32_e64 v117, v99, v117, s[0:1]
	v_cmp_gt_f64_e32 vcc, 0, v[114:115]
	v_cmp_gt_f64_e64 s[0:1], 0, v[112:113]
	v_add_f64 v[116:117], v[116:117], v[118:119]
	v_xor_b32_e32 v119, 0x80000000, v113
	v_mov_b32_e32 v118, v112
	v_mov_b32_e32 v120, v114
	v_add_u32_e32 v107, 16, v107
	v_cndmask_b32_e32 v121, v115, v121, vcc
	v_cndmask_b32_e64 v119, v113, v119, s[0:1]
	v_add_f64 v[118:119], v[118:119], v[120:121]
	v_mov_b32_e32 v120, s7
	s_add_i32 s7, s7, 1
	s_cmp_lg_u32 s22, s7
	v_cmp_lt_f64_e32 vcc, v[116:117], v[118:119]
	v_cndmask_b32_e32 v99, v99, v113, vcc
	v_cndmask_b32_e32 v98, v98, v112, vcc
	;; [unrolled: 1-line block ×5, first 2 shown]
	s_cbranch_scc1 .LBB46_379
.LBB46_380:
	s_waitcnt lgkmcnt(0)
	v_cmp_eq_f64_e32 vcc, 0, v[98:99]
	v_cmp_eq_f64_e64 s[0:1], 0, v[100:101]
	s_and_b64 s[0:1], vcc, s[0:1]
	s_and_saveexec_b64 s[8:9], s[0:1]
	s_xor_b64 s[0:1], exec, s[8:9]
; %bb.381:
	v_cmp_ne_u32_e32 vcc, 0, v111
	v_cndmask_b32_e32 v111, 19, v111, vcc
; %bb.382:
	s_andn2_saveexec_b64 s[0:1], s[0:1]
	s_cbranch_execz .LBB46_388
; %bb.383:
	v_cmp_ngt_f64_e64 s[8:9], |v[98:99]|, |v[100:101]|
	s_and_saveexec_b64 s[20:21], s[8:9]
	s_xor_b64 s[8:9], exec, s[20:21]
	s_cbranch_execz .LBB46_385
; %bb.384:
	v_div_scale_f64 v[112:113], s[20:21], v[100:101], v[100:101], v[98:99]
	v_rcp_f64_e32 v[114:115], v[112:113]
	v_fma_f64 v[116:117], -v[112:113], v[114:115], 1.0
	v_fma_f64 v[114:115], v[114:115], v[116:117], v[114:115]
	v_div_scale_f64 v[116:117], vcc, v[98:99], v[100:101], v[98:99]
	v_fma_f64 v[118:119], -v[112:113], v[114:115], 1.0
	v_fma_f64 v[114:115], v[114:115], v[118:119], v[114:115]
	v_mul_f64 v[118:119], v[116:117], v[114:115]
	v_fma_f64 v[112:113], -v[112:113], v[118:119], v[116:117]
	v_div_fmas_f64 v[112:113], v[112:113], v[114:115], v[118:119]
	v_div_fixup_f64 v[112:113], v[112:113], v[100:101], v[98:99]
	v_fma_f64 v[98:99], v[98:99], v[112:113], v[100:101]
	v_div_scale_f64 v[100:101], s[20:21], v[98:99], v[98:99], 1.0
	v_div_scale_f64 v[118:119], vcc, 1.0, v[98:99], 1.0
	v_rcp_f64_e32 v[114:115], v[100:101]
	v_fma_f64 v[116:117], -v[100:101], v[114:115], 1.0
	v_fma_f64 v[114:115], v[114:115], v[116:117], v[114:115]
	v_fma_f64 v[116:117], -v[100:101], v[114:115], 1.0
	v_fma_f64 v[114:115], v[114:115], v[116:117], v[114:115]
	v_mul_f64 v[116:117], v[118:119], v[114:115]
	v_fma_f64 v[100:101], -v[100:101], v[116:117], v[118:119]
	v_div_fmas_f64 v[100:101], v[100:101], v[114:115], v[116:117]
	v_div_fixup_f64 v[100:101], v[100:101], v[98:99], 1.0
	v_mul_f64 v[98:99], v[112:113], v[100:101]
	v_xor_b32_e32 v101, 0x80000000, v101
.LBB46_385:
	s_andn2_saveexec_b64 s[8:9], s[8:9]
	s_cbranch_execz .LBB46_387
; %bb.386:
	v_div_scale_f64 v[112:113], s[20:21], v[98:99], v[98:99], v[100:101]
	v_rcp_f64_e32 v[114:115], v[112:113]
	v_fma_f64 v[116:117], -v[112:113], v[114:115], 1.0
	v_fma_f64 v[114:115], v[114:115], v[116:117], v[114:115]
	v_div_scale_f64 v[116:117], vcc, v[100:101], v[98:99], v[100:101]
	v_fma_f64 v[118:119], -v[112:113], v[114:115], 1.0
	v_fma_f64 v[114:115], v[114:115], v[118:119], v[114:115]
	v_mul_f64 v[118:119], v[116:117], v[114:115]
	v_fma_f64 v[112:113], -v[112:113], v[118:119], v[116:117]
	v_div_fmas_f64 v[112:113], v[112:113], v[114:115], v[118:119]
	v_div_fixup_f64 v[112:113], v[112:113], v[98:99], v[100:101]
	v_fma_f64 v[98:99], v[100:101], v[112:113], v[98:99]
	v_div_scale_f64 v[100:101], s[20:21], v[98:99], v[98:99], 1.0
	v_div_scale_f64 v[118:119], vcc, 1.0, v[98:99], 1.0
	v_rcp_f64_e32 v[114:115], v[100:101]
	v_fma_f64 v[116:117], -v[100:101], v[114:115], 1.0
	v_fma_f64 v[114:115], v[114:115], v[116:117], v[114:115]
	v_fma_f64 v[116:117], -v[100:101], v[114:115], 1.0
	v_fma_f64 v[114:115], v[114:115], v[116:117], v[114:115]
	v_mul_f64 v[116:117], v[118:119], v[114:115]
	v_fma_f64 v[100:101], -v[100:101], v[116:117], v[118:119]
	v_div_fmas_f64 v[100:101], v[100:101], v[114:115], v[116:117]
	v_div_fixup_f64 v[98:99], v[100:101], v[98:99], 1.0
	v_mul_f64 v[100:101], v[112:113], -v[98:99]
.LBB46_387:
	s_or_b64 exec, exec, s[8:9]
.LBB46_388:
	s_or_b64 exec, exec, s[0:1]
	v_cmp_ne_u32_e32 vcc, v108, v106
	s_and_saveexec_b64 s[0:1], vcc
	s_xor_b64 s[0:1], exec, s[0:1]
	s_cbranch_execz .LBB46_394
; %bb.389:
	v_cmp_eq_u32_e32 vcc, 18, v108
	s_and_saveexec_b64 s[8:9], vcc
	s_cbranch_execz .LBB46_393
; %bb.390:
	v_cmp_ne_u32_e32 vcc, 18, v106
	s_xor_b64 s[20:21], s[18:19], -1
	s_and_b64 s[24:25], s[20:21], vcc
	s_and_saveexec_b64 s[20:21], s[24:25]
	s_cbranch_execz .LBB46_392
; %bb.391:
	v_ashrrev_i32_e32 v107, 31, v106
	v_lshlrev_b64 v[107:108], 2, v[106:107]
	v_add_co_u32_e32 v107, vcc, v104, v107
	v_addc_co_u32_e32 v108, vcc, v105, v108, vcc
	global_load_dword v0, v[107:108], off
	global_load_dword v112, v[104:105], off offset:72
	s_waitcnt vmcnt(1)
	global_store_dword v[104:105], v0, off offset:72
	s_waitcnt vmcnt(1)
	global_store_dword v[107:108], v112, off
.LBB46_392:
	s_or_b64 exec, exec, s[20:21]
	v_mov_b32_e32 v108, v106
	v_mov_b32_e32 v0, v106
.LBB46_393:
	s_or_b64 exec, exec, s[8:9]
.LBB46_394:
	s_andn2_saveexec_b64 s[0:1], s[0:1]
	s_cbranch_execz .LBB46_396
; %bb.395:
	v_mov_b32_e32 v108, 18
	ds_write2_b64 v1, v[14:15], v[16:17] offset0:38 offset1:39
	ds_write2_b64 v1, v[10:11], v[12:13] offset0:40 offset1:41
	;; [unrolled: 1-line block ×5, first 2 shown]
.LBB46_396:
	s_or_b64 exec, exec, s[0:1]
	v_cmp_lt_i32_e32 vcc, 18, v108
	s_waitcnt vmcnt(0) lgkmcnt(0)
	s_barrier
	s_and_saveexec_b64 s[0:1], vcc
	s_cbranch_execz .LBB46_398
; %bb.397:
	v_mul_f64 v[106:107], v[98:99], v[20:21]
	v_mul_f64 v[20:21], v[100:101], v[20:21]
	v_fma_f64 v[106:107], v[100:101], v[18:19], v[106:107]
	v_fma_f64 v[18:19], v[98:99], v[18:19], -v[20:21]
	ds_read2_b64 v[98:101], v1 offset0:38 offset1:39
	s_waitcnt lgkmcnt(0)
	v_mul_f64 v[20:21], v[100:101], v[106:107]
	v_fma_f64 v[20:21], v[98:99], v[18:19], -v[20:21]
	v_mul_f64 v[98:99], v[98:99], v[106:107]
	v_add_f64 v[14:15], v[14:15], -v[20:21]
	v_fma_f64 v[98:99], v[100:101], v[18:19], v[98:99]
	v_add_f64 v[16:17], v[16:17], -v[98:99]
	ds_read2_b64 v[98:101], v1 offset0:40 offset1:41
	s_waitcnt lgkmcnt(0)
	v_mul_f64 v[20:21], v[100:101], v[106:107]
	v_fma_f64 v[20:21], v[98:99], v[18:19], -v[20:21]
	v_mul_f64 v[98:99], v[98:99], v[106:107]
	v_add_f64 v[10:11], v[10:11], -v[20:21]
	v_fma_f64 v[98:99], v[100:101], v[18:19], v[98:99]
	v_add_f64 v[12:13], v[12:13], -v[98:99]
	;; [unrolled: 8-line block ×4, first 2 shown]
	ds_read2_b64 v[98:101], v1 offset0:46 offset1:47
	s_waitcnt lgkmcnt(0)
	v_mul_f64 v[20:21], v[100:101], v[106:107]
	v_fma_f64 v[20:21], v[98:99], v[18:19], -v[20:21]
	v_mul_f64 v[98:99], v[98:99], v[106:107]
	v_add_f64 v[94:95], v[94:95], -v[20:21]
	v_fma_f64 v[98:99], v[100:101], v[18:19], v[98:99]
	v_mov_b32_e32 v20, v106
	v_mov_b32_e32 v21, v107
	v_add_f64 v[96:97], v[96:97], -v[98:99]
.LBB46_398:
	s_or_b64 exec, exec, s[0:1]
	v_lshl_add_u32 v98, v108, 4, v1
	s_barrier
	ds_write2_b64 v98, v[14:15], v[16:17] offset1:1
	s_waitcnt lgkmcnt(0)
	s_barrier
	ds_read2_b64 v[98:101], v1 offset0:38 offset1:39
	s_cmp_lt_i32 s22, 21
	v_mov_b32_e32 v106, 19
	s_cbranch_scc1 .LBB46_401
; %bb.399:
	v_add_u32_e32 v107, 0x140, v1
	s_mov_b32 s7, 20
	v_mov_b32_e32 v106, 19
.LBB46_400:                             ; =>This Inner Loop Header: Depth=1
	s_waitcnt lgkmcnt(0)
	v_cmp_gt_f64_e32 vcc, 0, v[100:101]
	v_cmp_gt_f64_e64 s[0:1], 0, v[98:99]
	ds_read2_b64 v[112:115], v107 offset1:1
	v_xor_b32_e32 v117, 0x80000000, v99
	v_xor_b32_e32 v119, 0x80000000, v101
	v_mov_b32_e32 v116, v98
	v_mov_b32_e32 v118, v100
	s_waitcnt lgkmcnt(0)
	v_xor_b32_e32 v121, 0x80000000, v115
	v_cndmask_b32_e32 v119, v101, v119, vcc
	v_cndmask_b32_e64 v117, v99, v117, s[0:1]
	v_cmp_gt_f64_e32 vcc, 0, v[114:115]
	v_cmp_gt_f64_e64 s[0:1], 0, v[112:113]
	v_add_f64 v[116:117], v[116:117], v[118:119]
	v_xor_b32_e32 v119, 0x80000000, v113
	v_mov_b32_e32 v118, v112
	v_mov_b32_e32 v120, v114
	v_add_u32_e32 v107, 16, v107
	v_cndmask_b32_e32 v121, v115, v121, vcc
	v_cndmask_b32_e64 v119, v113, v119, s[0:1]
	v_add_f64 v[118:119], v[118:119], v[120:121]
	v_mov_b32_e32 v120, s7
	s_add_i32 s7, s7, 1
	s_cmp_lg_u32 s22, s7
	v_cmp_lt_f64_e32 vcc, v[116:117], v[118:119]
	v_cndmask_b32_e32 v99, v99, v113, vcc
	v_cndmask_b32_e32 v98, v98, v112, vcc
	;; [unrolled: 1-line block ×5, first 2 shown]
	s_cbranch_scc1 .LBB46_400
.LBB46_401:
	s_waitcnt lgkmcnt(0)
	v_cmp_eq_f64_e32 vcc, 0, v[98:99]
	v_cmp_eq_f64_e64 s[0:1], 0, v[100:101]
	s_and_b64 s[0:1], vcc, s[0:1]
	s_and_saveexec_b64 s[8:9], s[0:1]
	s_xor_b64 s[0:1], exec, s[8:9]
; %bb.402:
	v_cmp_ne_u32_e32 vcc, 0, v111
	v_cndmask_b32_e32 v111, 20, v111, vcc
; %bb.403:
	s_andn2_saveexec_b64 s[0:1], s[0:1]
	s_cbranch_execz .LBB46_409
; %bb.404:
	v_cmp_ngt_f64_e64 s[8:9], |v[98:99]|, |v[100:101]|
	s_and_saveexec_b64 s[20:21], s[8:9]
	s_xor_b64 s[8:9], exec, s[20:21]
	s_cbranch_execz .LBB46_406
; %bb.405:
	v_div_scale_f64 v[112:113], s[20:21], v[100:101], v[100:101], v[98:99]
	v_rcp_f64_e32 v[114:115], v[112:113]
	v_fma_f64 v[116:117], -v[112:113], v[114:115], 1.0
	v_fma_f64 v[114:115], v[114:115], v[116:117], v[114:115]
	v_div_scale_f64 v[116:117], vcc, v[98:99], v[100:101], v[98:99]
	v_fma_f64 v[118:119], -v[112:113], v[114:115], 1.0
	v_fma_f64 v[114:115], v[114:115], v[118:119], v[114:115]
	v_mul_f64 v[118:119], v[116:117], v[114:115]
	v_fma_f64 v[112:113], -v[112:113], v[118:119], v[116:117]
	v_div_fmas_f64 v[112:113], v[112:113], v[114:115], v[118:119]
	v_div_fixup_f64 v[112:113], v[112:113], v[100:101], v[98:99]
	v_fma_f64 v[98:99], v[98:99], v[112:113], v[100:101]
	v_div_scale_f64 v[100:101], s[20:21], v[98:99], v[98:99], 1.0
	v_div_scale_f64 v[118:119], vcc, 1.0, v[98:99], 1.0
	v_rcp_f64_e32 v[114:115], v[100:101]
	v_fma_f64 v[116:117], -v[100:101], v[114:115], 1.0
	v_fma_f64 v[114:115], v[114:115], v[116:117], v[114:115]
	v_fma_f64 v[116:117], -v[100:101], v[114:115], 1.0
	v_fma_f64 v[114:115], v[114:115], v[116:117], v[114:115]
	v_mul_f64 v[116:117], v[118:119], v[114:115]
	v_fma_f64 v[100:101], -v[100:101], v[116:117], v[118:119]
	v_div_fmas_f64 v[100:101], v[100:101], v[114:115], v[116:117]
	v_div_fixup_f64 v[100:101], v[100:101], v[98:99], 1.0
	v_mul_f64 v[98:99], v[112:113], v[100:101]
	v_xor_b32_e32 v101, 0x80000000, v101
.LBB46_406:
	s_andn2_saveexec_b64 s[8:9], s[8:9]
	s_cbranch_execz .LBB46_408
; %bb.407:
	v_div_scale_f64 v[112:113], s[20:21], v[98:99], v[98:99], v[100:101]
	v_rcp_f64_e32 v[114:115], v[112:113]
	v_fma_f64 v[116:117], -v[112:113], v[114:115], 1.0
	v_fma_f64 v[114:115], v[114:115], v[116:117], v[114:115]
	v_div_scale_f64 v[116:117], vcc, v[100:101], v[98:99], v[100:101]
	v_fma_f64 v[118:119], -v[112:113], v[114:115], 1.0
	v_fma_f64 v[114:115], v[114:115], v[118:119], v[114:115]
	v_mul_f64 v[118:119], v[116:117], v[114:115]
	v_fma_f64 v[112:113], -v[112:113], v[118:119], v[116:117]
	v_div_fmas_f64 v[112:113], v[112:113], v[114:115], v[118:119]
	v_div_fixup_f64 v[112:113], v[112:113], v[98:99], v[100:101]
	v_fma_f64 v[98:99], v[100:101], v[112:113], v[98:99]
	v_div_scale_f64 v[100:101], s[20:21], v[98:99], v[98:99], 1.0
	v_div_scale_f64 v[118:119], vcc, 1.0, v[98:99], 1.0
	v_rcp_f64_e32 v[114:115], v[100:101]
	v_fma_f64 v[116:117], -v[100:101], v[114:115], 1.0
	v_fma_f64 v[114:115], v[114:115], v[116:117], v[114:115]
	v_fma_f64 v[116:117], -v[100:101], v[114:115], 1.0
	v_fma_f64 v[114:115], v[114:115], v[116:117], v[114:115]
	v_mul_f64 v[116:117], v[118:119], v[114:115]
	v_fma_f64 v[100:101], -v[100:101], v[116:117], v[118:119]
	v_div_fmas_f64 v[100:101], v[100:101], v[114:115], v[116:117]
	v_div_fixup_f64 v[98:99], v[100:101], v[98:99], 1.0
	v_mul_f64 v[100:101], v[112:113], -v[98:99]
.LBB46_408:
	s_or_b64 exec, exec, s[8:9]
.LBB46_409:
	s_or_b64 exec, exec, s[0:1]
	v_cmp_ne_u32_e32 vcc, v108, v106
	s_and_saveexec_b64 s[0:1], vcc
	s_xor_b64 s[0:1], exec, s[0:1]
	s_cbranch_execz .LBB46_415
; %bb.410:
	v_cmp_eq_u32_e32 vcc, 19, v108
	s_and_saveexec_b64 s[8:9], vcc
	s_cbranch_execz .LBB46_414
; %bb.411:
	v_cmp_ne_u32_e32 vcc, 19, v106
	s_xor_b64 s[20:21], s[18:19], -1
	s_and_b64 s[24:25], s[20:21], vcc
	s_and_saveexec_b64 s[20:21], s[24:25]
	s_cbranch_execz .LBB46_413
; %bb.412:
	v_ashrrev_i32_e32 v107, 31, v106
	v_lshlrev_b64 v[107:108], 2, v[106:107]
	v_add_co_u32_e32 v107, vcc, v104, v107
	v_addc_co_u32_e32 v108, vcc, v105, v108, vcc
	global_load_dword v0, v[107:108], off
	global_load_dword v112, v[104:105], off offset:76
	s_waitcnt vmcnt(1)
	global_store_dword v[104:105], v0, off offset:76
	s_waitcnt vmcnt(1)
	global_store_dword v[107:108], v112, off
.LBB46_413:
	s_or_b64 exec, exec, s[20:21]
	v_mov_b32_e32 v108, v106
	v_mov_b32_e32 v0, v106
.LBB46_414:
	s_or_b64 exec, exec, s[8:9]
.LBB46_415:
	s_andn2_saveexec_b64 s[0:1], s[0:1]
	s_cbranch_execz .LBB46_417
; %bb.416:
	v_mov_b32_e32 v108, 19
	ds_write2_b64 v1, v[10:11], v[12:13] offset0:40 offset1:41
	ds_write2_b64 v1, v[6:7], v[8:9] offset0:42 offset1:43
	;; [unrolled: 1-line block ×4, first 2 shown]
.LBB46_417:
	s_or_b64 exec, exec, s[0:1]
	v_cmp_lt_i32_e32 vcc, 19, v108
	s_waitcnt vmcnt(0) lgkmcnt(0)
	s_barrier
	s_and_saveexec_b64 s[0:1], vcc
	s_cbranch_execz .LBB46_419
; %bb.418:
	v_mul_f64 v[106:107], v[98:99], v[16:17]
	v_mul_f64 v[16:17], v[100:101], v[16:17]
	v_fma_f64 v[106:107], v[100:101], v[14:15], v[106:107]
	v_fma_f64 v[14:15], v[98:99], v[14:15], -v[16:17]
	ds_read2_b64 v[98:101], v1 offset0:40 offset1:41
	s_waitcnt lgkmcnt(0)
	v_mul_f64 v[16:17], v[100:101], v[106:107]
	v_fma_f64 v[16:17], v[98:99], v[14:15], -v[16:17]
	v_mul_f64 v[98:99], v[98:99], v[106:107]
	v_add_f64 v[10:11], v[10:11], -v[16:17]
	v_fma_f64 v[98:99], v[100:101], v[14:15], v[98:99]
	v_add_f64 v[12:13], v[12:13], -v[98:99]
	ds_read2_b64 v[98:101], v1 offset0:42 offset1:43
	s_waitcnt lgkmcnt(0)
	v_mul_f64 v[16:17], v[100:101], v[106:107]
	v_fma_f64 v[16:17], v[98:99], v[14:15], -v[16:17]
	v_mul_f64 v[98:99], v[98:99], v[106:107]
	v_add_f64 v[6:7], v[6:7], -v[16:17]
	v_fma_f64 v[98:99], v[100:101], v[14:15], v[98:99]
	v_add_f64 v[8:9], v[8:9], -v[98:99]
	;; [unrolled: 8-line block ×3, first 2 shown]
	ds_read2_b64 v[98:101], v1 offset0:46 offset1:47
	s_waitcnt lgkmcnt(0)
	v_mul_f64 v[16:17], v[100:101], v[106:107]
	v_fma_f64 v[16:17], v[98:99], v[14:15], -v[16:17]
	v_mul_f64 v[98:99], v[98:99], v[106:107]
	v_add_f64 v[94:95], v[94:95], -v[16:17]
	v_fma_f64 v[98:99], v[100:101], v[14:15], v[98:99]
	v_mov_b32_e32 v16, v106
	v_mov_b32_e32 v17, v107
	v_add_f64 v[96:97], v[96:97], -v[98:99]
.LBB46_419:
	s_or_b64 exec, exec, s[0:1]
	v_lshl_add_u32 v98, v108, 4, v1
	s_barrier
	ds_write2_b64 v98, v[10:11], v[12:13] offset1:1
	s_waitcnt lgkmcnt(0)
	s_barrier
	ds_read2_b64 v[98:101], v1 offset0:40 offset1:41
	s_cmp_lt_i32 s22, 22
	v_mov_b32_e32 v106, 20
	s_cbranch_scc1 .LBB46_422
; %bb.420:
	v_add_u32_e32 v107, 0x150, v1
	s_mov_b32 s7, 21
	v_mov_b32_e32 v106, 20
.LBB46_421:                             ; =>This Inner Loop Header: Depth=1
	s_waitcnt lgkmcnt(0)
	v_cmp_gt_f64_e32 vcc, 0, v[100:101]
	v_cmp_gt_f64_e64 s[0:1], 0, v[98:99]
	ds_read2_b64 v[112:115], v107 offset1:1
	v_xor_b32_e32 v117, 0x80000000, v99
	v_xor_b32_e32 v119, 0x80000000, v101
	v_mov_b32_e32 v116, v98
	v_mov_b32_e32 v118, v100
	s_waitcnt lgkmcnt(0)
	v_xor_b32_e32 v121, 0x80000000, v115
	v_cndmask_b32_e32 v119, v101, v119, vcc
	v_cndmask_b32_e64 v117, v99, v117, s[0:1]
	v_cmp_gt_f64_e32 vcc, 0, v[114:115]
	v_cmp_gt_f64_e64 s[0:1], 0, v[112:113]
	v_add_f64 v[116:117], v[116:117], v[118:119]
	v_xor_b32_e32 v119, 0x80000000, v113
	v_mov_b32_e32 v118, v112
	v_mov_b32_e32 v120, v114
	v_add_u32_e32 v107, 16, v107
	v_cndmask_b32_e32 v121, v115, v121, vcc
	v_cndmask_b32_e64 v119, v113, v119, s[0:1]
	v_add_f64 v[118:119], v[118:119], v[120:121]
	v_mov_b32_e32 v120, s7
	s_add_i32 s7, s7, 1
	s_cmp_lg_u32 s22, s7
	v_cmp_lt_f64_e32 vcc, v[116:117], v[118:119]
	v_cndmask_b32_e32 v99, v99, v113, vcc
	v_cndmask_b32_e32 v98, v98, v112, vcc
	;; [unrolled: 1-line block ×5, first 2 shown]
	s_cbranch_scc1 .LBB46_421
.LBB46_422:
	s_waitcnt lgkmcnt(0)
	v_cmp_eq_f64_e32 vcc, 0, v[98:99]
	v_cmp_eq_f64_e64 s[0:1], 0, v[100:101]
	s_and_b64 s[0:1], vcc, s[0:1]
	s_and_saveexec_b64 s[8:9], s[0:1]
	s_xor_b64 s[0:1], exec, s[8:9]
; %bb.423:
	v_cmp_ne_u32_e32 vcc, 0, v111
	v_cndmask_b32_e32 v111, 21, v111, vcc
; %bb.424:
	s_andn2_saveexec_b64 s[0:1], s[0:1]
	s_cbranch_execz .LBB46_430
; %bb.425:
	v_cmp_ngt_f64_e64 s[8:9], |v[98:99]|, |v[100:101]|
	s_and_saveexec_b64 s[20:21], s[8:9]
	s_xor_b64 s[8:9], exec, s[20:21]
	s_cbranch_execz .LBB46_427
; %bb.426:
	v_div_scale_f64 v[112:113], s[20:21], v[100:101], v[100:101], v[98:99]
	v_rcp_f64_e32 v[114:115], v[112:113]
	v_fma_f64 v[116:117], -v[112:113], v[114:115], 1.0
	v_fma_f64 v[114:115], v[114:115], v[116:117], v[114:115]
	v_div_scale_f64 v[116:117], vcc, v[98:99], v[100:101], v[98:99]
	v_fma_f64 v[118:119], -v[112:113], v[114:115], 1.0
	v_fma_f64 v[114:115], v[114:115], v[118:119], v[114:115]
	v_mul_f64 v[118:119], v[116:117], v[114:115]
	v_fma_f64 v[112:113], -v[112:113], v[118:119], v[116:117]
	v_div_fmas_f64 v[112:113], v[112:113], v[114:115], v[118:119]
	v_div_fixup_f64 v[112:113], v[112:113], v[100:101], v[98:99]
	v_fma_f64 v[98:99], v[98:99], v[112:113], v[100:101]
	v_div_scale_f64 v[100:101], s[20:21], v[98:99], v[98:99], 1.0
	v_div_scale_f64 v[118:119], vcc, 1.0, v[98:99], 1.0
	v_rcp_f64_e32 v[114:115], v[100:101]
	v_fma_f64 v[116:117], -v[100:101], v[114:115], 1.0
	v_fma_f64 v[114:115], v[114:115], v[116:117], v[114:115]
	v_fma_f64 v[116:117], -v[100:101], v[114:115], 1.0
	v_fma_f64 v[114:115], v[114:115], v[116:117], v[114:115]
	v_mul_f64 v[116:117], v[118:119], v[114:115]
	v_fma_f64 v[100:101], -v[100:101], v[116:117], v[118:119]
	v_div_fmas_f64 v[100:101], v[100:101], v[114:115], v[116:117]
	v_div_fixup_f64 v[100:101], v[100:101], v[98:99], 1.0
	v_mul_f64 v[98:99], v[112:113], v[100:101]
	v_xor_b32_e32 v101, 0x80000000, v101
.LBB46_427:
	s_andn2_saveexec_b64 s[8:9], s[8:9]
	s_cbranch_execz .LBB46_429
; %bb.428:
	v_div_scale_f64 v[112:113], s[20:21], v[98:99], v[98:99], v[100:101]
	v_rcp_f64_e32 v[114:115], v[112:113]
	v_fma_f64 v[116:117], -v[112:113], v[114:115], 1.0
	v_fma_f64 v[114:115], v[114:115], v[116:117], v[114:115]
	v_div_scale_f64 v[116:117], vcc, v[100:101], v[98:99], v[100:101]
	v_fma_f64 v[118:119], -v[112:113], v[114:115], 1.0
	v_fma_f64 v[114:115], v[114:115], v[118:119], v[114:115]
	v_mul_f64 v[118:119], v[116:117], v[114:115]
	v_fma_f64 v[112:113], -v[112:113], v[118:119], v[116:117]
	v_div_fmas_f64 v[112:113], v[112:113], v[114:115], v[118:119]
	v_div_fixup_f64 v[112:113], v[112:113], v[98:99], v[100:101]
	v_fma_f64 v[98:99], v[100:101], v[112:113], v[98:99]
	v_div_scale_f64 v[100:101], s[20:21], v[98:99], v[98:99], 1.0
	v_div_scale_f64 v[118:119], vcc, 1.0, v[98:99], 1.0
	v_rcp_f64_e32 v[114:115], v[100:101]
	v_fma_f64 v[116:117], -v[100:101], v[114:115], 1.0
	v_fma_f64 v[114:115], v[114:115], v[116:117], v[114:115]
	v_fma_f64 v[116:117], -v[100:101], v[114:115], 1.0
	v_fma_f64 v[114:115], v[114:115], v[116:117], v[114:115]
	v_mul_f64 v[116:117], v[118:119], v[114:115]
	v_fma_f64 v[100:101], -v[100:101], v[116:117], v[118:119]
	v_div_fmas_f64 v[100:101], v[100:101], v[114:115], v[116:117]
	v_div_fixup_f64 v[98:99], v[100:101], v[98:99], 1.0
	v_mul_f64 v[100:101], v[112:113], -v[98:99]
.LBB46_429:
	s_or_b64 exec, exec, s[8:9]
.LBB46_430:
	s_or_b64 exec, exec, s[0:1]
	v_cmp_ne_u32_e32 vcc, v108, v106
	s_and_saveexec_b64 s[0:1], vcc
	s_xor_b64 s[0:1], exec, s[0:1]
	s_cbranch_execz .LBB46_436
; %bb.431:
	v_cmp_eq_u32_e32 vcc, 20, v108
	s_and_saveexec_b64 s[8:9], vcc
	s_cbranch_execz .LBB46_435
; %bb.432:
	v_cmp_ne_u32_e32 vcc, 20, v106
	s_xor_b64 s[20:21], s[18:19], -1
	s_and_b64 s[24:25], s[20:21], vcc
	s_and_saveexec_b64 s[20:21], s[24:25]
	s_cbranch_execz .LBB46_434
; %bb.433:
	v_ashrrev_i32_e32 v107, 31, v106
	v_lshlrev_b64 v[107:108], 2, v[106:107]
	v_add_co_u32_e32 v107, vcc, v104, v107
	v_addc_co_u32_e32 v108, vcc, v105, v108, vcc
	global_load_dword v0, v[107:108], off
	global_load_dword v112, v[104:105], off offset:80
	s_waitcnt vmcnt(1)
	global_store_dword v[104:105], v0, off offset:80
	s_waitcnt vmcnt(1)
	global_store_dword v[107:108], v112, off
.LBB46_434:
	s_or_b64 exec, exec, s[20:21]
	v_mov_b32_e32 v108, v106
	v_mov_b32_e32 v0, v106
.LBB46_435:
	s_or_b64 exec, exec, s[8:9]
.LBB46_436:
	s_andn2_saveexec_b64 s[0:1], s[0:1]
	s_cbranch_execz .LBB46_438
; %bb.437:
	v_mov_b32_e32 v108, 20
	ds_write2_b64 v1, v[6:7], v[8:9] offset0:42 offset1:43
	ds_write2_b64 v1, v[2:3], v[4:5] offset0:44 offset1:45
	;; [unrolled: 1-line block ×3, first 2 shown]
.LBB46_438:
	s_or_b64 exec, exec, s[0:1]
	v_cmp_lt_i32_e32 vcc, 20, v108
	s_waitcnt vmcnt(0) lgkmcnt(0)
	s_barrier
	s_and_saveexec_b64 s[0:1], vcc
	s_cbranch_execz .LBB46_440
; %bb.439:
	v_mul_f64 v[106:107], v[98:99], v[12:13]
	v_mul_f64 v[12:13], v[100:101], v[12:13]
	v_fma_f64 v[106:107], v[100:101], v[10:11], v[106:107]
	v_fma_f64 v[10:11], v[98:99], v[10:11], -v[12:13]
	ds_read2_b64 v[98:101], v1 offset0:42 offset1:43
	s_waitcnt lgkmcnt(0)
	v_mul_f64 v[12:13], v[100:101], v[106:107]
	v_fma_f64 v[12:13], v[98:99], v[10:11], -v[12:13]
	v_mul_f64 v[98:99], v[98:99], v[106:107]
	v_add_f64 v[6:7], v[6:7], -v[12:13]
	v_fma_f64 v[98:99], v[100:101], v[10:11], v[98:99]
	v_add_f64 v[8:9], v[8:9], -v[98:99]
	ds_read2_b64 v[98:101], v1 offset0:44 offset1:45
	s_waitcnt lgkmcnt(0)
	v_mul_f64 v[12:13], v[100:101], v[106:107]
	v_fma_f64 v[12:13], v[98:99], v[10:11], -v[12:13]
	v_mul_f64 v[98:99], v[98:99], v[106:107]
	v_add_f64 v[2:3], v[2:3], -v[12:13]
	v_fma_f64 v[98:99], v[100:101], v[10:11], v[98:99]
	v_add_f64 v[4:5], v[4:5], -v[98:99]
	ds_read2_b64 v[98:101], v1 offset0:46 offset1:47
	s_waitcnt lgkmcnt(0)
	v_mul_f64 v[12:13], v[100:101], v[106:107]
	v_fma_f64 v[12:13], v[98:99], v[10:11], -v[12:13]
	v_mul_f64 v[98:99], v[98:99], v[106:107]
	v_add_f64 v[94:95], v[94:95], -v[12:13]
	v_fma_f64 v[98:99], v[100:101], v[10:11], v[98:99]
	v_mov_b32_e32 v12, v106
	v_mov_b32_e32 v13, v107
	v_add_f64 v[96:97], v[96:97], -v[98:99]
.LBB46_440:
	s_or_b64 exec, exec, s[0:1]
	v_lshl_add_u32 v98, v108, 4, v1
	s_barrier
	ds_write2_b64 v98, v[6:7], v[8:9] offset1:1
	s_waitcnt lgkmcnt(0)
	s_barrier
	ds_read2_b64 v[98:101], v1 offset0:42 offset1:43
	s_cmp_lt_i32 s22, 23
	v_mov_b32_e32 v106, 21
	s_cbranch_scc1 .LBB46_443
; %bb.441:
	v_add_u32_e32 v107, 0x160, v1
	s_mov_b32 s7, 22
	v_mov_b32_e32 v106, 21
.LBB46_442:                             ; =>This Inner Loop Header: Depth=1
	s_waitcnt lgkmcnt(0)
	v_cmp_gt_f64_e32 vcc, 0, v[100:101]
	v_cmp_gt_f64_e64 s[0:1], 0, v[98:99]
	ds_read2_b64 v[112:115], v107 offset1:1
	v_xor_b32_e32 v117, 0x80000000, v99
	v_xor_b32_e32 v119, 0x80000000, v101
	v_mov_b32_e32 v116, v98
	v_mov_b32_e32 v118, v100
	s_waitcnt lgkmcnt(0)
	v_xor_b32_e32 v121, 0x80000000, v115
	v_cndmask_b32_e32 v119, v101, v119, vcc
	v_cndmask_b32_e64 v117, v99, v117, s[0:1]
	v_cmp_gt_f64_e32 vcc, 0, v[114:115]
	v_cmp_gt_f64_e64 s[0:1], 0, v[112:113]
	v_add_f64 v[116:117], v[116:117], v[118:119]
	v_xor_b32_e32 v119, 0x80000000, v113
	v_mov_b32_e32 v118, v112
	v_mov_b32_e32 v120, v114
	v_add_u32_e32 v107, 16, v107
	v_cndmask_b32_e32 v121, v115, v121, vcc
	v_cndmask_b32_e64 v119, v113, v119, s[0:1]
	v_add_f64 v[118:119], v[118:119], v[120:121]
	v_mov_b32_e32 v120, s7
	s_add_i32 s7, s7, 1
	s_cmp_lg_u32 s22, s7
	v_cmp_lt_f64_e32 vcc, v[116:117], v[118:119]
	v_cndmask_b32_e32 v99, v99, v113, vcc
	v_cndmask_b32_e32 v98, v98, v112, vcc
	;; [unrolled: 1-line block ×5, first 2 shown]
	s_cbranch_scc1 .LBB46_442
.LBB46_443:
	s_waitcnt lgkmcnt(0)
	v_cmp_eq_f64_e32 vcc, 0, v[98:99]
	v_cmp_eq_f64_e64 s[0:1], 0, v[100:101]
	s_and_b64 s[0:1], vcc, s[0:1]
	s_and_saveexec_b64 s[8:9], s[0:1]
	s_xor_b64 s[0:1], exec, s[8:9]
; %bb.444:
	v_cmp_ne_u32_e32 vcc, 0, v111
	v_cndmask_b32_e32 v111, 22, v111, vcc
; %bb.445:
	s_andn2_saveexec_b64 s[0:1], s[0:1]
	s_cbranch_execz .LBB46_451
; %bb.446:
	v_cmp_ngt_f64_e64 s[8:9], |v[98:99]|, |v[100:101]|
	s_and_saveexec_b64 s[20:21], s[8:9]
	s_xor_b64 s[8:9], exec, s[20:21]
	s_cbranch_execz .LBB46_448
; %bb.447:
	v_div_scale_f64 v[112:113], s[20:21], v[100:101], v[100:101], v[98:99]
	v_rcp_f64_e32 v[114:115], v[112:113]
	v_fma_f64 v[116:117], -v[112:113], v[114:115], 1.0
	v_fma_f64 v[114:115], v[114:115], v[116:117], v[114:115]
	v_div_scale_f64 v[116:117], vcc, v[98:99], v[100:101], v[98:99]
	v_fma_f64 v[118:119], -v[112:113], v[114:115], 1.0
	v_fma_f64 v[114:115], v[114:115], v[118:119], v[114:115]
	v_mul_f64 v[118:119], v[116:117], v[114:115]
	v_fma_f64 v[112:113], -v[112:113], v[118:119], v[116:117]
	v_div_fmas_f64 v[112:113], v[112:113], v[114:115], v[118:119]
	v_div_fixup_f64 v[112:113], v[112:113], v[100:101], v[98:99]
	v_fma_f64 v[98:99], v[98:99], v[112:113], v[100:101]
	v_div_scale_f64 v[100:101], s[20:21], v[98:99], v[98:99], 1.0
	v_div_scale_f64 v[118:119], vcc, 1.0, v[98:99], 1.0
	v_rcp_f64_e32 v[114:115], v[100:101]
	v_fma_f64 v[116:117], -v[100:101], v[114:115], 1.0
	v_fma_f64 v[114:115], v[114:115], v[116:117], v[114:115]
	v_fma_f64 v[116:117], -v[100:101], v[114:115], 1.0
	v_fma_f64 v[114:115], v[114:115], v[116:117], v[114:115]
	v_mul_f64 v[116:117], v[118:119], v[114:115]
	v_fma_f64 v[100:101], -v[100:101], v[116:117], v[118:119]
	v_div_fmas_f64 v[100:101], v[100:101], v[114:115], v[116:117]
	v_div_fixup_f64 v[100:101], v[100:101], v[98:99], 1.0
	v_mul_f64 v[98:99], v[112:113], v[100:101]
	v_xor_b32_e32 v101, 0x80000000, v101
.LBB46_448:
	s_andn2_saveexec_b64 s[8:9], s[8:9]
	s_cbranch_execz .LBB46_450
; %bb.449:
	v_div_scale_f64 v[112:113], s[20:21], v[98:99], v[98:99], v[100:101]
	v_rcp_f64_e32 v[114:115], v[112:113]
	v_fma_f64 v[116:117], -v[112:113], v[114:115], 1.0
	v_fma_f64 v[114:115], v[114:115], v[116:117], v[114:115]
	v_div_scale_f64 v[116:117], vcc, v[100:101], v[98:99], v[100:101]
	v_fma_f64 v[118:119], -v[112:113], v[114:115], 1.0
	v_fma_f64 v[114:115], v[114:115], v[118:119], v[114:115]
	v_mul_f64 v[118:119], v[116:117], v[114:115]
	v_fma_f64 v[112:113], -v[112:113], v[118:119], v[116:117]
	v_div_fmas_f64 v[112:113], v[112:113], v[114:115], v[118:119]
	v_div_fixup_f64 v[112:113], v[112:113], v[98:99], v[100:101]
	v_fma_f64 v[98:99], v[100:101], v[112:113], v[98:99]
	v_div_scale_f64 v[100:101], s[20:21], v[98:99], v[98:99], 1.0
	v_div_scale_f64 v[118:119], vcc, 1.0, v[98:99], 1.0
	v_rcp_f64_e32 v[114:115], v[100:101]
	v_fma_f64 v[116:117], -v[100:101], v[114:115], 1.0
	v_fma_f64 v[114:115], v[114:115], v[116:117], v[114:115]
	v_fma_f64 v[116:117], -v[100:101], v[114:115], 1.0
	v_fma_f64 v[114:115], v[114:115], v[116:117], v[114:115]
	v_mul_f64 v[116:117], v[118:119], v[114:115]
	v_fma_f64 v[100:101], -v[100:101], v[116:117], v[118:119]
	v_div_fmas_f64 v[100:101], v[100:101], v[114:115], v[116:117]
	v_div_fixup_f64 v[98:99], v[100:101], v[98:99], 1.0
	v_mul_f64 v[100:101], v[112:113], -v[98:99]
.LBB46_450:
	s_or_b64 exec, exec, s[8:9]
.LBB46_451:
	s_or_b64 exec, exec, s[0:1]
	v_cmp_ne_u32_e32 vcc, v108, v106
	s_and_saveexec_b64 s[0:1], vcc
	s_xor_b64 s[0:1], exec, s[0:1]
	s_cbranch_execz .LBB46_457
; %bb.452:
	v_cmp_eq_u32_e32 vcc, 21, v108
	s_and_saveexec_b64 s[8:9], vcc
	s_cbranch_execz .LBB46_456
; %bb.453:
	v_cmp_ne_u32_e32 vcc, 21, v106
	s_xor_b64 s[20:21], s[18:19], -1
	s_and_b64 s[24:25], s[20:21], vcc
	s_and_saveexec_b64 s[20:21], s[24:25]
	s_cbranch_execz .LBB46_455
; %bb.454:
	v_ashrrev_i32_e32 v107, 31, v106
	v_lshlrev_b64 v[107:108], 2, v[106:107]
	v_add_co_u32_e32 v107, vcc, v104, v107
	v_addc_co_u32_e32 v108, vcc, v105, v108, vcc
	global_load_dword v0, v[107:108], off
	global_load_dword v112, v[104:105], off offset:84
	s_waitcnt vmcnt(1)
	global_store_dword v[104:105], v0, off offset:84
	s_waitcnt vmcnt(1)
	global_store_dword v[107:108], v112, off
.LBB46_455:
	s_or_b64 exec, exec, s[20:21]
	v_mov_b32_e32 v108, v106
	v_mov_b32_e32 v0, v106
.LBB46_456:
	s_or_b64 exec, exec, s[8:9]
.LBB46_457:
	s_andn2_saveexec_b64 s[0:1], s[0:1]
	s_cbranch_execz .LBB46_459
; %bb.458:
	v_mov_b32_e32 v108, 21
	ds_write2_b64 v1, v[2:3], v[4:5] offset0:44 offset1:45
	ds_write2_b64 v1, v[94:95], v[96:97] offset0:46 offset1:47
.LBB46_459:
	s_or_b64 exec, exec, s[0:1]
	v_cmp_lt_i32_e32 vcc, 21, v108
	s_waitcnt vmcnt(0) lgkmcnt(0)
	s_barrier
	s_and_saveexec_b64 s[0:1], vcc
	s_cbranch_execz .LBB46_461
; %bb.460:
	v_mul_f64 v[106:107], v[98:99], v[8:9]
	v_mul_f64 v[8:9], v[100:101], v[8:9]
	ds_read2_b64 v[112:115], v1 offset0:44 offset1:45
	ds_read2_b64 v[116:119], v1 offset0:46 offset1:47
	v_fma_f64 v[100:101], v[100:101], v[6:7], v[106:107]
	v_fma_f64 v[6:7], v[98:99], v[6:7], -v[8:9]
	s_waitcnt lgkmcnt(1)
	v_mul_f64 v[8:9], v[114:115], v[100:101]
	v_mul_f64 v[98:99], v[112:113], v[100:101]
	s_waitcnt lgkmcnt(0)
	v_mul_f64 v[106:107], v[118:119], v[100:101]
	v_mul_f64 v[120:121], v[116:117], v[100:101]
	v_fma_f64 v[8:9], v[112:113], v[6:7], -v[8:9]
	v_fma_f64 v[98:99], v[114:115], v[6:7], v[98:99]
	v_fma_f64 v[106:107], v[116:117], v[6:7], -v[106:107]
	v_fma_f64 v[112:113], v[118:119], v[6:7], v[120:121]
	v_add_f64 v[2:3], v[2:3], -v[8:9]
	v_add_f64 v[4:5], v[4:5], -v[98:99]
	;; [unrolled: 1-line block ×4, first 2 shown]
	v_mov_b32_e32 v8, v100
	v_mov_b32_e32 v9, v101
.LBB46_461:
	s_or_b64 exec, exec, s[0:1]
	v_lshl_add_u32 v98, v108, 4, v1
	s_barrier
	ds_write2_b64 v98, v[2:3], v[4:5] offset1:1
	s_waitcnt lgkmcnt(0)
	s_barrier
	ds_read2_b64 v[98:101], v1 offset0:44 offset1:45
	s_cmp_lt_i32 s22, 24
	v_mov_b32_e32 v106, 22
	s_cbranch_scc1 .LBB46_464
; %bb.462:
	v_add_u32_e32 v107, 0x170, v1
	s_mov_b32 s7, 23
	v_mov_b32_e32 v106, 22
.LBB46_463:                             ; =>This Inner Loop Header: Depth=1
	s_waitcnt lgkmcnt(0)
	v_cmp_gt_f64_e32 vcc, 0, v[100:101]
	v_cmp_gt_f64_e64 s[0:1], 0, v[98:99]
	ds_read2_b64 v[112:115], v107 offset1:1
	v_xor_b32_e32 v117, 0x80000000, v99
	v_xor_b32_e32 v119, 0x80000000, v101
	v_mov_b32_e32 v116, v98
	v_mov_b32_e32 v118, v100
	s_waitcnt lgkmcnt(0)
	v_xor_b32_e32 v121, 0x80000000, v115
	v_cndmask_b32_e32 v119, v101, v119, vcc
	v_cndmask_b32_e64 v117, v99, v117, s[0:1]
	v_cmp_gt_f64_e32 vcc, 0, v[114:115]
	v_cmp_gt_f64_e64 s[0:1], 0, v[112:113]
	v_add_f64 v[116:117], v[116:117], v[118:119]
	v_xor_b32_e32 v119, 0x80000000, v113
	v_mov_b32_e32 v118, v112
	v_mov_b32_e32 v120, v114
	v_add_u32_e32 v107, 16, v107
	v_cndmask_b32_e32 v121, v115, v121, vcc
	v_cndmask_b32_e64 v119, v113, v119, s[0:1]
	v_add_f64 v[118:119], v[118:119], v[120:121]
	v_mov_b32_e32 v120, s7
	s_add_i32 s7, s7, 1
	s_cmp_lg_u32 s22, s7
	v_cmp_lt_f64_e32 vcc, v[116:117], v[118:119]
	v_cndmask_b32_e32 v99, v99, v113, vcc
	v_cndmask_b32_e32 v98, v98, v112, vcc
	;; [unrolled: 1-line block ×5, first 2 shown]
	s_cbranch_scc1 .LBB46_463
.LBB46_464:
	s_waitcnt lgkmcnt(0)
	v_cmp_eq_f64_e32 vcc, 0, v[98:99]
	v_cmp_eq_f64_e64 s[0:1], 0, v[100:101]
	s_and_b64 s[0:1], vcc, s[0:1]
	s_and_saveexec_b64 s[8:9], s[0:1]
	s_xor_b64 s[0:1], exec, s[8:9]
; %bb.465:
	v_cmp_ne_u32_e32 vcc, 0, v111
	v_cndmask_b32_e32 v111, 23, v111, vcc
; %bb.466:
	s_andn2_saveexec_b64 s[0:1], s[0:1]
	s_cbranch_execz .LBB46_472
; %bb.467:
	v_cmp_ngt_f64_e64 s[8:9], |v[98:99]|, |v[100:101]|
	s_and_saveexec_b64 s[20:21], s[8:9]
	s_xor_b64 s[8:9], exec, s[20:21]
	s_cbranch_execz .LBB46_469
; %bb.468:
	v_div_scale_f64 v[112:113], s[20:21], v[100:101], v[100:101], v[98:99]
	v_rcp_f64_e32 v[114:115], v[112:113]
	v_fma_f64 v[116:117], -v[112:113], v[114:115], 1.0
	v_fma_f64 v[114:115], v[114:115], v[116:117], v[114:115]
	v_div_scale_f64 v[116:117], vcc, v[98:99], v[100:101], v[98:99]
	v_fma_f64 v[118:119], -v[112:113], v[114:115], 1.0
	v_fma_f64 v[114:115], v[114:115], v[118:119], v[114:115]
	v_mul_f64 v[118:119], v[116:117], v[114:115]
	v_fma_f64 v[112:113], -v[112:113], v[118:119], v[116:117]
	v_div_fmas_f64 v[112:113], v[112:113], v[114:115], v[118:119]
	v_div_fixup_f64 v[112:113], v[112:113], v[100:101], v[98:99]
	v_fma_f64 v[98:99], v[98:99], v[112:113], v[100:101]
	v_div_scale_f64 v[100:101], s[20:21], v[98:99], v[98:99], 1.0
	v_div_scale_f64 v[118:119], vcc, 1.0, v[98:99], 1.0
	v_rcp_f64_e32 v[114:115], v[100:101]
	v_fma_f64 v[116:117], -v[100:101], v[114:115], 1.0
	v_fma_f64 v[114:115], v[114:115], v[116:117], v[114:115]
	v_fma_f64 v[116:117], -v[100:101], v[114:115], 1.0
	v_fma_f64 v[114:115], v[114:115], v[116:117], v[114:115]
	v_mul_f64 v[116:117], v[118:119], v[114:115]
	v_fma_f64 v[100:101], -v[100:101], v[116:117], v[118:119]
	v_div_fmas_f64 v[100:101], v[100:101], v[114:115], v[116:117]
	v_div_fixup_f64 v[100:101], v[100:101], v[98:99], 1.0
	v_mul_f64 v[98:99], v[112:113], v[100:101]
	v_xor_b32_e32 v101, 0x80000000, v101
.LBB46_469:
	s_andn2_saveexec_b64 s[8:9], s[8:9]
	s_cbranch_execz .LBB46_471
; %bb.470:
	v_div_scale_f64 v[112:113], s[20:21], v[98:99], v[98:99], v[100:101]
	v_rcp_f64_e32 v[114:115], v[112:113]
	v_fma_f64 v[116:117], -v[112:113], v[114:115], 1.0
	v_fma_f64 v[114:115], v[114:115], v[116:117], v[114:115]
	v_div_scale_f64 v[116:117], vcc, v[100:101], v[98:99], v[100:101]
	v_fma_f64 v[118:119], -v[112:113], v[114:115], 1.0
	v_fma_f64 v[114:115], v[114:115], v[118:119], v[114:115]
	v_mul_f64 v[118:119], v[116:117], v[114:115]
	v_fma_f64 v[112:113], -v[112:113], v[118:119], v[116:117]
	v_div_fmas_f64 v[112:113], v[112:113], v[114:115], v[118:119]
	v_div_fixup_f64 v[112:113], v[112:113], v[98:99], v[100:101]
	v_fma_f64 v[98:99], v[100:101], v[112:113], v[98:99]
	v_div_scale_f64 v[100:101], s[20:21], v[98:99], v[98:99], 1.0
	v_div_scale_f64 v[118:119], vcc, 1.0, v[98:99], 1.0
	v_rcp_f64_e32 v[114:115], v[100:101]
	v_fma_f64 v[116:117], -v[100:101], v[114:115], 1.0
	v_fma_f64 v[114:115], v[114:115], v[116:117], v[114:115]
	v_fma_f64 v[116:117], -v[100:101], v[114:115], 1.0
	v_fma_f64 v[114:115], v[114:115], v[116:117], v[114:115]
	v_mul_f64 v[116:117], v[118:119], v[114:115]
	v_fma_f64 v[100:101], -v[100:101], v[116:117], v[118:119]
	v_div_fmas_f64 v[100:101], v[100:101], v[114:115], v[116:117]
	v_div_fixup_f64 v[98:99], v[100:101], v[98:99], 1.0
	v_mul_f64 v[100:101], v[112:113], -v[98:99]
.LBB46_471:
	s_or_b64 exec, exec, s[8:9]
.LBB46_472:
	s_or_b64 exec, exec, s[0:1]
	v_cmp_ne_u32_e32 vcc, v108, v106
	s_and_saveexec_b64 s[0:1], vcc
	s_xor_b64 s[0:1], exec, s[0:1]
	s_cbranch_execz .LBB46_478
; %bb.473:
	v_cmp_eq_u32_e32 vcc, 22, v108
	s_and_saveexec_b64 s[8:9], vcc
	s_cbranch_execz .LBB46_477
; %bb.474:
	v_cmp_ne_u32_e32 vcc, 22, v106
	s_xor_b64 s[20:21], s[18:19], -1
	s_and_b64 s[24:25], s[20:21], vcc
	s_and_saveexec_b64 s[20:21], s[24:25]
	s_cbranch_execz .LBB46_476
; %bb.475:
	v_ashrrev_i32_e32 v107, 31, v106
	v_lshlrev_b64 v[107:108], 2, v[106:107]
	v_add_co_u32_e32 v107, vcc, v104, v107
	v_addc_co_u32_e32 v108, vcc, v105, v108, vcc
	global_load_dword v0, v[107:108], off
	global_load_dword v112, v[104:105], off offset:88
	s_waitcnt vmcnt(1)
	global_store_dword v[104:105], v0, off offset:88
	s_waitcnt vmcnt(1)
	global_store_dword v[107:108], v112, off
.LBB46_476:
	s_or_b64 exec, exec, s[20:21]
	v_mov_b32_e32 v108, v106
	v_mov_b32_e32 v0, v106
.LBB46_477:
	s_or_b64 exec, exec, s[8:9]
.LBB46_478:
	s_andn2_saveexec_b64 s[0:1], s[0:1]
; %bb.479:
	v_mov_b32_e32 v108, 22
	ds_write2_b64 v1, v[94:95], v[96:97] offset0:46 offset1:47
; %bb.480:
	s_or_b64 exec, exec, s[0:1]
	v_cmp_lt_i32_e32 vcc, 22, v108
	s_waitcnt vmcnt(0) lgkmcnt(0)
	s_barrier
	s_and_saveexec_b64 s[0:1], vcc
	s_cbranch_execz .LBB46_482
; %bb.481:
	v_mul_f64 v[106:107], v[98:99], v[4:5]
	v_mul_f64 v[4:5], v[100:101], v[4:5]
	ds_read2_b64 v[112:115], v1 offset0:46 offset1:47
	v_fma_f64 v[100:101], v[100:101], v[2:3], v[106:107]
	v_fma_f64 v[2:3], v[98:99], v[2:3], -v[4:5]
	s_waitcnt lgkmcnt(0)
	v_mul_f64 v[4:5], v[114:115], v[100:101]
	v_mul_f64 v[98:99], v[112:113], v[100:101]
	v_fma_f64 v[4:5], v[112:113], v[2:3], -v[4:5]
	v_fma_f64 v[98:99], v[114:115], v[2:3], v[98:99]
	v_add_f64 v[94:95], v[94:95], -v[4:5]
	v_add_f64 v[96:97], v[96:97], -v[98:99]
	v_mov_b32_e32 v4, v100
	v_mov_b32_e32 v5, v101
.LBB46_482:
	s_or_b64 exec, exec, s[0:1]
	v_lshl_add_u32 v98, v108, 4, v1
	s_barrier
	ds_write2_b64 v98, v[94:95], v[96:97] offset1:1
	s_waitcnt lgkmcnt(0)
	s_barrier
	ds_read2_b64 v[98:101], v1 offset0:46 offset1:47
	s_cmp_lt_i32 s22, 25
	v_mov_b32_e32 v106, 23
	s_cbranch_scc1 .LBB46_485
; %bb.483:
	v_add_u32_e32 v1, 0x180, v1
	s_mov_b32 s7, 24
	v_mov_b32_e32 v106, 23
.LBB46_484:                             ; =>This Inner Loop Header: Depth=1
	s_waitcnt lgkmcnt(0)
	v_cmp_gt_f64_e32 vcc, 0, v[100:101]
	v_cmp_gt_f64_e64 s[0:1], 0, v[98:99]
	ds_read2_b64 v[112:115], v1 offset1:1
	v_xor_b32_e32 v107, 0x80000000, v99
	v_xor_b32_e32 v119, 0x80000000, v101
	v_mov_b32_e32 v116, v98
	v_mov_b32_e32 v118, v100
	s_waitcnt lgkmcnt(0)
	v_xor_b32_e32 v121, 0x80000000, v115
	v_cndmask_b32_e32 v119, v101, v119, vcc
	v_cndmask_b32_e64 v117, v99, v107, s[0:1]
	v_cmp_gt_f64_e32 vcc, 0, v[114:115]
	v_cmp_gt_f64_e64 s[0:1], 0, v[112:113]
	v_xor_b32_e32 v107, 0x80000000, v113
	v_add_f64 v[116:117], v[116:117], v[118:119]
	v_mov_b32_e32 v118, v112
	v_mov_b32_e32 v120, v114
	v_add_u32_e32 v1, 16, v1
	v_cndmask_b32_e32 v121, v115, v121, vcc
	v_cndmask_b32_e64 v119, v113, v107, s[0:1]
	v_add_f64 v[118:119], v[118:119], v[120:121]
	v_mov_b32_e32 v107, s7
	s_add_i32 s7, s7, 1
	s_cmp_lg_u32 s22, s7
	v_cmp_lt_f64_e32 vcc, v[116:117], v[118:119]
	v_cndmask_b32_e32 v99, v99, v113, vcc
	v_cndmask_b32_e32 v98, v98, v112, vcc
	;; [unrolled: 1-line block ×5, first 2 shown]
	s_cbranch_scc1 .LBB46_484
.LBB46_485:
	s_waitcnt lgkmcnt(0)
	v_cmp_eq_f64_e32 vcc, 0, v[98:99]
	v_cmp_eq_f64_e64 s[0:1], 0, v[100:101]
	s_and_b64 s[0:1], vcc, s[0:1]
	s_and_saveexec_b64 s[8:9], s[0:1]
	s_xor_b64 s[0:1], exec, s[8:9]
; %bb.486:
	v_cmp_ne_u32_e32 vcc, 0, v111
	v_cndmask_b32_e32 v111, 24, v111, vcc
; %bb.487:
	s_andn2_saveexec_b64 s[0:1], s[0:1]
	s_cbranch_execz .LBB46_493
; %bb.488:
	v_cmp_ngt_f64_e64 s[8:9], |v[98:99]|, |v[100:101]|
	s_and_saveexec_b64 s[20:21], s[8:9]
	s_xor_b64 s[8:9], exec, s[20:21]
	s_cbranch_execz .LBB46_490
; %bb.489:
	v_div_scale_f64 v[112:113], s[20:21], v[100:101], v[100:101], v[98:99]
	v_rcp_f64_e32 v[114:115], v[112:113]
	v_fma_f64 v[116:117], -v[112:113], v[114:115], 1.0
	v_fma_f64 v[114:115], v[114:115], v[116:117], v[114:115]
	v_div_scale_f64 v[116:117], vcc, v[98:99], v[100:101], v[98:99]
	v_fma_f64 v[118:119], -v[112:113], v[114:115], 1.0
	v_fma_f64 v[114:115], v[114:115], v[118:119], v[114:115]
	v_mul_f64 v[118:119], v[116:117], v[114:115]
	v_fma_f64 v[112:113], -v[112:113], v[118:119], v[116:117]
	v_div_fmas_f64 v[112:113], v[112:113], v[114:115], v[118:119]
	v_div_fixup_f64 v[112:113], v[112:113], v[100:101], v[98:99]
	v_fma_f64 v[98:99], v[98:99], v[112:113], v[100:101]
	v_div_scale_f64 v[100:101], s[20:21], v[98:99], v[98:99], 1.0
	v_div_scale_f64 v[118:119], vcc, 1.0, v[98:99], 1.0
	v_rcp_f64_e32 v[114:115], v[100:101]
	v_fma_f64 v[116:117], -v[100:101], v[114:115], 1.0
	v_fma_f64 v[114:115], v[114:115], v[116:117], v[114:115]
	v_fma_f64 v[116:117], -v[100:101], v[114:115], 1.0
	v_fma_f64 v[114:115], v[114:115], v[116:117], v[114:115]
	v_mul_f64 v[116:117], v[118:119], v[114:115]
	v_fma_f64 v[100:101], -v[100:101], v[116:117], v[118:119]
	v_div_fmas_f64 v[100:101], v[100:101], v[114:115], v[116:117]
	v_div_fixup_f64 v[100:101], v[100:101], v[98:99], 1.0
	v_mul_f64 v[98:99], v[112:113], v[100:101]
	v_xor_b32_e32 v101, 0x80000000, v101
.LBB46_490:
	s_andn2_saveexec_b64 s[8:9], s[8:9]
	s_cbranch_execz .LBB46_492
; %bb.491:
	v_div_scale_f64 v[112:113], s[20:21], v[98:99], v[98:99], v[100:101]
	v_rcp_f64_e32 v[114:115], v[112:113]
	v_fma_f64 v[116:117], -v[112:113], v[114:115], 1.0
	v_fma_f64 v[114:115], v[114:115], v[116:117], v[114:115]
	v_div_scale_f64 v[116:117], vcc, v[100:101], v[98:99], v[100:101]
	v_fma_f64 v[118:119], -v[112:113], v[114:115], 1.0
	v_fma_f64 v[114:115], v[114:115], v[118:119], v[114:115]
	v_mul_f64 v[118:119], v[116:117], v[114:115]
	v_fma_f64 v[112:113], -v[112:113], v[118:119], v[116:117]
	v_div_fmas_f64 v[112:113], v[112:113], v[114:115], v[118:119]
	v_div_fixup_f64 v[112:113], v[112:113], v[98:99], v[100:101]
	v_fma_f64 v[98:99], v[100:101], v[112:113], v[98:99]
	v_div_scale_f64 v[100:101], s[20:21], v[98:99], v[98:99], 1.0
	v_div_scale_f64 v[118:119], vcc, 1.0, v[98:99], 1.0
	v_rcp_f64_e32 v[114:115], v[100:101]
	v_fma_f64 v[116:117], -v[100:101], v[114:115], 1.0
	v_fma_f64 v[114:115], v[114:115], v[116:117], v[114:115]
	v_fma_f64 v[116:117], -v[100:101], v[114:115], 1.0
	v_fma_f64 v[114:115], v[114:115], v[116:117], v[114:115]
	v_mul_f64 v[116:117], v[118:119], v[114:115]
	v_fma_f64 v[100:101], -v[100:101], v[116:117], v[118:119]
	v_div_fmas_f64 v[100:101], v[100:101], v[114:115], v[116:117]
	v_div_fixup_f64 v[98:99], v[100:101], v[98:99], 1.0
	v_mul_f64 v[100:101], v[112:113], -v[98:99]
.LBB46_492:
	s_or_b64 exec, exec, s[8:9]
.LBB46_493:
	s_or_b64 exec, exec, s[0:1]
	v_cmp_ne_u32_e32 vcc, v108, v106
	v_mov_b32_e32 v107, 23
	s_and_saveexec_b64 s[0:1], vcc
	s_cbranch_execz .LBB46_499
; %bb.494:
	v_cmp_eq_u32_e32 vcc, 23, v108
	s_and_saveexec_b64 s[8:9], vcc
	s_cbranch_execz .LBB46_498
; %bb.495:
	v_cmp_ne_u32_e32 vcc, 23, v106
	s_xor_b64 s[18:19], s[18:19], -1
	s_and_b64 s[20:21], s[18:19], vcc
	s_and_saveexec_b64 s[18:19], s[20:21]
	s_cbranch_execz .LBB46_497
; %bb.496:
	v_ashrrev_i32_e32 v107, 31, v106
	v_lshlrev_b64 v[0:1], 2, v[106:107]
	v_add_co_u32_e32 v0, vcc, v104, v0
	v_addc_co_u32_e32 v1, vcc, v105, v1, vcc
	global_load_dword v107, v[0:1], off
	global_load_dword v108, v[104:105], off offset:92
	s_waitcnt vmcnt(1)
	global_store_dword v[104:105], v107, off offset:92
	s_waitcnt vmcnt(1)
	global_store_dword v[0:1], v108, off
.LBB46_497:
	s_or_b64 exec, exec, s[18:19]
	v_mov_b32_e32 v108, v106
	v_mov_b32_e32 v0, v106
.LBB46_498:
	s_or_b64 exec, exec, s[8:9]
	v_mov_b32_e32 v107, v108
.LBB46_499:
	s_or_b64 exec, exec, s[0:1]
	v_cmp_gt_i32_e32 vcc, 24, v107
	v_ashrrev_i32_e32 v108, 31, v107
	s_waitcnt vmcnt(0)
	s_barrier
	s_barrier
	s_and_saveexec_b64 s[0:1], vcc
	s_cbranch_execz .LBB46_501
; %bb.500:
	v_mul_lo_u32 v1, s15, v102
	v_mul_lo_u32 v106, s14, v103
	v_mad_u64_u32 v[104:105], s[8:9], s14, v102, 0
	s_lshl_b64 s[8:9], s[12:13], 2
	v_add3_u32 v0, v0, s17, 1
	v_add3_u32 v105, v105, v106, v1
	v_lshlrev_b64 v[104:105], 2, v[104:105]
	v_mov_b32_e32 v1, s11
	v_add_co_u32_e32 v104, vcc, s10, v104
	v_addc_co_u32_e32 v1, vcc, v1, v105, vcc
	v_mov_b32_e32 v105, s9
	v_add_co_u32_e32 v106, vcc, s8, v104
	v_addc_co_u32_e32 v1, vcc, v1, v105, vcc
	v_lshlrev_b64 v[104:105], 2, v[107:108]
	v_add_co_u32_e32 v104, vcc, v106, v104
	v_addc_co_u32_e32 v105, vcc, v1, v105, vcc
	global_store_dword v[104:105], v0, off
.LBB46_501:
	s_or_b64 exec, exec, s[0:1]
	v_cmp_eq_u32_e32 vcc, 0, v107
	s_and_saveexec_b64 s[8:9], vcc
	s_cbranch_execz .LBB46_504
; %bb.502:
	v_lshlrev_b64 v[0:1], 2, v[102:103]
	v_mov_b32_e32 v102, s5
	v_add_co_u32_e32 v0, vcc, s4, v0
	v_addc_co_u32_e32 v1, vcc, v102, v1, vcc
	global_load_dword v102, v[0:1], off
	v_cmp_ne_u32_e64 s[0:1], 0, v111
	s_waitcnt vmcnt(0)
	v_cmp_eq_u32_e32 vcc, 0, v102
	s_and_b64 s[0:1], vcc, s[0:1]
	s_and_b64 exec, exec, s[0:1]
	s_cbranch_execz .LBB46_504
; %bb.503:
	v_add_u32_e32 v102, s17, v111
	global_store_dword v[0:1], v102, off
.LBB46_504:
	s_or_b64 exec, exec, s[8:9]
	v_mul_f64 v[0:1], v[98:99], v[96:97]
	v_mul_f64 v[102:103], v[100:101], v[96:97]
	v_lshlrev_b64 v[104:105], 4, v[107:108]
	v_mov_b32_e32 v106, s3
	v_fma_f64 v[0:1], v[100:101], v[94:95], v[0:1]
	v_fma_f64 v[98:99], v[98:99], v[94:95], -v[102:103]
	v_add_co_u32_e32 v100, vcc, v109, v104
	v_addc_co_u32_e32 v101, vcc, v110, v105, vcc
	v_cmp_lt_i32_e32 vcc, 23, v107
	global_store_dwordx4 v[100:101], v[90:93], off
	s_nop 0
	v_cndmask_b32_e32 v93, v97, v1, vcc
	v_cndmask_b32_e32 v92, v96, v0, vcc
	;; [unrolled: 1-line block ×4, first 2 shown]
	v_add_co_u32_e32 v0, vcc, s2, v100
	v_addc_co_u32_e32 v1, vcc, v101, v106, vcc
	global_store_dwordx4 v[0:1], v[86:89], off
	v_add_u32_e32 v0, s16, v107
	v_ashrrev_i32_e32 v1, 31, v0
	v_lshlrev_b64 v[86:87], 4, v[0:1]
	v_add_u32_e32 v0, s6, v0
	v_add_co_u32_e32 v86, vcc, v109, v86
	v_addc_co_u32_e32 v87, vcc, v110, v87, vcc
	v_ashrrev_i32_e32 v1, 31, v0
	global_store_dwordx4 v[86:87], v[82:85], off
	s_nop 0
	v_lshlrev_b64 v[82:83], 4, v[0:1]
	v_add_u32_e32 v0, s6, v0
	v_add_co_u32_e32 v82, vcc, v109, v82
	v_addc_co_u32_e32 v83, vcc, v110, v83, vcc
	v_ashrrev_i32_e32 v1, 31, v0
	global_store_dwordx4 v[82:83], v[78:81], off
	s_nop 0
	;; [unrolled: 7-line block ×20, first 2 shown]
	v_lshlrev_b64 v[6:7], 4, v[0:1]
	v_add_u32_e32 v0, s6, v0
	v_ashrrev_i32_e32 v1, 31, v0
	v_add_co_u32_e32 v6, vcc, v109, v6
	v_lshlrev_b64 v[0:1], 4, v[0:1]
	v_addc_co_u32_e32 v7, vcc, v110, v7, vcc
	v_add_co_u32_e32 v0, vcc, v109, v0
	v_addc_co_u32_e32 v1, vcc, v110, v1, vcc
	global_store_dwordx4 v[6:7], v[2:5], off
	global_store_dwordx4 v[0:1], v[90:93], off
.LBB46_505:
	s_endpgm
	.section	.rodata,"a",@progbits
	.p2align	6, 0x0
	.amdhsa_kernel _ZN9rocsolver6v33100L18getf2_small_kernelILi24E19rocblas_complex_numIdEiiPS3_EEvT1_T3_lS5_lPS5_llPT2_S5_S5_S7_l
		.amdhsa_group_segment_fixed_size 0
		.amdhsa_private_segment_fixed_size 0
		.amdhsa_kernarg_size 352
		.amdhsa_user_sgpr_count 6
		.amdhsa_user_sgpr_private_segment_buffer 1
		.amdhsa_user_sgpr_dispatch_ptr 0
		.amdhsa_user_sgpr_queue_ptr 0
		.amdhsa_user_sgpr_kernarg_segment_ptr 1
		.amdhsa_user_sgpr_dispatch_id 0
		.amdhsa_user_sgpr_flat_scratch_init 0
		.amdhsa_user_sgpr_private_segment_size 0
		.amdhsa_uses_dynamic_stack 0
		.amdhsa_system_sgpr_private_segment_wavefront_offset 0
		.amdhsa_system_sgpr_workgroup_id_x 1
		.amdhsa_system_sgpr_workgroup_id_y 1
		.amdhsa_system_sgpr_workgroup_id_z 0
		.amdhsa_system_sgpr_workgroup_info 0
		.amdhsa_system_vgpr_workitem_id 1
		.amdhsa_next_free_vgpr 124
		.amdhsa_next_free_sgpr 26
		.amdhsa_reserve_vcc 1
		.amdhsa_reserve_flat_scratch 0
		.amdhsa_float_round_mode_32 0
		.amdhsa_float_round_mode_16_64 0
		.amdhsa_float_denorm_mode_32 3
		.amdhsa_float_denorm_mode_16_64 3
		.amdhsa_dx10_clamp 1
		.amdhsa_ieee_mode 1
		.amdhsa_fp16_overflow 0
		.amdhsa_exception_fp_ieee_invalid_op 0
		.amdhsa_exception_fp_denorm_src 0
		.amdhsa_exception_fp_ieee_div_zero 0
		.amdhsa_exception_fp_ieee_overflow 0
		.amdhsa_exception_fp_ieee_underflow 0
		.amdhsa_exception_fp_ieee_inexact 0
		.amdhsa_exception_int_div_zero 0
	.end_amdhsa_kernel
	.section	.text._ZN9rocsolver6v33100L18getf2_small_kernelILi24E19rocblas_complex_numIdEiiPS3_EEvT1_T3_lS5_lPS5_llPT2_S5_S5_S7_l,"axG",@progbits,_ZN9rocsolver6v33100L18getf2_small_kernelILi24E19rocblas_complex_numIdEiiPS3_EEvT1_T3_lS5_lPS5_llPT2_S5_S5_S7_l,comdat
.Lfunc_end46:
	.size	_ZN9rocsolver6v33100L18getf2_small_kernelILi24E19rocblas_complex_numIdEiiPS3_EEvT1_T3_lS5_lPS5_llPT2_S5_S5_S7_l, .Lfunc_end46-_ZN9rocsolver6v33100L18getf2_small_kernelILi24E19rocblas_complex_numIdEiiPS3_EEvT1_T3_lS5_lPS5_llPT2_S5_S5_S7_l
                                        ; -- End function
	.set _ZN9rocsolver6v33100L18getf2_small_kernelILi24E19rocblas_complex_numIdEiiPS3_EEvT1_T3_lS5_lPS5_llPT2_S5_S5_S7_l.num_vgpr, 124
	.set _ZN9rocsolver6v33100L18getf2_small_kernelILi24E19rocblas_complex_numIdEiiPS3_EEvT1_T3_lS5_lPS5_llPT2_S5_S5_S7_l.num_agpr, 0
	.set _ZN9rocsolver6v33100L18getf2_small_kernelILi24E19rocblas_complex_numIdEiiPS3_EEvT1_T3_lS5_lPS5_llPT2_S5_S5_S7_l.numbered_sgpr, 26
	.set _ZN9rocsolver6v33100L18getf2_small_kernelILi24E19rocblas_complex_numIdEiiPS3_EEvT1_T3_lS5_lPS5_llPT2_S5_S5_S7_l.num_named_barrier, 0
	.set _ZN9rocsolver6v33100L18getf2_small_kernelILi24E19rocblas_complex_numIdEiiPS3_EEvT1_T3_lS5_lPS5_llPT2_S5_S5_S7_l.private_seg_size, 0
	.set _ZN9rocsolver6v33100L18getf2_small_kernelILi24E19rocblas_complex_numIdEiiPS3_EEvT1_T3_lS5_lPS5_llPT2_S5_S5_S7_l.uses_vcc, 1
	.set _ZN9rocsolver6v33100L18getf2_small_kernelILi24E19rocblas_complex_numIdEiiPS3_EEvT1_T3_lS5_lPS5_llPT2_S5_S5_S7_l.uses_flat_scratch, 0
	.set _ZN9rocsolver6v33100L18getf2_small_kernelILi24E19rocblas_complex_numIdEiiPS3_EEvT1_T3_lS5_lPS5_llPT2_S5_S5_S7_l.has_dyn_sized_stack, 0
	.set _ZN9rocsolver6v33100L18getf2_small_kernelILi24E19rocblas_complex_numIdEiiPS3_EEvT1_T3_lS5_lPS5_llPT2_S5_S5_S7_l.has_recursion, 0
	.set _ZN9rocsolver6v33100L18getf2_small_kernelILi24E19rocblas_complex_numIdEiiPS3_EEvT1_T3_lS5_lPS5_llPT2_S5_S5_S7_l.has_indirect_call, 0
	.section	.AMDGPU.csdata,"",@progbits
; Kernel info:
; codeLenInByte = 42324
; TotalNumSgprs: 30
; NumVgprs: 124
; ScratchSize: 0
; MemoryBound: 0
; FloatMode: 240
; IeeeMode: 1
; LDSByteSize: 0 bytes/workgroup (compile time only)
; SGPRBlocks: 3
; VGPRBlocks: 30
; NumSGPRsForWavesPerEU: 30
; NumVGPRsForWavesPerEU: 124
; Occupancy: 2
; WaveLimiterHint : 0
; COMPUTE_PGM_RSRC2:SCRATCH_EN: 0
; COMPUTE_PGM_RSRC2:USER_SGPR: 6
; COMPUTE_PGM_RSRC2:TRAP_HANDLER: 0
; COMPUTE_PGM_RSRC2:TGID_X_EN: 1
; COMPUTE_PGM_RSRC2:TGID_Y_EN: 1
; COMPUTE_PGM_RSRC2:TGID_Z_EN: 0
; COMPUTE_PGM_RSRC2:TIDIG_COMP_CNT: 1
	.section	.text._ZN9rocsolver6v33100L23getf2_npvt_small_kernelILi24E19rocblas_complex_numIdEiiPS3_EEvT1_T3_lS5_lPT2_S5_S5_,"axG",@progbits,_ZN9rocsolver6v33100L23getf2_npvt_small_kernelILi24E19rocblas_complex_numIdEiiPS3_EEvT1_T3_lS5_lPT2_S5_S5_,comdat
	.globl	_ZN9rocsolver6v33100L23getf2_npvt_small_kernelILi24E19rocblas_complex_numIdEiiPS3_EEvT1_T3_lS5_lPT2_S5_S5_ ; -- Begin function _ZN9rocsolver6v33100L23getf2_npvt_small_kernelILi24E19rocblas_complex_numIdEiiPS3_EEvT1_T3_lS5_lPT2_S5_S5_
	.p2align	8
	.type	_ZN9rocsolver6v33100L23getf2_npvt_small_kernelILi24E19rocblas_complex_numIdEiiPS3_EEvT1_T3_lS5_lPT2_S5_S5_,@function
_ZN9rocsolver6v33100L23getf2_npvt_small_kernelILi24E19rocblas_complex_numIdEiiPS3_EEvT1_T3_lS5_lPT2_S5_S5_: ; @_ZN9rocsolver6v33100L23getf2_npvt_small_kernelILi24E19rocblas_complex_numIdEiiPS3_EEvT1_T3_lS5_lPT2_S5_S5_
; %bb.0:
	s_mov_b64 s[22:23], s[2:3]
	s_mov_b64 s[20:21], s[0:1]
	s_load_dword s0, s[4:5], 0x44
	s_load_dwordx2 s[12:13], s[4:5], 0x30
	s_add_u32 s20, s20, s8
	s_addc_u32 s21, s21, 0
	s_waitcnt lgkmcnt(0)
	s_lshr_b32 s2, s0, 16
	s_mul_i32 s7, s7, s2
	v_add_u32_e32 v2, s7, v1
	v_cmp_gt_i32_e32 vcc, s12, v2
	s_and_saveexec_b64 s[0:1], vcc
	s_cbranch_execz .LBB47_219
; %bb.1:
	s_load_dwordx4 s[8:11], s[4:5], 0x20
	s_load_dwordx4 s[16:19], s[4:5], 0x8
	v_ashrrev_i32_e32 v3, 31, v2
	s_mulk_i32 s2, 0x180
	s_waitcnt lgkmcnt(0)
	v_mul_lo_u32 v4, s9, v2
	v_mul_lo_u32 v5, s8, v3
	buffer_store_dword v2, off, s[20:23], 0 offset:488 ; 4-byte Folded Spill
	s_nop 0
	buffer_store_dword v3, off, s[20:23], 0 offset:492 ; 4-byte Folded Spill
	v_mov_b32_e32 v6, s17
	v_mad_u64_u32 v[2:3], s[0:1], s8, v2, 0
	s_load_dword s0, s[4:5], 0x18
	s_lshl_b64 s[4:5], s[18:19], 4
	v_add3_u32 v3, v3, v5, v4
	v_lshlrev_b64 v[2:3], 4, v[2:3]
	v_mov_b32_e32 v4, s5
	v_add_co_u32_e32 v2, vcc, s16, v2
	v_addc_co_u32_e32 v3, vcc, v6, v3, vcc
	v_add_co_u32_e32 v2, vcc, s4, v2
	s_waitcnt lgkmcnt(0)
	s_add_i32 s1, s0, s0
	v_addc_co_u32_e32 v3, vcc, v3, v4, vcc
	v_add_u32_e32 v4, s1, v0
	v_ashrrev_i32_e32 v5, 31, v4
	v_lshlrev_b64 v[5:6], 4, v[4:5]
	v_add_u32_e32 v4, s0, v4
	v_add_co_u32_e32 v91, vcc, v2, v5
	v_ashrrev_i32_e32 v5, 31, v4
	v_addc_co_u32_e32 v92, vcc, v3, v6, vcc
	v_lshlrev_b64 v[5:6], 4, v[4:5]
	v_add_u32_e32 v4, s0, v4
	v_add_co_u32_e32 v7, vcc, v2, v5
	v_ashrrev_i32_e32 v5, 31, v4
	v_addc_co_u32_e32 v8, vcc, v3, v6, vcc
	;; [unrolled: 5-line block ×20, first 2 shown]
	v_lshlrev_b64 v[5:6], 4, v[4:5]
	v_add_u32_e32 v4, s0, v4
	v_add_co_u32_e32 v97, vcc, v2, v5
	v_ashrrev_i32_e32 v5, 31, v4
	v_lshlrev_b64 v[4:5], 4, v[4:5]
	v_addc_co_u32_e32 v98, vcc, v3, v6, vcc
	v_add_co_u32_e32 v99, vcc, v2, v4
	v_addc_co_u32_e32 v100, vcc, v3, v5, vcc
	v_lshlrev_b32_e32 v4, 4, v0
	v_add_co_u32_e32 v4, vcc, v2, v4
	s_ashr_i32 s1, s0, 31
	v_addc_co_u32_e32 v5, vcc, 0, v3, vcc
	s_lshl_b64 s[0:1], s[0:1], 4
	v_mov_b32_e32 v2, s1
	v_add_co_u32_e32 v31, vcc, s0, v4
	v_addc_co_u32_e32 v32, vcc, v5, v2, vcc
	buffer_store_dword v4, off, s[20:23], 0 offset:192 ; 4-byte Folded Spill
	s_nop 0
	buffer_store_dword v5, off, s[20:23], 0 offset:196 ; 4-byte Folded Spill
	s_movk_i32 s0, 0x180
	s_add_i32 s1, s2, 0
	v_mad_u32_u24 v125, v1, s0, 0
	v_lshl_add_u32 v127, v1, 4, s1
	v_cmp_ne_u32_e64 s[2:3], 0, v0
	v_cmp_eq_u32_e64 s[0:1], 0, v0
	global_load_dwordx4 v[1:4], v[4:5], off
	s_waitcnt vmcnt(0)
	buffer_store_dword v1, off, s[20:23], 0 offset:16 ; 4-byte Folded Spill
	s_nop 0
	buffer_store_dword v2, off, s[20:23], 0 offset:20 ; 4-byte Folded Spill
	buffer_store_dword v3, off, s[20:23], 0 offset:24 ; 4-byte Folded Spill
	buffer_store_dword v4, off, s[20:23], 0 offset:28 ; 4-byte Folded Spill
	buffer_store_dword v31, off, s[20:23], 0 offset:200 ; 4-byte Folded Spill
	s_nop 0
	buffer_store_dword v32, off, s[20:23], 0 offset:204 ; 4-byte Folded Spill
	global_load_dwordx4 v[1:4], v[31:32], off
	s_waitcnt vmcnt(0)
	buffer_store_dword v1, off, s[20:23], 0 ; 4-byte Folded Spill
	s_nop 0
	buffer_store_dword v2, off, s[20:23], 0 offset:4 ; 4-byte Folded Spill
	buffer_store_dword v3, off, s[20:23], 0 offset:8 ; 4-byte Folded Spill
	;; [unrolled: 1-line block ×3, first 2 shown]
	global_load_dwordx4 v[109:112], v[91:92], off
	s_nop 0
	buffer_store_dword v7, off, s[20:23], 0 offset:32 ; 4-byte Folded Spill
	s_nop 0
	buffer_store_dword v8, off, s[20:23], 0 offset:36 ; 4-byte Folded Spill
	global_load_dwordx4 v[81:84], v[7:8], off
	s_nop 0
	buffer_store_dword v33, off, s[20:23], 0 offset:224 ; 4-byte Folded Spill
	s_nop 0
	buffer_store_dword v34, off, s[20:23], 0 offset:228 ; 4-byte Folded Spill
	;; [unrolled: 5-line block ×21, first 2 shown]
	global_load_dwordx4 v[69:72], v[99:100], off
	s_and_saveexec_b64 s[6:7], s[0:1]
	s_cbranch_execz .LBB47_8
; %bb.2:
	buffer_load_dword v87, off, s[20:23], 0 offset:16 ; 4-byte Folded Reload
	buffer_load_dword v88, off, s[20:23], 0 offset:20 ; 4-byte Folded Reload
	;; [unrolled: 1-line block ×4, first 2 shown]
	s_waitcnt vmcnt(0)
	ds_write2_b64 v127, v[87:88], v[89:90] offset1:1
	buffer_load_dword v87, off, s[20:23], 0 ; 4-byte Folded Reload
	buffer_load_dword v88, off, s[20:23], 0 offset:4 ; 4-byte Folded Reload
	buffer_load_dword v89, off, s[20:23], 0 offset:8 ; 4-byte Folded Reload
	;; [unrolled: 1-line block ×3, first 2 shown]
	s_waitcnt vmcnt(0)
	ds_write2_b64 v125, v[87:88], v[89:90] offset0:2 offset1:3
	ds_write2_b64 v125, v[109:110], v[111:112] offset0:4 offset1:5
	;; [unrolled: 1-line block ×23, first 2 shown]
	ds_read2_b64 v[97:100], v127 offset1:1
	s_waitcnt lgkmcnt(0)
	v_cmp_neq_f64_e32 vcc, 0, v[97:98]
	v_cmp_neq_f64_e64 s[4:5], 0, v[99:100]
	s_or_b64 s[4:5], vcc, s[4:5]
	s_and_b64 exec, exec, s[4:5]
	s_cbranch_execz .LBB47_8
; %bb.3:
	v_cmp_ngt_f64_e64 s[4:5], |v[97:98]|, |v[99:100]|
                                        ; implicit-def: $vgpr101_vgpr102
	s_and_saveexec_b64 s[8:9], s[4:5]
	s_xor_b64 s[4:5], exec, s[8:9]
                                        ; implicit-def: $vgpr103_vgpr104
	s_cbranch_execz .LBB47_5
; %bb.4:
	v_div_scale_f64 v[101:102], s[8:9], v[99:100], v[99:100], v[97:98]
	v_rcp_f64_e32 v[103:104], v[101:102]
	v_fma_f64 v[105:106], -v[101:102], v[103:104], 1.0
	v_fma_f64 v[103:104], v[103:104], v[105:106], v[103:104]
	v_div_scale_f64 v[105:106], vcc, v[97:98], v[99:100], v[97:98]
	v_fma_f64 v[107:108], -v[101:102], v[103:104], 1.0
	v_fma_f64 v[103:104], v[103:104], v[107:108], v[103:104]
	v_mul_f64 v[107:108], v[105:106], v[103:104]
	v_fma_f64 v[101:102], -v[101:102], v[107:108], v[105:106]
	v_div_fmas_f64 v[101:102], v[101:102], v[103:104], v[107:108]
	v_div_fixup_f64 v[101:102], v[101:102], v[99:100], v[97:98]
	v_fma_f64 v[97:98], v[97:98], v[101:102], v[99:100]
	v_div_scale_f64 v[99:100], s[8:9], v[97:98], v[97:98], 1.0
	v_div_scale_f64 v[107:108], vcc, 1.0, v[97:98], 1.0
	v_rcp_f64_e32 v[103:104], v[99:100]
	v_fma_f64 v[105:106], -v[99:100], v[103:104], 1.0
	v_fma_f64 v[103:104], v[103:104], v[105:106], v[103:104]
	v_fma_f64 v[105:106], -v[99:100], v[103:104], 1.0
	v_fma_f64 v[103:104], v[103:104], v[105:106], v[103:104]
	v_mul_f64 v[105:106], v[107:108], v[103:104]
	v_fma_f64 v[99:100], -v[99:100], v[105:106], v[107:108]
	v_div_fmas_f64 v[99:100], v[99:100], v[103:104], v[105:106]
	v_div_fixup_f64 v[103:104], v[99:100], v[97:98], 1.0
                                        ; implicit-def: $vgpr97_vgpr98
	v_mul_f64 v[101:102], v[101:102], v[103:104]
	v_xor_b32_e32 v104, 0x80000000, v104
.LBB47_5:
	s_andn2_saveexec_b64 s[4:5], s[4:5]
	s_cbranch_execz .LBB47_7
; %bb.6:
	v_div_scale_f64 v[101:102], s[8:9], v[97:98], v[97:98], v[99:100]
	v_rcp_f64_e32 v[103:104], v[101:102]
	v_fma_f64 v[105:106], -v[101:102], v[103:104], 1.0
	v_fma_f64 v[103:104], v[103:104], v[105:106], v[103:104]
	v_div_scale_f64 v[105:106], vcc, v[99:100], v[97:98], v[99:100]
	v_fma_f64 v[107:108], -v[101:102], v[103:104], 1.0
	v_fma_f64 v[103:104], v[103:104], v[107:108], v[103:104]
	v_mul_f64 v[107:108], v[105:106], v[103:104]
	v_fma_f64 v[101:102], -v[101:102], v[107:108], v[105:106]
	v_div_fmas_f64 v[101:102], v[101:102], v[103:104], v[107:108]
	v_div_fixup_f64 v[103:104], v[101:102], v[97:98], v[99:100]
	v_fma_f64 v[97:98], v[99:100], v[103:104], v[97:98]
	v_div_scale_f64 v[99:100], s[8:9], v[97:98], v[97:98], 1.0
	v_div_scale_f64 v[107:108], vcc, 1.0, v[97:98], 1.0
	v_rcp_f64_e32 v[101:102], v[99:100]
	v_fma_f64 v[105:106], -v[99:100], v[101:102], 1.0
	v_fma_f64 v[101:102], v[101:102], v[105:106], v[101:102]
	v_fma_f64 v[105:106], -v[99:100], v[101:102], 1.0
	v_fma_f64 v[101:102], v[101:102], v[105:106], v[101:102]
	v_mul_f64 v[105:106], v[107:108], v[101:102]
	v_fma_f64 v[99:100], -v[99:100], v[105:106], v[107:108]
	v_div_fmas_f64 v[99:100], v[99:100], v[101:102], v[105:106]
	v_div_fixup_f64 v[101:102], v[99:100], v[97:98], 1.0
	v_mul_f64 v[103:104], v[103:104], -v[101:102]
.LBB47_7:
	s_or_b64 exec, exec, s[4:5]
	ds_write2_b64 v127, v[101:102], v[103:104] offset1:1
.LBB47_8:
	s_or_b64 exec, exec, s[6:7]
	s_waitcnt vmcnt(0) lgkmcnt(0)
	s_barrier
	ds_read2_b64 v[87:90], v127 offset1:1
	s_waitcnt lgkmcnt(0)
	buffer_store_dword v87, off, s[20:23], 0 offset:208 ; 4-byte Folded Spill
	s_nop 0
	buffer_store_dword v88, off, s[20:23], 0 offset:212 ; 4-byte Folded Spill
	buffer_store_dword v89, off, s[20:23], 0 offset:216 ; 4-byte Folded Spill
	;; [unrolled: 1-line block ×3, first 2 shown]
	s_and_saveexec_b64 s[4:5], s[2:3]
	s_cbranch_execz .LBB47_10
; %bb.9:
	buffer_load_dword v93, off, s[20:23], 0 offset:16 ; 4-byte Folded Reload
	buffer_load_dword v94, off, s[20:23], 0 offset:20 ; 4-byte Folded Reload
	;; [unrolled: 1-line block ×8, first 2 shown]
	ds_read2_b64 v[99:102], v125 offset0:2 offset1:3
	s_waitcnt vmcnt(0)
	v_mul_f64 v[97:98], v[89:90], v[95:96]
	v_mul_f64 v[95:96], v[87:88], v[95:96]
	v_fma_f64 v[97:98], v[87:88], v[93:94], -v[97:98]
	v_fma_f64 v[95:96], v[89:90], v[93:94], v[95:96]
	buffer_load_dword v87, off, s[20:23], 0 ; 4-byte Folded Reload
	buffer_load_dword v88, off, s[20:23], 0 offset:4 ; 4-byte Folded Reload
	buffer_load_dword v89, off, s[20:23], 0 offset:8 ; 4-byte Folded Reload
	;; [unrolled: 1-line block ×3, first 2 shown]
	s_waitcnt lgkmcnt(0)
	v_mul_f64 v[93:94], v[101:102], v[95:96]
	v_fma_f64 v[93:94], v[99:100], v[97:98], -v[93:94]
	v_mul_f64 v[99:100], v[99:100], v[95:96]
	v_fma_f64 v[99:100], v[101:102], v[97:98], v[99:100]
	s_waitcnt vmcnt(2)
	v_add_f64 v[87:88], v[87:88], -v[93:94]
	s_waitcnt vmcnt(0)
	v_add_f64 v[89:90], v[89:90], -v[99:100]
	buffer_store_dword v87, off, s[20:23], 0 ; 4-byte Folded Spill
	s_nop 0
	buffer_store_dword v88, off, s[20:23], 0 offset:4 ; 4-byte Folded Spill
	buffer_store_dword v89, off, s[20:23], 0 offset:8 ; 4-byte Folded Spill
	;; [unrolled: 1-line block ×3, first 2 shown]
	ds_read2_b64 v[99:102], v125 offset0:4 offset1:5
	s_waitcnt lgkmcnt(0)
	v_mul_f64 v[93:94], v[101:102], v[95:96]
	v_fma_f64 v[93:94], v[99:100], v[97:98], -v[93:94]
	v_mul_f64 v[99:100], v[99:100], v[95:96]
	v_add_f64 v[109:110], v[109:110], -v[93:94]
	v_fma_f64 v[99:100], v[101:102], v[97:98], v[99:100]
	v_add_f64 v[111:112], v[111:112], -v[99:100]
	ds_read2_b64 v[99:102], v125 offset0:6 offset1:7
	s_waitcnt lgkmcnt(0)
	v_mul_f64 v[93:94], v[101:102], v[95:96]
	v_fma_f64 v[93:94], v[99:100], v[97:98], -v[93:94]
	v_mul_f64 v[99:100], v[99:100], v[95:96]
	v_add_f64 v[81:82], v[81:82], -v[93:94]
	v_fma_f64 v[99:100], v[101:102], v[97:98], v[99:100]
	v_add_f64 v[83:84], v[83:84], -v[99:100]
	;; [unrolled: 8-line block ×21, first 2 shown]
	ds_read2_b64 v[99:102], v125 offset0:46 offset1:47
	s_waitcnt lgkmcnt(0)
	v_mul_f64 v[93:94], v[101:102], v[95:96]
	v_fma_f64 v[93:94], v[99:100], v[97:98], -v[93:94]
	v_mul_f64 v[99:100], v[99:100], v[95:96]
	v_add_f64 v[69:70], v[69:70], -v[93:94]
	v_fma_f64 v[99:100], v[101:102], v[97:98], v[99:100]
	v_mov_b32_e32 v93, v97
	v_mov_b32_e32 v94, v98
	buffer_store_dword v93, off, s[20:23], 0 offset:16 ; 4-byte Folded Spill
	s_nop 0
	buffer_store_dword v94, off, s[20:23], 0 offset:20 ; 4-byte Folded Spill
	buffer_store_dword v95, off, s[20:23], 0 offset:24 ; 4-byte Folded Spill
	;; [unrolled: 1-line block ×3, first 2 shown]
	v_add_f64 v[71:72], v[71:72], -v[99:100]
.LBB47_10:
	s_or_b64 exec, exec, s[4:5]
	s_waitcnt vmcnt(0)
	s_barrier
	v_cmp_eq_u32_e32 vcc, 1, v0
	s_mov_b64 s[4:5], exec
	v_mov_b32_e32 v93, v109
	s_and_b64 s[2:3], s[4:5], vcc
	v_mov_b32_e32 v94, v110
	v_mov_b32_e32 v95, v111
	;; [unrolled: 1-line block ×3, first 2 shown]
	s_mov_b64 exec, s[2:3]
	s_cbranch_execz .LBB47_17
; %bb.11:
	buffer_load_dword v87, off, s[20:23], 0 ; 4-byte Folded Reload
	buffer_load_dword v88, off, s[20:23], 0 offset:4 ; 4-byte Folded Reload
	buffer_load_dword v89, off, s[20:23], 0 offset:8 ; 4-byte Folded Reload
	;; [unrolled: 1-line block ×3, first 2 shown]
	s_waitcnt vmcnt(0)
	ds_write2_b64 v127, v[87:88], v[89:90] offset1:1
	ds_write2_b64 v125, v[93:94], v[95:96] offset0:4 offset1:5
	ds_write2_b64 v125, v[81:82], v[83:84] offset0:6 offset1:7
	;; [unrolled: 1-line block ×22, first 2 shown]
	ds_read2_b64 v[97:100], v127 offset1:1
	s_waitcnt lgkmcnt(0)
	v_cmp_neq_f64_e32 vcc, 0, v[97:98]
	v_cmp_neq_f64_e64 s[2:3], 0, v[99:100]
	s_or_b64 s[2:3], vcc, s[2:3]
	s_and_b64 exec, exec, s[2:3]
	s_cbranch_execz .LBB47_17
; %bb.12:
	v_cmp_ngt_f64_e64 s[2:3], |v[97:98]|, |v[99:100]|
                                        ; implicit-def: $vgpr101_vgpr102
	s_and_saveexec_b64 s[6:7], s[2:3]
	s_xor_b64 s[2:3], exec, s[6:7]
                                        ; implicit-def: $vgpr103_vgpr104
	s_cbranch_execz .LBB47_14
; %bb.13:
	v_div_scale_f64 v[101:102], s[6:7], v[99:100], v[99:100], v[97:98]
	v_rcp_f64_e32 v[103:104], v[101:102]
	v_fma_f64 v[105:106], -v[101:102], v[103:104], 1.0
	v_fma_f64 v[103:104], v[103:104], v[105:106], v[103:104]
	v_div_scale_f64 v[105:106], vcc, v[97:98], v[99:100], v[97:98]
	v_fma_f64 v[107:108], -v[101:102], v[103:104], 1.0
	v_fma_f64 v[103:104], v[103:104], v[107:108], v[103:104]
	v_mul_f64 v[107:108], v[105:106], v[103:104]
	v_fma_f64 v[101:102], -v[101:102], v[107:108], v[105:106]
	v_div_fmas_f64 v[101:102], v[101:102], v[103:104], v[107:108]
	v_div_fixup_f64 v[101:102], v[101:102], v[99:100], v[97:98]
	v_fma_f64 v[97:98], v[97:98], v[101:102], v[99:100]
	v_div_scale_f64 v[99:100], s[6:7], v[97:98], v[97:98], 1.0
	v_div_scale_f64 v[107:108], vcc, 1.0, v[97:98], 1.0
	v_rcp_f64_e32 v[103:104], v[99:100]
	v_fma_f64 v[105:106], -v[99:100], v[103:104], 1.0
	v_fma_f64 v[103:104], v[103:104], v[105:106], v[103:104]
	v_fma_f64 v[105:106], -v[99:100], v[103:104], 1.0
	v_fma_f64 v[103:104], v[103:104], v[105:106], v[103:104]
	v_mul_f64 v[105:106], v[107:108], v[103:104]
	v_fma_f64 v[99:100], -v[99:100], v[105:106], v[107:108]
	v_div_fmas_f64 v[99:100], v[99:100], v[103:104], v[105:106]
	v_div_fixup_f64 v[103:104], v[99:100], v[97:98], 1.0
                                        ; implicit-def: $vgpr97_vgpr98
	v_mul_f64 v[101:102], v[101:102], v[103:104]
	v_xor_b32_e32 v104, 0x80000000, v104
.LBB47_14:
	s_andn2_saveexec_b64 s[2:3], s[2:3]
	s_cbranch_execz .LBB47_16
; %bb.15:
	v_div_scale_f64 v[101:102], s[6:7], v[97:98], v[97:98], v[99:100]
	v_rcp_f64_e32 v[103:104], v[101:102]
	v_fma_f64 v[105:106], -v[101:102], v[103:104], 1.0
	v_fma_f64 v[103:104], v[103:104], v[105:106], v[103:104]
	v_div_scale_f64 v[105:106], vcc, v[99:100], v[97:98], v[99:100]
	v_fma_f64 v[107:108], -v[101:102], v[103:104], 1.0
	v_fma_f64 v[103:104], v[103:104], v[107:108], v[103:104]
	v_mul_f64 v[107:108], v[105:106], v[103:104]
	v_fma_f64 v[101:102], -v[101:102], v[107:108], v[105:106]
	v_div_fmas_f64 v[101:102], v[101:102], v[103:104], v[107:108]
	v_div_fixup_f64 v[103:104], v[101:102], v[97:98], v[99:100]
	v_fma_f64 v[97:98], v[99:100], v[103:104], v[97:98]
	v_div_scale_f64 v[99:100], s[6:7], v[97:98], v[97:98], 1.0
	v_div_scale_f64 v[107:108], vcc, 1.0, v[97:98], 1.0
	v_rcp_f64_e32 v[101:102], v[99:100]
	v_fma_f64 v[105:106], -v[99:100], v[101:102], 1.0
	v_fma_f64 v[101:102], v[101:102], v[105:106], v[101:102]
	v_fma_f64 v[105:106], -v[99:100], v[101:102], 1.0
	v_fma_f64 v[101:102], v[101:102], v[105:106], v[101:102]
	v_mul_f64 v[105:106], v[107:108], v[101:102]
	v_fma_f64 v[99:100], -v[99:100], v[105:106], v[107:108]
	v_div_fmas_f64 v[99:100], v[99:100], v[101:102], v[105:106]
	v_div_fixup_f64 v[101:102], v[99:100], v[97:98], 1.0
	v_mul_f64 v[103:104], v[103:104], -v[101:102]
.LBB47_16:
	s_or_b64 exec, exec, s[2:3]
	ds_write2_b64 v127, v[101:102], v[103:104] offset1:1
.LBB47_17:
	s_or_b64 exec, exec, s[4:5]
	s_waitcnt lgkmcnt(0)
	s_barrier
	ds_read2_b64 v[109:112], v127 offset1:1
	v_cmp_lt_u32_e32 vcc, 1, v0
	s_and_saveexec_b64 s[2:3], vcc
	s_cbranch_execz .LBB47_19
; %bb.18:
	buffer_load_dword v101, off, s[20:23], 0 ; 4-byte Folded Reload
	buffer_load_dword v102, off, s[20:23], 0 offset:4 ; 4-byte Folded Reload
	buffer_load_dword v103, off, s[20:23], 0 offset:8 ; 4-byte Folded Reload
	;; [unrolled: 1-line block ×3, first 2 shown]
	v_mov_b32_e32 v89, v91
	v_mov_b32_e32 v90, v92
	s_waitcnt vmcnt(0) lgkmcnt(0)
	v_mul_f64 v[91:92], v[109:110], v[103:104]
	v_mul_f64 v[97:98], v[111:112], v[103:104]
	v_fma_f64 v[103:104], v[111:112], v[101:102], v[91:92]
	v_fma_f64 v[97:98], v[109:110], v[101:102], -v[97:98]
	ds_read2_b64 v[99:102], v125 offset0:4 offset1:5
	v_mov_b32_e32 v92, v90
	v_mov_b32_e32 v91, v89
	s_waitcnt lgkmcnt(0)
	v_mul_f64 v[89:90], v[101:102], v[103:104]
	v_fma_f64 v[89:90], v[99:100], v[97:98], -v[89:90]
	v_mul_f64 v[99:100], v[99:100], v[103:104]
	v_add_f64 v[93:94], v[93:94], -v[89:90]
	v_fma_f64 v[99:100], v[101:102], v[97:98], v[99:100]
	v_add_f64 v[95:96], v[95:96], -v[99:100]
	ds_read2_b64 v[99:102], v125 offset0:6 offset1:7
	s_waitcnt lgkmcnt(0)
	v_mul_f64 v[89:90], v[101:102], v[103:104]
	v_fma_f64 v[89:90], v[99:100], v[97:98], -v[89:90]
	v_mul_f64 v[99:100], v[99:100], v[103:104]
	v_add_f64 v[81:82], v[81:82], -v[89:90]
	v_fma_f64 v[99:100], v[101:102], v[97:98], v[99:100]
	v_add_f64 v[83:84], v[83:84], -v[99:100]
	ds_read2_b64 v[99:102], v125 offset0:8 offset1:9
	;; [unrolled: 8-line block ×21, first 2 shown]
	s_waitcnt lgkmcnt(0)
	v_mul_f64 v[89:90], v[101:102], v[103:104]
	v_fma_f64 v[89:90], v[99:100], v[97:98], -v[89:90]
	v_mul_f64 v[99:100], v[99:100], v[103:104]
	v_add_f64 v[69:70], v[69:70], -v[89:90]
	v_fma_f64 v[99:100], v[101:102], v[97:98], v[99:100]
	v_mov_b32_e32 v102, v98
	v_mov_b32_e32 v101, v97
	buffer_store_dword v101, off, s[20:23], 0 ; 4-byte Folded Spill
	s_nop 0
	buffer_store_dword v102, off, s[20:23], 0 offset:4 ; 4-byte Folded Spill
	buffer_store_dword v103, off, s[20:23], 0 offset:8 ; 4-byte Folded Spill
	;; [unrolled: 1-line block ×3, first 2 shown]
	v_add_f64 v[71:72], v[71:72], -v[99:100]
.LBB47_19:
	s_or_b64 exec, exec, s[2:3]
	v_cmp_eq_u32_e32 vcc, 2, v0
	s_waitcnt vmcnt(0) lgkmcnt(0)
	s_barrier
	s_and_saveexec_b64 s[4:5], vcc
	s_cbranch_execz .LBB47_26
; %bb.20:
	ds_write2_b64 v127, v[93:94], v[95:96] offset1:1
	ds_write2_b64 v125, v[81:82], v[83:84] offset0:6 offset1:7
	ds_write2_b64 v125, v[77:78], v[79:80] offset0:8 offset1:9
	;; [unrolled: 1-line block ×21, first 2 shown]
	ds_read2_b64 v[97:100], v127 offset1:1
	s_waitcnt lgkmcnt(0)
	v_cmp_neq_f64_e32 vcc, 0, v[97:98]
	v_cmp_neq_f64_e64 s[2:3], 0, v[99:100]
	s_or_b64 s[2:3], vcc, s[2:3]
	s_and_b64 exec, exec, s[2:3]
	s_cbranch_execz .LBB47_26
; %bb.21:
	v_cmp_ngt_f64_e64 s[2:3], |v[97:98]|, |v[99:100]|
                                        ; implicit-def: $vgpr101_vgpr102
	s_and_saveexec_b64 s[6:7], s[2:3]
	s_xor_b64 s[2:3], exec, s[6:7]
                                        ; implicit-def: $vgpr103_vgpr104
	s_cbranch_execz .LBB47_23
; %bb.22:
	v_div_scale_f64 v[101:102], s[6:7], v[99:100], v[99:100], v[97:98]
	v_rcp_f64_e32 v[103:104], v[101:102]
	v_fma_f64 v[105:106], -v[101:102], v[103:104], 1.0
	v_fma_f64 v[103:104], v[103:104], v[105:106], v[103:104]
	v_div_scale_f64 v[105:106], vcc, v[97:98], v[99:100], v[97:98]
	v_fma_f64 v[107:108], -v[101:102], v[103:104], 1.0
	v_fma_f64 v[103:104], v[103:104], v[107:108], v[103:104]
	v_mul_f64 v[107:108], v[105:106], v[103:104]
	v_fma_f64 v[101:102], -v[101:102], v[107:108], v[105:106]
	v_div_fmas_f64 v[101:102], v[101:102], v[103:104], v[107:108]
	v_div_fixup_f64 v[101:102], v[101:102], v[99:100], v[97:98]
	v_fma_f64 v[97:98], v[97:98], v[101:102], v[99:100]
	v_div_scale_f64 v[99:100], s[6:7], v[97:98], v[97:98], 1.0
	v_div_scale_f64 v[107:108], vcc, 1.0, v[97:98], 1.0
	v_rcp_f64_e32 v[103:104], v[99:100]
	v_fma_f64 v[105:106], -v[99:100], v[103:104], 1.0
	v_fma_f64 v[103:104], v[103:104], v[105:106], v[103:104]
	v_fma_f64 v[105:106], -v[99:100], v[103:104], 1.0
	v_fma_f64 v[103:104], v[103:104], v[105:106], v[103:104]
	v_mul_f64 v[105:106], v[107:108], v[103:104]
	v_fma_f64 v[99:100], -v[99:100], v[105:106], v[107:108]
	v_div_fmas_f64 v[99:100], v[99:100], v[103:104], v[105:106]
	v_div_fixup_f64 v[103:104], v[99:100], v[97:98], 1.0
                                        ; implicit-def: $vgpr97_vgpr98
	v_mul_f64 v[101:102], v[101:102], v[103:104]
	v_xor_b32_e32 v104, 0x80000000, v104
.LBB47_23:
	s_andn2_saveexec_b64 s[2:3], s[2:3]
	s_cbranch_execz .LBB47_25
; %bb.24:
	v_div_scale_f64 v[101:102], s[6:7], v[97:98], v[97:98], v[99:100]
	v_rcp_f64_e32 v[103:104], v[101:102]
	v_fma_f64 v[105:106], -v[101:102], v[103:104], 1.0
	v_fma_f64 v[103:104], v[103:104], v[105:106], v[103:104]
	v_div_scale_f64 v[105:106], vcc, v[99:100], v[97:98], v[99:100]
	v_fma_f64 v[107:108], -v[101:102], v[103:104], 1.0
	v_fma_f64 v[103:104], v[103:104], v[107:108], v[103:104]
	v_mul_f64 v[107:108], v[105:106], v[103:104]
	v_fma_f64 v[101:102], -v[101:102], v[107:108], v[105:106]
	v_div_fmas_f64 v[101:102], v[101:102], v[103:104], v[107:108]
	v_div_fixup_f64 v[103:104], v[101:102], v[97:98], v[99:100]
	v_fma_f64 v[97:98], v[99:100], v[103:104], v[97:98]
	v_div_scale_f64 v[99:100], s[6:7], v[97:98], v[97:98], 1.0
	v_div_scale_f64 v[107:108], vcc, 1.0, v[97:98], 1.0
	v_rcp_f64_e32 v[101:102], v[99:100]
	v_fma_f64 v[105:106], -v[99:100], v[101:102], 1.0
	v_fma_f64 v[101:102], v[101:102], v[105:106], v[101:102]
	v_fma_f64 v[105:106], -v[99:100], v[101:102], 1.0
	v_fma_f64 v[101:102], v[101:102], v[105:106], v[101:102]
	v_mul_f64 v[105:106], v[107:108], v[101:102]
	v_fma_f64 v[99:100], -v[99:100], v[105:106], v[107:108]
	v_div_fmas_f64 v[99:100], v[99:100], v[101:102], v[105:106]
	v_div_fixup_f64 v[101:102], v[99:100], v[97:98], 1.0
	v_mul_f64 v[103:104], v[103:104], -v[101:102]
.LBB47_25:
	s_or_b64 exec, exec, s[2:3]
	ds_write2_b64 v127, v[101:102], v[103:104] offset1:1
.LBB47_26:
	s_or_b64 exec, exec, s[4:5]
	s_waitcnt lgkmcnt(0)
	s_barrier
	ds_read2_b64 v[113:116], v127 offset1:1
	v_cmp_lt_u32_e32 vcc, 2, v0
	s_and_saveexec_b64 s[2:3], vcc
	s_cbranch_execz .LBB47_28
; %bb.27:
	s_waitcnt lgkmcnt(0)
	v_mul_f64 v[87:88], v[113:114], v[95:96]
	v_mul_f64 v[97:98], v[115:116], v[95:96]
	ds_read2_b64 v[99:102], v125 offset0:6 offset1:7
	v_fma_f64 v[95:96], v[115:116], v[93:94], v[87:88]
	v_fma_f64 v[97:98], v[113:114], v[93:94], -v[97:98]
	s_waitcnt lgkmcnt(0)
	v_mul_f64 v[85:86], v[101:102], v[95:96]
	v_mov_b32_e32 v93, v97
	v_mov_b32_e32 v94, v98
	v_fma_f64 v[85:86], v[99:100], v[97:98], -v[85:86]
	v_mul_f64 v[99:100], v[99:100], v[95:96]
	v_add_f64 v[81:82], v[81:82], -v[85:86]
	v_fma_f64 v[99:100], v[101:102], v[97:98], v[99:100]
	v_add_f64 v[83:84], v[83:84], -v[99:100]
	ds_read2_b64 v[99:102], v125 offset0:8 offset1:9
	s_waitcnt lgkmcnt(0)
	v_mul_f64 v[85:86], v[101:102], v[95:96]
	v_fma_f64 v[85:86], v[99:100], v[97:98], -v[85:86]
	v_mul_f64 v[99:100], v[99:100], v[95:96]
	v_add_f64 v[77:78], v[77:78], -v[85:86]
	v_fma_f64 v[99:100], v[101:102], v[97:98], v[99:100]
	v_add_f64 v[79:80], v[79:80], -v[99:100]
	ds_read2_b64 v[99:102], v125 offset0:10 offset1:11
	s_waitcnt lgkmcnt(0)
	v_mul_f64 v[85:86], v[101:102], v[95:96]
	;; [unrolled: 8-line block ×20, first 2 shown]
	v_fma_f64 v[85:86], v[99:100], v[97:98], -v[85:86]
	v_mul_f64 v[99:100], v[99:100], v[95:96]
	v_add_f64 v[69:70], v[69:70], -v[85:86]
	v_fma_f64 v[99:100], v[101:102], v[97:98], v[99:100]
	v_add_f64 v[71:72], v[71:72], -v[99:100]
.LBB47_28:
	s_or_b64 exec, exec, s[2:3]
	v_cmp_eq_u32_e32 vcc, 3, v0
	s_waitcnt lgkmcnt(0)
	s_barrier
	s_and_saveexec_b64 s[4:5], vcc
	s_cbranch_execz .LBB47_35
; %bb.29:
	ds_write2_b64 v127, v[81:82], v[83:84] offset1:1
	ds_write2_b64 v125, v[77:78], v[79:80] offset0:8 offset1:9
	ds_write2_b64 v125, v[73:74], v[75:76] offset0:10 offset1:11
	;; [unrolled: 1-line block ×20, first 2 shown]
	ds_read2_b64 v[97:100], v127 offset1:1
	s_waitcnt lgkmcnt(0)
	v_cmp_neq_f64_e32 vcc, 0, v[97:98]
	v_cmp_neq_f64_e64 s[2:3], 0, v[99:100]
	s_or_b64 s[2:3], vcc, s[2:3]
	s_and_b64 exec, exec, s[2:3]
	s_cbranch_execz .LBB47_35
; %bb.30:
	v_cmp_ngt_f64_e64 s[2:3], |v[97:98]|, |v[99:100]|
                                        ; implicit-def: $vgpr101_vgpr102
	s_and_saveexec_b64 s[6:7], s[2:3]
	s_xor_b64 s[2:3], exec, s[6:7]
                                        ; implicit-def: $vgpr103_vgpr104
	s_cbranch_execz .LBB47_32
; %bb.31:
	v_div_scale_f64 v[101:102], s[6:7], v[99:100], v[99:100], v[97:98]
	v_rcp_f64_e32 v[103:104], v[101:102]
	v_fma_f64 v[105:106], -v[101:102], v[103:104], 1.0
	v_fma_f64 v[103:104], v[103:104], v[105:106], v[103:104]
	v_div_scale_f64 v[105:106], vcc, v[97:98], v[99:100], v[97:98]
	v_fma_f64 v[107:108], -v[101:102], v[103:104], 1.0
	v_fma_f64 v[103:104], v[103:104], v[107:108], v[103:104]
	v_mul_f64 v[107:108], v[105:106], v[103:104]
	v_fma_f64 v[101:102], -v[101:102], v[107:108], v[105:106]
	v_div_fmas_f64 v[101:102], v[101:102], v[103:104], v[107:108]
	v_div_fixup_f64 v[101:102], v[101:102], v[99:100], v[97:98]
	v_fma_f64 v[97:98], v[97:98], v[101:102], v[99:100]
	v_div_scale_f64 v[99:100], s[6:7], v[97:98], v[97:98], 1.0
	v_div_scale_f64 v[107:108], vcc, 1.0, v[97:98], 1.0
	v_rcp_f64_e32 v[103:104], v[99:100]
	v_fma_f64 v[105:106], -v[99:100], v[103:104], 1.0
	v_fma_f64 v[103:104], v[103:104], v[105:106], v[103:104]
	v_fma_f64 v[105:106], -v[99:100], v[103:104], 1.0
	v_fma_f64 v[103:104], v[103:104], v[105:106], v[103:104]
	v_mul_f64 v[105:106], v[107:108], v[103:104]
	v_fma_f64 v[99:100], -v[99:100], v[105:106], v[107:108]
	v_div_fmas_f64 v[99:100], v[99:100], v[103:104], v[105:106]
	v_div_fixup_f64 v[103:104], v[99:100], v[97:98], 1.0
                                        ; implicit-def: $vgpr97_vgpr98
	v_mul_f64 v[101:102], v[101:102], v[103:104]
	v_xor_b32_e32 v104, 0x80000000, v104
.LBB47_32:
	s_andn2_saveexec_b64 s[2:3], s[2:3]
	s_cbranch_execz .LBB47_34
; %bb.33:
	v_div_scale_f64 v[101:102], s[6:7], v[97:98], v[97:98], v[99:100]
	v_rcp_f64_e32 v[103:104], v[101:102]
	v_fma_f64 v[105:106], -v[101:102], v[103:104], 1.0
	v_fma_f64 v[103:104], v[103:104], v[105:106], v[103:104]
	v_div_scale_f64 v[105:106], vcc, v[99:100], v[97:98], v[99:100]
	v_fma_f64 v[107:108], -v[101:102], v[103:104], 1.0
	v_fma_f64 v[103:104], v[103:104], v[107:108], v[103:104]
	v_mul_f64 v[107:108], v[105:106], v[103:104]
	v_fma_f64 v[101:102], -v[101:102], v[107:108], v[105:106]
	v_div_fmas_f64 v[101:102], v[101:102], v[103:104], v[107:108]
	v_div_fixup_f64 v[103:104], v[101:102], v[97:98], v[99:100]
	v_fma_f64 v[97:98], v[99:100], v[103:104], v[97:98]
	v_div_scale_f64 v[99:100], s[6:7], v[97:98], v[97:98], 1.0
	v_div_scale_f64 v[107:108], vcc, 1.0, v[97:98], 1.0
	v_rcp_f64_e32 v[101:102], v[99:100]
	v_fma_f64 v[105:106], -v[99:100], v[101:102], 1.0
	v_fma_f64 v[101:102], v[101:102], v[105:106], v[101:102]
	v_fma_f64 v[105:106], -v[99:100], v[101:102], 1.0
	v_fma_f64 v[101:102], v[101:102], v[105:106], v[101:102]
	v_mul_f64 v[105:106], v[107:108], v[101:102]
	v_fma_f64 v[99:100], -v[99:100], v[105:106], v[107:108]
	v_div_fmas_f64 v[99:100], v[99:100], v[101:102], v[105:106]
	v_div_fixup_f64 v[101:102], v[99:100], v[97:98], 1.0
	v_mul_f64 v[103:104], v[103:104], -v[101:102]
.LBB47_34:
	s_or_b64 exec, exec, s[2:3]
	ds_write2_b64 v127, v[101:102], v[103:104] offset1:1
.LBB47_35:
	s_or_b64 exec, exec, s[4:5]
	s_waitcnt lgkmcnt(0)
	s_barrier
	ds_read2_b64 v[117:120], v127 offset1:1
	v_cmp_lt_u32_e32 vcc, 3, v0
	s_and_saveexec_b64 s[2:3], vcc
	s_cbranch_execz .LBB47_37
; %bb.36:
	s_waitcnt lgkmcnt(0)
	v_mul_f64 v[97:98], v[119:120], v[83:84]
	v_mul_f64 v[83:84], v[117:118], v[83:84]
	ds_read2_b64 v[99:102], v125 offset0:8 offset1:9
	v_fma_f64 v[97:98], v[117:118], v[81:82], -v[97:98]
	v_fma_f64 v[83:84], v[119:120], v[81:82], v[83:84]
	s_waitcnt lgkmcnt(0)
	v_mul_f64 v[81:82], v[101:102], v[83:84]
	v_fma_f64 v[81:82], v[99:100], v[97:98], -v[81:82]
	v_mul_f64 v[99:100], v[99:100], v[83:84]
	v_add_f64 v[77:78], v[77:78], -v[81:82]
	v_fma_f64 v[99:100], v[101:102], v[97:98], v[99:100]
	v_add_f64 v[79:80], v[79:80], -v[99:100]
	ds_read2_b64 v[99:102], v125 offset0:10 offset1:11
	s_waitcnt lgkmcnt(0)
	v_mul_f64 v[81:82], v[101:102], v[83:84]
	v_fma_f64 v[81:82], v[99:100], v[97:98], -v[81:82]
	v_mul_f64 v[99:100], v[99:100], v[83:84]
	v_add_f64 v[73:74], v[73:74], -v[81:82]
	v_fma_f64 v[99:100], v[101:102], v[97:98], v[99:100]
	v_add_f64 v[75:76], v[75:76], -v[99:100]
	ds_read2_b64 v[99:102], v125 offset0:12 offset1:13
	;; [unrolled: 8-line block ×19, first 2 shown]
	s_waitcnt lgkmcnt(0)
	v_mul_f64 v[81:82], v[101:102], v[83:84]
	v_fma_f64 v[81:82], v[99:100], v[97:98], -v[81:82]
	v_mul_f64 v[99:100], v[99:100], v[83:84]
	v_add_f64 v[69:70], v[69:70], -v[81:82]
	v_fma_f64 v[99:100], v[101:102], v[97:98], v[99:100]
	v_mov_b32_e32 v81, v97
	v_mov_b32_e32 v82, v98
	v_add_f64 v[71:72], v[71:72], -v[99:100]
.LBB47_37:
	s_or_b64 exec, exec, s[2:3]
	v_cmp_eq_u32_e32 vcc, 4, v0
	s_waitcnt lgkmcnt(0)
	s_barrier
	s_and_saveexec_b64 s[4:5], vcc
	s_cbranch_execz .LBB47_44
; %bb.38:
	ds_write2_b64 v127, v[77:78], v[79:80] offset1:1
	ds_write2_b64 v125, v[73:74], v[75:76] offset0:10 offset1:11
	ds_write2_b64 v125, v[65:66], v[67:68] offset0:12 offset1:13
	;; [unrolled: 1-line block ×19, first 2 shown]
	ds_read2_b64 v[97:100], v127 offset1:1
	s_waitcnt lgkmcnt(0)
	v_cmp_neq_f64_e32 vcc, 0, v[97:98]
	v_cmp_neq_f64_e64 s[2:3], 0, v[99:100]
	s_or_b64 s[2:3], vcc, s[2:3]
	s_and_b64 exec, exec, s[2:3]
	s_cbranch_execz .LBB47_44
; %bb.39:
	v_cmp_ngt_f64_e64 s[2:3], |v[97:98]|, |v[99:100]|
                                        ; implicit-def: $vgpr101_vgpr102
	s_and_saveexec_b64 s[6:7], s[2:3]
	s_xor_b64 s[2:3], exec, s[6:7]
                                        ; implicit-def: $vgpr103_vgpr104
	s_cbranch_execz .LBB47_41
; %bb.40:
	v_div_scale_f64 v[101:102], s[6:7], v[99:100], v[99:100], v[97:98]
	v_rcp_f64_e32 v[103:104], v[101:102]
	v_fma_f64 v[105:106], -v[101:102], v[103:104], 1.0
	v_fma_f64 v[103:104], v[103:104], v[105:106], v[103:104]
	v_div_scale_f64 v[105:106], vcc, v[97:98], v[99:100], v[97:98]
	v_fma_f64 v[107:108], -v[101:102], v[103:104], 1.0
	v_fma_f64 v[103:104], v[103:104], v[107:108], v[103:104]
	v_mul_f64 v[107:108], v[105:106], v[103:104]
	v_fma_f64 v[101:102], -v[101:102], v[107:108], v[105:106]
	v_div_fmas_f64 v[101:102], v[101:102], v[103:104], v[107:108]
	v_div_fixup_f64 v[101:102], v[101:102], v[99:100], v[97:98]
	v_fma_f64 v[97:98], v[97:98], v[101:102], v[99:100]
	v_div_scale_f64 v[99:100], s[6:7], v[97:98], v[97:98], 1.0
	v_div_scale_f64 v[107:108], vcc, 1.0, v[97:98], 1.0
	v_rcp_f64_e32 v[103:104], v[99:100]
	v_fma_f64 v[105:106], -v[99:100], v[103:104], 1.0
	v_fma_f64 v[103:104], v[103:104], v[105:106], v[103:104]
	v_fma_f64 v[105:106], -v[99:100], v[103:104], 1.0
	v_fma_f64 v[103:104], v[103:104], v[105:106], v[103:104]
	v_mul_f64 v[105:106], v[107:108], v[103:104]
	v_fma_f64 v[99:100], -v[99:100], v[105:106], v[107:108]
	v_div_fmas_f64 v[99:100], v[99:100], v[103:104], v[105:106]
	v_div_fixup_f64 v[103:104], v[99:100], v[97:98], 1.0
                                        ; implicit-def: $vgpr97_vgpr98
	v_mul_f64 v[101:102], v[101:102], v[103:104]
	v_xor_b32_e32 v104, 0x80000000, v104
.LBB47_41:
	s_andn2_saveexec_b64 s[2:3], s[2:3]
	s_cbranch_execz .LBB47_43
; %bb.42:
	v_div_scale_f64 v[101:102], s[6:7], v[97:98], v[97:98], v[99:100]
	v_rcp_f64_e32 v[103:104], v[101:102]
	v_fma_f64 v[105:106], -v[101:102], v[103:104], 1.0
	v_fma_f64 v[103:104], v[103:104], v[105:106], v[103:104]
	v_div_scale_f64 v[105:106], vcc, v[99:100], v[97:98], v[99:100]
	v_fma_f64 v[107:108], -v[101:102], v[103:104], 1.0
	v_fma_f64 v[103:104], v[103:104], v[107:108], v[103:104]
	v_mul_f64 v[107:108], v[105:106], v[103:104]
	v_fma_f64 v[101:102], -v[101:102], v[107:108], v[105:106]
	v_div_fmas_f64 v[101:102], v[101:102], v[103:104], v[107:108]
	v_div_fixup_f64 v[103:104], v[101:102], v[97:98], v[99:100]
	v_fma_f64 v[97:98], v[99:100], v[103:104], v[97:98]
	v_div_scale_f64 v[99:100], s[6:7], v[97:98], v[97:98], 1.0
	v_div_scale_f64 v[107:108], vcc, 1.0, v[97:98], 1.0
	v_rcp_f64_e32 v[101:102], v[99:100]
	v_fma_f64 v[105:106], -v[99:100], v[101:102], 1.0
	v_fma_f64 v[101:102], v[101:102], v[105:106], v[101:102]
	v_fma_f64 v[105:106], -v[99:100], v[101:102], 1.0
	v_fma_f64 v[101:102], v[101:102], v[105:106], v[101:102]
	v_mul_f64 v[105:106], v[107:108], v[101:102]
	v_fma_f64 v[99:100], -v[99:100], v[105:106], v[107:108]
	v_div_fmas_f64 v[99:100], v[99:100], v[101:102], v[105:106]
	v_div_fixup_f64 v[101:102], v[99:100], v[97:98], 1.0
	v_mul_f64 v[103:104], v[103:104], -v[101:102]
.LBB47_43:
	s_or_b64 exec, exec, s[2:3]
	ds_write2_b64 v127, v[101:102], v[103:104] offset1:1
.LBB47_44:
	s_or_b64 exec, exec, s[4:5]
	s_waitcnt lgkmcnt(0)
	s_barrier
	ds_read2_b64 v[121:124], v127 offset1:1
	v_cmp_lt_u32_e32 vcc, 4, v0
	s_and_saveexec_b64 s[2:3], vcc
	s_cbranch_execz .LBB47_46
; %bb.45:
	s_waitcnt lgkmcnt(0)
	v_mul_f64 v[97:98], v[123:124], v[79:80]
	v_mul_f64 v[79:80], v[121:122], v[79:80]
	ds_read2_b64 v[99:102], v125 offset0:10 offset1:11
	v_fma_f64 v[97:98], v[121:122], v[77:78], -v[97:98]
	v_fma_f64 v[79:80], v[123:124], v[77:78], v[79:80]
	s_waitcnt lgkmcnt(0)
	v_mul_f64 v[77:78], v[101:102], v[79:80]
	v_fma_f64 v[77:78], v[99:100], v[97:98], -v[77:78]
	v_mul_f64 v[99:100], v[99:100], v[79:80]
	v_add_f64 v[73:74], v[73:74], -v[77:78]
	v_fma_f64 v[99:100], v[101:102], v[97:98], v[99:100]
	v_add_f64 v[75:76], v[75:76], -v[99:100]
	ds_read2_b64 v[99:102], v125 offset0:12 offset1:13
	s_waitcnt lgkmcnt(0)
	v_mul_f64 v[77:78], v[101:102], v[79:80]
	v_fma_f64 v[77:78], v[99:100], v[97:98], -v[77:78]
	v_mul_f64 v[99:100], v[99:100], v[79:80]
	v_add_f64 v[65:66], v[65:66], -v[77:78]
	v_fma_f64 v[99:100], v[101:102], v[97:98], v[99:100]
	v_add_f64 v[67:68], v[67:68], -v[99:100]
	ds_read2_b64 v[99:102], v125 offset0:14 offset1:15
	;; [unrolled: 8-line block ×18, first 2 shown]
	s_waitcnt lgkmcnt(0)
	v_mul_f64 v[77:78], v[101:102], v[79:80]
	v_fma_f64 v[77:78], v[99:100], v[97:98], -v[77:78]
	v_mul_f64 v[99:100], v[99:100], v[79:80]
	v_add_f64 v[69:70], v[69:70], -v[77:78]
	v_fma_f64 v[99:100], v[101:102], v[97:98], v[99:100]
	v_mov_b32_e32 v77, v97
	v_mov_b32_e32 v78, v98
	v_add_f64 v[71:72], v[71:72], -v[99:100]
.LBB47_46:
	s_or_b64 exec, exec, s[2:3]
	v_cmp_eq_u32_e32 vcc, 5, v0
	s_waitcnt lgkmcnt(0)
	s_barrier
	s_and_saveexec_b64 s[4:5], vcc
	s_cbranch_execz .LBB47_53
; %bb.47:
	ds_write2_b64 v127, v[73:74], v[75:76] offset1:1
	ds_write2_b64 v125, v[65:66], v[67:68] offset0:12 offset1:13
	ds_write2_b64 v125, v[61:62], v[63:64] offset0:14 offset1:15
	;; [unrolled: 1-line block ×18, first 2 shown]
	ds_read2_b64 v[97:100], v127 offset1:1
	s_waitcnt lgkmcnt(0)
	v_cmp_neq_f64_e32 vcc, 0, v[97:98]
	v_cmp_neq_f64_e64 s[2:3], 0, v[99:100]
	s_or_b64 s[2:3], vcc, s[2:3]
	s_and_b64 exec, exec, s[2:3]
	s_cbranch_execz .LBB47_53
; %bb.48:
	v_cmp_ngt_f64_e64 s[2:3], |v[97:98]|, |v[99:100]|
                                        ; implicit-def: $vgpr101_vgpr102
	s_and_saveexec_b64 s[6:7], s[2:3]
	s_xor_b64 s[2:3], exec, s[6:7]
                                        ; implicit-def: $vgpr103_vgpr104
	s_cbranch_execz .LBB47_50
; %bb.49:
	v_div_scale_f64 v[101:102], s[6:7], v[99:100], v[99:100], v[97:98]
	v_rcp_f64_e32 v[103:104], v[101:102]
	v_fma_f64 v[105:106], -v[101:102], v[103:104], 1.0
	v_fma_f64 v[103:104], v[103:104], v[105:106], v[103:104]
	v_div_scale_f64 v[105:106], vcc, v[97:98], v[99:100], v[97:98]
	v_fma_f64 v[107:108], -v[101:102], v[103:104], 1.0
	v_fma_f64 v[103:104], v[103:104], v[107:108], v[103:104]
	v_mul_f64 v[107:108], v[105:106], v[103:104]
	v_fma_f64 v[101:102], -v[101:102], v[107:108], v[105:106]
	v_div_fmas_f64 v[101:102], v[101:102], v[103:104], v[107:108]
	v_div_fixup_f64 v[101:102], v[101:102], v[99:100], v[97:98]
	v_fma_f64 v[97:98], v[97:98], v[101:102], v[99:100]
	v_div_scale_f64 v[99:100], s[6:7], v[97:98], v[97:98], 1.0
	v_div_scale_f64 v[107:108], vcc, 1.0, v[97:98], 1.0
	v_rcp_f64_e32 v[103:104], v[99:100]
	v_fma_f64 v[105:106], -v[99:100], v[103:104], 1.0
	v_fma_f64 v[103:104], v[103:104], v[105:106], v[103:104]
	v_fma_f64 v[105:106], -v[99:100], v[103:104], 1.0
	v_fma_f64 v[103:104], v[103:104], v[105:106], v[103:104]
	v_mul_f64 v[105:106], v[107:108], v[103:104]
	v_fma_f64 v[99:100], -v[99:100], v[105:106], v[107:108]
	v_div_fmas_f64 v[99:100], v[99:100], v[103:104], v[105:106]
	v_div_fixup_f64 v[103:104], v[99:100], v[97:98], 1.0
                                        ; implicit-def: $vgpr97_vgpr98
	v_mul_f64 v[101:102], v[101:102], v[103:104]
	v_xor_b32_e32 v104, 0x80000000, v104
.LBB47_50:
	s_andn2_saveexec_b64 s[2:3], s[2:3]
	s_cbranch_execz .LBB47_52
; %bb.51:
	v_div_scale_f64 v[101:102], s[6:7], v[97:98], v[97:98], v[99:100]
	v_rcp_f64_e32 v[103:104], v[101:102]
	v_fma_f64 v[105:106], -v[101:102], v[103:104], 1.0
	v_fma_f64 v[103:104], v[103:104], v[105:106], v[103:104]
	v_div_scale_f64 v[105:106], vcc, v[99:100], v[97:98], v[99:100]
	v_fma_f64 v[107:108], -v[101:102], v[103:104], 1.0
	v_fma_f64 v[103:104], v[103:104], v[107:108], v[103:104]
	v_mul_f64 v[107:108], v[105:106], v[103:104]
	v_fma_f64 v[101:102], -v[101:102], v[107:108], v[105:106]
	v_div_fmas_f64 v[101:102], v[101:102], v[103:104], v[107:108]
	v_div_fixup_f64 v[103:104], v[101:102], v[97:98], v[99:100]
	v_fma_f64 v[97:98], v[99:100], v[103:104], v[97:98]
	v_div_scale_f64 v[99:100], s[6:7], v[97:98], v[97:98], 1.0
	v_div_scale_f64 v[107:108], vcc, 1.0, v[97:98], 1.0
	v_rcp_f64_e32 v[101:102], v[99:100]
	v_fma_f64 v[105:106], -v[99:100], v[101:102], 1.0
	v_fma_f64 v[101:102], v[101:102], v[105:106], v[101:102]
	v_fma_f64 v[105:106], -v[99:100], v[101:102], 1.0
	v_fma_f64 v[101:102], v[101:102], v[105:106], v[101:102]
	v_mul_f64 v[105:106], v[107:108], v[101:102]
	v_fma_f64 v[99:100], -v[99:100], v[105:106], v[107:108]
	v_div_fmas_f64 v[99:100], v[99:100], v[101:102], v[105:106]
	v_div_fixup_f64 v[101:102], v[99:100], v[97:98], 1.0
	v_mul_f64 v[103:104], v[103:104], -v[101:102]
.LBB47_52:
	s_or_b64 exec, exec, s[2:3]
	ds_write2_b64 v127, v[101:102], v[103:104] offset1:1
.LBB47_53:
	s_or_b64 exec, exec, s[4:5]
	s_waitcnt lgkmcnt(0)
	s_barrier
	ds_read2_b64 v[85:88], v127 offset1:1
	v_cmp_lt_u32_e32 vcc, 5, v0
	s_waitcnt lgkmcnt(0)
	buffer_store_dword v85, off, s[20:23], 0 offset:232 ; 4-byte Folded Spill
	s_nop 0
	buffer_store_dword v86, off, s[20:23], 0 offset:236 ; 4-byte Folded Spill
	buffer_store_dword v87, off, s[20:23], 0 offset:240 ; 4-byte Folded Spill
	buffer_store_dword v88, off, s[20:23], 0 offset:244 ; 4-byte Folded Spill
	s_and_saveexec_b64 s[2:3], vcc
	s_cbranch_execz .LBB47_55
; %bb.54:
	buffer_load_dword v85, off, s[20:23], 0 offset:232 ; 4-byte Folded Reload
	buffer_load_dword v86, off, s[20:23], 0 offset:236 ; 4-byte Folded Reload
	;; [unrolled: 1-line block ×4, first 2 shown]
	ds_read2_b64 v[99:102], v125 offset0:12 offset1:13
	s_waitcnt vmcnt(0)
	v_mul_f64 v[97:98], v[87:88], v[75:76]
	v_mul_f64 v[75:76], v[85:86], v[75:76]
	v_fma_f64 v[97:98], v[85:86], v[73:74], -v[97:98]
	v_fma_f64 v[75:76], v[87:88], v[73:74], v[75:76]
	s_waitcnt lgkmcnt(0)
	v_mul_f64 v[73:74], v[101:102], v[75:76]
	v_fma_f64 v[73:74], v[99:100], v[97:98], -v[73:74]
	v_mul_f64 v[99:100], v[99:100], v[75:76]
	v_add_f64 v[65:66], v[65:66], -v[73:74]
	v_fma_f64 v[99:100], v[101:102], v[97:98], v[99:100]
	v_add_f64 v[67:68], v[67:68], -v[99:100]
	ds_read2_b64 v[99:102], v125 offset0:14 offset1:15
	s_waitcnt lgkmcnt(0)
	v_mul_f64 v[73:74], v[101:102], v[75:76]
	v_fma_f64 v[73:74], v[99:100], v[97:98], -v[73:74]
	v_mul_f64 v[99:100], v[99:100], v[75:76]
	v_add_f64 v[61:62], v[61:62], -v[73:74]
	v_fma_f64 v[99:100], v[101:102], v[97:98], v[99:100]
	v_add_f64 v[63:64], v[63:64], -v[99:100]
	ds_read2_b64 v[99:102], v125 offset0:16 offset1:17
	;; [unrolled: 8-line block ×17, first 2 shown]
	s_waitcnt lgkmcnt(0)
	v_mul_f64 v[73:74], v[101:102], v[75:76]
	v_fma_f64 v[73:74], v[99:100], v[97:98], -v[73:74]
	v_mul_f64 v[99:100], v[99:100], v[75:76]
	v_add_f64 v[69:70], v[69:70], -v[73:74]
	v_fma_f64 v[99:100], v[101:102], v[97:98], v[99:100]
	v_mov_b32_e32 v73, v97
	v_mov_b32_e32 v74, v98
	v_add_f64 v[71:72], v[71:72], -v[99:100]
.LBB47_55:
	s_or_b64 exec, exec, s[2:3]
	v_cmp_eq_u32_e32 vcc, 6, v0
	s_waitcnt vmcnt(0)
	s_barrier
	s_and_saveexec_b64 s[4:5], vcc
	s_cbranch_execz .LBB47_62
; %bb.56:
	ds_write2_b64 v127, v[65:66], v[67:68] offset1:1
	ds_write2_b64 v125, v[61:62], v[63:64] offset0:14 offset1:15
	ds_write2_b64 v125, v[57:58], v[59:60] offset0:16 offset1:17
	;; [unrolled: 1-line block ×17, first 2 shown]
	ds_read2_b64 v[97:100], v127 offset1:1
	s_waitcnt lgkmcnt(0)
	v_cmp_neq_f64_e32 vcc, 0, v[97:98]
	v_cmp_neq_f64_e64 s[2:3], 0, v[99:100]
	s_or_b64 s[2:3], vcc, s[2:3]
	s_and_b64 exec, exec, s[2:3]
	s_cbranch_execz .LBB47_62
; %bb.57:
	v_cmp_ngt_f64_e64 s[2:3], |v[97:98]|, |v[99:100]|
                                        ; implicit-def: $vgpr101_vgpr102
	s_and_saveexec_b64 s[6:7], s[2:3]
	s_xor_b64 s[2:3], exec, s[6:7]
                                        ; implicit-def: $vgpr103_vgpr104
	s_cbranch_execz .LBB47_59
; %bb.58:
	v_div_scale_f64 v[101:102], s[6:7], v[99:100], v[99:100], v[97:98]
	v_rcp_f64_e32 v[103:104], v[101:102]
	v_fma_f64 v[105:106], -v[101:102], v[103:104], 1.0
	v_fma_f64 v[103:104], v[103:104], v[105:106], v[103:104]
	v_div_scale_f64 v[105:106], vcc, v[97:98], v[99:100], v[97:98]
	v_fma_f64 v[107:108], -v[101:102], v[103:104], 1.0
	v_fma_f64 v[103:104], v[103:104], v[107:108], v[103:104]
	v_mul_f64 v[107:108], v[105:106], v[103:104]
	v_fma_f64 v[101:102], -v[101:102], v[107:108], v[105:106]
	v_div_fmas_f64 v[101:102], v[101:102], v[103:104], v[107:108]
	v_div_fixup_f64 v[101:102], v[101:102], v[99:100], v[97:98]
	v_fma_f64 v[97:98], v[97:98], v[101:102], v[99:100]
	v_div_scale_f64 v[99:100], s[6:7], v[97:98], v[97:98], 1.0
	v_div_scale_f64 v[107:108], vcc, 1.0, v[97:98], 1.0
	v_rcp_f64_e32 v[103:104], v[99:100]
	v_fma_f64 v[105:106], -v[99:100], v[103:104], 1.0
	v_fma_f64 v[103:104], v[103:104], v[105:106], v[103:104]
	v_fma_f64 v[105:106], -v[99:100], v[103:104], 1.0
	v_fma_f64 v[103:104], v[103:104], v[105:106], v[103:104]
	v_mul_f64 v[105:106], v[107:108], v[103:104]
	v_fma_f64 v[99:100], -v[99:100], v[105:106], v[107:108]
	v_div_fmas_f64 v[99:100], v[99:100], v[103:104], v[105:106]
	v_div_fixup_f64 v[103:104], v[99:100], v[97:98], 1.0
                                        ; implicit-def: $vgpr97_vgpr98
	v_mul_f64 v[101:102], v[101:102], v[103:104]
	v_xor_b32_e32 v104, 0x80000000, v104
.LBB47_59:
	s_andn2_saveexec_b64 s[2:3], s[2:3]
	s_cbranch_execz .LBB47_61
; %bb.60:
	v_div_scale_f64 v[101:102], s[6:7], v[97:98], v[97:98], v[99:100]
	v_rcp_f64_e32 v[103:104], v[101:102]
	v_fma_f64 v[105:106], -v[101:102], v[103:104], 1.0
	v_fma_f64 v[103:104], v[103:104], v[105:106], v[103:104]
	v_div_scale_f64 v[105:106], vcc, v[99:100], v[97:98], v[99:100]
	v_fma_f64 v[107:108], -v[101:102], v[103:104], 1.0
	v_fma_f64 v[103:104], v[103:104], v[107:108], v[103:104]
	v_mul_f64 v[107:108], v[105:106], v[103:104]
	v_fma_f64 v[101:102], -v[101:102], v[107:108], v[105:106]
	v_div_fmas_f64 v[101:102], v[101:102], v[103:104], v[107:108]
	v_div_fixup_f64 v[103:104], v[101:102], v[97:98], v[99:100]
	v_fma_f64 v[97:98], v[99:100], v[103:104], v[97:98]
	v_div_scale_f64 v[99:100], s[6:7], v[97:98], v[97:98], 1.0
	v_div_scale_f64 v[107:108], vcc, 1.0, v[97:98], 1.0
	v_rcp_f64_e32 v[101:102], v[99:100]
	v_fma_f64 v[105:106], -v[99:100], v[101:102], 1.0
	v_fma_f64 v[101:102], v[101:102], v[105:106], v[101:102]
	v_fma_f64 v[105:106], -v[99:100], v[101:102], 1.0
	v_fma_f64 v[101:102], v[101:102], v[105:106], v[101:102]
	v_mul_f64 v[105:106], v[107:108], v[101:102]
	v_fma_f64 v[99:100], -v[99:100], v[105:106], v[107:108]
	v_div_fmas_f64 v[99:100], v[99:100], v[101:102], v[105:106]
	v_div_fixup_f64 v[101:102], v[99:100], v[97:98], 1.0
	v_mul_f64 v[103:104], v[103:104], -v[101:102]
.LBB47_61:
	s_or_b64 exec, exec, s[2:3]
	ds_write2_b64 v127, v[101:102], v[103:104] offset1:1
.LBB47_62:
	s_or_b64 exec, exec, s[4:5]
	s_waitcnt lgkmcnt(0)
	s_barrier
	ds_read2_b64 v[85:88], v127 offset1:1
	v_cmp_lt_u32_e32 vcc, 6, v0
	s_waitcnt lgkmcnt(0)
	buffer_store_dword v85, off, s[20:23], 0 offset:248 ; 4-byte Folded Spill
	s_nop 0
	buffer_store_dword v86, off, s[20:23], 0 offset:252 ; 4-byte Folded Spill
	buffer_store_dword v87, off, s[20:23], 0 offset:256 ; 4-byte Folded Spill
	;; [unrolled: 1-line block ×3, first 2 shown]
	s_and_saveexec_b64 s[2:3], vcc
	s_cbranch_execz .LBB47_64
; %bb.63:
	buffer_load_dword v85, off, s[20:23], 0 offset:248 ; 4-byte Folded Reload
	buffer_load_dword v86, off, s[20:23], 0 offset:252 ; 4-byte Folded Reload
	buffer_load_dword v87, off, s[20:23], 0 offset:256 ; 4-byte Folded Reload
	buffer_load_dword v88, off, s[20:23], 0 offset:260 ; 4-byte Folded Reload
	ds_read2_b64 v[99:102], v125 offset0:14 offset1:15
	s_waitcnt vmcnt(0)
	v_mul_f64 v[97:98], v[87:88], v[67:68]
	v_mul_f64 v[67:68], v[85:86], v[67:68]
	v_fma_f64 v[97:98], v[85:86], v[65:66], -v[97:98]
	v_fma_f64 v[67:68], v[87:88], v[65:66], v[67:68]
	s_waitcnt lgkmcnt(0)
	v_mul_f64 v[65:66], v[101:102], v[67:68]
	v_fma_f64 v[65:66], v[99:100], v[97:98], -v[65:66]
	v_mul_f64 v[99:100], v[99:100], v[67:68]
	v_add_f64 v[61:62], v[61:62], -v[65:66]
	v_fma_f64 v[99:100], v[101:102], v[97:98], v[99:100]
	v_add_f64 v[63:64], v[63:64], -v[99:100]
	ds_read2_b64 v[99:102], v125 offset0:16 offset1:17
	s_waitcnt lgkmcnt(0)
	v_mul_f64 v[65:66], v[101:102], v[67:68]
	v_fma_f64 v[65:66], v[99:100], v[97:98], -v[65:66]
	v_mul_f64 v[99:100], v[99:100], v[67:68]
	v_add_f64 v[57:58], v[57:58], -v[65:66]
	v_fma_f64 v[99:100], v[101:102], v[97:98], v[99:100]
	v_add_f64 v[59:60], v[59:60], -v[99:100]
	ds_read2_b64 v[99:102], v125 offset0:18 offset1:19
	;; [unrolled: 8-line block ×16, first 2 shown]
	s_waitcnt lgkmcnt(0)
	v_mul_f64 v[65:66], v[101:102], v[67:68]
	v_fma_f64 v[65:66], v[99:100], v[97:98], -v[65:66]
	v_mul_f64 v[99:100], v[99:100], v[67:68]
	v_add_f64 v[69:70], v[69:70], -v[65:66]
	v_fma_f64 v[99:100], v[101:102], v[97:98], v[99:100]
	v_mov_b32_e32 v65, v97
	v_mov_b32_e32 v66, v98
	v_add_f64 v[71:72], v[71:72], -v[99:100]
.LBB47_64:
	s_or_b64 exec, exec, s[2:3]
	v_cmp_eq_u32_e32 vcc, 7, v0
	s_waitcnt vmcnt(0)
	s_barrier
	s_and_saveexec_b64 s[4:5], vcc
	s_cbranch_execz .LBB47_71
; %bb.65:
	ds_write2_b64 v127, v[61:62], v[63:64] offset1:1
	ds_write2_b64 v125, v[57:58], v[59:60] offset0:16 offset1:17
	ds_write2_b64 v125, v[53:54], v[55:56] offset0:18 offset1:19
	;; [unrolled: 1-line block ×16, first 2 shown]
	ds_read2_b64 v[97:100], v127 offset1:1
	s_waitcnt lgkmcnt(0)
	v_cmp_neq_f64_e32 vcc, 0, v[97:98]
	v_cmp_neq_f64_e64 s[2:3], 0, v[99:100]
	s_or_b64 s[2:3], vcc, s[2:3]
	s_and_b64 exec, exec, s[2:3]
	s_cbranch_execz .LBB47_71
; %bb.66:
	v_cmp_ngt_f64_e64 s[2:3], |v[97:98]|, |v[99:100]|
                                        ; implicit-def: $vgpr101_vgpr102
	s_and_saveexec_b64 s[6:7], s[2:3]
	s_xor_b64 s[2:3], exec, s[6:7]
                                        ; implicit-def: $vgpr103_vgpr104
	s_cbranch_execz .LBB47_68
; %bb.67:
	v_div_scale_f64 v[101:102], s[6:7], v[99:100], v[99:100], v[97:98]
	v_rcp_f64_e32 v[103:104], v[101:102]
	v_fma_f64 v[105:106], -v[101:102], v[103:104], 1.0
	v_fma_f64 v[103:104], v[103:104], v[105:106], v[103:104]
	v_div_scale_f64 v[105:106], vcc, v[97:98], v[99:100], v[97:98]
	v_fma_f64 v[107:108], -v[101:102], v[103:104], 1.0
	v_fma_f64 v[103:104], v[103:104], v[107:108], v[103:104]
	v_mul_f64 v[107:108], v[105:106], v[103:104]
	v_fma_f64 v[101:102], -v[101:102], v[107:108], v[105:106]
	v_div_fmas_f64 v[101:102], v[101:102], v[103:104], v[107:108]
	v_div_fixup_f64 v[101:102], v[101:102], v[99:100], v[97:98]
	v_fma_f64 v[97:98], v[97:98], v[101:102], v[99:100]
	v_div_scale_f64 v[99:100], s[6:7], v[97:98], v[97:98], 1.0
	v_div_scale_f64 v[107:108], vcc, 1.0, v[97:98], 1.0
	v_rcp_f64_e32 v[103:104], v[99:100]
	v_fma_f64 v[105:106], -v[99:100], v[103:104], 1.0
	v_fma_f64 v[103:104], v[103:104], v[105:106], v[103:104]
	v_fma_f64 v[105:106], -v[99:100], v[103:104], 1.0
	v_fma_f64 v[103:104], v[103:104], v[105:106], v[103:104]
	v_mul_f64 v[105:106], v[107:108], v[103:104]
	v_fma_f64 v[99:100], -v[99:100], v[105:106], v[107:108]
	v_div_fmas_f64 v[99:100], v[99:100], v[103:104], v[105:106]
	v_div_fixup_f64 v[103:104], v[99:100], v[97:98], 1.0
                                        ; implicit-def: $vgpr97_vgpr98
	v_mul_f64 v[101:102], v[101:102], v[103:104]
	v_xor_b32_e32 v104, 0x80000000, v104
.LBB47_68:
	s_andn2_saveexec_b64 s[2:3], s[2:3]
	s_cbranch_execz .LBB47_70
; %bb.69:
	v_div_scale_f64 v[101:102], s[6:7], v[97:98], v[97:98], v[99:100]
	v_rcp_f64_e32 v[103:104], v[101:102]
	v_fma_f64 v[105:106], -v[101:102], v[103:104], 1.0
	v_fma_f64 v[103:104], v[103:104], v[105:106], v[103:104]
	v_div_scale_f64 v[105:106], vcc, v[99:100], v[97:98], v[99:100]
	v_fma_f64 v[107:108], -v[101:102], v[103:104], 1.0
	v_fma_f64 v[103:104], v[103:104], v[107:108], v[103:104]
	v_mul_f64 v[107:108], v[105:106], v[103:104]
	v_fma_f64 v[101:102], -v[101:102], v[107:108], v[105:106]
	v_div_fmas_f64 v[101:102], v[101:102], v[103:104], v[107:108]
	v_div_fixup_f64 v[103:104], v[101:102], v[97:98], v[99:100]
	v_fma_f64 v[97:98], v[99:100], v[103:104], v[97:98]
	v_div_scale_f64 v[99:100], s[6:7], v[97:98], v[97:98], 1.0
	v_div_scale_f64 v[107:108], vcc, 1.0, v[97:98], 1.0
	v_rcp_f64_e32 v[101:102], v[99:100]
	v_fma_f64 v[105:106], -v[99:100], v[101:102], 1.0
	v_fma_f64 v[101:102], v[101:102], v[105:106], v[101:102]
	v_fma_f64 v[105:106], -v[99:100], v[101:102], 1.0
	v_fma_f64 v[101:102], v[101:102], v[105:106], v[101:102]
	v_mul_f64 v[105:106], v[107:108], v[101:102]
	v_fma_f64 v[99:100], -v[99:100], v[105:106], v[107:108]
	v_div_fmas_f64 v[99:100], v[99:100], v[101:102], v[105:106]
	v_div_fixup_f64 v[101:102], v[99:100], v[97:98], 1.0
	v_mul_f64 v[103:104], v[103:104], -v[101:102]
.LBB47_70:
	s_or_b64 exec, exec, s[2:3]
	ds_write2_b64 v127, v[101:102], v[103:104] offset1:1
.LBB47_71:
	s_or_b64 exec, exec, s[4:5]
	s_waitcnt lgkmcnt(0)
	s_barrier
	ds_read2_b64 v[85:88], v127 offset1:1
	v_cmp_lt_u32_e32 vcc, 7, v0
	s_waitcnt lgkmcnt(0)
	buffer_store_dword v85, off, s[20:23], 0 offset:264 ; 4-byte Folded Spill
	s_nop 0
	buffer_store_dword v86, off, s[20:23], 0 offset:268 ; 4-byte Folded Spill
	buffer_store_dword v87, off, s[20:23], 0 offset:272 ; 4-byte Folded Spill
	;; [unrolled: 1-line block ×3, first 2 shown]
	s_and_saveexec_b64 s[2:3], vcc
	s_cbranch_execz .LBB47_73
; %bb.72:
	buffer_load_dword v85, off, s[20:23], 0 offset:264 ; 4-byte Folded Reload
	buffer_load_dword v86, off, s[20:23], 0 offset:268 ; 4-byte Folded Reload
	;; [unrolled: 1-line block ×4, first 2 shown]
	ds_read2_b64 v[99:102], v125 offset0:16 offset1:17
	s_waitcnt vmcnt(2)
	v_mul_f64 v[97:98], v[85:86], v[63:64]
	s_waitcnt vmcnt(0)
	v_mul_f64 v[63:64], v[87:88], v[63:64]
	v_fma_f64 v[97:98], v[87:88], v[61:62], v[97:98]
	v_fma_f64 v[61:62], v[85:86], v[61:62], -v[63:64]
	s_waitcnt lgkmcnt(0)
	v_mul_f64 v[63:64], v[101:102], v[97:98]
	v_fma_f64 v[63:64], v[99:100], v[61:62], -v[63:64]
	v_mul_f64 v[99:100], v[99:100], v[97:98]
	v_add_f64 v[57:58], v[57:58], -v[63:64]
	v_fma_f64 v[99:100], v[101:102], v[61:62], v[99:100]
	v_add_f64 v[59:60], v[59:60], -v[99:100]
	ds_read2_b64 v[99:102], v125 offset0:18 offset1:19
	s_waitcnt lgkmcnt(0)
	v_mul_f64 v[63:64], v[101:102], v[97:98]
	v_fma_f64 v[63:64], v[99:100], v[61:62], -v[63:64]
	v_mul_f64 v[99:100], v[99:100], v[97:98]
	v_add_f64 v[53:54], v[53:54], -v[63:64]
	v_fma_f64 v[99:100], v[101:102], v[61:62], v[99:100]
	v_add_f64 v[55:56], v[55:56], -v[99:100]
	ds_read2_b64 v[99:102], v125 offset0:20 offset1:21
	;; [unrolled: 8-line block ×15, first 2 shown]
	s_waitcnt lgkmcnt(0)
	v_mul_f64 v[63:64], v[101:102], v[97:98]
	v_fma_f64 v[63:64], v[99:100], v[61:62], -v[63:64]
	v_mul_f64 v[99:100], v[99:100], v[97:98]
	v_add_f64 v[69:70], v[69:70], -v[63:64]
	v_fma_f64 v[99:100], v[101:102], v[61:62], v[99:100]
	v_mov_b32_e32 v63, v97
	v_mov_b32_e32 v64, v98
	v_add_f64 v[71:72], v[71:72], -v[99:100]
.LBB47_73:
	s_or_b64 exec, exec, s[2:3]
	v_cmp_eq_u32_e32 vcc, 8, v0
	s_waitcnt vmcnt(0)
	s_barrier
	s_and_saveexec_b64 s[4:5], vcc
	s_cbranch_execz .LBB47_80
; %bb.74:
	ds_write2_b64 v127, v[57:58], v[59:60] offset1:1
	ds_write2_b64 v125, v[53:54], v[55:56] offset0:18 offset1:19
	ds_write2_b64 v125, v[49:50], v[51:52] offset0:20 offset1:21
	;; [unrolled: 1-line block ×15, first 2 shown]
	ds_read2_b64 v[97:100], v127 offset1:1
	s_waitcnt lgkmcnt(0)
	v_cmp_neq_f64_e32 vcc, 0, v[97:98]
	v_cmp_neq_f64_e64 s[2:3], 0, v[99:100]
	s_or_b64 s[2:3], vcc, s[2:3]
	s_and_b64 exec, exec, s[2:3]
	s_cbranch_execz .LBB47_80
; %bb.75:
	v_cmp_ngt_f64_e64 s[2:3], |v[97:98]|, |v[99:100]|
                                        ; implicit-def: $vgpr101_vgpr102
	s_and_saveexec_b64 s[6:7], s[2:3]
	s_xor_b64 s[2:3], exec, s[6:7]
                                        ; implicit-def: $vgpr103_vgpr104
	s_cbranch_execz .LBB47_77
; %bb.76:
	v_div_scale_f64 v[101:102], s[6:7], v[99:100], v[99:100], v[97:98]
	v_rcp_f64_e32 v[103:104], v[101:102]
	v_fma_f64 v[105:106], -v[101:102], v[103:104], 1.0
	v_fma_f64 v[103:104], v[103:104], v[105:106], v[103:104]
	v_div_scale_f64 v[105:106], vcc, v[97:98], v[99:100], v[97:98]
	v_fma_f64 v[107:108], -v[101:102], v[103:104], 1.0
	v_fma_f64 v[103:104], v[103:104], v[107:108], v[103:104]
	v_mul_f64 v[107:108], v[105:106], v[103:104]
	v_fma_f64 v[101:102], -v[101:102], v[107:108], v[105:106]
	v_div_fmas_f64 v[101:102], v[101:102], v[103:104], v[107:108]
	v_div_fixup_f64 v[101:102], v[101:102], v[99:100], v[97:98]
	v_fma_f64 v[97:98], v[97:98], v[101:102], v[99:100]
	v_div_scale_f64 v[99:100], s[6:7], v[97:98], v[97:98], 1.0
	v_div_scale_f64 v[107:108], vcc, 1.0, v[97:98], 1.0
	v_rcp_f64_e32 v[103:104], v[99:100]
	v_fma_f64 v[105:106], -v[99:100], v[103:104], 1.0
	v_fma_f64 v[103:104], v[103:104], v[105:106], v[103:104]
	v_fma_f64 v[105:106], -v[99:100], v[103:104], 1.0
	v_fma_f64 v[103:104], v[103:104], v[105:106], v[103:104]
	v_mul_f64 v[105:106], v[107:108], v[103:104]
	v_fma_f64 v[99:100], -v[99:100], v[105:106], v[107:108]
	v_div_fmas_f64 v[99:100], v[99:100], v[103:104], v[105:106]
	v_div_fixup_f64 v[103:104], v[99:100], v[97:98], 1.0
                                        ; implicit-def: $vgpr97_vgpr98
	v_mul_f64 v[101:102], v[101:102], v[103:104]
	v_xor_b32_e32 v104, 0x80000000, v104
.LBB47_77:
	s_andn2_saveexec_b64 s[2:3], s[2:3]
	s_cbranch_execz .LBB47_79
; %bb.78:
	v_div_scale_f64 v[101:102], s[6:7], v[97:98], v[97:98], v[99:100]
	v_rcp_f64_e32 v[103:104], v[101:102]
	v_fma_f64 v[105:106], -v[101:102], v[103:104], 1.0
	v_fma_f64 v[103:104], v[103:104], v[105:106], v[103:104]
	v_div_scale_f64 v[105:106], vcc, v[99:100], v[97:98], v[99:100]
	v_fma_f64 v[107:108], -v[101:102], v[103:104], 1.0
	v_fma_f64 v[103:104], v[103:104], v[107:108], v[103:104]
	v_mul_f64 v[107:108], v[105:106], v[103:104]
	v_fma_f64 v[101:102], -v[101:102], v[107:108], v[105:106]
	v_div_fmas_f64 v[101:102], v[101:102], v[103:104], v[107:108]
	v_div_fixup_f64 v[103:104], v[101:102], v[97:98], v[99:100]
	v_fma_f64 v[97:98], v[99:100], v[103:104], v[97:98]
	v_div_scale_f64 v[99:100], s[6:7], v[97:98], v[97:98], 1.0
	v_div_scale_f64 v[107:108], vcc, 1.0, v[97:98], 1.0
	v_rcp_f64_e32 v[101:102], v[99:100]
	v_fma_f64 v[105:106], -v[99:100], v[101:102], 1.0
	v_fma_f64 v[101:102], v[101:102], v[105:106], v[101:102]
	v_fma_f64 v[105:106], -v[99:100], v[101:102], 1.0
	v_fma_f64 v[101:102], v[101:102], v[105:106], v[101:102]
	v_mul_f64 v[105:106], v[107:108], v[101:102]
	v_fma_f64 v[99:100], -v[99:100], v[105:106], v[107:108]
	v_div_fmas_f64 v[99:100], v[99:100], v[101:102], v[105:106]
	v_div_fixup_f64 v[101:102], v[99:100], v[97:98], 1.0
	v_mul_f64 v[103:104], v[103:104], -v[101:102]
.LBB47_79:
	s_or_b64 exec, exec, s[2:3]
	ds_write2_b64 v127, v[101:102], v[103:104] offset1:1
.LBB47_80:
	s_or_b64 exec, exec, s[4:5]
	s_waitcnt lgkmcnt(0)
	s_barrier
	ds_read2_b64 v[85:88], v127 offset1:1
	v_cmp_lt_u32_e32 vcc, 8, v0
	s_waitcnt lgkmcnt(0)
	buffer_store_dword v85, off, s[20:23], 0 offset:280 ; 4-byte Folded Spill
	s_nop 0
	buffer_store_dword v86, off, s[20:23], 0 offset:284 ; 4-byte Folded Spill
	buffer_store_dword v87, off, s[20:23], 0 offset:288 ; 4-byte Folded Spill
	;; [unrolled: 1-line block ×3, first 2 shown]
	s_and_saveexec_b64 s[2:3], vcc
	s_cbranch_execz .LBB47_82
; %bb.81:
	buffer_load_dword v85, off, s[20:23], 0 offset:280 ; 4-byte Folded Reload
	buffer_load_dword v86, off, s[20:23], 0 offset:284 ; 4-byte Folded Reload
	;; [unrolled: 1-line block ×4, first 2 shown]
	ds_read2_b64 v[99:102], v125 offset0:18 offset1:19
	s_waitcnt vmcnt(2)
	v_mul_f64 v[97:98], v[85:86], v[59:60]
	s_waitcnt vmcnt(0)
	v_mul_f64 v[59:60], v[87:88], v[59:60]
	v_fma_f64 v[97:98], v[87:88], v[57:58], v[97:98]
	v_fma_f64 v[57:58], v[85:86], v[57:58], -v[59:60]
	s_waitcnt lgkmcnt(0)
	v_mul_f64 v[59:60], v[101:102], v[97:98]
	v_fma_f64 v[59:60], v[99:100], v[57:58], -v[59:60]
	v_mul_f64 v[99:100], v[99:100], v[97:98]
	v_add_f64 v[53:54], v[53:54], -v[59:60]
	v_fma_f64 v[99:100], v[101:102], v[57:58], v[99:100]
	v_add_f64 v[55:56], v[55:56], -v[99:100]
	ds_read2_b64 v[99:102], v125 offset0:20 offset1:21
	s_waitcnt lgkmcnt(0)
	v_mul_f64 v[59:60], v[101:102], v[97:98]
	v_fma_f64 v[59:60], v[99:100], v[57:58], -v[59:60]
	v_mul_f64 v[99:100], v[99:100], v[97:98]
	v_add_f64 v[49:50], v[49:50], -v[59:60]
	v_fma_f64 v[99:100], v[101:102], v[57:58], v[99:100]
	v_add_f64 v[51:52], v[51:52], -v[99:100]
	ds_read2_b64 v[99:102], v125 offset0:22 offset1:23
	;; [unrolled: 8-line block ×14, first 2 shown]
	s_waitcnt lgkmcnt(0)
	v_mul_f64 v[59:60], v[101:102], v[97:98]
	v_fma_f64 v[59:60], v[99:100], v[57:58], -v[59:60]
	v_mul_f64 v[99:100], v[99:100], v[97:98]
	v_add_f64 v[69:70], v[69:70], -v[59:60]
	v_fma_f64 v[99:100], v[101:102], v[57:58], v[99:100]
	v_mov_b32_e32 v59, v97
	v_mov_b32_e32 v60, v98
	v_add_f64 v[71:72], v[71:72], -v[99:100]
.LBB47_82:
	s_or_b64 exec, exec, s[2:3]
	v_cmp_eq_u32_e32 vcc, 9, v0
	s_waitcnt vmcnt(0)
	s_barrier
	s_and_saveexec_b64 s[4:5], vcc
	s_cbranch_execz .LBB47_89
; %bb.83:
	ds_write2_b64 v127, v[53:54], v[55:56] offset1:1
	ds_write2_b64 v125, v[49:50], v[51:52] offset0:20 offset1:21
	ds_write2_b64 v125, v[45:46], v[47:48] offset0:22 offset1:23
	;; [unrolled: 1-line block ×14, first 2 shown]
	ds_read2_b64 v[97:100], v127 offset1:1
	s_waitcnt lgkmcnt(0)
	v_cmp_neq_f64_e32 vcc, 0, v[97:98]
	v_cmp_neq_f64_e64 s[2:3], 0, v[99:100]
	s_or_b64 s[2:3], vcc, s[2:3]
	s_and_b64 exec, exec, s[2:3]
	s_cbranch_execz .LBB47_89
; %bb.84:
	v_cmp_ngt_f64_e64 s[2:3], |v[97:98]|, |v[99:100]|
                                        ; implicit-def: $vgpr101_vgpr102
	s_and_saveexec_b64 s[6:7], s[2:3]
	s_xor_b64 s[2:3], exec, s[6:7]
                                        ; implicit-def: $vgpr103_vgpr104
	s_cbranch_execz .LBB47_86
; %bb.85:
	v_div_scale_f64 v[101:102], s[6:7], v[99:100], v[99:100], v[97:98]
	v_rcp_f64_e32 v[103:104], v[101:102]
	v_fma_f64 v[105:106], -v[101:102], v[103:104], 1.0
	v_fma_f64 v[103:104], v[103:104], v[105:106], v[103:104]
	v_div_scale_f64 v[105:106], vcc, v[97:98], v[99:100], v[97:98]
	v_fma_f64 v[107:108], -v[101:102], v[103:104], 1.0
	v_fma_f64 v[103:104], v[103:104], v[107:108], v[103:104]
	v_mul_f64 v[107:108], v[105:106], v[103:104]
	v_fma_f64 v[101:102], -v[101:102], v[107:108], v[105:106]
	v_div_fmas_f64 v[101:102], v[101:102], v[103:104], v[107:108]
	v_div_fixup_f64 v[101:102], v[101:102], v[99:100], v[97:98]
	v_fma_f64 v[97:98], v[97:98], v[101:102], v[99:100]
	v_div_scale_f64 v[99:100], s[6:7], v[97:98], v[97:98], 1.0
	v_div_scale_f64 v[107:108], vcc, 1.0, v[97:98], 1.0
	v_rcp_f64_e32 v[103:104], v[99:100]
	v_fma_f64 v[105:106], -v[99:100], v[103:104], 1.0
	v_fma_f64 v[103:104], v[103:104], v[105:106], v[103:104]
	v_fma_f64 v[105:106], -v[99:100], v[103:104], 1.0
	v_fma_f64 v[103:104], v[103:104], v[105:106], v[103:104]
	v_mul_f64 v[105:106], v[107:108], v[103:104]
	v_fma_f64 v[99:100], -v[99:100], v[105:106], v[107:108]
	v_div_fmas_f64 v[99:100], v[99:100], v[103:104], v[105:106]
	v_div_fixup_f64 v[103:104], v[99:100], v[97:98], 1.0
                                        ; implicit-def: $vgpr97_vgpr98
	v_mul_f64 v[101:102], v[101:102], v[103:104]
	v_xor_b32_e32 v104, 0x80000000, v104
.LBB47_86:
	s_andn2_saveexec_b64 s[2:3], s[2:3]
	s_cbranch_execz .LBB47_88
; %bb.87:
	v_div_scale_f64 v[101:102], s[6:7], v[97:98], v[97:98], v[99:100]
	v_rcp_f64_e32 v[103:104], v[101:102]
	v_fma_f64 v[105:106], -v[101:102], v[103:104], 1.0
	v_fma_f64 v[103:104], v[103:104], v[105:106], v[103:104]
	v_div_scale_f64 v[105:106], vcc, v[99:100], v[97:98], v[99:100]
	v_fma_f64 v[107:108], -v[101:102], v[103:104], 1.0
	v_fma_f64 v[103:104], v[103:104], v[107:108], v[103:104]
	v_mul_f64 v[107:108], v[105:106], v[103:104]
	v_fma_f64 v[101:102], -v[101:102], v[107:108], v[105:106]
	v_div_fmas_f64 v[101:102], v[101:102], v[103:104], v[107:108]
	v_div_fixup_f64 v[103:104], v[101:102], v[97:98], v[99:100]
	v_fma_f64 v[97:98], v[99:100], v[103:104], v[97:98]
	v_div_scale_f64 v[99:100], s[6:7], v[97:98], v[97:98], 1.0
	v_div_scale_f64 v[107:108], vcc, 1.0, v[97:98], 1.0
	v_rcp_f64_e32 v[101:102], v[99:100]
	v_fma_f64 v[105:106], -v[99:100], v[101:102], 1.0
	v_fma_f64 v[101:102], v[101:102], v[105:106], v[101:102]
	v_fma_f64 v[105:106], -v[99:100], v[101:102], 1.0
	v_fma_f64 v[101:102], v[101:102], v[105:106], v[101:102]
	v_mul_f64 v[105:106], v[107:108], v[101:102]
	v_fma_f64 v[99:100], -v[99:100], v[105:106], v[107:108]
	v_div_fmas_f64 v[99:100], v[99:100], v[101:102], v[105:106]
	v_div_fixup_f64 v[101:102], v[99:100], v[97:98], 1.0
	v_mul_f64 v[103:104], v[103:104], -v[101:102]
.LBB47_88:
	s_or_b64 exec, exec, s[2:3]
	ds_write2_b64 v127, v[101:102], v[103:104] offset1:1
.LBB47_89:
	s_or_b64 exec, exec, s[4:5]
	s_waitcnt lgkmcnt(0)
	s_barrier
	ds_read2_b64 v[85:88], v127 offset1:1
	v_cmp_lt_u32_e32 vcc, 9, v0
	s_waitcnt lgkmcnt(0)
	buffer_store_dword v85, off, s[20:23], 0 offset:296 ; 4-byte Folded Spill
	s_nop 0
	buffer_store_dword v86, off, s[20:23], 0 offset:300 ; 4-byte Folded Spill
	buffer_store_dword v87, off, s[20:23], 0 offset:304 ; 4-byte Folded Spill
	;; [unrolled: 1-line block ×3, first 2 shown]
	s_and_saveexec_b64 s[2:3], vcc
	s_cbranch_execz .LBB47_91
; %bb.90:
	buffer_load_dword v85, off, s[20:23], 0 offset:296 ; 4-byte Folded Reload
	buffer_load_dword v86, off, s[20:23], 0 offset:300 ; 4-byte Folded Reload
	;; [unrolled: 1-line block ×4, first 2 shown]
	ds_read2_b64 v[99:102], v125 offset0:20 offset1:21
	s_waitcnt vmcnt(2)
	v_mul_f64 v[97:98], v[85:86], v[55:56]
	s_waitcnt vmcnt(0)
	v_mul_f64 v[55:56], v[87:88], v[55:56]
	v_fma_f64 v[97:98], v[87:88], v[53:54], v[97:98]
	v_fma_f64 v[53:54], v[85:86], v[53:54], -v[55:56]
	s_waitcnt lgkmcnt(0)
	v_mul_f64 v[55:56], v[101:102], v[97:98]
	v_fma_f64 v[55:56], v[99:100], v[53:54], -v[55:56]
	v_mul_f64 v[99:100], v[99:100], v[97:98]
	v_add_f64 v[49:50], v[49:50], -v[55:56]
	v_fma_f64 v[99:100], v[101:102], v[53:54], v[99:100]
	v_add_f64 v[51:52], v[51:52], -v[99:100]
	ds_read2_b64 v[99:102], v125 offset0:22 offset1:23
	s_waitcnt lgkmcnt(0)
	v_mul_f64 v[55:56], v[101:102], v[97:98]
	v_fma_f64 v[55:56], v[99:100], v[53:54], -v[55:56]
	v_mul_f64 v[99:100], v[99:100], v[97:98]
	v_add_f64 v[45:46], v[45:46], -v[55:56]
	v_fma_f64 v[99:100], v[101:102], v[53:54], v[99:100]
	v_add_f64 v[47:48], v[47:48], -v[99:100]
	ds_read2_b64 v[99:102], v125 offset0:24 offset1:25
	;; [unrolled: 8-line block ×13, first 2 shown]
	s_waitcnt lgkmcnt(0)
	v_mul_f64 v[55:56], v[101:102], v[97:98]
	v_fma_f64 v[55:56], v[99:100], v[53:54], -v[55:56]
	v_mul_f64 v[99:100], v[99:100], v[97:98]
	v_add_f64 v[69:70], v[69:70], -v[55:56]
	v_fma_f64 v[99:100], v[101:102], v[53:54], v[99:100]
	v_mov_b32_e32 v55, v97
	v_mov_b32_e32 v56, v98
	v_add_f64 v[71:72], v[71:72], -v[99:100]
.LBB47_91:
	s_or_b64 exec, exec, s[2:3]
	v_cmp_eq_u32_e32 vcc, 10, v0
	s_waitcnt vmcnt(0)
	s_barrier
	s_and_saveexec_b64 s[4:5], vcc
	s_cbranch_execz .LBB47_98
; %bb.92:
	ds_write2_b64 v127, v[49:50], v[51:52] offset1:1
	ds_write2_b64 v125, v[45:46], v[47:48] offset0:22 offset1:23
	ds_write2_b64 v125, v[41:42], v[43:44] offset0:24 offset1:25
	;; [unrolled: 1-line block ×13, first 2 shown]
	ds_read2_b64 v[97:100], v127 offset1:1
	s_waitcnt lgkmcnt(0)
	v_cmp_neq_f64_e32 vcc, 0, v[97:98]
	v_cmp_neq_f64_e64 s[2:3], 0, v[99:100]
	s_or_b64 s[2:3], vcc, s[2:3]
	s_and_b64 exec, exec, s[2:3]
	s_cbranch_execz .LBB47_98
; %bb.93:
	v_cmp_ngt_f64_e64 s[2:3], |v[97:98]|, |v[99:100]|
                                        ; implicit-def: $vgpr101_vgpr102
	s_and_saveexec_b64 s[6:7], s[2:3]
	s_xor_b64 s[2:3], exec, s[6:7]
                                        ; implicit-def: $vgpr103_vgpr104
	s_cbranch_execz .LBB47_95
; %bb.94:
	v_div_scale_f64 v[101:102], s[6:7], v[99:100], v[99:100], v[97:98]
	v_rcp_f64_e32 v[103:104], v[101:102]
	v_fma_f64 v[105:106], -v[101:102], v[103:104], 1.0
	v_fma_f64 v[103:104], v[103:104], v[105:106], v[103:104]
	v_div_scale_f64 v[105:106], vcc, v[97:98], v[99:100], v[97:98]
	v_fma_f64 v[107:108], -v[101:102], v[103:104], 1.0
	v_fma_f64 v[103:104], v[103:104], v[107:108], v[103:104]
	v_mul_f64 v[107:108], v[105:106], v[103:104]
	v_fma_f64 v[101:102], -v[101:102], v[107:108], v[105:106]
	v_div_fmas_f64 v[101:102], v[101:102], v[103:104], v[107:108]
	v_div_fixup_f64 v[101:102], v[101:102], v[99:100], v[97:98]
	v_fma_f64 v[97:98], v[97:98], v[101:102], v[99:100]
	v_div_scale_f64 v[99:100], s[6:7], v[97:98], v[97:98], 1.0
	v_div_scale_f64 v[107:108], vcc, 1.0, v[97:98], 1.0
	v_rcp_f64_e32 v[103:104], v[99:100]
	v_fma_f64 v[105:106], -v[99:100], v[103:104], 1.0
	v_fma_f64 v[103:104], v[103:104], v[105:106], v[103:104]
	v_fma_f64 v[105:106], -v[99:100], v[103:104], 1.0
	v_fma_f64 v[103:104], v[103:104], v[105:106], v[103:104]
	v_mul_f64 v[105:106], v[107:108], v[103:104]
	v_fma_f64 v[99:100], -v[99:100], v[105:106], v[107:108]
	v_div_fmas_f64 v[99:100], v[99:100], v[103:104], v[105:106]
	v_div_fixup_f64 v[103:104], v[99:100], v[97:98], 1.0
                                        ; implicit-def: $vgpr97_vgpr98
	v_mul_f64 v[101:102], v[101:102], v[103:104]
	v_xor_b32_e32 v104, 0x80000000, v104
.LBB47_95:
	s_andn2_saveexec_b64 s[2:3], s[2:3]
	s_cbranch_execz .LBB47_97
; %bb.96:
	v_div_scale_f64 v[101:102], s[6:7], v[97:98], v[97:98], v[99:100]
	v_rcp_f64_e32 v[103:104], v[101:102]
	v_fma_f64 v[105:106], -v[101:102], v[103:104], 1.0
	v_fma_f64 v[103:104], v[103:104], v[105:106], v[103:104]
	v_div_scale_f64 v[105:106], vcc, v[99:100], v[97:98], v[99:100]
	v_fma_f64 v[107:108], -v[101:102], v[103:104], 1.0
	v_fma_f64 v[103:104], v[103:104], v[107:108], v[103:104]
	v_mul_f64 v[107:108], v[105:106], v[103:104]
	v_fma_f64 v[101:102], -v[101:102], v[107:108], v[105:106]
	v_div_fmas_f64 v[101:102], v[101:102], v[103:104], v[107:108]
	v_div_fixup_f64 v[103:104], v[101:102], v[97:98], v[99:100]
	v_fma_f64 v[97:98], v[99:100], v[103:104], v[97:98]
	v_div_scale_f64 v[99:100], s[6:7], v[97:98], v[97:98], 1.0
	v_div_scale_f64 v[107:108], vcc, 1.0, v[97:98], 1.0
	v_rcp_f64_e32 v[101:102], v[99:100]
	v_fma_f64 v[105:106], -v[99:100], v[101:102], 1.0
	v_fma_f64 v[101:102], v[101:102], v[105:106], v[101:102]
	v_fma_f64 v[105:106], -v[99:100], v[101:102], 1.0
	v_fma_f64 v[101:102], v[101:102], v[105:106], v[101:102]
	v_mul_f64 v[105:106], v[107:108], v[101:102]
	v_fma_f64 v[99:100], -v[99:100], v[105:106], v[107:108]
	v_div_fmas_f64 v[99:100], v[99:100], v[101:102], v[105:106]
	v_div_fixup_f64 v[101:102], v[99:100], v[97:98], 1.0
	v_mul_f64 v[103:104], v[103:104], -v[101:102]
.LBB47_97:
	s_or_b64 exec, exec, s[2:3]
	ds_write2_b64 v127, v[101:102], v[103:104] offset1:1
.LBB47_98:
	s_or_b64 exec, exec, s[4:5]
	s_waitcnt lgkmcnt(0)
	s_barrier
	ds_read2_b64 v[85:88], v127 offset1:1
	v_cmp_lt_u32_e32 vcc, 10, v0
	s_waitcnt lgkmcnt(0)
	buffer_store_dword v85, off, s[20:23], 0 offset:312 ; 4-byte Folded Spill
	s_nop 0
	buffer_store_dword v86, off, s[20:23], 0 offset:316 ; 4-byte Folded Spill
	buffer_store_dword v87, off, s[20:23], 0 offset:320 ; 4-byte Folded Spill
	;; [unrolled: 1-line block ×3, first 2 shown]
	s_and_saveexec_b64 s[2:3], vcc
	s_cbranch_execz .LBB47_100
; %bb.99:
	buffer_load_dword v85, off, s[20:23], 0 offset:312 ; 4-byte Folded Reload
	buffer_load_dword v86, off, s[20:23], 0 offset:316 ; 4-byte Folded Reload
	;; [unrolled: 1-line block ×4, first 2 shown]
	ds_read2_b64 v[99:102], v125 offset0:22 offset1:23
	s_waitcnt vmcnt(2)
	v_mul_f64 v[97:98], v[85:86], v[51:52]
	s_waitcnt vmcnt(0)
	v_mul_f64 v[51:52], v[87:88], v[51:52]
	v_fma_f64 v[97:98], v[87:88], v[49:50], v[97:98]
	v_fma_f64 v[49:50], v[85:86], v[49:50], -v[51:52]
	s_waitcnt lgkmcnt(0)
	v_mul_f64 v[51:52], v[101:102], v[97:98]
	v_fma_f64 v[51:52], v[99:100], v[49:50], -v[51:52]
	v_mul_f64 v[99:100], v[99:100], v[97:98]
	v_add_f64 v[45:46], v[45:46], -v[51:52]
	v_fma_f64 v[99:100], v[101:102], v[49:50], v[99:100]
	v_add_f64 v[47:48], v[47:48], -v[99:100]
	ds_read2_b64 v[99:102], v125 offset0:24 offset1:25
	s_waitcnt lgkmcnt(0)
	v_mul_f64 v[51:52], v[101:102], v[97:98]
	v_fma_f64 v[51:52], v[99:100], v[49:50], -v[51:52]
	v_mul_f64 v[99:100], v[99:100], v[97:98]
	v_add_f64 v[41:42], v[41:42], -v[51:52]
	v_fma_f64 v[99:100], v[101:102], v[49:50], v[99:100]
	v_add_f64 v[43:44], v[43:44], -v[99:100]
	ds_read2_b64 v[99:102], v125 offset0:26 offset1:27
	;; [unrolled: 8-line block ×12, first 2 shown]
	s_waitcnt lgkmcnt(0)
	v_mul_f64 v[51:52], v[101:102], v[97:98]
	v_fma_f64 v[51:52], v[99:100], v[49:50], -v[51:52]
	v_mul_f64 v[99:100], v[99:100], v[97:98]
	v_add_f64 v[69:70], v[69:70], -v[51:52]
	v_fma_f64 v[99:100], v[101:102], v[49:50], v[99:100]
	v_mov_b32_e32 v51, v97
	v_mov_b32_e32 v52, v98
	v_add_f64 v[71:72], v[71:72], -v[99:100]
.LBB47_100:
	s_or_b64 exec, exec, s[2:3]
	v_cmp_eq_u32_e32 vcc, 11, v0
	s_waitcnt vmcnt(0)
	s_barrier
	s_and_saveexec_b64 s[4:5], vcc
	s_cbranch_execz .LBB47_107
; %bb.101:
	ds_write2_b64 v127, v[45:46], v[47:48] offset1:1
	ds_write2_b64 v125, v[41:42], v[43:44] offset0:24 offset1:25
	ds_write2_b64 v125, v[37:38], v[39:40] offset0:26 offset1:27
	;; [unrolled: 1-line block ×12, first 2 shown]
	ds_read2_b64 v[97:100], v127 offset1:1
	s_waitcnt lgkmcnt(0)
	v_cmp_neq_f64_e32 vcc, 0, v[97:98]
	v_cmp_neq_f64_e64 s[2:3], 0, v[99:100]
	s_or_b64 s[2:3], vcc, s[2:3]
	s_and_b64 exec, exec, s[2:3]
	s_cbranch_execz .LBB47_107
; %bb.102:
	v_cmp_ngt_f64_e64 s[2:3], |v[97:98]|, |v[99:100]|
                                        ; implicit-def: $vgpr101_vgpr102
	s_and_saveexec_b64 s[6:7], s[2:3]
	s_xor_b64 s[2:3], exec, s[6:7]
                                        ; implicit-def: $vgpr103_vgpr104
	s_cbranch_execz .LBB47_104
; %bb.103:
	v_div_scale_f64 v[101:102], s[6:7], v[99:100], v[99:100], v[97:98]
	v_rcp_f64_e32 v[103:104], v[101:102]
	v_fma_f64 v[105:106], -v[101:102], v[103:104], 1.0
	v_fma_f64 v[103:104], v[103:104], v[105:106], v[103:104]
	v_div_scale_f64 v[105:106], vcc, v[97:98], v[99:100], v[97:98]
	v_fma_f64 v[107:108], -v[101:102], v[103:104], 1.0
	v_fma_f64 v[103:104], v[103:104], v[107:108], v[103:104]
	v_mul_f64 v[107:108], v[105:106], v[103:104]
	v_fma_f64 v[101:102], -v[101:102], v[107:108], v[105:106]
	v_div_fmas_f64 v[101:102], v[101:102], v[103:104], v[107:108]
	v_div_fixup_f64 v[101:102], v[101:102], v[99:100], v[97:98]
	v_fma_f64 v[97:98], v[97:98], v[101:102], v[99:100]
	v_div_scale_f64 v[99:100], s[6:7], v[97:98], v[97:98], 1.0
	v_div_scale_f64 v[107:108], vcc, 1.0, v[97:98], 1.0
	v_rcp_f64_e32 v[103:104], v[99:100]
	v_fma_f64 v[105:106], -v[99:100], v[103:104], 1.0
	v_fma_f64 v[103:104], v[103:104], v[105:106], v[103:104]
	v_fma_f64 v[105:106], -v[99:100], v[103:104], 1.0
	v_fma_f64 v[103:104], v[103:104], v[105:106], v[103:104]
	v_mul_f64 v[105:106], v[107:108], v[103:104]
	v_fma_f64 v[99:100], -v[99:100], v[105:106], v[107:108]
	v_div_fmas_f64 v[99:100], v[99:100], v[103:104], v[105:106]
	v_div_fixup_f64 v[103:104], v[99:100], v[97:98], 1.0
                                        ; implicit-def: $vgpr97_vgpr98
	v_mul_f64 v[101:102], v[101:102], v[103:104]
	v_xor_b32_e32 v104, 0x80000000, v104
.LBB47_104:
	s_andn2_saveexec_b64 s[2:3], s[2:3]
	s_cbranch_execz .LBB47_106
; %bb.105:
	v_div_scale_f64 v[101:102], s[6:7], v[97:98], v[97:98], v[99:100]
	v_rcp_f64_e32 v[103:104], v[101:102]
	v_fma_f64 v[105:106], -v[101:102], v[103:104], 1.0
	v_fma_f64 v[103:104], v[103:104], v[105:106], v[103:104]
	v_div_scale_f64 v[105:106], vcc, v[99:100], v[97:98], v[99:100]
	v_fma_f64 v[107:108], -v[101:102], v[103:104], 1.0
	v_fma_f64 v[103:104], v[103:104], v[107:108], v[103:104]
	v_mul_f64 v[107:108], v[105:106], v[103:104]
	v_fma_f64 v[101:102], -v[101:102], v[107:108], v[105:106]
	v_div_fmas_f64 v[101:102], v[101:102], v[103:104], v[107:108]
	v_div_fixup_f64 v[103:104], v[101:102], v[97:98], v[99:100]
	v_fma_f64 v[97:98], v[99:100], v[103:104], v[97:98]
	v_div_scale_f64 v[99:100], s[6:7], v[97:98], v[97:98], 1.0
	v_div_scale_f64 v[107:108], vcc, 1.0, v[97:98], 1.0
	v_rcp_f64_e32 v[101:102], v[99:100]
	v_fma_f64 v[105:106], -v[99:100], v[101:102], 1.0
	v_fma_f64 v[101:102], v[101:102], v[105:106], v[101:102]
	v_fma_f64 v[105:106], -v[99:100], v[101:102], 1.0
	v_fma_f64 v[101:102], v[101:102], v[105:106], v[101:102]
	v_mul_f64 v[105:106], v[107:108], v[101:102]
	v_fma_f64 v[99:100], -v[99:100], v[105:106], v[107:108]
	v_div_fmas_f64 v[99:100], v[99:100], v[101:102], v[105:106]
	v_div_fixup_f64 v[101:102], v[99:100], v[97:98], 1.0
	v_mul_f64 v[103:104], v[103:104], -v[101:102]
.LBB47_106:
	s_or_b64 exec, exec, s[2:3]
	ds_write2_b64 v127, v[101:102], v[103:104] offset1:1
.LBB47_107:
	s_or_b64 exec, exec, s[4:5]
	s_waitcnt lgkmcnt(0)
	s_barrier
	ds_read2_b64 v[85:88], v127 offset1:1
	v_cmp_lt_u32_e32 vcc, 11, v0
	s_waitcnt lgkmcnt(0)
	buffer_store_dword v85, off, s[20:23], 0 offset:328 ; 4-byte Folded Spill
	s_nop 0
	buffer_store_dword v86, off, s[20:23], 0 offset:332 ; 4-byte Folded Spill
	buffer_store_dword v87, off, s[20:23], 0 offset:336 ; 4-byte Folded Spill
	;; [unrolled: 1-line block ×3, first 2 shown]
	s_and_saveexec_b64 s[2:3], vcc
	s_cbranch_execz .LBB47_109
; %bb.108:
	buffer_load_dword v85, off, s[20:23], 0 offset:328 ; 4-byte Folded Reload
	buffer_load_dword v86, off, s[20:23], 0 offset:332 ; 4-byte Folded Reload
	;; [unrolled: 1-line block ×4, first 2 shown]
	ds_read2_b64 v[99:102], v125 offset0:24 offset1:25
	s_waitcnt vmcnt(2)
	v_mul_f64 v[97:98], v[85:86], v[47:48]
	s_waitcnt vmcnt(0)
	v_mul_f64 v[47:48], v[87:88], v[47:48]
	v_fma_f64 v[97:98], v[87:88], v[45:46], v[97:98]
	v_fma_f64 v[45:46], v[85:86], v[45:46], -v[47:48]
	s_waitcnt lgkmcnt(0)
	v_mul_f64 v[47:48], v[101:102], v[97:98]
	v_fma_f64 v[47:48], v[99:100], v[45:46], -v[47:48]
	v_mul_f64 v[99:100], v[99:100], v[97:98]
	v_add_f64 v[41:42], v[41:42], -v[47:48]
	v_fma_f64 v[99:100], v[101:102], v[45:46], v[99:100]
	v_add_f64 v[43:44], v[43:44], -v[99:100]
	ds_read2_b64 v[99:102], v125 offset0:26 offset1:27
	s_waitcnt lgkmcnt(0)
	v_mul_f64 v[47:48], v[101:102], v[97:98]
	v_fma_f64 v[47:48], v[99:100], v[45:46], -v[47:48]
	v_mul_f64 v[99:100], v[99:100], v[97:98]
	v_add_f64 v[37:38], v[37:38], -v[47:48]
	v_fma_f64 v[99:100], v[101:102], v[45:46], v[99:100]
	v_add_f64 v[39:40], v[39:40], -v[99:100]
	ds_read2_b64 v[99:102], v125 offset0:28 offset1:29
	;; [unrolled: 8-line block ×11, first 2 shown]
	s_waitcnt lgkmcnt(0)
	v_mul_f64 v[47:48], v[101:102], v[97:98]
	v_fma_f64 v[47:48], v[99:100], v[45:46], -v[47:48]
	v_mul_f64 v[99:100], v[99:100], v[97:98]
	v_add_f64 v[69:70], v[69:70], -v[47:48]
	v_fma_f64 v[99:100], v[101:102], v[45:46], v[99:100]
	v_mov_b32_e32 v47, v97
	v_mov_b32_e32 v48, v98
	v_add_f64 v[71:72], v[71:72], -v[99:100]
.LBB47_109:
	s_or_b64 exec, exec, s[2:3]
	v_cmp_eq_u32_e32 vcc, 12, v0
	s_waitcnt vmcnt(0)
	s_barrier
	s_and_saveexec_b64 s[4:5], vcc
	s_cbranch_execz .LBB47_116
; %bb.110:
	ds_write2_b64 v127, v[41:42], v[43:44] offset1:1
	ds_write2_b64 v125, v[37:38], v[39:40] offset0:26 offset1:27
	ds_write2_b64 v125, v[33:34], v[35:36] offset0:28 offset1:29
	;; [unrolled: 1-line block ×11, first 2 shown]
	ds_read2_b64 v[97:100], v127 offset1:1
	s_waitcnt lgkmcnt(0)
	v_cmp_neq_f64_e32 vcc, 0, v[97:98]
	v_cmp_neq_f64_e64 s[2:3], 0, v[99:100]
	s_or_b64 s[2:3], vcc, s[2:3]
	s_and_b64 exec, exec, s[2:3]
	s_cbranch_execz .LBB47_116
; %bb.111:
	v_cmp_ngt_f64_e64 s[2:3], |v[97:98]|, |v[99:100]|
                                        ; implicit-def: $vgpr101_vgpr102
	s_and_saveexec_b64 s[6:7], s[2:3]
	s_xor_b64 s[2:3], exec, s[6:7]
                                        ; implicit-def: $vgpr103_vgpr104
	s_cbranch_execz .LBB47_113
; %bb.112:
	v_div_scale_f64 v[101:102], s[6:7], v[99:100], v[99:100], v[97:98]
	v_rcp_f64_e32 v[103:104], v[101:102]
	v_fma_f64 v[105:106], -v[101:102], v[103:104], 1.0
	v_fma_f64 v[103:104], v[103:104], v[105:106], v[103:104]
	v_div_scale_f64 v[105:106], vcc, v[97:98], v[99:100], v[97:98]
	v_fma_f64 v[107:108], -v[101:102], v[103:104], 1.0
	v_fma_f64 v[103:104], v[103:104], v[107:108], v[103:104]
	v_mul_f64 v[107:108], v[105:106], v[103:104]
	v_fma_f64 v[101:102], -v[101:102], v[107:108], v[105:106]
	v_div_fmas_f64 v[101:102], v[101:102], v[103:104], v[107:108]
	v_div_fixup_f64 v[101:102], v[101:102], v[99:100], v[97:98]
	v_fma_f64 v[97:98], v[97:98], v[101:102], v[99:100]
	v_div_scale_f64 v[99:100], s[6:7], v[97:98], v[97:98], 1.0
	v_div_scale_f64 v[107:108], vcc, 1.0, v[97:98], 1.0
	v_rcp_f64_e32 v[103:104], v[99:100]
	v_fma_f64 v[105:106], -v[99:100], v[103:104], 1.0
	v_fma_f64 v[103:104], v[103:104], v[105:106], v[103:104]
	v_fma_f64 v[105:106], -v[99:100], v[103:104], 1.0
	v_fma_f64 v[103:104], v[103:104], v[105:106], v[103:104]
	v_mul_f64 v[105:106], v[107:108], v[103:104]
	v_fma_f64 v[99:100], -v[99:100], v[105:106], v[107:108]
	v_div_fmas_f64 v[99:100], v[99:100], v[103:104], v[105:106]
	v_div_fixup_f64 v[103:104], v[99:100], v[97:98], 1.0
                                        ; implicit-def: $vgpr97_vgpr98
	v_mul_f64 v[101:102], v[101:102], v[103:104]
	v_xor_b32_e32 v104, 0x80000000, v104
.LBB47_113:
	s_andn2_saveexec_b64 s[2:3], s[2:3]
	s_cbranch_execz .LBB47_115
; %bb.114:
	v_div_scale_f64 v[101:102], s[6:7], v[97:98], v[97:98], v[99:100]
	v_rcp_f64_e32 v[103:104], v[101:102]
	v_fma_f64 v[105:106], -v[101:102], v[103:104], 1.0
	v_fma_f64 v[103:104], v[103:104], v[105:106], v[103:104]
	v_div_scale_f64 v[105:106], vcc, v[99:100], v[97:98], v[99:100]
	v_fma_f64 v[107:108], -v[101:102], v[103:104], 1.0
	v_fma_f64 v[103:104], v[103:104], v[107:108], v[103:104]
	v_mul_f64 v[107:108], v[105:106], v[103:104]
	v_fma_f64 v[101:102], -v[101:102], v[107:108], v[105:106]
	v_div_fmas_f64 v[101:102], v[101:102], v[103:104], v[107:108]
	v_div_fixup_f64 v[103:104], v[101:102], v[97:98], v[99:100]
	v_fma_f64 v[97:98], v[99:100], v[103:104], v[97:98]
	v_div_scale_f64 v[99:100], s[6:7], v[97:98], v[97:98], 1.0
	v_div_scale_f64 v[107:108], vcc, 1.0, v[97:98], 1.0
	v_rcp_f64_e32 v[101:102], v[99:100]
	v_fma_f64 v[105:106], -v[99:100], v[101:102], 1.0
	v_fma_f64 v[101:102], v[101:102], v[105:106], v[101:102]
	v_fma_f64 v[105:106], -v[99:100], v[101:102], 1.0
	v_fma_f64 v[101:102], v[101:102], v[105:106], v[101:102]
	v_mul_f64 v[105:106], v[107:108], v[101:102]
	v_fma_f64 v[99:100], -v[99:100], v[105:106], v[107:108]
	v_div_fmas_f64 v[99:100], v[99:100], v[101:102], v[105:106]
	v_div_fixup_f64 v[101:102], v[99:100], v[97:98], 1.0
	v_mul_f64 v[103:104], v[103:104], -v[101:102]
.LBB47_115:
	s_or_b64 exec, exec, s[2:3]
	ds_write2_b64 v127, v[101:102], v[103:104] offset1:1
.LBB47_116:
	s_or_b64 exec, exec, s[4:5]
	s_waitcnt lgkmcnt(0)
	s_barrier
	ds_read2_b64 v[85:88], v127 offset1:1
	v_cmp_lt_u32_e32 vcc, 12, v0
	s_waitcnt lgkmcnt(0)
	buffer_store_dword v85, off, s[20:23], 0 offset:344 ; 4-byte Folded Spill
	s_nop 0
	buffer_store_dword v86, off, s[20:23], 0 offset:348 ; 4-byte Folded Spill
	buffer_store_dword v87, off, s[20:23], 0 offset:352 ; 4-byte Folded Spill
	;; [unrolled: 1-line block ×3, first 2 shown]
	s_and_saveexec_b64 s[2:3], vcc
	s_cbranch_execz .LBB47_118
; %bb.117:
	buffer_load_dword v85, off, s[20:23], 0 offset:344 ; 4-byte Folded Reload
	buffer_load_dword v86, off, s[20:23], 0 offset:348 ; 4-byte Folded Reload
	;; [unrolled: 1-line block ×4, first 2 shown]
	ds_read2_b64 v[99:102], v125 offset0:26 offset1:27
	s_waitcnt vmcnt(2)
	v_mul_f64 v[97:98], v[85:86], v[43:44]
	s_waitcnt vmcnt(0)
	v_mul_f64 v[43:44], v[87:88], v[43:44]
	v_fma_f64 v[97:98], v[87:88], v[41:42], v[97:98]
	v_fma_f64 v[41:42], v[85:86], v[41:42], -v[43:44]
	s_waitcnt lgkmcnt(0)
	v_mul_f64 v[43:44], v[101:102], v[97:98]
	v_fma_f64 v[43:44], v[99:100], v[41:42], -v[43:44]
	v_mul_f64 v[99:100], v[99:100], v[97:98]
	v_add_f64 v[37:38], v[37:38], -v[43:44]
	v_fma_f64 v[99:100], v[101:102], v[41:42], v[99:100]
	v_add_f64 v[39:40], v[39:40], -v[99:100]
	ds_read2_b64 v[99:102], v125 offset0:28 offset1:29
	s_waitcnt lgkmcnt(0)
	v_mul_f64 v[43:44], v[101:102], v[97:98]
	v_fma_f64 v[43:44], v[99:100], v[41:42], -v[43:44]
	v_mul_f64 v[99:100], v[99:100], v[97:98]
	v_add_f64 v[33:34], v[33:34], -v[43:44]
	v_fma_f64 v[99:100], v[101:102], v[41:42], v[99:100]
	v_add_f64 v[35:36], v[35:36], -v[99:100]
	ds_read2_b64 v[99:102], v125 offset0:30 offset1:31
	s_waitcnt lgkmcnt(0)
	v_mul_f64 v[43:44], v[101:102], v[97:98]
	v_fma_f64 v[43:44], v[99:100], v[41:42], -v[43:44]
	v_mul_f64 v[99:100], v[99:100], v[97:98]
	v_add_f64 v[29:30], v[29:30], -v[43:44]
	v_fma_f64 v[99:100], v[101:102], v[41:42], v[99:100]
	v_add_f64 v[31:32], v[31:32], -v[99:100]
	ds_read2_b64 v[99:102], v125 offset0:32 offset1:33
	s_waitcnt lgkmcnt(0)
	v_mul_f64 v[43:44], v[101:102], v[97:98]
	v_fma_f64 v[43:44], v[99:100], v[41:42], -v[43:44]
	v_mul_f64 v[99:100], v[99:100], v[97:98]
	v_add_f64 v[25:26], v[25:26], -v[43:44]
	v_fma_f64 v[99:100], v[101:102], v[41:42], v[99:100]
	v_add_f64 v[27:28], v[27:28], -v[99:100]
	ds_read2_b64 v[99:102], v125 offset0:34 offset1:35
	s_waitcnt lgkmcnt(0)
	v_mul_f64 v[43:44], v[101:102], v[97:98]
	v_fma_f64 v[43:44], v[99:100], v[41:42], -v[43:44]
	v_mul_f64 v[99:100], v[99:100], v[97:98]
	v_add_f64 v[21:22], v[21:22], -v[43:44]
	v_fma_f64 v[99:100], v[101:102], v[41:42], v[99:100]
	v_add_f64 v[23:24], v[23:24], -v[99:100]
	ds_read2_b64 v[99:102], v125 offset0:36 offset1:37
	s_waitcnt lgkmcnt(0)
	v_mul_f64 v[43:44], v[101:102], v[97:98]
	v_fma_f64 v[43:44], v[99:100], v[41:42], -v[43:44]
	v_mul_f64 v[99:100], v[99:100], v[97:98]
	v_add_f64 v[17:18], v[17:18], -v[43:44]
	v_fma_f64 v[99:100], v[101:102], v[41:42], v[99:100]
	v_add_f64 v[19:20], v[19:20], -v[99:100]
	ds_read2_b64 v[99:102], v125 offset0:38 offset1:39
	s_waitcnt lgkmcnt(0)
	v_mul_f64 v[43:44], v[101:102], v[97:98]
	v_fma_f64 v[43:44], v[99:100], v[41:42], -v[43:44]
	v_mul_f64 v[99:100], v[99:100], v[97:98]
	v_add_f64 v[13:14], v[13:14], -v[43:44]
	v_fma_f64 v[99:100], v[101:102], v[41:42], v[99:100]
	v_add_f64 v[15:16], v[15:16], -v[99:100]
	ds_read2_b64 v[99:102], v125 offset0:40 offset1:41
	s_waitcnt lgkmcnt(0)
	v_mul_f64 v[43:44], v[101:102], v[97:98]
	v_fma_f64 v[43:44], v[99:100], v[41:42], -v[43:44]
	v_mul_f64 v[99:100], v[99:100], v[97:98]
	v_add_f64 v[9:10], v[9:10], -v[43:44]
	v_fma_f64 v[99:100], v[101:102], v[41:42], v[99:100]
	v_add_f64 v[11:12], v[11:12], -v[99:100]
	ds_read2_b64 v[99:102], v125 offset0:42 offset1:43
	s_waitcnt lgkmcnt(0)
	v_mul_f64 v[43:44], v[101:102], v[97:98]
	v_fma_f64 v[43:44], v[99:100], v[41:42], -v[43:44]
	v_mul_f64 v[99:100], v[99:100], v[97:98]
	v_add_f64 v[5:6], v[5:6], -v[43:44]
	v_fma_f64 v[99:100], v[101:102], v[41:42], v[99:100]
	v_add_f64 v[7:8], v[7:8], -v[99:100]
	ds_read2_b64 v[99:102], v125 offset0:44 offset1:45
	s_waitcnt lgkmcnt(0)
	v_mul_f64 v[43:44], v[101:102], v[97:98]
	v_fma_f64 v[43:44], v[99:100], v[41:42], -v[43:44]
	v_mul_f64 v[99:100], v[99:100], v[97:98]
	v_add_f64 v[1:2], v[1:2], -v[43:44]
	v_fma_f64 v[99:100], v[101:102], v[41:42], v[99:100]
	v_add_f64 v[3:4], v[3:4], -v[99:100]
	ds_read2_b64 v[99:102], v125 offset0:46 offset1:47
	s_waitcnt lgkmcnt(0)
	v_mul_f64 v[43:44], v[101:102], v[97:98]
	v_fma_f64 v[43:44], v[99:100], v[41:42], -v[43:44]
	v_mul_f64 v[99:100], v[99:100], v[97:98]
	v_add_f64 v[69:70], v[69:70], -v[43:44]
	v_fma_f64 v[99:100], v[101:102], v[41:42], v[99:100]
	v_mov_b32_e32 v43, v97
	v_mov_b32_e32 v44, v98
	v_add_f64 v[71:72], v[71:72], -v[99:100]
.LBB47_118:
	s_or_b64 exec, exec, s[2:3]
	v_cmp_eq_u32_e32 vcc, 13, v0
	s_waitcnt vmcnt(0)
	s_barrier
	s_and_saveexec_b64 s[4:5], vcc
	s_cbranch_execz .LBB47_125
; %bb.119:
	ds_write2_b64 v127, v[37:38], v[39:40] offset1:1
	ds_write2_b64 v125, v[33:34], v[35:36] offset0:28 offset1:29
	ds_write2_b64 v125, v[29:30], v[31:32] offset0:30 offset1:31
	;; [unrolled: 1-line block ×10, first 2 shown]
	ds_read2_b64 v[97:100], v127 offset1:1
	s_waitcnt lgkmcnt(0)
	v_cmp_neq_f64_e32 vcc, 0, v[97:98]
	v_cmp_neq_f64_e64 s[2:3], 0, v[99:100]
	s_or_b64 s[2:3], vcc, s[2:3]
	s_and_b64 exec, exec, s[2:3]
	s_cbranch_execz .LBB47_125
; %bb.120:
	v_cmp_ngt_f64_e64 s[2:3], |v[97:98]|, |v[99:100]|
                                        ; implicit-def: $vgpr101_vgpr102
	s_and_saveexec_b64 s[6:7], s[2:3]
	s_xor_b64 s[2:3], exec, s[6:7]
                                        ; implicit-def: $vgpr103_vgpr104
	s_cbranch_execz .LBB47_122
; %bb.121:
	v_div_scale_f64 v[101:102], s[6:7], v[99:100], v[99:100], v[97:98]
	v_rcp_f64_e32 v[103:104], v[101:102]
	v_fma_f64 v[105:106], -v[101:102], v[103:104], 1.0
	v_fma_f64 v[103:104], v[103:104], v[105:106], v[103:104]
	v_div_scale_f64 v[105:106], vcc, v[97:98], v[99:100], v[97:98]
	v_fma_f64 v[107:108], -v[101:102], v[103:104], 1.0
	v_fma_f64 v[103:104], v[103:104], v[107:108], v[103:104]
	v_mul_f64 v[107:108], v[105:106], v[103:104]
	v_fma_f64 v[101:102], -v[101:102], v[107:108], v[105:106]
	v_div_fmas_f64 v[101:102], v[101:102], v[103:104], v[107:108]
	v_div_fixup_f64 v[101:102], v[101:102], v[99:100], v[97:98]
	v_fma_f64 v[97:98], v[97:98], v[101:102], v[99:100]
	v_div_scale_f64 v[99:100], s[6:7], v[97:98], v[97:98], 1.0
	v_div_scale_f64 v[107:108], vcc, 1.0, v[97:98], 1.0
	v_rcp_f64_e32 v[103:104], v[99:100]
	v_fma_f64 v[105:106], -v[99:100], v[103:104], 1.0
	v_fma_f64 v[103:104], v[103:104], v[105:106], v[103:104]
	v_fma_f64 v[105:106], -v[99:100], v[103:104], 1.0
	v_fma_f64 v[103:104], v[103:104], v[105:106], v[103:104]
	v_mul_f64 v[105:106], v[107:108], v[103:104]
	v_fma_f64 v[99:100], -v[99:100], v[105:106], v[107:108]
	v_div_fmas_f64 v[99:100], v[99:100], v[103:104], v[105:106]
	v_div_fixup_f64 v[103:104], v[99:100], v[97:98], 1.0
                                        ; implicit-def: $vgpr97_vgpr98
	v_mul_f64 v[101:102], v[101:102], v[103:104]
	v_xor_b32_e32 v104, 0x80000000, v104
.LBB47_122:
	s_andn2_saveexec_b64 s[2:3], s[2:3]
	s_cbranch_execz .LBB47_124
; %bb.123:
	v_div_scale_f64 v[101:102], s[6:7], v[97:98], v[97:98], v[99:100]
	v_rcp_f64_e32 v[103:104], v[101:102]
	v_fma_f64 v[105:106], -v[101:102], v[103:104], 1.0
	v_fma_f64 v[103:104], v[103:104], v[105:106], v[103:104]
	v_div_scale_f64 v[105:106], vcc, v[99:100], v[97:98], v[99:100]
	v_fma_f64 v[107:108], -v[101:102], v[103:104], 1.0
	v_fma_f64 v[103:104], v[103:104], v[107:108], v[103:104]
	v_mul_f64 v[107:108], v[105:106], v[103:104]
	v_fma_f64 v[101:102], -v[101:102], v[107:108], v[105:106]
	v_div_fmas_f64 v[101:102], v[101:102], v[103:104], v[107:108]
	v_div_fixup_f64 v[103:104], v[101:102], v[97:98], v[99:100]
	v_fma_f64 v[97:98], v[99:100], v[103:104], v[97:98]
	v_div_scale_f64 v[99:100], s[6:7], v[97:98], v[97:98], 1.0
	v_div_scale_f64 v[107:108], vcc, 1.0, v[97:98], 1.0
	v_rcp_f64_e32 v[101:102], v[99:100]
	v_fma_f64 v[105:106], -v[99:100], v[101:102], 1.0
	v_fma_f64 v[101:102], v[101:102], v[105:106], v[101:102]
	v_fma_f64 v[105:106], -v[99:100], v[101:102], 1.0
	v_fma_f64 v[101:102], v[101:102], v[105:106], v[101:102]
	v_mul_f64 v[105:106], v[107:108], v[101:102]
	v_fma_f64 v[99:100], -v[99:100], v[105:106], v[107:108]
	v_div_fmas_f64 v[99:100], v[99:100], v[101:102], v[105:106]
	v_div_fixup_f64 v[101:102], v[99:100], v[97:98], 1.0
	v_mul_f64 v[103:104], v[103:104], -v[101:102]
.LBB47_124:
	s_or_b64 exec, exec, s[2:3]
	ds_write2_b64 v127, v[101:102], v[103:104] offset1:1
.LBB47_125:
	s_or_b64 exec, exec, s[4:5]
	s_waitcnt lgkmcnt(0)
	s_barrier
	ds_read2_b64 v[85:88], v127 offset1:1
	v_cmp_lt_u32_e32 vcc, 13, v0
	s_waitcnt lgkmcnt(0)
	buffer_store_dword v85, off, s[20:23], 0 offset:360 ; 4-byte Folded Spill
	s_nop 0
	buffer_store_dword v86, off, s[20:23], 0 offset:364 ; 4-byte Folded Spill
	buffer_store_dword v87, off, s[20:23], 0 offset:368 ; 4-byte Folded Spill
	;; [unrolled: 1-line block ×3, first 2 shown]
	s_and_saveexec_b64 s[2:3], vcc
	s_cbranch_execz .LBB47_127
; %bb.126:
	buffer_load_dword v85, off, s[20:23], 0 offset:360 ; 4-byte Folded Reload
	buffer_load_dword v86, off, s[20:23], 0 offset:364 ; 4-byte Folded Reload
	;; [unrolled: 1-line block ×4, first 2 shown]
	ds_read2_b64 v[99:102], v125 offset0:28 offset1:29
	s_waitcnt vmcnt(2)
	v_mul_f64 v[97:98], v[85:86], v[39:40]
	s_waitcnt vmcnt(0)
	v_mul_f64 v[39:40], v[87:88], v[39:40]
	v_fma_f64 v[97:98], v[87:88], v[37:38], v[97:98]
	v_fma_f64 v[37:38], v[85:86], v[37:38], -v[39:40]
	s_waitcnt lgkmcnt(0)
	v_mul_f64 v[39:40], v[101:102], v[97:98]
	v_fma_f64 v[39:40], v[99:100], v[37:38], -v[39:40]
	v_mul_f64 v[99:100], v[99:100], v[97:98]
	v_add_f64 v[33:34], v[33:34], -v[39:40]
	v_fma_f64 v[99:100], v[101:102], v[37:38], v[99:100]
	v_add_f64 v[35:36], v[35:36], -v[99:100]
	ds_read2_b64 v[99:102], v125 offset0:30 offset1:31
	s_waitcnt lgkmcnt(0)
	v_mul_f64 v[39:40], v[101:102], v[97:98]
	v_fma_f64 v[39:40], v[99:100], v[37:38], -v[39:40]
	v_mul_f64 v[99:100], v[99:100], v[97:98]
	v_add_f64 v[29:30], v[29:30], -v[39:40]
	v_fma_f64 v[99:100], v[101:102], v[37:38], v[99:100]
	v_add_f64 v[31:32], v[31:32], -v[99:100]
	ds_read2_b64 v[99:102], v125 offset0:32 offset1:33
	s_waitcnt lgkmcnt(0)
	v_mul_f64 v[39:40], v[101:102], v[97:98]
	v_fma_f64 v[39:40], v[99:100], v[37:38], -v[39:40]
	v_mul_f64 v[99:100], v[99:100], v[97:98]
	v_add_f64 v[25:26], v[25:26], -v[39:40]
	v_fma_f64 v[99:100], v[101:102], v[37:38], v[99:100]
	v_add_f64 v[27:28], v[27:28], -v[99:100]
	ds_read2_b64 v[99:102], v125 offset0:34 offset1:35
	s_waitcnt lgkmcnt(0)
	v_mul_f64 v[39:40], v[101:102], v[97:98]
	v_fma_f64 v[39:40], v[99:100], v[37:38], -v[39:40]
	v_mul_f64 v[99:100], v[99:100], v[97:98]
	v_add_f64 v[21:22], v[21:22], -v[39:40]
	v_fma_f64 v[99:100], v[101:102], v[37:38], v[99:100]
	v_add_f64 v[23:24], v[23:24], -v[99:100]
	ds_read2_b64 v[99:102], v125 offset0:36 offset1:37
	s_waitcnt lgkmcnt(0)
	v_mul_f64 v[39:40], v[101:102], v[97:98]
	v_fma_f64 v[39:40], v[99:100], v[37:38], -v[39:40]
	v_mul_f64 v[99:100], v[99:100], v[97:98]
	v_add_f64 v[17:18], v[17:18], -v[39:40]
	v_fma_f64 v[99:100], v[101:102], v[37:38], v[99:100]
	v_add_f64 v[19:20], v[19:20], -v[99:100]
	ds_read2_b64 v[99:102], v125 offset0:38 offset1:39
	s_waitcnt lgkmcnt(0)
	v_mul_f64 v[39:40], v[101:102], v[97:98]
	v_fma_f64 v[39:40], v[99:100], v[37:38], -v[39:40]
	v_mul_f64 v[99:100], v[99:100], v[97:98]
	v_add_f64 v[13:14], v[13:14], -v[39:40]
	v_fma_f64 v[99:100], v[101:102], v[37:38], v[99:100]
	v_add_f64 v[15:16], v[15:16], -v[99:100]
	ds_read2_b64 v[99:102], v125 offset0:40 offset1:41
	s_waitcnt lgkmcnt(0)
	v_mul_f64 v[39:40], v[101:102], v[97:98]
	v_fma_f64 v[39:40], v[99:100], v[37:38], -v[39:40]
	v_mul_f64 v[99:100], v[99:100], v[97:98]
	v_add_f64 v[9:10], v[9:10], -v[39:40]
	v_fma_f64 v[99:100], v[101:102], v[37:38], v[99:100]
	v_add_f64 v[11:12], v[11:12], -v[99:100]
	ds_read2_b64 v[99:102], v125 offset0:42 offset1:43
	s_waitcnt lgkmcnt(0)
	v_mul_f64 v[39:40], v[101:102], v[97:98]
	v_fma_f64 v[39:40], v[99:100], v[37:38], -v[39:40]
	v_mul_f64 v[99:100], v[99:100], v[97:98]
	v_add_f64 v[5:6], v[5:6], -v[39:40]
	v_fma_f64 v[99:100], v[101:102], v[37:38], v[99:100]
	v_add_f64 v[7:8], v[7:8], -v[99:100]
	ds_read2_b64 v[99:102], v125 offset0:44 offset1:45
	s_waitcnt lgkmcnt(0)
	v_mul_f64 v[39:40], v[101:102], v[97:98]
	v_fma_f64 v[39:40], v[99:100], v[37:38], -v[39:40]
	v_mul_f64 v[99:100], v[99:100], v[97:98]
	v_add_f64 v[1:2], v[1:2], -v[39:40]
	v_fma_f64 v[99:100], v[101:102], v[37:38], v[99:100]
	v_add_f64 v[3:4], v[3:4], -v[99:100]
	ds_read2_b64 v[99:102], v125 offset0:46 offset1:47
	s_waitcnt lgkmcnt(0)
	v_mul_f64 v[39:40], v[101:102], v[97:98]
	v_fma_f64 v[39:40], v[99:100], v[37:38], -v[39:40]
	v_mul_f64 v[99:100], v[99:100], v[97:98]
	v_add_f64 v[69:70], v[69:70], -v[39:40]
	v_fma_f64 v[99:100], v[101:102], v[37:38], v[99:100]
	v_mov_b32_e32 v39, v97
	v_mov_b32_e32 v40, v98
	v_add_f64 v[71:72], v[71:72], -v[99:100]
.LBB47_127:
	s_or_b64 exec, exec, s[2:3]
	v_cmp_eq_u32_e32 vcc, 14, v0
	s_waitcnt vmcnt(0)
	s_barrier
	s_and_saveexec_b64 s[4:5], vcc
	s_cbranch_execz .LBB47_134
; %bb.128:
	ds_write2_b64 v127, v[33:34], v[35:36] offset1:1
	ds_write2_b64 v125, v[29:30], v[31:32] offset0:30 offset1:31
	ds_write2_b64 v125, v[25:26], v[27:28] offset0:32 offset1:33
	;; [unrolled: 1-line block ×9, first 2 shown]
	ds_read2_b64 v[97:100], v127 offset1:1
	s_waitcnt lgkmcnt(0)
	v_cmp_neq_f64_e32 vcc, 0, v[97:98]
	v_cmp_neq_f64_e64 s[2:3], 0, v[99:100]
	s_or_b64 s[2:3], vcc, s[2:3]
	s_and_b64 exec, exec, s[2:3]
	s_cbranch_execz .LBB47_134
; %bb.129:
	v_cmp_ngt_f64_e64 s[2:3], |v[97:98]|, |v[99:100]|
                                        ; implicit-def: $vgpr101_vgpr102
	s_and_saveexec_b64 s[6:7], s[2:3]
	s_xor_b64 s[2:3], exec, s[6:7]
                                        ; implicit-def: $vgpr103_vgpr104
	s_cbranch_execz .LBB47_131
; %bb.130:
	v_div_scale_f64 v[101:102], s[6:7], v[99:100], v[99:100], v[97:98]
	v_rcp_f64_e32 v[103:104], v[101:102]
	v_fma_f64 v[105:106], -v[101:102], v[103:104], 1.0
	v_fma_f64 v[103:104], v[103:104], v[105:106], v[103:104]
	v_div_scale_f64 v[105:106], vcc, v[97:98], v[99:100], v[97:98]
	v_fma_f64 v[107:108], -v[101:102], v[103:104], 1.0
	v_fma_f64 v[103:104], v[103:104], v[107:108], v[103:104]
	v_mul_f64 v[107:108], v[105:106], v[103:104]
	v_fma_f64 v[101:102], -v[101:102], v[107:108], v[105:106]
	v_div_fmas_f64 v[101:102], v[101:102], v[103:104], v[107:108]
	v_div_fixup_f64 v[101:102], v[101:102], v[99:100], v[97:98]
	v_fma_f64 v[97:98], v[97:98], v[101:102], v[99:100]
	v_div_scale_f64 v[99:100], s[6:7], v[97:98], v[97:98], 1.0
	v_div_scale_f64 v[107:108], vcc, 1.0, v[97:98], 1.0
	v_rcp_f64_e32 v[103:104], v[99:100]
	v_fma_f64 v[105:106], -v[99:100], v[103:104], 1.0
	v_fma_f64 v[103:104], v[103:104], v[105:106], v[103:104]
	v_fma_f64 v[105:106], -v[99:100], v[103:104], 1.0
	v_fma_f64 v[103:104], v[103:104], v[105:106], v[103:104]
	v_mul_f64 v[105:106], v[107:108], v[103:104]
	v_fma_f64 v[99:100], -v[99:100], v[105:106], v[107:108]
	v_div_fmas_f64 v[99:100], v[99:100], v[103:104], v[105:106]
	v_div_fixup_f64 v[103:104], v[99:100], v[97:98], 1.0
                                        ; implicit-def: $vgpr97_vgpr98
	v_mul_f64 v[101:102], v[101:102], v[103:104]
	v_xor_b32_e32 v104, 0x80000000, v104
.LBB47_131:
	s_andn2_saveexec_b64 s[2:3], s[2:3]
	s_cbranch_execz .LBB47_133
; %bb.132:
	v_div_scale_f64 v[101:102], s[6:7], v[97:98], v[97:98], v[99:100]
	v_rcp_f64_e32 v[103:104], v[101:102]
	v_fma_f64 v[105:106], -v[101:102], v[103:104], 1.0
	v_fma_f64 v[103:104], v[103:104], v[105:106], v[103:104]
	v_div_scale_f64 v[105:106], vcc, v[99:100], v[97:98], v[99:100]
	v_fma_f64 v[107:108], -v[101:102], v[103:104], 1.0
	v_fma_f64 v[103:104], v[103:104], v[107:108], v[103:104]
	v_mul_f64 v[107:108], v[105:106], v[103:104]
	v_fma_f64 v[101:102], -v[101:102], v[107:108], v[105:106]
	v_div_fmas_f64 v[101:102], v[101:102], v[103:104], v[107:108]
	v_div_fixup_f64 v[103:104], v[101:102], v[97:98], v[99:100]
	v_fma_f64 v[97:98], v[99:100], v[103:104], v[97:98]
	v_div_scale_f64 v[99:100], s[6:7], v[97:98], v[97:98], 1.0
	v_div_scale_f64 v[107:108], vcc, 1.0, v[97:98], 1.0
	v_rcp_f64_e32 v[101:102], v[99:100]
	v_fma_f64 v[105:106], -v[99:100], v[101:102], 1.0
	v_fma_f64 v[101:102], v[101:102], v[105:106], v[101:102]
	v_fma_f64 v[105:106], -v[99:100], v[101:102], 1.0
	v_fma_f64 v[101:102], v[101:102], v[105:106], v[101:102]
	v_mul_f64 v[105:106], v[107:108], v[101:102]
	v_fma_f64 v[99:100], -v[99:100], v[105:106], v[107:108]
	v_div_fmas_f64 v[99:100], v[99:100], v[101:102], v[105:106]
	v_div_fixup_f64 v[101:102], v[99:100], v[97:98], 1.0
	v_mul_f64 v[103:104], v[103:104], -v[101:102]
.LBB47_133:
	s_or_b64 exec, exec, s[2:3]
	ds_write2_b64 v127, v[101:102], v[103:104] offset1:1
.LBB47_134:
	s_or_b64 exec, exec, s[4:5]
	s_waitcnt lgkmcnt(0)
	s_barrier
	ds_read2_b64 v[85:88], v127 offset1:1
	v_cmp_lt_u32_e32 vcc, 14, v0
	s_waitcnt lgkmcnt(0)
	buffer_store_dword v85, off, s[20:23], 0 offset:376 ; 4-byte Folded Spill
	s_nop 0
	buffer_store_dword v86, off, s[20:23], 0 offset:380 ; 4-byte Folded Spill
	buffer_store_dword v87, off, s[20:23], 0 offset:384 ; 4-byte Folded Spill
	;; [unrolled: 1-line block ×3, first 2 shown]
	s_and_saveexec_b64 s[2:3], vcc
	s_cbranch_execz .LBB47_136
; %bb.135:
	buffer_load_dword v85, off, s[20:23], 0 offset:376 ; 4-byte Folded Reload
	buffer_load_dword v86, off, s[20:23], 0 offset:380 ; 4-byte Folded Reload
	;; [unrolled: 1-line block ×4, first 2 shown]
	ds_read2_b64 v[99:102], v125 offset0:30 offset1:31
	s_waitcnt vmcnt(2)
	v_mul_f64 v[97:98], v[85:86], v[35:36]
	s_waitcnt vmcnt(0)
	v_mul_f64 v[35:36], v[87:88], v[35:36]
	v_fma_f64 v[97:98], v[87:88], v[33:34], v[97:98]
	v_fma_f64 v[33:34], v[85:86], v[33:34], -v[35:36]
	s_waitcnt lgkmcnt(0)
	v_mul_f64 v[35:36], v[101:102], v[97:98]
	v_fma_f64 v[35:36], v[99:100], v[33:34], -v[35:36]
	v_mul_f64 v[99:100], v[99:100], v[97:98]
	v_add_f64 v[29:30], v[29:30], -v[35:36]
	v_fma_f64 v[99:100], v[101:102], v[33:34], v[99:100]
	v_add_f64 v[31:32], v[31:32], -v[99:100]
	ds_read2_b64 v[99:102], v125 offset0:32 offset1:33
	s_waitcnt lgkmcnt(0)
	v_mul_f64 v[35:36], v[101:102], v[97:98]
	v_fma_f64 v[35:36], v[99:100], v[33:34], -v[35:36]
	v_mul_f64 v[99:100], v[99:100], v[97:98]
	v_add_f64 v[25:26], v[25:26], -v[35:36]
	v_fma_f64 v[99:100], v[101:102], v[33:34], v[99:100]
	v_add_f64 v[27:28], v[27:28], -v[99:100]
	ds_read2_b64 v[99:102], v125 offset0:34 offset1:35
	;; [unrolled: 8-line block ×8, first 2 shown]
	s_waitcnt lgkmcnt(0)
	v_mul_f64 v[35:36], v[101:102], v[97:98]
	v_fma_f64 v[35:36], v[99:100], v[33:34], -v[35:36]
	v_mul_f64 v[99:100], v[99:100], v[97:98]
	v_add_f64 v[69:70], v[69:70], -v[35:36]
	v_fma_f64 v[99:100], v[101:102], v[33:34], v[99:100]
	v_mov_b32_e32 v35, v97
	v_mov_b32_e32 v36, v98
	v_add_f64 v[71:72], v[71:72], -v[99:100]
.LBB47_136:
	s_or_b64 exec, exec, s[2:3]
	v_cmp_eq_u32_e32 vcc, 15, v0
	s_waitcnt vmcnt(0)
	s_barrier
	s_and_saveexec_b64 s[4:5], vcc
	s_cbranch_execz .LBB47_143
; %bb.137:
	ds_write2_b64 v127, v[29:30], v[31:32] offset1:1
	ds_write2_b64 v125, v[25:26], v[27:28] offset0:32 offset1:33
	ds_write2_b64 v125, v[21:22], v[23:24] offset0:34 offset1:35
	ds_write2_b64 v125, v[17:18], v[19:20] offset0:36 offset1:37
	ds_write2_b64 v125, v[13:14], v[15:16] offset0:38 offset1:39
	ds_write2_b64 v125, v[9:10], v[11:12] offset0:40 offset1:41
	ds_write2_b64 v125, v[5:6], v[7:8] offset0:42 offset1:43
	ds_write2_b64 v125, v[1:2], v[3:4] offset0:44 offset1:45
	ds_write2_b64 v125, v[69:70], v[71:72] offset0:46 offset1:47
	ds_read2_b64 v[97:100], v127 offset1:1
	s_waitcnt lgkmcnt(0)
	v_cmp_neq_f64_e32 vcc, 0, v[97:98]
	v_cmp_neq_f64_e64 s[2:3], 0, v[99:100]
	s_or_b64 s[2:3], vcc, s[2:3]
	s_and_b64 exec, exec, s[2:3]
	s_cbranch_execz .LBB47_143
; %bb.138:
	v_cmp_ngt_f64_e64 s[2:3], |v[97:98]|, |v[99:100]|
                                        ; implicit-def: $vgpr101_vgpr102
	s_and_saveexec_b64 s[6:7], s[2:3]
	s_xor_b64 s[2:3], exec, s[6:7]
                                        ; implicit-def: $vgpr103_vgpr104
	s_cbranch_execz .LBB47_140
; %bb.139:
	v_div_scale_f64 v[101:102], s[6:7], v[99:100], v[99:100], v[97:98]
	v_rcp_f64_e32 v[103:104], v[101:102]
	v_fma_f64 v[105:106], -v[101:102], v[103:104], 1.0
	v_fma_f64 v[103:104], v[103:104], v[105:106], v[103:104]
	v_div_scale_f64 v[105:106], vcc, v[97:98], v[99:100], v[97:98]
	v_fma_f64 v[107:108], -v[101:102], v[103:104], 1.0
	v_fma_f64 v[103:104], v[103:104], v[107:108], v[103:104]
	v_mul_f64 v[107:108], v[105:106], v[103:104]
	v_fma_f64 v[101:102], -v[101:102], v[107:108], v[105:106]
	v_div_fmas_f64 v[101:102], v[101:102], v[103:104], v[107:108]
	v_div_fixup_f64 v[101:102], v[101:102], v[99:100], v[97:98]
	v_fma_f64 v[97:98], v[97:98], v[101:102], v[99:100]
	v_div_scale_f64 v[99:100], s[6:7], v[97:98], v[97:98], 1.0
	v_div_scale_f64 v[107:108], vcc, 1.0, v[97:98], 1.0
	v_rcp_f64_e32 v[103:104], v[99:100]
	v_fma_f64 v[105:106], -v[99:100], v[103:104], 1.0
	v_fma_f64 v[103:104], v[103:104], v[105:106], v[103:104]
	v_fma_f64 v[105:106], -v[99:100], v[103:104], 1.0
	v_fma_f64 v[103:104], v[103:104], v[105:106], v[103:104]
	v_mul_f64 v[105:106], v[107:108], v[103:104]
	v_fma_f64 v[99:100], -v[99:100], v[105:106], v[107:108]
	v_div_fmas_f64 v[99:100], v[99:100], v[103:104], v[105:106]
	v_div_fixup_f64 v[103:104], v[99:100], v[97:98], 1.0
                                        ; implicit-def: $vgpr97_vgpr98
	v_mul_f64 v[101:102], v[101:102], v[103:104]
	v_xor_b32_e32 v104, 0x80000000, v104
.LBB47_140:
	s_andn2_saveexec_b64 s[2:3], s[2:3]
	s_cbranch_execz .LBB47_142
; %bb.141:
	v_div_scale_f64 v[101:102], s[6:7], v[97:98], v[97:98], v[99:100]
	v_rcp_f64_e32 v[103:104], v[101:102]
	v_fma_f64 v[105:106], -v[101:102], v[103:104], 1.0
	v_fma_f64 v[103:104], v[103:104], v[105:106], v[103:104]
	v_div_scale_f64 v[105:106], vcc, v[99:100], v[97:98], v[99:100]
	v_fma_f64 v[107:108], -v[101:102], v[103:104], 1.0
	v_fma_f64 v[103:104], v[103:104], v[107:108], v[103:104]
	v_mul_f64 v[107:108], v[105:106], v[103:104]
	v_fma_f64 v[101:102], -v[101:102], v[107:108], v[105:106]
	v_div_fmas_f64 v[101:102], v[101:102], v[103:104], v[107:108]
	v_div_fixup_f64 v[103:104], v[101:102], v[97:98], v[99:100]
	v_fma_f64 v[97:98], v[99:100], v[103:104], v[97:98]
	v_div_scale_f64 v[99:100], s[6:7], v[97:98], v[97:98], 1.0
	v_div_scale_f64 v[107:108], vcc, 1.0, v[97:98], 1.0
	v_rcp_f64_e32 v[101:102], v[99:100]
	v_fma_f64 v[105:106], -v[99:100], v[101:102], 1.0
	v_fma_f64 v[101:102], v[101:102], v[105:106], v[101:102]
	v_fma_f64 v[105:106], -v[99:100], v[101:102], 1.0
	v_fma_f64 v[101:102], v[101:102], v[105:106], v[101:102]
	v_mul_f64 v[105:106], v[107:108], v[101:102]
	v_fma_f64 v[99:100], -v[99:100], v[105:106], v[107:108]
	v_div_fmas_f64 v[99:100], v[99:100], v[101:102], v[105:106]
	v_div_fixup_f64 v[101:102], v[99:100], v[97:98], 1.0
	v_mul_f64 v[103:104], v[103:104], -v[101:102]
.LBB47_142:
	s_or_b64 exec, exec, s[2:3]
	ds_write2_b64 v127, v[101:102], v[103:104] offset1:1
.LBB47_143:
	s_or_b64 exec, exec, s[4:5]
	s_waitcnt lgkmcnt(0)
	s_barrier
	ds_read2_b64 v[85:88], v127 offset1:1
	v_cmp_lt_u32_e32 vcc, 15, v0
	s_waitcnt lgkmcnt(0)
	buffer_store_dword v85, off, s[20:23], 0 offset:392 ; 4-byte Folded Spill
	s_nop 0
	buffer_store_dword v86, off, s[20:23], 0 offset:396 ; 4-byte Folded Spill
	buffer_store_dword v87, off, s[20:23], 0 offset:400 ; 4-byte Folded Spill
	;; [unrolled: 1-line block ×3, first 2 shown]
	s_and_saveexec_b64 s[2:3], vcc
	s_cbranch_execz .LBB47_145
; %bb.144:
	buffer_load_dword v85, off, s[20:23], 0 offset:392 ; 4-byte Folded Reload
	buffer_load_dword v86, off, s[20:23], 0 offset:396 ; 4-byte Folded Reload
	;; [unrolled: 1-line block ×4, first 2 shown]
	ds_read2_b64 v[99:102], v125 offset0:32 offset1:33
	s_waitcnt vmcnt(2)
	v_mul_f64 v[97:98], v[85:86], v[31:32]
	s_waitcnt vmcnt(0)
	v_mul_f64 v[31:32], v[87:88], v[31:32]
	v_fma_f64 v[97:98], v[87:88], v[29:30], v[97:98]
	v_fma_f64 v[29:30], v[85:86], v[29:30], -v[31:32]
	s_waitcnt lgkmcnt(0)
	v_mul_f64 v[31:32], v[101:102], v[97:98]
	v_fma_f64 v[31:32], v[99:100], v[29:30], -v[31:32]
	v_mul_f64 v[99:100], v[99:100], v[97:98]
	v_add_f64 v[25:26], v[25:26], -v[31:32]
	v_fma_f64 v[99:100], v[101:102], v[29:30], v[99:100]
	v_add_f64 v[27:28], v[27:28], -v[99:100]
	ds_read2_b64 v[99:102], v125 offset0:34 offset1:35
	s_waitcnt lgkmcnt(0)
	v_mul_f64 v[31:32], v[101:102], v[97:98]
	v_fma_f64 v[31:32], v[99:100], v[29:30], -v[31:32]
	v_mul_f64 v[99:100], v[99:100], v[97:98]
	v_add_f64 v[21:22], v[21:22], -v[31:32]
	v_fma_f64 v[99:100], v[101:102], v[29:30], v[99:100]
	v_add_f64 v[23:24], v[23:24], -v[99:100]
	ds_read2_b64 v[99:102], v125 offset0:36 offset1:37
	;; [unrolled: 8-line block ×7, first 2 shown]
	s_waitcnt lgkmcnt(0)
	v_mul_f64 v[31:32], v[101:102], v[97:98]
	v_fma_f64 v[31:32], v[99:100], v[29:30], -v[31:32]
	v_mul_f64 v[99:100], v[99:100], v[97:98]
	v_add_f64 v[69:70], v[69:70], -v[31:32]
	v_fma_f64 v[99:100], v[101:102], v[29:30], v[99:100]
	v_mov_b32_e32 v31, v97
	v_mov_b32_e32 v32, v98
	v_add_f64 v[71:72], v[71:72], -v[99:100]
.LBB47_145:
	s_or_b64 exec, exec, s[2:3]
	v_cmp_eq_u32_e32 vcc, 16, v0
	s_waitcnt vmcnt(0)
	s_barrier
	s_and_saveexec_b64 s[4:5], vcc
	s_cbranch_execz .LBB47_152
; %bb.146:
	ds_write2_b64 v127, v[25:26], v[27:28] offset1:1
	ds_write2_b64 v125, v[21:22], v[23:24] offset0:34 offset1:35
	ds_write2_b64 v125, v[17:18], v[19:20] offset0:36 offset1:37
	;; [unrolled: 1-line block ×7, first 2 shown]
	ds_read2_b64 v[97:100], v127 offset1:1
	s_waitcnt lgkmcnt(0)
	v_cmp_neq_f64_e32 vcc, 0, v[97:98]
	v_cmp_neq_f64_e64 s[2:3], 0, v[99:100]
	s_or_b64 s[2:3], vcc, s[2:3]
	s_and_b64 exec, exec, s[2:3]
	s_cbranch_execz .LBB47_152
; %bb.147:
	v_cmp_ngt_f64_e64 s[2:3], |v[97:98]|, |v[99:100]|
                                        ; implicit-def: $vgpr101_vgpr102
	s_and_saveexec_b64 s[6:7], s[2:3]
	s_xor_b64 s[2:3], exec, s[6:7]
                                        ; implicit-def: $vgpr103_vgpr104
	s_cbranch_execz .LBB47_149
; %bb.148:
	v_div_scale_f64 v[101:102], s[6:7], v[99:100], v[99:100], v[97:98]
	v_rcp_f64_e32 v[103:104], v[101:102]
	v_fma_f64 v[105:106], -v[101:102], v[103:104], 1.0
	v_fma_f64 v[103:104], v[103:104], v[105:106], v[103:104]
	v_div_scale_f64 v[105:106], vcc, v[97:98], v[99:100], v[97:98]
	v_fma_f64 v[107:108], -v[101:102], v[103:104], 1.0
	v_fma_f64 v[103:104], v[103:104], v[107:108], v[103:104]
	v_mul_f64 v[107:108], v[105:106], v[103:104]
	v_fma_f64 v[101:102], -v[101:102], v[107:108], v[105:106]
	v_div_fmas_f64 v[101:102], v[101:102], v[103:104], v[107:108]
	v_div_fixup_f64 v[101:102], v[101:102], v[99:100], v[97:98]
	v_fma_f64 v[97:98], v[97:98], v[101:102], v[99:100]
	v_div_scale_f64 v[99:100], s[6:7], v[97:98], v[97:98], 1.0
	v_div_scale_f64 v[107:108], vcc, 1.0, v[97:98], 1.0
	v_rcp_f64_e32 v[103:104], v[99:100]
	v_fma_f64 v[105:106], -v[99:100], v[103:104], 1.0
	v_fma_f64 v[103:104], v[103:104], v[105:106], v[103:104]
	v_fma_f64 v[105:106], -v[99:100], v[103:104], 1.0
	v_fma_f64 v[103:104], v[103:104], v[105:106], v[103:104]
	v_mul_f64 v[105:106], v[107:108], v[103:104]
	v_fma_f64 v[99:100], -v[99:100], v[105:106], v[107:108]
	v_div_fmas_f64 v[99:100], v[99:100], v[103:104], v[105:106]
	v_div_fixup_f64 v[103:104], v[99:100], v[97:98], 1.0
                                        ; implicit-def: $vgpr97_vgpr98
	v_mul_f64 v[101:102], v[101:102], v[103:104]
	v_xor_b32_e32 v104, 0x80000000, v104
.LBB47_149:
	s_andn2_saveexec_b64 s[2:3], s[2:3]
	s_cbranch_execz .LBB47_151
; %bb.150:
	v_div_scale_f64 v[101:102], s[6:7], v[97:98], v[97:98], v[99:100]
	v_rcp_f64_e32 v[103:104], v[101:102]
	v_fma_f64 v[105:106], -v[101:102], v[103:104], 1.0
	v_fma_f64 v[103:104], v[103:104], v[105:106], v[103:104]
	v_div_scale_f64 v[105:106], vcc, v[99:100], v[97:98], v[99:100]
	v_fma_f64 v[107:108], -v[101:102], v[103:104], 1.0
	v_fma_f64 v[103:104], v[103:104], v[107:108], v[103:104]
	v_mul_f64 v[107:108], v[105:106], v[103:104]
	v_fma_f64 v[101:102], -v[101:102], v[107:108], v[105:106]
	v_div_fmas_f64 v[101:102], v[101:102], v[103:104], v[107:108]
	v_div_fixup_f64 v[103:104], v[101:102], v[97:98], v[99:100]
	v_fma_f64 v[97:98], v[99:100], v[103:104], v[97:98]
	v_div_scale_f64 v[99:100], s[6:7], v[97:98], v[97:98], 1.0
	v_div_scale_f64 v[107:108], vcc, 1.0, v[97:98], 1.0
	v_rcp_f64_e32 v[101:102], v[99:100]
	v_fma_f64 v[105:106], -v[99:100], v[101:102], 1.0
	v_fma_f64 v[101:102], v[101:102], v[105:106], v[101:102]
	v_fma_f64 v[105:106], -v[99:100], v[101:102], 1.0
	v_fma_f64 v[101:102], v[101:102], v[105:106], v[101:102]
	v_mul_f64 v[105:106], v[107:108], v[101:102]
	v_fma_f64 v[99:100], -v[99:100], v[105:106], v[107:108]
	v_div_fmas_f64 v[99:100], v[99:100], v[101:102], v[105:106]
	v_div_fixup_f64 v[101:102], v[99:100], v[97:98], 1.0
	v_mul_f64 v[103:104], v[103:104], -v[101:102]
.LBB47_151:
	s_or_b64 exec, exec, s[2:3]
	ds_write2_b64 v127, v[101:102], v[103:104] offset1:1
.LBB47_152:
	s_or_b64 exec, exec, s[4:5]
	s_waitcnt lgkmcnt(0)
	s_barrier
	ds_read2_b64 v[85:88], v127 offset1:1
	v_cmp_lt_u32_e32 vcc, 16, v0
	s_waitcnt lgkmcnt(0)
	buffer_store_dword v85, off, s[20:23], 0 offset:408 ; 4-byte Folded Spill
	s_nop 0
	buffer_store_dword v86, off, s[20:23], 0 offset:412 ; 4-byte Folded Spill
	buffer_store_dword v87, off, s[20:23], 0 offset:416 ; 4-byte Folded Spill
	;; [unrolled: 1-line block ×3, first 2 shown]
	s_and_saveexec_b64 s[2:3], vcc
	s_cbranch_execz .LBB47_154
; %bb.153:
	buffer_load_dword v85, off, s[20:23], 0 offset:408 ; 4-byte Folded Reload
	buffer_load_dword v86, off, s[20:23], 0 offset:412 ; 4-byte Folded Reload
	;; [unrolled: 1-line block ×4, first 2 shown]
	ds_read2_b64 v[99:102], v125 offset0:34 offset1:35
	s_waitcnt vmcnt(2)
	v_mul_f64 v[97:98], v[85:86], v[27:28]
	s_waitcnt vmcnt(0)
	v_mul_f64 v[27:28], v[87:88], v[27:28]
	v_fma_f64 v[97:98], v[87:88], v[25:26], v[97:98]
	v_fma_f64 v[25:26], v[85:86], v[25:26], -v[27:28]
	s_waitcnt lgkmcnt(0)
	v_mul_f64 v[27:28], v[101:102], v[97:98]
	v_fma_f64 v[27:28], v[99:100], v[25:26], -v[27:28]
	v_mul_f64 v[99:100], v[99:100], v[97:98]
	v_add_f64 v[21:22], v[21:22], -v[27:28]
	v_fma_f64 v[99:100], v[101:102], v[25:26], v[99:100]
	v_add_f64 v[23:24], v[23:24], -v[99:100]
	ds_read2_b64 v[99:102], v125 offset0:36 offset1:37
	s_waitcnt lgkmcnt(0)
	v_mul_f64 v[27:28], v[101:102], v[97:98]
	v_fma_f64 v[27:28], v[99:100], v[25:26], -v[27:28]
	v_mul_f64 v[99:100], v[99:100], v[97:98]
	v_add_f64 v[17:18], v[17:18], -v[27:28]
	v_fma_f64 v[99:100], v[101:102], v[25:26], v[99:100]
	v_add_f64 v[19:20], v[19:20], -v[99:100]
	ds_read2_b64 v[99:102], v125 offset0:38 offset1:39
	;; [unrolled: 8-line block ×6, first 2 shown]
	s_waitcnt lgkmcnt(0)
	v_mul_f64 v[27:28], v[101:102], v[97:98]
	v_fma_f64 v[27:28], v[99:100], v[25:26], -v[27:28]
	v_mul_f64 v[99:100], v[99:100], v[97:98]
	v_add_f64 v[69:70], v[69:70], -v[27:28]
	v_fma_f64 v[99:100], v[101:102], v[25:26], v[99:100]
	v_mov_b32_e32 v27, v97
	v_mov_b32_e32 v28, v98
	v_add_f64 v[71:72], v[71:72], -v[99:100]
.LBB47_154:
	s_or_b64 exec, exec, s[2:3]
	v_cmp_eq_u32_e32 vcc, 17, v0
	s_waitcnt vmcnt(0)
	s_barrier
	s_and_saveexec_b64 s[4:5], vcc
	s_cbranch_execz .LBB47_161
; %bb.155:
	ds_write2_b64 v127, v[21:22], v[23:24] offset1:1
	ds_write2_b64 v125, v[17:18], v[19:20] offset0:36 offset1:37
	ds_write2_b64 v125, v[13:14], v[15:16] offset0:38 offset1:39
	;; [unrolled: 1-line block ×6, first 2 shown]
	ds_read2_b64 v[97:100], v127 offset1:1
	s_waitcnt lgkmcnt(0)
	v_cmp_neq_f64_e32 vcc, 0, v[97:98]
	v_cmp_neq_f64_e64 s[2:3], 0, v[99:100]
	s_or_b64 s[2:3], vcc, s[2:3]
	s_and_b64 exec, exec, s[2:3]
	s_cbranch_execz .LBB47_161
; %bb.156:
	v_cmp_ngt_f64_e64 s[2:3], |v[97:98]|, |v[99:100]|
                                        ; implicit-def: $vgpr101_vgpr102
	s_and_saveexec_b64 s[6:7], s[2:3]
	s_xor_b64 s[2:3], exec, s[6:7]
                                        ; implicit-def: $vgpr103_vgpr104
	s_cbranch_execz .LBB47_158
; %bb.157:
	v_div_scale_f64 v[101:102], s[6:7], v[99:100], v[99:100], v[97:98]
	v_rcp_f64_e32 v[103:104], v[101:102]
	v_fma_f64 v[105:106], -v[101:102], v[103:104], 1.0
	v_fma_f64 v[103:104], v[103:104], v[105:106], v[103:104]
	v_div_scale_f64 v[105:106], vcc, v[97:98], v[99:100], v[97:98]
	v_fma_f64 v[107:108], -v[101:102], v[103:104], 1.0
	v_fma_f64 v[103:104], v[103:104], v[107:108], v[103:104]
	v_mul_f64 v[107:108], v[105:106], v[103:104]
	v_fma_f64 v[101:102], -v[101:102], v[107:108], v[105:106]
	v_div_fmas_f64 v[101:102], v[101:102], v[103:104], v[107:108]
	v_div_fixup_f64 v[101:102], v[101:102], v[99:100], v[97:98]
	v_fma_f64 v[97:98], v[97:98], v[101:102], v[99:100]
	v_div_scale_f64 v[99:100], s[6:7], v[97:98], v[97:98], 1.0
	v_div_scale_f64 v[107:108], vcc, 1.0, v[97:98], 1.0
	v_rcp_f64_e32 v[103:104], v[99:100]
	v_fma_f64 v[105:106], -v[99:100], v[103:104], 1.0
	v_fma_f64 v[103:104], v[103:104], v[105:106], v[103:104]
	v_fma_f64 v[105:106], -v[99:100], v[103:104], 1.0
	v_fma_f64 v[103:104], v[103:104], v[105:106], v[103:104]
	v_mul_f64 v[105:106], v[107:108], v[103:104]
	v_fma_f64 v[99:100], -v[99:100], v[105:106], v[107:108]
	v_div_fmas_f64 v[99:100], v[99:100], v[103:104], v[105:106]
	v_div_fixup_f64 v[103:104], v[99:100], v[97:98], 1.0
                                        ; implicit-def: $vgpr97_vgpr98
	v_mul_f64 v[101:102], v[101:102], v[103:104]
	v_xor_b32_e32 v104, 0x80000000, v104
.LBB47_158:
	s_andn2_saveexec_b64 s[2:3], s[2:3]
	s_cbranch_execz .LBB47_160
; %bb.159:
	v_div_scale_f64 v[101:102], s[6:7], v[97:98], v[97:98], v[99:100]
	v_rcp_f64_e32 v[103:104], v[101:102]
	v_fma_f64 v[105:106], -v[101:102], v[103:104], 1.0
	v_fma_f64 v[103:104], v[103:104], v[105:106], v[103:104]
	v_div_scale_f64 v[105:106], vcc, v[99:100], v[97:98], v[99:100]
	v_fma_f64 v[107:108], -v[101:102], v[103:104], 1.0
	v_fma_f64 v[103:104], v[103:104], v[107:108], v[103:104]
	v_mul_f64 v[107:108], v[105:106], v[103:104]
	v_fma_f64 v[101:102], -v[101:102], v[107:108], v[105:106]
	v_div_fmas_f64 v[101:102], v[101:102], v[103:104], v[107:108]
	v_div_fixup_f64 v[103:104], v[101:102], v[97:98], v[99:100]
	v_fma_f64 v[97:98], v[99:100], v[103:104], v[97:98]
	v_div_scale_f64 v[99:100], s[6:7], v[97:98], v[97:98], 1.0
	v_div_scale_f64 v[107:108], vcc, 1.0, v[97:98], 1.0
	v_rcp_f64_e32 v[101:102], v[99:100]
	v_fma_f64 v[105:106], -v[99:100], v[101:102], 1.0
	v_fma_f64 v[101:102], v[101:102], v[105:106], v[101:102]
	v_fma_f64 v[105:106], -v[99:100], v[101:102], 1.0
	v_fma_f64 v[101:102], v[101:102], v[105:106], v[101:102]
	v_mul_f64 v[105:106], v[107:108], v[101:102]
	v_fma_f64 v[99:100], -v[99:100], v[105:106], v[107:108]
	v_div_fmas_f64 v[99:100], v[99:100], v[101:102], v[105:106]
	v_div_fixup_f64 v[101:102], v[99:100], v[97:98], 1.0
	v_mul_f64 v[103:104], v[103:104], -v[101:102]
.LBB47_160:
	s_or_b64 exec, exec, s[2:3]
	ds_write2_b64 v127, v[101:102], v[103:104] offset1:1
.LBB47_161:
	s_or_b64 exec, exec, s[4:5]
	s_waitcnt lgkmcnt(0)
	s_barrier
	ds_read2_b64 v[85:88], v127 offset1:1
	v_cmp_lt_u32_e32 vcc, 17, v0
	s_waitcnt lgkmcnt(0)
	buffer_store_dword v85, off, s[20:23], 0 offset:424 ; 4-byte Folded Spill
	s_nop 0
	buffer_store_dword v86, off, s[20:23], 0 offset:428 ; 4-byte Folded Spill
	buffer_store_dword v87, off, s[20:23], 0 offset:432 ; 4-byte Folded Spill
	;; [unrolled: 1-line block ×3, first 2 shown]
	s_and_saveexec_b64 s[2:3], vcc
	s_cbranch_execz .LBB47_163
; %bb.162:
	buffer_load_dword v85, off, s[20:23], 0 offset:424 ; 4-byte Folded Reload
	buffer_load_dword v86, off, s[20:23], 0 offset:428 ; 4-byte Folded Reload
	buffer_load_dword v87, off, s[20:23], 0 offset:432 ; 4-byte Folded Reload
	buffer_load_dword v88, off, s[20:23], 0 offset:436 ; 4-byte Folded Reload
	ds_read2_b64 v[99:102], v125 offset0:36 offset1:37
	s_waitcnt vmcnt(2)
	v_mul_f64 v[97:98], v[85:86], v[23:24]
	s_waitcnt vmcnt(0)
	v_mul_f64 v[23:24], v[87:88], v[23:24]
	v_fma_f64 v[97:98], v[87:88], v[21:22], v[97:98]
	v_fma_f64 v[21:22], v[85:86], v[21:22], -v[23:24]
	s_waitcnt lgkmcnt(0)
	v_mul_f64 v[23:24], v[101:102], v[97:98]
	v_fma_f64 v[23:24], v[99:100], v[21:22], -v[23:24]
	v_mul_f64 v[99:100], v[99:100], v[97:98]
	v_add_f64 v[17:18], v[17:18], -v[23:24]
	v_fma_f64 v[99:100], v[101:102], v[21:22], v[99:100]
	v_add_f64 v[19:20], v[19:20], -v[99:100]
	ds_read2_b64 v[99:102], v125 offset0:38 offset1:39
	s_waitcnt lgkmcnt(0)
	v_mul_f64 v[23:24], v[101:102], v[97:98]
	v_fma_f64 v[23:24], v[99:100], v[21:22], -v[23:24]
	v_mul_f64 v[99:100], v[99:100], v[97:98]
	v_add_f64 v[13:14], v[13:14], -v[23:24]
	v_fma_f64 v[99:100], v[101:102], v[21:22], v[99:100]
	v_add_f64 v[15:16], v[15:16], -v[99:100]
	ds_read2_b64 v[99:102], v125 offset0:40 offset1:41
	;; [unrolled: 8-line block ×5, first 2 shown]
	s_waitcnt lgkmcnt(0)
	v_mul_f64 v[23:24], v[101:102], v[97:98]
	v_fma_f64 v[23:24], v[99:100], v[21:22], -v[23:24]
	v_mul_f64 v[99:100], v[99:100], v[97:98]
	v_add_f64 v[69:70], v[69:70], -v[23:24]
	v_fma_f64 v[99:100], v[101:102], v[21:22], v[99:100]
	v_mov_b32_e32 v23, v97
	v_mov_b32_e32 v24, v98
	v_add_f64 v[71:72], v[71:72], -v[99:100]
.LBB47_163:
	s_or_b64 exec, exec, s[2:3]
	v_cmp_eq_u32_e32 vcc, 18, v0
	s_waitcnt vmcnt(0)
	s_barrier
	s_and_saveexec_b64 s[4:5], vcc
	s_cbranch_execz .LBB47_170
; %bb.164:
	ds_write2_b64 v127, v[17:18], v[19:20] offset1:1
	ds_write2_b64 v125, v[13:14], v[15:16] offset0:38 offset1:39
	ds_write2_b64 v125, v[9:10], v[11:12] offset0:40 offset1:41
	;; [unrolled: 1-line block ×5, first 2 shown]
	ds_read2_b64 v[97:100], v127 offset1:1
	s_waitcnt lgkmcnt(0)
	v_cmp_neq_f64_e32 vcc, 0, v[97:98]
	v_cmp_neq_f64_e64 s[2:3], 0, v[99:100]
	s_or_b64 s[2:3], vcc, s[2:3]
	s_and_b64 exec, exec, s[2:3]
	s_cbranch_execz .LBB47_170
; %bb.165:
	v_cmp_ngt_f64_e64 s[2:3], |v[97:98]|, |v[99:100]|
                                        ; implicit-def: $vgpr101_vgpr102
	s_and_saveexec_b64 s[6:7], s[2:3]
	s_xor_b64 s[2:3], exec, s[6:7]
                                        ; implicit-def: $vgpr103_vgpr104
	s_cbranch_execz .LBB47_167
; %bb.166:
	v_div_scale_f64 v[101:102], s[6:7], v[99:100], v[99:100], v[97:98]
	v_rcp_f64_e32 v[103:104], v[101:102]
	v_fma_f64 v[105:106], -v[101:102], v[103:104], 1.0
	v_fma_f64 v[103:104], v[103:104], v[105:106], v[103:104]
	v_div_scale_f64 v[105:106], vcc, v[97:98], v[99:100], v[97:98]
	v_fma_f64 v[107:108], -v[101:102], v[103:104], 1.0
	v_fma_f64 v[103:104], v[103:104], v[107:108], v[103:104]
	v_mul_f64 v[107:108], v[105:106], v[103:104]
	v_fma_f64 v[101:102], -v[101:102], v[107:108], v[105:106]
	v_div_fmas_f64 v[101:102], v[101:102], v[103:104], v[107:108]
	v_div_fixup_f64 v[101:102], v[101:102], v[99:100], v[97:98]
	v_fma_f64 v[97:98], v[97:98], v[101:102], v[99:100]
	v_div_scale_f64 v[99:100], s[6:7], v[97:98], v[97:98], 1.0
	v_div_scale_f64 v[107:108], vcc, 1.0, v[97:98], 1.0
	v_rcp_f64_e32 v[103:104], v[99:100]
	v_fma_f64 v[105:106], -v[99:100], v[103:104], 1.0
	v_fma_f64 v[103:104], v[103:104], v[105:106], v[103:104]
	v_fma_f64 v[105:106], -v[99:100], v[103:104], 1.0
	v_fma_f64 v[103:104], v[103:104], v[105:106], v[103:104]
	v_mul_f64 v[105:106], v[107:108], v[103:104]
	v_fma_f64 v[99:100], -v[99:100], v[105:106], v[107:108]
	v_div_fmas_f64 v[99:100], v[99:100], v[103:104], v[105:106]
	v_div_fixup_f64 v[103:104], v[99:100], v[97:98], 1.0
                                        ; implicit-def: $vgpr97_vgpr98
	v_mul_f64 v[101:102], v[101:102], v[103:104]
	v_xor_b32_e32 v104, 0x80000000, v104
.LBB47_167:
	s_andn2_saveexec_b64 s[2:3], s[2:3]
	s_cbranch_execz .LBB47_169
; %bb.168:
	v_div_scale_f64 v[101:102], s[6:7], v[97:98], v[97:98], v[99:100]
	v_rcp_f64_e32 v[103:104], v[101:102]
	v_fma_f64 v[105:106], -v[101:102], v[103:104], 1.0
	v_fma_f64 v[103:104], v[103:104], v[105:106], v[103:104]
	v_div_scale_f64 v[105:106], vcc, v[99:100], v[97:98], v[99:100]
	v_fma_f64 v[107:108], -v[101:102], v[103:104], 1.0
	v_fma_f64 v[103:104], v[103:104], v[107:108], v[103:104]
	v_mul_f64 v[107:108], v[105:106], v[103:104]
	v_fma_f64 v[101:102], -v[101:102], v[107:108], v[105:106]
	v_div_fmas_f64 v[101:102], v[101:102], v[103:104], v[107:108]
	v_div_fixup_f64 v[103:104], v[101:102], v[97:98], v[99:100]
	v_fma_f64 v[97:98], v[99:100], v[103:104], v[97:98]
	v_div_scale_f64 v[99:100], s[6:7], v[97:98], v[97:98], 1.0
	v_div_scale_f64 v[107:108], vcc, 1.0, v[97:98], 1.0
	v_rcp_f64_e32 v[101:102], v[99:100]
	v_fma_f64 v[105:106], -v[99:100], v[101:102], 1.0
	v_fma_f64 v[101:102], v[101:102], v[105:106], v[101:102]
	v_fma_f64 v[105:106], -v[99:100], v[101:102], 1.0
	v_fma_f64 v[101:102], v[101:102], v[105:106], v[101:102]
	v_mul_f64 v[105:106], v[107:108], v[101:102]
	v_fma_f64 v[99:100], -v[99:100], v[105:106], v[107:108]
	v_div_fmas_f64 v[99:100], v[99:100], v[101:102], v[105:106]
	v_div_fixup_f64 v[101:102], v[99:100], v[97:98], 1.0
	v_mul_f64 v[103:104], v[103:104], -v[101:102]
.LBB47_169:
	s_or_b64 exec, exec, s[2:3]
	ds_write2_b64 v127, v[101:102], v[103:104] offset1:1
.LBB47_170:
	s_or_b64 exec, exec, s[4:5]
	s_waitcnt lgkmcnt(0)
	s_barrier
	ds_read2_b64 v[85:88], v127 offset1:1
	v_cmp_lt_u32_e32 vcc, 18, v0
	s_waitcnt lgkmcnt(0)
	buffer_store_dword v85, off, s[20:23], 0 offset:440 ; 4-byte Folded Spill
	s_nop 0
	buffer_store_dword v86, off, s[20:23], 0 offset:444 ; 4-byte Folded Spill
	buffer_store_dword v87, off, s[20:23], 0 offset:448 ; 4-byte Folded Spill
	;; [unrolled: 1-line block ×3, first 2 shown]
	s_and_saveexec_b64 s[2:3], vcc
	s_cbranch_execz .LBB47_172
; %bb.171:
	buffer_load_dword v85, off, s[20:23], 0 offset:440 ; 4-byte Folded Reload
	buffer_load_dword v86, off, s[20:23], 0 offset:444 ; 4-byte Folded Reload
	;; [unrolled: 1-line block ×4, first 2 shown]
	s_waitcnt vmcnt(2)
	v_mul_f64 v[97:98], v[85:86], v[19:20]
	s_waitcnt vmcnt(0)
	v_mul_f64 v[19:20], v[87:88], v[19:20]
	v_fma_f64 v[101:102], v[87:88], v[17:18], v[97:98]
	ds_read2_b64 v[97:100], v125 offset0:38 offset1:39
	v_fma_f64 v[17:18], v[85:86], v[17:18], -v[19:20]
	s_waitcnt lgkmcnt(0)
	v_mul_f64 v[19:20], v[99:100], v[101:102]
	v_fma_f64 v[19:20], v[97:98], v[17:18], -v[19:20]
	v_mul_f64 v[97:98], v[97:98], v[101:102]
	v_add_f64 v[13:14], v[13:14], -v[19:20]
	v_fma_f64 v[97:98], v[99:100], v[17:18], v[97:98]
	v_add_f64 v[15:16], v[15:16], -v[97:98]
	ds_read2_b64 v[97:100], v125 offset0:40 offset1:41
	s_waitcnt lgkmcnt(0)
	v_mul_f64 v[19:20], v[99:100], v[101:102]
	v_fma_f64 v[19:20], v[97:98], v[17:18], -v[19:20]
	v_mul_f64 v[97:98], v[97:98], v[101:102]
	v_add_f64 v[9:10], v[9:10], -v[19:20]
	v_fma_f64 v[97:98], v[99:100], v[17:18], v[97:98]
	v_add_f64 v[11:12], v[11:12], -v[97:98]
	ds_read2_b64 v[97:100], v125 offset0:42 offset1:43
	;; [unrolled: 8-line block ×4, first 2 shown]
	s_waitcnt lgkmcnt(0)
	v_mul_f64 v[19:20], v[99:100], v[101:102]
	v_fma_f64 v[19:20], v[97:98], v[17:18], -v[19:20]
	v_mul_f64 v[97:98], v[97:98], v[101:102]
	v_add_f64 v[69:70], v[69:70], -v[19:20]
	v_fma_f64 v[97:98], v[99:100], v[17:18], v[97:98]
	v_mov_b32_e32 v19, v101
	v_mov_b32_e32 v20, v102
	v_add_f64 v[71:72], v[71:72], -v[97:98]
.LBB47_172:
	s_or_b64 exec, exec, s[2:3]
	v_cmp_eq_u32_e32 vcc, 19, v0
	s_waitcnt vmcnt(0)
	s_barrier
	s_and_saveexec_b64 s[4:5], vcc
	s_cbranch_execz .LBB47_179
; %bb.173:
	ds_write2_b64 v127, v[13:14], v[15:16] offset1:1
	ds_write2_b64 v125, v[9:10], v[11:12] offset0:40 offset1:41
	ds_write2_b64 v125, v[5:6], v[7:8] offset0:42 offset1:43
	;; [unrolled: 1-line block ×4, first 2 shown]
	ds_read2_b64 v[97:100], v127 offset1:1
	s_waitcnt lgkmcnt(0)
	v_cmp_neq_f64_e32 vcc, 0, v[97:98]
	v_cmp_neq_f64_e64 s[2:3], 0, v[99:100]
	s_or_b64 s[2:3], vcc, s[2:3]
	s_and_b64 exec, exec, s[2:3]
	s_cbranch_execz .LBB47_179
; %bb.174:
	v_cmp_ngt_f64_e64 s[2:3], |v[97:98]|, |v[99:100]|
                                        ; implicit-def: $vgpr101_vgpr102
	s_and_saveexec_b64 s[6:7], s[2:3]
	s_xor_b64 s[2:3], exec, s[6:7]
                                        ; implicit-def: $vgpr103_vgpr104
	s_cbranch_execz .LBB47_176
; %bb.175:
	v_div_scale_f64 v[101:102], s[6:7], v[99:100], v[99:100], v[97:98]
	v_rcp_f64_e32 v[103:104], v[101:102]
	v_fma_f64 v[105:106], -v[101:102], v[103:104], 1.0
	v_fma_f64 v[103:104], v[103:104], v[105:106], v[103:104]
	v_div_scale_f64 v[105:106], vcc, v[97:98], v[99:100], v[97:98]
	v_fma_f64 v[107:108], -v[101:102], v[103:104], 1.0
	v_fma_f64 v[103:104], v[103:104], v[107:108], v[103:104]
	v_mul_f64 v[107:108], v[105:106], v[103:104]
	v_fma_f64 v[101:102], -v[101:102], v[107:108], v[105:106]
	v_div_fmas_f64 v[101:102], v[101:102], v[103:104], v[107:108]
	v_div_fixup_f64 v[101:102], v[101:102], v[99:100], v[97:98]
	v_fma_f64 v[97:98], v[97:98], v[101:102], v[99:100]
	v_div_scale_f64 v[99:100], s[6:7], v[97:98], v[97:98], 1.0
	v_div_scale_f64 v[107:108], vcc, 1.0, v[97:98], 1.0
	v_rcp_f64_e32 v[103:104], v[99:100]
	v_fma_f64 v[105:106], -v[99:100], v[103:104], 1.0
	v_fma_f64 v[103:104], v[103:104], v[105:106], v[103:104]
	v_fma_f64 v[105:106], -v[99:100], v[103:104], 1.0
	v_fma_f64 v[103:104], v[103:104], v[105:106], v[103:104]
	v_mul_f64 v[105:106], v[107:108], v[103:104]
	v_fma_f64 v[99:100], -v[99:100], v[105:106], v[107:108]
	v_div_fmas_f64 v[99:100], v[99:100], v[103:104], v[105:106]
	v_div_fixup_f64 v[103:104], v[99:100], v[97:98], 1.0
                                        ; implicit-def: $vgpr97_vgpr98
	v_mul_f64 v[101:102], v[101:102], v[103:104]
	v_xor_b32_e32 v104, 0x80000000, v104
.LBB47_176:
	s_andn2_saveexec_b64 s[2:3], s[2:3]
	s_cbranch_execz .LBB47_178
; %bb.177:
	v_div_scale_f64 v[101:102], s[6:7], v[97:98], v[97:98], v[99:100]
	v_rcp_f64_e32 v[103:104], v[101:102]
	v_fma_f64 v[105:106], -v[101:102], v[103:104], 1.0
	v_fma_f64 v[103:104], v[103:104], v[105:106], v[103:104]
	v_div_scale_f64 v[105:106], vcc, v[99:100], v[97:98], v[99:100]
	v_fma_f64 v[107:108], -v[101:102], v[103:104], 1.0
	v_fma_f64 v[103:104], v[103:104], v[107:108], v[103:104]
	v_mul_f64 v[107:108], v[105:106], v[103:104]
	v_fma_f64 v[101:102], -v[101:102], v[107:108], v[105:106]
	v_div_fmas_f64 v[101:102], v[101:102], v[103:104], v[107:108]
	v_div_fixup_f64 v[103:104], v[101:102], v[97:98], v[99:100]
	v_fma_f64 v[97:98], v[99:100], v[103:104], v[97:98]
	v_div_scale_f64 v[99:100], s[6:7], v[97:98], v[97:98], 1.0
	v_div_scale_f64 v[107:108], vcc, 1.0, v[97:98], 1.0
	v_rcp_f64_e32 v[101:102], v[99:100]
	v_fma_f64 v[105:106], -v[99:100], v[101:102], 1.0
	v_fma_f64 v[101:102], v[101:102], v[105:106], v[101:102]
	v_fma_f64 v[105:106], -v[99:100], v[101:102], 1.0
	v_fma_f64 v[101:102], v[101:102], v[105:106], v[101:102]
	v_mul_f64 v[105:106], v[107:108], v[101:102]
	v_fma_f64 v[99:100], -v[99:100], v[105:106], v[107:108]
	v_div_fmas_f64 v[99:100], v[99:100], v[101:102], v[105:106]
	v_div_fixup_f64 v[101:102], v[99:100], v[97:98], 1.0
	v_mul_f64 v[103:104], v[103:104], -v[101:102]
.LBB47_178:
	s_or_b64 exec, exec, s[2:3]
	ds_write2_b64 v127, v[101:102], v[103:104] offset1:1
.LBB47_179:
	s_or_b64 exec, exec, s[4:5]
	s_waitcnt lgkmcnt(0)
	s_barrier
	ds_read2_b64 v[85:88], v127 offset1:1
	v_cmp_lt_u32_e32 vcc, 19, v0
	s_waitcnt lgkmcnt(0)
	buffer_store_dword v85, off, s[20:23], 0 offset:456 ; 4-byte Folded Spill
	s_nop 0
	buffer_store_dword v86, off, s[20:23], 0 offset:460 ; 4-byte Folded Spill
	buffer_store_dword v87, off, s[20:23], 0 offset:464 ; 4-byte Folded Spill
	;; [unrolled: 1-line block ×3, first 2 shown]
	s_and_saveexec_b64 s[2:3], vcc
	s_cbranch_execz .LBB47_181
; %bb.180:
	buffer_load_dword v85, off, s[20:23], 0 offset:456 ; 4-byte Folded Reload
	buffer_load_dword v86, off, s[20:23], 0 offset:460 ; 4-byte Folded Reload
	;; [unrolled: 1-line block ×4, first 2 shown]
	s_waitcnt vmcnt(2)
	v_mul_f64 v[97:98], v[85:86], v[15:16]
	s_waitcnt vmcnt(0)
	v_mul_f64 v[15:16], v[87:88], v[15:16]
	v_fma_f64 v[101:102], v[87:88], v[13:14], v[97:98]
	ds_read2_b64 v[97:100], v125 offset0:40 offset1:41
	v_fma_f64 v[13:14], v[85:86], v[13:14], -v[15:16]
	s_waitcnt lgkmcnt(0)
	v_mul_f64 v[15:16], v[99:100], v[101:102]
	v_fma_f64 v[15:16], v[97:98], v[13:14], -v[15:16]
	v_mul_f64 v[97:98], v[97:98], v[101:102]
	v_add_f64 v[9:10], v[9:10], -v[15:16]
	v_fma_f64 v[97:98], v[99:100], v[13:14], v[97:98]
	v_add_f64 v[11:12], v[11:12], -v[97:98]
	ds_read2_b64 v[97:100], v125 offset0:42 offset1:43
	s_waitcnt lgkmcnt(0)
	v_mul_f64 v[15:16], v[99:100], v[101:102]
	v_fma_f64 v[15:16], v[97:98], v[13:14], -v[15:16]
	v_mul_f64 v[97:98], v[97:98], v[101:102]
	v_add_f64 v[5:6], v[5:6], -v[15:16]
	v_fma_f64 v[97:98], v[99:100], v[13:14], v[97:98]
	v_add_f64 v[7:8], v[7:8], -v[97:98]
	ds_read2_b64 v[97:100], v125 offset0:44 offset1:45
	;; [unrolled: 8-line block ×3, first 2 shown]
	s_waitcnt lgkmcnt(0)
	v_mul_f64 v[15:16], v[99:100], v[101:102]
	v_fma_f64 v[15:16], v[97:98], v[13:14], -v[15:16]
	v_mul_f64 v[97:98], v[97:98], v[101:102]
	v_add_f64 v[69:70], v[69:70], -v[15:16]
	v_fma_f64 v[97:98], v[99:100], v[13:14], v[97:98]
	v_mov_b32_e32 v15, v101
	v_mov_b32_e32 v16, v102
	v_add_f64 v[71:72], v[71:72], -v[97:98]
.LBB47_181:
	s_or_b64 exec, exec, s[2:3]
	v_cmp_eq_u32_e32 vcc, 20, v0
	s_waitcnt vmcnt(0)
	s_barrier
	s_and_saveexec_b64 s[4:5], vcc
	s_cbranch_execz .LBB47_188
; %bb.182:
	ds_write2_b64 v127, v[9:10], v[11:12] offset1:1
	ds_write2_b64 v125, v[5:6], v[7:8] offset0:42 offset1:43
	ds_write2_b64 v125, v[1:2], v[3:4] offset0:44 offset1:45
	ds_write2_b64 v125, v[69:70], v[71:72] offset0:46 offset1:47
	ds_read2_b64 v[97:100], v127 offset1:1
	s_waitcnt lgkmcnt(0)
	v_cmp_neq_f64_e32 vcc, 0, v[97:98]
	v_cmp_neq_f64_e64 s[2:3], 0, v[99:100]
	s_or_b64 s[2:3], vcc, s[2:3]
	s_and_b64 exec, exec, s[2:3]
	s_cbranch_execz .LBB47_188
; %bb.183:
	v_cmp_ngt_f64_e64 s[2:3], |v[97:98]|, |v[99:100]|
                                        ; implicit-def: $vgpr101_vgpr102
	s_and_saveexec_b64 s[6:7], s[2:3]
	s_xor_b64 s[2:3], exec, s[6:7]
                                        ; implicit-def: $vgpr103_vgpr104
	s_cbranch_execz .LBB47_185
; %bb.184:
	v_div_scale_f64 v[101:102], s[6:7], v[99:100], v[99:100], v[97:98]
	v_rcp_f64_e32 v[103:104], v[101:102]
	v_fma_f64 v[105:106], -v[101:102], v[103:104], 1.0
	v_fma_f64 v[103:104], v[103:104], v[105:106], v[103:104]
	v_div_scale_f64 v[105:106], vcc, v[97:98], v[99:100], v[97:98]
	v_fma_f64 v[107:108], -v[101:102], v[103:104], 1.0
	v_fma_f64 v[103:104], v[103:104], v[107:108], v[103:104]
	v_mul_f64 v[107:108], v[105:106], v[103:104]
	v_fma_f64 v[101:102], -v[101:102], v[107:108], v[105:106]
	v_div_fmas_f64 v[101:102], v[101:102], v[103:104], v[107:108]
	v_div_fixup_f64 v[101:102], v[101:102], v[99:100], v[97:98]
	v_fma_f64 v[97:98], v[97:98], v[101:102], v[99:100]
	v_div_scale_f64 v[99:100], s[6:7], v[97:98], v[97:98], 1.0
	v_div_scale_f64 v[107:108], vcc, 1.0, v[97:98], 1.0
	v_rcp_f64_e32 v[103:104], v[99:100]
	v_fma_f64 v[105:106], -v[99:100], v[103:104], 1.0
	v_fma_f64 v[103:104], v[103:104], v[105:106], v[103:104]
	v_fma_f64 v[105:106], -v[99:100], v[103:104], 1.0
	v_fma_f64 v[103:104], v[103:104], v[105:106], v[103:104]
	v_mul_f64 v[105:106], v[107:108], v[103:104]
	v_fma_f64 v[99:100], -v[99:100], v[105:106], v[107:108]
	v_div_fmas_f64 v[99:100], v[99:100], v[103:104], v[105:106]
	v_div_fixup_f64 v[103:104], v[99:100], v[97:98], 1.0
                                        ; implicit-def: $vgpr97_vgpr98
	v_mul_f64 v[101:102], v[101:102], v[103:104]
	v_xor_b32_e32 v104, 0x80000000, v104
.LBB47_185:
	s_andn2_saveexec_b64 s[2:3], s[2:3]
	s_cbranch_execz .LBB47_187
; %bb.186:
	v_div_scale_f64 v[101:102], s[6:7], v[97:98], v[97:98], v[99:100]
	v_rcp_f64_e32 v[103:104], v[101:102]
	v_fma_f64 v[105:106], -v[101:102], v[103:104], 1.0
	v_fma_f64 v[103:104], v[103:104], v[105:106], v[103:104]
	v_div_scale_f64 v[105:106], vcc, v[99:100], v[97:98], v[99:100]
	v_fma_f64 v[107:108], -v[101:102], v[103:104], 1.0
	v_fma_f64 v[103:104], v[103:104], v[107:108], v[103:104]
	v_mul_f64 v[107:108], v[105:106], v[103:104]
	v_fma_f64 v[101:102], -v[101:102], v[107:108], v[105:106]
	v_div_fmas_f64 v[101:102], v[101:102], v[103:104], v[107:108]
	v_div_fixup_f64 v[103:104], v[101:102], v[97:98], v[99:100]
	v_fma_f64 v[97:98], v[99:100], v[103:104], v[97:98]
	v_div_scale_f64 v[99:100], s[6:7], v[97:98], v[97:98], 1.0
	v_div_scale_f64 v[107:108], vcc, 1.0, v[97:98], 1.0
	v_rcp_f64_e32 v[101:102], v[99:100]
	v_fma_f64 v[105:106], -v[99:100], v[101:102], 1.0
	v_fma_f64 v[101:102], v[101:102], v[105:106], v[101:102]
	v_fma_f64 v[105:106], -v[99:100], v[101:102], 1.0
	v_fma_f64 v[101:102], v[101:102], v[105:106], v[101:102]
	v_mul_f64 v[105:106], v[107:108], v[101:102]
	v_fma_f64 v[99:100], -v[99:100], v[105:106], v[107:108]
	v_div_fmas_f64 v[99:100], v[99:100], v[101:102], v[105:106]
	v_div_fixup_f64 v[101:102], v[99:100], v[97:98], 1.0
	v_mul_f64 v[103:104], v[103:104], -v[101:102]
.LBB47_187:
	s_or_b64 exec, exec, s[2:3]
	ds_write2_b64 v127, v[101:102], v[103:104] offset1:1
.LBB47_188:
	s_or_b64 exec, exec, s[4:5]
	s_waitcnt lgkmcnt(0)
	s_barrier
	ds_read2_b64 v[85:88], v127 offset1:1
	v_cmp_lt_u32_e32 vcc, 20, v0
	s_waitcnt lgkmcnt(0)
	buffer_store_dword v85, off, s[20:23], 0 offset:472 ; 4-byte Folded Spill
	s_nop 0
	buffer_store_dword v86, off, s[20:23], 0 offset:476 ; 4-byte Folded Spill
	buffer_store_dword v87, off, s[20:23], 0 offset:480 ; 4-byte Folded Spill
	;; [unrolled: 1-line block ×3, first 2 shown]
	s_and_saveexec_b64 s[2:3], vcc
	s_cbranch_execz .LBB47_190
; %bb.189:
	buffer_load_dword v85, off, s[20:23], 0 offset:472 ; 4-byte Folded Reload
	buffer_load_dword v86, off, s[20:23], 0 offset:476 ; 4-byte Folded Reload
	;; [unrolled: 1-line block ×4, first 2 shown]
	s_waitcnt vmcnt(2)
	v_mul_f64 v[97:98], v[85:86], v[11:12]
	s_waitcnt vmcnt(0)
	v_mul_f64 v[11:12], v[87:88], v[11:12]
	v_fma_f64 v[101:102], v[87:88], v[9:10], v[97:98]
	ds_read2_b64 v[97:100], v125 offset0:42 offset1:43
	v_fma_f64 v[9:10], v[85:86], v[9:10], -v[11:12]
	s_waitcnt lgkmcnt(0)
	v_mul_f64 v[11:12], v[99:100], v[101:102]
	v_fma_f64 v[11:12], v[97:98], v[9:10], -v[11:12]
	v_mul_f64 v[97:98], v[97:98], v[101:102]
	v_add_f64 v[5:6], v[5:6], -v[11:12]
	v_fma_f64 v[97:98], v[99:100], v[9:10], v[97:98]
	v_add_f64 v[7:8], v[7:8], -v[97:98]
	ds_read2_b64 v[97:100], v125 offset0:44 offset1:45
	s_waitcnt lgkmcnt(0)
	v_mul_f64 v[11:12], v[99:100], v[101:102]
	v_fma_f64 v[11:12], v[97:98], v[9:10], -v[11:12]
	v_mul_f64 v[97:98], v[97:98], v[101:102]
	v_add_f64 v[1:2], v[1:2], -v[11:12]
	v_fma_f64 v[97:98], v[99:100], v[9:10], v[97:98]
	v_add_f64 v[3:4], v[3:4], -v[97:98]
	ds_read2_b64 v[97:100], v125 offset0:46 offset1:47
	s_waitcnt lgkmcnt(0)
	v_mul_f64 v[11:12], v[99:100], v[101:102]
	v_fma_f64 v[11:12], v[97:98], v[9:10], -v[11:12]
	v_mul_f64 v[97:98], v[97:98], v[101:102]
	v_add_f64 v[69:70], v[69:70], -v[11:12]
	v_fma_f64 v[97:98], v[99:100], v[9:10], v[97:98]
	v_mov_b32_e32 v11, v101
	v_mov_b32_e32 v12, v102
	v_add_f64 v[71:72], v[71:72], -v[97:98]
.LBB47_190:
	s_or_b64 exec, exec, s[2:3]
	v_cmp_eq_u32_e32 vcc, 21, v0
	s_waitcnt vmcnt(0)
	s_barrier
	s_and_saveexec_b64 s[4:5], vcc
	s_cbranch_execz .LBB47_197
; %bb.191:
	ds_write2_b64 v127, v[5:6], v[7:8] offset1:1
	ds_write2_b64 v125, v[1:2], v[3:4] offset0:44 offset1:45
	ds_write2_b64 v125, v[69:70], v[71:72] offset0:46 offset1:47
	ds_read2_b64 v[97:100], v127 offset1:1
	s_waitcnt lgkmcnt(0)
	v_cmp_neq_f64_e32 vcc, 0, v[97:98]
	v_cmp_neq_f64_e64 s[2:3], 0, v[99:100]
	s_or_b64 s[2:3], vcc, s[2:3]
	s_and_b64 exec, exec, s[2:3]
	s_cbranch_execz .LBB47_197
; %bb.192:
	v_cmp_ngt_f64_e64 s[2:3], |v[97:98]|, |v[99:100]|
                                        ; implicit-def: $vgpr101_vgpr102
	s_and_saveexec_b64 s[6:7], s[2:3]
	s_xor_b64 s[2:3], exec, s[6:7]
                                        ; implicit-def: $vgpr103_vgpr104
	s_cbranch_execz .LBB47_194
; %bb.193:
	v_div_scale_f64 v[101:102], s[6:7], v[99:100], v[99:100], v[97:98]
	v_rcp_f64_e32 v[103:104], v[101:102]
	v_fma_f64 v[105:106], -v[101:102], v[103:104], 1.0
	v_fma_f64 v[103:104], v[103:104], v[105:106], v[103:104]
	v_div_scale_f64 v[105:106], vcc, v[97:98], v[99:100], v[97:98]
	v_fma_f64 v[107:108], -v[101:102], v[103:104], 1.0
	v_fma_f64 v[103:104], v[103:104], v[107:108], v[103:104]
	v_mul_f64 v[107:108], v[105:106], v[103:104]
	v_fma_f64 v[101:102], -v[101:102], v[107:108], v[105:106]
	v_div_fmas_f64 v[101:102], v[101:102], v[103:104], v[107:108]
	v_div_fixup_f64 v[101:102], v[101:102], v[99:100], v[97:98]
	v_fma_f64 v[97:98], v[97:98], v[101:102], v[99:100]
	v_div_scale_f64 v[99:100], s[6:7], v[97:98], v[97:98], 1.0
	v_div_scale_f64 v[107:108], vcc, 1.0, v[97:98], 1.0
	v_rcp_f64_e32 v[103:104], v[99:100]
	v_fma_f64 v[105:106], -v[99:100], v[103:104], 1.0
	v_fma_f64 v[103:104], v[103:104], v[105:106], v[103:104]
	v_fma_f64 v[105:106], -v[99:100], v[103:104], 1.0
	v_fma_f64 v[103:104], v[103:104], v[105:106], v[103:104]
	v_mul_f64 v[105:106], v[107:108], v[103:104]
	v_fma_f64 v[99:100], -v[99:100], v[105:106], v[107:108]
	v_div_fmas_f64 v[99:100], v[99:100], v[103:104], v[105:106]
	v_div_fixup_f64 v[103:104], v[99:100], v[97:98], 1.0
                                        ; implicit-def: $vgpr97_vgpr98
	v_mul_f64 v[101:102], v[101:102], v[103:104]
	v_xor_b32_e32 v104, 0x80000000, v104
.LBB47_194:
	s_andn2_saveexec_b64 s[2:3], s[2:3]
	s_cbranch_execz .LBB47_196
; %bb.195:
	v_div_scale_f64 v[101:102], s[6:7], v[97:98], v[97:98], v[99:100]
	v_rcp_f64_e32 v[103:104], v[101:102]
	v_fma_f64 v[105:106], -v[101:102], v[103:104], 1.0
	v_fma_f64 v[103:104], v[103:104], v[105:106], v[103:104]
	v_div_scale_f64 v[105:106], vcc, v[99:100], v[97:98], v[99:100]
	v_fma_f64 v[107:108], -v[101:102], v[103:104], 1.0
	v_fma_f64 v[103:104], v[103:104], v[107:108], v[103:104]
	v_mul_f64 v[107:108], v[105:106], v[103:104]
	v_fma_f64 v[101:102], -v[101:102], v[107:108], v[105:106]
	v_div_fmas_f64 v[101:102], v[101:102], v[103:104], v[107:108]
	v_div_fixup_f64 v[103:104], v[101:102], v[97:98], v[99:100]
	v_fma_f64 v[97:98], v[99:100], v[103:104], v[97:98]
	v_div_scale_f64 v[99:100], s[6:7], v[97:98], v[97:98], 1.0
	v_div_scale_f64 v[107:108], vcc, 1.0, v[97:98], 1.0
	v_rcp_f64_e32 v[101:102], v[99:100]
	v_fma_f64 v[105:106], -v[99:100], v[101:102], 1.0
	v_fma_f64 v[101:102], v[101:102], v[105:106], v[101:102]
	v_fma_f64 v[105:106], -v[99:100], v[101:102], 1.0
	v_fma_f64 v[101:102], v[101:102], v[105:106], v[101:102]
	v_mul_f64 v[105:106], v[107:108], v[101:102]
	v_fma_f64 v[99:100], -v[99:100], v[105:106], v[107:108]
	v_div_fmas_f64 v[99:100], v[99:100], v[101:102], v[105:106]
	v_div_fixup_f64 v[101:102], v[99:100], v[97:98], 1.0
	v_mul_f64 v[103:104], v[103:104], -v[101:102]
.LBB47_196:
	s_or_b64 exec, exec, s[2:3]
	ds_write2_b64 v127, v[101:102], v[103:104] offset1:1
.LBB47_197:
	s_or_b64 exec, exec, s[4:5]
	s_waitcnt lgkmcnt(0)
	s_barrier
	ds_read2_b64 v[101:104], v127 offset1:1
	v_cmp_lt_u32_e32 vcc, 21, v0
	s_and_saveexec_b64 s[2:3], vcc
	s_cbranch_execz .LBB47_199
; %bb.198:
	s_waitcnt lgkmcnt(0)
	v_mul_f64 v[97:98], v[101:102], v[7:8]
	v_mul_f64 v[7:8], v[103:104], v[7:8]
	v_fma_f64 v[105:106], v[103:104], v[5:6], v[97:98]
	ds_read2_b64 v[97:100], v125 offset0:44 offset1:45
	v_fma_f64 v[5:6], v[101:102], v[5:6], -v[7:8]
	s_waitcnt lgkmcnt(0)
	v_mul_f64 v[7:8], v[99:100], v[105:106]
	v_fma_f64 v[7:8], v[97:98], v[5:6], -v[7:8]
	v_mul_f64 v[97:98], v[97:98], v[105:106]
	v_add_f64 v[1:2], v[1:2], -v[7:8]
	v_fma_f64 v[97:98], v[99:100], v[5:6], v[97:98]
	v_add_f64 v[3:4], v[3:4], -v[97:98]
	ds_read2_b64 v[97:100], v125 offset0:46 offset1:47
	s_waitcnt lgkmcnt(0)
	v_mul_f64 v[7:8], v[99:100], v[105:106]
	v_fma_f64 v[7:8], v[97:98], v[5:6], -v[7:8]
	v_mul_f64 v[97:98], v[97:98], v[105:106]
	v_add_f64 v[69:70], v[69:70], -v[7:8]
	v_fma_f64 v[97:98], v[99:100], v[5:6], v[97:98]
	v_mov_b32_e32 v7, v105
	v_mov_b32_e32 v8, v106
	v_add_f64 v[71:72], v[71:72], -v[97:98]
.LBB47_199:
	s_or_b64 exec, exec, s[2:3]
	v_cmp_eq_u32_e32 vcc, 22, v0
	s_waitcnt lgkmcnt(0)
	s_barrier
	s_and_saveexec_b64 s[4:5], vcc
	s_cbranch_execz .LBB47_206
; %bb.200:
	ds_write2_b64 v127, v[1:2], v[3:4] offset1:1
	ds_write2_b64 v125, v[69:70], v[71:72] offset0:46 offset1:47
	ds_read2_b64 v[97:100], v127 offset1:1
	s_waitcnt lgkmcnt(0)
	v_cmp_neq_f64_e32 vcc, 0, v[97:98]
	v_cmp_neq_f64_e64 s[2:3], 0, v[99:100]
	s_or_b64 s[2:3], vcc, s[2:3]
	s_and_b64 exec, exec, s[2:3]
	s_cbranch_execz .LBB47_206
; %bb.201:
	v_cmp_ngt_f64_e64 s[2:3], |v[97:98]|, |v[99:100]|
                                        ; implicit-def: $vgpr105_vgpr106
	s_and_saveexec_b64 s[6:7], s[2:3]
	s_xor_b64 s[2:3], exec, s[6:7]
                                        ; implicit-def: $vgpr107_vgpr108
	s_cbranch_execz .LBB47_203
; %bb.202:
	v_div_scale_f64 v[105:106], s[6:7], v[99:100], v[99:100], v[97:98]
	v_mov_b32_e32 v87, v93
	v_mov_b32_e32 v88, v94
	;; [unrolled: 1-line block ×4, first 2 shown]
	v_div_scale_f64 v[95:96], vcc, v[97:98], v[99:100], v[97:98]
	v_rcp_f64_e32 v[107:108], v[105:106]
	v_fma_f64 v[93:94], -v[105:106], v[107:108], 1.0
	v_fma_f64 v[93:94], v[107:108], v[93:94], v[107:108]
	v_fma_f64 v[107:108], -v[105:106], v[93:94], 1.0
	v_fma_f64 v[93:94], v[93:94], v[107:108], v[93:94]
	v_mul_f64 v[107:108], v[95:96], v[93:94]
	v_fma_f64 v[95:96], -v[105:106], v[107:108], v[95:96]
	v_div_fmas_f64 v[93:94], v[95:96], v[93:94], v[107:108]
	v_div_fixup_f64 v[93:94], v[93:94], v[99:100], v[97:98]
	v_fma_f64 v[95:96], v[97:98], v[93:94], v[99:100]
	v_div_scale_f64 v[97:98], s[6:7], v[95:96], v[95:96], 1.0
	v_div_scale_f64 v[107:108], vcc, 1.0, v[95:96], 1.0
	v_rcp_f64_e32 v[99:100], v[97:98]
	v_fma_f64 v[105:106], -v[97:98], v[99:100], 1.0
	v_fma_f64 v[99:100], v[99:100], v[105:106], v[99:100]
	v_fma_f64 v[105:106], -v[97:98], v[99:100], 1.0
	v_fma_f64 v[99:100], v[99:100], v[105:106], v[99:100]
	v_mul_f64 v[105:106], v[107:108], v[99:100]
	v_fma_f64 v[97:98], -v[97:98], v[105:106], v[107:108]
	v_div_fmas_f64 v[97:98], v[97:98], v[99:100], v[105:106]
	v_div_fixup_f64 v[107:108], v[97:98], v[95:96], 1.0
                                        ; implicit-def: $vgpr97_vgpr98
	v_mul_f64 v[105:106], v[93:94], v[107:108]
	v_mov_b32_e32 v96, v90
	v_mov_b32_e32 v95, v89
	;; [unrolled: 1-line block ×4, first 2 shown]
	v_xor_b32_e32 v108, 0x80000000, v108
.LBB47_203:
	s_andn2_saveexec_b64 s[2:3], s[2:3]
	s_cbranch_execz .LBB47_205
; %bb.204:
	v_mov_b32_e32 v87, v93
	v_mov_b32_e32 v88, v94
	;; [unrolled: 1-line block ×4, first 2 shown]
	v_div_scale_f64 v[93:94], s[6:7], v[97:98], v[97:98], v[99:100]
	v_rcp_f64_e32 v[95:96], v[93:94]
	v_fma_f64 v[105:106], -v[93:94], v[95:96], 1.0
	v_fma_f64 v[95:96], v[95:96], v[105:106], v[95:96]
	v_div_scale_f64 v[105:106], vcc, v[99:100], v[97:98], v[99:100]
	v_fma_f64 v[107:108], -v[93:94], v[95:96], 1.0
	v_fma_f64 v[95:96], v[95:96], v[107:108], v[95:96]
	v_mul_f64 v[107:108], v[105:106], v[95:96]
	v_fma_f64 v[93:94], -v[93:94], v[107:108], v[105:106]
	v_div_fmas_f64 v[93:94], v[93:94], v[95:96], v[107:108]
	v_div_fixup_f64 v[93:94], v[93:94], v[97:98], v[99:100]
	v_fma_f64 v[95:96], v[99:100], v[93:94], v[97:98]
	v_div_scale_f64 v[97:98], s[6:7], v[95:96], v[95:96], 1.0
	v_div_scale_f64 v[107:108], vcc, 1.0, v[95:96], 1.0
	v_rcp_f64_e32 v[99:100], v[97:98]
	v_fma_f64 v[105:106], -v[97:98], v[99:100], 1.0
	v_fma_f64 v[99:100], v[99:100], v[105:106], v[99:100]
	v_fma_f64 v[105:106], -v[97:98], v[99:100], 1.0
	v_fma_f64 v[99:100], v[99:100], v[105:106], v[99:100]
	v_mul_f64 v[105:106], v[107:108], v[99:100]
	v_fma_f64 v[97:98], -v[97:98], v[105:106], v[107:108]
	v_div_fmas_f64 v[97:98], v[97:98], v[99:100], v[105:106]
	v_div_fixup_f64 v[105:106], v[97:98], v[95:96], 1.0
	v_mul_f64 v[107:108], v[93:94], -v[105:106]
	v_mov_b32_e32 v96, v90
	v_mov_b32_e32 v95, v89
	;; [unrolled: 1-line block ×4, first 2 shown]
.LBB47_205:
	s_or_b64 exec, exec, s[2:3]
	ds_write2_b64 v127, v[105:106], v[107:108] offset1:1
.LBB47_206:
	s_or_b64 exec, exec, s[4:5]
	s_waitcnt lgkmcnt(0)
	s_barrier
	ds_read2_b64 v[105:108], v127 offset1:1
	v_cmp_lt_u32_e32 vcc, 22, v0
	s_and_saveexec_b64 s[2:3], vcc
	s_cbranch_execz .LBB47_208
; %bb.207:
	v_mov_b32_e32 v87, v93
	v_mov_b32_e32 v88, v94
	;; [unrolled: 1-line block ×4, first 2 shown]
	s_waitcnt lgkmcnt(0)
	v_mul_f64 v[93:94], v[105:106], v[3:4]
	v_mul_f64 v[3:4], v[107:108], v[3:4]
	ds_read2_b64 v[97:100], v125 offset0:46 offset1:47
	v_fma_f64 v[93:94], v[107:108], v[1:2], v[93:94]
	v_fma_f64 v[1:2], v[105:106], v[1:2], -v[3:4]
	s_waitcnt lgkmcnt(0)
	v_mul_f64 v[3:4], v[99:100], v[93:94]
	v_mul_f64 v[95:96], v[97:98], v[93:94]
	v_fma_f64 v[3:4], v[97:98], v[1:2], -v[3:4]
	v_fma_f64 v[95:96], v[99:100], v[1:2], v[95:96]
	v_add_f64 v[69:70], v[69:70], -v[3:4]
	v_add_f64 v[71:72], v[71:72], -v[95:96]
	v_mov_b32_e32 v3, v93
	v_mov_b32_e32 v4, v94
	;; [unrolled: 1-line block ×6, first 2 shown]
.LBB47_208:
	s_or_b64 exec, exec, s[2:3]
	v_cmp_eq_u32_e32 vcc, 23, v0
	s_waitcnt lgkmcnt(0)
	s_barrier
	s_and_saveexec_b64 s[4:5], vcc
	s_cbranch_execz .LBB47_215
; %bb.209:
	v_cmp_neq_f64_e32 vcc, 0, v[69:70]
	v_cmp_neq_f64_e64 s[2:3], 0, v[71:72]
	ds_write2_b64 v127, v[69:70], v[71:72] offset1:1
	s_or_b64 s[2:3], vcc, s[2:3]
	s_and_b64 exec, exec, s[2:3]
	s_cbranch_execz .LBB47_215
; %bb.210:
	v_cmp_ngt_f64_e64 s[2:3], |v[69:70]|, |v[71:72]|
                                        ; implicit-def: $vgpr97_vgpr98
	s_and_saveexec_b64 s[6:7], s[2:3]
	s_xor_b64 s[2:3], exec, s[6:7]
                                        ; implicit-def: $vgpr99_vgpr100
	s_cbranch_execz .LBB47_212
; %bb.211:
	buffer_store_dword v121, off, s[20:23], 0 offset:496 ; 4-byte Folded Spill
	s_nop 0
	buffer_store_dword v122, off, s[20:23], 0 offset:500 ; 4-byte Folded Spill
	buffer_store_dword v123, off, s[20:23], 0 offset:504 ; 4-byte Folded Spill
	;; [unrolled: 1-line block ×3, first 2 shown]
	v_mov_b32_e32 v124, v4
	v_mov_b32_e32 v123, v3
	;; [unrolled: 1-line block ×96, first 2 shown]
	v_div_scale_f64 v[93:94], s[6:7], v[71:72], v[71:72], v[69:70]
	v_mov_b32_e32 v85, v91
	v_mov_b32_e32 v86, v92
	v_rcp_f64_e32 v[95:96], v[93:94]
	v_fma_f64 v[97:98], -v[93:94], v[95:96], 1.0
	v_fma_f64 v[95:96], v[95:96], v[97:98], v[95:96]
	v_div_scale_f64 v[97:98], vcc, v[69:70], v[71:72], v[69:70]
	v_fma_f64 v[99:100], -v[93:94], v[95:96], 1.0
	v_fma_f64 v[95:96], v[95:96], v[99:100], v[95:96]
	v_mul_f64 v[99:100], v[97:98], v[95:96]
	v_fma_f64 v[93:94], -v[93:94], v[99:100], v[97:98]
	v_div_fmas_f64 v[93:94], v[93:94], v[95:96], v[99:100]
	v_div_fixup_f64 v[93:94], v[93:94], v[71:72], v[69:70]
	v_fma_f64 v[95:96], v[69:70], v[93:94], v[71:72]
	v_div_scale_f64 v[97:98], s[6:7], v[95:96], v[95:96], 1.0
	v_div_scale_f64 v[89:90], vcc, 1.0, v[95:96], 1.0
	v_rcp_f64_e32 v[99:100], v[97:98]
	v_fma_f64 v[125:126], -v[97:98], v[99:100], 1.0
	v_fma_f64 v[99:100], v[99:100], v[125:126], v[99:100]
	v_fma_f64 v[125:126], -v[97:98], v[99:100], 1.0
	v_fma_f64 v[91:92], v[99:100], v[125:126], v[99:100]
	v_mul_f64 v[99:100], v[89:90], v[91:92]
	v_fma_f64 v[89:90], -v[97:98], v[99:100], v[89:90]
	v_div_fmas_f64 v[89:90], v[89:90], v[91:92], v[99:100]
	v_mov_b32_e32 v92, v86
	v_mov_b32_e32 v91, v85
	v_div_fixup_f64 v[99:100], v[89:90], v[95:96], 1.0
	v_mul_f64 v[97:98], v[93:94], v[99:100]
	v_mov_b32_e32 v93, v109
	v_mov_b32_e32 v94, v110
	;; [unrolled: 1-line block ×96, first 2 shown]
	buffer_load_dword v121, off, s[20:23], 0 offset:496 ; 4-byte Folded Reload
	buffer_load_dword v122, off, s[20:23], 0 offset:500 ; 4-byte Folded Reload
	;; [unrolled: 1-line block ×4, first 2 shown]
	v_xor_b32_e32 v100, 0x80000000, v100
.LBB47_212:
	s_andn2_saveexec_b64 s[2:3], s[2:3]
	s_cbranch_execz .LBB47_214
; %bb.213:
	v_div_scale_f64 v[89:90], s[6:7], v[69:70], v[69:70], v[71:72]
	v_mov_b32_e32 v88, v4
	v_mov_b32_e32 v87, v3
	;; [unrolled: 1-line block ×31, first 2 shown]
	v_rcp_f64_e32 v[91:92], v[89:90]
	v_mov_b32_e32 v26, v118
	v_mov_b32_e32 v27, v119
	;; [unrolled: 1-line block ×67, first 2 shown]
	v_fma_f64 v[93:94], -v[89:90], v[91:92], 1.0
	v_fma_f64 v[91:92], v[91:92], v[93:94], v[91:92]
	v_div_scale_f64 v[93:94], vcc, v[71:72], v[69:70], v[71:72]
	v_fma_f64 v[95:96], -v[89:90], v[91:92], 1.0
	v_fma_f64 v[91:92], v[91:92], v[95:96], v[91:92]
	v_mul_f64 v[95:96], v[93:94], v[91:92]
	v_fma_f64 v[89:90], -v[89:90], v[95:96], v[93:94]
	v_div_fmas_f64 v[89:90], v[89:90], v[91:92], v[95:96]
	v_div_fixup_f64 v[89:90], v[89:90], v[69:70], v[71:72]
	v_fma_f64 v[91:92], v[71:72], v[89:90], v[69:70]
	v_div_scale_f64 v[93:94], s[6:7], v[91:92], v[91:92], 1.0
	v_div_scale_f64 v[99:100], vcc, 1.0, v[91:92], 1.0
	v_rcp_f64_e32 v[95:96], v[93:94]
	v_fma_f64 v[97:98], -v[93:94], v[95:96], 1.0
	v_fma_f64 v[95:96], v[95:96], v[97:98], v[95:96]
	v_fma_f64 v[97:98], -v[93:94], v[95:96], 1.0
	v_fma_f64 v[95:96], v[95:96], v[97:98], v[95:96]
	v_mul_f64 v[97:98], v[99:100], v[95:96]
	v_fma_f64 v[93:94], -v[93:94], v[97:98], v[99:100]
	v_div_fmas_f64 v[93:94], v[93:94], v[95:96], v[97:98]
	v_div_fixup_f64 v[97:98], v[93:94], v[91:92], 1.0
	v_mov_b32_e32 v93, v109
	v_mov_b32_e32 v94, v110
	;; [unrolled: 1-line block ×69, first 2 shown]
	v_mul_f64 v[99:100], v[89:90], -v[97:98]
	v_mov_b32_e32 v27, v23
	v_mov_b32_e32 v26, v22
	;; [unrolled: 1-line block ×29, first 2 shown]
.LBB47_214:
	s_or_b64 exec, exec, s[2:3]
	ds_write2_b64 v127, v[97:98], v[99:100] offset1:1
.LBB47_215:
	s_or_b64 exec, exec, s[4:5]
	s_waitcnt vmcnt(0) lgkmcnt(0)
	s_barrier
	ds_read2_b64 v[97:100], v127 offset1:1
	s_waitcnt lgkmcnt(0)
	s_barrier
	s_and_saveexec_b64 s[2:3], s[0:1]
	s_cbranch_execz .LBB47_218
; %bb.216:
	buffer_load_dword v87, off, s[20:23], 0 offset:208 ; 4-byte Folded Reload
	buffer_load_dword v88, off, s[20:23], 0 offset:212 ; 4-byte Folded Reload
	;; [unrolled: 1-line block ×4, first 2 shown]
	s_waitcnt vmcnt(2)
	v_cmp_eq_f64_e32 vcc, 0, v[87:88]
	buffer_load_dword v85, off, s[20:23], 0 offset:232 ; 4-byte Folded Reload
	buffer_load_dword v86, off, s[20:23], 0 offset:236 ; 4-byte Folded Reload
	;; [unrolled: 1-line block ×4, first 2 shown]
	s_waitcnt vmcnt(4)
	v_cmp_eq_f64_e64 s[0:1], 0, v[89:90]
	s_and_b64 s[4:5], vcc, s[0:1]
	v_cmp_neq_f64_e32 vcc, 0, v[109:110]
	v_cmp_neq_f64_e64 s[0:1], 0, v[111:112]
	v_cndmask_b32_e64 v89, 0, 1, s[4:5]
	s_or_b64 s[0:1], vcc, s[0:1]
	s_or_b64 vcc, s[0:1], s[4:5]
	v_cndmask_b32_e32 v89, 2, v89, vcc
	v_cmp_eq_f64_e32 vcc, 0, v[113:114]
	v_cmp_eq_f64_e64 s[0:1], 0, v[115:116]
	s_and_b64 s[0:1], vcc, s[0:1]
	v_cmp_eq_u32_e32 vcc, 0, v89
	s_and_b64 s[0:1], s[0:1], vcc
	v_cndmask_b32_e64 v89, v89, 3, s[0:1]
	v_cmp_eq_f64_e32 vcc, 0, v[117:118]
	v_cmp_eq_f64_e64 s[0:1], 0, v[119:120]
	s_and_b64 s[0:1], vcc, s[0:1]
	v_cmp_eq_u32_e32 vcc, 0, v89
	s_and_b64 s[0:1], s[0:1], vcc
	v_cndmask_b32_e64 v89, v89, 4, s[0:1]
	;; [unrolled: 6-line block ×3, first 2 shown]
	s_waitcnt vmcnt(2)
	v_cmp_eq_f64_e32 vcc, 0, v[85:86]
	s_waitcnt vmcnt(0)
	v_cmp_eq_f64_e64 s[0:1], 0, v[87:88]
	buffer_load_dword v85, off, s[20:23], 0 offset:248 ; 4-byte Folded Reload
	buffer_load_dword v86, off, s[20:23], 0 offset:252 ; 4-byte Folded Reload
	buffer_load_dword v87, off, s[20:23], 0 offset:256 ; 4-byte Folded Reload
	buffer_load_dword v88, off, s[20:23], 0 offset:260 ; 4-byte Folded Reload
	s_and_b64 s[0:1], vcc, s[0:1]
	v_cmp_eq_u32_e32 vcc, 0, v89
	s_and_b64 s[0:1], s[0:1], vcc
	v_cndmask_b32_e64 v89, v89, 6, s[0:1]
	s_waitcnt vmcnt(2)
	v_cmp_eq_f64_e32 vcc, 0, v[85:86]
	s_waitcnt vmcnt(0)
	v_cmp_eq_f64_e64 s[0:1], 0, v[87:88]
	buffer_load_dword v85, off, s[20:23], 0 offset:264 ; 4-byte Folded Reload
	buffer_load_dword v86, off, s[20:23], 0 offset:268 ; 4-byte Folded Reload
	buffer_load_dword v87, off, s[20:23], 0 offset:272 ; 4-byte Folded Reload
	buffer_load_dword v88, off, s[20:23], 0 offset:276 ; 4-byte Folded Reload
	s_and_b64 s[0:1], vcc, s[0:1]
	v_cmp_eq_u32_e32 vcc, 0, v89
	s_and_b64 s[0:1], s[0:1], vcc
	v_cndmask_b32_e64 v89, v89, 7, s[0:1]
	;; [unrolled: 12-line block ×15, first 2 shown]
	s_waitcnt vmcnt(2)
	v_cmp_eq_f64_e32 vcc, 0, v[85:86]
	s_waitcnt vmcnt(0)
	v_cmp_eq_f64_e64 s[0:1], 0, v[87:88]
	buffer_load_dword v87, off, s[20:23], 0 offset:488 ; 4-byte Folded Reload
	buffer_load_dword v88, off, s[20:23], 0 offset:492 ; 4-byte Folded Reload
	s_and_b64 s[0:1], vcc, s[0:1]
	v_cmp_eq_u32_e32 vcc, 0, v89
	s_and_b64 s[0:1], s[0:1], vcc
	v_cndmask_b32_e64 v89, v89, 21, s[0:1]
	v_cmp_eq_f64_e32 vcc, 0, v[101:102]
	v_cmp_eq_f64_e64 s[0:1], 0, v[103:104]
	s_and_b64 s[0:1], vcc, s[0:1]
	v_cmp_eq_u32_e32 vcc, 0, v89
	s_and_b64 s[0:1], s[0:1], vcc
	v_cndmask_b32_e64 v89, v89, 22, s[0:1]
	v_cmp_eq_f64_e32 vcc, 0, v[105:106]
	v_cmp_eq_f64_e64 s[0:1], 0, v[107:108]
	;; [unrolled: 6-line block ×3, first 2 shown]
	s_and_b64 s[0:1], vcc, s[0:1]
	v_cmp_eq_u32_e32 vcc, 0, v89
	s_and_b64 s[0:1], s[0:1], vcc
	v_cndmask_b32_e64 v103, v89, 24, s[0:1]
	v_cmp_ne_u32_e64 s[0:1], 0, v103
	s_waitcnt vmcnt(0)
	v_lshlrev_b64 v[89:90], 2, v[87:88]
	v_add_co_u32_e32 v101, vcc, s10, v89
	v_mov_b32_e32 v89, s11
	v_addc_co_u32_e32 v102, vcc, v89, v90, vcc
	global_load_dword v89, v[101:102], off
	s_waitcnt vmcnt(0)
	v_cmp_eq_u32_e32 vcc, 0, v89
	s_and_b64 s[0:1], vcc, s[0:1]
	s_and_b64 exec, exec, s[0:1]
	s_cbranch_execz .LBB47_218
; %bb.217:
	v_add_u32_e32 v89, s13, v103
	global_store_dword v[101:102], v89, off
.LBB47_218:
	s_or_b64 exec, exec, s[2:3]
	buffer_load_dword v87, off, s[20:23], 0 offset:192 ; 4-byte Folded Reload
	buffer_load_dword v88, off, s[20:23], 0 offset:196 ; 4-byte Folded Reload
	;; [unrolled: 1-line block ×6, first 2 shown]
	v_cmp_lt_u32_e32 vcc, 23, v0
	s_waitcnt vmcnt(0)
	global_store_dwordx4 v[87:88], v[101:104], off
	buffer_load_dword v87, off, s[20:23], 0 offset:200 ; 4-byte Folded Reload
	s_nop 0
	buffer_load_dword v88, off, s[20:23], 0 offset:204 ; 4-byte Folded Reload
	buffer_load_dword v101, off, s[20:23], 0 ; 4-byte Folded Reload
	buffer_load_dword v102, off, s[20:23], 0 offset:4 ; 4-byte Folded Reload
	buffer_load_dword v103, off, s[20:23], 0 offset:8 ; 4-byte Folded Reload
	;; [unrolled: 1-line block ×3, first 2 shown]
	s_waitcnt vmcnt(0)
	global_store_dwordx4 v[87:88], v[101:104], off
	global_store_dwordx4 v[91:92], v[93:96], off
	buffer_load_dword v87, off, s[20:23], 0 offset:32 ; 4-byte Folded Reload
	s_nop 0
	buffer_load_dword v88, off, s[20:23], 0 offset:36 ; 4-byte Folded Reload
	s_waitcnt vmcnt(0)
	global_store_dwordx4 v[87:88], v[81:84], off
	buffer_load_dword v81, off, s[20:23], 0 offset:224 ; 4-byte Folded Reload
	s_nop 0
	buffer_load_dword v82, off, s[20:23], 0 offset:228 ; 4-byte Folded Reload
	s_waitcnt vmcnt(0)
	global_store_dwordx4 v[81:82], v[77:80], off
	buffer_load_dword v81, off, s[20:23], 0 offset:40 ; 4-byte Folded Reload
	s_nop 0
	buffer_load_dword v82, off, s[20:23], 0 offset:44 ; 4-byte Folded Reload
	v_mul_f64 v[77:78], v[97:98], v[71:72]
	v_mul_f64 v[79:80], v[99:100], v[71:72]
	v_fma_f64 v[77:78], v[99:100], v[69:70], v[77:78]
	v_fma_f64 v[79:80], v[97:98], v[69:70], -v[79:80]
	s_waitcnt vmcnt(0)
	global_store_dwordx4 v[81:82], v[73:76], off
	buffer_load_dword v73, off, s[20:23], 0 offset:48 ; 4-byte Folded Reload
	s_nop 0
	buffer_load_dword v74, off, s[20:23], 0 offset:52 ; 4-byte Folded Reload
	s_waitcnt vmcnt(0)
	global_store_dwordx4 v[73:74], v[65:68], off
	buffer_load_dword v65, off, s[20:23], 0 offset:56 ; 4-byte Folded Reload
	s_nop 0
	buffer_load_dword v66, off, s[20:23], 0 offset:60 ; 4-byte Folded Reload
	s_waitcnt vmcnt(0)
	global_store_dwordx4 v[65:66], v[61:64], off
	buffer_load_dword v65, off, s[20:23], 0 offset:64 ; 4-byte Folded Reload
	s_nop 0
	buffer_load_dword v66, off, s[20:23], 0 offset:68 ; 4-byte Folded Reload
	v_cndmask_b32_e32 v64, v72, v78, vcc
	v_cndmask_b32_e32 v63, v71, v77, vcc
	;; [unrolled: 1-line block ×4, first 2 shown]
	s_waitcnt vmcnt(0)
	global_store_dwordx4 v[65:66], v[57:60], off
	buffer_load_dword v57, off, s[20:23], 0 offset:72 ; 4-byte Folded Reload
	s_nop 0
	buffer_load_dword v58, off, s[20:23], 0 offset:76 ; 4-byte Folded Reload
	s_waitcnt vmcnt(0)
	global_store_dwordx4 v[57:58], v[53:56], off
	buffer_load_dword v53, off, s[20:23], 0 offset:80 ; 4-byte Folded Reload
	s_nop 0
	buffer_load_dword v54, off, s[20:23], 0 offset:84 ; 4-byte Folded Reload
	s_waitcnt vmcnt(0)
	global_store_dwordx4 v[53:54], v[49:52], off
	buffer_load_dword v49, off, s[20:23], 0 offset:88 ; 4-byte Folded Reload
	s_nop 0
	buffer_load_dword v50, off, s[20:23], 0 offset:92 ; 4-byte Folded Reload
	s_waitcnt vmcnt(0)
	global_store_dwordx4 v[49:50], v[45:48], off
	buffer_load_dword v45, off, s[20:23], 0 offset:96 ; 4-byte Folded Reload
	s_nop 0
	buffer_load_dword v46, off, s[20:23], 0 offset:100 ; 4-byte Folded Reload
	s_waitcnt vmcnt(0)
	global_store_dwordx4 v[45:46], v[41:44], off
	buffer_load_dword v41, off, s[20:23], 0 offset:104 ; 4-byte Folded Reload
	s_nop 0
	buffer_load_dword v42, off, s[20:23], 0 offset:108 ; 4-byte Folded Reload
	s_waitcnt vmcnt(0)
	global_store_dwordx4 v[41:42], v[37:40], off
	buffer_load_dword v37, off, s[20:23], 0 offset:112 ; 4-byte Folded Reload
	s_nop 0
	buffer_load_dword v38, off, s[20:23], 0 offset:116 ; 4-byte Folded Reload
	s_waitcnt vmcnt(0)
	global_store_dwordx4 v[37:38], v[33:36], off
	buffer_load_dword v33, off, s[20:23], 0 offset:120 ; 4-byte Folded Reload
	s_nop 0
	buffer_load_dword v34, off, s[20:23], 0 offset:124 ; 4-byte Folded Reload
	s_waitcnt vmcnt(0)
	global_store_dwordx4 v[33:34], v[29:32], off
	buffer_load_dword v29, off, s[20:23], 0 offset:128 ; 4-byte Folded Reload
	s_nop 0
	buffer_load_dword v30, off, s[20:23], 0 offset:132 ; 4-byte Folded Reload
	s_waitcnt vmcnt(0)
	global_store_dwordx4 v[29:30], v[25:28], off
	buffer_load_dword v25, off, s[20:23], 0 offset:136 ; 4-byte Folded Reload
	s_nop 0
	buffer_load_dword v26, off, s[20:23], 0 offset:140 ; 4-byte Folded Reload
	s_waitcnt vmcnt(0)
	global_store_dwordx4 v[25:26], v[21:24], off
	buffer_load_dword v21, off, s[20:23], 0 offset:144 ; 4-byte Folded Reload
	s_nop 0
	buffer_load_dword v22, off, s[20:23], 0 offset:148 ; 4-byte Folded Reload
	s_waitcnt vmcnt(0)
	global_store_dwordx4 v[21:22], v[17:20], off
	buffer_load_dword v17, off, s[20:23], 0 offset:152 ; 4-byte Folded Reload
	s_nop 0
	buffer_load_dword v18, off, s[20:23], 0 offset:156 ; 4-byte Folded Reload
	s_waitcnt vmcnt(0)
	global_store_dwordx4 v[17:18], v[13:16], off
	buffer_load_dword v13, off, s[20:23], 0 offset:160 ; 4-byte Folded Reload
	s_nop 0
	buffer_load_dword v14, off, s[20:23], 0 offset:164 ; 4-byte Folded Reload
	s_waitcnt vmcnt(0)
	global_store_dwordx4 v[13:14], v[9:12], off
	buffer_load_dword v9, off, s[20:23], 0 offset:168 ; 4-byte Folded Reload
	s_nop 0
	buffer_load_dword v10, off, s[20:23], 0 offset:172 ; 4-byte Folded Reload
	s_waitcnt vmcnt(0)
	global_store_dwordx4 v[9:10], v[5:8], off
	buffer_load_dword v5, off, s[20:23], 0 offset:176 ; 4-byte Folded Reload
	s_nop 0
	buffer_load_dword v6, off, s[20:23], 0 offset:180 ; 4-byte Folded Reload
	s_waitcnt vmcnt(0)
	global_store_dwordx4 v[5:6], v[1:4], off
	buffer_load_dword v0, off, s[20:23], 0 offset:184 ; 4-byte Folded Reload
	s_nop 0
	buffer_load_dword v1, off, s[20:23], 0 offset:188 ; 4-byte Folded Reload
	s_waitcnt vmcnt(0)
	global_store_dwordx4 v[0:1], v[61:64], off
.LBB47_219:
	s_endpgm
	.section	.rodata,"a",@progbits
	.p2align	6, 0x0
	.amdhsa_kernel _ZN9rocsolver6v33100L23getf2_npvt_small_kernelILi24E19rocblas_complex_numIdEiiPS3_EEvT1_T3_lS5_lPT2_S5_S5_
		.amdhsa_group_segment_fixed_size 0
		.amdhsa_private_segment_fixed_size 516
		.amdhsa_kernarg_size 312
		.amdhsa_user_sgpr_count 6
		.amdhsa_user_sgpr_private_segment_buffer 1
		.amdhsa_user_sgpr_dispatch_ptr 0
		.amdhsa_user_sgpr_queue_ptr 0
		.amdhsa_user_sgpr_kernarg_segment_ptr 1
		.amdhsa_user_sgpr_dispatch_id 0
		.amdhsa_user_sgpr_flat_scratch_init 0
		.amdhsa_user_sgpr_private_segment_size 0
		.amdhsa_uses_dynamic_stack 0
		.amdhsa_system_sgpr_private_segment_wavefront_offset 1
		.amdhsa_system_sgpr_workgroup_id_x 1
		.amdhsa_system_sgpr_workgroup_id_y 1
		.amdhsa_system_sgpr_workgroup_id_z 0
		.amdhsa_system_sgpr_workgroup_info 0
		.amdhsa_system_vgpr_workitem_id 1
		.amdhsa_next_free_vgpr 128
		.amdhsa_next_free_sgpr 24
		.amdhsa_reserve_vcc 1
		.amdhsa_reserve_flat_scratch 0
		.amdhsa_float_round_mode_32 0
		.amdhsa_float_round_mode_16_64 0
		.amdhsa_float_denorm_mode_32 3
		.amdhsa_float_denorm_mode_16_64 3
		.amdhsa_dx10_clamp 1
		.amdhsa_ieee_mode 1
		.amdhsa_fp16_overflow 0
		.amdhsa_exception_fp_ieee_invalid_op 0
		.amdhsa_exception_fp_denorm_src 0
		.amdhsa_exception_fp_ieee_div_zero 0
		.amdhsa_exception_fp_ieee_overflow 0
		.amdhsa_exception_fp_ieee_underflow 0
		.amdhsa_exception_fp_ieee_inexact 0
		.amdhsa_exception_int_div_zero 0
	.end_amdhsa_kernel
	.section	.text._ZN9rocsolver6v33100L23getf2_npvt_small_kernelILi24E19rocblas_complex_numIdEiiPS3_EEvT1_T3_lS5_lPT2_S5_S5_,"axG",@progbits,_ZN9rocsolver6v33100L23getf2_npvt_small_kernelILi24E19rocblas_complex_numIdEiiPS3_EEvT1_T3_lS5_lPT2_S5_S5_,comdat
.Lfunc_end47:
	.size	_ZN9rocsolver6v33100L23getf2_npvt_small_kernelILi24E19rocblas_complex_numIdEiiPS3_EEvT1_T3_lS5_lPT2_S5_S5_, .Lfunc_end47-_ZN9rocsolver6v33100L23getf2_npvt_small_kernelILi24E19rocblas_complex_numIdEiiPS3_EEvT1_T3_lS5_lPT2_S5_S5_
                                        ; -- End function
	.set _ZN9rocsolver6v33100L23getf2_npvt_small_kernelILi24E19rocblas_complex_numIdEiiPS3_EEvT1_T3_lS5_lPT2_S5_S5_.num_vgpr, 128
	.set _ZN9rocsolver6v33100L23getf2_npvt_small_kernelILi24E19rocblas_complex_numIdEiiPS3_EEvT1_T3_lS5_lPT2_S5_S5_.num_agpr, 0
	.set _ZN9rocsolver6v33100L23getf2_npvt_small_kernelILi24E19rocblas_complex_numIdEiiPS3_EEvT1_T3_lS5_lPT2_S5_S5_.numbered_sgpr, 24
	.set _ZN9rocsolver6v33100L23getf2_npvt_small_kernelILi24E19rocblas_complex_numIdEiiPS3_EEvT1_T3_lS5_lPT2_S5_S5_.num_named_barrier, 0
	.set _ZN9rocsolver6v33100L23getf2_npvt_small_kernelILi24E19rocblas_complex_numIdEiiPS3_EEvT1_T3_lS5_lPT2_S5_S5_.private_seg_size, 516
	.set _ZN9rocsolver6v33100L23getf2_npvt_small_kernelILi24E19rocblas_complex_numIdEiiPS3_EEvT1_T3_lS5_lPT2_S5_S5_.uses_vcc, 1
	.set _ZN9rocsolver6v33100L23getf2_npvt_small_kernelILi24E19rocblas_complex_numIdEiiPS3_EEvT1_T3_lS5_lPT2_S5_S5_.uses_flat_scratch, 0
	.set _ZN9rocsolver6v33100L23getf2_npvt_small_kernelILi24E19rocblas_complex_numIdEiiPS3_EEvT1_T3_lS5_lPT2_S5_S5_.has_dyn_sized_stack, 0
	.set _ZN9rocsolver6v33100L23getf2_npvt_small_kernelILi24E19rocblas_complex_numIdEiiPS3_EEvT1_T3_lS5_lPT2_S5_S5_.has_recursion, 0
	.set _ZN9rocsolver6v33100L23getf2_npvt_small_kernelILi24E19rocblas_complex_numIdEiiPS3_EEvT1_T3_lS5_lPT2_S5_S5_.has_indirect_call, 0
	.section	.AMDGPU.csdata,"",@progbits
; Kernel info:
; codeLenInByte = 39500
; TotalNumSgprs: 28
; NumVgprs: 128
; ScratchSize: 516
; MemoryBound: 1
; FloatMode: 240
; IeeeMode: 1
; LDSByteSize: 0 bytes/workgroup (compile time only)
; SGPRBlocks: 3
; VGPRBlocks: 31
; NumSGPRsForWavesPerEU: 28
; NumVGPRsForWavesPerEU: 128
; Occupancy: 2
; WaveLimiterHint : 0
; COMPUTE_PGM_RSRC2:SCRATCH_EN: 1
; COMPUTE_PGM_RSRC2:USER_SGPR: 6
; COMPUTE_PGM_RSRC2:TRAP_HANDLER: 0
; COMPUTE_PGM_RSRC2:TGID_X_EN: 1
; COMPUTE_PGM_RSRC2:TGID_Y_EN: 1
; COMPUTE_PGM_RSRC2:TGID_Z_EN: 0
; COMPUTE_PGM_RSRC2:TIDIG_COMP_CNT: 1
	.section	.text._ZN9rocsolver6v33100L18getf2_small_kernelILi25E19rocblas_complex_numIdEiiPS3_EEvT1_T3_lS5_lPS5_llPT2_S5_S5_S7_l,"axG",@progbits,_ZN9rocsolver6v33100L18getf2_small_kernelILi25E19rocblas_complex_numIdEiiPS3_EEvT1_T3_lS5_lPS5_llPT2_S5_S5_S7_l,comdat
	.globl	_ZN9rocsolver6v33100L18getf2_small_kernelILi25E19rocblas_complex_numIdEiiPS3_EEvT1_T3_lS5_lPS5_llPT2_S5_S5_S7_l ; -- Begin function _ZN9rocsolver6v33100L18getf2_small_kernelILi25E19rocblas_complex_numIdEiiPS3_EEvT1_T3_lS5_lPS5_llPT2_S5_S5_S7_l
	.p2align	8
	.type	_ZN9rocsolver6v33100L18getf2_small_kernelILi25E19rocblas_complex_numIdEiiPS3_EEvT1_T3_lS5_lPS5_llPT2_S5_S5_S7_l,@function
_ZN9rocsolver6v33100L18getf2_small_kernelILi25E19rocblas_complex_numIdEiiPS3_EEvT1_T3_lS5_lPS5_llPT2_S5_S5_S7_l: ; @_ZN9rocsolver6v33100L18getf2_small_kernelILi25E19rocblas_complex_numIdEiiPS3_EEvT1_T3_lS5_lPS5_llPT2_S5_S5_S7_l
; %bb.0:
	s_load_dword s0, s[4:5], 0x6c
	s_load_dwordx2 s[16:17], s[4:5], 0x48
	s_waitcnt lgkmcnt(0)
	s_lshr_b32 s0, s0, 16
	s_mul_i32 s7, s7, s0
	v_add_u32_e32 v106, s7, v1
	v_cmp_gt_i32_e32 vcc, s16, v106
	s_and_saveexec_b64 s[0:1], vcc
	s_cbranch_execz .LBB48_526
; %bb.1:
	s_load_dwordx4 s[0:3], s[4:5], 0x50
	v_mov_b32_e32 v108, 0
	v_ashrrev_i32_e32 v107, 31, v106
	v_mov_b32_e32 v109, 0
	s_waitcnt lgkmcnt(0)
	s_cmp_eq_u64 s[0:1], 0
	s_cselect_b64 s[18:19], -1, 0
	s_and_b64 vcc, exec, s[18:19]
	s_cbranch_vccnz .LBB48_3
; %bb.2:
	v_mul_lo_u32 v4, s3, v106
	v_mul_lo_u32 v5, s2, v107
	v_mad_u64_u32 v[2:3], s[2:3], s2, v106, 0
	v_add3_u32 v3, v3, v5, v4
	v_lshlrev_b64 v[2:3], 2, v[2:3]
	v_mov_b32_e32 v4, s1
	v_add_co_u32_e32 v108, vcc, s0, v2
	v_addc_co_u32_e32 v109, vcc, v4, v3, vcc
.LBB48_3:
	s_load_dwordx8 s[8:15], s[4:5], 0x20
	s_load_dwordx4 s[0:3], s[4:5], 0x8
	v_lshlrev_b32_e32 v112, 4, v0
	s_waitcnt lgkmcnt(0)
	v_mul_lo_u32 v4, s9, v106
	v_mul_lo_u32 v5, s8, v107
	v_mad_u64_u32 v[2:3], s[6:7], s8, v106, 0
	s_load_dword s6, s[4:5], 0x18
	s_load_dword s22, s[4:5], 0x0
	v_mov_b32_e32 v6, s1
	v_add3_u32 v3, v3, v5, v4
	v_lshlrev_b64 v[2:3], 4, v[2:3]
	s_waitcnt lgkmcnt(0)
	s_add_i32 s16, s6, s6
	v_add_co_u32_e32 v2, vcc, s0, v2
	v_addc_co_u32_e32 v3, vcc, v6, v3, vcc
	s_lshl_b64 s[0:1], s[2:3], 4
	v_mov_b32_e32 v4, s1
	v_add_co_u32_e32 v113, vcc, s0, v2
	v_add_u32_e32 v2, s16, v0
	v_addc_co_u32_e32 v114, vcc, v3, v4, vcc
	v_ashrrev_i32_e32 v3, 31, v2
	v_lshlrev_b64 v[3:4], 4, v[2:3]
	v_add_u32_e32 v5, s6, v2
	v_ashrrev_i32_e32 v6, 31, v5
	v_add_co_u32_e32 v3, vcc, v113, v3
	v_lshlrev_b64 v[6:7], 4, v[5:6]
	v_add_u32_e32 v8, s6, v5
	v_addc_co_u32_e32 v4, vcc, v114, v4, vcc
	v_ashrrev_i32_e32 v9, 31, v8
	v_add_co_u32_e32 v6, vcc, v113, v6
	v_lshlrev_b64 v[9:10], 4, v[8:9]
	v_add_u32_e32 v11, s6, v8
	v_addc_co_u32_e32 v7, vcc, v114, v7, vcc
	;; [unrolled: 5-line block ×12, first 2 shown]
	v_ashrrev_i32_e32 v42, 31, v41
	v_add_co_u32_e32 v39, vcc, v113, v39
	v_lshlrev_b64 v[42:43], 4, v[41:42]
	v_addc_co_u32_e32 v40, vcc, v114, v40, vcc
	v_add_u32_e32 v41, s6, v41
	v_add_co_u32_e32 v98, vcc, v113, v42
	v_ashrrev_i32_e32 v42, 31, v41
	v_addc_co_u32_e32 v99, vcc, v114, v43, vcc
	v_lshlrev_b64 v[42:43], 4, v[41:42]
	v_add_u32_e32 v41, s6, v41
	v_add_co_u32_e32 v100, vcc, v113, v42
	v_ashrrev_i32_e32 v42, 31, v41
	v_addc_co_u32_e32 v101, vcc, v114, v43, vcc
	v_lshlrev_b64 v[42:43], 4, v[41:42]
	;; [unrolled: 5-line block ×8, first 2 shown]
	v_add_u32_e32 v41, s6, v41
	v_add_co_u32_e32 v121, vcc, v113, v42
	v_ashrrev_i32_e32 v42, 31, v41
	v_lshlrev_b64 v[41:42], 4, v[41:42]
	v_addc_co_u32_e32 v122, vcc, v114, v43, vcc
	v_add_co_u32_e32 v123, vcc, v113, v41
	v_addc_co_u32_e32 v124, vcc, v114, v42, vcc
	v_add_co_u32_e32 v41, vcc, v113, v112
	s_ashr_i32 s7, s6, 31
	v_addc_co_u32_e32 v42, vcc, 0, v114, vcc
	s_lshl_b64 s[2:3], s[6:7], 4
	v_mov_b32_e32 v2, s3
	v_add_co_u32_e32 v43, vcc, s2, v41
	v_addc_co_u32_e32 v44, vcc, v42, v2, vcc
	global_load_dwordx4 v[94:97], v[41:42], off
	global_load_dwordx4 v[90:93], v[43:44], off
	;; [unrolled: 1-line block ×14, first 2 shown]
	s_nop 0
	global_load_dwordx4 v[38:41], v[39:40], off
	s_nop 0
	global_load_dwordx4 v[34:37], v[98:99], off
	global_load_dwordx4 v[30:33], v[100:101], off
	;; [unrolled: 1-line block ×10, first 2 shown]
	s_max_i32 s0, s22, 25
	v_mul_lo_u32 v110, s0, v1
	s_load_dwordx2 s[4:5], s[4:5], 0x40
	s_cmp_lt_i32 s22, 2
	v_lshl_add_u32 v1, v110, 4, 0
	v_add_u32_e32 v102, v1, v112
	v_lshlrev_b32_e32 v116, 4, v110
	v_mov_b32_e32 v110, 0
	s_waitcnt vmcnt(24)
	ds_write2_b64 v102, v[94:95], v[96:97] offset1:1
	s_waitcnt vmcnt(0) lgkmcnt(0)
	s_barrier
	ds_read2_b64 v[102:105], v1 offset1:1
	s_cbranch_scc1 .LBB48_6
; %bb.4:
	v_add3_u32 v111, v116, 0, 16
	s_mov_b32 s7, 1
	v_mov_b32_e32 v110, 0
.LBB48_5:                               ; =>This Inner Loop Header: Depth=1
	s_waitcnt lgkmcnt(0)
	v_cmp_gt_f64_e32 vcc, 0, v[104:105]
	v_cmp_gt_f64_e64 s[0:1], 0, v[102:103]
	ds_read2_b64 v[117:120], v111 offset1:1
	v_xor_b32_e32 v112, 0x80000000, v103
	v_xor_b32_e32 v115, 0x80000000, v105
	v_mov_b32_e32 v121, v102
	v_mov_b32_e32 v123, v104
	s_waitcnt lgkmcnt(0)
	v_mov_b32_e32 v125, v119
	v_cndmask_b32_e32 v124, v105, v115, vcc
	v_cndmask_b32_e64 v122, v103, v112, s[0:1]
	v_cmp_gt_f64_e32 vcc, 0, v[119:120]
	v_cmp_gt_f64_e64 s[0:1], 0, v[117:118]
	v_xor_b32_e32 v112, 0x80000000, v118
	v_xor_b32_e32 v115, 0x80000000, v120
	v_add_f64 v[121:122], v[121:122], v[123:124]
	v_mov_b32_e32 v123, v117
	v_add_u32_e32 v111, 16, v111
	v_cndmask_b32_e32 v126, v120, v115, vcc
	v_cndmask_b32_e64 v124, v118, v112, s[0:1]
	v_add_f64 v[123:124], v[123:124], v[125:126]
	v_mov_b32_e32 v112, s7
	s_add_i32 s7, s7, 1
	s_cmp_eq_u32 s22, s7
	v_cmp_lt_f64_e32 vcc, v[121:122], v[123:124]
	v_cndmask_b32_e32 v103, v103, v118, vcc
	v_cndmask_b32_e32 v102, v102, v117, vcc
	v_cndmask_b32_e32 v105, v105, v120, vcc
	v_cndmask_b32_e32 v104, v104, v119, vcc
	v_cndmask_b32_e32 v110, v110, v112, vcc
	s_cbranch_scc0 .LBB48_5
.LBB48_6:
	s_waitcnt lgkmcnt(0)
	v_cmp_neq_f64_e32 vcc, 0, v[102:103]
	v_cmp_neq_f64_e64 s[0:1], 0, v[104:105]
	v_mov_b32_e32 v115, 1
	v_mov_b32_e32 v117, 1
	s_or_b64 s[8:9], vcc, s[0:1]
	s_and_saveexec_b64 s[0:1], s[8:9]
	s_cbranch_execz .LBB48_12
; %bb.7:
	v_cmp_ngt_f64_e64 s[8:9], |v[102:103]|, |v[104:105]|
	s_and_saveexec_b64 s[20:21], s[8:9]
	s_xor_b64 s[8:9], exec, s[20:21]
	s_cbranch_execz .LBB48_9
; %bb.8:
	v_div_scale_f64 v[111:112], s[20:21], v[104:105], v[104:105], v[102:103]
	v_rcp_f64_e32 v[117:118], v[111:112]
	v_fma_f64 v[119:120], -v[111:112], v[117:118], 1.0
	v_fma_f64 v[117:118], v[117:118], v[119:120], v[117:118]
	v_div_scale_f64 v[119:120], vcc, v[102:103], v[104:105], v[102:103]
	v_fma_f64 v[121:122], -v[111:112], v[117:118], 1.0
	v_fma_f64 v[117:118], v[117:118], v[121:122], v[117:118]
	v_mul_f64 v[121:122], v[119:120], v[117:118]
	v_fma_f64 v[111:112], -v[111:112], v[121:122], v[119:120]
	v_div_fmas_f64 v[111:112], v[111:112], v[117:118], v[121:122]
	v_div_fixup_f64 v[111:112], v[111:112], v[104:105], v[102:103]
	v_fma_f64 v[102:103], v[102:103], v[111:112], v[104:105]
	v_div_scale_f64 v[104:105], s[20:21], v[102:103], v[102:103], 1.0
	v_div_scale_f64 v[121:122], vcc, 1.0, v[102:103], 1.0
	v_rcp_f64_e32 v[117:118], v[104:105]
	v_fma_f64 v[119:120], -v[104:105], v[117:118], 1.0
	v_fma_f64 v[117:118], v[117:118], v[119:120], v[117:118]
	v_fma_f64 v[119:120], -v[104:105], v[117:118], 1.0
	v_fma_f64 v[117:118], v[117:118], v[119:120], v[117:118]
	v_mul_f64 v[119:120], v[121:122], v[117:118]
	v_fma_f64 v[104:105], -v[104:105], v[119:120], v[121:122]
	v_div_fmas_f64 v[104:105], v[104:105], v[117:118], v[119:120]
	v_div_fixup_f64 v[104:105], v[104:105], v[102:103], 1.0
	v_mul_f64 v[102:103], v[111:112], v[104:105]
	v_xor_b32_e32 v105, 0x80000000, v105
.LBB48_9:
	s_andn2_saveexec_b64 s[8:9], s[8:9]
	s_cbranch_execz .LBB48_11
; %bb.10:
	v_div_scale_f64 v[111:112], s[20:21], v[102:103], v[102:103], v[104:105]
	v_rcp_f64_e32 v[117:118], v[111:112]
	v_fma_f64 v[119:120], -v[111:112], v[117:118], 1.0
	v_fma_f64 v[117:118], v[117:118], v[119:120], v[117:118]
	v_div_scale_f64 v[119:120], vcc, v[104:105], v[102:103], v[104:105]
	v_fma_f64 v[121:122], -v[111:112], v[117:118], 1.0
	v_fma_f64 v[117:118], v[117:118], v[121:122], v[117:118]
	v_mul_f64 v[121:122], v[119:120], v[117:118]
	v_fma_f64 v[111:112], -v[111:112], v[121:122], v[119:120]
	v_div_fmas_f64 v[111:112], v[111:112], v[117:118], v[121:122]
	v_div_fixup_f64 v[111:112], v[111:112], v[102:103], v[104:105]
	v_fma_f64 v[102:103], v[104:105], v[111:112], v[102:103]
	v_div_scale_f64 v[104:105], s[20:21], v[102:103], v[102:103], 1.0
	v_div_scale_f64 v[121:122], vcc, 1.0, v[102:103], 1.0
	v_rcp_f64_e32 v[117:118], v[104:105]
	v_fma_f64 v[119:120], -v[104:105], v[117:118], 1.0
	v_fma_f64 v[117:118], v[117:118], v[119:120], v[117:118]
	v_fma_f64 v[119:120], -v[104:105], v[117:118], 1.0
	v_fma_f64 v[117:118], v[117:118], v[119:120], v[117:118]
	v_mul_f64 v[119:120], v[121:122], v[117:118]
	v_fma_f64 v[104:105], -v[104:105], v[119:120], v[121:122]
	v_div_fmas_f64 v[104:105], v[104:105], v[117:118], v[119:120]
	v_div_fixup_f64 v[102:103], v[104:105], v[102:103], 1.0
	v_mul_f64 v[104:105], v[111:112], -v[102:103]
.LBB48_11:
	s_or_b64 exec, exec, s[8:9]
	v_mov_b32_e32 v117, 0
	v_mov_b32_e32 v115, 2
.LBB48_12:
	s_or_b64 exec, exec, s[0:1]
	v_cmp_ne_u32_e32 vcc, v0, v110
	s_and_saveexec_b64 s[0:1], vcc
	s_xor_b64 s[0:1], exec, s[0:1]
	s_cbranch_execz .LBB48_18
; %bb.13:
	v_cmp_eq_u32_e32 vcc, 0, v0
	s_and_saveexec_b64 s[8:9], vcc
	s_cbranch_execz .LBB48_17
; %bb.14:
	v_cmp_ne_u32_e32 vcc, 0, v110
	s_xor_b64 s[20:21], s[18:19], -1
	s_and_b64 s[24:25], s[20:21], vcc
	s_and_saveexec_b64 s[20:21], s[24:25]
	s_cbranch_execz .LBB48_16
; %bb.15:
	v_ashrrev_i32_e32 v111, 31, v110
	v_lshlrev_b64 v[111:112], 2, v[110:111]
	v_add_co_u32_e32 v111, vcc, v108, v111
	v_addc_co_u32_e32 v112, vcc, v109, v112, vcc
	global_load_dword v0, v[111:112], off
	global_load_dword v118, v[108:109], off
	s_waitcnt vmcnt(1)
	global_store_dword v[108:109], v0, off
	s_waitcnt vmcnt(1)
	global_store_dword v[111:112], v118, off
.LBB48_16:
	s_or_b64 exec, exec, s[20:21]
	v_mov_b32_e32 v0, v110
.LBB48_17:
	s_or_b64 exec, exec, s[8:9]
.LBB48_18:
	s_or_saveexec_b64 s[0:1], s[0:1]
	v_mov_b32_e32 v112, v0
	s_xor_b64 exec, exec, s[0:1]
	s_cbranch_execz .LBB48_20
; %bb.19:
	v_mov_b32_e32 v112, 0
	ds_write2_b64 v1, v[90:91], v[92:93] offset0:2 offset1:3
	ds_write2_b64 v1, v[86:87], v[88:89] offset0:4 offset1:5
	;; [unrolled: 1-line block ×24, first 2 shown]
.LBB48_20:
	s_or_b64 exec, exec, s[0:1]
	v_cmp_lt_i32_e32 vcc, 0, v112
	s_waitcnt vmcnt(0) lgkmcnt(0)
	s_barrier
	s_and_saveexec_b64 s[0:1], vcc
	s_cbranch_execz .LBB48_22
; %bb.21:
	v_mul_f64 v[110:111], v[104:105], v[96:97]
	v_mul_f64 v[96:97], v[102:103], v[96:97]
	v_fma_f64 v[110:111], v[102:103], v[94:95], -v[110:111]
	v_fma_f64 v[96:97], v[104:105], v[94:95], v[96:97]
	ds_read2_b64 v[102:105], v1 offset0:2 offset1:3
	s_waitcnt lgkmcnt(0)
	v_mul_f64 v[94:95], v[104:105], v[96:97]
	v_fma_f64 v[94:95], v[102:103], v[110:111], -v[94:95]
	v_mul_f64 v[102:103], v[102:103], v[96:97]
	v_add_f64 v[90:91], v[90:91], -v[94:95]
	v_fma_f64 v[102:103], v[104:105], v[110:111], v[102:103]
	v_add_f64 v[92:93], v[92:93], -v[102:103]
	ds_read2_b64 v[102:105], v1 offset0:4 offset1:5
	s_waitcnt lgkmcnt(0)
	v_mul_f64 v[94:95], v[104:105], v[96:97]
	v_fma_f64 v[94:95], v[102:103], v[110:111], -v[94:95]
	v_mul_f64 v[102:103], v[102:103], v[96:97]
	v_add_f64 v[86:87], v[86:87], -v[94:95]
	v_fma_f64 v[102:103], v[104:105], v[110:111], v[102:103]
	v_add_f64 v[88:89], v[88:89], -v[102:103]
	;; [unrolled: 8-line block ×23, first 2 shown]
	ds_read2_b64 v[102:105], v1 offset0:48 offset1:49
	s_waitcnt lgkmcnt(0)
	v_mul_f64 v[94:95], v[104:105], v[96:97]
	v_fma_f64 v[94:95], v[102:103], v[110:111], -v[94:95]
	v_mul_f64 v[102:103], v[102:103], v[96:97]
	v_add_f64 v[98:99], v[98:99], -v[94:95]
	v_fma_f64 v[102:103], v[104:105], v[110:111], v[102:103]
	v_mov_b32_e32 v94, v110
	v_mov_b32_e32 v95, v111
	v_add_f64 v[100:101], v[100:101], -v[102:103]
.LBB48_22:
	s_or_b64 exec, exec, s[0:1]
	v_lshl_add_u32 v102, v112, 4, v1
	s_barrier
	ds_write2_b64 v102, v[90:91], v[92:93] offset1:1
	s_waitcnt lgkmcnt(0)
	s_barrier
	ds_read2_b64 v[102:105], v1 offset0:2 offset1:3
	s_cmp_lt_i32 s22, 3
	v_mov_b32_e32 v110, 1
	s_cbranch_scc1 .LBB48_25
; %bb.23:
	v_add3_u32 v111, v116, 0, 32
	s_mov_b32 s0, 2
	v_mov_b32_e32 v110, 1
.LBB48_24:                              ; =>This Inner Loop Header: Depth=1
	s_waitcnt lgkmcnt(0)
	v_cmp_gt_f64_e32 vcc, 0, v[102:103]
	v_xor_b32_e32 v122, 0x80000000, v103
	ds_read2_b64 v[118:121], v111 offset1:1
	v_xor_b32_e32 v124, 0x80000000, v105
	v_add_u32_e32 v111, 16, v111
	s_waitcnt lgkmcnt(0)
	v_xor_b32_e32 v126, 0x80000000, v121
	v_cndmask_b32_e32 v123, v103, v122, vcc
	v_cmp_gt_f64_e32 vcc, 0, v[104:105]
	v_mov_b32_e32 v122, v102
	v_cndmask_b32_e32 v125, v105, v124, vcc
	v_cmp_gt_f64_e32 vcc, 0, v[118:119]
	v_mov_b32_e32 v124, v104
	v_add_f64 v[122:123], v[122:123], v[124:125]
	v_xor_b32_e32 v124, 0x80000000, v119
	v_cndmask_b32_e32 v125, v119, v124, vcc
	v_cmp_gt_f64_e32 vcc, 0, v[120:121]
	v_mov_b32_e32 v124, v118
	v_cndmask_b32_e32 v127, v121, v126, vcc
	v_mov_b32_e32 v126, v120
	v_add_f64 v[124:125], v[124:125], v[126:127]
	v_cmp_lt_f64_e32 vcc, v[122:123], v[124:125]
	v_cndmask_b32_e32 v102, v102, v118, vcc
	v_mov_b32_e32 v118, s0
	s_add_i32 s0, s0, 1
	v_cndmask_b32_e32 v103, v103, v119, vcc
	v_cndmask_b32_e32 v105, v105, v121, vcc
	;; [unrolled: 1-line block ×4, first 2 shown]
	s_cmp_lg_u32 s22, s0
	s_cbranch_scc1 .LBB48_24
.LBB48_25:
	s_waitcnt lgkmcnt(0)
	v_cmp_neq_f64_e32 vcc, 0, v[102:103]
	v_cmp_neq_f64_e64 s[0:1], 0, v[104:105]
	s_or_b64 s[8:9], vcc, s[0:1]
	s_and_saveexec_b64 s[0:1], s[8:9]
	s_cbranch_execz .LBB48_31
; %bb.26:
	v_cmp_ngt_f64_e64 s[8:9], |v[102:103]|, |v[104:105]|
	s_and_saveexec_b64 s[20:21], s[8:9]
	s_xor_b64 s[8:9], exec, s[20:21]
	s_cbranch_execz .LBB48_28
; %bb.27:
	v_div_scale_f64 v[118:119], s[20:21], v[104:105], v[104:105], v[102:103]
	v_rcp_f64_e32 v[120:121], v[118:119]
	v_fma_f64 v[122:123], -v[118:119], v[120:121], 1.0
	v_fma_f64 v[120:121], v[120:121], v[122:123], v[120:121]
	v_div_scale_f64 v[122:123], vcc, v[102:103], v[104:105], v[102:103]
	v_fma_f64 v[124:125], -v[118:119], v[120:121], 1.0
	v_fma_f64 v[120:121], v[120:121], v[124:125], v[120:121]
	v_mul_f64 v[124:125], v[122:123], v[120:121]
	v_fma_f64 v[118:119], -v[118:119], v[124:125], v[122:123]
	v_div_fmas_f64 v[118:119], v[118:119], v[120:121], v[124:125]
	v_div_fixup_f64 v[118:119], v[118:119], v[104:105], v[102:103]
	v_fma_f64 v[102:103], v[102:103], v[118:119], v[104:105]
	v_div_scale_f64 v[104:105], s[20:21], v[102:103], v[102:103], 1.0
	v_div_scale_f64 v[124:125], vcc, 1.0, v[102:103], 1.0
	v_rcp_f64_e32 v[120:121], v[104:105]
	v_fma_f64 v[122:123], -v[104:105], v[120:121], 1.0
	v_fma_f64 v[120:121], v[120:121], v[122:123], v[120:121]
	v_fma_f64 v[122:123], -v[104:105], v[120:121], 1.0
	v_fma_f64 v[120:121], v[120:121], v[122:123], v[120:121]
	v_mul_f64 v[122:123], v[124:125], v[120:121]
	v_fma_f64 v[104:105], -v[104:105], v[122:123], v[124:125]
	v_div_fmas_f64 v[104:105], v[104:105], v[120:121], v[122:123]
	v_div_fixup_f64 v[104:105], v[104:105], v[102:103], 1.0
	v_mul_f64 v[102:103], v[118:119], v[104:105]
	v_xor_b32_e32 v105, 0x80000000, v105
.LBB48_28:
	s_andn2_saveexec_b64 s[8:9], s[8:9]
	s_cbranch_execz .LBB48_30
; %bb.29:
	v_div_scale_f64 v[118:119], s[20:21], v[102:103], v[102:103], v[104:105]
	v_rcp_f64_e32 v[120:121], v[118:119]
	v_fma_f64 v[122:123], -v[118:119], v[120:121], 1.0
	v_fma_f64 v[120:121], v[120:121], v[122:123], v[120:121]
	v_div_scale_f64 v[122:123], vcc, v[104:105], v[102:103], v[104:105]
	v_fma_f64 v[124:125], -v[118:119], v[120:121], 1.0
	v_fma_f64 v[120:121], v[120:121], v[124:125], v[120:121]
	v_mul_f64 v[124:125], v[122:123], v[120:121]
	v_fma_f64 v[118:119], -v[118:119], v[124:125], v[122:123]
	v_div_fmas_f64 v[118:119], v[118:119], v[120:121], v[124:125]
	v_div_fixup_f64 v[118:119], v[118:119], v[102:103], v[104:105]
	v_fma_f64 v[102:103], v[104:105], v[118:119], v[102:103]
	v_div_scale_f64 v[104:105], s[20:21], v[102:103], v[102:103], 1.0
	v_div_scale_f64 v[124:125], vcc, 1.0, v[102:103], 1.0
	v_rcp_f64_e32 v[120:121], v[104:105]
	v_fma_f64 v[122:123], -v[104:105], v[120:121], 1.0
	v_fma_f64 v[120:121], v[120:121], v[122:123], v[120:121]
	v_fma_f64 v[122:123], -v[104:105], v[120:121], 1.0
	v_fma_f64 v[120:121], v[120:121], v[122:123], v[120:121]
	v_mul_f64 v[122:123], v[124:125], v[120:121]
	v_fma_f64 v[104:105], -v[104:105], v[122:123], v[124:125]
	v_div_fmas_f64 v[104:105], v[104:105], v[120:121], v[122:123]
	v_div_fixup_f64 v[102:103], v[104:105], v[102:103], 1.0
	v_mul_f64 v[104:105], v[118:119], -v[102:103]
.LBB48_30:
	s_or_b64 exec, exec, s[8:9]
	v_mov_b32_e32 v115, v117
.LBB48_31:
	s_or_b64 exec, exec, s[0:1]
	v_cmp_ne_u32_e32 vcc, v112, v110
	s_and_saveexec_b64 s[0:1], vcc
	s_xor_b64 s[0:1], exec, s[0:1]
	s_cbranch_execz .LBB48_37
; %bb.32:
	v_cmp_eq_u32_e32 vcc, 1, v112
	s_and_saveexec_b64 s[8:9], vcc
	s_cbranch_execz .LBB48_36
; %bb.33:
	v_cmp_ne_u32_e32 vcc, 1, v110
	s_xor_b64 s[20:21], s[18:19], -1
	s_and_b64 s[24:25], s[20:21], vcc
	s_and_saveexec_b64 s[20:21], s[24:25]
	s_cbranch_execz .LBB48_35
; %bb.34:
	v_ashrrev_i32_e32 v111, 31, v110
	v_lshlrev_b64 v[111:112], 2, v[110:111]
	v_add_co_u32_e32 v111, vcc, v108, v111
	v_addc_co_u32_e32 v112, vcc, v109, v112, vcc
	global_load_dword v0, v[111:112], off
	global_load_dword v117, v[108:109], off offset:4
	s_waitcnt vmcnt(1)
	global_store_dword v[108:109], v0, off offset:4
	s_waitcnt vmcnt(1)
	global_store_dword v[111:112], v117, off
.LBB48_35:
	s_or_b64 exec, exec, s[20:21]
	v_mov_b32_e32 v112, v110
	v_mov_b32_e32 v0, v110
.LBB48_36:
	s_or_b64 exec, exec, s[8:9]
.LBB48_37:
	s_andn2_saveexec_b64 s[0:1], s[0:1]
	s_cbranch_execz .LBB48_39
; %bb.38:
	v_mov_b32_e32 v112, 1
	ds_write2_b64 v1, v[86:87], v[88:89] offset0:4 offset1:5
	ds_write2_b64 v1, v[82:83], v[84:85] offset0:6 offset1:7
	;; [unrolled: 1-line block ×23, first 2 shown]
.LBB48_39:
	s_or_b64 exec, exec, s[0:1]
	v_cmp_lt_i32_e32 vcc, 1, v112
	s_waitcnt vmcnt(0) lgkmcnt(0)
	s_barrier
	s_and_saveexec_b64 s[0:1], vcc
	s_cbranch_execz .LBB48_41
; %bb.40:
	v_mul_f64 v[110:111], v[104:105], v[92:93]
	v_mul_f64 v[92:93], v[102:103], v[92:93]
	v_fma_f64 v[110:111], v[102:103], v[90:91], -v[110:111]
	v_fma_f64 v[92:93], v[104:105], v[90:91], v[92:93]
	ds_read2_b64 v[102:105], v1 offset0:4 offset1:5
	s_waitcnt lgkmcnt(0)
	v_mul_f64 v[90:91], v[104:105], v[92:93]
	v_fma_f64 v[90:91], v[102:103], v[110:111], -v[90:91]
	v_mul_f64 v[102:103], v[102:103], v[92:93]
	v_add_f64 v[86:87], v[86:87], -v[90:91]
	v_fma_f64 v[102:103], v[104:105], v[110:111], v[102:103]
	v_add_f64 v[88:89], v[88:89], -v[102:103]
	ds_read2_b64 v[102:105], v1 offset0:6 offset1:7
	s_waitcnt lgkmcnt(0)
	v_mul_f64 v[90:91], v[104:105], v[92:93]
	v_fma_f64 v[90:91], v[102:103], v[110:111], -v[90:91]
	v_mul_f64 v[102:103], v[102:103], v[92:93]
	v_add_f64 v[82:83], v[82:83], -v[90:91]
	v_fma_f64 v[102:103], v[104:105], v[110:111], v[102:103]
	v_add_f64 v[84:85], v[84:85], -v[102:103]
	;; [unrolled: 8-line block ×22, first 2 shown]
	ds_read2_b64 v[102:105], v1 offset0:48 offset1:49
	s_waitcnt lgkmcnt(0)
	v_mul_f64 v[90:91], v[104:105], v[92:93]
	v_fma_f64 v[90:91], v[102:103], v[110:111], -v[90:91]
	v_mul_f64 v[102:103], v[102:103], v[92:93]
	v_add_f64 v[98:99], v[98:99], -v[90:91]
	v_fma_f64 v[102:103], v[104:105], v[110:111], v[102:103]
	v_mov_b32_e32 v90, v110
	v_mov_b32_e32 v91, v111
	v_add_f64 v[100:101], v[100:101], -v[102:103]
.LBB48_41:
	s_or_b64 exec, exec, s[0:1]
	v_lshl_add_u32 v102, v112, 4, v1
	s_barrier
	ds_write2_b64 v102, v[86:87], v[88:89] offset1:1
	s_waitcnt lgkmcnt(0)
	s_barrier
	ds_read2_b64 v[102:105], v1 offset0:4 offset1:5
	s_cmp_lt_i32 s22, 4
	v_mov_b32_e32 v110, 2
	s_cbranch_scc1 .LBB48_44
; %bb.42:
	v_add3_u32 v111, v116, 0, 48
	s_mov_b32 s0, 3
	v_mov_b32_e32 v110, 2
.LBB48_43:                              ; =>This Inner Loop Header: Depth=1
	s_waitcnt lgkmcnt(0)
	v_cmp_gt_f64_e32 vcc, 0, v[102:103]
	v_xor_b32_e32 v121, 0x80000000, v103
	ds_read2_b64 v[117:120], v111 offset1:1
	v_xor_b32_e32 v123, 0x80000000, v105
	v_add_u32_e32 v111, 16, v111
	s_waitcnt lgkmcnt(0)
	v_xor_b32_e32 v125, 0x80000000, v120
	v_cndmask_b32_e32 v122, v103, v121, vcc
	v_cmp_gt_f64_e32 vcc, 0, v[104:105]
	v_mov_b32_e32 v121, v102
	v_cndmask_b32_e32 v124, v105, v123, vcc
	v_cmp_gt_f64_e32 vcc, 0, v[117:118]
	v_mov_b32_e32 v123, v104
	v_add_f64 v[121:122], v[121:122], v[123:124]
	v_xor_b32_e32 v123, 0x80000000, v118
	v_cndmask_b32_e32 v124, v118, v123, vcc
	v_cmp_gt_f64_e32 vcc, 0, v[119:120]
	v_mov_b32_e32 v123, v117
	v_cndmask_b32_e32 v126, v120, v125, vcc
	v_mov_b32_e32 v125, v119
	v_add_f64 v[123:124], v[123:124], v[125:126]
	v_cmp_lt_f64_e32 vcc, v[121:122], v[123:124]
	v_cndmask_b32_e32 v102, v102, v117, vcc
	v_mov_b32_e32 v117, s0
	s_add_i32 s0, s0, 1
	v_cndmask_b32_e32 v103, v103, v118, vcc
	v_cndmask_b32_e32 v105, v105, v120, vcc
	;; [unrolled: 1-line block ×4, first 2 shown]
	s_cmp_lg_u32 s22, s0
	s_cbranch_scc1 .LBB48_43
.LBB48_44:
	s_waitcnt lgkmcnt(0)
	v_cmp_eq_f64_e32 vcc, 0, v[102:103]
	v_cmp_eq_f64_e64 s[0:1], 0, v[104:105]
	s_and_b64 s[0:1], vcc, s[0:1]
	s_and_saveexec_b64 s[8:9], s[0:1]
	s_xor_b64 s[0:1], exec, s[8:9]
; %bb.45:
	v_cmp_ne_u32_e32 vcc, 0, v115
	v_cndmask_b32_e32 v115, 3, v115, vcc
; %bb.46:
	s_andn2_saveexec_b64 s[0:1], s[0:1]
	s_cbranch_execz .LBB48_52
; %bb.47:
	v_cmp_ngt_f64_e64 s[8:9], |v[102:103]|, |v[104:105]|
	s_and_saveexec_b64 s[20:21], s[8:9]
	s_xor_b64 s[8:9], exec, s[20:21]
	s_cbranch_execz .LBB48_49
; %bb.48:
	v_div_scale_f64 v[117:118], s[20:21], v[104:105], v[104:105], v[102:103]
	v_rcp_f64_e32 v[119:120], v[117:118]
	v_fma_f64 v[121:122], -v[117:118], v[119:120], 1.0
	v_fma_f64 v[119:120], v[119:120], v[121:122], v[119:120]
	v_div_scale_f64 v[121:122], vcc, v[102:103], v[104:105], v[102:103]
	v_fma_f64 v[123:124], -v[117:118], v[119:120], 1.0
	v_fma_f64 v[119:120], v[119:120], v[123:124], v[119:120]
	v_mul_f64 v[123:124], v[121:122], v[119:120]
	v_fma_f64 v[117:118], -v[117:118], v[123:124], v[121:122]
	v_div_fmas_f64 v[117:118], v[117:118], v[119:120], v[123:124]
	v_div_fixup_f64 v[117:118], v[117:118], v[104:105], v[102:103]
	v_fma_f64 v[102:103], v[102:103], v[117:118], v[104:105]
	v_div_scale_f64 v[104:105], s[20:21], v[102:103], v[102:103], 1.0
	v_div_scale_f64 v[123:124], vcc, 1.0, v[102:103], 1.0
	v_rcp_f64_e32 v[119:120], v[104:105]
	v_fma_f64 v[121:122], -v[104:105], v[119:120], 1.0
	v_fma_f64 v[119:120], v[119:120], v[121:122], v[119:120]
	v_fma_f64 v[121:122], -v[104:105], v[119:120], 1.0
	v_fma_f64 v[119:120], v[119:120], v[121:122], v[119:120]
	v_mul_f64 v[121:122], v[123:124], v[119:120]
	v_fma_f64 v[104:105], -v[104:105], v[121:122], v[123:124]
	v_div_fmas_f64 v[104:105], v[104:105], v[119:120], v[121:122]
	v_div_fixup_f64 v[104:105], v[104:105], v[102:103], 1.0
	v_mul_f64 v[102:103], v[117:118], v[104:105]
	v_xor_b32_e32 v105, 0x80000000, v105
.LBB48_49:
	s_andn2_saveexec_b64 s[8:9], s[8:9]
	s_cbranch_execz .LBB48_51
; %bb.50:
	v_div_scale_f64 v[117:118], s[20:21], v[102:103], v[102:103], v[104:105]
	v_rcp_f64_e32 v[119:120], v[117:118]
	v_fma_f64 v[121:122], -v[117:118], v[119:120], 1.0
	v_fma_f64 v[119:120], v[119:120], v[121:122], v[119:120]
	v_div_scale_f64 v[121:122], vcc, v[104:105], v[102:103], v[104:105]
	v_fma_f64 v[123:124], -v[117:118], v[119:120], 1.0
	v_fma_f64 v[119:120], v[119:120], v[123:124], v[119:120]
	v_mul_f64 v[123:124], v[121:122], v[119:120]
	v_fma_f64 v[117:118], -v[117:118], v[123:124], v[121:122]
	v_div_fmas_f64 v[117:118], v[117:118], v[119:120], v[123:124]
	v_div_fixup_f64 v[117:118], v[117:118], v[102:103], v[104:105]
	v_fma_f64 v[102:103], v[104:105], v[117:118], v[102:103]
	v_div_scale_f64 v[104:105], s[20:21], v[102:103], v[102:103], 1.0
	v_div_scale_f64 v[123:124], vcc, 1.0, v[102:103], 1.0
	v_rcp_f64_e32 v[119:120], v[104:105]
	v_fma_f64 v[121:122], -v[104:105], v[119:120], 1.0
	v_fma_f64 v[119:120], v[119:120], v[121:122], v[119:120]
	v_fma_f64 v[121:122], -v[104:105], v[119:120], 1.0
	v_fma_f64 v[119:120], v[119:120], v[121:122], v[119:120]
	v_mul_f64 v[121:122], v[123:124], v[119:120]
	v_fma_f64 v[104:105], -v[104:105], v[121:122], v[123:124]
	v_div_fmas_f64 v[104:105], v[104:105], v[119:120], v[121:122]
	v_div_fixup_f64 v[102:103], v[104:105], v[102:103], 1.0
	v_mul_f64 v[104:105], v[117:118], -v[102:103]
.LBB48_51:
	s_or_b64 exec, exec, s[8:9]
.LBB48_52:
	s_or_b64 exec, exec, s[0:1]
	v_cmp_ne_u32_e32 vcc, v112, v110
	s_and_saveexec_b64 s[0:1], vcc
	s_xor_b64 s[0:1], exec, s[0:1]
	s_cbranch_execz .LBB48_58
; %bb.53:
	v_cmp_eq_u32_e32 vcc, 2, v112
	s_and_saveexec_b64 s[8:9], vcc
	s_cbranch_execz .LBB48_57
; %bb.54:
	v_cmp_ne_u32_e32 vcc, 2, v110
	s_xor_b64 s[20:21], s[18:19], -1
	s_and_b64 s[24:25], s[20:21], vcc
	s_and_saveexec_b64 s[20:21], s[24:25]
	s_cbranch_execz .LBB48_56
; %bb.55:
	v_ashrrev_i32_e32 v111, 31, v110
	v_lshlrev_b64 v[111:112], 2, v[110:111]
	v_add_co_u32_e32 v111, vcc, v108, v111
	v_addc_co_u32_e32 v112, vcc, v109, v112, vcc
	global_load_dword v0, v[111:112], off
	global_load_dword v117, v[108:109], off offset:8
	s_waitcnt vmcnt(1)
	global_store_dword v[108:109], v0, off offset:8
	s_waitcnt vmcnt(1)
	global_store_dword v[111:112], v117, off
.LBB48_56:
	s_or_b64 exec, exec, s[20:21]
	v_mov_b32_e32 v112, v110
	v_mov_b32_e32 v0, v110
.LBB48_57:
	s_or_b64 exec, exec, s[8:9]
.LBB48_58:
	s_andn2_saveexec_b64 s[0:1], s[0:1]
	s_cbranch_execz .LBB48_60
; %bb.59:
	v_mov_b32_e32 v112, 2
	ds_write2_b64 v1, v[82:83], v[84:85] offset0:6 offset1:7
	ds_write2_b64 v1, v[78:79], v[80:81] offset0:8 offset1:9
	ds_write2_b64 v1, v[74:75], v[76:77] offset0:10 offset1:11
	ds_write2_b64 v1, v[70:71], v[72:73] offset0:12 offset1:13
	ds_write2_b64 v1, v[66:67], v[68:69] offset0:14 offset1:15
	ds_write2_b64 v1, v[62:63], v[64:65] offset0:16 offset1:17
	ds_write2_b64 v1, v[58:59], v[60:61] offset0:18 offset1:19
	ds_write2_b64 v1, v[54:55], v[56:57] offset0:20 offset1:21
	ds_write2_b64 v1, v[50:51], v[52:53] offset0:22 offset1:23
	ds_write2_b64 v1, v[46:47], v[48:49] offset0:24 offset1:25
	ds_write2_b64 v1, v[42:43], v[44:45] offset0:26 offset1:27
	ds_write2_b64 v1, v[38:39], v[40:41] offset0:28 offset1:29
	ds_write2_b64 v1, v[34:35], v[36:37] offset0:30 offset1:31
	ds_write2_b64 v1, v[30:31], v[32:33] offset0:32 offset1:33
	ds_write2_b64 v1, v[26:27], v[28:29] offset0:34 offset1:35
	ds_write2_b64 v1, v[22:23], v[24:25] offset0:36 offset1:37
	ds_write2_b64 v1, v[18:19], v[20:21] offset0:38 offset1:39
	ds_write2_b64 v1, v[14:15], v[16:17] offset0:40 offset1:41
	ds_write2_b64 v1, v[10:11], v[12:13] offset0:42 offset1:43
	ds_write2_b64 v1, v[6:7], v[8:9] offset0:44 offset1:45
	ds_write2_b64 v1, v[2:3], v[4:5] offset0:46 offset1:47
	ds_write2_b64 v1, v[98:99], v[100:101] offset0:48 offset1:49
.LBB48_60:
	s_or_b64 exec, exec, s[0:1]
	v_cmp_lt_i32_e32 vcc, 2, v112
	s_waitcnt vmcnt(0) lgkmcnt(0)
	s_barrier
	s_and_saveexec_b64 s[0:1], vcc
	s_cbranch_execz .LBB48_62
; %bb.61:
	v_mul_f64 v[110:111], v[104:105], v[88:89]
	v_mul_f64 v[88:89], v[102:103], v[88:89]
	v_fma_f64 v[110:111], v[102:103], v[86:87], -v[110:111]
	v_fma_f64 v[88:89], v[104:105], v[86:87], v[88:89]
	ds_read2_b64 v[102:105], v1 offset0:6 offset1:7
	s_waitcnt lgkmcnt(0)
	v_mul_f64 v[86:87], v[104:105], v[88:89]
	v_fma_f64 v[86:87], v[102:103], v[110:111], -v[86:87]
	v_mul_f64 v[102:103], v[102:103], v[88:89]
	v_add_f64 v[82:83], v[82:83], -v[86:87]
	v_fma_f64 v[102:103], v[104:105], v[110:111], v[102:103]
	v_add_f64 v[84:85], v[84:85], -v[102:103]
	ds_read2_b64 v[102:105], v1 offset0:8 offset1:9
	s_waitcnt lgkmcnt(0)
	v_mul_f64 v[86:87], v[104:105], v[88:89]
	v_fma_f64 v[86:87], v[102:103], v[110:111], -v[86:87]
	v_mul_f64 v[102:103], v[102:103], v[88:89]
	v_add_f64 v[78:79], v[78:79], -v[86:87]
	v_fma_f64 v[102:103], v[104:105], v[110:111], v[102:103]
	v_add_f64 v[80:81], v[80:81], -v[102:103]
	;; [unrolled: 8-line block ×21, first 2 shown]
	ds_read2_b64 v[102:105], v1 offset0:48 offset1:49
	s_waitcnt lgkmcnt(0)
	v_mul_f64 v[86:87], v[104:105], v[88:89]
	v_fma_f64 v[86:87], v[102:103], v[110:111], -v[86:87]
	v_mul_f64 v[102:103], v[102:103], v[88:89]
	v_add_f64 v[98:99], v[98:99], -v[86:87]
	v_fma_f64 v[102:103], v[104:105], v[110:111], v[102:103]
	v_mov_b32_e32 v86, v110
	v_mov_b32_e32 v87, v111
	v_add_f64 v[100:101], v[100:101], -v[102:103]
.LBB48_62:
	s_or_b64 exec, exec, s[0:1]
	v_lshl_add_u32 v102, v112, 4, v1
	s_barrier
	ds_write2_b64 v102, v[82:83], v[84:85] offset1:1
	s_waitcnt lgkmcnt(0)
	s_barrier
	ds_read2_b64 v[102:105], v1 offset0:6 offset1:7
	s_mov_b32 s7, 4
	s_cmp_lt_i32 s22, 5
	v_mov_b32_e32 v110, 3
	s_cbranch_scc1 .LBB48_65
; %bb.63:
	v_add3_u32 v111, v116, 0, 64
	v_mov_b32_e32 v110, 3
.LBB48_64:                              ; =>This Inner Loop Header: Depth=1
	s_waitcnt lgkmcnt(0)
	v_cmp_gt_f64_e32 vcc, 0, v[104:105]
	v_cmp_gt_f64_e64 s[0:1], 0, v[102:103]
	ds_read2_b64 v[116:119], v111 offset1:1
	v_xor_b32_e32 v121, 0x80000000, v103
	v_xor_b32_e32 v123, 0x80000000, v105
	v_mov_b32_e32 v120, v102
	v_mov_b32_e32 v122, v104
	s_waitcnt lgkmcnt(0)
	v_xor_b32_e32 v125, 0x80000000, v119
	v_cndmask_b32_e32 v123, v105, v123, vcc
	v_cndmask_b32_e64 v121, v103, v121, s[0:1]
	v_cmp_gt_f64_e32 vcc, 0, v[118:119]
	v_cmp_gt_f64_e64 s[0:1], 0, v[116:117]
	v_add_f64 v[120:121], v[120:121], v[122:123]
	v_xor_b32_e32 v123, 0x80000000, v117
	v_mov_b32_e32 v122, v116
	v_mov_b32_e32 v124, v118
	v_add_u32_e32 v111, 16, v111
	v_cndmask_b32_e32 v125, v119, v125, vcc
	v_cndmask_b32_e64 v123, v117, v123, s[0:1]
	v_add_f64 v[122:123], v[122:123], v[124:125]
	v_mov_b32_e32 v124, s7
	s_add_i32 s7, s7, 1
	s_cmp_lg_u32 s22, s7
	v_cmp_lt_f64_e32 vcc, v[120:121], v[122:123]
	v_cndmask_b32_e32 v103, v103, v117, vcc
	v_cndmask_b32_e32 v102, v102, v116, vcc
	;; [unrolled: 1-line block ×5, first 2 shown]
	s_cbranch_scc1 .LBB48_64
.LBB48_65:
	s_waitcnt lgkmcnt(0)
	v_cmp_eq_f64_e32 vcc, 0, v[102:103]
	v_cmp_eq_f64_e64 s[0:1], 0, v[104:105]
	s_and_b64 s[0:1], vcc, s[0:1]
	s_and_saveexec_b64 s[8:9], s[0:1]
	s_xor_b64 s[0:1], exec, s[8:9]
; %bb.66:
	v_cmp_ne_u32_e32 vcc, 0, v115
	v_cndmask_b32_e32 v115, 4, v115, vcc
; %bb.67:
	s_andn2_saveexec_b64 s[0:1], s[0:1]
	s_cbranch_execz .LBB48_73
; %bb.68:
	v_cmp_ngt_f64_e64 s[8:9], |v[102:103]|, |v[104:105]|
	s_and_saveexec_b64 s[20:21], s[8:9]
	s_xor_b64 s[8:9], exec, s[20:21]
	s_cbranch_execz .LBB48_70
; %bb.69:
	v_div_scale_f64 v[116:117], s[20:21], v[104:105], v[104:105], v[102:103]
	v_rcp_f64_e32 v[118:119], v[116:117]
	v_fma_f64 v[120:121], -v[116:117], v[118:119], 1.0
	v_fma_f64 v[118:119], v[118:119], v[120:121], v[118:119]
	v_div_scale_f64 v[120:121], vcc, v[102:103], v[104:105], v[102:103]
	v_fma_f64 v[122:123], -v[116:117], v[118:119], 1.0
	v_fma_f64 v[118:119], v[118:119], v[122:123], v[118:119]
	v_mul_f64 v[122:123], v[120:121], v[118:119]
	v_fma_f64 v[116:117], -v[116:117], v[122:123], v[120:121]
	v_div_fmas_f64 v[116:117], v[116:117], v[118:119], v[122:123]
	v_div_fixup_f64 v[116:117], v[116:117], v[104:105], v[102:103]
	v_fma_f64 v[102:103], v[102:103], v[116:117], v[104:105]
	v_div_scale_f64 v[104:105], s[20:21], v[102:103], v[102:103], 1.0
	v_div_scale_f64 v[122:123], vcc, 1.0, v[102:103], 1.0
	v_rcp_f64_e32 v[118:119], v[104:105]
	v_fma_f64 v[120:121], -v[104:105], v[118:119], 1.0
	v_fma_f64 v[118:119], v[118:119], v[120:121], v[118:119]
	v_fma_f64 v[120:121], -v[104:105], v[118:119], 1.0
	v_fma_f64 v[118:119], v[118:119], v[120:121], v[118:119]
	v_mul_f64 v[120:121], v[122:123], v[118:119]
	v_fma_f64 v[104:105], -v[104:105], v[120:121], v[122:123]
	v_div_fmas_f64 v[104:105], v[104:105], v[118:119], v[120:121]
	v_div_fixup_f64 v[104:105], v[104:105], v[102:103], 1.0
	v_mul_f64 v[102:103], v[116:117], v[104:105]
	v_xor_b32_e32 v105, 0x80000000, v105
.LBB48_70:
	s_andn2_saveexec_b64 s[8:9], s[8:9]
	s_cbranch_execz .LBB48_72
; %bb.71:
	v_div_scale_f64 v[116:117], s[20:21], v[102:103], v[102:103], v[104:105]
	v_rcp_f64_e32 v[118:119], v[116:117]
	v_fma_f64 v[120:121], -v[116:117], v[118:119], 1.0
	v_fma_f64 v[118:119], v[118:119], v[120:121], v[118:119]
	v_div_scale_f64 v[120:121], vcc, v[104:105], v[102:103], v[104:105]
	v_fma_f64 v[122:123], -v[116:117], v[118:119], 1.0
	v_fma_f64 v[118:119], v[118:119], v[122:123], v[118:119]
	v_mul_f64 v[122:123], v[120:121], v[118:119]
	v_fma_f64 v[116:117], -v[116:117], v[122:123], v[120:121]
	v_div_fmas_f64 v[116:117], v[116:117], v[118:119], v[122:123]
	v_div_fixup_f64 v[116:117], v[116:117], v[102:103], v[104:105]
	v_fma_f64 v[102:103], v[104:105], v[116:117], v[102:103]
	v_div_scale_f64 v[104:105], s[20:21], v[102:103], v[102:103], 1.0
	v_div_scale_f64 v[122:123], vcc, 1.0, v[102:103], 1.0
	v_rcp_f64_e32 v[118:119], v[104:105]
	v_fma_f64 v[120:121], -v[104:105], v[118:119], 1.0
	v_fma_f64 v[118:119], v[118:119], v[120:121], v[118:119]
	v_fma_f64 v[120:121], -v[104:105], v[118:119], 1.0
	v_fma_f64 v[118:119], v[118:119], v[120:121], v[118:119]
	v_mul_f64 v[120:121], v[122:123], v[118:119]
	v_fma_f64 v[104:105], -v[104:105], v[120:121], v[122:123]
	v_div_fmas_f64 v[104:105], v[104:105], v[118:119], v[120:121]
	v_div_fixup_f64 v[102:103], v[104:105], v[102:103], 1.0
	v_mul_f64 v[104:105], v[116:117], -v[102:103]
.LBB48_72:
	s_or_b64 exec, exec, s[8:9]
.LBB48_73:
	s_or_b64 exec, exec, s[0:1]
	v_cmp_ne_u32_e32 vcc, v112, v110
	s_and_saveexec_b64 s[0:1], vcc
	s_xor_b64 s[0:1], exec, s[0:1]
	s_cbranch_execz .LBB48_79
; %bb.74:
	v_cmp_eq_u32_e32 vcc, 3, v112
	s_and_saveexec_b64 s[8:9], vcc
	s_cbranch_execz .LBB48_78
; %bb.75:
	v_cmp_ne_u32_e32 vcc, 3, v110
	s_xor_b64 s[20:21], s[18:19], -1
	s_and_b64 s[24:25], s[20:21], vcc
	s_and_saveexec_b64 s[20:21], s[24:25]
	s_cbranch_execz .LBB48_77
; %bb.76:
	v_ashrrev_i32_e32 v111, 31, v110
	v_lshlrev_b64 v[111:112], 2, v[110:111]
	v_add_co_u32_e32 v111, vcc, v108, v111
	v_addc_co_u32_e32 v112, vcc, v109, v112, vcc
	global_load_dword v0, v[111:112], off
	global_load_dword v116, v[108:109], off offset:12
	s_waitcnt vmcnt(1)
	global_store_dword v[108:109], v0, off offset:12
	s_waitcnt vmcnt(1)
	global_store_dword v[111:112], v116, off
.LBB48_77:
	s_or_b64 exec, exec, s[20:21]
	v_mov_b32_e32 v112, v110
	v_mov_b32_e32 v0, v110
.LBB48_78:
	s_or_b64 exec, exec, s[8:9]
.LBB48_79:
	s_andn2_saveexec_b64 s[0:1], s[0:1]
	s_cbranch_execz .LBB48_81
; %bb.80:
	v_mov_b32_e32 v112, 3
	ds_write2_b64 v1, v[78:79], v[80:81] offset0:8 offset1:9
	ds_write2_b64 v1, v[74:75], v[76:77] offset0:10 offset1:11
	;; [unrolled: 1-line block ×21, first 2 shown]
.LBB48_81:
	s_or_b64 exec, exec, s[0:1]
	v_cmp_lt_i32_e32 vcc, 3, v112
	s_waitcnt vmcnt(0) lgkmcnt(0)
	s_barrier
	s_and_saveexec_b64 s[0:1], vcc
	s_cbranch_execz .LBB48_83
; %bb.82:
	v_mul_f64 v[110:111], v[104:105], v[84:85]
	v_mul_f64 v[84:85], v[102:103], v[84:85]
	v_fma_f64 v[110:111], v[102:103], v[82:83], -v[110:111]
	v_fma_f64 v[84:85], v[104:105], v[82:83], v[84:85]
	ds_read2_b64 v[102:105], v1 offset0:8 offset1:9
	s_waitcnt lgkmcnt(0)
	v_mul_f64 v[82:83], v[104:105], v[84:85]
	v_fma_f64 v[82:83], v[102:103], v[110:111], -v[82:83]
	v_mul_f64 v[102:103], v[102:103], v[84:85]
	v_add_f64 v[78:79], v[78:79], -v[82:83]
	v_fma_f64 v[102:103], v[104:105], v[110:111], v[102:103]
	v_add_f64 v[80:81], v[80:81], -v[102:103]
	ds_read2_b64 v[102:105], v1 offset0:10 offset1:11
	s_waitcnt lgkmcnt(0)
	v_mul_f64 v[82:83], v[104:105], v[84:85]
	v_fma_f64 v[82:83], v[102:103], v[110:111], -v[82:83]
	v_mul_f64 v[102:103], v[102:103], v[84:85]
	v_add_f64 v[74:75], v[74:75], -v[82:83]
	v_fma_f64 v[102:103], v[104:105], v[110:111], v[102:103]
	v_add_f64 v[76:77], v[76:77], -v[102:103]
	;; [unrolled: 8-line block ×20, first 2 shown]
	ds_read2_b64 v[102:105], v1 offset0:48 offset1:49
	s_waitcnt lgkmcnt(0)
	v_mul_f64 v[82:83], v[104:105], v[84:85]
	v_fma_f64 v[82:83], v[102:103], v[110:111], -v[82:83]
	v_mul_f64 v[102:103], v[102:103], v[84:85]
	v_add_f64 v[98:99], v[98:99], -v[82:83]
	v_fma_f64 v[102:103], v[104:105], v[110:111], v[102:103]
	v_mov_b32_e32 v82, v110
	v_mov_b32_e32 v83, v111
	v_add_f64 v[100:101], v[100:101], -v[102:103]
.LBB48_83:
	s_or_b64 exec, exec, s[0:1]
	v_lshl_add_u32 v102, v112, 4, v1
	s_barrier
	ds_write2_b64 v102, v[78:79], v[80:81] offset1:1
	s_waitcnt lgkmcnt(0)
	s_barrier
	ds_read2_b64 v[102:105], v1 offset0:8 offset1:9
	s_cmp_lt_i32 s22, 6
	v_mov_b32_e32 v110, 4
	s_cbranch_scc1 .LBB48_86
; %bb.84:
	v_mov_b32_e32 v110, 4
	v_add_u32_e32 v111, 0x50, v1
	s_mov_b32 s7, 5
.LBB48_85:                              ; =>This Inner Loop Header: Depth=1
	s_waitcnt lgkmcnt(0)
	v_cmp_gt_f64_e32 vcc, 0, v[104:105]
	v_cmp_gt_f64_e64 s[0:1], 0, v[102:103]
	ds_read2_b64 v[116:119], v111 offset1:1
	v_xor_b32_e32 v121, 0x80000000, v103
	v_xor_b32_e32 v123, 0x80000000, v105
	v_mov_b32_e32 v120, v102
	v_mov_b32_e32 v122, v104
	s_waitcnt lgkmcnt(0)
	v_xor_b32_e32 v125, 0x80000000, v119
	v_cndmask_b32_e32 v123, v105, v123, vcc
	v_cndmask_b32_e64 v121, v103, v121, s[0:1]
	v_cmp_gt_f64_e32 vcc, 0, v[118:119]
	v_cmp_gt_f64_e64 s[0:1], 0, v[116:117]
	v_add_f64 v[120:121], v[120:121], v[122:123]
	v_xor_b32_e32 v123, 0x80000000, v117
	v_mov_b32_e32 v122, v116
	v_mov_b32_e32 v124, v118
	v_add_u32_e32 v111, 16, v111
	v_cndmask_b32_e32 v125, v119, v125, vcc
	v_cndmask_b32_e64 v123, v117, v123, s[0:1]
	v_add_f64 v[122:123], v[122:123], v[124:125]
	v_mov_b32_e32 v124, s7
	s_add_i32 s7, s7, 1
	s_cmp_lg_u32 s22, s7
	v_cmp_lt_f64_e32 vcc, v[120:121], v[122:123]
	v_cndmask_b32_e32 v103, v103, v117, vcc
	v_cndmask_b32_e32 v102, v102, v116, vcc
	;; [unrolled: 1-line block ×5, first 2 shown]
	s_cbranch_scc1 .LBB48_85
.LBB48_86:
	s_waitcnt lgkmcnt(0)
	v_cmp_eq_f64_e32 vcc, 0, v[102:103]
	v_cmp_eq_f64_e64 s[0:1], 0, v[104:105]
	s_and_b64 s[0:1], vcc, s[0:1]
	s_and_saveexec_b64 s[8:9], s[0:1]
	s_xor_b64 s[0:1], exec, s[8:9]
; %bb.87:
	v_cmp_ne_u32_e32 vcc, 0, v115
	v_cndmask_b32_e32 v115, 5, v115, vcc
; %bb.88:
	s_andn2_saveexec_b64 s[0:1], s[0:1]
	s_cbranch_execz .LBB48_94
; %bb.89:
	v_cmp_ngt_f64_e64 s[8:9], |v[102:103]|, |v[104:105]|
	s_and_saveexec_b64 s[20:21], s[8:9]
	s_xor_b64 s[8:9], exec, s[20:21]
	s_cbranch_execz .LBB48_91
; %bb.90:
	v_div_scale_f64 v[116:117], s[20:21], v[104:105], v[104:105], v[102:103]
	v_rcp_f64_e32 v[118:119], v[116:117]
	v_fma_f64 v[120:121], -v[116:117], v[118:119], 1.0
	v_fma_f64 v[118:119], v[118:119], v[120:121], v[118:119]
	v_div_scale_f64 v[120:121], vcc, v[102:103], v[104:105], v[102:103]
	v_fma_f64 v[122:123], -v[116:117], v[118:119], 1.0
	v_fma_f64 v[118:119], v[118:119], v[122:123], v[118:119]
	v_mul_f64 v[122:123], v[120:121], v[118:119]
	v_fma_f64 v[116:117], -v[116:117], v[122:123], v[120:121]
	v_div_fmas_f64 v[116:117], v[116:117], v[118:119], v[122:123]
	v_div_fixup_f64 v[116:117], v[116:117], v[104:105], v[102:103]
	v_fma_f64 v[102:103], v[102:103], v[116:117], v[104:105]
	v_div_scale_f64 v[104:105], s[20:21], v[102:103], v[102:103], 1.0
	v_div_scale_f64 v[122:123], vcc, 1.0, v[102:103], 1.0
	v_rcp_f64_e32 v[118:119], v[104:105]
	v_fma_f64 v[120:121], -v[104:105], v[118:119], 1.0
	v_fma_f64 v[118:119], v[118:119], v[120:121], v[118:119]
	v_fma_f64 v[120:121], -v[104:105], v[118:119], 1.0
	v_fma_f64 v[118:119], v[118:119], v[120:121], v[118:119]
	v_mul_f64 v[120:121], v[122:123], v[118:119]
	v_fma_f64 v[104:105], -v[104:105], v[120:121], v[122:123]
	v_div_fmas_f64 v[104:105], v[104:105], v[118:119], v[120:121]
	v_div_fixup_f64 v[104:105], v[104:105], v[102:103], 1.0
	v_mul_f64 v[102:103], v[116:117], v[104:105]
	v_xor_b32_e32 v105, 0x80000000, v105
.LBB48_91:
	s_andn2_saveexec_b64 s[8:9], s[8:9]
	s_cbranch_execz .LBB48_93
; %bb.92:
	v_div_scale_f64 v[116:117], s[20:21], v[102:103], v[102:103], v[104:105]
	v_rcp_f64_e32 v[118:119], v[116:117]
	v_fma_f64 v[120:121], -v[116:117], v[118:119], 1.0
	v_fma_f64 v[118:119], v[118:119], v[120:121], v[118:119]
	v_div_scale_f64 v[120:121], vcc, v[104:105], v[102:103], v[104:105]
	v_fma_f64 v[122:123], -v[116:117], v[118:119], 1.0
	v_fma_f64 v[118:119], v[118:119], v[122:123], v[118:119]
	v_mul_f64 v[122:123], v[120:121], v[118:119]
	v_fma_f64 v[116:117], -v[116:117], v[122:123], v[120:121]
	v_div_fmas_f64 v[116:117], v[116:117], v[118:119], v[122:123]
	v_div_fixup_f64 v[116:117], v[116:117], v[102:103], v[104:105]
	v_fma_f64 v[102:103], v[104:105], v[116:117], v[102:103]
	v_div_scale_f64 v[104:105], s[20:21], v[102:103], v[102:103], 1.0
	v_div_scale_f64 v[122:123], vcc, 1.0, v[102:103], 1.0
	v_rcp_f64_e32 v[118:119], v[104:105]
	v_fma_f64 v[120:121], -v[104:105], v[118:119], 1.0
	v_fma_f64 v[118:119], v[118:119], v[120:121], v[118:119]
	v_fma_f64 v[120:121], -v[104:105], v[118:119], 1.0
	v_fma_f64 v[118:119], v[118:119], v[120:121], v[118:119]
	v_mul_f64 v[120:121], v[122:123], v[118:119]
	v_fma_f64 v[104:105], -v[104:105], v[120:121], v[122:123]
	v_div_fmas_f64 v[104:105], v[104:105], v[118:119], v[120:121]
	v_div_fixup_f64 v[102:103], v[104:105], v[102:103], 1.0
	v_mul_f64 v[104:105], v[116:117], -v[102:103]
.LBB48_93:
	s_or_b64 exec, exec, s[8:9]
.LBB48_94:
	s_or_b64 exec, exec, s[0:1]
	v_cmp_ne_u32_e32 vcc, v112, v110
	s_and_saveexec_b64 s[0:1], vcc
	s_xor_b64 s[0:1], exec, s[0:1]
	s_cbranch_execz .LBB48_100
; %bb.95:
	v_cmp_eq_u32_e32 vcc, 4, v112
	s_and_saveexec_b64 s[8:9], vcc
	s_cbranch_execz .LBB48_99
; %bb.96:
	v_cmp_ne_u32_e32 vcc, 4, v110
	s_xor_b64 s[20:21], s[18:19], -1
	s_and_b64 s[24:25], s[20:21], vcc
	s_and_saveexec_b64 s[20:21], s[24:25]
	s_cbranch_execz .LBB48_98
; %bb.97:
	v_ashrrev_i32_e32 v111, 31, v110
	v_lshlrev_b64 v[111:112], 2, v[110:111]
	v_add_co_u32_e32 v111, vcc, v108, v111
	v_addc_co_u32_e32 v112, vcc, v109, v112, vcc
	global_load_dword v0, v[111:112], off
	global_load_dword v116, v[108:109], off offset:16
	s_waitcnt vmcnt(1)
	global_store_dword v[108:109], v0, off offset:16
	s_waitcnt vmcnt(1)
	global_store_dword v[111:112], v116, off
.LBB48_98:
	s_or_b64 exec, exec, s[20:21]
	v_mov_b32_e32 v112, v110
	v_mov_b32_e32 v0, v110
.LBB48_99:
	s_or_b64 exec, exec, s[8:9]
.LBB48_100:
	s_andn2_saveexec_b64 s[0:1], s[0:1]
	s_cbranch_execz .LBB48_102
; %bb.101:
	v_mov_b32_e32 v112, 4
	ds_write2_b64 v1, v[74:75], v[76:77] offset0:10 offset1:11
	ds_write2_b64 v1, v[70:71], v[72:73] offset0:12 offset1:13
	;; [unrolled: 1-line block ×20, first 2 shown]
.LBB48_102:
	s_or_b64 exec, exec, s[0:1]
	v_cmp_lt_i32_e32 vcc, 4, v112
	s_waitcnt vmcnt(0) lgkmcnt(0)
	s_barrier
	s_and_saveexec_b64 s[0:1], vcc
	s_cbranch_execz .LBB48_104
; %bb.103:
	v_mul_f64 v[110:111], v[104:105], v[80:81]
	v_mul_f64 v[80:81], v[102:103], v[80:81]
	v_fma_f64 v[110:111], v[102:103], v[78:79], -v[110:111]
	v_fma_f64 v[80:81], v[104:105], v[78:79], v[80:81]
	ds_read2_b64 v[102:105], v1 offset0:10 offset1:11
	s_waitcnt lgkmcnt(0)
	v_mul_f64 v[78:79], v[104:105], v[80:81]
	v_fma_f64 v[78:79], v[102:103], v[110:111], -v[78:79]
	v_mul_f64 v[102:103], v[102:103], v[80:81]
	v_add_f64 v[74:75], v[74:75], -v[78:79]
	v_fma_f64 v[102:103], v[104:105], v[110:111], v[102:103]
	v_add_f64 v[76:77], v[76:77], -v[102:103]
	ds_read2_b64 v[102:105], v1 offset0:12 offset1:13
	s_waitcnt lgkmcnt(0)
	v_mul_f64 v[78:79], v[104:105], v[80:81]
	v_fma_f64 v[78:79], v[102:103], v[110:111], -v[78:79]
	v_mul_f64 v[102:103], v[102:103], v[80:81]
	v_add_f64 v[70:71], v[70:71], -v[78:79]
	v_fma_f64 v[102:103], v[104:105], v[110:111], v[102:103]
	v_add_f64 v[72:73], v[72:73], -v[102:103]
	;; [unrolled: 8-line block ×19, first 2 shown]
	ds_read2_b64 v[102:105], v1 offset0:48 offset1:49
	s_waitcnt lgkmcnt(0)
	v_mul_f64 v[78:79], v[104:105], v[80:81]
	v_fma_f64 v[78:79], v[102:103], v[110:111], -v[78:79]
	v_mul_f64 v[102:103], v[102:103], v[80:81]
	v_add_f64 v[98:99], v[98:99], -v[78:79]
	v_fma_f64 v[102:103], v[104:105], v[110:111], v[102:103]
	v_mov_b32_e32 v78, v110
	v_mov_b32_e32 v79, v111
	v_add_f64 v[100:101], v[100:101], -v[102:103]
.LBB48_104:
	s_or_b64 exec, exec, s[0:1]
	v_lshl_add_u32 v102, v112, 4, v1
	s_barrier
	ds_write2_b64 v102, v[74:75], v[76:77] offset1:1
	s_waitcnt lgkmcnt(0)
	s_barrier
	ds_read2_b64 v[102:105], v1 offset0:10 offset1:11
	s_cmp_lt_i32 s22, 7
	v_mov_b32_e32 v110, 5
	s_cbranch_scc1 .LBB48_107
; %bb.105:
	v_add_u32_e32 v111, 0x60, v1
	s_mov_b32 s7, 6
	v_mov_b32_e32 v110, 5
.LBB48_106:                             ; =>This Inner Loop Header: Depth=1
	s_waitcnt lgkmcnt(0)
	v_cmp_gt_f64_e32 vcc, 0, v[104:105]
	v_cmp_gt_f64_e64 s[0:1], 0, v[102:103]
	ds_read2_b64 v[116:119], v111 offset1:1
	v_xor_b32_e32 v121, 0x80000000, v103
	v_xor_b32_e32 v123, 0x80000000, v105
	v_mov_b32_e32 v120, v102
	v_mov_b32_e32 v122, v104
	s_waitcnt lgkmcnt(0)
	v_xor_b32_e32 v125, 0x80000000, v119
	v_cndmask_b32_e32 v123, v105, v123, vcc
	v_cndmask_b32_e64 v121, v103, v121, s[0:1]
	v_cmp_gt_f64_e32 vcc, 0, v[118:119]
	v_cmp_gt_f64_e64 s[0:1], 0, v[116:117]
	v_add_f64 v[120:121], v[120:121], v[122:123]
	v_xor_b32_e32 v123, 0x80000000, v117
	v_mov_b32_e32 v122, v116
	v_mov_b32_e32 v124, v118
	v_add_u32_e32 v111, 16, v111
	v_cndmask_b32_e32 v125, v119, v125, vcc
	v_cndmask_b32_e64 v123, v117, v123, s[0:1]
	v_add_f64 v[122:123], v[122:123], v[124:125]
	v_mov_b32_e32 v124, s7
	s_add_i32 s7, s7, 1
	s_cmp_lg_u32 s22, s7
	v_cmp_lt_f64_e32 vcc, v[120:121], v[122:123]
	v_cndmask_b32_e32 v103, v103, v117, vcc
	v_cndmask_b32_e32 v102, v102, v116, vcc
	;; [unrolled: 1-line block ×5, first 2 shown]
	s_cbranch_scc1 .LBB48_106
.LBB48_107:
	s_waitcnt lgkmcnt(0)
	v_cmp_eq_f64_e32 vcc, 0, v[102:103]
	v_cmp_eq_f64_e64 s[0:1], 0, v[104:105]
	s_and_b64 s[0:1], vcc, s[0:1]
	s_and_saveexec_b64 s[8:9], s[0:1]
	s_xor_b64 s[0:1], exec, s[8:9]
; %bb.108:
	v_cmp_ne_u32_e32 vcc, 0, v115
	v_cndmask_b32_e32 v115, 6, v115, vcc
; %bb.109:
	s_andn2_saveexec_b64 s[0:1], s[0:1]
	s_cbranch_execz .LBB48_115
; %bb.110:
	v_cmp_ngt_f64_e64 s[8:9], |v[102:103]|, |v[104:105]|
	s_and_saveexec_b64 s[20:21], s[8:9]
	s_xor_b64 s[8:9], exec, s[20:21]
	s_cbranch_execz .LBB48_112
; %bb.111:
	v_div_scale_f64 v[116:117], s[20:21], v[104:105], v[104:105], v[102:103]
	v_rcp_f64_e32 v[118:119], v[116:117]
	v_fma_f64 v[120:121], -v[116:117], v[118:119], 1.0
	v_fma_f64 v[118:119], v[118:119], v[120:121], v[118:119]
	v_div_scale_f64 v[120:121], vcc, v[102:103], v[104:105], v[102:103]
	v_fma_f64 v[122:123], -v[116:117], v[118:119], 1.0
	v_fma_f64 v[118:119], v[118:119], v[122:123], v[118:119]
	v_mul_f64 v[122:123], v[120:121], v[118:119]
	v_fma_f64 v[116:117], -v[116:117], v[122:123], v[120:121]
	v_div_fmas_f64 v[116:117], v[116:117], v[118:119], v[122:123]
	v_div_fixup_f64 v[116:117], v[116:117], v[104:105], v[102:103]
	v_fma_f64 v[102:103], v[102:103], v[116:117], v[104:105]
	v_div_scale_f64 v[104:105], s[20:21], v[102:103], v[102:103], 1.0
	v_div_scale_f64 v[122:123], vcc, 1.0, v[102:103], 1.0
	v_rcp_f64_e32 v[118:119], v[104:105]
	v_fma_f64 v[120:121], -v[104:105], v[118:119], 1.0
	v_fma_f64 v[118:119], v[118:119], v[120:121], v[118:119]
	v_fma_f64 v[120:121], -v[104:105], v[118:119], 1.0
	v_fma_f64 v[118:119], v[118:119], v[120:121], v[118:119]
	v_mul_f64 v[120:121], v[122:123], v[118:119]
	v_fma_f64 v[104:105], -v[104:105], v[120:121], v[122:123]
	v_div_fmas_f64 v[104:105], v[104:105], v[118:119], v[120:121]
	v_div_fixup_f64 v[104:105], v[104:105], v[102:103], 1.0
	v_mul_f64 v[102:103], v[116:117], v[104:105]
	v_xor_b32_e32 v105, 0x80000000, v105
.LBB48_112:
	s_andn2_saveexec_b64 s[8:9], s[8:9]
	s_cbranch_execz .LBB48_114
; %bb.113:
	v_div_scale_f64 v[116:117], s[20:21], v[102:103], v[102:103], v[104:105]
	v_rcp_f64_e32 v[118:119], v[116:117]
	v_fma_f64 v[120:121], -v[116:117], v[118:119], 1.0
	v_fma_f64 v[118:119], v[118:119], v[120:121], v[118:119]
	v_div_scale_f64 v[120:121], vcc, v[104:105], v[102:103], v[104:105]
	v_fma_f64 v[122:123], -v[116:117], v[118:119], 1.0
	v_fma_f64 v[118:119], v[118:119], v[122:123], v[118:119]
	v_mul_f64 v[122:123], v[120:121], v[118:119]
	v_fma_f64 v[116:117], -v[116:117], v[122:123], v[120:121]
	v_div_fmas_f64 v[116:117], v[116:117], v[118:119], v[122:123]
	v_div_fixup_f64 v[116:117], v[116:117], v[102:103], v[104:105]
	v_fma_f64 v[102:103], v[104:105], v[116:117], v[102:103]
	v_div_scale_f64 v[104:105], s[20:21], v[102:103], v[102:103], 1.0
	v_div_scale_f64 v[122:123], vcc, 1.0, v[102:103], 1.0
	v_rcp_f64_e32 v[118:119], v[104:105]
	v_fma_f64 v[120:121], -v[104:105], v[118:119], 1.0
	v_fma_f64 v[118:119], v[118:119], v[120:121], v[118:119]
	v_fma_f64 v[120:121], -v[104:105], v[118:119], 1.0
	v_fma_f64 v[118:119], v[118:119], v[120:121], v[118:119]
	v_mul_f64 v[120:121], v[122:123], v[118:119]
	v_fma_f64 v[104:105], -v[104:105], v[120:121], v[122:123]
	v_div_fmas_f64 v[104:105], v[104:105], v[118:119], v[120:121]
	v_div_fixup_f64 v[102:103], v[104:105], v[102:103], 1.0
	v_mul_f64 v[104:105], v[116:117], -v[102:103]
.LBB48_114:
	s_or_b64 exec, exec, s[8:9]
.LBB48_115:
	s_or_b64 exec, exec, s[0:1]
	v_cmp_ne_u32_e32 vcc, v112, v110
	s_and_saveexec_b64 s[0:1], vcc
	s_xor_b64 s[0:1], exec, s[0:1]
	s_cbranch_execz .LBB48_121
; %bb.116:
	v_cmp_eq_u32_e32 vcc, 5, v112
	s_and_saveexec_b64 s[8:9], vcc
	s_cbranch_execz .LBB48_120
; %bb.117:
	v_cmp_ne_u32_e32 vcc, 5, v110
	s_xor_b64 s[20:21], s[18:19], -1
	s_and_b64 s[24:25], s[20:21], vcc
	s_and_saveexec_b64 s[20:21], s[24:25]
	s_cbranch_execz .LBB48_119
; %bb.118:
	v_ashrrev_i32_e32 v111, 31, v110
	v_lshlrev_b64 v[111:112], 2, v[110:111]
	v_add_co_u32_e32 v111, vcc, v108, v111
	v_addc_co_u32_e32 v112, vcc, v109, v112, vcc
	global_load_dword v0, v[111:112], off
	global_load_dword v116, v[108:109], off offset:20
	s_waitcnt vmcnt(1)
	global_store_dword v[108:109], v0, off offset:20
	s_waitcnt vmcnt(1)
	global_store_dword v[111:112], v116, off
.LBB48_119:
	s_or_b64 exec, exec, s[20:21]
	v_mov_b32_e32 v112, v110
	v_mov_b32_e32 v0, v110
.LBB48_120:
	s_or_b64 exec, exec, s[8:9]
.LBB48_121:
	s_andn2_saveexec_b64 s[0:1], s[0:1]
	s_cbranch_execz .LBB48_123
; %bb.122:
	v_mov_b32_e32 v112, 5
	ds_write2_b64 v1, v[70:71], v[72:73] offset0:12 offset1:13
	ds_write2_b64 v1, v[66:67], v[68:69] offset0:14 offset1:15
	;; [unrolled: 1-line block ×19, first 2 shown]
.LBB48_123:
	s_or_b64 exec, exec, s[0:1]
	v_cmp_lt_i32_e32 vcc, 5, v112
	s_waitcnt vmcnt(0) lgkmcnt(0)
	s_barrier
	s_and_saveexec_b64 s[0:1], vcc
	s_cbranch_execz .LBB48_125
; %bb.124:
	v_mul_f64 v[110:111], v[104:105], v[76:77]
	v_mul_f64 v[76:77], v[102:103], v[76:77]
	v_fma_f64 v[110:111], v[102:103], v[74:75], -v[110:111]
	v_fma_f64 v[76:77], v[104:105], v[74:75], v[76:77]
	ds_read2_b64 v[102:105], v1 offset0:12 offset1:13
	s_waitcnt lgkmcnt(0)
	v_mul_f64 v[74:75], v[104:105], v[76:77]
	v_fma_f64 v[74:75], v[102:103], v[110:111], -v[74:75]
	v_mul_f64 v[102:103], v[102:103], v[76:77]
	v_add_f64 v[70:71], v[70:71], -v[74:75]
	v_fma_f64 v[102:103], v[104:105], v[110:111], v[102:103]
	v_add_f64 v[72:73], v[72:73], -v[102:103]
	ds_read2_b64 v[102:105], v1 offset0:14 offset1:15
	s_waitcnt lgkmcnt(0)
	v_mul_f64 v[74:75], v[104:105], v[76:77]
	v_fma_f64 v[74:75], v[102:103], v[110:111], -v[74:75]
	v_mul_f64 v[102:103], v[102:103], v[76:77]
	v_add_f64 v[66:67], v[66:67], -v[74:75]
	v_fma_f64 v[102:103], v[104:105], v[110:111], v[102:103]
	v_add_f64 v[68:69], v[68:69], -v[102:103]
	;; [unrolled: 8-line block ×18, first 2 shown]
	ds_read2_b64 v[102:105], v1 offset0:48 offset1:49
	s_waitcnt lgkmcnt(0)
	v_mul_f64 v[74:75], v[104:105], v[76:77]
	v_fma_f64 v[74:75], v[102:103], v[110:111], -v[74:75]
	v_mul_f64 v[102:103], v[102:103], v[76:77]
	v_add_f64 v[98:99], v[98:99], -v[74:75]
	v_fma_f64 v[102:103], v[104:105], v[110:111], v[102:103]
	v_mov_b32_e32 v74, v110
	v_mov_b32_e32 v75, v111
	v_add_f64 v[100:101], v[100:101], -v[102:103]
.LBB48_125:
	s_or_b64 exec, exec, s[0:1]
	v_lshl_add_u32 v102, v112, 4, v1
	s_barrier
	ds_write2_b64 v102, v[70:71], v[72:73] offset1:1
	s_waitcnt lgkmcnt(0)
	s_barrier
	ds_read2_b64 v[102:105], v1 offset0:12 offset1:13
	s_cmp_lt_i32 s22, 8
	v_mov_b32_e32 v110, 6
	s_cbranch_scc1 .LBB48_128
; %bb.126:
	v_add_u32_e32 v111, 0x70, v1
	s_mov_b32 s7, 7
	v_mov_b32_e32 v110, 6
.LBB48_127:                             ; =>This Inner Loop Header: Depth=1
	s_waitcnt lgkmcnt(0)
	v_cmp_gt_f64_e32 vcc, 0, v[104:105]
	v_cmp_gt_f64_e64 s[0:1], 0, v[102:103]
	ds_read2_b64 v[116:119], v111 offset1:1
	v_xor_b32_e32 v121, 0x80000000, v103
	v_xor_b32_e32 v123, 0x80000000, v105
	v_mov_b32_e32 v120, v102
	v_mov_b32_e32 v122, v104
	s_waitcnt lgkmcnt(0)
	v_xor_b32_e32 v125, 0x80000000, v119
	v_cndmask_b32_e32 v123, v105, v123, vcc
	v_cndmask_b32_e64 v121, v103, v121, s[0:1]
	v_cmp_gt_f64_e32 vcc, 0, v[118:119]
	v_cmp_gt_f64_e64 s[0:1], 0, v[116:117]
	v_add_f64 v[120:121], v[120:121], v[122:123]
	v_xor_b32_e32 v123, 0x80000000, v117
	v_mov_b32_e32 v122, v116
	v_mov_b32_e32 v124, v118
	v_add_u32_e32 v111, 16, v111
	v_cndmask_b32_e32 v125, v119, v125, vcc
	v_cndmask_b32_e64 v123, v117, v123, s[0:1]
	v_add_f64 v[122:123], v[122:123], v[124:125]
	v_mov_b32_e32 v124, s7
	s_add_i32 s7, s7, 1
	s_cmp_lg_u32 s22, s7
	v_cmp_lt_f64_e32 vcc, v[120:121], v[122:123]
	v_cndmask_b32_e32 v103, v103, v117, vcc
	v_cndmask_b32_e32 v102, v102, v116, vcc
	;; [unrolled: 1-line block ×5, first 2 shown]
	s_cbranch_scc1 .LBB48_127
.LBB48_128:
	s_waitcnt lgkmcnt(0)
	v_cmp_eq_f64_e32 vcc, 0, v[102:103]
	v_cmp_eq_f64_e64 s[0:1], 0, v[104:105]
	s_and_b64 s[0:1], vcc, s[0:1]
	s_and_saveexec_b64 s[8:9], s[0:1]
	s_xor_b64 s[0:1], exec, s[8:9]
; %bb.129:
	v_cmp_ne_u32_e32 vcc, 0, v115
	v_cndmask_b32_e32 v115, 7, v115, vcc
; %bb.130:
	s_andn2_saveexec_b64 s[0:1], s[0:1]
	s_cbranch_execz .LBB48_136
; %bb.131:
	v_cmp_ngt_f64_e64 s[8:9], |v[102:103]|, |v[104:105]|
	s_and_saveexec_b64 s[20:21], s[8:9]
	s_xor_b64 s[8:9], exec, s[20:21]
	s_cbranch_execz .LBB48_133
; %bb.132:
	v_div_scale_f64 v[116:117], s[20:21], v[104:105], v[104:105], v[102:103]
	v_rcp_f64_e32 v[118:119], v[116:117]
	v_fma_f64 v[120:121], -v[116:117], v[118:119], 1.0
	v_fma_f64 v[118:119], v[118:119], v[120:121], v[118:119]
	v_div_scale_f64 v[120:121], vcc, v[102:103], v[104:105], v[102:103]
	v_fma_f64 v[122:123], -v[116:117], v[118:119], 1.0
	v_fma_f64 v[118:119], v[118:119], v[122:123], v[118:119]
	v_mul_f64 v[122:123], v[120:121], v[118:119]
	v_fma_f64 v[116:117], -v[116:117], v[122:123], v[120:121]
	v_div_fmas_f64 v[116:117], v[116:117], v[118:119], v[122:123]
	v_div_fixup_f64 v[116:117], v[116:117], v[104:105], v[102:103]
	v_fma_f64 v[102:103], v[102:103], v[116:117], v[104:105]
	v_div_scale_f64 v[104:105], s[20:21], v[102:103], v[102:103], 1.0
	v_div_scale_f64 v[122:123], vcc, 1.0, v[102:103], 1.0
	v_rcp_f64_e32 v[118:119], v[104:105]
	v_fma_f64 v[120:121], -v[104:105], v[118:119], 1.0
	v_fma_f64 v[118:119], v[118:119], v[120:121], v[118:119]
	v_fma_f64 v[120:121], -v[104:105], v[118:119], 1.0
	v_fma_f64 v[118:119], v[118:119], v[120:121], v[118:119]
	v_mul_f64 v[120:121], v[122:123], v[118:119]
	v_fma_f64 v[104:105], -v[104:105], v[120:121], v[122:123]
	v_div_fmas_f64 v[104:105], v[104:105], v[118:119], v[120:121]
	v_div_fixup_f64 v[104:105], v[104:105], v[102:103], 1.0
	v_mul_f64 v[102:103], v[116:117], v[104:105]
	v_xor_b32_e32 v105, 0x80000000, v105
.LBB48_133:
	s_andn2_saveexec_b64 s[8:9], s[8:9]
	s_cbranch_execz .LBB48_135
; %bb.134:
	v_div_scale_f64 v[116:117], s[20:21], v[102:103], v[102:103], v[104:105]
	v_rcp_f64_e32 v[118:119], v[116:117]
	v_fma_f64 v[120:121], -v[116:117], v[118:119], 1.0
	v_fma_f64 v[118:119], v[118:119], v[120:121], v[118:119]
	v_div_scale_f64 v[120:121], vcc, v[104:105], v[102:103], v[104:105]
	v_fma_f64 v[122:123], -v[116:117], v[118:119], 1.0
	v_fma_f64 v[118:119], v[118:119], v[122:123], v[118:119]
	v_mul_f64 v[122:123], v[120:121], v[118:119]
	v_fma_f64 v[116:117], -v[116:117], v[122:123], v[120:121]
	v_div_fmas_f64 v[116:117], v[116:117], v[118:119], v[122:123]
	v_div_fixup_f64 v[116:117], v[116:117], v[102:103], v[104:105]
	v_fma_f64 v[102:103], v[104:105], v[116:117], v[102:103]
	v_div_scale_f64 v[104:105], s[20:21], v[102:103], v[102:103], 1.0
	v_div_scale_f64 v[122:123], vcc, 1.0, v[102:103], 1.0
	v_rcp_f64_e32 v[118:119], v[104:105]
	v_fma_f64 v[120:121], -v[104:105], v[118:119], 1.0
	v_fma_f64 v[118:119], v[118:119], v[120:121], v[118:119]
	v_fma_f64 v[120:121], -v[104:105], v[118:119], 1.0
	v_fma_f64 v[118:119], v[118:119], v[120:121], v[118:119]
	v_mul_f64 v[120:121], v[122:123], v[118:119]
	v_fma_f64 v[104:105], -v[104:105], v[120:121], v[122:123]
	v_div_fmas_f64 v[104:105], v[104:105], v[118:119], v[120:121]
	v_div_fixup_f64 v[102:103], v[104:105], v[102:103], 1.0
	v_mul_f64 v[104:105], v[116:117], -v[102:103]
.LBB48_135:
	s_or_b64 exec, exec, s[8:9]
.LBB48_136:
	s_or_b64 exec, exec, s[0:1]
	v_cmp_ne_u32_e32 vcc, v112, v110
	s_and_saveexec_b64 s[0:1], vcc
	s_xor_b64 s[0:1], exec, s[0:1]
	s_cbranch_execz .LBB48_142
; %bb.137:
	v_cmp_eq_u32_e32 vcc, 6, v112
	s_and_saveexec_b64 s[8:9], vcc
	s_cbranch_execz .LBB48_141
; %bb.138:
	v_cmp_ne_u32_e32 vcc, 6, v110
	s_xor_b64 s[20:21], s[18:19], -1
	s_and_b64 s[24:25], s[20:21], vcc
	s_and_saveexec_b64 s[20:21], s[24:25]
	s_cbranch_execz .LBB48_140
; %bb.139:
	v_ashrrev_i32_e32 v111, 31, v110
	v_lshlrev_b64 v[111:112], 2, v[110:111]
	v_add_co_u32_e32 v111, vcc, v108, v111
	v_addc_co_u32_e32 v112, vcc, v109, v112, vcc
	global_load_dword v0, v[111:112], off
	global_load_dword v116, v[108:109], off offset:24
	s_waitcnt vmcnt(1)
	global_store_dword v[108:109], v0, off offset:24
	s_waitcnt vmcnt(1)
	global_store_dword v[111:112], v116, off
.LBB48_140:
	s_or_b64 exec, exec, s[20:21]
	v_mov_b32_e32 v112, v110
	v_mov_b32_e32 v0, v110
.LBB48_141:
	s_or_b64 exec, exec, s[8:9]
.LBB48_142:
	s_andn2_saveexec_b64 s[0:1], s[0:1]
	s_cbranch_execz .LBB48_144
; %bb.143:
	v_mov_b32_e32 v112, 6
	ds_write2_b64 v1, v[66:67], v[68:69] offset0:14 offset1:15
	ds_write2_b64 v1, v[62:63], v[64:65] offset0:16 offset1:17
	;; [unrolled: 1-line block ×18, first 2 shown]
.LBB48_144:
	s_or_b64 exec, exec, s[0:1]
	v_cmp_lt_i32_e32 vcc, 6, v112
	s_waitcnt vmcnt(0) lgkmcnt(0)
	s_barrier
	s_and_saveexec_b64 s[0:1], vcc
	s_cbranch_execz .LBB48_146
; %bb.145:
	v_mul_f64 v[110:111], v[104:105], v[72:73]
	v_mul_f64 v[72:73], v[102:103], v[72:73]
	v_fma_f64 v[110:111], v[102:103], v[70:71], -v[110:111]
	v_fma_f64 v[72:73], v[104:105], v[70:71], v[72:73]
	ds_read2_b64 v[102:105], v1 offset0:14 offset1:15
	s_waitcnt lgkmcnt(0)
	v_mul_f64 v[70:71], v[104:105], v[72:73]
	v_fma_f64 v[70:71], v[102:103], v[110:111], -v[70:71]
	v_mul_f64 v[102:103], v[102:103], v[72:73]
	v_add_f64 v[66:67], v[66:67], -v[70:71]
	v_fma_f64 v[102:103], v[104:105], v[110:111], v[102:103]
	v_add_f64 v[68:69], v[68:69], -v[102:103]
	ds_read2_b64 v[102:105], v1 offset0:16 offset1:17
	s_waitcnt lgkmcnt(0)
	v_mul_f64 v[70:71], v[104:105], v[72:73]
	v_fma_f64 v[70:71], v[102:103], v[110:111], -v[70:71]
	v_mul_f64 v[102:103], v[102:103], v[72:73]
	v_add_f64 v[62:63], v[62:63], -v[70:71]
	v_fma_f64 v[102:103], v[104:105], v[110:111], v[102:103]
	v_add_f64 v[64:65], v[64:65], -v[102:103]
	;; [unrolled: 8-line block ×17, first 2 shown]
	ds_read2_b64 v[102:105], v1 offset0:48 offset1:49
	s_waitcnt lgkmcnt(0)
	v_mul_f64 v[70:71], v[104:105], v[72:73]
	v_fma_f64 v[70:71], v[102:103], v[110:111], -v[70:71]
	v_mul_f64 v[102:103], v[102:103], v[72:73]
	v_add_f64 v[98:99], v[98:99], -v[70:71]
	v_fma_f64 v[102:103], v[104:105], v[110:111], v[102:103]
	v_mov_b32_e32 v70, v110
	v_mov_b32_e32 v71, v111
	v_add_f64 v[100:101], v[100:101], -v[102:103]
.LBB48_146:
	s_or_b64 exec, exec, s[0:1]
	v_lshl_add_u32 v102, v112, 4, v1
	s_barrier
	ds_write2_b64 v102, v[66:67], v[68:69] offset1:1
	s_waitcnt lgkmcnt(0)
	s_barrier
	ds_read2_b64 v[102:105], v1 offset0:14 offset1:15
	s_cmp_lt_i32 s22, 9
	v_mov_b32_e32 v110, 7
	s_cbranch_scc1 .LBB48_149
; %bb.147:
	v_add_u32_e32 v111, 0x80, v1
	s_mov_b32 s7, 8
	v_mov_b32_e32 v110, 7
.LBB48_148:                             ; =>This Inner Loop Header: Depth=1
	s_waitcnt lgkmcnt(0)
	v_cmp_gt_f64_e32 vcc, 0, v[104:105]
	v_cmp_gt_f64_e64 s[0:1], 0, v[102:103]
	ds_read2_b64 v[116:119], v111 offset1:1
	v_xor_b32_e32 v121, 0x80000000, v103
	v_xor_b32_e32 v123, 0x80000000, v105
	v_mov_b32_e32 v120, v102
	v_mov_b32_e32 v122, v104
	s_waitcnt lgkmcnt(0)
	v_xor_b32_e32 v125, 0x80000000, v119
	v_cndmask_b32_e32 v123, v105, v123, vcc
	v_cndmask_b32_e64 v121, v103, v121, s[0:1]
	v_cmp_gt_f64_e32 vcc, 0, v[118:119]
	v_cmp_gt_f64_e64 s[0:1], 0, v[116:117]
	v_add_f64 v[120:121], v[120:121], v[122:123]
	v_xor_b32_e32 v123, 0x80000000, v117
	v_mov_b32_e32 v122, v116
	v_mov_b32_e32 v124, v118
	v_add_u32_e32 v111, 16, v111
	v_cndmask_b32_e32 v125, v119, v125, vcc
	v_cndmask_b32_e64 v123, v117, v123, s[0:1]
	v_add_f64 v[122:123], v[122:123], v[124:125]
	v_mov_b32_e32 v124, s7
	s_add_i32 s7, s7, 1
	s_cmp_lg_u32 s22, s7
	v_cmp_lt_f64_e32 vcc, v[120:121], v[122:123]
	v_cndmask_b32_e32 v103, v103, v117, vcc
	v_cndmask_b32_e32 v102, v102, v116, vcc
	;; [unrolled: 1-line block ×5, first 2 shown]
	s_cbranch_scc1 .LBB48_148
.LBB48_149:
	s_waitcnt lgkmcnt(0)
	v_cmp_eq_f64_e32 vcc, 0, v[102:103]
	v_cmp_eq_f64_e64 s[0:1], 0, v[104:105]
	s_and_b64 s[0:1], vcc, s[0:1]
	s_and_saveexec_b64 s[8:9], s[0:1]
	s_xor_b64 s[0:1], exec, s[8:9]
; %bb.150:
	v_cmp_ne_u32_e32 vcc, 0, v115
	v_cndmask_b32_e32 v115, 8, v115, vcc
; %bb.151:
	s_andn2_saveexec_b64 s[0:1], s[0:1]
	s_cbranch_execz .LBB48_157
; %bb.152:
	v_cmp_ngt_f64_e64 s[8:9], |v[102:103]|, |v[104:105]|
	s_and_saveexec_b64 s[20:21], s[8:9]
	s_xor_b64 s[8:9], exec, s[20:21]
	s_cbranch_execz .LBB48_154
; %bb.153:
	v_div_scale_f64 v[116:117], s[20:21], v[104:105], v[104:105], v[102:103]
	v_rcp_f64_e32 v[118:119], v[116:117]
	v_fma_f64 v[120:121], -v[116:117], v[118:119], 1.0
	v_fma_f64 v[118:119], v[118:119], v[120:121], v[118:119]
	v_div_scale_f64 v[120:121], vcc, v[102:103], v[104:105], v[102:103]
	v_fma_f64 v[122:123], -v[116:117], v[118:119], 1.0
	v_fma_f64 v[118:119], v[118:119], v[122:123], v[118:119]
	v_mul_f64 v[122:123], v[120:121], v[118:119]
	v_fma_f64 v[116:117], -v[116:117], v[122:123], v[120:121]
	v_div_fmas_f64 v[116:117], v[116:117], v[118:119], v[122:123]
	v_div_fixup_f64 v[116:117], v[116:117], v[104:105], v[102:103]
	v_fma_f64 v[102:103], v[102:103], v[116:117], v[104:105]
	v_div_scale_f64 v[104:105], s[20:21], v[102:103], v[102:103], 1.0
	v_div_scale_f64 v[122:123], vcc, 1.0, v[102:103], 1.0
	v_rcp_f64_e32 v[118:119], v[104:105]
	v_fma_f64 v[120:121], -v[104:105], v[118:119], 1.0
	v_fma_f64 v[118:119], v[118:119], v[120:121], v[118:119]
	v_fma_f64 v[120:121], -v[104:105], v[118:119], 1.0
	v_fma_f64 v[118:119], v[118:119], v[120:121], v[118:119]
	v_mul_f64 v[120:121], v[122:123], v[118:119]
	v_fma_f64 v[104:105], -v[104:105], v[120:121], v[122:123]
	v_div_fmas_f64 v[104:105], v[104:105], v[118:119], v[120:121]
	v_div_fixup_f64 v[104:105], v[104:105], v[102:103], 1.0
	v_mul_f64 v[102:103], v[116:117], v[104:105]
	v_xor_b32_e32 v105, 0x80000000, v105
.LBB48_154:
	s_andn2_saveexec_b64 s[8:9], s[8:9]
	s_cbranch_execz .LBB48_156
; %bb.155:
	v_div_scale_f64 v[116:117], s[20:21], v[102:103], v[102:103], v[104:105]
	v_rcp_f64_e32 v[118:119], v[116:117]
	v_fma_f64 v[120:121], -v[116:117], v[118:119], 1.0
	v_fma_f64 v[118:119], v[118:119], v[120:121], v[118:119]
	v_div_scale_f64 v[120:121], vcc, v[104:105], v[102:103], v[104:105]
	v_fma_f64 v[122:123], -v[116:117], v[118:119], 1.0
	v_fma_f64 v[118:119], v[118:119], v[122:123], v[118:119]
	v_mul_f64 v[122:123], v[120:121], v[118:119]
	v_fma_f64 v[116:117], -v[116:117], v[122:123], v[120:121]
	v_div_fmas_f64 v[116:117], v[116:117], v[118:119], v[122:123]
	v_div_fixup_f64 v[116:117], v[116:117], v[102:103], v[104:105]
	v_fma_f64 v[102:103], v[104:105], v[116:117], v[102:103]
	v_div_scale_f64 v[104:105], s[20:21], v[102:103], v[102:103], 1.0
	v_div_scale_f64 v[122:123], vcc, 1.0, v[102:103], 1.0
	v_rcp_f64_e32 v[118:119], v[104:105]
	v_fma_f64 v[120:121], -v[104:105], v[118:119], 1.0
	v_fma_f64 v[118:119], v[118:119], v[120:121], v[118:119]
	v_fma_f64 v[120:121], -v[104:105], v[118:119], 1.0
	v_fma_f64 v[118:119], v[118:119], v[120:121], v[118:119]
	v_mul_f64 v[120:121], v[122:123], v[118:119]
	v_fma_f64 v[104:105], -v[104:105], v[120:121], v[122:123]
	v_div_fmas_f64 v[104:105], v[104:105], v[118:119], v[120:121]
	v_div_fixup_f64 v[102:103], v[104:105], v[102:103], 1.0
	v_mul_f64 v[104:105], v[116:117], -v[102:103]
.LBB48_156:
	s_or_b64 exec, exec, s[8:9]
.LBB48_157:
	s_or_b64 exec, exec, s[0:1]
	v_cmp_ne_u32_e32 vcc, v112, v110
	s_and_saveexec_b64 s[0:1], vcc
	s_xor_b64 s[0:1], exec, s[0:1]
	s_cbranch_execz .LBB48_163
; %bb.158:
	v_cmp_eq_u32_e32 vcc, 7, v112
	s_and_saveexec_b64 s[8:9], vcc
	s_cbranch_execz .LBB48_162
; %bb.159:
	v_cmp_ne_u32_e32 vcc, 7, v110
	s_xor_b64 s[20:21], s[18:19], -1
	s_and_b64 s[24:25], s[20:21], vcc
	s_and_saveexec_b64 s[20:21], s[24:25]
	s_cbranch_execz .LBB48_161
; %bb.160:
	v_ashrrev_i32_e32 v111, 31, v110
	v_lshlrev_b64 v[111:112], 2, v[110:111]
	v_add_co_u32_e32 v111, vcc, v108, v111
	v_addc_co_u32_e32 v112, vcc, v109, v112, vcc
	global_load_dword v0, v[111:112], off
	global_load_dword v116, v[108:109], off offset:28
	s_waitcnt vmcnt(1)
	global_store_dword v[108:109], v0, off offset:28
	s_waitcnt vmcnt(1)
	global_store_dword v[111:112], v116, off
.LBB48_161:
	s_or_b64 exec, exec, s[20:21]
	v_mov_b32_e32 v112, v110
	v_mov_b32_e32 v0, v110
.LBB48_162:
	s_or_b64 exec, exec, s[8:9]
.LBB48_163:
	s_andn2_saveexec_b64 s[0:1], s[0:1]
	s_cbranch_execz .LBB48_165
; %bb.164:
	v_mov_b32_e32 v112, 7
	ds_write2_b64 v1, v[62:63], v[64:65] offset0:16 offset1:17
	ds_write2_b64 v1, v[58:59], v[60:61] offset0:18 offset1:19
	;; [unrolled: 1-line block ×17, first 2 shown]
.LBB48_165:
	s_or_b64 exec, exec, s[0:1]
	v_cmp_lt_i32_e32 vcc, 7, v112
	s_waitcnt vmcnt(0) lgkmcnt(0)
	s_barrier
	s_and_saveexec_b64 s[0:1], vcc
	s_cbranch_execz .LBB48_167
; %bb.166:
	v_mul_f64 v[110:111], v[104:105], v[68:69]
	v_mul_f64 v[68:69], v[102:103], v[68:69]
	v_fma_f64 v[110:111], v[102:103], v[66:67], -v[110:111]
	v_fma_f64 v[68:69], v[104:105], v[66:67], v[68:69]
	ds_read2_b64 v[102:105], v1 offset0:16 offset1:17
	s_waitcnt lgkmcnt(0)
	v_mul_f64 v[66:67], v[104:105], v[68:69]
	v_fma_f64 v[66:67], v[102:103], v[110:111], -v[66:67]
	v_mul_f64 v[102:103], v[102:103], v[68:69]
	v_add_f64 v[62:63], v[62:63], -v[66:67]
	v_fma_f64 v[102:103], v[104:105], v[110:111], v[102:103]
	v_add_f64 v[64:65], v[64:65], -v[102:103]
	ds_read2_b64 v[102:105], v1 offset0:18 offset1:19
	s_waitcnt lgkmcnt(0)
	v_mul_f64 v[66:67], v[104:105], v[68:69]
	v_fma_f64 v[66:67], v[102:103], v[110:111], -v[66:67]
	v_mul_f64 v[102:103], v[102:103], v[68:69]
	v_add_f64 v[58:59], v[58:59], -v[66:67]
	v_fma_f64 v[102:103], v[104:105], v[110:111], v[102:103]
	v_add_f64 v[60:61], v[60:61], -v[102:103]
	;; [unrolled: 8-line block ×16, first 2 shown]
	ds_read2_b64 v[102:105], v1 offset0:48 offset1:49
	s_waitcnt lgkmcnt(0)
	v_mul_f64 v[66:67], v[104:105], v[68:69]
	v_fma_f64 v[66:67], v[102:103], v[110:111], -v[66:67]
	v_mul_f64 v[102:103], v[102:103], v[68:69]
	v_add_f64 v[98:99], v[98:99], -v[66:67]
	v_fma_f64 v[102:103], v[104:105], v[110:111], v[102:103]
	v_mov_b32_e32 v66, v110
	v_mov_b32_e32 v67, v111
	v_add_f64 v[100:101], v[100:101], -v[102:103]
.LBB48_167:
	s_or_b64 exec, exec, s[0:1]
	v_lshl_add_u32 v102, v112, 4, v1
	s_barrier
	ds_write2_b64 v102, v[62:63], v[64:65] offset1:1
	s_waitcnt lgkmcnt(0)
	s_barrier
	ds_read2_b64 v[102:105], v1 offset0:16 offset1:17
	s_cmp_lt_i32 s22, 10
	v_mov_b32_e32 v110, 8
	s_cbranch_scc1 .LBB48_170
; %bb.168:
	v_add_u32_e32 v111, 0x90, v1
	s_mov_b32 s7, 9
	v_mov_b32_e32 v110, 8
.LBB48_169:                             ; =>This Inner Loop Header: Depth=1
	s_waitcnt lgkmcnt(0)
	v_cmp_gt_f64_e32 vcc, 0, v[104:105]
	v_cmp_gt_f64_e64 s[0:1], 0, v[102:103]
	ds_read2_b64 v[116:119], v111 offset1:1
	v_xor_b32_e32 v121, 0x80000000, v103
	v_xor_b32_e32 v123, 0x80000000, v105
	v_mov_b32_e32 v120, v102
	v_mov_b32_e32 v122, v104
	s_waitcnt lgkmcnt(0)
	v_xor_b32_e32 v125, 0x80000000, v119
	v_cndmask_b32_e32 v123, v105, v123, vcc
	v_cndmask_b32_e64 v121, v103, v121, s[0:1]
	v_cmp_gt_f64_e32 vcc, 0, v[118:119]
	v_cmp_gt_f64_e64 s[0:1], 0, v[116:117]
	v_add_f64 v[120:121], v[120:121], v[122:123]
	v_xor_b32_e32 v123, 0x80000000, v117
	v_mov_b32_e32 v122, v116
	v_mov_b32_e32 v124, v118
	v_add_u32_e32 v111, 16, v111
	v_cndmask_b32_e32 v125, v119, v125, vcc
	v_cndmask_b32_e64 v123, v117, v123, s[0:1]
	v_add_f64 v[122:123], v[122:123], v[124:125]
	v_mov_b32_e32 v124, s7
	s_add_i32 s7, s7, 1
	s_cmp_lg_u32 s22, s7
	v_cmp_lt_f64_e32 vcc, v[120:121], v[122:123]
	v_cndmask_b32_e32 v103, v103, v117, vcc
	v_cndmask_b32_e32 v102, v102, v116, vcc
	;; [unrolled: 1-line block ×5, first 2 shown]
	s_cbranch_scc1 .LBB48_169
.LBB48_170:
	s_waitcnt lgkmcnt(0)
	v_cmp_eq_f64_e32 vcc, 0, v[102:103]
	v_cmp_eq_f64_e64 s[0:1], 0, v[104:105]
	s_and_b64 s[0:1], vcc, s[0:1]
	s_and_saveexec_b64 s[8:9], s[0:1]
	s_xor_b64 s[0:1], exec, s[8:9]
; %bb.171:
	v_cmp_ne_u32_e32 vcc, 0, v115
	v_cndmask_b32_e32 v115, 9, v115, vcc
; %bb.172:
	s_andn2_saveexec_b64 s[0:1], s[0:1]
	s_cbranch_execz .LBB48_178
; %bb.173:
	v_cmp_ngt_f64_e64 s[8:9], |v[102:103]|, |v[104:105]|
	s_and_saveexec_b64 s[20:21], s[8:9]
	s_xor_b64 s[8:9], exec, s[20:21]
	s_cbranch_execz .LBB48_175
; %bb.174:
	v_div_scale_f64 v[116:117], s[20:21], v[104:105], v[104:105], v[102:103]
	v_rcp_f64_e32 v[118:119], v[116:117]
	v_fma_f64 v[120:121], -v[116:117], v[118:119], 1.0
	v_fma_f64 v[118:119], v[118:119], v[120:121], v[118:119]
	v_div_scale_f64 v[120:121], vcc, v[102:103], v[104:105], v[102:103]
	v_fma_f64 v[122:123], -v[116:117], v[118:119], 1.0
	v_fma_f64 v[118:119], v[118:119], v[122:123], v[118:119]
	v_mul_f64 v[122:123], v[120:121], v[118:119]
	v_fma_f64 v[116:117], -v[116:117], v[122:123], v[120:121]
	v_div_fmas_f64 v[116:117], v[116:117], v[118:119], v[122:123]
	v_div_fixup_f64 v[116:117], v[116:117], v[104:105], v[102:103]
	v_fma_f64 v[102:103], v[102:103], v[116:117], v[104:105]
	v_div_scale_f64 v[104:105], s[20:21], v[102:103], v[102:103], 1.0
	v_div_scale_f64 v[122:123], vcc, 1.0, v[102:103], 1.0
	v_rcp_f64_e32 v[118:119], v[104:105]
	v_fma_f64 v[120:121], -v[104:105], v[118:119], 1.0
	v_fma_f64 v[118:119], v[118:119], v[120:121], v[118:119]
	v_fma_f64 v[120:121], -v[104:105], v[118:119], 1.0
	v_fma_f64 v[118:119], v[118:119], v[120:121], v[118:119]
	v_mul_f64 v[120:121], v[122:123], v[118:119]
	v_fma_f64 v[104:105], -v[104:105], v[120:121], v[122:123]
	v_div_fmas_f64 v[104:105], v[104:105], v[118:119], v[120:121]
	v_div_fixup_f64 v[104:105], v[104:105], v[102:103], 1.0
	v_mul_f64 v[102:103], v[116:117], v[104:105]
	v_xor_b32_e32 v105, 0x80000000, v105
.LBB48_175:
	s_andn2_saveexec_b64 s[8:9], s[8:9]
	s_cbranch_execz .LBB48_177
; %bb.176:
	v_div_scale_f64 v[116:117], s[20:21], v[102:103], v[102:103], v[104:105]
	v_rcp_f64_e32 v[118:119], v[116:117]
	v_fma_f64 v[120:121], -v[116:117], v[118:119], 1.0
	v_fma_f64 v[118:119], v[118:119], v[120:121], v[118:119]
	v_div_scale_f64 v[120:121], vcc, v[104:105], v[102:103], v[104:105]
	v_fma_f64 v[122:123], -v[116:117], v[118:119], 1.0
	v_fma_f64 v[118:119], v[118:119], v[122:123], v[118:119]
	v_mul_f64 v[122:123], v[120:121], v[118:119]
	v_fma_f64 v[116:117], -v[116:117], v[122:123], v[120:121]
	v_div_fmas_f64 v[116:117], v[116:117], v[118:119], v[122:123]
	v_div_fixup_f64 v[116:117], v[116:117], v[102:103], v[104:105]
	v_fma_f64 v[102:103], v[104:105], v[116:117], v[102:103]
	v_div_scale_f64 v[104:105], s[20:21], v[102:103], v[102:103], 1.0
	v_div_scale_f64 v[122:123], vcc, 1.0, v[102:103], 1.0
	v_rcp_f64_e32 v[118:119], v[104:105]
	v_fma_f64 v[120:121], -v[104:105], v[118:119], 1.0
	v_fma_f64 v[118:119], v[118:119], v[120:121], v[118:119]
	v_fma_f64 v[120:121], -v[104:105], v[118:119], 1.0
	v_fma_f64 v[118:119], v[118:119], v[120:121], v[118:119]
	v_mul_f64 v[120:121], v[122:123], v[118:119]
	v_fma_f64 v[104:105], -v[104:105], v[120:121], v[122:123]
	v_div_fmas_f64 v[104:105], v[104:105], v[118:119], v[120:121]
	v_div_fixup_f64 v[102:103], v[104:105], v[102:103], 1.0
	v_mul_f64 v[104:105], v[116:117], -v[102:103]
.LBB48_177:
	s_or_b64 exec, exec, s[8:9]
.LBB48_178:
	s_or_b64 exec, exec, s[0:1]
	v_cmp_ne_u32_e32 vcc, v112, v110
	s_and_saveexec_b64 s[0:1], vcc
	s_xor_b64 s[0:1], exec, s[0:1]
	s_cbranch_execz .LBB48_184
; %bb.179:
	v_cmp_eq_u32_e32 vcc, 8, v112
	s_and_saveexec_b64 s[8:9], vcc
	s_cbranch_execz .LBB48_183
; %bb.180:
	v_cmp_ne_u32_e32 vcc, 8, v110
	s_xor_b64 s[20:21], s[18:19], -1
	s_and_b64 s[24:25], s[20:21], vcc
	s_and_saveexec_b64 s[20:21], s[24:25]
	s_cbranch_execz .LBB48_182
; %bb.181:
	v_ashrrev_i32_e32 v111, 31, v110
	v_lshlrev_b64 v[111:112], 2, v[110:111]
	v_add_co_u32_e32 v111, vcc, v108, v111
	v_addc_co_u32_e32 v112, vcc, v109, v112, vcc
	global_load_dword v0, v[111:112], off
	global_load_dword v116, v[108:109], off offset:32
	s_waitcnt vmcnt(1)
	global_store_dword v[108:109], v0, off offset:32
	s_waitcnt vmcnt(1)
	global_store_dword v[111:112], v116, off
.LBB48_182:
	s_or_b64 exec, exec, s[20:21]
	v_mov_b32_e32 v112, v110
	v_mov_b32_e32 v0, v110
.LBB48_183:
	s_or_b64 exec, exec, s[8:9]
.LBB48_184:
	s_andn2_saveexec_b64 s[0:1], s[0:1]
	s_cbranch_execz .LBB48_186
; %bb.185:
	v_mov_b32_e32 v112, 8
	ds_write2_b64 v1, v[58:59], v[60:61] offset0:18 offset1:19
	ds_write2_b64 v1, v[54:55], v[56:57] offset0:20 offset1:21
	;; [unrolled: 1-line block ×16, first 2 shown]
.LBB48_186:
	s_or_b64 exec, exec, s[0:1]
	v_cmp_lt_i32_e32 vcc, 8, v112
	s_waitcnt vmcnt(0) lgkmcnt(0)
	s_barrier
	s_and_saveexec_b64 s[0:1], vcc
	s_cbranch_execz .LBB48_188
; %bb.187:
	v_mul_f64 v[110:111], v[102:103], v[64:65]
	v_mul_f64 v[64:65], v[104:105], v[64:65]
	v_fma_f64 v[110:111], v[104:105], v[62:63], v[110:111]
	v_fma_f64 v[62:63], v[102:103], v[62:63], -v[64:65]
	ds_read2_b64 v[102:105], v1 offset0:18 offset1:19
	s_waitcnt lgkmcnt(0)
	v_mul_f64 v[64:65], v[104:105], v[110:111]
	v_fma_f64 v[64:65], v[102:103], v[62:63], -v[64:65]
	v_mul_f64 v[102:103], v[102:103], v[110:111]
	v_add_f64 v[58:59], v[58:59], -v[64:65]
	v_fma_f64 v[102:103], v[104:105], v[62:63], v[102:103]
	v_add_f64 v[60:61], v[60:61], -v[102:103]
	ds_read2_b64 v[102:105], v1 offset0:20 offset1:21
	s_waitcnt lgkmcnt(0)
	v_mul_f64 v[64:65], v[104:105], v[110:111]
	v_fma_f64 v[64:65], v[102:103], v[62:63], -v[64:65]
	v_mul_f64 v[102:103], v[102:103], v[110:111]
	v_add_f64 v[54:55], v[54:55], -v[64:65]
	v_fma_f64 v[102:103], v[104:105], v[62:63], v[102:103]
	v_add_f64 v[56:57], v[56:57], -v[102:103]
	;; [unrolled: 8-line block ×15, first 2 shown]
	ds_read2_b64 v[102:105], v1 offset0:48 offset1:49
	s_waitcnt lgkmcnt(0)
	v_mul_f64 v[64:65], v[104:105], v[110:111]
	v_fma_f64 v[64:65], v[102:103], v[62:63], -v[64:65]
	v_mul_f64 v[102:103], v[102:103], v[110:111]
	v_add_f64 v[98:99], v[98:99], -v[64:65]
	v_fma_f64 v[102:103], v[104:105], v[62:63], v[102:103]
	v_mov_b32_e32 v64, v110
	v_mov_b32_e32 v65, v111
	v_add_f64 v[100:101], v[100:101], -v[102:103]
.LBB48_188:
	s_or_b64 exec, exec, s[0:1]
	v_lshl_add_u32 v102, v112, 4, v1
	s_barrier
	ds_write2_b64 v102, v[58:59], v[60:61] offset1:1
	s_waitcnt lgkmcnt(0)
	s_barrier
	ds_read2_b64 v[102:105], v1 offset0:18 offset1:19
	s_cmp_lt_i32 s22, 11
	v_mov_b32_e32 v110, 9
	s_cbranch_scc1 .LBB48_191
; %bb.189:
	v_add_u32_e32 v111, 0xa0, v1
	s_mov_b32 s7, 10
	v_mov_b32_e32 v110, 9
.LBB48_190:                             ; =>This Inner Loop Header: Depth=1
	s_waitcnt lgkmcnt(0)
	v_cmp_gt_f64_e32 vcc, 0, v[104:105]
	v_cmp_gt_f64_e64 s[0:1], 0, v[102:103]
	ds_read2_b64 v[116:119], v111 offset1:1
	v_xor_b32_e32 v121, 0x80000000, v103
	v_xor_b32_e32 v123, 0x80000000, v105
	v_mov_b32_e32 v120, v102
	v_mov_b32_e32 v122, v104
	s_waitcnt lgkmcnt(0)
	v_xor_b32_e32 v125, 0x80000000, v119
	v_cndmask_b32_e32 v123, v105, v123, vcc
	v_cndmask_b32_e64 v121, v103, v121, s[0:1]
	v_cmp_gt_f64_e32 vcc, 0, v[118:119]
	v_cmp_gt_f64_e64 s[0:1], 0, v[116:117]
	v_add_f64 v[120:121], v[120:121], v[122:123]
	v_xor_b32_e32 v123, 0x80000000, v117
	v_mov_b32_e32 v122, v116
	v_mov_b32_e32 v124, v118
	v_add_u32_e32 v111, 16, v111
	v_cndmask_b32_e32 v125, v119, v125, vcc
	v_cndmask_b32_e64 v123, v117, v123, s[0:1]
	v_add_f64 v[122:123], v[122:123], v[124:125]
	v_mov_b32_e32 v124, s7
	s_add_i32 s7, s7, 1
	s_cmp_lg_u32 s22, s7
	v_cmp_lt_f64_e32 vcc, v[120:121], v[122:123]
	v_cndmask_b32_e32 v103, v103, v117, vcc
	v_cndmask_b32_e32 v102, v102, v116, vcc
	v_cndmask_b32_e32 v105, v105, v119, vcc
	v_cndmask_b32_e32 v104, v104, v118, vcc
	v_cndmask_b32_e32 v110, v110, v124, vcc
	s_cbranch_scc1 .LBB48_190
.LBB48_191:
	s_waitcnt lgkmcnt(0)
	v_cmp_eq_f64_e32 vcc, 0, v[102:103]
	v_cmp_eq_f64_e64 s[0:1], 0, v[104:105]
	s_and_b64 s[0:1], vcc, s[0:1]
	s_and_saveexec_b64 s[8:9], s[0:1]
	s_xor_b64 s[0:1], exec, s[8:9]
; %bb.192:
	v_cmp_ne_u32_e32 vcc, 0, v115
	v_cndmask_b32_e32 v115, 10, v115, vcc
; %bb.193:
	s_andn2_saveexec_b64 s[0:1], s[0:1]
	s_cbranch_execz .LBB48_199
; %bb.194:
	v_cmp_ngt_f64_e64 s[8:9], |v[102:103]|, |v[104:105]|
	s_and_saveexec_b64 s[20:21], s[8:9]
	s_xor_b64 s[8:9], exec, s[20:21]
	s_cbranch_execz .LBB48_196
; %bb.195:
	v_div_scale_f64 v[116:117], s[20:21], v[104:105], v[104:105], v[102:103]
	v_rcp_f64_e32 v[118:119], v[116:117]
	v_fma_f64 v[120:121], -v[116:117], v[118:119], 1.0
	v_fma_f64 v[118:119], v[118:119], v[120:121], v[118:119]
	v_div_scale_f64 v[120:121], vcc, v[102:103], v[104:105], v[102:103]
	v_fma_f64 v[122:123], -v[116:117], v[118:119], 1.0
	v_fma_f64 v[118:119], v[118:119], v[122:123], v[118:119]
	v_mul_f64 v[122:123], v[120:121], v[118:119]
	v_fma_f64 v[116:117], -v[116:117], v[122:123], v[120:121]
	v_div_fmas_f64 v[116:117], v[116:117], v[118:119], v[122:123]
	v_div_fixup_f64 v[116:117], v[116:117], v[104:105], v[102:103]
	v_fma_f64 v[102:103], v[102:103], v[116:117], v[104:105]
	v_div_scale_f64 v[104:105], s[20:21], v[102:103], v[102:103], 1.0
	v_div_scale_f64 v[122:123], vcc, 1.0, v[102:103], 1.0
	v_rcp_f64_e32 v[118:119], v[104:105]
	v_fma_f64 v[120:121], -v[104:105], v[118:119], 1.0
	v_fma_f64 v[118:119], v[118:119], v[120:121], v[118:119]
	v_fma_f64 v[120:121], -v[104:105], v[118:119], 1.0
	v_fma_f64 v[118:119], v[118:119], v[120:121], v[118:119]
	v_mul_f64 v[120:121], v[122:123], v[118:119]
	v_fma_f64 v[104:105], -v[104:105], v[120:121], v[122:123]
	v_div_fmas_f64 v[104:105], v[104:105], v[118:119], v[120:121]
	v_div_fixup_f64 v[104:105], v[104:105], v[102:103], 1.0
	v_mul_f64 v[102:103], v[116:117], v[104:105]
	v_xor_b32_e32 v105, 0x80000000, v105
.LBB48_196:
	s_andn2_saveexec_b64 s[8:9], s[8:9]
	s_cbranch_execz .LBB48_198
; %bb.197:
	v_div_scale_f64 v[116:117], s[20:21], v[102:103], v[102:103], v[104:105]
	v_rcp_f64_e32 v[118:119], v[116:117]
	v_fma_f64 v[120:121], -v[116:117], v[118:119], 1.0
	v_fma_f64 v[118:119], v[118:119], v[120:121], v[118:119]
	v_div_scale_f64 v[120:121], vcc, v[104:105], v[102:103], v[104:105]
	v_fma_f64 v[122:123], -v[116:117], v[118:119], 1.0
	v_fma_f64 v[118:119], v[118:119], v[122:123], v[118:119]
	v_mul_f64 v[122:123], v[120:121], v[118:119]
	v_fma_f64 v[116:117], -v[116:117], v[122:123], v[120:121]
	v_div_fmas_f64 v[116:117], v[116:117], v[118:119], v[122:123]
	v_div_fixup_f64 v[116:117], v[116:117], v[102:103], v[104:105]
	v_fma_f64 v[102:103], v[104:105], v[116:117], v[102:103]
	v_div_scale_f64 v[104:105], s[20:21], v[102:103], v[102:103], 1.0
	v_div_scale_f64 v[122:123], vcc, 1.0, v[102:103], 1.0
	v_rcp_f64_e32 v[118:119], v[104:105]
	v_fma_f64 v[120:121], -v[104:105], v[118:119], 1.0
	v_fma_f64 v[118:119], v[118:119], v[120:121], v[118:119]
	v_fma_f64 v[120:121], -v[104:105], v[118:119], 1.0
	v_fma_f64 v[118:119], v[118:119], v[120:121], v[118:119]
	v_mul_f64 v[120:121], v[122:123], v[118:119]
	v_fma_f64 v[104:105], -v[104:105], v[120:121], v[122:123]
	v_div_fmas_f64 v[104:105], v[104:105], v[118:119], v[120:121]
	v_div_fixup_f64 v[102:103], v[104:105], v[102:103], 1.0
	v_mul_f64 v[104:105], v[116:117], -v[102:103]
.LBB48_198:
	s_or_b64 exec, exec, s[8:9]
.LBB48_199:
	s_or_b64 exec, exec, s[0:1]
	v_cmp_ne_u32_e32 vcc, v112, v110
	s_and_saveexec_b64 s[0:1], vcc
	s_xor_b64 s[0:1], exec, s[0:1]
	s_cbranch_execz .LBB48_205
; %bb.200:
	v_cmp_eq_u32_e32 vcc, 9, v112
	s_and_saveexec_b64 s[8:9], vcc
	s_cbranch_execz .LBB48_204
; %bb.201:
	v_cmp_ne_u32_e32 vcc, 9, v110
	s_xor_b64 s[20:21], s[18:19], -1
	s_and_b64 s[24:25], s[20:21], vcc
	s_and_saveexec_b64 s[20:21], s[24:25]
	s_cbranch_execz .LBB48_203
; %bb.202:
	v_ashrrev_i32_e32 v111, 31, v110
	v_lshlrev_b64 v[111:112], 2, v[110:111]
	v_add_co_u32_e32 v111, vcc, v108, v111
	v_addc_co_u32_e32 v112, vcc, v109, v112, vcc
	global_load_dword v0, v[111:112], off
	global_load_dword v116, v[108:109], off offset:36
	s_waitcnt vmcnt(1)
	global_store_dword v[108:109], v0, off offset:36
	s_waitcnt vmcnt(1)
	global_store_dword v[111:112], v116, off
.LBB48_203:
	s_or_b64 exec, exec, s[20:21]
	v_mov_b32_e32 v112, v110
	v_mov_b32_e32 v0, v110
.LBB48_204:
	s_or_b64 exec, exec, s[8:9]
.LBB48_205:
	s_andn2_saveexec_b64 s[0:1], s[0:1]
	s_cbranch_execz .LBB48_207
; %bb.206:
	v_mov_b32_e32 v112, 9
	ds_write2_b64 v1, v[54:55], v[56:57] offset0:20 offset1:21
	ds_write2_b64 v1, v[50:51], v[52:53] offset0:22 offset1:23
	ds_write2_b64 v1, v[46:47], v[48:49] offset0:24 offset1:25
	ds_write2_b64 v1, v[42:43], v[44:45] offset0:26 offset1:27
	ds_write2_b64 v1, v[38:39], v[40:41] offset0:28 offset1:29
	ds_write2_b64 v1, v[34:35], v[36:37] offset0:30 offset1:31
	ds_write2_b64 v1, v[30:31], v[32:33] offset0:32 offset1:33
	ds_write2_b64 v1, v[26:27], v[28:29] offset0:34 offset1:35
	ds_write2_b64 v1, v[22:23], v[24:25] offset0:36 offset1:37
	ds_write2_b64 v1, v[18:19], v[20:21] offset0:38 offset1:39
	ds_write2_b64 v1, v[14:15], v[16:17] offset0:40 offset1:41
	ds_write2_b64 v1, v[10:11], v[12:13] offset0:42 offset1:43
	ds_write2_b64 v1, v[6:7], v[8:9] offset0:44 offset1:45
	ds_write2_b64 v1, v[2:3], v[4:5] offset0:46 offset1:47
	ds_write2_b64 v1, v[98:99], v[100:101] offset0:48 offset1:49
.LBB48_207:
	s_or_b64 exec, exec, s[0:1]
	v_cmp_lt_i32_e32 vcc, 9, v112
	s_waitcnt vmcnt(0) lgkmcnt(0)
	s_barrier
	s_and_saveexec_b64 s[0:1], vcc
	s_cbranch_execz .LBB48_209
; %bb.208:
	v_mul_f64 v[110:111], v[102:103], v[60:61]
	v_mul_f64 v[60:61], v[104:105], v[60:61]
	v_fma_f64 v[110:111], v[104:105], v[58:59], v[110:111]
	v_fma_f64 v[58:59], v[102:103], v[58:59], -v[60:61]
	ds_read2_b64 v[102:105], v1 offset0:20 offset1:21
	s_waitcnt lgkmcnt(0)
	v_mul_f64 v[60:61], v[104:105], v[110:111]
	v_fma_f64 v[60:61], v[102:103], v[58:59], -v[60:61]
	v_mul_f64 v[102:103], v[102:103], v[110:111]
	v_add_f64 v[54:55], v[54:55], -v[60:61]
	v_fma_f64 v[102:103], v[104:105], v[58:59], v[102:103]
	v_add_f64 v[56:57], v[56:57], -v[102:103]
	ds_read2_b64 v[102:105], v1 offset0:22 offset1:23
	s_waitcnt lgkmcnt(0)
	v_mul_f64 v[60:61], v[104:105], v[110:111]
	v_fma_f64 v[60:61], v[102:103], v[58:59], -v[60:61]
	v_mul_f64 v[102:103], v[102:103], v[110:111]
	v_add_f64 v[50:51], v[50:51], -v[60:61]
	v_fma_f64 v[102:103], v[104:105], v[58:59], v[102:103]
	v_add_f64 v[52:53], v[52:53], -v[102:103]
	;; [unrolled: 8-line block ×14, first 2 shown]
	ds_read2_b64 v[102:105], v1 offset0:48 offset1:49
	s_waitcnt lgkmcnt(0)
	v_mul_f64 v[60:61], v[104:105], v[110:111]
	v_fma_f64 v[60:61], v[102:103], v[58:59], -v[60:61]
	v_mul_f64 v[102:103], v[102:103], v[110:111]
	v_add_f64 v[98:99], v[98:99], -v[60:61]
	v_fma_f64 v[102:103], v[104:105], v[58:59], v[102:103]
	v_mov_b32_e32 v60, v110
	v_mov_b32_e32 v61, v111
	v_add_f64 v[100:101], v[100:101], -v[102:103]
.LBB48_209:
	s_or_b64 exec, exec, s[0:1]
	v_lshl_add_u32 v102, v112, 4, v1
	s_barrier
	ds_write2_b64 v102, v[54:55], v[56:57] offset1:1
	s_waitcnt lgkmcnt(0)
	s_barrier
	ds_read2_b64 v[102:105], v1 offset0:20 offset1:21
	s_cmp_lt_i32 s22, 12
	v_mov_b32_e32 v110, 10
	s_cbranch_scc1 .LBB48_212
; %bb.210:
	v_add_u32_e32 v111, 0xb0, v1
	s_mov_b32 s7, 11
	v_mov_b32_e32 v110, 10
.LBB48_211:                             ; =>This Inner Loop Header: Depth=1
	s_waitcnt lgkmcnt(0)
	v_cmp_gt_f64_e32 vcc, 0, v[104:105]
	v_cmp_gt_f64_e64 s[0:1], 0, v[102:103]
	ds_read2_b64 v[116:119], v111 offset1:1
	v_xor_b32_e32 v121, 0x80000000, v103
	v_xor_b32_e32 v123, 0x80000000, v105
	v_mov_b32_e32 v120, v102
	v_mov_b32_e32 v122, v104
	s_waitcnt lgkmcnt(0)
	v_xor_b32_e32 v125, 0x80000000, v119
	v_cndmask_b32_e32 v123, v105, v123, vcc
	v_cndmask_b32_e64 v121, v103, v121, s[0:1]
	v_cmp_gt_f64_e32 vcc, 0, v[118:119]
	v_cmp_gt_f64_e64 s[0:1], 0, v[116:117]
	v_add_f64 v[120:121], v[120:121], v[122:123]
	v_xor_b32_e32 v123, 0x80000000, v117
	v_mov_b32_e32 v122, v116
	v_mov_b32_e32 v124, v118
	v_add_u32_e32 v111, 16, v111
	v_cndmask_b32_e32 v125, v119, v125, vcc
	v_cndmask_b32_e64 v123, v117, v123, s[0:1]
	v_add_f64 v[122:123], v[122:123], v[124:125]
	v_mov_b32_e32 v124, s7
	s_add_i32 s7, s7, 1
	s_cmp_lg_u32 s22, s7
	v_cmp_lt_f64_e32 vcc, v[120:121], v[122:123]
	v_cndmask_b32_e32 v103, v103, v117, vcc
	v_cndmask_b32_e32 v102, v102, v116, vcc
	;; [unrolled: 1-line block ×5, first 2 shown]
	s_cbranch_scc1 .LBB48_211
.LBB48_212:
	s_waitcnt lgkmcnt(0)
	v_cmp_eq_f64_e32 vcc, 0, v[102:103]
	v_cmp_eq_f64_e64 s[0:1], 0, v[104:105]
	s_and_b64 s[0:1], vcc, s[0:1]
	s_and_saveexec_b64 s[8:9], s[0:1]
	s_xor_b64 s[0:1], exec, s[8:9]
; %bb.213:
	v_cmp_ne_u32_e32 vcc, 0, v115
	v_cndmask_b32_e32 v115, 11, v115, vcc
; %bb.214:
	s_andn2_saveexec_b64 s[0:1], s[0:1]
	s_cbranch_execz .LBB48_220
; %bb.215:
	v_cmp_ngt_f64_e64 s[8:9], |v[102:103]|, |v[104:105]|
	s_and_saveexec_b64 s[20:21], s[8:9]
	s_xor_b64 s[8:9], exec, s[20:21]
	s_cbranch_execz .LBB48_217
; %bb.216:
	v_div_scale_f64 v[116:117], s[20:21], v[104:105], v[104:105], v[102:103]
	v_rcp_f64_e32 v[118:119], v[116:117]
	v_fma_f64 v[120:121], -v[116:117], v[118:119], 1.0
	v_fma_f64 v[118:119], v[118:119], v[120:121], v[118:119]
	v_div_scale_f64 v[120:121], vcc, v[102:103], v[104:105], v[102:103]
	v_fma_f64 v[122:123], -v[116:117], v[118:119], 1.0
	v_fma_f64 v[118:119], v[118:119], v[122:123], v[118:119]
	v_mul_f64 v[122:123], v[120:121], v[118:119]
	v_fma_f64 v[116:117], -v[116:117], v[122:123], v[120:121]
	v_div_fmas_f64 v[116:117], v[116:117], v[118:119], v[122:123]
	v_div_fixup_f64 v[116:117], v[116:117], v[104:105], v[102:103]
	v_fma_f64 v[102:103], v[102:103], v[116:117], v[104:105]
	v_div_scale_f64 v[104:105], s[20:21], v[102:103], v[102:103], 1.0
	v_div_scale_f64 v[122:123], vcc, 1.0, v[102:103], 1.0
	v_rcp_f64_e32 v[118:119], v[104:105]
	v_fma_f64 v[120:121], -v[104:105], v[118:119], 1.0
	v_fma_f64 v[118:119], v[118:119], v[120:121], v[118:119]
	v_fma_f64 v[120:121], -v[104:105], v[118:119], 1.0
	v_fma_f64 v[118:119], v[118:119], v[120:121], v[118:119]
	v_mul_f64 v[120:121], v[122:123], v[118:119]
	v_fma_f64 v[104:105], -v[104:105], v[120:121], v[122:123]
	v_div_fmas_f64 v[104:105], v[104:105], v[118:119], v[120:121]
	v_div_fixup_f64 v[104:105], v[104:105], v[102:103], 1.0
	v_mul_f64 v[102:103], v[116:117], v[104:105]
	v_xor_b32_e32 v105, 0x80000000, v105
.LBB48_217:
	s_andn2_saveexec_b64 s[8:9], s[8:9]
	s_cbranch_execz .LBB48_219
; %bb.218:
	v_div_scale_f64 v[116:117], s[20:21], v[102:103], v[102:103], v[104:105]
	v_rcp_f64_e32 v[118:119], v[116:117]
	v_fma_f64 v[120:121], -v[116:117], v[118:119], 1.0
	v_fma_f64 v[118:119], v[118:119], v[120:121], v[118:119]
	v_div_scale_f64 v[120:121], vcc, v[104:105], v[102:103], v[104:105]
	v_fma_f64 v[122:123], -v[116:117], v[118:119], 1.0
	v_fma_f64 v[118:119], v[118:119], v[122:123], v[118:119]
	v_mul_f64 v[122:123], v[120:121], v[118:119]
	v_fma_f64 v[116:117], -v[116:117], v[122:123], v[120:121]
	v_div_fmas_f64 v[116:117], v[116:117], v[118:119], v[122:123]
	v_div_fixup_f64 v[116:117], v[116:117], v[102:103], v[104:105]
	v_fma_f64 v[102:103], v[104:105], v[116:117], v[102:103]
	v_div_scale_f64 v[104:105], s[20:21], v[102:103], v[102:103], 1.0
	v_div_scale_f64 v[122:123], vcc, 1.0, v[102:103], 1.0
	v_rcp_f64_e32 v[118:119], v[104:105]
	v_fma_f64 v[120:121], -v[104:105], v[118:119], 1.0
	v_fma_f64 v[118:119], v[118:119], v[120:121], v[118:119]
	v_fma_f64 v[120:121], -v[104:105], v[118:119], 1.0
	v_fma_f64 v[118:119], v[118:119], v[120:121], v[118:119]
	v_mul_f64 v[120:121], v[122:123], v[118:119]
	v_fma_f64 v[104:105], -v[104:105], v[120:121], v[122:123]
	v_div_fmas_f64 v[104:105], v[104:105], v[118:119], v[120:121]
	v_div_fixup_f64 v[102:103], v[104:105], v[102:103], 1.0
	v_mul_f64 v[104:105], v[116:117], -v[102:103]
.LBB48_219:
	s_or_b64 exec, exec, s[8:9]
.LBB48_220:
	s_or_b64 exec, exec, s[0:1]
	v_cmp_ne_u32_e32 vcc, v112, v110
	s_and_saveexec_b64 s[0:1], vcc
	s_xor_b64 s[0:1], exec, s[0:1]
	s_cbranch_execz .LBB48_226
; %bb.221:
	v_cmp_eq_u32_e32 vcc, 10, v112
	s_and_saveexec_b64 s[8:9], vcc
	s_cbranch_execz .LBB48_225
; %bb.222:
	v_cmp_ne_u32_e32 vcc, 10, v110
	s_xor_b64 s[20:21], s[18:19], -1
	s_and_b64 s[24:25], s[20:21], vcc
	s_and_saveexec_b64 s[20:21], s[24:25]
	s_cbranch_execz .LBB48_224
; %bb.223:
	v_ashrrev_i32_e32 v111, 31, v110
	v_lshlrev_b64 v[111:112], 2, v[110:111]
	v_add_co_u32_e32 v111, vcc, v108, v111
	v_addc_co_u32_e32 v112, vcc, v109, v112, vcc
	global_load_dword v0, v[111:112], off
	global_load_dword v116, v[108:109], off offset:40
	s_waitcnt vmcnt(1)
	global_store_dword v[108:109], v0, off offset:40
	s_waitcnt vmcnt(1)
	global_store_dword v[111:112], v116, off
.LBB48_224:
	s_or_b64 exec, exec, s[20:21]
	v_mov_b32_e32 v112, v110
	v_mov_b32_e32 v0, v110
.LBB48_225:
	s_or_b64 exec, exec, s[8:9]
.LBB48_226:
	s_andn2_saveexec_b64 s[0:1], s[0:1]
	s_cbranch_execz .LBB48_228
; %bb.227:
	v_mov_b32_e32 v112, 10
	ds_write2_b64 v1, v[50:51], v[52:53] offset0:22 offset1:23
	ds_write2_b64 v1, v[46:47], v[48:49] offset0:24 offset1:25
	;; [unrolled: 1-line block ×14, first 2 shown]
.LBB48_228:
	s_or_b64 exec, exec, s[0:1]
	v_cmp_lt_i32_e32 vcc, 10, v112
	s_waitcnt vmcnt(0) lgkmcnt(0)
	s_barrier
	s_and_saveexec_b64 s[0:1], vcc
	s_cbranch_execz .LBB48_230
; %bb.229:
	v_mul_f64 v[110:111], v[102:103], v[56:57]
	v_mul_f64 v[56:57], v[104:105], v[56:57]
	v_fma_f64 v[110:111], v[104:105], v[54:55], v[110:111]
	v_fma_f64 v[54:55], v[102:103], v[54:55], -v[56:57]
	ds_read2_b64 v[102:105], v1 offset0:22 offset1:23
	s_waitcnt lgkmcnt(0)
	v_mul_f64 v[56:57], v[104:105], v[110:111]
	v_fma_f64 v[56:57], v[102:103], v[54:55], -v[56:57]
	v_mul_f64 v[102:103], v[102:103], v[110:111]
	v_add_f64 v[50:51], v[50:51], -v[56:57]
	v_fma_f64 v[102:103], v[104:105], v[54:55], v[102:103]
	v_add_f64 v[52:53], v[52:53], -v[102:103]
	ds_read2_b64 v[102:105], v1 offset0:24 offset1:25
	s_waitcnt lgkmcnt(0)
	v_mul_f64 v[56:57], v[104:105], v[110:111]
	v_fma_f64 v[56:57], v[102:103], v[54:55], -v[56:57]
	v_mul_f64 v[102:103], v[102:103], v[110:111]
	v_add_f64 v[46:47], v[46:47], -v[56:57]
	v_fma_f64 v[102:103], v[104:105], v[54:55], v[102:103]
	v_add_f64 v[48:49], v[48:49], -v[102:103]
	;; [unrolled: 8-line block ×13, first 2 shown]
	ds_read2_b64 v[102:105], v1 offset0:48 offset1:49
	s_waitcnt lgkmcnt(0)
	v_mul_f64 v[56:57], v[104:105], v[110:111]
	v_fma_f64 v[56:57], v[102:103], v[54:55], -v[56:57]
	v_mul_f64 v[102:103], v[102:103], v[110:111]
	v_add_f64 v[98:99], v[98:99], -v[56:57]
	v_fma_f64 v[102:103], v[104:105], v[54:55], v[102:103]
	v_mov_b32_e32 v56, v110
	v_mov_b32_e32 v57, v111
	v_add_f64 v[100:101], v[100:101], -v[102:103]
.LBB48_230:
	s_or_b64 exec, exec, s[0:1]
	v_lshl_add_u32 v102, v112, 4, v1
	s_barrier
	ds_write2_b64 v102, v[50:51], v[52:53] offset1:1
	s_waitcnt lgkmcnt(0)
	s_barrier
	ds_read2_b64 v[102:105], v1 offset0:22 offset1:23
	s_cmp_lt_i32 s22, 13
	v_mov_b32_e32 v110, 11
	s_cbranch_scc1 .LBB48_233
; %bb.231:
	v_add_u32_e32 v111, 0xc0, v1
	s_mov_b32 s7, 12
	v_mov_b32_e32 v110, 11
.LBB48_232:                             ; =>This Inner Loop Header: Depth=1
	s_waitcnt lgkmcnt(0)
	v_cmp_gt_f64_e32 vcc, 0, v[104:105]
	v_cmp_gt_f64_e64 s[0:1], 0, v[102:103]
	ds_read2_b64 v[116:119], v111 offset1:1
	v_xor_b32_e32 v121, 0x80000000, v103
	v_xor_b32_e32 v123, 0x80000000, v105
	v_mov_b32_e32 v120, v102
	v_mov_b32_e32 v122, v104
	s_waitcnt lgkmcnt(0)
	v_xor_b32_e32 v125, 0x80000000, v119
	v_cndmask_b32_e32 v123, v105, v123, vcc
	v_cndmask_b32_e64 v121, v103, v121, s[0:1]
	v_cmp_gt_f64_e32 vcc, 0, v[118:119]
	v_cmp_gt_f64_e64 s[0:1], 0, v[116:117]
	v_add_f64 v[120:121], v[120:121], v[122:123]
	v_xor_b32_e32 v123, 0x80000000, v117
	v_mov_b32_e32 v122, v116
	v_mov_b32_e32 v124, v118
	v_add_u32_e32 v111, 16, v111
	v_cndmask_b32_e32 v125, v119, v125, vcc
	v_cndmask_b32_e64 v123, v117, v123, s[0:1]
	v_add_f64 v[122:123], v[122:123], v[124:125]
	v_mov_b32_e32 v124, s7
	s_add_i32 s7, s7, 1
	s_cmp_lg_u32 s22, s7
	v_cmp_lt_f64_e32 vcc, v[120:121], v[122:123]
	v_cndmask_b32_e32 v103, v103, v117, vcc
	v_cndmask_b32_e32 v102, v102, v116, vcc
	;; [unrolled: 1-line block ×5, first 2 shown]
	s_cbranch_scc1 .LBB48_232
.LBB48_233:
	s_waitcnt lgkmcnt(0)
	v_cmp_eq_f64_e32 vcc, 0, v[102:103]
	v_cmp_eq_f64_e64 s[0:1], 0, v[104:105]
	s_and_b64 s[0:1], vcc, s[0:1]
	s_and_saveexec_b64 s[8:9], s[0:1]
	s_xor_b64 s[0:1], exec, s[8:9]
; %bb.234:
	v_cmp_ne_u32_e32 vcc, 0, v115
	v_cndmask_b32_e32 v115, 12, v115, vcc
; %bb.235:
	s_andn2_saveexec_b64 s[0:1], s[0:1]
	s_cbranch_execz .LBB48_241
; %bb.236:
	v_cmp_ngt_f64_e64 s[8:9], |v[102:103]|, |v[104:105]|
	s_and_saveexec_b64 s[20:21], s[8:9]
	s_xor_b64 s[8:9], exec, s[20:21]
	s_cbranch_execz .LBB48_238
; %bb.237:
	v_div_scale_f64 v[116:117], s[20:21], v[104:105], v[104:105], v[102:103]
	v_rcp_f64_e32 v[118:119], v[116:117]
	v_fma_f64 v[120:121], -v[116:117], v[118:119], 1.0
	v_fma_f64 v[118:119], v[118:119], v[120:121], v[118:119]
	v_div_scale_f64 v[120:121], vcc, v[102:103], v[104:105], v[102:103]
	v_fma_f64 v[122:123], -v[116:117], v[118:119], 1.0
	v_fma_f64 v[118:119], v[118:119], v[122:123], v[118:119]
	v_mul_f64 v[122:123], v[120:121], v[118:119]
	v_fma_f64 v[116:117], -v[116:117], v[122:123], v[120:121]
	v_div_fmas_f64 v[116:117], v[116:117], v[118:119], v[122:123]
	v_div_fixup_f64 v[116:117], v[116:117], v[104:105], v[102:103]
	v_fma_f64 v[102:103], v[102:103], v[116:117], v[104:105]
	v_div_scale_f64 v[104:105], s[20:21], v[102:103], v[102:103], 1.0
	v_div_scale_f64 v[122:123], vcc, 1.0, v[102:103], 1.0
	v_rcp_f64_e32 v[118:119], v[104:105]
	v_fma_f64 v[120:121], -v[104:105], v[118:119], 1.0
	v_fma_f64 v[118:119], v[118:119], v[120:121], v[118:119]
	v_fma_f64 v[120:121], -v[104:105], v[118:119], 1.0
	v_fma_f64 v[118:119], v[118:119], v[120:121], v[118:119]
	v_mul_f64 v[120:121], v[122:123], v[118:119]
	v_fma_f64 v[104:105], -v[104:105], v[120:121], v[122:123]
	v_div_fmas_f64 v[104:105], v[104:105], v[118:119], v[120:121]
	v_div_fixup_f64 v[104:105], v[104:105], v[102:103], 1.0
	v_mul_f64 v[102:103], v[116:117], v[104:105]
	v_xor_b32_e32 v105, 0x80000000, v105
.LBB48_238:
	s_andn2_saveexec_b64 s[8:9], s[8:9]
	s_cbranch_execz .LBB48_240
; %bb.239:
	v_div_scale_f64 v[116:117], s[20:21], v[102:103], v[102:103], v[104:105]
	v_rcp_f64_e32 v[118:119], v[116:117]
	v_fma_f64 v[120:121], -v[116:117], v[118:119], 1.0
	v_fma_f64 v[118:119], v[118:119], v[120:121], v[118:119]
	v_div_scale_f64 v[120:121], vcc, v[104:105], v[102:103], v[104:105]
	v_fma_f64 v[122:123], -v[116:117], v[118:119], 1.0
	v_fma_f64 v[118:119], v[118:119], v[122:123], v[118:119]
	v_mul_f64 v[122:123], v[120:121], v[118:119]
	v_fma_f64 v[116:117], -v[116:117], v[122:123], v[120:121]
	v_div_fmas_f64 v[116:117], v[116:117], v[118:119], v[122:123]
	v_div_fixup_f64 v[116:117], v[116:117], v[102:103], v[104:105]
	v_fma_f64 v[102:103], v[104:105], v[116:117], v[102:103]
	v_div_scale_f64 v[104:105], s[20:21], v[102:103], v[102:103], 1.0
	v_div_scale_f64 v[122:123], vcc, 1.0, v[102:103], 1.0
	v_rcp_f64_e32 v[118:119], v[104:105]
	v_fma_f64 v[120:121], -v[104:105], v[118:119], 1.0
	v_fma_f64 v[118:119], v[118:119], v[120:121], v[118:119]
	v_fma_f64 v[120:121], -v[104:105], v[118:119], 1.0
	v_fma_f64 v[118:119], v[118:119], v[120:121], v[118:119]
	v_mul_f64 v[120:121], v[122:123], v[118:119]
	v_fma_f64 v[104:105], -v[104:105], v[120:121], v[122:123]
	v_div_fmas_f64 v[104:105], v[104:105], v[118:119], v[120:121]
	v_div_fixup_f64 v[102:103], v[104:105], v[102:103], 1.0
	v_mul_f64 v[104:105], v[116:117], -v[102:103]
.LBB48_240:
	s_or_b64 exec, exec, s[8:9]
.LBB48_241:
	s_or_b64 exec, exec, s[0:1]
	v_cmp_ne_u32_e32 vcc, v112, v110
	s_and_saveexec_b64 s[0:1], vcc
	s_xor_b64 s[0:1], exec, s[0:1]
	s_cbranch_execz .LBB48_247
; %bb.242:
	v_cmp_eq_u32_e32 vcc, 11, v112
	s_and_saveexec_b64 s[8:9], vcc
	s_cbranch_execz .LBB48_246
; %bb.243:
	v_cmp_ne_u32_e32 vcc, 11, v110
	s_xor_b64 s[20:21], s[18:19], -1
	s_and_b64 s[24:25], s[20:21], vcc
	s_and_saveexec_b64 s[20:21], s[24:25]
	s_cbranch_execz .LBB48_245
; %bb.244:
	v_ashrrev_i32_e32 v111, 31, v110
	v_lshlrev_b64 v[111:112], 2, v[110:111]
	v_add_co_u32_e32 v111, vcc, v108, v111
	v_addc_co_u32_e32 v112, vcc, v109, v112, vcc
	global_load_dword v0, v[111:112], off
	global_load_dword v116, v[108:109], off offset:44
	s_waitcnt vmcnt(1)
	global_store_dword v[108:109], v0, off offset:44
	s_waitcnt vmcnt(1)
	global_store_dword v[111:112], v116, off
.LBB48_245:
	s_or_b64 exec, exec, s[20:21]
	v_mov_b32_e32 v112, v110
	v_mov_b32_e32 v0, v110
.LBB48_246:
	s_or_b64 exec, exec, s[8:9]
.LBB48_247:
	s_andn2_saveexec_b64 s[0:1], s[0:1]
	s_cbranch_execz .LBB48_249
; %bb.248:
	v_mov_b32_e32 v112, 11
	ds_write2_b64 v1, v[46:47], v[48:49] offset0:24 offset1:25
	ds_write2_b64 v1, v[42:43], v[44:45] offset0:26 offset1:27
	;; [unrolled: 1-line block ×13, first 2 shown]
.LBB48_249:
	s_or_b64 exec, exec, s[0:1]
	v_cmp_lt_i32_e32 vcc, 11, v112
	s_waitcnt vmcnt(0) lgkmcnt(0)
	s_barrier
	s_and_saveexec_b64 s[0:1], vcc
	s_cbranch_execz .LBB48_251
; %bb.250:
	v_mul_f64 v[110:111], v[102:103], v[52:53]
	v_mul_f64 v[52:53], v[104:105], v[52:53]
	v_fma_f64 v[110:111], v[104:105], v[50:51], v[110:111]
	v_fma_f64 v[50:51], v[102:103], v[50:51], -v[52:53]
	ds_read2_b64 v[102:105], v1 offset0:24 offset1:25
	s_waitcnt lgkmcnt(0)
	v_mul_f64 v[52:53], v[104:105], v[110:111]
	v_fma_f64 v[52:53], v[102:103], v[50:51], -v[52:53]
	v_mul_f64 v[102:103], v[102:103], v[110:111]
	v_add_f64 v[46:47], v[46:47], -v[52:53]
	v_fma_f64 v[102:103], v[104:105], v[50:51], v[102:103]
	v_add_f64 v[48:49], v[48:49], -v[102:103]
	ds_read2_b64 v[102:105], v1 offset0:26 offset1:27
	s_waitcnt lgkmcnt(0)
	v_mul_f64 v[52:53], v[104:105], v[110:111]
	v_fma_f64 v[52:53], v[102:103], v[50:51], -v[52:53]
	v_mul_f64 v[102:103], v[102:103], v[110:111]
	v_add_f64 v[42:43], v[42:43], -v[52:53]
	v_fma_f64 v[102:103], v[104:105], v[50:51], v[102:103]
	v_add_f64 v[44:45], v[44:45], -v[102:103]
	;; [unrolled: 8-line block ×12, first 2 shown]
	ds_read2_b64 v[102:105], v1 offset0:48 offset1:49
	s_waitcnt lgkmcnt(0)
	v_mul_f64 v[52:53], v[104:105], v[110:111]
	v_fma_f64 v[52:53], v[102:103], v[50:51], -v[52:53]
	v_mul_f64 v[102:103], v[102:103], v[110:111]
	v_add_f64 v[98:99], v[98:99], -v[52:53]
	v_fma_f64 v[102:103], v[104:105], v[50:51], v[102:103]
	v_mov_b32_e32 v52, v110
	v_mov_b32_e32 v53, v111
	v_add_f64 v[100:101], v[100:101], -v[102:103]
.LBB48_251:
	s_or_b64 exec, exec, s[0:1]
	v_lshl_add_u32 v102, v112, 4, v1
	s_barrier
	ds_write2_b64 v102, v[46:47], v[48:49] offset1:1
	s_waitcnt lgkmcnt(0)
	s_barrier
	ds_read2_b64 v[102:105], v1 offset0:24 offset1:25
	s_cmp_lt_i32 s22, 14
	v_mov_b32_e32 v110, 12
	s_cbranch_scc1 .LBB48_254
; %bb.252:
	v_add_u32_e32 v111, 0xd0, v1
	s_mov_b32 s7, 13
	v_mov_b32_e32 v110, 12
.LBB48_253:                             ; =>This Inner Loop Header: Depth=1
	s_waitcnt lgkmcnt(0)
	v_cmp_gt_f64_e32 vcc, 0, v[104:105]
	v_cmp_gt_f64_e64 s[0:1], 0, v[102:103]
	ds_read2_b64 v[116:119], v111 offset1:1
	v_xor_b32_e32 v121, 0x80000000, v103
	v_xor_b32_e32 v123, 0x80000000, v105
	v_mov_b32_e32 v120, v102
	v_mov_b32_e32 v122, v104
	s_waitcnt lgkmcnt(0)
	v_xor_b32_e32 v125, 0x80000000, v119
	v_cndmask_b32_e32 v123, v105, v123, vcc
	v_cndmask_b32_e64 v121, v103, v121, s[0:1]
	v_cmp_gt_f64_e32 vcc, 0, v[118:119]
	v_cmp_gt_f64_e64 s[0:1], 0, v[116:117]
	v_add_f64 v[120:121], v[120:121], v[122:123]
	v_xor_b32_e32 v123, 0x80000000, v117
	v_mov_b32_e32 v122, v116
	v_mov_b32_e32 v124, v118
	v_add_u32_e32 v111, 16, v111
	v_cndmask_b32_e32 v125, v119, v125, vcc
	v_cndmask_b32_e64 v123, v117, v123, s[0:1]
	v_add_f64 v[122:123], v[122:123], v[124:125]
	v_mov_b32_e32 v124, s7
	s_add_i32 s7, s7, 1
	s_cmp_lg_u32 s22, s7
	v_cmp_lt_f64_e32 vcc, v[120:121], v[122:123]
	v_cndmask_b32_e32 v103, v103, v117, vcc
	v_cndmask_b32_e32 v102, v102, v116, vcc
	;; [unrolled: 1-line block ×5, first 2 shown]
	s_cbranch_scc1 .LBB48_253
.LBB48_254:
	s_waitcnt lgkmcnt(0)
	v_cmp_eq_f64_e32 vcc, 0, v[102:103]
	v_cmp_eq_f64_e64 s[0:1], 0, v[104:105]
	s_and_b64 s[0:1], vcc, s[0:1]
	s_and_saveexec_b64 s[8:9], s[0:1]
	s_xor_b64 s[0:1], exec, s[8:9]
; %bb.255:
	v_cmp_ne_u32_e32 vcc, 0, v115
	v_cndmask_b32_e32 v115, 13, v115, vcc
; %bb.256:
	s_andn2_saveexec_b64 s[0:1], s[0:1]
	s_cbranch_execz .LBB48_262
; %bb.257:
	v_cmp_ngt_f64_e64 s[8:9], |v[102:103]|, |v[104:105]|
	s_and_saveexec_b64 s[20:21], s[8:9]
	s_xor_b64 s[8:9], exec, s[20:21]
	s_cbranch_execz .LBB48_259
; %bb.258:
	v_div_scale_f64 v[116:117], s[20:21], v[104:105], v[104:105], v[102:103]
	v_rcp_f64_e32 v[118:119], v[116:117]
	v_fma_f64 v[120:121], -v[116:117], v[118:119], 1.0
	v_fma_f64 v[118:119], v[118:119], v[120:121], v[118:119]
	v_div_scale_f64 v[120:121], vcc, v[102:103], v[104:105], v[102:103]
	v_fma_f64 v[122:123], -v[116:117], v[118:119], 1.0
	v_fma_f64 v[118:119], v[118:119], v[122:123], v[118:119]
	v_mul_f64 v[122:123], v[120:121], v[118:119]
	v_fma_f64 v[116:117], -v[116:117], v[122:123], v[120:121]
	v_div_fmas_f64 v[116:117], v[116:117], v[118:119], v[122:123]
	v_div_fixup_f64 v[116:117], v[116:117], v[104:105], v[102:103]
	v_fma_f64 v[102:103], v[102:103], v[116:117], v[104:105]
	v_div_scale_f64 v[104:105], s[20:21], v[102:103], v[102:103], 1.0
	v_div_scale_f64 v[122:123], vcc, 1.0, v[102:103], 1.0
	v_rcp_f64_e32 v[118:119], v[104:105]
	v_fma_f64 v[120:121], -v[104:105], v[118:119], 1.0
	v_fma_f64 v[118:119], v[118:119], v[120:121], v[118:119]
	v_fma_f64 v[120:121], -v[104:105], v[118:119], 1.0
	v_fma_f64 v[118:119], v[118:119], v[120:121], v[118:119]
	v_mul_f64 v[120:121], v[122:123], v[118:119]
	v_fma_f64 v[104:105], -v[104:105], v[120:121], v[122:123]
	v_div_fmas_f64 v[104:105], v[104:105], v[118:119], v[120:121]
	v_div_fixup_f64 v[104:105], v[104:105], v[102:103], 1.0
	v_mul_f64 v[102:103], v[116:117], v[104:105]
	v_xor_b32_e32 v105, 0x80000000, v105
.LBB48_259:
	s_andn2_saveexec_b64 s[8:9], s[8:9]
	s_cbranch_execz .LBB48_261
; %bb.260:
	v_div_scale_f64 v[116:117], s[20:21], v[102:103], v[102:103], v[104:105]
	v_rcp_f64_e32 v[118:119], v[116:117]
	v_fma_f64 v[120:121], -v[116:117], v[118:119], 1.0
	v_fma_f64 v[118:119], v[118:119], v[120:121], v[118:119]
	v_div_scale_f64 v[120:121], vcc, v[104:105], v[102:103], v[104:105]
	v_fma_f64 v[122:123], -v[116:117], v[118:119], 1.0
	v_fma_f64 v[118:119], v[118:119], v[122:123], v[118:119]
	v_mul_f64 v[122:123], v[120:121], v[118:119]
	v_fma_f64 v[116:117], -v[116:117], v[122:123], v[120:121]
	v_div_fmas_f64 v[116:117], v[116:117], v[118:119], v[122:123]
	v_div_fixup_f64 v[116:117], v[116:117], v[102:103], v[104:105]
	v_fma_f64 v[102:103], v[104:105], v[116:117], v[102:103]
	v_div_scale_f64 v[104:105], s[20:21], v[102:103], v[102:103], 1.0
	v_div_scale_f64 v[122:123], vcc, 1.0, v[102:103], 1.0
	v_rcp_f64_e32 v[118:119], v[104:105]
	v_fma_f64 v[120:121], -v[104:105], v[118:119], 1.0
	v_fma_f64 v[118:119], v[118:119], v[120:121], v[118:119]
	v_fma_f64 v[120:121], -v[104:105], v[118:119], 1.0
	v_fma_f64 v[118:119], v[118:119], v[120:121], v[118:119]
	v_mul_f64 v[120:121], v[122:123], v[118:119]
	v_fma_f64 v[104:105], -v[104:105], v[120:121], v[122:123]
	v_div_fmas_f64 v[104:105], v[104:105], v[118:119], v[120:121]
	v_div_fixup_f64 v[102:103], v[104:105], v[102:103], 1.0
	v_mul_f64 v[104:105], v[116:117], -v[102:103]
.LBB48_261:
	s_or_b64 exec, exec, s[8:9]
.LBB48_262:
	s_or_b64 exec, exec, s[0:1]
	v_cmp_ne_u32_e32 vcc, v112, v110
	s_and_saveexec_b64 s[0:1], vcc
	s_xor_b64 s[0:1], exec, s[0:1]
	s_cbranch_execz .LBB48_268
; %bb.263:
	v_cmp_eq_u32_e32 vcc, 12, v112
	s_and_saveexec_b64 s[8:9], vcc
	s_cbranch_execz .LBB48_267
; %bb.264:
	v_cmp_ne_u32_e32 vcc, 12, v110
	s_xor_b64 s[20:21], s[18:19], -1
	s_and_b64 s[24:25], s[20:21], vcc
	s_and_saveexec_b64 s[20:21], s[24:25]
	s_cbranch_execz .LBB48_266
; %bb.265:
	v_ashrrev_i32_e32 v111, 31, v110
	v_lshlrev_b64 v[111:112], 2, v[110:111]
	v_add_co_u32_e32 v111, vcc, v108, v111
	v_addc_co_u32_e32 v112, vcc, v109, v112, vcc
	global_load_dword v0, v[111:112], off
	global_load_dword v116, v[108:109], off offset:48
	s_waitcnt vmcnt(1)
	global_store_dword v[108:109], v0, off offset:48
	s_waitcnt vmcnt(1)
	global_store_dword v[111:112], v116, off
.LBB48_266:
	s_or_b64 exec, exec, s[20:21]
	v_mov_b32_e32 v112, v110
	v_mov_b32_e32 v0, v110
.LBB48_267:
	s_or_b64 exec, exec, s[8:9]
.LBB48_268:
	s_andn2_saveexec_b64 s[0:1], s[0:1]
	s_cbranch_execz .LBB48_270
; %bb.269:
	v_mov_b32_e32 v112, 12
	ds_write2_b64 v1, v[42:43], v[44:45] offset0:26 offset1:27
	ds_write2_b64 v1, v[38:39], v[40:41] offset0:28 offset1:29
	;; [unrolled: 1-line block ×12, first 2 shown]
.LBB48_270:
	s_or_b64 exec, exec, s[0:1]
	v_cmp_lt_i32_e32 vcc, 12, v112
	s_waitcnt vmcnt(0) lgkmcnt(0)
	s_barrier
	s_and_saveexec_b64 s[0:1], vcc
	s_cbranch_execz .LBB48_272
; %bb.271:
	v_mul_f64 v[110:111], v[102:103], v[48:49]
	v_mul_f64 v[48:49], v[104:105], v[48:49]
	v_fma_f64 v[110:111], v[104:105], v[46:47], v[110:111]
	v_fma_f64 v[46:47], v[102:103], v[46:47], -v[48:49]
	ds_read2_b64 v[102:105], v1 offset0:26 offset1:27
	s_waitcnt lgkmcnt(0)
	v_mul_f64 v[48:49], v[104:105], v[110:111]
	v_fma_f64 v[48:49], v[102:103], v[46:47], -v[48:49]
	v_mul_f64 v[102:103], v[102:103], v[110:111]
	v_add_f64 v[42:43], v[42:43], -v[48:49]
	v_fma_f64 v[102:103], v[104:105], v[46:47], v[102:103]
	v_add_f64 v[44:45], v[44:45], -v[102:103]
	ds_read2_b64 v[102:105], v1 offset0:28 offset1:29
	s_waitcnt lgkmcnt(0)
	v_mul_f64 v[48:49], v[104:105], v[110:111]
	v_fma_f64 v[48:49], v[102:103], v[46:47], -v[48:49]
	v_mul_f64 v[102:103], v[102:103], v[110:111]
	v_add_f64 v[38:39], v[38:39], -v[48:49]
	v_fma_f64 v[102:103], v[104:105], v[46:47], v[102:103]
	v_add_f64 v[40:41], v[40:41], -v[102:103]
	ds_read2_b64 v[102:105], v1 offset0:30 offset1:31
	s_waitcnt lgkmcnt(0)
	v_mul_f64 v[48:49], v[104:105], v[110:111]
	v_fma_f64 v[48:49], v[102:103], v[46:47], -v[48:49]
	v_mul_f64 v[102:103], v[102:103], v[110:111]
	v_add_f64 v[34:35], v[34:35], -v[48:49]
	v_fma_f64 v[102:103], v[104:105], v[46:47], v[102:103]
	v_add_f64 v[36:37], v[36:37], -v[102:103]
	ds_read2_b64 v[102:105], v1 offset0:32 offset1:33
	s_waitcnt lgkmcnt(0)
	v_mul_f64 v[48:49], v[104:105], v[110:111]
	v_fma_f64 v[48:49], v[102:103], v[46:47], -v[48:49]
	v_mul_f64 v[102:103], v[102:103], v[110:111]
	v_add_f64 v[30:31], v[30:31], -v[48:49]
	v_fma_f64 v[102:103], v[104:105], v[46:47], v[102:103]
	v_add_f64 v[32:33], v[32:33], -v[102:103]
	ds_read2_b64 v[102:105], v1 offset0:34 offset1:35
	s_waitcnt lgkmcnt(0)
	v_mul_f64 v[48:49], v[104:105], v[110:111]
	v_fma_f64 v[48:49], v[102:103], v[46:47], -v[48:49]
	v_mul_f64 v[102:103], v[102:103], v[110:111]
	v_add_f64 v[26:27], v[26:27], -v[48:49]
	v_fma_f64 v[102:103], v[104:105], v[46:47], v[102:103]
	v_add_f64 v[28:29], v[28:29], -v[102:103]
	ds_read2_b64 v[102:105], v1 offset0:36 offset1:37
	s_waitcnt lgkmcnt(0)
	v_mul_f64 v[48:49], v[104:105], v[110:111]
	v_fma_f64 v[48:49], v[102:103], v[46:47], -v[48:49]
	v_mul_f64 v[102:103], v[102:103], v[110:111]
	v_add_f64 v[22:23], v[22:23], -v[48:49]
	v_fma_f64 v[102:103], v[104:105], v[46:47], v[102:103]
	v_add_f64 v[24:25], v[24:25], -v[102:103]
	ds_read2_b64 v[102:105], v1 offset0:38 offset1:39
	s_waitcnt lgkmcnt(0)
	v_mul_f64 v[48:49], v[104:105], v[110:111]
	v_fma_f64 v[48:49], v[102:103], v[46:47], -v[48:49]
	v_mul_f64 v[102:103], v[102:103], v[110:111]
	v_add_f64 v[18:19], v[18:19], -v[48:49]
	v_fma_f64 v[102:103], v[104:105], v[46:47], v[102:103]
	v_add_f64 v[20:21], v[20:21], -v[102:103]
	ds_read2_b64 v[102:105], v1 offset0:40 offset1:41
	s_waitcnt lgkmcnt(0)
	v_mul_f64 v[48:49], v[104:105], v[110:111]
	v_fma_f64 v[48:49], v[102:103], v[46:47], -v[48:49]
	v_mul_f64 v[102:103], v[102:103], v[110:111]
	v_add_f64 v[14:15], v[14:15], -v[48:49]
	v_fma_f64 v[102:103], v[104:105], v[46:47], v[102:103]
	v_add_f64 v[16:17], v[16:17], -v[102:103]
	ds_read2_b64 v[102:105], v1 offset0:42 offset1:43
	s_waitcnt lgkmcnt(0)
	v_mul_f64 v[48:49], v[104:105], v[110:111]
	v_fma_f64 v[48:49], v[102:103], v[46:47], -v[48:49]
	v_mul_f64 v[102:103], v[102:103], v[110:111]
	v_add_f64 v[10:11], v[10:11], -v[48:49]
	v_fma_f64 v[102:103], v[104:105], v[46:47], v[102:103]
	v_add_f64 v[12:13], v[12:13], -v[102:103]
	ds_read2_b64 v[102:105], v1 offset0:44 offset1:45
	s_waitcnt lgkmcnt(0)
	v_mul_f64 v[48:49], v[104:105], v[110:111]
	v_fma_f64 v[48:49], v[102:103], v[46:47], -v[48:49]
	v_mul_f64 v[102:103], v[102:103], v[110:111]
	v_add_f64 v[6:7], v[6:7], -v[48:49]
	v_fma_f64 v[102:103], v[104:105], v[46:47], v[102:103]
	v_add_f64 v[8:9], v[8:9], -v[102:103]
	ds_read2_b64 v[102:105], v1 offset0:46 offset1:47
	s_waitcnt lgkmcnt(0)
	v_mul_f64 v[48:49], v[104:105], v[110:111]
	v_fma_f64 v[48:49], v[102:103], v[46:47], -v[48:49]
	v_mul_f64 v[102:103], v[102:103], v[110:111]
	v_add_f64 v[2:3], v[2:3], -v[48:49]
	v_fma_f64 v[102:103], v[104:105], v[46:47], v[102:103]
	v_add_f64 v[4:5], v[4:5], -v[102:103]
	ds_read2_b64 v[102:105], v1 offset0:48 offset1:49
	s_waitcnt lgkmcnt(0)
	v_mul_f64 v[48:49], v[104:105], v[110:111]
	v_fma_f64 v[48:49], v[102:103], v[46:47], -v[48:49]
	v_mul_f64 v[102:103], v[102:103], v[110:111]
	v_add_f64 v[98:99], v[98:99], -v[48:49]
	v_fma_f64 v[102:103], v[104:105], v[46:47], v[102:103]
	v_mov_b32_e32 v48, v110
	v_mov_b32_e32 v49, v111
	v_add_f64 v[100:101], v[100:101], -v[102:103]
.LBB48_272:
	s_or_b64 exec, exec, s[0:1]
	v_lshl_add_u32 v102, v112, 4, v1
	s_barrier
	ds_write2_b64 v102, v[42:43], v[44:45] offset1:1
	s_waitcnt lgkmcnt(0)
	s_barrier
	ds_read2_b64 v[102:105], v1 offset0:26 offset1:27
	s_cmp_lt_i32 s22, 15
	v_mov_b32_e32 v110, 13
	s_cbranch_scc1 .LBB48_275
; %bb.273:
	v_add_u32_e32 v111, 0xe0, v1
	s_mov_b32 s7, 14
	v_mov_b32_e32 v110, 13
.LBB48_274:                             ; =>This Inner Loop Header: Depth=1
	s_waitcnt lgkmcnt(0)
	v_cmp_gt_f64_e32 vcc, 0, v[104:105]
	v_cmp_gt_f64_e64 s[0:1], 0, v[102:103]
	ds_read2_b64 v[116:119], v111 offset1:1
	v_xor_b32_e32 v121, 0x80000000, v103
	v_xor_b32_e32 v123, 0x80000000, v105
	v_mov_b32_e32 v120, v102
	v_mov_b32_e32 v122, v104
	s_waitcnt lgkmcnt(0)
	v_xor_b32_e32 v125, 0x80000000, v119
	v_cndmask_b32_e32 v123, v105, v123, vcc
	v_cndmask_b32_e64 v121, v103, v121, s[0:1]
	v_cmp_gt_f64_e32 vcc, 0, v[118:119]
	v_cmp_gt_f64_e64 s[0:1], 0, v[116:117]
	v_add_f64 v[120:121], v[120:121], v[122:123]
	v_xor_b32_e32 v123, 0x80000000, v117
	v_mov_b32_e32 v122, v116
	v_mov_b32_e32 v124, v118
	v_add_u32_e32 v111, 16, v111
	v_cndmask_b32_e32 v125, v119, v125, vcc
	v_cndmask_b32_e64 v123, v117, v123, s[0:1]
	v_add_f64 v[122:123], v[122:123], v[124:125]
	v_mov_b32_e32 v124, s7
	s_add_i32 s7, s7, 1
	s_cmp_lg_u32 s22, s7
	v_cmp_lt_f64_e32 vcc, v[120:121], v[122:123]
	v_cndmask_b32_e32 v103, v103, v117, vcc
	v_cndmask_b32_e32 v102, v102, v116, vcc
	;; [unrolled: 1-line block ×5, first 2 shown]
	s_cbranch_scc1 .LBB48_274
.LBB48_275:
	s_waitcnt lgkmcnt(0)
	v_cmp_eq_f64_e32 vcc, 0, v[102:103]
	v_cmp_eq_f64_e64 s[0:1], 0, v[104:105]
	s_and_b64 s[0:1], vcc, s[0:1]
	s_and_saveexec_b64 s[8:9], s[0:1]
	s_xor_b64 s[0:1], exec, s[8:9]
; %bb.276:
	v_cmp_ne_u32_e32 vcc, 0, v115
	v_cndmask_b32_e32 v115, 14, v115, vcc
; %bb.277:
	s_andn2_saveexec_b64 s[0:1], s[0:1]
	s_cbranch_execz .LBB48_283
; %bb.278:
	v_cmp_ngt_f64_e64 s[8:9], |v[102:103]|, |v[104:105]|
	s_and_saveexec_b64 s[20:21], s[8:9]
	s_xor_b64 s[8:9], exec, s[20:21]
	s_cbranch_execz .LBB48_280
; %bb.279:
	v_div_scale_f64 v[116:117], s[20:21], v[104:105], v[104:105], v[102:103]
	v_rcp_f64_e32 v[118:119], v[116:117]
	v_fma_f64 v[120:121], -v[116:117], v[118:119], 1.0
	v_fma_f64 v[118:119], v[118:119], v[120:121], v[118:119]
	v_div_scale_f64 v[120:121], vcc, v[102:103], v[104:105], v[102:103]
	v_fma_f64 v[122:123], -v[116:117], v[118:119], 1.0
	v_fma_f64 v[118:119], v[118:119], v[122:123], v[118:119]
	v_mul_f64 v[122:123], v[120:121], v[118:119]
	v_fma_f64 v[116:117], -v[116:117], v[122:123], v[120:121]
	v_div_fmas_f64 v[116:117], v[116:117], v[118:119], v[122:123]
	v_div_fixup_f64 v[116:117], v[116:117], v[104:105], v[102:103]
	v_fma_f64 v[102:103], v[102:103], v[116:117], v[104:105]
	v_div_scale_f64 v[104:105], s[20:21], v[102:103], v[102:103], 1.0
	v_div_scale_f64 v[122:123], vcc, 1.0, v[102:103], 1.0
	v_rcp_f64_e32 v[118:119], v[104:105]
	v_fma_f64 v[120:121], -v[104:105], v[118:119], 1.0
	v_fma_f64 v[118:119], v[118:119], v[120:121], v[118:119]
	v_fma_f64 v[120:121], -v[104:105], v[118:119], 1.0
	v_fma_f64 v[118:119], v[118:119], v[120:121], v[118:119]
	v_mul_f64 v[120:121], v[122:123], v[118:119]
	v_fma_f64 v[104:105], -v[104:105], v[120:121], v[122:123]
	v_div_fmas_f64 v[104:105], v[104:105], v[118:119], v[120:121]
	v_div_fixup_f64 v[104:105], v[104:105], v[102:103], 1.0
	v_mul_f64 v[102:103], v[116:117], v[104:105]
	v_xor_b32_e32 v105, 0x80000000, v105
.LBB48_280:
	s_andn2_saveexec_b64 s[8:9], s[8:9]
	s_cbranch_execz .LBB48_282
; %bb.281:
	v_div_scale_f64 v[116:117], s[20:21], v[102:103], v[102:103], v[104:105]
	v_rcp_f64_e32 v[118:119], v[116:117]
	v_fma_f64 v[120:121], -v[116:117], v[118:119], 1.0
	v_fma_f64 v[118:119], v[118:119], v[120:121], v[118:119]
	v_div_scale_f64 v[120:121], vcc, v[104:105], v[102:103], v[104:105]
	v_fma_f64 v[122:123], -v[116:117], v[118:119], 1.0
	v_fma_f64 v[118:119], v[118:119], v[122:123], v[118:119]
	v_mul_f64 v[122:123], v[120:121], v[118:119]
	v_fma_f64 v[116:117], -v[116:117], v[122:123], v[120:121]
	v_div_fmas_f64 v[116:117], v[116:117], v[118:119], v[122:123]
	v_div_fixup_f64 v[116:117], v[116:117], v[102:103], v[104:105]
	v_fma_f64 v[102:103], v[104:105], v[116:117], v[102:103]
	v_div_scale_f64 v[104:105], s[20:21], v[102:103], v[102:103], 1.0
	v_div_scale_f64 v[122:123], vcc, 1.0, v[102:103], 1.0
	v_rcp_f64_e32 v[118:119], v[104:105]
	v_fma_f64 v[120:121], -v[104:105], v[118:119], 1.0
	v_fma_f64 v[118:119], v[118:119], v[120:121], v[118:119]
	v_fma_f64 v[120:121], -v[104:105], v[118:119], 1.0
	v_fma_f64 v[118:119], v[118:119], v[120:121], v[118:119]
	v_mul_f64 v[120:121], v[122:123], v[118:119]
	v_fma_f64 v[104:105], -v[104:105], v[120:121], v[122:123]
	v_div_fmas_f64 v[104:105], v[104:105], v[118:119], v[120:121]
	v_div_fixup_f64 v[102:103], v[104:105], v[102:103], 1.0
	v_mul_f64 v[104:105], v[116:117], -v[102:103]
.LBB48_282:
	s_or_b64 exec, exec, s[8:9]
.LBB48_283:
	s_or_b64 exec, exec, s[0:1]
	v_cmp_ne_u32_e32 vcc, v112, v110
	s_and_saveexec_b64 s[0:1], vcc
	s_xor_b64 s[0:1], exec, s[0:1]
	s_cbranch_execz .LBB48_289
; %bb.284:
	v_cmp_eq_u32_e32 vcc, 13, v112
	s_and_saveexec_b64 s[8:9], vcc
	s_cbranch_execz .LBB48_288
; %bb.285:
	v_cmp_ne_u32_e32 vcc, 13, v110
	s_xor_b64 s[20:21], s[18:19], -1
	s_and_b64 s[24:25], s[20:21], vcc
	s_and_saveexec_b64 s[20:21], s[24:25]
	s_cbranch_execz .LBB48_287
; %bb.286:
	v_ashrrev_i32_e32 v111, 31, v110
	v_lshlrev_b64 v[111:112], 2, v[110:111]
	v_add_co_u32_e32 v111, vcc, v108, v111
	v_addc_co_u32_e32 v112, vcc, v109, v112, vcc
	global_load_dword v0, v[111:112], off
	global_load_dword v116, v[108:109], off offset:52
	s_waitcnt vmcnt(1)
	global_store_dword v[108:109], v0, off offset:52
	s_waitcnt vmcnt(1)
	global_store_dword v[111:112], v116, off
.LBB48_287:
	s_or_b64 exec, exec, s[20:21]
	v_mov_b32_e32 v112, v110
	v_mov_b32_e32 v0, v110
.LBB48_288:
	s_or_b64 exec, exec, s[8:9]
.LBB48_289:
	s_andn2_saveexec_b64 s[0:1], s[0:1]
	s_cbranch_execz .LBB48_291
; %bb.290:
	v_mov_b32_e32 v112, 13
	ds_write2_b64 v1, v[38:39], v[40:41] offset0:28 offset1:29
	ds_write2_b64 v1, v[34:35], v[36:37] offset0:30 offset1:31
	;; [unrolled: 1-line block ×11, first 2 shown]
.LBB48_291:
	s_or_b64 exec, exec, s[0:1]
	v_cmp_lt_i32_e32 vcc, 13, v112
	s_waitcnt vmcnt(0) lgkmcnt(0)
	s_barrier
	s_and_saveexec_b64 s[0:1], vcc
	s_cbranch_execz .LBB48_293
; %bb.292:
	v_mul_f64 v[110:111], v[102:103], v[44:45]
	v_mul_f64 v[44:45], v[104:105], v[44:45]
	v_fma_f64 v[110:111], v[104:105], v[42:43], v[110:111]
	v_fma_f64 v[42:43], v[102:103], v[42:43], -v[44:45]
	ds_read2_b64 v[102:105], v1 offset0:28 offset1:29
	s_waitcnt lgkmcnt(0)
	v_mul_f64 v[44:45], v[104:105], v[110:111]
	v_fma_f64 v[44:45], v[102:103], v[42:43], -v[44:45]
	v_mul_f64 v[102:103], v[102:103], v[110:111]
	v_add_f64 v[38:39], v[38:39], -v[44:45]
	v_fma_f64 v[102:103], v[104:105], v[42:43], v[102:103]
	v_add_f64 v[40:41], v[40:41], -v[102:103]
	ds_read2_b64 v[102:105], v1 offset0:30 offset1:31
	s_waitcnt lgkmcnt(0)
	v_mul_f64 v[44:45], v[104:105], v[110:111]
	v_fma_f64 v[44:45], v[102:103], v[42:43], -v[44:45]
	v_mul_f64 v[102:103], v[102:103], v[110:111]
	v_add_f64 v[34:35], v[34:35], -v[44:45]
	v_fma_f64 v[102:103], v[104:105], v[42:43], v[102:103]
	v_add_f64 v[36:37], v[36:37], -v[102:103]
	;; [unrolled: 8-line block ×10, first 2 shown]
	ds_read2_b64 v[102:105], v1 offset0:48 offset1:49
	s_waitcnt lgkmcnt(0)
	v_mul_f64 v[44:45], v[104:105], v[110:111]
	v_fma_f64 v[44:45], v[102:103], v[42:43], -v[44:45]
	v_mul_f64 v[102:103], v[102:103], v[110:111]
	v_add_f64 v[98:99], v[98:99], -v[44:45]
	v_fma_f64 v[102:103], v[104:105], v[42:43], v[102:103]
	v_mov_b32_e32 v44, v110
	v_mov_b32_e32 v45, v111
	v_add_f64 v[100:101], v[100:101], -v[102:103]
.LBB48_293:
	s_or_b64 exec, exec, s[0:1]
	v_lshl_add_u32 v102, v112, 4, v1
	s_barrier
	ds_write2_b64 v102, v[38:39], v[40:41] offset1:1
	s_waitcnt lgkmcnt(0)
	s_barrier
	ds_read2_b64 v[102:105], v1 offset0:28 offset1:29
	s_cmp_lt_i32 s22, 16
	v_mov_b32_e32 v110, 14
	s_cbranch_scc1 .LBB48_296
; %bb.294:
	v_add_u32_e32 v111, 0xf0, v1
	s_mov_b32 s7, 15
	v_mov_b32_e32 v110, 14
.LBB48_295:                             ; =>This Inner Loop Header: Depth=1
	s_waitcnt lgkmcnt(0)
	v_cmp_gt_f64_e32 vcc, 0, v[104:105]
	v_cmp_gt_f64_e64 s[0:1], 0, v[102:103]
	ds_read2_b64 v[116:119], v111 offset1:1
	v_xor_b32_e32 v121, 0x80000000, v103
	v_xor_b32_e32 v123, 0x80000000, v105
	v_mov_b32_e32 v120, v102
	v_mov_b32_e32 v122, v104
	s_waitcnt lgkmcnt(0)
	v_xor_b32_e32 v125, 0x80000000, v119
	v_cndmask_b32_e32 v123, v105, v123, vcc
	v_cndmask_b32_e64 v121, v103, v121, s[0:1]
	v_cmp_gt_f64_e32 vcc, 0, v[118:119]
	v_cmp_gt_f64_e64 s[0:1], 0, v[116:117]
	v_add_f64 v[120:121], v[120:121], v[122:123]
	v_xor_b32_e32 v123, 0x80000000, v117
	v_mov_b32_e32 v122, v116
	v_mov_b32_e32 v124, v118
	v_add_u32_e32 v111, 16, v111
	v_cndmask_b32_e32 v125, v119, v125, vcc
	v_cndmask_b32_e64 v123, v117, v123, s[0:1]
	v_add_f64 v[122:123], v[122:123], v[124:125]
	v_mov_b32_e32 v124, s7
	s_add_i32 s7, s7, 1
	s_cmp_lg_u32 s22, s7
	v_cmp_lt_f64_e32 vcc, v[120:121], v[122:123]
	v_cndmask_b32_e32 v103, v103, v117, vcc
	v_cndmask_b32_e32 v102, v102, v116, vcc
	;; [unrolled: 1-line block ×5, first 2 shown]
	s_cbranch_scc1 .LBB48_295
.LBB48_296:
	s_waitcnt lgkmcnt(0)
	v_cmp_eq_f64_e32 vcc, 0, v[102:103]
	v_cmp_eq_f64_e64 s[0:1], 0, v[104:105]
	s_and_b64 s[0:1], vcc, s[0:1]
	s_and_saveexec_b64 s[8:9], s[0:1]
	s_xor_b64 s[0:1], exec, s[8:9]
; %bb.297:
	v_cmp_ne_u32_e32 vcc, 0, v115
	v_cndmask_b32_e32 v115, 15, v115, vcc
; %bb.298:
	s_andn2_saveexec_b64 s[0:1], s[0:1]
	s_cbranch_execz .LBB48_304
; %bb.299:
	v_cmp_ngt_f64_e64 s[8:9], |v[102:103]|, |v[104:105]|
	s_and_saveexec_b64 s[20:21], s[8:9]
	s_xor_b64 s[8:9], exec, s[20:21]
	s_cbranch_execz .LBB48_301
; %bb.300:
	v_div_scale_f64 v[116:117], s[20:21], v[104:105], v[104:105], v[102:103]
	v_rcp_f64_e32 v[118:119], v[116:117]
	v_fma_f64 v[120:121], -v[116:117], v[118:119], 1.0
	v_fma_f64 v[118:119], v[118:119], v[120:121], v[118:119]
	v_div_scale_f64 v[120:121], vcc, v[102:103], v[104:105], v[102:103]
	v_fma_f64 v[122:123], -v[116:117], v[118:119], 1.0
	v_fma_f64 v[118:119], v[118:119], v[122:123], v[118:119]
	v_mul_f64 v[122:123], v[120:121], v[118:119]
	v_fma_f64 v[116:117], -v[116:117], v[122:123], v[120:121]
	v_div_fmas_f64 v[116:117], v[116:117], v[118:119], v[122:123]
	v_div_fixup_f64 v[116:117], v[116:117], v[104:105], v[102:103]
	v_fma_f64 v[102:103], v[102:103], v[116:117], v[104:105]
	v_div_scale_f64 v[104:105], s[20:21], v[102:103], v[102:103], 1.0
	v_div_scale_f64 v[122:123], vcc, 1.0, v[102:103], 1.0
	v_rcp_f64_e32 v[118:119], v[104:105]
	v_fma_f64 v[120:121], -v[104:105], v[118:119], 1.0
	v_fma_f64 v[118:119], v[118:119], v[120:121], v[118:119]
	v_fma_f64 v[120:121], -v[104:105], v[118:119], 1.0
	v_fma_f64 v[118:119], v[118:119], v[120:121], v[118:119]
	v_mul_f64 v[120:121], v[122:123], v[118:119]
	v_fma_f64 v[104:105], -v[104:105], v[120:121], v[122:123]
	v_div_fmas_f64 v[104:105], v[104:105], v[118:119], v[120:121]
	v_div_fixup_f64 v[104:105], v[104:105], v[102:103], 1.0
	v_mul_f64 v[102:103], v[116:117], v[104:105]
	v_xor_b32_e32 v105, 0x80000000, v105
.LBB48_301:
	s_andn2_saveexec_b64 s[8:9], s[8:9]
	s_cbranch_execz .LBB48_303
; %bb.302:
	v_div_scale_f64 v[116:117], s[20:21], v[102:103], v[102:103], v[104:105]
	v_rcp_f64_e32 v[118:119], v[116:117]
	v_fma_f64 v[120:121], -v[116:117], v[118:119], 1.0
	v_fma_f64 v[118:119], v[118:119], v[120:121], v[118:119]
	v_div_scale_f64 v[120:121], vcc, v[104:105], v[102:103], v[104:105]
	v_fma_f64 v[122:123], -v[116:117], v[118:119], 1.0
	v_fma_f64 v[118:119], v[118:119], v[122:123], v[118:119]
	v_mul_f64 v[122:123], v[120:121], v[118:119]
	v_fma_f64 v[116:117], -v[116:117], v[122:123], v[120:121]
	v_div_fmas_f64 v[116:117], v[116:117], v[118:119], v[122:123]
	v_div_fixup_f64 v[116:117], v[116:117], v[102:103], v[104:105]
	v_fma_f64 v[102:103], v[104:105], v[116:117], v[102:103]
	v_div_scale_f64 v[104:105], s[20:21], v[102:103], v[102:103], 1.0
	v_div_scale_f64 v[122:123], vcc, 1.0, v[102:103], 1.0
	v_rcp_f64_e32 v[118:119], v[104:105]
	v_fma_f64 v[120:121], -v[104:105], v[118:119], 1.0
	v_fma_f64 v[118:119], v[118:119], v[120:121], v[118:119]
	v_fma_f64 v[120:121], -v[104:105], v[118:119], 1.0
	v_fma_f64 v[118:119], v[118:119], v[120:121], v[118:119]
	v_mul_f64 v[120:121], v[122:123], v[118:119]
	v_fma_f64 v[104:105], -v[104:105], v[120:121], v[122:123]
	v_div_fmas_f64 v[104:105], v[104:105], v[118:119], v[120:121]
	v_div_fixup_f64 v[102:103], v[104:105], v[102:103], 1.0
	v_mul_f64 v[104:105], v[116:117], -v[102:103]
.LBB48_303:
	s_or_b64 exec, exec, s[8:9]
.LBB48_304:
	s_or_b64 exec, exec, s[0:1]
	v_cmp_ne_u32_e32 vcc, v112, v110
	s_and_saveexec_b64 s[0:1], vcc
	s_xor_b64 s[0:1], exec, s[0:1]
	s_cbranch_execz .LBB48_310
; %bb.305:
	v_cmp_eq_u32_e32 vcc, 14, v112
	s_and_saveexec_b64 s[8:9], vcc
	s_cbranch_execz .LBB48_309
; %bb.306:
	v_cmp_ne_u32_e32 vcc, 14, v110
	s_xor_b64 s[20:21], s[18:19], -1
	s_and_b64 s[24:25], s[20:21], vcc
	s_and_saveexec_b64 s[20:21], s[24:25]
	s_cbranch_execz .LBB48_308
; %bb.307:
	v_ashrrev_i32_e32 v111, 31, v110
	v_lshlrev_b64 v[111:112], 2, v[110:111]
	v_add_co_u32_e32 v111, vcc, v108, v111
	v_addc_co_u32_e32 v112, vcc, v109, v112, vcc
	global_load_dword v0, v[111:112], off
	global_load_dword v116, v[108:109], off offset:56
	s_waitcnt vmcnt(1)
	global_store_dword v[108:109], v0, off offset:56
	s_waitcnt vmcnt(1)
	global_store_dword v[111:112], v116, off
.LBB48_308:
	s_or_b64 exec, exec, s[20:21]
	v_mov_b32_e32 v112, v110
	v_mov_b32_e32 v0, v110
.LBB48_309:
	s_or_b64 exec, exec, s[8:9]
.LBB48_310:
	s_andn2_saveexec_b64 s[0:1], s[0:1]
	s_cbranch_execz .LBB48_312
; %bb.311:
	v_mov_b32_e32 v112, 14
	ds_write2_b64 v1, v[34:35], v[36:37] offset0:30 offset1:31
	ds_write2_b64 v1, v[30:31], v[32:33] offset0:32 offset1:33
	;; [unrolled: 1-line block ×10, first 2 shown]
.LBB48_312:
	s_or_b64 exec, exec, s[0:1]
	v_cmp_lt_i32_e32 vcc, 14, v112
	s_waitcnt vmcnt(0) lgkmcnt(0)
	s_barrier
	s_and_saveexec_b64 s[0:1], vcc
	s_cbranch_execz .LBB48_314
; %bb.313:
	v_mul_f64 v[110:111], v[102:103], v[40:41]
	v_mul_f64 v[40:41], v[104:105], v[40:41]
	v_fma_f64 v[110:111], v[104:105], v[38:39], v[110:111]
	v_fma_f64 v[38:39], v[102:103], v[38:39], -v[40:41]
	ds_read2_b64 v[102:105], v1 offset0:30 offset1:31
	s_waitcnt lgkmcnt(0)
	v_mul_f64 v[40:41], v[104:105], v[110:111]
	v_fma_f64 v[40:41], v[102:103], v[38:39], -v[40:41]
	v_mul_f64 v[102:103], v[102:103], v[110:111]
	v_add_f64 v[34:35], v[34:35], -v[40:41]
	v_fma_f64 v[102:103], v[104:105], v[38:39], v[102:103]
	v_add_f64 v[36:37], v[36:37], -v[102:103]
	ds_read2_b64 v[102:105], v1 offset0:32 offset1:33
	s_waitcnt lgkmcnt(0)
	v_mul_f64 v[40:41], v[104:105], v[110:111]
	v_fma_f64 v[40:41], v[102:103], v[38:39], -v[40:41]
	v_mul_f64 v[102:103], v[102:103], v[110:111]
	v_add_f64 v[30:31], v[30:31], -v[40:41]
	v_fma_f64 v[102:103], v[104:105], v[38:39], v[102:103]
	v_add_f64 v[32:33], v[32:33], -v[102:103]
	;; [unrolled: 8-line block ×9, first 2 shown]
	ds_read2_b64 v[102:105], v1 offset0:48 offset1:49
	s_waitcnt lgkmcnt(0)
	v_mul_f64 v[40:41], v[104:105], v[110:111]
	v_fma_f64 v[40:41], v[102:103], v[38:39], -v[40:41]
	v_mul_f64 v[102:103], v[102:103], v[110:111]
	v_add_f64 v[98:99], v[98:99], -v[40:41]
	v_fma_f64 v[102:103], v[104:105], v[38:39], v[102:103]
	v_mov_b32_e32 v40, v110
	v_mov_b32_e32 v41, v111
	v_add_f64 v[100:101], v[100:101], -v[102:103]
.LBB48_314:
	s_or_b64 exec, exec, s[0:1]
	v_lshl_add_u32 v102, v112, 4, v1
	s_barrier
	ds_write2_b64 v102, v[34:35], v[36:37] offset1:1
	s_waitcnt lgkmcnt(0)
	s_barrier
	ds_read2_b64 v[102:105], v1 offset0:30 offset1:31
	s_cmp_lt_i32 s22, 17
	v_mov_b32_e32 v110, 15
	s_cbranch_scc1 .LBB48_317
; %bb.315:
	v_add_u32_e32 v111, 0x100, v1
	s_mov_b32 s7, 16
	v_mov_b32_e32 v110, 15
.LBB48_316:                             ; =>This Inner Loop Header: Depth=1
	s_waitcnt lgkmcnt(0)
	v_cmp_gt_f64_e32 vcc, 0, v[104:105]
	v_cmp_gt_f64_e64 s[0:1], 0, v[102:103]
	ds_read2_b64 v[116:119], v111 offset1:1
	v_xor_b32_e32 v121, 0x80000000, v103
	v_xor_b32_e32 v123, 0x80000000, v105
	v_mov_b32_e32 v120, v102
	v_mov_b32_e32 v122, v104
	s_waitcnt lgkmcnt(0)
	v_xor_b32_e32 v125, 0x80000000, v119
	v_cndmask_b32_e32 v123, v105, v123, vcc
	v_cndmask_b32_e64 v121, v103, v121, s[0:1]
	v_cmp_gt_f64_e32 vcc, 0, v[118:119]
	v_cmp_gt_f64_e64 s[0:1], 0, v[116:117]
	v_add_f64 v[120:121], v[120:121], v[122:123]
	v_xor_b32_e32 v123, 0x80000000, v117
	v_mov_b32_e32 v122, v116
	v_mov_b32_e32 v124, v118
	v_add_u32_e32 v111, 16, v111
	v_cndmask_b32_e32 v125, v119, v125, vcc
	v_cndmask_b32_e64 v123, v117, v123, s[0:1]
	v_add_f64 v[122:123], v[122:123], v[124:125]
	v_mov_b32_e32 v124, s7
	s_add_i32 s7, s7, 1
	s_cmp_lg_u32 s22, s7
	v_cmp_lt_f64_e32 vcc, v[120:121], v[122:123]
	v_cndmask_b32_e32 v103, v103, v117, vcc
	v_cndmask_b32_e32 v102, v102, v116, vcc
	;; [unrolled: 1-line block ×5, first 2 shown]
	s_cbranch_scc1 .LBB48_316
.LBB48_317:
	s_waitcnt lgkmcnt(0)
	v_cmp_eq_f64_e32 vcc, 0, v[102:103]
	v_cmp_eq_f64_e64 s[0:1], 0, v[104:105]
	s_and_b64 s[0:1], vcc, s[0:1]
	s_and_saveexec_b64 s[8:9], s[0:1]
	s_xor_b64 s[0:1], exec, s[8:9]
; %bb.318:
	v_cmp_ne_u32_e32 vcc, 0, v115
	v_cndmask_b32_e32 v115, 16, v115, vcc
; %bb.319:
	s_andn2_saveexec_b64 s[0:1], s[0:1]
	s_cbranch_execz .LBB48_325
; %bb.320:
	v_cmp_ngt_f64_e64 s[8:9], |v[102:103]|, |v[104:105]|
	s_and_saveexec_b64 s[20:21], s[8:9]
	s_xor_b64 s[8:9], exec, s[20:21]
	s_cbranch_execz .LBB48_322
; %bb.321:
	v_div_scale_f64 v[116:117], s[20:21], v[104:105], v[104:105], v[102:103]
	v_rcp_f64_e32 v[118:119], v[116:117]
	v_fma_f64 v[120:121], -v[116:117], v[118:119], 1.0
	v_fma_f64 v[118:119], v[118:119], v[120:121], v[118:119]
	v_div_scale_f64 v[120:121], vcc, v[102:103], v[104:105], v[102:103]
	v_fma_f64 v[122:123], -v[116:117], v[118:119], 1.0
	v_fma_f64 v[118:119], v[118:119], v[122:123], v[118:119]
	v_mul_f64 v[122:123], v[120:121], v[118:119]
	v_fma_f64 v[116:117], -v[116:117], v[122:123], v[120:121]
	v_div_fmas_f64 v[116:117], v[116:117], v[118:119], v[122:123]
	v_div_fixup_f64 v[116:117], v[116:117], v[104:105], v[102:103]
	v_fma_f64 v[102:103], v[102:103], v[116:117], v[104:105]
	v_div_scale_f64 v[104:105], s[20:21], v[102:103], v[102:103], 1.0
	v_div_scale_f64 v[122:123], vcc, 1.0, v[102:103], 1.0
	v_rcp_f64_e32 v[118:119], v[104:105]
	v_fma_f64 v[120:121], -v[104:105], v[118:119], 1.0
	v_fma_f64 v[118:119], v[118:119], v[120:121], v[118:119]
	v_fma_f64 v[120:121], -v[104:105], v[118:119], 1.0
	v_fma_f64 v[118:119], v[118:119], v[120:121], v[118:119]
	v_mul_f64 v[120:121], v[122:123], v[118:119]
	v_fma_f64 v[104:105], -v[104:105], v[120:121], v[122:123]
	v_div_fmas_f64 v[104:105], v[104:105], v[118:119], v[120:121]
	v_div_fixup_f64 v[104:105], v[104:105], v[102:103], 1.0
	v_mul_f64 v[102:103], v[116:117], v[104:105]
	v_xor_b32_e32 v105, 0x80000000, v105
.LBB48_322:
	s_andn2_saveexec_b64 s[8:9], s[8:9]
	s_cbranch_execz .LBB48_324
; %bb.323:
	v_div_scale_f64 v[116:117], s[20:21], v[102:103], v[102:103], v[104:105]
	v_rcp_f64_e32 v[118:119], v[116:117]
	v_fma_f64 v[120:121], -v[116:117], v[118:119], 1.0
	v_fma_f64 v[118:119], v[118:119], v[120:121], v[118:119]
	v_div_scale_f64 v[120:121], vcc, v[104:105], v[102:103], v[104:105]
	v_fma_f64 v[122:123], -v[116:117], v[118:119], 1.0
	v_fma_f64 v[118:119], v[118:119], v[122:123], v[118:119]
	v_mul_f64 v[122:123], v[120:121], v[118:119]
	v_fma_f64 v[116:117], -v[116:117], v[122:123], v[120:121]
	v_div_fmas_f64 v[116:117], v[116:117], v[118:119], v[122:123]
	v_div_fixup_f64 v[116:117], v[116:117], v[102:103], v[104:105]
	v_fma_f64 v[102:103], v[104:105], v[116:117], v[102:103]
	v_div_scale_f64 v[104:105], s[20:21], v[102:103], v[102:103], 1.0
	v_div_scale_f64 v[122:123], vcc, 1.0, v[102:103], 1.0
	v_rcp_f64_e32 v[118:119], v[104:105]
	v_fma_f64 v[120:121], -v[104:105], v[118:119], 1.0
	v_fma_f64 v[118:119], v[118:119], v[120:121], v[118:119]
	v_fma_f64 v[120:121], -v[104:105], v[118:119], 1.0
	v_fma_f64 v[118:119], v[118:119], v[120:121], v[118:119]
	v_mul_f64 v[120:121], v[122:123], v[118:119]
	v_fma_f64 v[104:105], -v[104:105], v[120:121], v[122:123]
	v_div_fmas_f64 v[104:105], v[104:105], v[118:119], v[120:121]
	v_div_fixup_f64 v[102:103], v[104:105], v[102:103], 1.0
	v_mul_f64 v[104:105], v[116:117], -v[102:103]
.LBB48_324:
	s_or_b64 exec, exec, s[8:9]
.LBB48_325:
	s_or_b64 exec, exec, s[0:1]
	v_cmp_ne_u32_e32 vcc, v112, v110
	s_and_saveexec_b64 s[0:1], vcc
	s_xor_b64 s[0:1], exec, s[0:1]
	s_cbranch_execz .LBB48_331
; %bb.326:
	v_cmp_eq_u32_e32 vcc, 15, v112
	s_and_saveexec_b64 s[8:9], vcc
	s_cbranch_execz .LBB48_330
; %bb.327:
	v_cmp_ne_u32_e32 vcc, 15, v110
	s_xor_b64 s[20:21], s[18:19], -1
	s_and_b64 s[24:25], s[20:21], vcc
	s_and_saveexec_b64 s[20:21], s[24:25]
	s_cbranch_execz .LBB48_329
; %bb.328:
	v_ashrrev_i32_e32 v111, 31, v110
	v_lshlrev_b64 v[111:112], 2, v[110:111]
	v_add_co_u32_e32 v111, vcc, v108, v111
	v_addc_co_u32_e32 v112, vcc, v109, v112, vcc
	global_load_dword v0, v[111:112], off
	global_load_dword v116, v[108:109], off offset:60
	s_waitcnt vmcnt(1)
	global_store_dword v[108:109], v0, off offset:60
	s_waitcnt vmcnt(1)
	global_store_dword v[111:112], v116, off
.LBB48_329:
	s_or_b64 exec, exec, s[20:21]
	v_mov_b32_e32 v112, v110
	v_mov_b32_e32 v0, v110
.LBB48_330:
	s_or_b64 exec, exec, s[8:9]
.LBB48_331:
	s_andn2_saveexec_b64 s[0:1], s[0:1]
	s_cbranch_execz .LBB48_333
; %bb.332:
	v_mov_b32_e32 v112, 15
	ds_write2_b64 v1, v[30:31], v[32:33] offset0:32 offset1:33
	ds_write2_b64 v1, v[26:27], v[28:29] offset0:34 offset1:35
	;; [unrolled: 1-line block ×9, first 2 shown]
.LBB48_333:
	s_or_b64 exec, exec, s[0:1]
	v_cmp_lt_i32_e32 vcc, 15, v112
	s_waitcnt vmcnt(0) lgkmcnt(0)
	s_barrier
	s_and_saveexec_b64 s[0:1], vcc
	s_cbranch_execz .LBB48_335
; %bb.334:
	v_mul_f64 v[110:111], v[102:103], v[36:37]
	v_mul_f64 v[36:37], v[104:105], v[36:37]
	v_fma_f64 v[110:111], v[104:105], v[34:35], v[110:111]
	v_fma_f64 v[34:35], v[102:103], v[34:35], -v[36:37]
	ds_read2_b64 v[102:105], v1 offset0:32 offset1:33
	s_waitcnt lgkmcnt(0)
	v_mul_f64 v[36:37], v[104:105], v[110:111]
	v_fma_f64 v[36:37], v[102:103], v[34:35], -v[36:37]
	v_mul_f64 v[102:103], v[102:103], v[110:111]
	v_add_f64 v[30:31], v[30:31], -v[36:37]
	v_fma_f64 v[102:103], v[104:105], v[34:35], v[102:103]
	v_add_f64 v[32:33], v[32:33], -v[102:103]
	ds_read2_b64 v[102:105], v1 offset0:34 offset1:35
	s_waitcnt lgkmcnt(0)
	v_mul_f64 v[36:37], v[104:105], v[110:111]
	v_fma_f64 v[36:37], v[102:103], v[34:35], -v[36:37]
	v_mul_f64 v[102:103], v[102:103], v[110:111]
	v_add_f64 v[26:27], v[26:27], -v[36:37]
	v_fma_f64 v[102:103], v[104:105], v[34:35], v[102:103]
	v_add_f64 v[28:29], v[28:29], -v[102:103]
	;; [unrolled: 8-line block ×8, first 2 shown]
	ds_read2_b64 v[102:105], v1 offset0:48 offset1:49
	s_waitcnt lgkmcnt(0)
	v_mul_f64 v[36:37], v[104:105], v[110:111]
	v_fma_f64 v[36:37], v[102:103], v[34:35], -v[36:37]
	v_mul_f64 v[102:103], v[102:103], v[110:111]
	v_add_f64 v[98:99], v[98:99], -v[36:37]
	v_fma_f64 v[102:103], v[104:105], v[34:35], v[102:103]
	v_mov_b32_e32 v36, v110
	v_mov_b32_e32 v37, v111
	v_add_f64 v[100:101], v[100:101], -v[102:103]
.LBB48_335:
	s_or_b64 exec, exec, s[0:1]
	v_lshl_add_u32 v102, v112, 4, v1
	s_barrier
	ds_write2_b64 v102, v[30:31], v[32:33] offset1:1
	s_waitcnt lgkmcnt(0)
	s_barrier
	ds_read2_b64 v[102:105], v1 offset0:32 offset1:33
	s_cmp_lt_i32 s22, 18
	v_mov_b32_e32 v110, 16
	s_cbranch_scc1 .LBB48_338
; %bb.336:
	v_add_u32_e32 v111, 0x110, v1
	s_mov_b32 s7, 17
	v_mov_b32_e32 v110, 16
.LBB48_337:                             ; =>This Inner Loop Header: Depth=1
	s_waitcnt lgkmcnt(0)
	v_cmp_gt_f64_e32 vcc, 0, v[104:105]
	v_cmp_gt_f64_e64 s[0:1], 0, v[102:103]
	ds_read2_b64 v[116:119], v111 offset1:1
	v_xor_b32_e32 v121, 0x80000000, v103
	v_xor_b32_e32 v123, 0x80000000, v105
	v_mov_b32_e32 v120, v102
	v_mov_b32_e32 v122, v104
	s_waitcnt lgkmcnt(0)
	v_xor_b32_e32 v125, 0x80000000, v119
	v_cndmask_b32_e32 v123, v105, v123, vcc
	v_cndmask_b32_e64 v121, v103, v121, s[0:1]
	v_cmp_gt_f64_e32 vcc, 0, v[118:119]
	v_cmp_gt_f64_e64 s[0:1], 0, v[116:117]
	v_add_f64 v[120:121], v[120:121], v[122:123]
	v_xor_b32_e32 v123, 0x80000000, v117
	v_mov_b32_e32 v122, v116
	v_mov_b32_e32 v124, v118
	v_add_u32_e32 v111, 16, v111
	v_cndmask_b32_e32 v125, v119, v125, vcc
	v_cndmask_b32_e64 v123, v117, v123, s[0:1]
	v_add_f64 v[122:123], v[122:123], v[124:125]
	v_mov_b32_e32 v124, s7
	s_add_i32 s7, s7, 1
	s_cmp_lg_u32 s22, s7
	v_cmp_lt_f64_e32 vcc, v[120:121], v[122:123]
	v_cndmask_b32_e32 v103, v103, v117, vcc
	v_cndmask_b32_e32 v102, v102, v116, vcc
	;; [unrolled: 1-line block ×5, first 2 shown]
	s_cbranch_scc1 .LBB48_337
.LBB48_338:
	s_waitcnt lgkmcnt(0)
	v_cmp_eq_f64_e32 vcc, 0, v[102:103]
	v_cmp_eq_f64_e64 s[0:1], 0, v[104:105]
	s_and_b64 s[0:1], vcc, s[0:1]
	s_and_saveexec_b64 s[8:9], s[0:1]
	s_xor_b64 s[0:1], exec, s[8:9]
; %bb.339:
	v_cmp_ne_u32_e32 vcc, 0, v115
	v_cndmask_b32_e32 v115, 17, v115, vcc
; %bb.340:
	s_andn2_saveexec_b64 s[0:1], s[0:1]
	s_cbranch_execz .LBB48_346
; %bb.341:
	v_cmp_ngt_f64_e64 s[8:9], |v[102:103]|, |v[104:105]|
	s_and_saveexec_b64 s[20:21], s[8:9]
	s_xor_b64 s[8:9], exec, s[20:21]
	s_cbranch_execz .LBB48_343
; %bb.342:
	v_div_scale_f64 v[116:117], s[20:21], v[104:105], v[104:105], v[102:103]
	v_rcp_f64_e32 v[118:119], v[116:117]
	v_fma_f64 v[120:121], -v[116:117], v[118:119], 1.0
	v_fma_f64 v[118:119], v[118:119], v[120:121], v[118:119]
	v_div_scale_f64 v[120:121], vcc, v[102:103], v[104:105], v[102:103]
	v_fma_f64 v[122:123], -v[116:117], v[118:119], 1.0
	v_fma_f64 v[118:119], v[118:119], v[122:123], v[118:119]
	v_mul_f64 v[122:123], v[120:121], v[118:119]
	v_fma_f64 v[116:117], -v[116:117], v[122:123], v[120:121]
	v_div_fmas_f64 v[116:117], v[116:117], v[118:119], v[122:123]
	v_div_fixup_f64 v[116:117], v[116:117], v[104:105], v[102:103]
	v_fma_f64 v[102:103], v[102:103], v[116:117], v[104:105]
	v_div_scale_f64 v[104:105], s[20:21], v[102:103], v[102:103], 1.0
	v_div_scale_f64 v[122:123], vcc, 1.0, v[102:103], 1.0
	v_rcp_f64_e32 v[118:119], v[104:105]
	v_fma_f64 v[120:121], -v[104:105], v[118:119], 1.0
	v_fma_f64 v[118:119], v[118:119], v[120:121], v[118:119]
	v_fma_f64 v[120:121], -v[104:105], v[118:119], 1.0
	v_fma_f64 v[118:119], v[118:119], v[120:121], v[118:119]
	v_mul_f64 v[120:121], v[122:123], v[118:119]
	v_fma_f64 v[104:105], -v[104:105], v[120:121], v[122:123]
	v_div_fmas_f64 v[104:105], v[104:105], v[118:119], v[120:121]
	v_div_fixup_f64 v[104:105], v[104:105], v[102:103], 1.0
	v_mul_f64 v[102:103], v[116:117], v[104:105]
	v_xor_b32_e32 v105, 0x80000000, v105
.LBB48_343:
	s_andn2_saveexec_b64 s[8:9], s[8:9]
	s_cbranch_execz .LBB48_345
; %bb.344:
	v_div_scale_f64 v[116:117], s[20:21], v[102:103], v[102:103], v[104:105]
	v_rcp_f64_e32 v[118:119], v[116:117]
	v_fma_f64 v[120:121], -v[116:117], v[118:119], 1.0
	v_fma_f64 v[118:119], v[118:119], v[120:121], v[118:119]
	v_div_scale_f64 v[120:121], vcc, v[104:105], v[102:103], v[104:105]
	v_fma_f64 v[122:123], -v[116:117], v[118:119], 1.0
	v_fma_f64 v[118:119], v[118:119], v[122:123], v[118:119]
	v_mul_f64 v[122:123], v[120:121], v[118:119]
	v_fma_f64 v[116:117], -v[116:117], v[122:123], v[120:121]
	v_div_fmas_f64 v[116:117], v[116:117], v[118:119], v[122:123]
	v_div_fixup_f64 v[116:117], v[116:117], v[102:103], v[104:105]
	v_fma_f64 v[102:103], v[104:105], v[116:117], v[102:103]
	v_div_scale_f64 v[104:105], s[20:21], v[102:103], v[102:103], 1.0
	v_div_scale_f64 v[122:123], vcc, 1.0, v[102:103], 1.0
	v_rcp_f64_e32 v[118:119], v[104:105]
	v_fma_f64 v[120:121], -v[104:105], v[118:119], 1.0
	v_fma_f64 v[118:119], v[118:119], v[120:121], v[118:119]
	v_fma_f64 v[120:121], -v[104:105], v[118:119], 1.0
	v_fma_f64 v[118:119], v[118:119], v[120:121], v[118:119]
	v_mul_f64 v[120:121], v[122:123], v[118:119]
	v_fma_f64 v[104:105], -v[104:105], v[120:121], v[122:123]
	v_div_fmas_f64 v[104:105], v[104:105], v[118:119], v[120:121]
	v_div_fixup_f64 v[102:103], v[104:105], v[102:103], 1.0
	v_mul_f64 v[104:105], v[116:117], -v[102:103]
.LBB48_345:
	s_or_b64 exec, exec, s[8:9]
.LBB48_346:
	s_or_b64 exec, exec, s[0:1]
	v_cmp_ne_u32_e32 vcc, v112, v110
	s_and_saveexec_b64 s[0:1], vcc
	s_xor_b64 s[0:1], exec, s[0:1]
	s_cbranch_execz .LBB48_352
; %bb.347:
	v_cmp_eq_u32_e32 vcc, 16, v112
	s_and_saveexec_b64 s[8:9], vcc
	s_cbranch_execz .LBB48_351
; %bb.348:
	v_cmp_ne_u32_e32 vcc, 16, v110
	s_xor_b64 s[20:21], s[18:19], -1
	s_and_b64 s[24:25], s[20:21], vcc
	s_and_saveexec_b64 s[20:21], s[24:25]
	s_cbranch_execz .LBB48_350
; %bb.349:
	v_ashrrev_i32_e32 v111, 31, v110
	v_lshlrev_b64 v[111:112], 2, v[110:111]
	v_add_co_u32_e32 v111, vcc, v108, v111
	v_addc_co_u32_e32 v112, vcc, v109, v112, vcc
	global_load_dword v0, v[111:112], off
	global_load_dword v116, v[108:109], off offset:64
	s_waitcnt vmcnt(1)
	global_store_dword v[108:109], v0, off offset:64
	s_waitcnt vmcnt(1)
	global_store_dword v[111:112], v116, off
.LBB48_350:
	s_or_b64 exec, exec, s[20:21]
	v_mov_b32_e32 v112, v110
	v_mov_b32_e32 v0, v110
.LBB48_351:
	s_or_b64 exec, exec, s[8:9]
.LBB48_352:
	s_andn2_saveexec_b64 s[0:1], s[0:1]
	s_cbranch_execz .LBB48_354
; %bb.353:
	v_mov_b32_e32 v112, 16
	ds_write2_b64 v1, v[26:27], v[28:29] offset0:34 offset1:35
	ds_write2_b64 v1, v[22:23], v[24:25] offset0:36 offset1:37
	;; [unrolled: 1-line block ×8, first 2 shown]
.LBB48_354:
	s_or_b64 exec, exec, s[0:1]
	v_cmp_lt_i32_e32 vcc, 16, v112
	s_waitcnt vmcnt(0) lgkmcnt(0)
	s_barrier
	s_and_saveexec_b64 s[0:1], vcc
	s_cbranch_execz .LBB48_356
; %bb.355:
	v_mul_f64 v[110:111], v[102:103], v[32:33]
	v_mul_f64 v[32:33], v[104:105], v[32:33]
	v_fma_f64 v[110:111], v[104:105], v[30:31], v[110:111]
	v_fma_f64 v[30:31], v[102:103], v[30:31], -v[32:33]
	ds_read2_b64 v[102:105], v1 offset0:34 offset1:35
	s_waitcnt lgkmcnt(0)
	v_mul_f64 v[32:33], v[104:105], v[110:111]
	v_fma_f64 v[32:33], v[102:103], v[30:31], -v[32:33]
	v_mul_f64 v[102:103], v[102:103], v[110:111]
	v_add_f64 v[26:27], v[26:27], -v[32:33]
	v_fma_f64 v[102:103], v[104:105], v[30:31], v[102:103]
	v_add_f64 v[28:29], v[28:29], -v[102:103]
	ds_read2_b64 v[102:105], v1 offset0:36 offset1:37
	s_waitcnt lgkmcnt(0)
	v_mul_f64 v[32:33], v[104:105], v[110:111]
	v_fma_f64 v[32:33], v[102:103], v[30:31], -v[32:33]
	v_mul_f64 v[102:103], v[102:103], v[110:111]
	v_add_f64 v[22:23], v[22:23], -v[32:33]
	v_fma_f64 v[102:103], v[104:105], v[30:31], v[102:103]
	v_add_f64 v[24:25], v[24:25], -v[102:103]
	;; [unrolled: 8-line block ×7, first 2 shown]
	ds_read2_b64 v[102:105], v1 offset0:48 offset1:49
	s_waitcnt lgkmcnt(0)
	v_mul_f64 v[32:33], v[104:105], v[110:111]
	v_fma_f64 v[32:33], v[102:103], v[30:31], -v[32:33]
	v_mul_f64 v[102:103], v[102:103], v[110:111]
	v_add_f64 v[98:99], v[98:99], -v[32:33]
	v_fma_f64 v[102:103], v[104:105], v[30:31], v[102:103]
	v_mov_b32_e32 v32, v110
	v_mov_b32_e32 v33, v111
	v_add_f64 v[100:101], v[100:101], -v[102:103]
.LBB48_356:
	s_or_b64 exec, exec, s[0:1]
	v_lshl_add_u32 v102, v112, 4, v1
	s_barrier
	ds_write2_b64 v102, v[26:27], v[28:29] offset1:1
	s_waitcnt lgkmcnt(0)
	s_barrier
	ds_read2_b64 v[102:105], v1 offset0:34 offset1:35
	s_cmp_lt_i32 s22, 19
	v_mov_b32_e32 v110, 17
	s_cbranch_scc1 .LBB48_359
; %bb.357:
	v_add_u32_e32 v111, 0x120, v1
	s_mov_b32 s7, 18
	v_mov_b32_e32 v110, 17
.LBB48_358:                             ; =>This Inner Loop Header: Depth=1
	s_waitcnt lgkmcnt(0)
	v_cmp_gt_f64_e32 vcc, 0, v[104:105]
	v_cmp_gt_f64_e64 s[0:1], 0, v[102:103]
	ds_read2_b64 v[116:119], v111 offset1:1
	v_xor_b32_e32 v121, 0x80000000, v103
	v_xor_b32_e32 v123, 0x80000000, v105
	v_mov_b32_e32 v120, v102
	v_mov_b32_e32 v122, v104
	s_waitcnt lgkmcnt(0)
	v_xor_b32_e32 v125, 0x80000000, v119
	v_cndmask_b32_e32 v123, v105, v123, vcc
	v_cndmask_b32_e64 v121, v103, v121, s[0:1]
	v_cmp_gt_f64_e32 vcc, 0, v[118:119]
	v_cmp_gt_f64_e64 s[0:1], 0, v[116:117]
	v_add_f64 v[120:121], v[120:121], v[122:123]
	v_xor_b32_e32 v123, 0x80000000, v117
	v_mov_b32_e32 v122, v116
	v_mov_b32_e32 v124, v118
	v_add_u32_e32 v111, 16, v111
	v_cndmask_b32_e32 v125, v119, v125, vcc
	v_cndmask_b32_e64 v123, v117, v123, s[0:1]
	v_add_f64 v[122:123], v[122:123], v[124:125]
	v_mov_b32_e32 v124, s7
	s_add_i32 s7, s7, 1
	s_cmp_lg_u32 s22, s7
	v_cmp_lt_f64_e32 vcc, v[120:121], v[122:123]
	v_cndmask_b32_e32 v103, v103, v117, vcc
	v_cndmask_b32_e32 v102, v102, v116, vcc
	;; [unrolled: 1-line block ×5, first 2 shown]
	s_cbranch_scc1 .LBB48_358
.LBB48_359:
	s_waitcnt lgkmcnt(0)
	v_cmp_eq_f64_e32 vcc, 0, v[102:103]
	v_cmp_eq_f64_e64 s[0:1], 0, v[104:105]
	s_and_b64 s[0:1], vcc, s[0:1]
	s_and_saveexec_b64 s[8:9], s[0:1]
	s_xor_b64 s[0:1], exec, s[8:9]
; %bb.360:
	v_cmp_ne_u32_e32 vcc, 0, v115
	v_cndmask_b32_e32 v115, 18, v115, vcc
; %bb.361:
	s_andn2_saveexec_b64 s[0:1], s[0:1]
	s_cbranch_execz .LBB48_367
; %bb.362:
	v_cmp_ngt_f64_e64 s[8:9], |v[102:103]|, |v[104:105]|
	s_and_saveexec_b64 s[20:21], s[8:9]
	s_xor_b64 s[8:9], exec, s[20:21]
	s_cbranch_execz .LBB48_364
; %bb.363:
	v_div_scale_f64 v[116:117], s[20:21], v[104:105], v[104:105], v[102:103]
	v_rcp_f64_e32 v[118:119], v[116:117]
	v_fma_f64 v[120:121], -v[116:117], v[118:119], 1.0
	v_fma_f64 v[118:119], v[118:119], v[120:121], v[118:119]
	v_div_scale_f64 v[120:121], vcc, v[102:103], v[104:105], v[102:103]
	v_fma_f64 v[122:123], -v[116:117], v[118:119], 1.0
	v_fma_f64 v[118:119], v[118:119], v[122:123], v[118:119]
	v_mul_f64 v[122:123], v[120:121], v[118:119]
	v_fma_f64 v[116:117], -v[116:117], v[122:123], v[120:121]
	v_div_fmas_f64 v[116:117], v[116:117], v[118:119], v[122:123]
	v_div_fixup_f64 v[116:117], v[116:117], v[104:105], v[102:103]
	v_fma_f64 v[102:103], v[102:103], v[116:117], v[104:105]
	v_div_scale_f64 v[104:105], s[20:21], v[102:103], v[102:103], 1.0
	v_div_scale_f64 v[122:123], vcc, 1.0, v[102:103], 1.0
	v_rcp_f64_e32 v[118:119], v[104:105]
	v_fma_f64 v[120:121], -v[104:105], v[118:119], 1.0
	v_fma_f64 v[118:119], v[118:119], v[120:121], v[118:119]
	v_fma_f64 v[120:121], -v[104:105], v[118:119], 1.0
	v_fma_f64 v[118:119], v[118:119], v[120:121], v[118:119]
	v_mul_f64 v[120:121], v[122:123], v[118:119]
	v_fma_f64 v[104:105], -v[104:105], v[120:121], v[122:123]
	v_div_fmas_f64 v[104:105], v[104:105], v[118:119], v[120:121]
	v_div_fixup_f64 v[104:105], v[104:105], v[102:103], 1.0
	v_mul_f64 v[102:103], v[116:117], v[104:105]
	v_xor_b32_e32 v105, 0x80000000, v105
.LBB48_364:
	s_andn2_saveexec_b64 s[8:9], s[8:9]
	s_cbranch_execz .LBB48_366
; %bb.365:
	v_div_scale_f64 v[116:117], s[20:21], v[102:103], v[102:103], v[104:105]
	v_rcp_f64_e32 v[118:119], v[116:117]
	v_fma_f64 v[120:121], -v[116:117], v[118:119], 1.0
	v_fma_f64 v[118:119], v[118:119], v[120:121], v[118:119]
	v_div_scale_f64 v[120:121], vcc, v[104:105], v[102:103], v[104:105]
	v_fma_f64 v[122:123], -v[116:117], v[118:119], 1.0
	v_fma_f64 v[118:119], v[118:119], v[122:123], v[118:119]
	v_mul_f64 v[122:123], v[120:121], v[118:119]
	v_fma_f64 v[116:117], -v[116:117], v[122:123], v[120:121]
	v_div_fmas_f64 v[116:117], v[116:117], v[118:119], v[122:123]
	v_div_fixup_f64 v[116:117], v[116:117], v[102:103], v[104:105]
	v_fma_f64 v[102:103], v[104:105], v[116:117], v[102:103]
	v_div_scale_f64 v[104:105], s[20:21], v[102:103], v[102:103], 1.0
	v_div_scale_f64 v[122:123], vcc, 1.0, v[102:103], 1.0
	v_rcp_f64_e32 v[118:119], v[104:105]
	v_fma_f64 v[120:121], -v[104:105], v[118:119], 1.0
	v_fma_f64 v[118:119], v[118:119], v[120:121], v[118:119]
	v_fma_f64 v[120:121], -v[104:105], v[118:119], 1.0
	v_fma_f64 v[118:119], v[118:119], v[120:121], v[118:119]
	v_mul_f64 v[120:121], v[122:123], v[118:119]
	v_fma_f64 v[104:105], -v[104:105], v[120:121], v[122:123]
	v_div_fmas_f64 v[104:105], v[104:105], v[118:119], v[120:121]
	v_div_fixup_f64 v[102:103], v[104:105], v[102:103], 1.0
	v_mul_f64 v[104:105], v[116:117], -v[102:103]
.LBB48_366:
	s_or_b64 exec, exec, s[8:9]
.LBB48_367:
	s_or_b64 exec, exec, s[0:1]
	v_cmp_ne_u32_e32 vcc, v112, v110
	s_and_saveexec_b64 s[0:1], vcc
	s_xor_b64 s[0:1], exec, s[0:1]
	s_cbranch_execz .LBB48_373
; %bb.368:
	v_cmp_eq_u32_e32 vcc, 17, v112
	s_and_saveexec_b64 s[8:9], vcc
	s_cbranch_execz .LBB48_372
; %bb.369:
	v_cmp_ne_u32_e32 vcc, 17, v110
	s_xor_b64 s[20:21], s[18:19], -1
	s_and_b64 s[24:25], s[20:21], vcc
	s_and_saveexec_b64 s[20:21], s[24:25]
	s_cbranch_execz .LBB48_371
; %bb.370:
	v_ashrrev_i32_e32 v111, 31, v110
	v_lshlrev_b64 v[111:112], 2, v[110:111]
	v_add_co_u32_e32 v111, vcc, v108, v111
	v_addc_co_u32_e32 v112, vcc, v109, v112, vcc
	global_load_dword v0, v[111:112], off
	global_load_dword v116, v[108:109], off offset:68
	s_waitcnt vmcnt(1)
	global_store_dword v[108:109], v0, off offset:68
	s_waitcnt vmcnt(1)
	global_store_dword v[111:112], v116, off
.LBB48_371:
	s_or_b64 exec, exec, s[20:21]
	v_mov_b32_e32 v112, v110
	v_mov_b32_e32 v0, v110
.LBB48_372:
	s_or_b64 exec, exec, s[8:9]
.LBB48_373:
	s_andn2_saveexec_b64 s[0:1], s[0:1]
	s_cbranch_execz .LBB48_375
; %bb.374:
	v_mov_b32_e32 v112, 17
	ds_write2_b64 v1, v[22:23], v[24:25] offset0:36 offset1:37
	ds_write2_b64 v1, v[18:19], v[20:21] offset0:38 offset1:39
	;; [unrolled: 1-line block ×7, first 2 shown]
.LBB48_375:
	s_or_b64 exec, exec, s[0:1]
	v_cmp_lt_i32_e32 vcc, 17, v112
	s_waitcnt vmcnt(0) lgkmcnt(0)
	s_barrier
	s_and_saveexec_b64 s[0:1], vcc
	s_cbranch_execz .LBB48_377
; %bb.376:
	v_mul_f64 v[110:111], v[102:103], v[28:29]
	v_mul_f64 v[28:29], v[104:105], v[28:29]
	v_fma_f64 v[110:111], v[104:105], v[26:27], v[110:111]
	v_fma_f64 v[26:27], v[102:103], v[26:27], -v[28:29]
	ds_read2_b64 v[102:105], v1 offset0:36 offset1:37
	s_waitcnt lgkmcnt(0)
	v_mul_f64 v[28:29], v[104:105], v[110:111]
	v_fma_f64 v[28:29], v[102:103], v[26:27], -v[28:29]
	v_mul_f64 v[102:103], v[102:103], v[110:111]
	v_add_f64 v[22:23], v[22:23], -v[28:29]
	v_fma_f64 v[102:103], v[104:105], v[26:27], v[102:103]
	v_add_f64 v[24:25], v[24:25], -v[102:103]
	ds_read2_b64 v[102:105], v1 offset0:38 offset1:39
	s_waitcnt lgkmcnt(0)
	v_mul_f64 v[28:29], v[104:105], v[110:111]
	v_fma_f64 v[28:29], v[102:103], v[26:27], -v[28:29]
	v_mul_f64 v[102:103], v[102:103], v[110:111]
	v_add_f64 v[18:19], v[18:19], -v[28:29]
	v_fma_f64 v[102:103], v[104:105], v[26:27], v[102:103]
	v_add_f64 v[20:21], v[20:21], -v[102:103]
	;; [unrolled: 8-line block ×6, first 2 shown]
	ds_read2_b64 v[102:105], v1 offset0:48 offset1:49
	s_waitcnt lgkmcnt(0)
	v_mul_f64 v[28:29], v[104:105], v[110:111]
	v_fma_f64 v[28:29], v[102:103], v[26:27], -v[28:29]
	v_mul_f64 v[102:103], v[102:103], v[110:111]
	v_add_f64 v[98:99], v[98:99], -v[28:29]
	v_fma_f64 v[102:103], v[104:105], v[26:27], v[102:103]
	v_mov_b32_e32 v28, v110
	v_mov_b32_e32 v29, v111
	v_add_f64 v[100:101], v[100:101], -v[102:103]
.LBB48_377:
	s_or_b64 exec, exec, s[0:1]
	v_lshl_add_u32 v102, v112, 4, v1
	s_barrier
	ds_write2_b64 v102, v[22:23], v[24:25] offset1:1
	s_waitcnt lgkmcnt(0)
	s_barrier
	ds_read2_b64 v[102:105], v1 offset0:36 offset1:37
	s_cmp_lt_i32 s22, 20
	v_mov_b32_e32 v110, 18
	s_cbranch_scc1 .LBB48_380
; %bb.378:
	v_add_u32_e32 v111, 0x130, v1
	s_mov_b32 s7, 19
	v_mov_b32_e32 v110, 18
.LBB48_379:                             ; =>This Inner Loop Header: Depth=1
	s_waitcnt lgkmcnt(0)
	v_cmp_gt_f64_e32 vcc, 0, v[104:105]
	v_cmp_gt_f64_e64 s[0:1], 0, v[102:103]
	ds_read2_b64 v[116:119], v111 offset1:1
	v_xor_b32_e32 v121, 0x80000000, v103
	v_xor_b32_e32 v123, 0x80000000, v105
	v_mov_b32_e32 v120, v102
	v_mov_b32_e32 v122, v104
	s_waitcnt lgkmcnt(0)
	v_xor_b32_e32 v125, 0x80000000, v119
	v_cndmask_b32_e32 v123, v105, v123, vcc
	v_cndmask_b32_e64 v121, v103, v121, s[0:1]
	v_cmp_gt_f64_e32 vcc, 0, v[118:119]
	v_cmp_gt_f64_e64 s[0:1], 0, v[116:117]
	v_add_f64 v[120:121], v[120:121], v[122:123]
	v_xor_b32_e32 v123, 0x80000000, v117
	v_mov_b32_e32 v122, v116
	v_mov_b32_e32 v124, v118
	v_add_u32_e32 v111, 16, v111
	v_cndmask_b32_e32 v125, v119, v125, vcc
	v_cndmask_b32_e64 v123, v117, v123, s[0:1]
	v_add_f64 v[122:123], v[122:123], v[124:125]
	v_mov_b32_e32 v124, s7
	s_add_i32 s7, s7, 1
	s_cmp_lg_u32 s22, s7
	v_cmp_lt_f64_e32 vcc, v[120:121], v[122:123]
	v_cndmask_b32_e32 v103, v103, v117, vcc
	v_cndmask_b32_e32 v102, v102, v116, vcc
	;; [unrolled: 1-line block ×5, first 2 shown]
	s_cbranch_scc1 .LBB48_379
.LBB48_380:
	s_waitcnt lgkmcnt(0)
	v_cmp_eq_f64_e32 vcc, 0, v[102:103]
	v_cmp_eq_f64_e64 s[0:1], 0, v[104:105]
	s_and_b64 s[0:1], vcc, s[0:1]
	s_and_saveexec_b64 s[8:9], s[0:1]
	s_xor_b64 s[0:1], exec, s[8:9]
; %bb.381:
	v_cmp_ne_u32_e32 vcc, 0, v115
	v_cndmask_b32_e32 v115, 19, v115, vcc
; %bb.382:
	s_andn2_saveexec_b64 s[0:1], s[0:1]
	s_cbranch_execz .LBB48_388
; %bb.383:
	v_cmp_ngt_f64_e64 s[8:9], |v[102:103]|, |v[104:105]|
	s_and_saveexec_b64 s[20:21], s[8:9]
	s_xor_b64 s[8:9], exec, s[20:21]
	s_cbranch_execz .LBB48_385
; %bb.384:
	v_div_scale_f64 v[116:117], s[20:21], v[104:105], v[104:105], v[102:103]
	v_rcp_f64_e32 v[118:119], v[116:117]
	v_fma_f64 v[120:121], -v[116:117], v[118:119], 1.0
	v_fma_f64 v[118:119], v[118:119], v[120:121], v[118:119]
	v_div_scale_f64 v[120:121], vcc, v[102:103], v[104:105], v[102:103]
	v_fma_f64 v[122:123], -v[116:117], v[118:119], 1.0
	v_fma_f64 v[118:119], v[118:119], v[122:123], v[118:119]
	v_mul_f64 v[122:123], v[120:121], v[118:119]
	v_fma_f64 v[116:117], -v[116:117], v[122:123], v[120:121]
	v_div_fmas_f64 v[116:117], v[116:117], v[118:119], v[122:123]
	v_div_fixup_f64 v[116:117], v[116:117], v[104:105], v[102:103]
	v_fma_f64 v[102:103], v[102:103], v[116:117], v[104:105]
	v_div_scale_f64 v[104:105], s[20:21], v[102:103], v[102:103], 1.0
	v_div_scale_f64 v[122:123], vcc, 1.0, v[102:103], 1.0
	v_rcp_f64_e32 v[118:119], v[104:105]
	v_fma_f64 v[120:121], -v[104:105], v[118:119], 1.0
	v_fma_f64 v[118:119], v[118:119], v[120:121], v[118:119]
	v_fma_f64 v[120:121], -v[104:105], v[118:119], 1.0
	v_fma_f64 v[118:119], v[118:119], v[120:121], v[118:119]
	v_mul_f64 v[120:121], v[122:123], v[118:119]
	v_fma_f64 v[104:105], -v[104:105], v[120:121], v[122:123]
	v_div_fmas_f64 v[104:105], v[104:105], v[118:119], v[120:121]
	v_div_fixup_f64 v[104:105], v[104:105], v[102:103], 1.0
	v_mul_f64 v[102:103], v[116:117], v[104:105]
	v_xor_b32_e32 v105, 0x80000000, v105
.LBB48_385:
	s_andn2_saveexec_b64 s[8:9], s[8:9]
	s_cbranch_execz .LBB48_387
; %bb.386:
	v_div_scale_f64 v[116:117], s[20:21], v[102:103], v[102:103], v[104:105]
	v_rcp_f64_e32 v[118:119], v[116:117]
	v_fma_f64 v[120:121], -v[116:117], v[118:119], 1.0
	v_fma_f64 v[118:119], v[118:119], v[120:121], v[118:119]
	v_div_scale_f64 v[120:121], vcc, v[104:105], v[102:103], v[104:105]
	v_fma_f64 v[122:123], -v[116:117], v[118:119], 1.0
	v_fma_f64 v[118:119], v[118:119], v[122:123], v[118:119]
	v_mul_f64 v[122:123], v[120:121], v[118:119]
	v_fma_f64 v[116:117], -v[116:117], v[122:123], v[120:121]
	v_div_fmas_f64 v[116:117], v[116:117], v[118:119], v[122:123]
	v_div_fixup_f64 v[116:117], v[116:117], v[102:103], v[104:105]
	v_fma_f64 v[102:103], v[104:105], v[116:117], v[102:103]
	v_div_scale_f64 v[104:105], s[20:21], v[102:103], v[102:103], 1.0
	v_div_scale_f64 v[122:123], vcc, 1.0, v[102:103], 1.0
	v_rcp_f64_e32 v[118:119], v[104:105]
	v_fma_f64 v[120:121], -v[104:105], v[118:119], 1.0
	v_fma_f64 v[118:119], v[118:119], v[120:121], v[118:119]
	v_fma_f64 v[120:121], -v[104:105], v[118:119], 1.0
	v_fma_f64 v[118:119], v[118:119], v[120:121], v[118:119]
	v_mul_f64 v[120:121], v[122:123], v[118:119]
	v_fma_f64 v[104:105], -v[104:105], v[120:121], v[122:123]
	v_div_fmas_f64 v[104:105], v[104:105], v[118:119], v[120:121]
	v_div_fixup_f64 v[102:103], v[104:105], v[102:103], 1.0
	v_mul_f64 v[104:105], v[116:117], -v[102:103]
.LBB48_387:
	s_or_b64 exec, exec, s[8:9]
.LBB48_388:
	s_or_b64 exec, exec, s[0:1]
	v_cmp_ne_u32_e32 vcc, v112, v110
	s_and_saveexec_b64 s[0:1], vcc
	s_xor_b64 s[0:1], exec, s[0:1]
	s_cbranch_execz .LBB48_394
; %bb.389:
	v_cmp_eq_u32_e32 vcc, 18, v112
	s_and_saveexec_b64 s[8:9], vcc
	s_cbranch_execz .LBB48_393
; %bb.390:
	v_cmp_ne_u32_e32 vcc, 18, v110
	s_xor_b64 s[20:21], s[18:19], -1
	s_and_b64 s[24:25], s[20:21], vcc
	s_and_saveexec_b64 s[20:21], s[24:25]
	s_cbranch_execz .LBB48_392
; %bb.391:
	v_ashrrev_i32_e32 v111, 31, v110
	v_lshlrev_b64 v[111:112], 2, v[110:111]
	v_add_co_u32_e32 v111, vcc, v108, v111
	v_addc_co_u32_e32 v112, vcc, v109, v112, vcc
	global_load_dword v0, v[111:112], off
	global_load_dword v116, v[108:109], off offset:72
	s_waitcnt vmcnt(1)
	global_store_dword v[108:109], v0, off offset:72
	s_waitcnt vmcnt(1)
	global_store_dword v[111:112], v116, off
.LBB48_392:
	s_or_b64 exec, exec, s[20:21]
	v_mov_b32_e32 v112, v110
	v_mov_b32_e32 v0, v110
.LBB48_393:
	s_or_b64 exec, exec, s[8:9]
.LBB48_394:
	s_andn2_saveexec_b64 s[0:1], s[0:1]
	s_cbranch_execz .LBB48_396
; %bb.395:
	v_mov_b32_e32 v112, 18
	ds_write2_b64 v1, v[18:19], v[20:21] offset0:38 offset1:39
	ds_write2_b64 v1, v[14:15], v[16:17] offset0:40 offset1:41
	;; [unrolled: 1-line block ×6, first 2 shown]
.LBB48_396:
	s_or_b64 exec, exec, s[0:1]
	v_cmp_lt_i32_e32 vcc, 18, v112
	s_waitcnt vmcnt(0) lgkmcnt(0)
	s_barrier
	s_and_saveexec_b64 s[0:1], vcc
	s_cbranch_execz .LBB48_398
; %bb.397:
	v_mul_f64 v[110:111], v[102:103], v[24:25]
	v_mul_f64 v[24:25], v[104:105], v[24:25]
	v_fma_f64 v[110:111], v[104:105], v[22:23], v[110:111]
	v_fma_f64 v[22:23], v[102:103], v[22:23], -v[24:25]
	ds_read2_b64 v[102:105], v1 offset0:38 offset1:39
	s_waitcnt lgkmcnt(0)
	v_mul_f64 v[24:25], v[104:105], v[110:111]
	v_fma_f64 v[24:25], v[102:103], v[22:23], -v[24:25]
	v_mul_f64 v[102:103], v[102:103], v[110:111]
	v_add_f64 v[18:19], v[18:19], -v[24:25]
	v_fma_f64 v[102:103], v[104:105], v[22:23], v[102:103]
	v_add_f64 v[20:21], v[20:21], -v[102:103]
	ds_read2_b64 v[102:105], v1 offset0:40 offset1:41
	s_waitcnt lgkmcnt(0)
	v_mul_f64 v[24:25], v[104:105], v[110:111]
	v_fma_f64 v[24:25], v[102:103], v[22:23], -v[24:25]
	v_mul_f64 v[102:103], v[102:103], v[110:111]
	v_add_f64 v[14:15], v[14:15], -v[24:25]
	v_fma_f64 v[102:103], v[104:105], v[22:23], v[102:103]
	v_add_f64 v[16:17], v[16:17], -v[102:103]
	;; [unrolled: 8-line block ×5, first 2 shown]
	ds_read2_b64 v[102:105], v1 offset0:48 offset1:49
	s_waitcnt lgkmcnt(0)
	v_mul_f64 v[24:25], v[104:105], v[110:111]
	v_fma_f64 v[24:25], v[102:103], v[22:23], -v[24:25]
	v_mul_f64 v[102:103], v[102:103], v[110:111]
	v_add_f64 v[98:99], v[98:99], -v[24:25]
	v_fma_f64 v[102:103], v[104:105], v[22:23], v[102:103]
	v_mov_b32_e32 v24, v110
	v_mov_b32_e32 v25, v111
	v_add_f64 v[100:101], v[100:101], -v[102:103]
.LBB48_398:
	s_or_b64 exec, exec, s[0:1]
	v_lshl_add_u32 v102, v112, 4, v1
	s_barrier
	ds_write2_b64 v102, v[18:19], v[20:21] offset1:1
	s_waitcnt lgkmcnt(0)
	s_barrier
	ds_read2_b64 v[102:105], v1 offset0:38 offset1:39
	s_cmp_lt_i32 s22, 21
	v_mov_b32_e32 v110, 19
	s_cbranch_scc1 .LBB48_401
; %bb.399:
	v_add_u32_e32 v111, 0x140, v1
	s_mov_b32 s7, 20
	v_mov_b32_e32 v110, 19
.LBB48_400:                             ; =>This Inner Loop Header: Depth=1
	s_waitcnt lgkmcnt(0)
	v_cmp_gt_f64_e32 vcc, 0, v[104:105]
	v_cmp_gt_f64_e64 s[0:1], 0, v[102:103]
	ds_read2_b64 v[116:119], v111 offset1:1
	v_xor_b32_e32 v121, 0x80000000, v103
	v_xor_b32_e32 v123, 0x80000000, v105
	v_mov_b32_e32 v120, v102
	v_mov_b32_e32 v122, v104
	s_waitcnt lgkmcnt(0)
	v_xor_b32_e32 v125, 0x80000000, v119
	v_cndmask_b32_e32 v123, v105, v123, vcc
	v_cndmask_b32_e64 v121, v103, v121, s[0:1]
	v_cmp_gt_f64_e32 vcc, 0, v[118:119]
	v_cmp_gt_f64_e64 s[0:1], 0, v[116:117]
	v_add_f64 v[120:121], v[120:121], v[122:123]
	v_xor_b32_e32 v123, 0x80000000, v117
	v_mov_b32_e32 v122, v116
	v_mov_b32_e32 v124, v118
	v_add_u32_e32 v111, 16, v111
	v_cndmask_b32_e32 v125, v119, v125, vcc
	v_cndmask_b32_e64 v123, v117, v123, s[0:1]
	v_add_f64 v[122:123], v[122:123], v[124:125]
	v_mov_b32_e32 v124, s7
	s_add_i32 s7, s7, 1
	s_cmp_lg_u32 s22, s7
	v_cmp_lt_f64_e32 vcc, v[120:121], v[122:123]
	v_cndmask_b32_e32 v103, v103, v117, vcc
	v_cndmask_b32_e32 v102, v102, v116, vcc
	v_cndmask_b32_e32 v105, v105, v119, vcc
	v_cndmask_b32_e32 v104, v104, v118, vcc
	v_cndmask_b32_e32 v110, v110, v124, vcc
	s_cbranch_scc1 .LBB48_400
.LBB48_401:
	s_waitcnt lgkmcnt(0)
	v_cmp_eq_f64_e32 vcc, 0, v[102:103]
	v_cmp_eq_f64_e64 s[0:1], 0, v[104:105]
	s_and_b64 s[0:1], vcc, s[0:1]
	s_and_saveexec_b64 s[8:9], s[0:1]
	s_xor_b64 s[0:1], exec, s[8:9]
; %bb.402:
	v_cmp_ne_u32_e32 vcc, 0, v115
	v_cndmask_b32_e32 v115, 20, v115, vcc
; %bb.403:
	s_andn2_saveexec_b64 s[0:1], s[0:1]
	s_cbranch_execz .LBB48_409
; %bb.404:
	v_cmp_ngt_f64_e64 s[8:9], |v[102:103]|, |v[104:105]|
	s_and_saveexec_b64 s[20:21], s[8:9]
	s_xor_b64 s[8:9], exec, s[20:21]
	s_cbranch_execz .LBB48_406
; %bb.405:
	v_div_scale_f64 v[116:117], s[20:21], v[104:105], v[104:105], v[102:103]
	v_rcp_f64_e32 v[118:119], v[116:117]
	v_fma_f64 v[120:121], -v[116:117], v[118:119], 1.0
	v_fma_f64 v[118:119], v[118:119], v[120:121], v[118:119]
	v_div_scale_f64 v[120:121], vcc, v[102:103], v[104:105], v[102:103]
	v_fma_f64 v[122:123], -v[116:117], v[118:119], 1.0
	v_fma_f64 v[118:119], v[118:119], v[122:123], v[118:119]
	v_mul_f64 v[122:123], v[120:121], v[118:119]
	v_fma_f64 v[116:117], -v[116:117], v[122:123], v[120:121]
	v_div_fmas_f64 v[116:117], v[116:117], v[118:119], v[122:123]
	v_div_fixup_f64 v[116:117], v[116:117], v[104:105], v[102:103]
	v_fma_f64 v[102:103], v[102:103], v[116:117], v[104:105]
	v_div_scale_f64 v[104:105], s[20:21], v[102:103], v[102:103], 1.0
	v_div_scale_f64 v[122:123], vcc, 1.0, v[102:103], 1.0
	v_rcp_f64_e32 v[118:119], v[104:105]
	v_fma_f64 v[120:121], -v[104:105], v[118:119], 1.0
	v_fma_f64 v[118:119], v[118:119], v[120:121], v[118:119]
	v_fma_f64 v[120:121], -v[104:105], v[118:119], 1.0
	v_fma_f64 v[118:119], v[118:119], v[120:121], v[118:119]
	v_mul_f64 v[120:121], v[122:123], v[118:119]
	v_fma_f64 v[104:105], -v[104:105], v[120:121], v[122:123]
	v_div_fmas_f64 v[104:105], v[104:105], v[118:119], v[120:121]
	v_div_fixup_f64 v[104:105], v[104:105], v[102:103], 1.0
	v_mul_f64 v[102:103], v[116:117], v[104:105]
	v_xor_b32_e32 v105, 0x80000000, v105
.LBB48_406:
	s_andn2_saveexec_b64 s[8:9], s[8:9]
	s_cbranch_execz .LBB48_408
; %bb.407:
	v_div_scale_f64 v[116:117], s[20:21], v[102:103], v[102:103], v[104:105]
	v_rcp_f64_e32 v[118:119], v[116:117]
	v_fma_f64 v[120:121], -v[116:117], v[118:119], 1.0
	v_fma_f64 v[118:119], v[118:119], v[120:121], v[118:119]
	v_div_scale_f64 v[120:121], vcc, v[104:105], v[102:103], v[104:105]
	v_fma_f64 v[122:123], -v[116:117], v[118:119], 1.0
	v_fma_f64 v[118:119], v[118:119], v[122:123], v[118:119]
	v_mul_f64 v[122:123], v[120:121], v[118:119]
	v_fma_f64 v[116:117], -v[116:117], v[122:123], v[120:121]
	v_div_fmas_f64 v[116:117], v[116:117], v[118:119], v[122:123]
	v_div_fixup_f64 v[116:117], v[116:117], v[102:103], v[104:105]
	v_fma_f64 v[102:103], v[104:105], v[116:117], v[102:103]
	v_div_scale_f64 v[104:105], s[20:21], v[102:103], v[102:103], 1.0
	v_div_scale_f64 v[122:123], vcc, 1.0, v[102:103], 1.0
	v_rcp_f64_e32 v[118:119], v[104:105]
	v_fma_f64 v[120:121], -v[104:105], v[118:119], 1.0
	v_fma_f64 v[118:119], v[118:119], v[120:121], v[118:119]
	v_fma_f64 v[120:121], -v[104:105], v[118:119], 1.0
	v_fma_f64 v[118:119], v[118:119], v[120:121], v[118:119]
	v_mul_f64 v[120:121], v[122:123], v[118:119]
	v_fma_f64 v[104:105], -v[104:105], v[120:121], v[122:123]
	v_div_fmas_f64 v[104:105], v[104:105], v[118:119], v[120:121]
	v_div_fixup_f64 v[102:103], v[104:105], v[102:103], 1.0
	v_mul_f64 v[104:105], v[116:117], -v[102:103]
.LBB48_408:
	s_or_b64 exec, exec, s[8:9]
.LBB48_409:
	s_or_b64 exec, exec, s[0:1]
	v_cmp_ne_u32_e32 vcc, v112, v110
	s_and_saveexec_b64 s[0:1], vcc
	s_xor_b64 s[0:1], exec, s[0:1]
	s_cbranch_execz .LBB48_415
; %bb.410:
	v_cmp_eq_u32_e32 vcc, 19, v112
	s_and_saveexec_b64 s[8:9], vcc
	s_cbranch_execz .LBB48_414
; %bb.411:
	v_cmp_ne_u32_e32 vcc, 19, v110
	s_xor_b64 s[20:21], s[18:19], -1
	s_and_b64 s[24:25], s[20:21], vcc
	s_and_saveexec_b64 s[20:21], s[24:25]
	s_cbranch_execz .LBB48_413
; %bb.412:
	v_ashrrev_i32_e32 v111, 31, v110
	v_lshlrev_b64 v[111:112], 2, v[110:111]
	v_add_co_u32_e32 v111, vcc, v108, v111
	v_addc_co_u32_e32 v112, vcc, v109, v112, vcc
	global_load_dword v0, v[111:112], off
	global_load_dword v116, v[108:109], off offset:76
	s_waitcnt vmcnt(1)
	global_store_dword v[108:109], v0, off offset:76
	s_waitcnt vmcnt(1)
	global_store_dword v[111:112], v116, off
.LBB48_413:
	s_or_b64 exec, exec, s[20:21]
	v_mov_b32_e32 v112, v110
	v_mov_b32_e32 v0, v110
.LBB48_414:
	s_or_b64 exec, exec, s[8:9]
.LBB48_415:
	s_andn2_saveexec_b64 s[0:1], s[0:1]
	s_cbranch_execz .LBB48_417
; %bb.416:
	v_mov_b32_e32 v112, 19
	ds_write2_b64 v1, v[14:15], v[16:17] offset0:40 offset1:41
	ds_write2_b64 v1, v[10:11], v[12:13] offset0:42 offset1:43
	;; [unrolled: 1-line block ×5, first 2 shown]
.LBB48_417:
	s_or_b64 exec, exec, s[0:1]
	v_cmp_lt_i32_e32 vcc, 19, v112
	s_waitcnt vmcnt(0) lgkmcnt(0)
	s_barrier
	s_and_saveexec_b64 s[0:1], vcc
	s_cbranch_execz .LBB48_419
; %bb.418:
	v_mul_f64 v[110:111], v[102:103], v[20:21]
	v_mul_f64 v[20:21], v[104:105], v[20:21]
	v_fma_f64 v[110:111], v[104:105], v[18:19], v[110:111]
	v_fma_f64 v[18:19], v[102:103], v[18:19], -v[20:21]
	ds_read2_b64 v[102:105], v1 offset0:40 offset1:41
	s_waitcnt lgkmcnt(0)
	v_mul_f64 v[20:21], v[104:105], v[110:111]
	v_fma_f64 v[20:21], v[102:103], v[18:19], -v[20:21]
	v_mul_f64 v[102:103], v[102:103], v[110:111]
	v_add_f64 v[14:15], v[14:15], -v[20:21]
	v_fma_f64 v[102:103], v[104:105], v[18:19], v[102:103]
	v_add_f64 v[16:17], v[16:17], -v[102:103]
	ds_read2_b64 v[102:105], v1 offset0:42 offset1:43
	s_waitcnt lgkmcnt(0)
	v_mul_f64 v[20:21], v[104:105], v[110:111]
	v_fma_f64 v[20:21], v[102:103], v[18:19], -v[20:21]
	v_mul_f64 v[102:103], v[102:103], v[110:111]
	v_add_f64 v[10:11], v[10:11], -v[20:21]
	v_fma_f64 v[102:103], v[104:105], v[18:19], v[102:103]
	v_add_f64 v[12:13], v[12:13], -v[102:103]
	;; [unrolled: 8-line block ×4, first 2 shown]
	ds_read2_b64 v[102:105], v1 offset0:48 offset1:49
	s_waitcnt lgkmcnt(0)
	v_mul_f64 v[20:21], v[104:105], v[110:111]
	v_fma_f64 v[20:21], v[102:103], v[18:19], -v[20:21]
	v_mul_f64 v[102:103], v[102:103], v[110:111]
	v_add_f64 v[98:99], v[98:99], -v[20:21]
	v_fma_f64 v[102:103], v[104:105], v[18:19], v[102:103]
	v_mov_b32_e32 v20, v110
	v_mov_b32_e32 v21, v111
	v_add_f64 v[100:101], v[100:101], -v[102:103]
.LBB48_419:
	s_or_b64 exec, exec, s[0:1]
	v_lshl_add_u32 v102, v112, 4, v1
	s_barrier
	ds_write2_b64 v102, v[14:15], v[16:17] offset1:1
	s_waitcnt lgkmcnt(0)
	s_barrier
	ds_read2_b64 v[102:105], v1 offset0:40 offset1:41
	s_cmp_lt_i32 s22, 22
	v_mov_b32_e32 v110, 20
	s_cbranch_scc1 .LBB48_422
; %bb.420:
	v_add_u32_e32 v111, 0x150, v1
	s_mov_b32 s7, 21
	v_mov_b32_e32 v110, 20
.LBB48_421:                             ; =>This Inner Loop Header: Depth=1
	s_waitcnt lgkmcnt(0)
	v_cmp_gt_f64_e32 vcc, 0, v[104:105]
	v_cmp_gt_f64_e64 s[0:1], 0, v[102:103]
	ds_read2_b64 v[116:119], v111 offset1:1
	v_xor_b32_e32 v121, 0x80000000, v103
	v_xor_b32_e32 v123, 0x80000000, v105
	v_mov_b32_e32 v120, v102
	v_mov_b32_e32 v122, v104
	s_waitcnt lgkmcnt(0)
	v_xor_b32_e32 v125, 0x80000000, v119
	v_cndmask_b32_e32 v123, v105, v123, vcc
	v_cndmask_b32_e64 v121, v103, v121, s[0:1]
	v_cmp_gt_f64_e32 vcc, 0, v[118:119]
	v_cmp_gt_f64_e64 s[0:1], 0, v[116:117]
	v_add_f64 v[120:121], v[120:121], v[122:123]
	v_xor_b32_e32 v123, 0x80000000, v117
	v_mov_b32_e32 v122, v116
	v_mov_b32_e32 v124, v118
	v_add_u32_e32 v111, 16, v111
	v_cndmask_b32_e32 v125, v119, v125, vcc
	v_cndmask_b32_e64 v123, v117, v123, s[0:1]
	v_add_f64 v[122:123], v[122:123], v[124:125]
	v_mov_b32_e32 v124, s7
	s_add_i32 s7, s7, 1
	s_cmp_lg_u32 s22, s7
	v_cmp_lt_f64_e32 vcc, v[120:121], v[122:123]
	v_cndmask_b32_e32 v103, v103, v117, vcc
	v_cndmask_b32_e32 v102, v102, v116, vcc
	;; [unrolled: 1-line block ×5, first 2 shown]
	s_cbranch_scc1 .LBB48_421
.LBB48_422:
	s_waitcnt lgkmcnt(0)
	v_cmp_eq_f64_e32 vcc, 0, v[102:103]
	v_cmp_eq_f64_e64 s[0:1], 0, v[104:105]
	s_and_b64 s[0:1], vcc, s[0:1]
	s_and_saveexec_b64 s[8:9], s[0:1]
	s_xor_b64 s[0:1], exec, s[8:9]
; %bb.423:
	v_cmp_ne_u32_e32 vcc, 0, v115
	v_cndmask_b32_e32 v115, 21, v115, vcc
; %bb.424:
	s_andn2_saveexec_b64 s[0:1], s[0:1]
	s_cbranch_execz .LBB48_430
; %bb.425:
	v_cmp_ngt_f64_e64 s[8:9], |v[102:103]|, |v[104:105]|
	s_and_saveexec_b64 s[20:21], s[8:9]
	s_xor_b64 s[8:9], exec, s[20:21]
	s_cbranch_execz .LBB48_427
; %bb.426:
	v_div_scale_f64 v[116:117], s[20:21], v[104:105], v[104:105], v[102:103]
	v_rcp_f64_e32 v[118:119], v[116:117]
	v_fma_f64 v[120:121], -v[116:117], v[118:119], 1.0
	v_fma_f64 v[118:119], v[118:119], v[120:121], v[118:119]
	v_div_scale_f64 v[120:121], vcc, v[102:103], v[104:105], v[102:103]
	v_fma_f64 v[122:123], -v[116:117], v[118:119], 1.0
	v_fma_f64 v[118:119], v[118:119], v[122:123], v[118:119]
	v_mul_f64 v[122:123], v[120:121], v[118:119]
	v_fma_f64 v[116:117], -v[116:117], v[122:123], v[120:121]
	v_div_fmas_f64 v[116:117], v[116:117], v[118:119], v[122:123]
	v_div_fixup_f64 v[116:117], v[116:117], v[104:105], v[102:103]
	v_fma_f64 v[102:103], v[102:103], v[116:117], v[104:105]
	v_div_scale_f64 v[104:105], s[20:21], v[102:103], v[102:103], 1.0
	v_div_scale_f64 v[122:123], vcc, 1.0, v[102:103], 1.0
	v_rcp_f64_e32 v[118:119], v[104:105]
	v_fma_f64 v[120:121], -v[104:105], v[118:119], 1.0
	v_fma_f64 v[118:119], v[118:119], v[120:121], v[118:119]
	v_fma_f64 v[120:121], -v[104:105], v[118:119], 1.0
	v_fma_f64 v[118:119], v[118:119], v[120:121], v[118:119]
	v_mul_f64 v[120:121], v[122:123], v[118:119]
	v_fma_f64 v[104:105], -v[104:105], v[120:121], v[122:123]
	v_div_fmas_f64 v[104:105], v[104:105], v[118:119], v[120:121]
	v_div_fixup_f64 v[104:105], v[104:105], v[102:103], 1.0
	v_mul_f64 v[102:103], v[116:117], v[104:105]
	v_xor_b32_e32 v105, 0x80000000, v105
.LBB48_427:
	s_andn2_saveexec_b64 s[8:9], s[8:9]
	s_cbranch_execz .LBB48_429
; %bb.428:
	v_div_scale_f64 v[116:117], s[20:21], v[102:103], v[102:103], v[104:105]
	v_rcp_f64_e32 v[118:119], v[116:117]
	v_fma_f64 v[120:121], -v[116:117], v[118:119], 1.0
	v_fma_f64 v[118:119], v[118:119], v[120:121], v[118:119]
	v_div_scale_f64 v[120:121], vcc, v[104:105], v[102:103], v[104:105]
	v_fma_f64 v[122:123], -v[116:117], v[118:119], 1.0
	v_fma_f64 v[118:119], v[118:119], v[122:123], v[118:119]
	v_mul_f64 v[122:123], v[120:121], v[118:119]
	v_fma_f64 v[116:117], -v[116:117], v[122:123], v[120:121]
	v_div_fmas_f64 v[116:117], v[116:117], v[118:119], v[122:123]
	v_div_fixup_f64 v[116:117], v[116:117], v[102:103], v[104:105]
	v_fma_f64 v[102:103], v[104:105], v[116:117], v[102:103]
	v_div_scale_f64 v[104:105], s[20:21], v[102:103], v[102:103], 1.0
	v_div_scale_f64 v[122:123], vcc, 1.0, v[102:103], 1.0
	v_rcp_f64_e32 v[118:119], v[104:105]
	v_fma_f64 v[120:121], -v[104:105], v[118:119], 1.0
	v_fma_f64 v[118:119], v[118:119], v[120:121], v[118:119]
	v_fma_f64 v[120:121], -v[104:105], v[118:119], 1.0
	v_fma_f64 v[118:119], v[118:119], v[120:121], v[118:119]
	v_mul_f64 v[120:121], v[122:123], v[118:119]
	v_fma_f64 v[104:105], -v[104:105], v[120:121], v[122:123]
	v_div_fmas_f64 v[104:105], v[104:105], v[118:119], v[120:121]
	v_div_fixup_f64 v[102:103], v[104:105], v[102:103], 1.0
	v_mul_f64 v[104:105], v[116:117], -v[102:103]
.LBB48_429:
	s_or_b64 exec, exec, s[8:9]
.LBB48_430:
	s_or_b64 exec, exec, s[0:1]
	v_cmp_ne_u32_e32 vcc, v112, v110
	s_and_saveexec_b64 s[0:1], vcc
	s_xor_b64 s[0:1], exec, s[0:1]
	s_cbranch_execz .LBB48_436
; %bb.431:
	v_cmp_eq_u32_e32 vcc, 20, v112
	s_and_saveexec_b64 s[8:9], vcc
	s_cbranch_execz .LBB48_435
; %bb.432:
	v_cmp_ne_u32_e32 vcc, 20, v110
	s_xor_b64 s[20:21], s[18:19], -1
	s_and_b64 s[24:25], s[20:21], vcc
	s_and_saveexec_b64 s[20:21], s[24:25]
	s_cbranch_execz .LBB48_434
; %bb.433:
	v_ashrrev_i32_e32 v111, 31, v110
	v_lshlrev_b64 v[111:112], 2, v[110:111]
	v_add_co_u32_e32 v111, vcc, v108, v111
	v_addc_co_u32_e32 v112, vcc, v109, v112, vcc
	global_load_dword v0, v[111:112], off
	global_load_dword v116, v[108:109], off offset:80
	s_waitcnt vmcnt(1)
	global_store_dword v[108:109], v0, off offset:80
	s_waitcnt vmcnt(1)
	global_store_dword v[111:112], v116, off
.LBB48_434:
	s_or_b64 exec, exec, s[20:21]
	v_mov_b32_e32 v112, v110
	v_mov_b32_e32 v0, v110
.LBB48_435:
	s_or_b64 exec, exec, s[8:9]
.LBB48_436:
	s_andn2_saveexec_b64 s[0:1], s[0:1]
	s_cbranch_execz .LBB48_438
; %bb.437:
	v_mov_b32_e32 v112, 20
	ds_write2_b64 v1, v[10:11], v[12:13] offset0:42 offset1:43
	ds_write2_b64 v1, v[6:7], v[8:9] offset0:44 offset1:45
	;; [unrolled: 1-line block ×4, first 2 shown]
.LBB48_438:
	s_or_b64 exec, exec, s[0:1]
	v_cmp_lt_i32_e32 vcc, 20, v112
	s_waitcnt vmcnt(0) lgkmcnt(0)
	s_barrier
	s_and_saveexec_b64 s[0:1], vcc
	s_cbranch_execz .LBB48_440
; %bb.439:
	v_mul_f64 v[110:111], v[102:103], v[16:17]
	v_mul_f64 v[16:17], v[104:105], v[16:17]
	v_fma_f64 v[110:111], v[104:105], v[14:15], v[110:111]
	v_fma_f64 v[14:15], v[102:103], v[14:15], -v[16:17]
	ds_read2_b64 v[102:105], v1 offset0:42 offset1:43
	s_waitcnt lgkmcnt(0)
	v_mul_f64 v[16:17], v[104:105], v[110:111]
	v_fma_f64 v[16:17], v[102:103], v[14:15], -v[16:17]
	v_mul_f64 v[102:103], v[102:103], v[110:111]
	v_add_f64 v[10:11], v[10:11], -v[16:17]
	v_fma_f64 v[102:103], v[104:105], v[14:15], v[102:103]
	v_add_f64 v[12:13], v[12:13], -v[102:103]
	ds_read2_b64 v[102:105], v1 offset0:44 offset1:45
	s_waitcnt lgkmcnt(0)
	v_mul_f64 v[16:17], v[104:105], v[110:111]
	v_fma_f64 v[16:17], v[102:103], v[14:15], -v[16:17]
	v_mul_f64 v[102:103], v[102:103], v[110:111]
	v_add_f64 v[6:7], v[6:7], -v[16:17]
	v_fma_f64 v[102:103], v[104:105], v[14:15], v[102:103]
	v_add_f64 v[8:9], v[8:9], -v[102:103]
	;; [unrolled: 8-line block ×3, first 2 shown]
	ds_read2_b64 v[102:105], v1 offset0:48 offset1:49
	s_waitcnt lgkmcnt(0)
	v_mul_f64 v[16:17], v[104:105], v[110:111]
	v_fma_f64 v[16:17], v[102:103], v[14:15], -v[16:17]
	v_mul_f64 v[102:103], v[102:103], v[110:111]
	v_add_f64 v[98:99], v[98:99], -v[16:17]
	v_fma_f64 v[102:103], v[104:105], v[14:15], v[102:103]
	v_mov_b32_e32 v16, v110
	v_mov_b32_e32 v17, v111
	v_add_f64 v[100:101], v[100:101], -v[102:103]
.LBB48_440:
	s_or_b64 exec, exec, s[0:1]
	v_lshl_add_u32 v102, v112, 4, v1
	s_barrier
	ds_write2_b64 v102, v[10:11], v[12:13] offset1:1
	s_waitcnt lgkmcnt(0)
	s_barrier
	ds_read2_b64 v[102:105], v1 offset0:42 offset1:43
	s_cmp_lt_i32 s22, 23
	v_mov_b32_e32 v110, 21
	s_cbranch_scc1 .LBB48_443
; %bb.441:
	v_add_u32_e32 v111, 0x160, v1
	s_mov_b32 s7, 22
	v_mov_b32_e32 v110, 21
.LBB48_442:                             ; =>This Inner Loop Header: Depth=1
	s_waitcnt lgkmcnt(0)
	v_cmp_gt_f64_e32 vcc, 0, v[104:105]
	v_cmp_gt_f64_e64 s[0:1], 0, v[102:103]
	ds_read2_b64 v[116:119], v111 offset1:1
	v_xor_b32_e32 v121, 0x80000000, v103
	v_xor_b32_e32 v123, 0x80000000, v105
	v_mov_b32_e32 v120, v102
	v_mov_b32_e32 v122, v104
	s_waitcnt lgkmcnt(0)
	v_xor_b32_e32 v125, 0x80000000, v119
	v_cndmask_b32_e32 v123, v105, v123, vcc
	v_cndmask_b32_e64 v121, v103, v121, s[0:1]
	v_cmp_gt_f64_e32 vcc, 0, v[118:119]
	v_cmp_gt_f64_e64 s[0:1], 0, v[116:117]
	v_add_f64 v[120:121], v[120:121], v[122:123]
	v_xor_b32_e32 v123, 0x80000000, v117
	v_mov_b32_e32 v122, v116
	v_mov_b32_e32 v124, v118
	v_add_u32_e32 v111, 16, v111
	v_cndmask_b32_e32 v125, v119, v125, vcc
	v_cndmask_b32_e64 v123, v117, v123, s[0:1]
	v_add_f64 v[122:123], v[122:123], v[124:125]
	v_mov_b32_e32 v124, s7
	s_add_i32 s7, s7, 1
	s_cmp_lg_u32 s22, s7
	v_cmp_lt_f64_e32 vcc, v[120:121], v[122:123]
	v_cndmask_b32_e32 v103, v103, v117, vcc
	v_cndmask_b32_e32 v102, v102, v116, vcc
	;; [unrolled: 1-line block ×5, first 2 shown]
	s_cbranch_scc1 .LBB48_442
.LBB48_443:
	s_waitcnt lgkmcnt(0)
	v_cmp_eq_f64_e32 vcc, 0, v[102:103]
	v_cmp_eq_f64_e64 s[0:1], 0, v[104:105]
	s_and_b64 s[0:1], vcc, s[0:1]
	s_and_saveexec_b64 s[8:9], s[0:1]
	s_xor_b64 s[0:1], exec, s[8:9]
; %bb.444:
	v_cmp_ne_u32_e32 vcc, 0, v115
	v_cndmask_b32_e32 v115, 22, v115, vcc
; %bb.445:
	s_andn2_saveexec_b64 s[0:1], s[0:1]
	s_cbranch_execz .LBB48_451
; %bb.446:
	v_cmp_ngt_f64_e64 s[8:9], |v[102:103]|, |v[104:105]|
	s_and_saveexec_b64 s[20:21], s[8:9]
	s_xor_b64 s[8:9], exec, s[20:21]
	s_cbranch_execz .LBB48_448
; %bb.447:
	v_div_scale_f64 v[116:117], s[20:21], v[104:105], v[104:105], v[102:103]
	v_rcp_f64_e32 v[118:119], v[116:117]
	v_fma_f64 v[120:121], -v[116:117], v[118:119], 1.0
	v_fma_f64 v[118:119], v[118:119], v[120:121], v[118:119]
	v_div_scale_f64 v[120:121], vcc, v[102:103], v[104:105], v[102:103]
	v_fma_f64 v[122:123], -v[116:117], v[118:119], 1.0
	v_fma_f64 v[118:119], v[118:119], v[122:123], v[118:119]
	v_mul_f64 v[122:123], v[120:121], v[118:119]
	v_fma_f64 v[116:117], -v[116:117], v[122:123], v[120:121]
	v_div_fmas_f64 v[116:117], v[116:117], v[118:119], v[122:123]
	v_div_fixup_f64 v[116:117], v[116:117], v[104:105], v[102:103]
	v_fma_f64 v[102:103], v[102:103], v[116:117], v[104:105]
	v_div_scale_f64 v[104:105], s[20:21], v[102:103], v[102:103], 1.0
	v_div_scale_f64 v[122:123], vcc, 1.0, v[102:103], 1.0
	v_rcp_f64_e32 v[118:119], v[104:105]
	v_fma_f64 v[120:121], -v[104:105], v[118:119], 1.0
	v_fma_f64 v[118:119], v[118:119], v[120:121], v[118:119]
	v_fma_f64 v[120:121], -v[104:105], v[118:119], 1.0
	v_fma_f64 v[118:119], v[118:119], v[120:121], v[118:119]
	v_mul_f64 v[120:121], v[122:123], v[118:119]
	v_fma_f64 v[104:105], -v[104:105], v[120:121], v[122:123]
	v_div_fmas_f64 v[104:105], v[104:105], v[118:119], v[120:121]
	v_div_fixup_f64 v[104:105], v[104:105], v[102:103], 1.0
	v_mul_f64 v[102:103], v[116:117], v[104:105]
	v_xor_b32_e32 v105, 0x80000000, v105
.LBB48_448:
	s_andn2_saveexec_b64 s[8:9], s[8:9]
	s_cbranch_execz .LBB48_450
; %bb.449:
	v_div_scale_f64 v[116:117], s[20:21], v[102:103], v[102:103], v[104:105]
	v_rcp_f64_e32 v[118:119], v[116:117]
	v_fma_f64 v[120:121], -v[116:117], v[118:119], 1.0
	v_fma_f64 v[118:119], v[118:119], v[120:121], v[118:119]
	v_div_scale_f64 v[120:121], vcc, v[104:105], v[102:103], v[104:105]
	v_fma_f64 v[122:123], -v[116:117], v[118:119], 1.0
	v_fma_f64 v[118:119], v[118:119], v[122:123], v[118:119]
	v_mul_f64 v[122:123], v[120:121], v[118:119]
	v_fma_f64 v[116:117], -v[116:117], v[122:123], v[120:121]
	v_div_fmas_f64 v[116:117], v[116:117], v[118:119], v[122:123]
	v_div_fixup_f64 v[116:117], v[116:117], v[102:103], v[104:105]
	v_fma_f64 v[102:103], v[104:105], v[116:117], v[102:103]
	v_div_scale_f64 v[104:105], s[20:21], v[102:103], v[102:103], 1.0
	v_div_scale_f64 v[122:123], vcc, 1.0, v[102:103], 1.0
	v_rcp_f64_e32 v[118:119], v[104:105]
	v_fma_f64 v[120:121], -v[104:105], v[118:119], 1.0
	v_fma_f64 v[118:119], v[118:119], v[120:121], v[118:119]
	v_fma_f64 v[120:121], -v[104:105], v[118:119], 1.0
	v_fma_f64 v[118:119], v[118:119], v[120:121], v[118:119]
	v_mul_f64 v[120:121], v[122:123], v[118:119]
	v_fma_f64 v[104:105], -v[104:105], v[120:121], v[122:123]
	v_div_fmas_f64 v[104:105], v[104:105], v[118:119], v[120:121]
	v_div_fixup_f64 v[102:103], v[104:105], v[102:103], 1.0
	v_mul_f64 v[104:105], v[116:117], -v[102:103]
.LBB48_450:
	s_or_b64 exec, exec, s[8:9]
.LBB48_451:
	s_or_b64 exec, exec, s[0:1]
	v_cmp_ne_u32_e32 vcc, v112, v110
	s_and_saveexec_b64 s[0:1], vcc
	s_xor_b64 s[0:1], exec, s[0:1]
	s_cbranch_execz .LBB48_457
; %bb.452:
	v_cmp_eq_u32_e32 vcc, 21, v112
	s_and_saveexec_b64 s[8:9], vcc
	s_cbranch_execz .LBB48_456
; %bb.453:
	v_cmp_ne_u32_e32 vcc, 21, v110
	s_xor_b64 s[20:21], s[18:19], -1
	s_and_b64 s[24:25], s[20:21], vcc
	s_and_saveexec_b64 s[20:21], s[24:25]
	s_cbranch_execz .LBB48_455
; %bb.454:
	v_ashrrev_i32_e32 v111, 31, v110
	v_lshlrev_b64 v[111:112], 2, v[110:111]
	v_add_co_u32_e32 v111, vcc, v108, v111
	v_addc_co_u32_e32 v112, vcc, v109, v112, vcc
	global_load_dword v0, v[111:112], off
	global_load_dword v116, v[108:109], off offset:84
	s_waitcnt vmcnt(1)
	global_store_dword v[108:109], v0, off offset:84
	s_waitcnt vmcnt(1)
	global_store_dword v[111:112], v116, off
.LBB48_455:
	s_or_b64 exec, exec, s[20:21]
	v_mov_b32_e32 v112, v110
	v_mov_b32_e32 v0, v110
.LBB48_456:
	s_or_b64 exec, exec, s[8:9]
.LBB48_457:
	s_andn2_saveexec_b64 s[0:1], s[0:1]
	s_cbranch_execz .LBB48_459
; %bb.458:
	v_mov_b32_e32 v112, 21
	ds_write2_b64 v1, v[6:7], v[8:9] offset0:44 offset1:45
	ds_write2_b64 v1, v[2:3], v[4:5] offset0:46 offset1:47
	;; [unrolled: 1-line block ×3, first 2 shown]
.LBB48_459:
	s_or_b64 exec, exec, s[0:1]
	v_cmp_lt_i32_e32 vcc, 21, v112
	s_waitcnt vmcnt(0) lgkmcnt(0)
	s_barrier
	s_and_saveexec_b64 s[0:1], vcc
	s_cbranch_execz .LBB48_461
; %bb.460:
	v_mul_f64 v[110:111], v[102:103], v[12:13]
	v_mul_f64 v[12:13], v[104:105], v[12:13]
	v_fma_f64 v[110:111], v[104:105], v[10:11], v[110:111]
	v_fma_f64 v[10:11], v[102:103], v[10:11], -v[12:13]
	ds_read2_b64 v[102:105], v1 offset0:44 offset1:45
	s_waitcnt lgkmcnt(0)
	v_mul_f64 v[12:13], v[104:105], v[110:111]
	v_fma_f64 v[12:13], v[102:103], v[10:11], -v[12:13]
	v_mul_f64 v[102:103], v[102:103], v[110:111]
	v_add_f64 v[6:7], v[6:7], -v[12:13]
	v_fma_f64 v[102:103], v[104:105], v[10:11], v[102:103]
	v_add_f64 v[8:9], v[8:9], -v[102:103]
	ds_read2_b64 v[102:105], v1 offset0:46 offset1:47
	s_waitcnt lgkmcnt(0)
	v_mul_f64 v[12:13], v[104:105], v[110:111]
	v_fma_f64 v[12:13], v[102:103], v[10:11], -v[12:13]
	v_mul_f64 v[102:103], v[102:103], v[110:111]
	v_add_f64 v[2:3], v[2:3], -v[12:13]
	v_fma_f64 v[102:103], v[104:105], v[10:11], v[102:103]
	v_add_f64 v[4:5], v[4:5], -v[102:103]
	ds_read2_b64 v[102:105], v1 offset0:48 offset1:49
	s_waitcnt lgkmcnt(0)
	v_mul_f64 v[12:13], v[104:105], v[110:111]
	v_fma_f64 v[12:13], v[102:103], v[10:11], -v[12:13]
	v_mul_f64 v[102:103], v[102:103], v[110:111]
	v_add_f64 v[98:99], v[98:99], -v[12:13]
	v_fma_f64 v[102:103], v[104:105], v[10:11], v[102:103]
	v_mov_b32_e32 v12, v110
	v_mov_b32_e32 v13, v111
	v_add_f64 v[100:101], v[100:101], -v[102:103]
.LBB48_461:
	s_or_b64 exec, exec, s[0:1]
	v_lshl_add_u32 v102, v112, 4, v1
	s_barrier
	ds_write2_b64 v102, v[6:7], v[8:9] offset1:1
	s_waitcnt lgkmcnt(0)
	s_barrier
	ds_read2_b64 v[102:105], v1 offset0:44 offset1:45
	s_cmp_lt_i32 s22, 24
	v_mov_b32_e32 v110, 22
	s_cbranch_scc1 .LBB48_464
; %bb.462:
	v_add_u32_e32 v111, 0x170, v1
	s_mov_b32 s7, 23
	v_mov_b32_e32 v110, 22
.LBB48_463:                             ; =>This Inner Loop Header: Depth=1
	s_waitcnt lgkmcnt(0)
	v_cmp_gt_f64_e32 vcc, 0, v[104:105]
	v_cmp_gt_f64_e64 s[0:1], 0, v[102:103]
	ds_read2_b64 v[116:119], v111 offset1:1
	v_xor_b32_e32 v121, 0x80000000, v103
	v_xor_b32_e32 v123, 0x80000000, v105
	v_mov_b32_e32 v120, v102
	v_mov_b32_e32 v122, v104
	s_waitcnt lgkmcnt(0)
	v_xor_b32_e32 v125, 0x80000000, v119
	v_cndmask_b32_e32 v123, v105, v123, vcc
	v_cndmask_b32_e64 v121, v103, v121, s[0:1]
	v_cmp_gt_f64_e32 vcc, 0, v[118:119]
	v_cmp_gt_f64_e64 s[0:1], 0, v[116:117]
	v_add_f64 v[120:121], v[120:121], v[122:123]
	v_xor_b32_e32 v123, 0x80000000, v117
	v_mov_b32_e32 v122, v116
	v_mov_b32_e32 v124, v118
	v_add_u32_e32 v111, 16, v111
	v_cndmask_b32_e32 v125, v119, v125, vcc
	v_cndmask_b32_e64 v123, v117, v123, s[0:1]
	v_add_f64 v[122:123], v[122:123], v[124:125]
	v_mov_b32_e32 v124, s7
	s_add_i32 s7, s7, 1
	s_cmp_lg_u32 s22, s7
	v_cmp_lt_f64_e32 vcc, v[120:121], v[122:123]
	v_cndmask_b32_e32 v103, v103, v117, vcc
	v_cndmask_b32_e32 v102, v102, v116, vcc
	;; [unrolled: 1-line block ×5, first 2 shown]
	s_cbranch_scc1 .LBB48_463
.LBB48_464:
	s_waitcnt lgkmcnt(0)
	v_cmp_eq_f64_e32 vcc, 0, v[102:103]
	v_cmp_eq_f64_e64 s[0:1], 0, v[104:105]
	s_and_b64 s[0:1], vcc, s[0:1]
	s_and_saveexec_b64 s[8:9], s[0:1]
	s_xor_b64 s[0:1], exec, s[8:9]
; %bb.465:
	v_cmp_ne_u32_e32 vcc, 0, v115
	v_cndmask_b32_e32 v115, 23, v115, vcc
; %bb.466:
	s_andn2_saveexec_b64 s[0:1], s[0:1]
	s_cbranch_execz .LBB48_472
; %bb.467:
	v_cmp_ngt_f64_e64 s[8:9], |v[102:103]|, |v[104:105]|
	s_and_saveexec_b64 s[20:21], s[8:9]
	s_xor_b64 s[8:9], exec, s[20:21]
	s_cbranch_execz .LBB48_469
; %bb.468:
	v_div_scale_f64 v[116:117], s[20:21], v[104:105], v[104:105], v[102:103]
	v_rcp_f64_e32 v[118:119], v[116:117]
	v_fma_f64 v[120:121], -v[116:117], v[118:119], 1.0
	v_fma_f64 v[118:119], v[118:119], v[120:121], v[118:119]
	v_div_scale_f64 v[120:121], vcc, v[102:103], v[104:105], v[102:103]
	v_fma_f64 v[122:123], -v[116:117], v[118:119], 1.0
	v_fma_f64 v[118:119], v[118:119], v[122:123], v[118:119]
	v_mul_f64 v[122:123], v[120:121], v[118:119]
	v_fma_f64 v[116:117], -v[116:117], v[122:123], v[120:121]
	v_div_fmas_f64 v[116:117], v[116:117], v[118:119], v[122:123]
	v_div_fixup_f64 v[116:117], v[116:117], v[104:105], v[102:103]
	v_fma_f64 v[102:103], v[102:103], v[116:117], v[104:105]
	v_div_scale_f64 v[104:105], s[20:21], v[102:103], v[102:103], 1.0
	v_div_scale_f64 v[122:123], vcc, 1.0, v[102:103], 1.0
	v_rcp_f64_e32 v[118:119], v[104:105]
	v_fma_f64 v[120:121], -v[104:105], v[118:119], 1.0
	v_fma_f64 v[118:119], v[118:119], v[120:121], v[118:119]
	v_fma_f64 v[120:121], -v[104:105], v[118:119], 1.0
	v_fma_f64 v[118:119], v[118:119], v[120:121], v[118:119]
	v_mul_f64 v[120:121], v[122:123], v[118:119]
	v_fma_f64 v[104:105], -v[104:105], v[120:121], v[122:123]
	v_div_fmas_f64 v[104:105], v[104:105], v[118:119], v[120:121]
	v_div_fixup_f64 v[104:105], v[104:105], v[102:103], 1.0
	v_mul_f64 v[102:103], v[116:117], v[104:105]
	v_xor_b32_e32 v105, 0x80000000, v105
.LBB48_469:
	s_andn2_saveexec_b64 s[8:9], s[8:9]
	s_cbranch_execz .LBB48_471
; %bb.470:
	v_div_scale_f64 v[116:117], s[20:21], v[102:103], v[102:103], v[104:105]
	v_rcp_f64_e32 v[118:119], v[116:117]
	v_fma_f64 v[120:121], -v[116:117], v[118:119], 1.0
	v_fma_f64 v[118:119], v[118:119], v[120:121], v[118:119]
	v_div_scale_f64 v[120:121], vcc, v[104:105], v[102:103], v[104:105]
	v_fma_f64 v[122:123], -v[116:117], v[118:119], 1.0
	v_fma_f64 v[118:119], v[118:119], v[122:123], v[118:119]
	v_mul_f64 v[122:123], v[120:121], v[118:119]
	v_fma_f64 v[116:117], -v[116:117], v[122:123], v[120:121]
	v_div_fmas_f64 v[116:117], v[116:117], v[118:119], v[122:123]
	v_div_fixup_f64 v[116:117], v[116:117], v[102:103], v[104:105]
	v_fma_f64 v[102:103], v[104:105], v[116:117], v[102:103]
	v_div_scale_f64 v[104:105], s[20:21], v[102:103], v[102:103], 1.0
	v_div_scale_f64 v[122:123], vcc, 1.0, v[102:103], 1.0
	v_rcp_f64_e32 v[118:119], v[104:105]
	v_fma_f64 v[120:121], -v[104:105], v[118:119], 1.0
	v_fma_f64 v[118:119], v[118:119], v[120:121], v[118:119]
	v_fma_f64 v[120:121], -v[104:105], v[118:119], 1.0
	v_fma_f64 v[118:119], v[118:119], v[120:121], v[118:119]
	v_mul_f64 v[120:121], v[122:123], v[118:119]
	v_fma_f64 v[104:105], -v[104:105], v[120:121], v[122:123]
	v_div_fmas_f64 v[104:105], v[104:105], v[118:119], v[120:121]
	v_div_fixup_f64 v[102:103], v[104:105], v[102:103], 1.0
	v_mul_f64 v[104:105], v[116:117], -v[102:103]
.LBB48_471:
	s_or_b64 exec, exec, s[8:9]
.LBB48_472:
	s_or_b64 exec, exec, s[0:1]
	v_cmp_ne_u32_e32 vcc, v112, v110
	s_and_saveexec_b64 s[0:1], vcc
	s_xor_b64 s[0:1], exec, s[0:1]
	s_cbranch_execz .LBB48_478
; %bb.473:
	v_cmp_eq_u32_e32 vcc, 22, v112
	s_and_saveexec_b64 s[8:9], vcc
	s_cbranch_execz .LBB48_477
; %bb.474:
	v_cmp_ne_u32_e32 vcc, 22, v110
	s_xor_b64 s[20:21], s[18:19], -1
	s_and_b64 s[24:25], s[20:21], vcc
	s_and_saveexec_b64 s[20:21], s[24:25]
	s_cbranch_execz .LBB48_476
; %bb.475:
	v_ashrrev_i32_e32 v111, 31, v110
	v_lshlrev_b64 v[111:112], 2, v[110:111]
	v_add_co_u32_e32 v111, vcc, v108, v111
	v_addc_co_u32_e32 v112, vcc, v109, v112, vcc
	global_load_dword v0, v[111:112], off
	global_load_dword v116, v[108:109], off offset:88
	s_waitcnt vmcnt(1)
	global_store_dword v[108:109], v0, off offset:88
	s_waitcnt vmcnt(1)
	global_store_dword v[111:112], v116, off
.LBB48_476:
	s_or_b64 exec, exec, s[20:21]
	v_mov_b32_e32 v112, v110
	v_mov_b32_e32 v0, v110
.LBB48_477:
	s_or_b64 exec, exec, s[8:9]
.LBB48_478:
	s_andn2_saveexec_b64 s[0:1], s[0:1]
	s_cbranch_execz .LBB48_480
; %bb.479:
	v_mov_b32_e32 v112, 22
	ds_write2_b64 v1, v[2:3], v[4:5] offset0:46 offset1:47
	ds_write2_b64 v1, v[98:99], v[100:101] offset0:48 offset1:49
.LBB48_480:
	s_or_b64 exec, exec, s[0:1]
	v_cmp_lt_i32_e32 vcc, 22, v112
	s_waitcnt vmcnt(0) lgkmcnt(0)
	s_barrier
	s_and_saveexec_b64 s[0:1], vcc
	s_cbranch_execz .LBB48_482
; %bb.481:
	v_mul_f64 v[110:111], v[102:103], v[8:9]
	v_mul_f64 v[8:9], v[104:105], v[8:9]
	ds_read2_b64 v[116:119], v1 offset0:46 offset1:47
	ds_read2_b64 v[120:123], v1 offset0:48 offset1:49
	v_fma_f64 v[104:105], v[104:105], v[6:7], v[110:111]
	v_fma_f64 v[6:7], v[102:103], v[6:7], -v[8:9]
	s_waitcnt lgkmcnt(1)
	v_mul_f64 v[8:9], v[118:119], v[104:105]
	v_mul_f64 v[102:103], v[116:117], v[104:105]
	s_waitcnt lgkmcnt(0)
	v_mul_f64 v[110:111], v[122:123], v[104:105]
	v_mul_f64 v[124:125], v[120:121], v[104:105]
	v_fma_f64 v[8:9], v[116:117], v[6:7], -v[8:9]
	v_fma_f64 v[102:103], v[118:119], v[6:7], v[102:103]
	v_fma_f64 v[110:111], v[120:121], v[6:7], -v[110:111]
	v_fma_f64 v[116:117], v[122:123], v[6:7], v[124:125]
	v_add_f64 v[2:3], v[2:3], -v[8:9]
	v_add_f64 v[4:5], v[4:5], -v[102:103]
	;; [unrolled: 1-line block ×4, first 2 shown]
	v_mov_b32_e32 v8, v104
	v_mov_b32_e32 v9, v105
.LBB48_482:
	s_or_b64 exec, exec, s[0:1]
	v_lshl_add_u32 v102, v112, 4, v1
	s_barrier
	ds_write2_b64 v102, v[2:3], v[4:5] offset1:1
	s_waitcnt lgkmcnt(0)
	s_barrier
	ds_read2_b64 v[102:105], v1 offset0:46 offset1:47
	s_cmp_lt_i32 s22, 25
	v_mov_b32_e32 v110, 23
	s_cbranch_scc1 .LBB48_485
; %bb.483:
	v_add_u32_e32 v111, 0x180, v1
	s_mov_b32 s7, 24
	v_mov_b32_e32 v110, 23
.LBB48_484:                             ; =>This Inner Loop Header: Depth=1
	s_waitcnt lgkmcnt(0)
	v_cmp_gt_f64_e32 vcc, 0, v[104:105]
	v_cmp_gt_f64_e64 s[0:1], 0, v[102:103]
	ds_read2_b64 v[116:119], v111 offset1:1
	v_xor_b32_e32 v121, 0x80000000, v103
	v_xor_b32_e32 v123, 0x80000000, v105
	v_mov_b32_e32 v120, v102
	v_mov_b32_e32 v122, v104
	s_waitcnt lgkmcnt(0)
	v_xor_b32_e32 v125, 0x80000000, v119
	v_cndmask_b32_e32 v123, v105, v123, vcc
	v_cndmask_b32_e64 v121, v103, v121, s[0:1]
	v_cmp_gt_f64_e32 vcc, 0, v[118:119]
	v_cmp_gt_f64_e64 s[0:1], 0, v[116:117]
	v_add_f64 v[120:121], v[120:121], v[122:123]
	v_xor_b32_e32 v123, 0x80000000, v117
	v_mov_b32_e32 v122, v116
	v_mov_b32_e32 v124, v118
	v_add_u32_e32 v111, 16, v111
	v_cndmask_b32_e32 v125, v119, v125, vcc
	v_cndmask_b32_e64 v123, v117, v123, s[0:1]
	v_add_f64 v[122:123], v[122:123], v[124:125]
	v_mov_b32_e32 v124, s7
	s_add_i32 s7, s7, 1
	s_cmp_lg_u32 s22, s7
	v_cmp_lt_f64_e32 vcc, v[120:121], v[122:123]
	v_cndmask_b32_e32 v103, v103, v117, vcc
	v_cndmask_b32_e32 v102, v102, v116, vcc
	;; [unrolled: 1-line block ×5, first 2 shown]
	s_cbranch_scc1 .LBB48_484
.LBB48_485:
	s_waitcnt lgkmcnt(0)
	v_cmp_eq_f64_e32 vcc, 0, v[102:103]
	v_cmp_eq_f64_e64 s[0:1], 0, v[104:105]
	s_and_b64 s[0:1], vcc, s[0:1]
	s_and_saveexec_b64 s[8:9], s[0:1]
	s_xor_b64 s[0:1], exec, s[8:9]
; %bb.486:
	v_cmp_ne_u32_e32 vcc, 0, v115
	v_cndmask_b32_e32 v115, 24, v115, vcc
; %bb.487:
	s_andn2_saveexec_b64 s[0:1], s[0:1]
	s_cbranch_execz .LBB48_493
; %bb.488:
	v_cmp_ngt_f64_e64 s[8:9], |v[102:103]|, |v[104:105]|
	s_and_saveexec_b64 s[20:21], s[8:9]
	s_xor_b64 s[8:9], exec, s[20:21]
	s_cbranch_execz .LBB48_490
; %bb.489:
	v_div_scale_f64 v[116:117], s[20:21], v[104:105], v[104:105], v[102:103]
	v_rcp_f64_e32 v[118:119], v[116:117]
	v_fma_f64 v[120:121], -v[116:117], v[118:119], 1.0
	v_fma_f64 v[118:119], v[118:119], v[120:121], v[118:119]
	v_div_scale_f64 v[120:121], vcc, v[102:103], v[104:105], v[102:103]
	v_fma_f64 v[122:123], -v[116:117], v[118:119], 1.0
	v_fma_f64 v[118:119], v[118:119], v[122:123], v[118:119]
	v_mul_f64 v[122:123], v[120:121], v[118:119]
	v_fma_f64 v[116:117], -v[116:117], v[122:123], v[120:121]
	v_div_fmas_f64 v[116:117], v[116:117], v[118:119], v[122:123]
	v_div_fixup_f64 v[116:117], v[116:117], v[104:105], v[102:103]
	v_fma_f64 v[102:103], v[102:103], v[116:117], v[104:105]
	v_div_scale_f64 v[104:105], s[20:21], v[102:103], v[102:103], 1.0
	v_div_scale_f64 v[122:123], vcc, 1.0, v[102:103], 1.0
	v_rcp_f64_e32 v[118:119], v[104:105]
	v_fma_f64 v[120:121], -v[104:105], v[118:119], 1.0
	v_fma_f64 v[118:119], v[118:119], v[120:121], v[118:119]
	v_fma_f64 v[120:121], -v[104:105], v[118:119], 1.0
	v_fma_f64 v[118:119], v[118:119], v[120:121], v[118:119]
	v_mul_f64 v[120:121], v[122:123], v[118:119]
	v_fma_f64 v[104:105], -v[104:105], v[120:121], v[122:123]
	v_div_fmas_f64 v[104:105], v[104:105], v[118:119], v[120:121]
	v_div_fixup_f64 v[104:105], v[104:105], v[102:103], 1.0
	v_mul_f64 v[102:103], v[116:117], v[104:105]
	v_xor_b32_e32 v105, 0x80000000, v105
.LBB48_490:
	s_andn2_saveexec_b64 s[8:9], s[8:9]
	s_cbranch_execz .LBB48_492
; %bb.491:
	v_div_scale_f64 v[116:117], s[20:21], v[102:103], v[102:103], v[104:105]
	v_rcp_f64_e32 v[118:119], v[116:117]
	v_fma_f64 v[120:121], -v[116:117], v[118:119], 1.0
	v_fma_f64 v[118:119], v[118:119], v[120:121], v[118:119]
	v_div_scale_f64 v[120:121], vcc, v[104:105], v[102:103], v[104:105]
	v_fma_f64 v[122:123], -v[116:117], v[118:119], 1.0
	v_fma_f64 v[118:119], v[118:119], v[122:123], v[118:119]
	v_mul_f64 v[122:123], v[120:121], v[118:119]
	v_fma_f64 v[116:117], -v[116:117], v[122:123], v[120:121]
	v_div_fmas_f64 v[116:117], v[116:117], v[118:119], v[122:123]
	v_div_fixup_f64 v[116:117], v[116:117], v[102:103], v[104:105]
	v_fma_f64 v[102:103], v[104:105], v[116:117], v[102:103]
	v_div_scale_f64 v[104:105], s[20:21], v[102:103], v[102:103], 1.0
	v_div_scale_f64 v[122:123], vcc, 1.0, v[102:103], 1.0
	v_rcp_f64_e32 v[118:119], v[104:105]
	v_fma_f64 v[120:121], -v[104:105], v[118:119], 1.0
	v_fma_f64 v[118:119], v[118:119], v[120:121], v[118:119]
	v_fma_f64 v[120:121], -v[104:105], v[118:119], 1.0
	v_fma_f64 v[118:119], v[118:119], v[120:121], v[118:119]
	v_mul_f64 v[120:121], v[122:123], v[118:119]
	v_fma_f64 v[104:105], -v[104:105], v[120:121], v[122:123]
	v_div_fmas_f64 v[104:105], v[104:105], v[118:119], v[120:121]
	v_div_fixup_f64 v[102:103], v[104:105], v[102:103], 1.0
	v_mul_f64 v[104:105], v[116:117], -v[102:103]
.LBB48_492:
	s_or_b64 exec, exec, s[8:9]
.LBB48_493:
	s_or_b64 exec, exec, s[0:1]
	v_cmp_ne_u32_e32 vcc, v112, v110
	s_and_saveexec_b64 s[0:1], vcc
	s_xor_b64 s[0:1], exec, s[0:1]
	s_cbranch_execz .LBB48_499
; %bb.494:
	v_cmp_eq_u32_e32 vcc, 23, v112
	s_and_saveexec_b64 s[8:9], vcc
	s_cbranch_execz .LBB48_498
; %bb.495:
	v_cmp_ne_u32_e32 vcc, 23, v110
	s_xor_b64 s[20:21], s[18:19], -1
	s_and_b64 s[24:25], s[20:21], vcc
	s_and_saveexec_b64 s[20:21], s[24:25]
	s_cbranch_execz .LBB48_497
; %bb.496:
	v_ashrrev_i32_e32 v111, 31, v110
	v_lshlrev_b64 v[111:112], 2, v[110:111]
	v_add_co_u32_e32 v111, vcc, v108, v111
	v_addc_co_u32_e32 v112, vcc, v109, v112, vcc
	global_load_dword v0, v[111:112], off
	global_load_dword v116, v[108:109], off offset:92
	s_waitcnt vmcnt(1)
	global_store_dword v[108:109], v0, off offset:92
	s_waitcnt vmcnt(1)
	global_store_dword v[111:112], v116, off
.LBB48_497:
	s_or_b64 exec, exec, s[20:21]
	v_mov_b32_e32 v112, v110
	v_mov_b32_e32 v0, v110
.LBB48_498:
	s_or_b64 exec, exec, s[8:9]
.LBB48_499:
	s_andn2_saveexec_b64 s[0:1], s[0:1]
; %bb.500:
	v_mov_b32_e32 v112, 23
	ds_write2_b64 v1, v[98:99], v[100:101] offset0:48 offset1:49
; %bb.501:
	s_or_b64 exec, exec, s[0:1]
	v_cmp_lt_i32_e32 vcc, 23, v112
	s_waitcnt vmcnt(0) lgkmcnt(0)
	s_barrier
	s_and_saveexec_b64 s[0:1], vcc
	s_cbranch_execz .LBB48_503
; %bb.502:
	v_mul_f64 v[110:111], v[102:103], v[4:5]
	v_mul_f64 v[4:5], v[104:105], v[4:5]
	ds_read2_b64 v[116:119], v1 offset0:48 offset1:49
	v_fma_f64 v[104:105], v[104:105], v[2:3], v[110:111]
	v_fma_f64 v[2:3], v[102:103], v[2:3], -v[4:5]
	s_waitcnt lgkmcnt(0)
	v_mul_f64 v[4:5], v[118:119], v[104:105]
	v_mul_f64 v[102:103], v[116:117], v[104:105]
	v_fma_f64 v[4:5], v[116:117], v[2:3], -v[4:5]
	v_fma_f64 v[102:103], v[118:119], v[2:3], v[102:103]
	v_add_f64 v[98:99], v[98:99], -v[4:5]
	v_add_f64 v[100:101], v[100:101], -v[102:103]
	v_mov_b32_e32 v4, v104
	v_mov_b32_e32 v5, v105
.LBB48_503:
	s_or_b64 exec, exec, s[0:1]
	v_lshl_add_u32 v102, v112, 4, v1
	s_barrier
	ds_write2_b64 v102, v[98:99], v[100:101] offset1:1
	s_waitcnt lgkmcnt(0)
	s_barrier
	ds_read2_b64 v[102:105], v1 offset0:48 offset1:49
	s_cmp_lt_i32 s22, 26
	v_mov_b32_e32 v110, 24
	s_cbranch_scc1 .LBB48_506
; %bb.504:
	v_add_u32_e32 v1, 0x190, v1
	s_mov_b32 s7, 25
	v_mov_b32_e32 v110, 24
.LBB48_505:                             ; =>This Inner Loop Header: Depth=1
	s_waitcnt lgkmcnt(0)
	v_cmp_gt_f64_e32 vcc, 0, v[104:105]
	v_cmp_gt_f64_e64 s[0:1], 0, v[102:103]
	ds_read2_b64 v[116:119], v1 offset1:1
	v_xor_b32_e32 v111, 0x80000000, v103
	v_xor_b32_e32 v123, 0x80000000, v105
	v_mov_b32_e32 v120, v102
	v_mov_b32_e32 v122, v104
	s_waitcnt lgkmcnt(0)
	v_xor_b32_e32 v125, 0x80000000, v119
	v_cndmask_b32_e32 v123, v105, v123, vcc
	v_cndmask_b32_e64 v121, v103, v111, s[0:1]
	v_cmp_gt_f64_e32 vcc, 0, v[118:119]
	v_cmp_gt_f64_e64 s[0:1], 0, v[116:117]
	v_xor_b32_e32 v111, 0x80000000, v117
	v_add_f64 v[120:121], v[120:121], v[122:123]
	v_mov_b32_e32 v122, v116
	v_mov_b32_e32 v124, v118
	v_add_u32_e32 v1, 16, v1
	v_cndmask_b32_e32 v125, v119, v125, vcc
	v_cndmask_b32_e64 v123, v117, v111, s[0:1]
	v_add_f64 v[122:123], v[122:123], v[124:125]
	v_mov_b32_e32 v111, s7
	s_add_i32 s7, s7, 1
	s_cmp_lg_u32 s22, s7
	v_cmp_lt_f64_e32 vcc, v[120:121], v[122:123]
	v_cndmask_b32_e32 v103, v103, v117, vcc
	v_cndmask_b32_e32 v102, v102, v116, vcc
	v_cndmask_b32_e32 v105, v105, v119, vcc
	v_cndmask_b32_e32 v104, v104, v118, vcc
	v_cndmask_b32_e32 v110, v110, v111, vcc
	s_cbranch_scc1 .LBB48_505
.LBB48_506:
	s_waitcnt lgkmcnt(0)
	v_cmp_eq_f64_e32 vcc, 0, v[102:103]
	v_cmp_eq_f64_e64 s[0:1], 0, v[104:105]
	s_and_b64 s[0:1], vcc, s[0:1]
	s_and_saveexec_b64 s[8:9], s[0:1]
	s_xor_b64 s[0:1], exec, s[8:9]
; %bb.507:
	v_cmp_ne_u32_e32 vcc, 0, v115
	v_cndmask_b32_e32 v115, 25, v115, vcc
; %bb.508:
	s_andn2_saveexec_b64 s[0:1], s[0:1]
	s_cbranch_execz .LBB48_514
; %bb.509:
	v_cmp_ngt_f64_e64 s[8:9], |v[102:103]|, |v[104:105]|
	s_and_saveexec_b64 s[20:21], s[8:9]
	s_xor_b64 s[8:9], exec, s[20:21]
	s_cbranch_execz .LBB48_511
; %bb.510:
	v_div_scale_f64 v[116:117], s[20:21], v[104:105], v[104:105], v[102:103]
	v_rcp_f64_e32 v[118:119], v[116:117]
	v_fma_f64 v[120:121], -v[116:117], v[118:119], 1.0
	v_fma_f64 v[118:119], v[118:119], v[120:121], v[118:119]
	v_div_scale_f64 v[120:121], vcc, v[102:103], v[104:105], v[102:103]
	v_fma_f64 v[122:123], -v[116:117], v[118:119], 1.0
	v_fma_f64 v[118:119], v[118:119], v[122:123], v[118:119]
	v_mul_f64 v[122:123], v[120:121], v[118:119]
	v_fma_f64 v[116:117], -v[116:117], v[122:123], v[120:121]
	v_div_fmas_f64 v[116:117], v[116:117], v[118:119], v[122:123]
	v_div_fixup_f64 v[116:117], v[116:117], v[104:105], v[102:103]
	v_fma_f64 v[102:103], v[102:103], v[116:117], v[104:105]
	v_div_scale_f64 v[104:105], s[20:21], v[102:103], v[102:103], 1.0
	v_div_scale_f64 v[122:123], vcc, 1.0, v[102:103], 1.0
	v_rcp_f64_e32 v[118:119], v[104:105]
	v_fma_f64 v[120:121], -v[104:105], v[118:119], 1.0
	v_fma_f64 v[118:119], v[118:119], v[120:121], v[118:119]
	v_fma_f64 v[120:121], -v[104:105], v[118:119], 1.0
	v_fma_f64 v[118:119], v[118:119], v[120:121], v[118:119]
	v_mul_f64 v[120:121], v[122:123], v[118:119]
	v_fma_f64 v[104:105], -v[104:105], v[120:121], v[122:123]
	v_div_fmas_f64 v[104:105], v[104:105], v[118:119], v[120:121]
	v_div_fixup_f64 v[104:105], v[104:105], v[102:103], 1.0
	v_mul_f64 v[102:103], v[116:117], v[104:105]
	v_xor_b32_e32 v105, 0x80000000, v105
.LBB48_511:
	s_andn2_saveexec_b64 s[8:9], s[8:9]
	s_cbranch_execz .LBB48_513
; %bb.512:
	v_div_scale_f64 v[116:117], s[20:21], v[102:103], v[102:103], v[104:105]
	v_rcp_f64_e32 v[118:119], v[116:117]
	v_fma_f64 v[120:121], -v[116:117], v[118:119], 1.0
	v_fma_f64 v[118:119], v[118:119], v[120:121], v[118:119]
	v_div_scale_f64 v[120:121], vcc, v[104:105], v[102:103], v[104:105]
	v_fma_f64 v[122:123], -v[116:117], v[118:119], 1.0
	v_fma_f64 v[118:119], v[118:119], v[122:123], v[118:119]
	v_mul_f64 v[122:123], v[120:121], v[118:119]
	v_fma_f64 v[116:117], -v[116:117], v[122:123], v[120:121]
	v_div_fmas_f64 v[116:117], v[116:117], v[118:119], v[122:123]
	v_div_fixup_f64 v[116:117], v[116:117], v[102:103], v[104:105]
	v_fma_f64 v[102:103], v[104:105], v[116:117], v[102:103]
	v_div_scale_f64 v[104:105], s[20:21], v[102:103], v[102:103], 1.0
	v_div_scale_f64 v[122:123], vcc, 1.0, v[102:103], 1.0
	v_rcp_f64_e32 v[118:119], v[104:105]
	v_fma_f64 v[120:121], -v[104:105], v[118:119], 1.0
	v_fma_f64 v[118:119], v[118:119], v[120:121], v[118:119]
	v_fma_f64 v[120:121], -v[104:105], v[118:119], 1.0
	v_fma_f64 v[118:119], v[118:119], v[120:121], v[118:119]
	v_mul_f64 v[120:121], v[122:123], v[118:119]
	v_fma_f64 v[104:105], -v[104:105], v[120:121], v[122:123]
	v_div_fmas_f64 v[104:105], v[104:105], v[118:119], v[120:121]
	v_div_fixup_f64 v[102:103], v[104:105], v[102:103], 1.0
	v_mul_f64 v[104:105], v[116:117], -v[102:103]
.LBB48_513:
	s_or_b64 exec, exec, s[8:9]
.LBB48_514:
	s_or_b64 exec, exec, s[0:1]
	v_cmp_ne_u32_e32 vcc, v112, v110
	v_mov_b32_e32 v111, 24
	s_and_saveexec_b64 s[0:1], vcc
	s_cbranch_execz .LBB48_520
; %bb.515:
	v_cmp_eq_u32_e32 vcc, 24, v112
	s_and_saveexec_b64 s[8:9], vcc
	s_cbranch_execz .LBB48_519
; %bb.516:
	v_cmp_ne_u32_e32 vcc, 24, v110
	s_xor_b64 s[18:19], s[18:19], -1
	s_and_b64 s[20:21], s[18:19], vcc
	s_and_saveexec_b64 s[18:19], s[20:21]
	s_cbranch_execz .LBB48_518
; %bb.517:
	v_ashrrev_i32_e32 v111, 31, v110
	v_lshlrev_b64 v[0:1], 2, v[110:111]
	v_add_co_u32_e32 v0, vcc, v108, v0
	v_addc_co_u32_e32 v1, vcc, v109, v1, vcc
	global_load_dword v111, v[0:1], off
	global_load_dword v112, v[108:109], off offset:96
	s_waitcnt vmcnt(1)
	global_store_dword v[108:109], v111, off offset:96
	s_waitcnt vmcnt(1)
	global_store_dword v[0:1], v112, off
.LBB48_518:
	s_or_b64 exec, exec, s[18:19]
	v_mov_b32_e32 v112, v110
	v_mov_b32_e32 v0, v110
.LBB48_519:
	s_or_b64 exec, exec, s[8:9]
	v_mov_b32_e32 v111, v112
.LBB48_520:
	s_or_b64 exec, exec, s[0:1]
	v_cmp_gt_i32_e32 vcc, 25, v111
	v_ashrrev_i32_e32 v112, 31, v111
	s_waitcnt vmcnt(0)
	s_barrier
	s_barrier
	s_and_saveexec_b64 s[0:1], vcc
	s_cbranch_execz .LBB48_522
; %bb.521:
	v_mul_lo_u32 v1, s15, v106
	v_mul_lo_u32 v110, s14, v107
	v_mad_u64_u32 v[108:109], s[8:9], s14, v106, 0
	s_lshl_b64 s[8:9], s[12:13], 2
	v_add3_u32 v0, v0, s17, 1
	v_add3_u32 v109, v109, v110, v1
	v_lshlrev_b64 v[108:109], 2, v[108:109]
	v_mov_b32_e32 v1, s11
	v_add_co_u32_e32 v108, vcc, s10, v108
	v_addc_co_u32_e32 v1, vcc, v1, v109, vcc
	v_mov_b32_e32 v109, s9
	v_add_co_u32_e32 v110, vcc, s8, v108
	v_addc_co_u32_e32 v1, vcc, v1, v109, vcc
	v_lshlrev_b64 v[108:109], 2, v[111:112]
	v_add_co_u32_e32 v108, vcc, v110, v108
	v_addc_co_u32_e32 v109, vcc, v1, v109, vcc
	global_store_dword v[108:109], v0, off
.LBB48_522:
	s_or_b64 exec, exec, s[0:1]
	v_cmp_eq_u32_e32 vcc, 0, v111
	s_and_saveexec_b64 s[8:9], vcc
	s_cbranch_execz .LBB48_525
; %bb.523:
	v_lshlrev_b64 v[0:1], 2, v[106:107]
	v_mov_b32_e32 v106, s5
	v_add_co_u32_e32 v0, vcc, s4, v0
	v_addc_co_u32_e32 v1, vcc, v106, v1, vcc
	global_load_dword v106, v[0:1], off
	v_cmp_ne_u32_e64 s[0:1], 0, v115
	s_waitcnt vmcnt(0)
	v_cmp_eq_u32_e32 vcc, 0, v106
	s_and_b64 s[0:1], vcc, s[0:1]
	s_and_b64 exec, exec, s[0:1]
	s_cbranch_execz .LBB48_525
; %bb.524:
	v_add_u32_e32 v106, s17, v115
	global_store_dword v[0:1], v106, off
.LBB48_525:
	s_or_b64 exec, exec, s[8:9]
	v_mul_f64 v[0:1], v[102:103], v[100:101]
	v_mul_f64 v[106:107], v[104:105], v[100:101]
	v_lshlrev_b64 v[108:109], 4, v[111:112]
	v_mov_b32_e32 v110, s3
	v_fma_f64 v[0:1], v[104:105], v[98:99], v[0:1]
	v_fma_f64 v[102:103], v[102:103], v[98:99], -v[106:107]
	v_add_co_u32_e32 v104, vcc, v113, v108
	v_addc_co_u32_e32 v105, vcc, v114, v109, vcc
	v_cmp_lt_i32_e32 vcc, 24, v111
	global_store_dwordx4 v[104:105], v[94:97], off
	s_nop 0
	v_cndmask_b32_e32 v97, v101, v1, vcc
	v_cndmask_b32_e32 v96, v100, v0, vcc
	;; [unrolled: 1-line block ×4, first 2 shown]
	v_add_co_u32_e32 v0, vcc, s2, v104
	v_addc_co_u32_e32 v1, vcc, v105, v110, vcc
	global_store_dwordx4 v[0:1], v[90:93], off
	v_add_u32_e32 v0, s16, v111
	v_ashrrev_i32_e32 v1, 31, v0
	v_lshlrev_b64 v[90:91], 4, v[0:1]
	v_add_u32_e32 v0, s6, v0
	v_add_co_u32_e32 v90, vcc, v113, v90
	v_addc_co_u32_e32 v91, vcc, v114, v91, vcc
	v_ashrrev_i32_e32 v1, 31, v0
	global_store_dwordx4 v[90:91], v[86:89], off
	s_nop 0
	v_lshlrev_b64 v[86:87], 4, v[0:1]
	v_add_u32_e32 v0, s6, v0
	v_add_co_u32_e32 v86, vcc, v113, v86
	v_addc_co_u32_e32 v87, vcc, v114, v87, vcc
	v_ashrrev_i32_e32 v1, 31, v0
	global_store_dwordx4 v[86:87], v[82:85], off
	s_nop 0
	;; [unrolled: 7-line block ×21, first 2 shown]
	v_lshlrev_b64 v[6:7], 4, v[0:1]
	v_add_u32_e32 v0, s6, v0
	v_ashrrev_i32_e32 v1, 31, v0
	v_add_co_u32_e32 v6, vcc, v113, v6
	v_lshlrev_b64 v[0:1], 4, v[0:1]
	v_addc_co_u32_e32 v7, vcc, v114, v7, vcc
	v_add_co_u32_e32 v0, vcc, v113, v0
	v_addc_co_u32_e32 v1, vcc, v114, v1, vcc
	global_store_dwordx4 v[6:7], v[2:5], off
	global_store_dwordx4 v[0:1], v[94:97], off
.LBB48_526:
	s_endpgm
	.section	.rodata,"a",@progbits
	.p2align	6, 0x0
	.amdhsa_kernel _ZN9rocsolver6v33100L18getf2_small_kernelILi25E19rocblas_complex_numIdEiiPS3_EEvT1_T3_lS5_lPS5_llPT2_S5_S5_S7_l
		.amdhsa_group_segment_fixed_size 0
		.amdhsa_private_segment_fixed_size 0
		.amdhsa_kernarg_size 352
		.amdhsa_user_sgpr_count 6
		.amdhsa_user_sgpr_private_segment_buffer 1
		.amdhsa_user_sgpr_dispatch_ptr 0
		.amdhsa_user_sgpr_queue_ptr 0
		.amdhsa_user_sgpr_kernarg_segment_ptr 1
		.amdhsa_user_sgpr_dispatch_id 0
		.amdhsa_user_sgpr_flat_scratch_init 0
		.amdhsa_user_sgpr_private_segment_size 0
		.amdhsa_uses_dynamic_stack 0
		.amdhsa_system_sgpr_private_segment_wavefront_offset 0
		.amdhsa_system_sgpr_workgroup_id_x 1
		.amdhsa_system_sgpr_workgroup_id_y 1
		.amdhsa_system_sgpr_workgroup_id_z 0
		.amdhsa_system_sgpr_workgroup_info 0
		.amdhsa_system_vgpr_workitem_id 1
		.amdhsa_next_free_vgpr 128
		.amdhsa_next_free_sgpr 26
		.amdhsa_reserve_vcc 1
		.amdhsa_reserve_flat_scratch 0
		.amdhsa_float_round_mode_32 0
		.amdhsa_float_round_mode_16_64 0
		.amdhsa_float_denorm_mode_32 3
		.amdhsa_float_denorm_mode_16_64 3
		.amdhsa_dx10_clamp 1
		.amdhsa_ieee_mode 1
		.amdhsa_fp16_overflow 0
		.amdhsa_exception_fp_ieee_invalid_op 0
		.amdhsa_exception_fp_denorm_src 0
		.amdhsa_exception_fp_ieee_div_zero 0
		.amdhsa_exception_fp_ieee_overflow 0
		.amdhsa_exception_fp_ieee_underflow 0
		.amdhsa_exception_fp_ieee_inexact 0
		.amdhsa_exception_int_div_zero 0
	.end_amdhsa_kernel
	.section	.text._ZN9rocsolver6v33100L18getf2_small_kernelILi25E19rocblas_complex_numIdEiiPS3_EEvT1_T3_lS5_lPS5_llPT2_S5_S5_S7_l,"axG",@progbits,_ZN9rocsolver6v33100L18getf2_small_kernelILi25E19rocblas_complex_numIdEiiPS3_EEvT1_T3_lS5_lPS5_llPT2_S5_S5_S7_l,comdat
.Lfunc_end48:
	.size	_ZN9rocsolver6v33100L18getf2_small_kernelILi25E19rocblas_complex_numIdEiiPS3_EEvT1_T3_lS5_lPS5_llPT2_S5_S5_S7_l, .Lfunc_end48-_ZN9rocsolver6v33100L18getf2_small_kernelILi25E19rocblas_complex_numIdEiiPS3_EEvT1_T3_lS5_lPS5_llPT2_S5_S5_S7_l
                                        ; -- End function
	.set _ZN9rocsolver6v33100L18getf2_small_kernelILi25E19rocblas_complex_numIdEiiPS3_EEvT1_T3_lS5_lPS5_llPT2_S5_S5_S7_l.num_vgpr, 128
	.set _ZN9rocsolver6v33100L18getf2_small_kernelILi25E19rocblas_complex_numIdEiiPS3_EEvT1_T3_lS5_lPS5_llPT2_S5_S5_S7_l.num_agpr, 0
	.set _ZN9rocsolver6v33100L18getf2_small_kernelILi25E19rocblas_complex_numIdEiiPS3_EEvT1_T3_lS5_lPS5_llPT2_S5_S5_S7_l.numbered_sgpr, 26
	.set _ZN9rocsolver6v33100L18getf2_small_kernelILi25E19rocblas_complex_numIdEiiPS3_EEvT1_T3_lS5_lPS5_llPT2_S5_S5_S7_l.num_named_barrier, 0
	.set _ZN9rocsolver6v33100L18getf2_small_kernelILi25E19rocblas_complex_numIdEiiPS3_EEvT1_T3_lS5_lPS5_llPT2_S5_S5_S7_l.private_seg_size, 0
	.set _ZN9rocsolver6v33100L18getf2_small_kernelILi25E19rocblas_complex_numIdEiiPS3_EEvT1_T3_lS5_lPS5_llPT2_S5_S5_S7_l.uses_vcc, 1
	.set _ZN9rocsolver6v33100L18getf2_small_kernelILi25E19rocblas_complex_numIdEiiPS3_EEvT1_T3_lS5_lPS5_llPT2_S5_S5_S7_l.uses_flat_scratch, 0
	.set _ZN9rocsolver6v33100L18getf2_small_kernelILi25E19rocblas_complex_numIdEiiPS3_EEvT1_T3_lS5_lPS5_llPT2_S5_S5_S7_l.has_dyn_sized_stack, 0
	.set _ZN9rocsolver6v33100L18getf2_small_kernelILi25E19rocblas_complex_numIdEiiPS3_EEvT1_T3_lS5_lPS5_llPT2_S5_S5_S7_l.has_recursion, 0
	.set _ZN9rocsolver6v33100L18getf2_small_kernelILi25E19rocblas_complex_numIdEiiPS3_EEvT1_T3_lS5_lPS5_llPT2_S5_S5_S7_l.has_indirect_call, 0
	.section	.AMDGPU.csdata,"",@progbits
; Kernel info:
; codeLenInByte = 44892
; TotalNumSgprs: 30
; NumVgprs: 128
; ScratchSize: 0
; MemoryBound: 0
; FloatMode: 240
; IeeeMode: 1
; LDSByteSize: 0 bytes/workgroup (compile time only)
; SGPRBlocks: 3
; VGPRBlocks: 31
; NumSGPRsForWavesPerEU: 30
; NumVGPRsForWavesPerEU: 128
; Occupancy: 2
; WaveLimiterHint : 0
; COMPUTE_PGM_RSRC2:SCRATCH_EN: 0
; COMPUTE_PGM_RSRC2:USER_SGPR: 6
; COMPUTE_PGM_RSRC2:TRAP_HANDLER: 0
; COMPUTE_PGM_RSRC2:TGID_X_EN: 1
; COMPUTE_PGM_RSRC2:TGID_Y_EN: 1
; COMPUTE_PGM_RSRC2:TGID_Z_EN: 0
; COMPUTE_PGM_RSRC2:TIDIG_COMP_CNT: 1
	.section	.text._ZN9rocsolver6v33100L23getf2_npvt_small_kernelILi25E19rocblas_complex_numIdEiiPS3_EEvT1_T3_lS5_lPT2_S5_S5_,"axG",@progbits,_ZN9rocsolver6v33100L23getf2_npvt_small_kernelILi25E19rocblas_complex_numIdEiiPS3_EEvT1_T3_lS5_lPT2_S5_S5_,comdat
	.globl	_ZN9rocsolver6v33100L23getf2_npvt_small_kernelILi25E19rocblas_complex_numIdEiiPS3_EEvT1_T3_lS5_lPT2_S5_S5_ ; -- Begin function _ZN9rocsolver6v33100L23getf2_npvt_small_kernelILi25E19rocblas_complex_numIdEiiPS3_EEvT1_T3_lS5_lPT2_S5_S5_
	.p2align	8
	.type	_ZN9rocsolver6v33100L23getf2_npvt_small_kernelILi25E19rocblas_complex_numIdEiiPS3_EEvT1_T3_lS5_lPT2_S5_S5_,@function
_ZN9rocsolver6v33100L23getf2_npvt_small_kernelILi25E19rocblas_complex_numIdEiiPS3_EEvT1_T3_lS5_lPT2_S5_S5_: ; @_ZN9rocsolver6v33100L23getf2_npvt_small_kernelILi25E19rocblas_complex_numIdEiiPS3_EEvT1_T3_lS5_lPT2_S5_S5_
; %bb.0:
	s_mov_b64 s[22:23], s[2:3]
	s_mov_b64 s[20:21], s[0:1]
	s_load_dword s0, s[4:5], 0x44
	s_load_dwordx2 s[12:13], s[4:5], 0x30
	s_add_u32 s20, s20, s8
	s_addc_u32 s21, s21, 0
	s_waitcnt lgkmcnt(0)
	s_lshr_b32 s2, s0, 16
	s_mul_i32 s7, s7, s2
	v_add_u32_e32 v2, s7, v1
	v_cmp_gt_i32_e32 vcc, s12, v2
	s_and_saveexec_b64 s[0:1], vcc
	s_cbranch_execz .LBB49_228
; %bb.1:
	s_load_dwordx4 s[8:11], s[4:5], 0x20
	s_load_dwordx4 s[16:19], s[4:5], 0x8
	v_ashrrev_i32_e32 v3, 31, v2
	s_mulk_i32 s2, 0x190
	s_waitcnt lgkmcnt(0)
	v_mul_lo_u32 v4, s9, v2
	v_mul_lo_u32 v5, s8, v3
	buffer_store_dword v2, off, s[20:23], 0 offset:560 ; 4-byte Folded Spill
	s_nop 0
	buffer_store_dword v3, off, s[20:23], 0 offset:564 ; 4-byte Folded Spill
	v_mov_b32_e32 v6, s17
	v_mad_u64_u32 v[2:3], s[0:1], s8, v2, 0
	s_load_dword s0, s[4:5], 0x18
	s_lshl_b64 s[4:5], s[18:19], 4
	v_add3_u32 v3, v3, v5, v4
	v_lshlrev_b64 v[2:3], 4, v[2:3]
	v_mov_b32_e32 v4, s5
	v_add_co_u32_e32 v2, vcc, s16, v2
	v_addc_co_u32_e32 v3, vcc, v6, v3, vcc
	v_add_co_u32_e32 v2, vcc, s4, v2
	s_waitcnt lgkmcnt(0)
	s_add_i32 s1, s0, s0
	v_addc_co_u32_e32 v3, vcc, v3, v4, vcc
	v_add_u32_e32 v4, s1, v0
	v_ashrrev_i32_e32 v5, 31, v4
	v_lshlrev_b64 v[5:6], 4, v[4:5]
	v_add_u32_e32 v4, s0, v4
	v_add_co_u32_e32 v91, vcc, v2, v5
	v_ashrrev_i32_e32 v5, 31, v4
	v_addc_co_u32_e32 v92, vcc, v3, v6, vcc
	v_lshlrev_b64 v[5:6], 4, v[4:5]
	v_add_u32_e32 v4, s0, v4
	v_add_co_u32_e32 v7, vcc, v2, v5
	v_ashrrev_i32_e32 v5, 31, v4
	v_addc_co_u32_e32 v8, vcc, v3, v6, vcc
	;; [unrolled: 5-line block ×21, first 2 shown]
	v_lshlrev_b64 v[5:6], 4, v[4:5]
	v_add_u32_e32 v4, s0, v4
	v_add_co_u32_e32 v101, vcc, v2, v5
	v_ashrrev_i32_e32 v5, 31, v4
	v_lshlrev_b64 v[4:5], 4, v[4:5]
	v_addc_co_u32_e32 v102, vcc, v3, v6, vcc
	v_add_co_u32_e32 v103, vcc, v2, v4
	v_addc_co_u32_e32 v104, vcc, v3, v5, vcc
	v_lshlrev_b32_e32 v4, 4, v0
	v_add_co_u32_e32 v4, vcc, v2, v4
	s_ashr_i32 s1, s0, 31
	v_addc_co_u32_e32 v5, vcc, 0, v3, vcc
	s_lshl_b64 s[0:1], s[0:1], 4
	v_mov_b32_e32 v2, s1
	v_add_co_u32_e32 v33, vcc, s0, v4
	v_addc_co_u32_e32 v34, vcc, v5, v2, vcc
	buffer_store_dword v4, off, s[20:23], 0 offset:240 ; 4-byte Folded Spill
	s_nop 0
	buffer_store_dword v5, off, s[20:23], 0 offset:244 ; 4-byte Folded Spill
	s_movk_i32 s0, 0x190
	s_add_i32 s1, s2, 0
	v_mad_u32_u24 v125, v1, s0, 0
	v_lshl_add_u32 v127, v1, 4, s1
	v_cmp_ne_u32_e64 s[2:3], 0, v0
	v_cmp_eq_u32_e64 s[0:1], 0, v0
	global_load_dwordx4 v[1:4], v[4:5], off
	s_waitcnt vmcnt(0)
	buffer_store_dword v1, off, s[20:23], 0 offset:48 ; 4-byte Folded Spill
	s_nop 0
	buffer_store_dword v2, off, s[20:23], 0 offset:52 ; 4-byte Folded Spill
	buffer_store_dword v3, off, s[20:23], 0 offset:56 ; 4-byte Folded Spill
	;; [unrolled: 1-line block ×4, first 2 shown]
	s_nop 0
	buffer_store_dword v34, off, s[20:23], 0 offset:252 ; 4-byte Folded Spill
	global_load_dwordx4 v[1:4], v[33:34], off
	s_waitcnt vmcnt(0)
	buffer_store_dword v1, off, s[20:23], 0 offset:32 ; 4-byte Folded Spill
	s_nop 0
	buffer_store_dword v2, off, s[20:23], 0 offset:36 ; 4-byte Folded Spill
	buffer_store_dword v3, off, s[20:23], 0 offset:40 ; 4-byte Folded Spill
	;; [unrolled: 1-line block ×3, first 2 shown]
	global_load_dwordx4 v[1:4], v[91:92], off
	s_nop 0
	buffer_store_dword v7, off, s[20:23], 0 offset:64 ; 4-byte Folded Spill
	s_nop 0
	buffer_store_dword v8, off, s[20:23], 0 offset:68 ; 4-byte Folded Spill
	global_load_dwordx4 v[85:88], v[7:8], off
	s_nop 0
	buffer_store_dword v9, off, s[20:23], 0 offset:72 ; 4-byte Folded Spill
	s_nop 0
	buffer_store_dword v10, off, s[20:23], 0 offset:76 ; 4-byte Folded Spill
	;; [unrolled: 5-line block ×7, first 2 shown]
	global_load_dwordx4 v[5:8], v[19:20], off
	s_waitcnt vmcnt(0)
	buffer_store_dword v5, off, s[20:23], 0 offset:16 ; 4-byte Folded Spill
	s_nop 0
	buffer_store_dword v6, off, s[20:23], 0 offset:20 ; 4-byte Folded Spill
	buffer_store_dword v7, off, s[20:23], 0 offset:24 ; 4-byte Folded Spill
	;; [unrolled: 1-line block ×4, first 2 shown]
	s_nop 0
	buffer_store_dword v22, off, s[20:23], 0 offset:124 ; 4-byte Folded Spill
	global_load_dwordx4 v[5:8], v[21:22], off
	s_waitcnt vmcnt(0)
	buffer_store_dword v5, off, s[20:23], 0 ; 4-byte Folded Spill
	s_nop 0
	buffer_store_dword v6, off, s[20:23], 0 offset:4 ; 4-byte Folded Spill
	buffer_store_dword v7, off, s[20:23], 0 offset:8 ; 4-byte Folded Spill
	;; [unrolled: 1-line block ×4, first 2 shown]
	s_nop 0
	buffer_store_dword v24, off, s[20:23], 0 offset:132 ; 4-byte Folded Spill
	global_load_dwordx4 v[49:52], v[23:24], off
	s_nop 0
	buffer_store_dword v25, off, s[20:23], 0 offset:136 ; 4-byte Folded Spill
	s_nop 0
	buffer_store_dword v26, off, s[20:23], 0 offset:140 ; 4-byte Folded Spill
	global_load_dwordx4 v[45:48], v[25:26], off
	s_nop 0
	buffer_store_dword v27, off, s[20:23], 0 offset:144 ; 4-byte Folded Spill
	;; [unrolled: 5-line block ×10, first 2 shown]
	s_nop 0
	buffer_store_dword v98, off, s[20:23], 0 offset:212 ; 4-byte Folded Spill
	v_mov_b32_e32 v96, v4
	v_mov_b32_e32 v95, v3
	;; [unrolled: 1-line block ×4, first 2 shown]
	global_load_dwordx4 v[9:12], v[97:98], off
	s_nop 0
	buffer_store_dword v99, off, s[20:23], 0 offset:216 ; 4-byte Folded Spill
	s_nop 0
	buffer_store_dword v100, off, s[20:23], 0 offset:220 ; 4-byte Folded Spill
	global_load_dwordx4 v[5:8], v[99:100], off
	s_nop 0
	buffer_store_dword v101, off, s[20:23], 0 offset:224 ; 4-byte Folded Spill
	s_nop 0
	buffer_store_dword v102, off, s[20:23], 0 offset:228 ; 4-byte Folded Spill
	;; [unrolled: 5-line block ×3, first 2 shown]
	global_load_dwordx4 v[73:76], v[103:104], off
	s_and_saveexec_b64 s[6:7], s[0:1]
	s_cbranch_execz .LBB49_8
; %bb.2:
	buffer_load_dword v97, off, s[20:23], 0 offset:48 ; 4-byte Folded Reload
	buffer_load_dword v98, off, s[20:23], 0 offset:52 ; 4-byte Folded Reload
	;; [unrolled: 1-line block ×4, first 2 shown]
	s_waitcnt vmcnt(0)
	ds_write2_b64 v127, v[97:98], v[99:100] offset1:1
	buffer_load_dword v97, off, s[20:23], 0 offset:32 ; 4-byte Folded Reload
	buffer_load_dword v98, off, s[20:23], 0 offset:36 ; 4-byte Folded Reload
	;; [unrolled: 1-line block ×4, first 2 shown]
	s_waitcnt vmcnt(0)
	ds_write2_b64 v125, v[97:98], v[99:100] offset0:2 offset1:3
	ds_write2_b64 v125, v[93:94], v[95:96] offset0:4 offset1:5
	;; [unrolled: 1-line block ×8, first 2 shown]
	buffer_load_dword v53, off, s[20:23], 0 offset:16 ; 4-byte Folded Reload
	buffer_load_dword v54, off, s[20:23], 0 offset:20 ; 4-byte Folded Reload
	;; [unrolled: 1-line block ×4, first 2 shown]
	s_waitcnt vmcnt(0)
	ds_write2_b64 v125, v[53:54], v[55:56] offset0:18 offset1:19
	buffer_load_dword v53, off, s[20:23], 0 ; 4-byte Folded Reload
	buffer_load_dword v54, off, s[20:23], 0 offset:4 ; 4-byte Folded Reload
	buffer_load_dword v55, off, s[20:23], 0 offset:8 ; 4-byte Folded Reload
	;; [unrolled: 1-line block ×3, first 2 shown]
	s_waitcnt vmcnt(0)
	ds_write2_b64 v125, v[53:54], v[55:56] offset0:20 offset1:21
	ds_write2_b64 v125, v[49:50], v[51:52] offset0:22 offset1:23
	;; [unrolled: 1-line block ×15, first 2 shown]
	ds_read2_b64 v[97:100], v127 offset1:1
	s_waitcnt lgkmcnt(0)
	v_cmp_neq_f64_e32 vcc, 0, v[97:98]
	v_cmp_neq_f64_e64 s[4:5], 0, v[99:100]
	s_or_b64 s[4:5], vcc, s[4:5]
	s_and_b64 exec, exec, s[4:5]
	s_cbranch_execz .LBB49_8
; %bb.3:
	v_cmp_ngt_f64_e64 s[4:5], |v[97:98]|, |v[99:100]|
                                        ; implicit-def: $vgpr101_vgpr102
	s_and_saveexec_b64 s[8:9], s[4:5]
	s_xor_b64 s[4:5], exec, s[8:9]
                                        ; implicit-def: $vgpr103_vgpr104
	s_cbranch_execz .LBB49_5
; %bb.4:
	v_div_scale_f64 v[101:102], s[8:9], v[99:100], v[99:100], v[97:98]
	v_rcp_f64_e32 v[103:104], v[101:102]
	v_fma_f64 v[105:106], -v[101:102], v[103:104], 1.0
	v_fma_f64 v[103:104], v[103:104], v[105:106], v[103:104]
	v_div_scale_f64 v[105:106], vcc, v[97:98], v[99:100], v[97:98]
	v_fma_f64 v[107:108], -v[101:102], v[103:104], 1.0
	v_fma_f64 v[103:104], v[103:104], v[107:108], v[103:104]
	v_mul_f64 v[107:108], v[105:106], v[103:104]
	v_fma_f64 v[101:102], -v[101:102], v[107:108], v[105:106]
	v_div_fmas_f64 v[101:102], v[101:102], v[103:104], v[107:108]
	v_div_fixup_f64 v[101:102], v[101:102], v[99:100], v[97:98]
	v_fma_f64 v[97:98], v[97:98], v[101:102], v[99:100]
	v_div_scale_f64 v[99:100], s[8:9], v[97:98], v[97:98], 1.0
	v_div_scale_f64 v[107:108], vcc, 1.0, v[97:98], 1.0
	v_rcp_f64_e32 v[103:104], v[99:100]
	v_fma_f64 v[105:106], -v[99:100], v[103:104], 1.0
	v_fma_f64 v[103:104], v[103:104], v[105:106], v[103:104]
	v_fma_f64 v[105:106], -v[99:100], v[103:104], 1.0
	v_fma_f64 v[103:104], v[103:104], v[105:106], v[103:104]
	v_mul_f64 v[105:106], v[107:108], v[103:104]
	v_fma_f64 v[99:100], -v[99:100], v[105:106], v[107:108]
	v_div_fmas_f64 v[99:100], v[99:100], v[103:104], v[105:106]
	v_div_fixup_f64 v[103:104], v[99:100], v[97:98], 1.0
                                        ; implicit-def: $vgpr97_vgpr98
	v_mul_f64 v[101:102], v[101:102], v[103:104]
	v_xor_b32_e32 v104, 0x80000000, v104
.LBB49_5:
	s_andn2_saveexec_b64 s[4:5], s[4:5]
	s_cbranch_execz .LBB49_7
; %bb.6:
	v_div_scale_f64 v[101:102], s[8:9], v[97:98], v[97:98], v[99:100]
	v_rcp_f64_e32 v[103:104], v[101:102]
	v_fma_f64 v[105:106], -v[101:102], v[103:104], 1.0
	v_fma_f64 v[103:104], v[103:104], v[105:106], v[103:104]
	v_div_scale_f64 v[105:106], vcc, v[99:100], v[97:98], v[99:100]
	v_fma_f64 v[107:108], -v[101:102], v[103:104], 1.0
	v_fma_f64 v[103:104], v[103:104], v[107:108], v[103:104]
	v_mul_f64 v[107:108], v[105:106], v[103:104]
	v_fma_f64 v[101:102], -v[101:102], v[107:108], v[105:106]
	v_div_fmas_f64 v[101:102], v[101:102], v[103:104], v[107:108]
	v_div_fixup_f64 v[103:104], v[101:102], v[97:98], v[99:100]
	v_fma_f64 v[97:98], v[99:100], v[103:104], v[97:98]
	v_div_scale_f64 v[99:100], s[8:9], v[97:98], v[97:98], 1.0
	v_div_scale_f64 v[107:108], vcc, 1.0, v[97:98], 1.0
	v_rcp_f64_e32 v[101:102], v[99:100]
	v_fma_f64 v[105:106], -v[99:100], v[101:102], 1.0
	v_fma_f64 v[101:102], v[101:102], v[105:106], v[101:102]
	v_fma_f64 v[105:106], -v[99:100], v[101:102], 1.0
	v_fma_f64 v[101:102], v[101:102], v[105:106], v[101:102]
	v_mul_f64 v[105:106], v[107:108], v[101:102]
	v_fma_f64 v[99:100], -v[99:100], v[105:106], v[107:108]
	v_div_fmas_f64 v[99:100], v[99:100], v[101:102], v[105:106]
	v_div_fixup_f64 v[101:102], v[99:100], v[97:98], 1.0
	v_mul_f64 v[103:104], v[103:104], -v[101:102]
.LBB49_7:
	s_or_b64 exec, exec, s[4:5]
	ds_write2_b64 v127, v[101:102], v[103:104] offset1:1
.LBB49_8:
	s_or_b64 exec, exec, s[6:7]
	s_waitcnt vmcnt(0) lgkmcnt(0)
	s_barrier
	ds_read2_b64 v[97:100], v127 offset1:1
	s_waitcnt lgkmcnt(0)
	buffer_store_dword v97, off, s[20:23], 0 offset:256 ; 4-byte Folded Spill
	s_nop 0
	buffer_store_dword v98, off, s[20:23], 0 offset:260 ; 4-byte Folded Spill
	buffer_store_dword v99, off, s[20:23], 0 offset:264 ; 4-byte Folded Spill
	buffer_store_dword v100, off, s[20:23], 0 offset:268 ; 4-byte Folded Spill
	s_and_saveexec_b64 s[4:5], s[2:3]
	s_cbranch_execz .LBB49_10
; %bb.9:
	buffer_load_dword v107, off, s[20:23], 0 offset:48 ; 4-byte Folded Reload
	buffer_load_dword v108, off, s[20:23], 0 offset:52 ; 4-byte Folded Reload
	;; [unrolled: 1-line block ×8, first 2 shown]
	s_waitcnt vmcnt(0)
	v_mul_f64 v[97:98], v[101:102], v[109:110]
	v_fma_f64 v[97:98], v[99:100], v[107:108], -v[97:98]
	v_mul_f64 v[99:100], v[99:100], v[109:110]
	v_fma_f64 v[109:110], v[101:102], v[107:108], v[99:100]
	ds_read2_b64 v[99:102], v125 offset0:2 offset1:3
	buffer_load_dword v105, off, s[20:23], 0 offset:32 ; 4-byte Folded Reload
	buffer_load_dword v106, off, s[20:23], 0 offset:36 ; 4-byte Folded Reload
	;; [unrolled: 1-line block ×4, first 2 shown]
	s_waitcnt lgkmcnt(0)
	v_mul_f64 v[103:104], v[101:102], v[109:110]
	v_fma_f64 v[103:104], v[99:100], v[97:98], -v[103:104]
	v_mul_f64 v[99:100], v[99:100], v[109:110]
	v_fma_f64 v[99:100], v[101:102], v[97:98], v[99:100]
	s_waitcnt vmcnt(2)
	v_add_f64 v[105:106], v[105:106], -v[103:104]
	s_waitcnt vmcnt(0)
	v_add_f64 v[107:108], v[107:108], -v[99:100]
	buffer_store_dword v105, off, s[20:23], 0 offset:32 ; 4-byte Folded Spill
	s_nop 0
	buffer_store_dword v106, off, s[20:23], 0 offset:36 ; 4-byte Folded Spill
	buffer_store_dword v107, off, s[20:23], 0 offset:40 ; 4-byte Folded Spill
	;; [unrolled: 1-line block ×3, first 2 shown]
	ds_read2_b64 v[99:102], v125 offset0:4 offset1:5
	v_mov_b32_e32 v108, v98
	v_mov_b32_e32 v107, v97
	s_waitcnt lgkmcnt(0)
	v_mul_f64 v[103:104], v[101:102], v[109:110]
	v_fma_f64 v[103:104], v[99:100], v[97:98], -v[103:104]
	v_mul_f64 v[99:100], v[99:100], v[109:110]
	v_add_f64 v[93:94], v[93:94], -v[103:104]
	v_fma_f64 v[99:100], v[101:102], v[97:98], v[99:100]
	v_add_f64 v[95:96], v[95:96], -v[99:100]
	ds_read2_b64 v[99:102], v125 offset0:6 offset1:7
	s_waitcnt lgkmcnt(0)
	v_mul_f64 v[103:104], v[101:102], v[109:110]
	v_fma_f64 v[103:104], v[99:100], v[97:98], -v[103:104]
	v_mul_f64 v[99:100], v[99:100], v[109:110]
	v_add_f64 v[85:86], v[85:86], -v[103:104]
	v_fma_f64 v[99:100], v[101:102], v[97:98], v[99:100]
	v_add_f64 v[87:88], v[87:88], -v[99:100]
	ds_read2_b64 v[99:102], v125 offset0:8 offset1:9
	;; [unrolled: 8-line block ×7, first 2 shown]
	buffer_load_dword v53, off, s[20:23], 0 offset:16 ; 4-byte Folded Reload
	buffer_load_dword v54, off, s[20:23], 0 offset:20 ; 4-byte Folded Reload
	;; [unrolled: 1-line block ×4, first 2 shown]
	s_waitcnt lgkmcnt(0)
	v_mul_f64 v[103:104], v[101:102], v[109:110]
	v_fma_f64 v[103:104], v[99:100], v[97:98], -v[103:104]
	v_mul_f64 v[99:100], v[99:100], v[109:110]
	v_fma_f64 v[99:100], v[101:102], v[97:98], v[99:100]
	s_waitcnt vmcnt(2)
	v_add_f64 v[53:54], v[53:54], -v[103:104]
	s_waitcnt vmcnt(0)
	v_add_f64 v[55:56], v[55:56], -v[99:100]
	buffer_store_dword v53, off, s[20:23], 0 offset:16 ; 4-byte Folded Spill
	s_nop 0
	buffer_store_dword v54, off, s[20:23], 0 offset:20 ; 4-byte Folded Spill
	buffer_store_dword v55, off, s[20:23], 0 offset:24 ; 4-byte Folded Spill
	;; [unrolled: 1-line block ×3, first 2 shown]
	ds_read2_b64 v[99:102], v125 offset0:20 offset1:21
	buffer_load_dword v53, off, s[20:23], 0 ; 4-byte Folded Reload
	buffer_load_dword v54, off, s[20:23], 0 offset:4 ; 4-byte Folded Reload
	buffer_load_dword v55, off, s[20:23], 0 offset:8 ; 4-byte Folded Reload
	;; [unrolled: 1-line block ×3, first 2 shown]
	s_waitcnt lgkmcnt(0)
	v_mul_f64 v[103:104], v[101:102], v[109:110]
	v_fma_f64 v[103:104], v[99:100], v[97:98], -v[103:104]
	v_mul_f64 v[99:100], v[99:100], v[109:110]
	v_fma_f64 v[99:100], v[101:102], v[97:98], v[99:100]
	s_waitcnt vmcnt(2)
	v_add_f64 v[53:54], v[53:54], -v[103:104]
	s_waitcnt vmcnt(0)
	v_add_f64 v[55:56], v[55:56], -v[99:100]
	buffer_store_dword v53, off, s[20:23], 0 ; 4-byte Folded Spill
	s_nop 0
	buffer_store_dword v54, off, s[20:23], 0 offset:4 ; 4-byte Folded Spill
	buffer_store_dword v55, off, s[20:23], 0 offset:8 ; 4-byte Folded Spill
	;; [unrolled: 1-line block ×3, first 2 shown]
	ds_read2_b64 v[99:102], v125 offset0:22 offset1:23
	s_waitcnt lgkmcnt(0)
	v_mul_f64 v[103:104], v[101:102], v[109:110]
	v_fma_f64 v[103:104], v[99:100], v[97:98], -v[103:104]
	v_mul_f64 v[99:100], v[99:100], v[109:110]
	v_add_f64 v[49:50], v[49:50], -v[103:104]
	v_fma_f64 v[99:100], v[101:102], v[97:98], v[99:100]
	v_add_f64 v[51:52], v[51:52], -v[99:100]
	ds_read2_b64 v[99:102], v125 offset0:24 offset1:25
	s_waitcnt lgkmcnt(0)
	v_mul_f64 v[103:104], v[101:102], v[109:110]
	v_fma_f64 v[103:104], v[99:100], v[97:98], -v[103:104]
	v_mul_f64 v[99:100], v[99:100], v[109:110]
	v_add_f64 v[45:46], v[45:46], -v[103:104]
	v_fma_f64 v[99:100], v[101:102], v[97:98], v[99:100]
	v_add_f64 v[47:48], v[47:48], -v[99:100]
	ds_read2_b64 v[99:102], v125 offset0:26 offset1:27
	s_waitcnt lgkmcnt(0)
	v_mul_f64 v[103:104], v[101:102], v[109:110]
	v_fma_f64 v[103:104], v[99:100], v[97:98], -v[103:104]
	v_mul_f64 v[99:100], v[99:100], v[109:110]
	v_add_f64 v[41:42], v[41:42], -v[103:104]
	v_fma_f64 v[99:100], v[101:102], v[97:98], v[99:100]
	v_add_f64 v[43:44], v[43:44], -v[99:100]
	ds_read2_b64 v[99:102], v125 offset0:28 offset1:29
	s_waitcnt lgkmcnt(0)
	v_mul_f64 v[103:104], v[101:102], v[109:110]
	v_fma_f64 v[103:104], v[99:100], v[97:98], -v[103:104]
	v_mul_f64 v[99:100], v[99:100], v[109:110]
	v_add_f64 v[37:38], v[37:38], -v[103:104]
	v_fma_f64 v[99:100], v[101:102], v[97:98], v[99:100]
	v_add_f64 v[39:40], v[39:40], -v[99:100]
	ds_read2_b64 v[99:102], v125 offset0:30 offset1:31
	s_waitcnt lgkmcnt(0)
	v_mul_f64 v[103:104], v[101:102], v[109:110]
	v_fma_f64 v[103:104], v[99:100], v[97:98], -v[103:104]
	v_mul_f64 v[99:100], v[99:100], v[109:110]
	v_add_f64 v[33:34], v[33:34], -v[103:104]
	v_fma_f64 v[99:100], v[101:102], v[97:98], v[99:100]
	v_add_f64 v[35:36], v[35:36], -v[99:100]
	ds_read2_b64 v[99:102], v125 offset0:32 offset1:33
	s_waitcnt lgkmcnt(0)
	v_mul_f64 v[103:104], v[101:102], v[109:110]
	v_fma_f64 v[103:104], v[99:100], v[97:98], -v[103:104]
	v_mul_f64 v[99:100], v[99:100], v[109:110]
	v_add_f64 v[29:30], v[29:30], -v[103:104]
	v_fma_f64 v[99:100], v[101:102], v[97:98], v[99:100]
	v_add_f64 v[31:32], v[31:32], -v[99:100]
	ds_read2_b64 v[99:102], v125 offset0:34 offset1:35
	s_waitcnt lgkmcnt(0)
	v_mul_f64 v[103:104], v[101:102], v[109:110]
	v_fma_f64 v[103:104], v[99:100], v[97:98], -v[103:104]
	v_mul_f64 v[99:100], v[99:100], v[109:110]
	v_add_f64 v[25:26], v[25:26], -v[103:104]
	v_fma_f64 v[99:100], v[101:102], v[97:98], v[99:100]
	v_add_f64 v[27:28], v[27:28], -v[99:100]
	ds_read2_b64 v[99:102], v125 offset0:36 offset1:37
	s_waitcnt lgkmcnt(0)
	v_mul_f64 v[103:104], v[101:102], v[109:110]
	v_fma_f64 v[103:104], v[99:100], v[97:98], -v[103:104]
	v_mul_f64 v[99:100], v[99:100], v[109:110]
	v_add_f64 v[21:22], v[21:22], -v[103:104]
	v_fma_f64 v[99:100], v[101:102], v[97:98], v[99:100]
	v_add_f64 v[23:24], v[23:24], -v[99:100]
	ds_read2_b64 v[99:102], v125 offset0:38 offset1:39
	s_waitcnt lgkmcnt(0)
	v_mul_f64 v[103:104], v[101:102], v[109:110]
	v_fma_f64 v[103:104], v[99:100], v[97:98], -v[103:104]
	v_mul_f64 v[99:100], v[99:100], v[109:110]
	v_add_f64 v[17:18], v[17:18], -v[103:104]
	v_fma_f64 v[99:100], v[101:102], v[97:98], v[99:100]
	v_add_f64 v[19:20], v[19:20], -v[99:100]
	ds_read2_b64 v[99:102], v125 offset0:40 offset1:41
	s_waitcnt lgkmcnt(0)
	v_mul_f64 v[103:104], v[101:102], v[109:110]
	v_fma_f64 v[103:104], v[99:100], v[97:98], -v[103:104]
	v_mul_f64 v[99:100], v[99:100], v[109:110]
	v_add_f64 v[13:14], v[13:14], -v[103:104]
	v_fma_f64 v[99:100], v[101:102], v[97:98], v[99:100]
	v_add_f64 v[15:16], v[15:16], -v[99:100]
	ds_read2_b64 v[99:102], v125 offset0:42 offset1:43
	s_waitcnt lgkmcnt(0)
	v_mul_f64 v[103:104], v[101:102], v[109:110]
	v_fma_f64 v[103:104], v[99:100], v[97:98], -v[103:104]
	v_mul_f64 v[99:100], v[99:100], v[109:110]
	v_add_f64 v[9:10], v[9:10], -v[103:104]
	v_fma_f64 v[99:100], v[101:102], v[97:98], v[99:100]
	v_add_f64 v[11:12], v[11:12], -v[99:100]
	ds_read2_b64 v[99:102], v125 offset0:44 offset1:45
	s_waitcnt lgkmcnt(0)
	v_mul_f64 v[103:104], v[101:102], v[109:110]
	v_fma_f64 v[103:104], v[99:100], v[97:98], -v[103:104]
	v_mul_f64 v[99:100], v[99:100], v[109:110]
	v_add_f64 v[5:6], v[5:6], -v[103:104]
	v_fma_f64 v[99:100], v[101:102], v[97:98], v[99:100]
	v_add_f64 v[7:8], v[7:8], -v[99:100]
	ds_read2_b64 v[99:102], v125 offset0:46 offset1:47
	s_waitcnt lgkmcnt(0)
	v_mul_f64 v[103:104], v[101:102], v[109:110]
	v_fma_f64 v[103:104], v[99:100], v[97:98], -v[103:104]
	v_mul_f64 v[99:100], v[99:100], v[109:110]
	v_add_f64 v[1:2], v[1:2], -v[103:104]
	v_fma_f64 v[99:100], v[101:102], v[97:98], v[99:100]
	v_add_f64 v[3:4], v[3:4], -v[99:100]
	ds_read2_b64 v[99:102], v125 offset0:48 offset1:49
	s_waitcnt lgkmcnt(0)
	v_mul_f64 v[103:104], v[101:102], v[109:110]
	v_fma_f64 v[103:104], v[99:100], v[97:98], -v[103:104]
	v_mul_f64 v[99:100], v[99:100], v[109:110]
	buffer_store_dword v107, off, s[20:23], 0 offset:48 ; 4-byte Folded Spill
	s_nop 0
	buffer_store_dword v108, off, s[20:23], 0 offset:52 ; 4-byte Folded Spill
	buffer_store_dword v109, off, s[20:23], 0 offset:56 ; 4-byte Folded Spill
	;; [unrolled: 1-line block ×3, first 2 shown]
	v_add_f64 v[73:74], v[73:74], -v[103:104]
	v_fma_f64 v[99:100], v[101:102], v[97:98], v[99:100]
	v_add_f64 v[75:76], v[75:76], -v[99:100]
.LBB49_10:
	s_or_b64 exec, exec, s[4:5]
	v_cmp_eq_u32_e32 vcc, 1, v0
	s_waitcnt vmcnt(0)
	s_barrier
	s_and_saveexec_b64 s[4:5], vcc
	s_cbranch_execz .LBB49_17
; %bb.11:
	buffer_load_dword v97, off, s[20:23], 0 offset:32 ; 4-byte Folded Reload
	buffer_load_dword v98, off, s[20:23], 0 offset:36 ; 4-byte Folded Reload
	;; [unrolled: 1-line block ×4, first 2 shown]
	s_waitcnt vmcnt(0)
	ds_write2_b64 v127, v[97:98], v[99:100] offset1:1
	ds_write2_b64 v125, v[93:94], v[95:96] offset0:4 offset1:5
	ds_write2_b64 v125, v[85:86], v[87:88] offset0:6 offset1:7
	;; [unrolled: 1-line block ×7, first 2 shown]
	buffer_load_dword v53, off, s[20:23], 0 offset:16 ; 4-byte Folded Reload
	buffer_load_dword v54, off, s[20:23], 0 offset:20 ; 4-byte Folded Reload
	;; [unrolled: 1-line block ×4, first 2 shown]
	s_waitcnt vmcnt(0)
	ds_write2_b64 v125, v[53:54], v[55:56] offset0:18 offset1:19
	buffer_load_dword v53, off, s[20:23], 0 ; 4-byte Folded Reload
	buffer_load_dword v54, off, s[20:23], 0 offset:4 ; 4-byte Folded Reload
	buffer_load_dword v55, off, s[20:23], 0 offset:8 ; 4-byte Folded Reload
	;; [unrolled: 1-line block ×3, first 2 shown]
	s_waitcnt vmcnt(0)
	ds_write2_b64 v125, v[53:54], v[55:56] offset0:20 offset1:21
	ds_write2_b64 v125, v[49:50], v[51:52] offset0:22 offset1:23
	;; [unrolled: 1-line block ×15, first 2 shown]
	ds_read2_b64 v[97:100], v127 offset1:1
	s_waitcnt lgkmcnt(0)
	v_cmp_neq_f64_e32 vcc, 0, v[97:98]
	v_cmp_neq_f64_e64 s[2:3], 0, v[99:100]
	s_or_b64 s[2:3], vcc, s[2:3]
	s_and_b64 exec, exec, s[2:3]
	s_cbranch_execz .LBB49_17
; %bb.12:
	v_cmp_ngt_f64_e64 s[2:3], |v[97:98]|, |v[99:100]|
                                        ; implicit-def: $vgpr101_vgpr102
	s_and_saveexec_b64 s[6:7], s[2:3]
	s_xor_b64 s[2:3], exec, s[6:7]
                                        ; implicit-def: $vgpr103_vgpr104
	s_cbranch_execz .LBB49_14
; %bb.13:
	v_div_scale_f64 v[101:102], s[6:7], v[99:100], v[99:100], v[97:98]
	v_rcp_f64_e32 v[103:104], v[101:102]
	v_fma_f64 v[105:106], -v[101:102], v[103:104], 1.0
	v_fma_f64 v[103:104], v[103:104], v[105:106], v[103:104]
	v_div_scale_f64 v[105:106], vcc, v[97:98], v[99:100], v[97:98]
	v_fma_f64 v[107:108], -v[101:102], v[103:104], 1.0
	v_fma_f64 v[103:104], v[103:104], v[107:108], v[103:104]
	v_mul_f64 v[107:108], v[105:106], v[103:104]
	v_fma_f64 v[101:102], -v[101:102], v[107:108], v[105:106]
	v_div_fmas_f64 v[101:102], v[101:102], v[103:104], v[107:108]
	v_div_fixup_f64 v[101:102], v[101:102], v[99:100], v[97:98]
	v_fma_f64 v[97:98], v[97:98], v[101:102], v[99:100]
	v_div_scale_f64 v[99:100], s[6:7], v[97:98], v[97:98], 1.0
	v_div_scale_f64 v[107:108], vcc, 1.0, v[97:98], 1.0
	v_rcp_f64_e32 v[103:104], v[99:100]
	v_fma_f64 v[105:106], -v[99:100], v[103:104], 1.0
	v_fma_f64 v[103:104], v[103:104], v[105:106], v[103:104]
	v_fma_f64 v[105:106], -v[99:100], v[103:104], 1.0
	v_fma_f64 v[103:104], v[103:104], v[105:106], v[103:104]
	v_mul_f64 v[105:106], v[107:108], v[103:104]
	v_fma_f64 v[99:100], -v[99:100], v[105:106], v[107:108]
	v_div_fmas_f64 v[99:100], v[99:100], v[103:104], v[105:106]
	v_div_fixup_f64 v[103:104], v[99:100], v[97:98], 1.0
                                        ; implicit-def: $vgpr97_vgpr98
	v_mul_f64 v[101:102], v[101:102], v[103:104]
	v_xor_b32_e32 v104, 0x80000000, v104
.LBB49_14:
	s_andn2_saveexec_b64 s[2:3], s[2:3]
	s_cbranch_execz .LBB49_16
; %bb.15:
	v_div_scale_f64 v[101:102], s[6:7], v[97:98], v[97:98], v[99:100]
	v_rcp_f64_e32 v[103:104], v[101:102]
	v_fma_f64 v[105:106], -v[101:102], v[103:104], 1.0
	v_fma_f64 v[103:104], v[103:104], v[105:106], v[103:104]
	v_div_scale_f64 v[105:106], vcc, v[99:100], v[97:98], v[99:100]
	v_fma_f64 v[107:108], -v[101:102], v[103:104], 1.0
	v_fma_f64 v[103:104], v[103:104], v[107:108], v[103:104]
	v_mul_f64 v[107:108], v[105:106], v[103:104]
	v_fma_f64 v[101:102], -v[101:102], v[107:108], v[105:106]
	v_div_fmas_f64 v[101:102], v[101:102], v[103:104], v[107:108]
	v_div_fixup_f64 v[103:104], v[101:102], v[97:98], v[99:100]
	v_fma_f64 v[97:98], v[99:100], v[103:104], v[97:98]
	v_div_scale_f64 v[99:100], s[6:7], v[97:98], v[97:98], 1.0
	v_div_scale_f64 v[107:108], vcc, 1.0, v[97:98], 1.0
	v_rcp_f64_e32 v[101:102], v[99:100]
	v_fma_f64 v[105:106], -v[99:100], v[101:102], 1.0
	v_fma_f64 v[101:102], v[101:102], v[105:106], v[101:102]
	v_fma_f64 v[105:106], -v[99:100], v[101:102], 1.0
	v_fma_f64 v[101:102], v[101:102], v[105:106], v[101:102]
	v_mul_f64 v[105:106], v[107:108], v[101:102]
	v_fma_f64 v[99:100], -v[99:100], v[105:106], v[107:108]
	v_div_fmas_f64 v[99:100], v[99:100], v[101:102], v[105:106]
	v_div_fixup_f64 v[101:102], v[99:100], v[97:98], 1.0
	v_mul_f64 v[103:104], v[103:104], -v[101:102]
.LBB49_16:
	s_or_b64 exec, exec, s[2:3]
	ds_write2_b64 v127, v[101:102], v[103:104] offset1:1
.LBB49_17:
	s_or_b64 exec, exec, s[4:5]
	s_waitcnt lgkmcnt(0)
	s_barrier
	ds_read2_b64 v[97:100], v127 offset1:1
	v_cmp_lt_u32_e32 vcc, 1, v0
	s_waitcnt lgkmcnt(0)
	buffer_store_dword v97, off, s[20:23], 0 offset:272 ; 4-byte Folded Spill
	s_nop 0
	buffer_store_dword v98, off, s[20:23], 0 offset:276 ; 4-byte Folded Spill
	buffer_store_dword v99, off, s[20:23], 0 offset:280 ; 4-byte Folded Spill
	;; [unrolled: 1-line block ×3, first 2 shown]
	s_and_saveexec_b64 s[2:3], vcc
	s_cbranch_execz .LBB49_19
; %bb.18:
	buffer_load_dword v107, off, s[20:23], 0 offset:32 ; 4-byte Folded Reload
	buffer_load_dword v108, off, s[20:23], 0 offset:36 ; 4-byte Folded Reload
	;; [unrolled: 1-line block ×8, first 2 shown]
	v_mov_b32_e32 v106, v96
	v_mov_b32_e32 v105, v95
	;; [unrolled: 1-line block ×4, first 2 shown]
	s_waitcnt vmcnt(2)
	v_mul_f64 v[95:96], v[99:100], v[109:110]
	s_waitcnt vmcnt(0)
	v_mul_f64 v[97:98], v[101:102], v[109:110]
	v_fma_f64 v[109:110], v[101:102], v[107:108], v[95:96]
	v_fma_f64 v[97:98], v[99:100], v[107:108], -v[97:98]
	ds_read2_b64 v[99:102], v125 offset0:4 offset1:5
	s_waitcnt lgkmcnt(0)
	v_mul_f64 v[93:94], v[101:102], v[109:110]
	v_mov_b32_e32 v108, v98
	v_mov_b32_e32 v107, v97
	v_fma_f64 v[93:94], v[99:100], v[97:98], -v[93:94]
	v_mul_f64 v[99:100], v[99:100], v[109:110]
	v_add_f64 v[103:104], v[103:104], -v[93:94]
	v_fma_f64 v[99:100], v[101:102], v[97:98], v[99:100]
	v_add_f64 v[105:106], v[105:106], -v[99:100]
	ds_read2_b64 v[99:102], v125 offset0:6 offset1:7
	s_waitcnt lgkmcnt(0)
	v_mul_f64 v[93:94], v[101:102], v[109:110]
	v_fma_f64 v[93:94], v[99:100], v[97:98], -v[93:94]
	v_mul_f64 v[99:100], v[99:100], v[109:110]
	v_add_f64 v[85:86], v[85:86], -v[93:94]
	v_fma_f64 v[99:100], v[101:102], v[97:98], v[99:100]
	v_add_f64 v[87:88], v[87:88], -v[99:100]
	ds_read2_b64 v[99:102], v125 offset0:8 offset1:9
	s_waitcnt lgkmcnt(0)
	v_mul_f64 v[93:94], v[101:102], v[109:110]
	;; [unrolled: 8-line block ×6, first 2 shown]
	v_fma_f64 v[93:94], v[99:100], v[97:98], -v[93:94]
	v_mul_f64 v[99:100], v[99:100], v[109:110]
	v_add_f64 v[61:62], v[61:62], -v[93:94]
	v_fma_f64 v[99:100], v[101:102], v[97:98], v[99:100]
	v_add_f64 v[63:64], v[63:64], -v[99:100]
	ds_read2_b64 v[99:102], v125 offset0:18 offset1:19
	buffer_load_dword v53, off, s[20:23], 0 offset:16 ; 4-byte Folded Reload
	buffer_load_dword v54, off, s[20:23], 0 offset:20 ; 4-byte Folded Reload
	;; [unrolled: 1-line block ×4, first 2 shown]
	s_waitcnt lgkmcnt(0)
	v_mul_f64 v[93:94], v[101:102], v[109:110]
	v_fma_f64 v[93:94], v[99:100], v[97:98], -v[93:94]
	v_mul_f64 v[99:100], v[99:100], v[109:110]
	v_fma_f64 v[99:100], v[101:102], v[97:98], v[99:100]
	s_waitcnt vmcnt(2)
	v_add_f64 v[53:54], v[53:54], -v[93:94]
	s_waitcnt vmcnt(0)
	v_add_f64 v[55:56], v[55:56], -v[99:100]
	buffer_store_dword v53, off, s[20:23], 0 offset:16 ; 4-byte Folded Spill
	s_nop 0
	buffer_store_dword v54, off, s[20:23], 0 offset:20 ; 4-byte Folded Spill
	buffer_store_dword v55, off, s[20:23], 0 offset:24 ; 4-byte Folded Spill
	;; [unrolled: 1-line block ×3, first 2 shown]
	ds_read2_b64 v[99:102], v125 offset0:20 offset1:21
	buffer_load_dword v53, off, s[20:23], 0 ; 4-byte Folded Reload
	buffer_load_dword v54, off, s[20:23], 0 offset:4 ; 4-byte Folded Reload
	buffer_load_dword v55, off, s[20:23], 0 offset:8 ; 4-byte Folded Reload
	;; [unrolled: 1-line block ×3, first 2 shown]
	s_waitcnt lgkmcnt(0)
	v_mul_f64 v[93:94], v[101:102], v[109:110]
	v_fma_f64 v[93:94], v[99:100], v[97:98], -v[93:94]
	v_mul_f64 v[99:100], v[99:100], v[109:110]
	v_fma_f64 v[99:100], v[101:102], v[97:98], v[99:100]
	s_waitcnt vmcnt(2)
	v_add_f64 v[53:54], v[53:54], -v[93:94]
	s_waitcnt vmcnt(0)
	v_add_f64 v[55:56], v[55:56], -v[99:100]
	buffer_store_dword v53, off, s[20:23], 0 ; 4-byte Folded Spill
	s_nop 0
	buffer_store_dword v54, off, s[20:23], 0 offset:4 ; 4-byte Folded Spill
	buffer_store_dword v55, off, s[20:23], 0 offset:8 ; 4-byte Folded Spill
	;; [unrolled: 1-line block ×3, first 2 shown]
	ds_read2_b64 v[99:102], v125 offset0:22 offset1:23
	s_waitcnt lgkmcnt(0)
	v_mul_f64 v[93:94], v[101:102], v[109:110]
	v_fma_f64 v[93:94], v[99:100], v[97:98], -v[93:94]
	v_mul_f64 v[99:100], v[99:100], v[109:110]
	v_add_f64 v[49:50], v[49:50], -v[93:94]
	v_fma_f64 v[99:100], v[101:102], v[97:98], v[99:100]
	v_add_f64 v[51:52], v[51:52], -v[99:100]
	ds_read2_b64 v[99:102], v125 offset0:24 offset1:25
	s_waitcnt lgkmcnt(0)
	v_mul_f64 v[93:94], v[101:102], v[109:110]
	v_fma_f64 v[93:94], v[99:100], v[97:98], -v[93:94]
	v_mul_f64 v[99:100], v[99:100], v[109:110]
	v_add_f64 v[45:46], v[45:46], -v[93:94]
	v_fma_f64 v[99:100], v[101:102], v[97:98], v[99:100]
	v_add_f64 v[47:48], v[47:48], -v[99:100]
	;; [unrolled: 8-line block ×13, first 2 shown]
	ds_read2_b64 v[99:102], v125 offset0:48 offset1:49
	s_waitcnt lgkmcnt(0)
	v_mul_f64 v[93:94], v[101:102], v[109:110]
	v_fma_f64 v[93:94], v[99:100], v[97:98], -v[93:94]
	v_mul_f64 v[99:100], v[99:100], v[109:110]
	buffer_store_dword v107, off, s[20:23], 0 offset:32 ; 4-byte Folded Spill
	s_nop 0
	buffer_store_dword v108, off, s[20:23], 0 offset:36 ; 4-byte Folded Spill
	buffer_store_dword v109, off, s[20:23], 0 offset:40 ; 4-byte Folded Spill
	;; [unrolled: 1-line block ×3, first 2 shown]
	v_add_f64 v[73:74], v[73:74], -v[93:94]
	v_fma_f64 v[99:100], v[101:102], v[97:98], v[99:100]
	v_mov_b32_e32 v93, v103
	v_mov_b32_e32 v94, v104
	;; [unrolled: 1-line block ×4, first 2 shown]
	v_add_f64 v[75:76], v[75:76], -v[99:100]
.LBB49_19:
	s_or_b64 exec, exec, s[2:3]
	v_cmp_eq_u32_e32 vcc, 2, v0
	s_waitcnt vmcnt(0)
	s_barrier
	s_and_saveexec_b64 s[4:5], vcc
	s_cbranch_execz .LBB49_26
; %bb.20:
	ds_write2_b64 v127, v[93:94], v[95:96] offset1:1
	ds_write2_b64 v125, v[85:86], v[87:88] offset0:6 offset1:7
	ds_write2_b64 v125, v[81:82], v[83:84] offset0:8 offset1:9
	;; [unrolled: 1-line block ×6, first 2 shown]
	buffer_load_dword v53, off, s[20:23], 0 offset:16 ; 4-byte Folded Reload
	buffer_load_dword v54, off, s[20:23], 0 offset:20 ; 4-byte Folded Reload
	buffer_load_dword v55, off, s[20:23], 0 offset:24 ; 4-byte Folded Reload
	buffer_load_dword v56, off, s[20:23], 0 offset:28 ; 4-byte Folded Reload
	s_waitcnt vmcnt(0)
	ds_write2_b64 v125, v[53:54], v[55:56] offset0:18 offset1:19
	buffer_load_dword v53, off, s[20:23], 0 ; 4-byte Folded Reload
	buffer_load_dword v54, off, s[20:23], 0 offset:4 ; 4-byte Folded Reload
	buffer_load_dword v55, off, s[20:23], 0 offset:8 ; 4-byte Folded Reload
	;; [unrolled: 1-line block ×3, first 2 shown]
	s_waitcnt vmcnt(0)
	ds_write2_b64 v125, v[53:54], v[55:56] offset0:20 offset1:21
	ds_write2_b64 v125, v[49:50], v[51:52] offset0:22 offset1:23
	;; [unrolled: 1-line block ×15, first 2 shown]
	ds_read2_b64 v[97:100], v127 offset1:1
	s_waitcnt lgkmcnt(0)
	v_cmp_neq_f64_e32 vcc, 0, v[97:98]
	v_cmp_neq_f64_e64 s[2:3], 0, v[99:100]
	s_or_b64 s[2:3], vcc, s[2:3]
	s_and_b64 exec, exec, s[2:3]
	s_cbranch_execz .LBB49_26
; %bb.21:
	v_cmp_ngt_f64_e64 s[2:3], |v[97:98]|, |v[99:100]|
                                        ; implicit-def: $vgpr101_vgpr102
	s_and_saveexec_b64 s[6:7], s[2:3]
	s_xor_b64 s[2:3], exec, s[6:7]
                                        ; implicit-def: $vgpr103_vgpr104
	s_cbranch_execz .LBB49_23
; %bb.22:
	v_div_scale_f64 v[101:102], s[6:7], v[99:100], v[99:100], v[97:98]
	v_rcp_f64_e32 v[103:104], v[101:102]
	v_fma_f64 v[105:106], -v[101:102], v[103:104], 1.0
	v_fma_f64 v[103:104], v[103:104], v[105:106], v[103:104]
	v_div_scale_f64 v[105:106], vcc, v[97:98], v[99:100], v[97:98]
	v_fma_f64 v[107:108], -v[101:102], v[103:104], 1.0
	v_fma_f64 v[103:104], v[103:104], v[107:108], v[103:104]
	v_mul_f64 v[107:108], v[105:106], v[103:104]
	v_fma_f64 v[101:102], -v[101:102], v[107:108], v[105:106]
	v_div_fmas_f64 v[101:102], v[101:102], v[103:104], v[107:108]
	v_div_fixup_f64 v[101:102], v[101:102], v[99:100], v[97:98]
	v_fma_f64 v[97:98], v[97:98], v[101:102], v[99:100]
	v_div_scale_f64 v[99:100], s[6:7], v[97:98], v[97:98], 1.0
	v_div_scale_f64 v[107:108], vcc, 1.0, v[97:98], 1.0
	v_rcp_f64_e32 v[103:104], v[99:100]
	v_fma_f64 v[105:106], -v[99:100], v[103:104], 1.0
	v_fma_f64 v[103:104], v[103:104], v[105:106], v[103:104]
	v_fma_f64 v[105:106], -v[99:100], v[103:104], 1.0
	v_fma_f64 v[103:104], v[103:104], v[105:106], v[103:104]
	v_mul_f64 v[105:106], v[107:108], v[103:104]
	v_fma_f64 v[99:100], -v[99:100], v[105:106], v[107:108]
	v_div_fmas_f64 v[99:100], v[99:100], v[103:104], v[105:106]
	v_div_fixup_f64 v[103:104], v[99:100], v[97:98], 1.0
                                        ; implicit-def: $vgpr97_vgpr98
	v_mul_f64 v[101:102], v[101:102], v[103:104]
	v_xor_b32_e32 v104, 0x80000000, v104
.LBB49_23:
	s_andn2_saveexec_b64 s[2:3], s[2:3]
	s_cbranch_execz .LBB49_25
; %bb.24:
	v_div_scale_f64 v[101:102], s[6:7], v[97:98], v[97:98], v[99:100]
	v_rcp_f64_e32 v[103:104], v[101:102]
	v_fma_f64 v[105:106], -v[101:102], v[103:104], 1.0
	v_fma_f64 v[103:104], v[103:104], v[105:106], v[103:104]
	v_div_scale_f64 v[105:106], vcc, v[99:100], v[97:98], v[99:100]
	v_fma_f64 v[107:108], -v[101:102], v[103:104], 1.0
	v_fma_f64 v[103:104], v[103:104], v[107:108], v[103:104]
	v_mul_f64 v[107:108], v[105:106], v[103:104]
	v_fma_f64 v[101:102], -v[101:102], v[107:108], v[105:106]
	v_div_fmas_f64 v[101:102], v[101:102], v[103:104], v[107:108]
	v_div_fixup_f64 v[103:104], v[101:102], v[97:98], v[99:100]
	v_fma_f64 v[97:98], v[99:100], v[103:104], v[97:98]
	v_div_scale_f64 v[99:100], s[6:7], v[97:98], v[97:98], 1.0
	v_div_scale_f64 v[107:108], vcc, 1.0, v[97:98], 1.0
	v_rcp_f64_e32 v[101:102], v[99:100]
	v_fma_f64 v[105:106], -v[99:100], v[101:102], 1.0
	v_fma_f64 v[101:102], v[101:102], v[105:106], v[101:102]
	v_fma_f64 v[105:106], -v[99:100], v[101:102], 1.0
	v_fma_f64 v[101:102], v[101:102], v[105:106], v[101:102]
	v_mul_f64 v[105:106], v[107:108], v[101:102]
	v_fma_f64 v[99:100], -v[99:100], v[105:106], v[107:108]
	v_div_fmas_f64 v[99:100], v[99:100], v[101:102], v[105:106]
	v_div_fixup_f64 v[101:102], v[99:100], v[97:98], 1.0
	v_mul_f64 v[103:104], v[103:104], -v[101:102]
.LBB49_25:
	s_or_b64 exec, exec, s[2:3]
	ds_write2_b64 v127, v[101:102], v[103:104] offset1:1
.LBB49_26:
	s_or_b64 exec, exec, s[4:5]
	s_waitcnt lgkmcnt(0)
	s_barrier
	ds_read2_b64 v[97:100], v127 offset1:1
	v_cmp_lt_u32_e32 vcc, 2, v0
	s_waitcnt lgkmcnt(0)
	buffer_store_dword v97, off, s[20:23], 0 offset:288 ; 4-byte Folded Spill
	s_nop 0
	buffer_store_dword v98, off, s[20:23], 0 offset:292 ; 4-byte Folded Spill
	buffer_store_dword v99, off, s[20:23], 0 offset:296 ; 4-byte Folded Spill
	;; [unrolled: 1-line block ×3, first 2 shown]
	s_and_saveexec_b64 s[2:3], vcc
	s_cbranch_execz .LBB49_28
; %bb.27:
	buffer_load_dword v99, off, s[20:23], 0 offset:288 ; 4-byte Folded Reload
	buffer_load_dword v100, off, s[20:23], 0 offset:292 ; 4-byte Folded Reload
	;; [unrolled: 1-line block ×4, first 2 shown]
	v_mov_b32_e32 v89, v91
	v_mov_b32_e32 v90, v92
	s_waitcnt vmcnt(2)
	v_mul_f64 v[91:92], v[99:100], v[95:96]
	s_waitcnt vmcnt(0)
	v_mul_f64 v[97:98], v[101:102], v[95:96]
	v_fma_f64 v[95:96], v[101:102], v[93:94], v[91:92]
	v_mov_b32_e32 v92, v90
	v_fma_f64 v[97:98], v[99:100], v[93:94], -v[97:98]
	ds_read2_b64 v[99:102], v125 offset0:6 offset1:7
	v_mov_b32_e32 v91, v89
	s_waitcnt lgkmcnt(0)
	v_mul_f64 v[89:90], v[101:102], v[95:96]
	v_mov_b32_e32 v93, v97
	v_mov_b32_e32 v94, v98
	v_fma_f64 v[89:90], v[99:100], v[97:98], -v[89:90]
	v_mul_f64 v[99:100], v[99:100], v[95:96]
	v_add_f64 v[85:86], v[85:86], -v[89:90]
	v_fma_f64 v[99:100], v[101:102], v[97:98], v[99:100]
	v_add_f64 v[87:88], v[87:88], -v[99:100]
	ds_read2_b64 v[99:102], v125 offset0:8 offset1:9
	s_waitcnt lgkmcnt(0)
	v_mul_f64 v[89:90], v[101:102], v[95:96]
	v_fma_f64 v[89:90], v[99:100], v[97:98], -v[89:90]
	v_mul_f64 v[99:100], v[99:100], v[95:96]
	v_add_f64 v[81:82], v[81:82], -v[89:90]
	v_fma_f64 v[99:100], v[101:102], v[97:98], v[99:100]
	v_add_f64 v[83:84], v[83:84], -v[99:100]
	ds_read2_b64 v[99:102], v125 offset0:10 offset1:11
	s_waitcnt lgkmcnt(0)
	v_mul_f64 v[89:90], v[101:102], v[95:96]
	;; [unrolled: 8-line block ×5, first 2 shown]
	v_fma_f64 v[89:90], v[99:100], v[97:98], -v[89:90]
	v_mul_f64 v[99:100], v[99:100], v[95:96]
	v_add_f64 v[61:62], v[61:62], -v[89:90]
	v_fma_f64 v[99:100], v[101:102], v[97:98], v[99:100]
	v_add_f64 v[63:64], v[63:64], -v[99:100]
	ds_read2_b64 v[99:102], v125 offset0:18 offset1:19
	buffer_load_dword v53, off, s[20:23], 0 offset:16 ; 4-byte Folded Reload
	buffer_load_dword v54, off, s[20:23], 0 offset:20 ; 4-byte Folded Reload
	;; [unrolled: 1-line block ×4, first 2 shown]
	s_waitcnt lgkmcnt(0)
	v_mul_f64 v[89:90], v[101:102], v[95:96]
	v_fma_f64 v[89:90], v[99:100], v[97:98], -v[89:90]
	v_mul_f64 v[99:100], v[99:100], v[95:96]
	v_fma_f64 v[99:100], v[101:102], v[97:98], v[99:100]
	s_waitcnt vmcnt(2)
	v_add_f64 v[53:54], v[53:54], -v[89:90]
	s_waitcnt vmcnt(0)
	v_add_f64 v[55:56], v[55:56], -v[99:100]
	buffer_store_dword v53, off, s[20:23], 0 offset:16 ; 4-byte Folded Spill
	s_nop 0
	buffer_store_dword v54, off, s[20:23], 0 offset:20 ; 4-byte Folded Spill
	buffer_store_dword v55, off, s[20:23], 0 offset:24 ; 4-byte Folded Spill
	;; [unrolled: 1-line block ×3, first 2 shown]
	ds_read2_b64 v[99:102], v125 offset0:20 offset1:21
	buffer_load_dword v53, off, s[20:23], 0 ; 4-byte Folded Reload
	buffer_load_dword v54, off, s[20:23], 0 offset:4 ; 4-byte Folded Reload
	buffer_load_dword v55, off, s[20:23], 0 offset:8 ; 4-byte Folded Reload
	;; [unrolled: 1-line block ×3, first 2 shown]
	s_waitcnt lgkmcnt(0)
	v_mul_f64 v[89:90], v[101:102], v[95:96]
	v_fma_f64 v[89:90], v[99:100], v[97:98], -v[89:90]
	v_mul_f64 v[99:100], v[99:100], v[95:96]
	v_fma_f64 v[99:100], v[101:102], v[97:98], v[99:100]
	s_waitcnt vmcnt(2)
	v_add_f64 v[53:54], v[53:54], -v[89:90]
	s_waitcnt vmcnt(0)
	v_add_f64 v[55:56], v[55:56], -v[99:100]
	buffer_store_dword v53, off, s[20:23], 0 ; 4-byte Folded Spill
	s_nop 0
	buffer_store_dword v54, off, s[20:23], 0 offset:4 ; 4-byte Folded Spill
	buffer_store_dword v55, off, s[20:23], 0 offset:8 ; 4-byte Folded Spill
	;; [unrolled: 1-line block ×3, first 2 shown]
	ds_read2_b64 v[99:102], v125 offset0:22 offset1:23
	s_waitcnt lgkmcnt(0)
	v_mul_f64 v[89:90], v[101:102], v[95:96]
	v_fma_f64 v[89:90], v[99:100], v[97:98], -v[89:90]
	v_mul_f64 v[99:100], v[99:100], v[95:96]
	v_add_f64 v[49:50], v[49:50], -v[89:90]
	v_fma_f64 v[99:100], v[101:102], v[97:98], v[99:100]
	v_add_f64 v[51:52], v[51:52], -v[99:100]
	ds_read2_b64 v[99:102], v125 offset0:24 offset1:25
	s_waitcnt lgkmcnt(0)
	v_mul_f64 v[89:90], v[101:102], v[95:96]
	v_fma_f64 v[89:90], v[99:100], v[97:98], -v[89:90]
	v_mul_f64 v[99:100], v[99:100], v[95:96]
	v_add_f64 v[45:46], v[45:46], -v[89:90]
	v_fma_f64 v[99:100], v[101:102], v[97:98], v[99:100]
	v_add_f64 v[47:48], v[47:48], -v[99:100]
	;; [unrolled: 8-line block ×14, first 2 shown]
.LBB49_28:
	s_or_b64 exec, exec, s[2:3]
	v_cmp_eq_u32_e32 vcc, 3, v0
	s_waitcnt vmcnt(0)
	s_barrier
	s_and_saveexec_b64 s[4:5], vcc
	s_cbranch_execz .LBB49_35
; %bb.29:
	ds_write2_b64 v127, v[85:86], v[87:88] offset1:1
	ds_write2_b64 v125, v[81:82], v[83:84] offset0:8 offset1:9
	ds_write2_b64 v125, v[77:78], v[79:80] offset0:10 offset1:11
	;; [unrolled: 1-line block ×5, first 2 shown]
	buffer_load_dword v53, off, s[20:23], 0 offset:16 ; 4-byte Folded Reload
	buffer_load_dword v54, off, s[20:23], 0 offset:20 ; 4-byte Folded Reload
	;; [unrolled: 1-line block ×4, first 2 shown]
	s_waitcnt vmcnt(0)
	ds_write2_b64 v125, v[53:54], v[55:56] offset0:18 offset1:19
	buffer_load_dword v53, off, s[20:23], 0 ; 4-byte Folded Reload
	buffer_load_dword v54, off, s[20:23], 0 offset:4 ; 4-byte Folded Reload
	buffer_load_dword v55, off, s[20:23], 0 offset:8 ; 4-byte Folded Reload
	;; [unrolled: 1-line block ×3, first 2 shown]
	s_waitcnt vmcnt(0)
	ds_write2_b64 v125, v[53:54], v[55:56] offset0:20 offset1:21
	ds_write2_b64 v125, v[49:50], v[51:52] offset0:22 offset1:23
	;; [unrolled: 1-line block ×15, first 2 shown]
	ds_read2_b64 v[97:100], v127 offset1:1
	s_waitcnt lgkmcnt(0)
	v_cmp_neq_f64_e32 vcc, 0, v[97:98]
	v_cmp_neq_f64_e64 s[2:3], 0, v[99:100]
	s_or_b64 s[2:3], vcc, s[2:3]
	s_and_b64 exec, exec, s[2:3]
	s_cbranch_execz .LBB49_35
; %bb.30:
	v_cmp_ngt_f64_e64 s[2:3], |v[97:98]|, |v[99:100]|
                                        ; implicit-def: $vgpr101_vgpr102
	s_and_saveexec_b64 s[6:7], s[2:3]
	s_xor_b64 s[2:3], exec, s[6:7]
                                        ; implicit-def: $vgpr103_vgpr104
	s_cbranch_execz .LBB49_32
; %bb.31:
	v_div_scale_f64 v[101:102], s[6:7], v[99:100], v[99:100], v[97:98]
	v_rcp_f64_e32 v[103:104], v[101:102]
	v_fma_f64 v[105:106], -v[101:102], v[103:104], 1.0
	v_fma_f64 v[103:104], v[103:104], v[105:106], v[103:104]
	v_div_scale_f64 v[105:106], vcc, v[97:98], v[99:100], v[97:98]
	v_fma_f64 v[107:108], -v[101:102], v[103:104], 1.0
	v_fma_f64 v[103:104], v[103:104], v[107:108], v[103:104]
	v_mul_f64 v[107:108], v[105:106], v[103:104]
	v_fma_f64 v[101:102], -v[101:102], v[107:108], v[105:106]
	v_div_fmas_f64 v[101:102], v[101:102], v[103:104], v[107:108]
	v_div_fixup_f64 v[101:102], v[101:102], v[99:100], v[97:98]
	v_fma_f64 v[97:98], v[97:98], v[101:102], v[99:100]
	v_div_scale_f64 v[99:100], s[6:7], v[97:98], v[97:98], 1.0
	v_div_scale_f64 v[107:108], vcc, 1.0, v[97:98], 1.0
	v_rcp_f64_e32 v[103:104], v[99:100]
	v_fma_f64 v[105:106], -v[99:100], v[103:104], 1.0
	v_fma_f64 v[103:104], v[103:104], v[105:106], v[103:104]
	v_fma_f64 v[105:106], -v[99:100], v[103:104], 1.0
	v_fma_f64 v[103:104], v[103:104], v[105:106], v[103:104]
	v_mul_f64 v[105:106], v[107:108], v[103:104]
	v_fma_f64 v[99:100], -v[99:100], v[105:106], v[107:108]
	v_div_fmas_f64 v[99:100], v[99:100], v[103:104], v[105:106]
	v_div_fixup_f64 v[103:104], v[99:100], v[97:98], 1.0
                                        ; implicit-def: $vgpr97_vgpr98
	v_mul_f64 v[101:102], v[101:102], v[103:104]
	v_xor_b32_e32 v104, 0x80000000, v104
.LBB49_32:
	s_andn2_saveexec_b64 s[2:3], s[2:3]
	s_cbranch_execz .LBB49_34
; %bb.33:
	v_div_scale_f64 v[101:102], s[6:7], v[97:98], v[97:98], v[99:100]
	v_rcp_f64_e32 v[103:104], v[101:102]
	v_fma_f64 v[105:106], -v[101:102], v[103:104], 1.0
	v_fma_f64 v[103:104], v[103:104], v[105:106], v[103:104]
	v_div_scale_f64 v[105:106], vcc, v[99:100], v[97:98], v[99:100]
	v_fma_f64 v[107:108], -v[101:102], v[103:104], 1.0
	v_fma_f64 v[103:104], v[103:104], v[107:108], v[103:104]
	v_mul_f64 v[107:108], v[105:106], v[103:104]
	v_fma_f64 v[101:102], -v[101:102], v[107:108], v[105:106]
	v_div_fmas_f64 v[101:102], v[101:102], v[103:104], v[107:108]
	v_div_fixup_f64 v[103:104], v[101:102], v[97:98], v[99:100]
	v_fma_f64 v[97:98], v[99:100], v[103:104], v[97:98]
	v_div_scale_f64 v[99:100], s[6:7], v[97:98], v[97:98], 1.0
	v_div_scale_f64 v[107:108], vcc, 1.0, v[97:98], 1.0
	v_rcp_f64_e32 v[101:102], v[99:100]
	v_fma_f64 v[105:106], -v[99:100], v[101:102], 1.0
	v_fma_f64 v[101:102], v[101:102], v[105:106], v[101:102]
	v_fma_f64 v[105:106], -v[99:100], v[101:102], 1.0
	v_fma_f64 v[101:102], v[101:102], v[105:106], v[101:102]
	v_mul_f64 v[105:106], v[107:108], v[101:102]
	v_fma_f64 v[99:100], -v[99:100], v[105:106], v[107:108]
	v_div_fmas_f64 v[99:100], v[99:100], v[101:102], v[105:106]
	v_div_fixup_f64 v[101:102], v[99:100], v[97:98], 1.0
	v_mul_f64 v[103:104], v[103:104], -v[101:102]
.LBB49_34:
	s_or_b64 exec, exec, s[2:3]
	ds_write2_b64 v127, v[101:102], v[103:104] offset1:1
.LBB49_35:
	s_or_b64 exec, exec, s[4:5]
	s_waitcnt lgkmcnt(0)
	s_barrier
	ds_read2_b64 v[97:100], v127 offset1:1
	v_cmp_lt_u32_e32 vcc, 3, v0
	s_waitcnt lgkmcnt(0)
	buffer_store_dword v97, off, s[20:23], 0 offset:304 ; 4-byte Folded Spill
	s_nop 0
	buffer_store_dword v98, off, s[20:23], 0 offset:308 ; 4-byte Folded Spill
	buffer_store_dword v99, off, s[20:23], 0 offset:312 ; 4-byte Folded Spill
	;; [unrolled: 1-line block ×3, first 2 shown]
	s_and_saveexec_b64 s[2:3], vcc
	s_cbranch_execz .LBB49_37
; %bb.36:
	buffer_load_dword v99, off, s[20:23], 0 offset:304 ; 4-byte Folded Reload
	buffer_load_dword v100, off, s[20:23], 0 offset:308 ; 4-byte Folded Reload
	buffer_load_dword v101, off, s[20:23], 0 offset:312 ; 4-byte Folded Reload
	buffer_load_dword v102, off, s[20:23], 0 offset:316 ; 4-byte Folded Reload
	s_waitcnt vmcnt(0)
	v_mul_f64 v[97:98], v[101:102], v[87:88]
	v_mul_f64 v[87:88], v[99:100], v[87:88]
	v_fma_f64 v[97:98], v[99:100], v[85:86], -v[97:98]
	v_fma_f64 v[87:88], v[101:102], v[85:86], v[87:88]
	ds_read2_b64 v[99:102], v125 offset0:8 offset1:9
	s_waitcnt lgkmcnt(0)
	v_mul_f64 v[85:86], v[101:102], v[87:88]
	v_fma_f64 v[85:86], v[99:100], v[97:98], -v[85:86]
	v_mul_f64 v[99:100], v[99:100], v[87:88]
	v_add_f64 v[81:82], v[81:82], -v[85:86]
	v_fma_f64 v[99:100], v[101:102], v[97:98], v[99:100]
	v_add_f64 v[83:84], v[83:84], -v[99:100]
	ds_read2_b64 v[99:102], v125 offset0:10 offset1:11
	s_waitcnt lgkmcnt(0)
	v_mul_f64 v[85:86], v[101:102], v[87:88]
	v_fma_f64 v[85:86], v[99:100], v[97:98], -v[85:86]
	v_mul_f64 v[99:100], v[99:100], v[87:88]
	v_add_f64 v[77:78], v[77:78], -v[85:86]
	v_fma_f64 v[99:100], v[101:102], v[97:98], v[99:100]
	v_add_f64 v[79:80], v[79:80], -v[99:100]
	;; [unrolled: 8-line block ×5, first 2 shown]
	ds_read2_b64 v[99:102], v125 offset0:18 offset1:19
	buffer_load_dword v53, off, s[20:23], 0 offset:16 ; 4-byte Folded Reload
	buffer_load_dword v54, off, s[20:23], 0 offset:20 ; 4-byte Folded Reload
	;; [unrolled: 1-line block ×4, first 2 shown]
	s_waitcnt lgkmcnt(0)
	v_mul_f64 v[85:86], v[101:102], v[87:88]
	v_fma_f64 v[85:86], v[99:100], v[97:98], -v[85:86]
	v_mul_f64 v[99:100], v[99:100], v[87:88]
	v_fma_f64 v[99:100], v[101:102], v[97:98], v[99:100]
	s_waitcnt vmcnt(2)
	v_add_f64 v[53:54], v[53:54], -v[85:86]
	s_waitcnt vmcnt(0)
	v_add_f64 v[55:56], v[55:56], -v[99:100]
	buffer_store_dword v53, off, s[20:23], 0 offset:16 ; 4-byte Folded Spill
	s_nop 0
	buffer_store_dword v54, off, s[20:23], 0 offset:20 ; 4-byte Folded Spill
	buffer_store_dword v55, off, s[20:23], 0 offset:24 ; 4-byte Folded Spill
	;; [unrolled: 1-line block ×3, first 2 shown]
	ds_read2_b64 v[99:102], v125 offset0:20 offset1:21
	buffer_load_dword v53, off, s[20:23], 0 ; 4-byte Folded Reload
	buffer_load_dword v54, off, s[20:23], 0 offset:4 ; 4-byte Folded Reload
	buffer_load_dword v55, off, s[20:23], 0 offset:8 ; 4-byte Folded Reload
	;; [unrolled: 1-line block ×3, first 2 shown]
	s_waitcnt lgkmcnt(0)
	v_mul_f64 v[85:86], v[101:102], v[87:88]
	v_fma_f64 v[85:86], v[99:100], v[97:98], -v[85:86]
	v_mul_f64 v[99:100], v[99:100], v[87:88]
	v_fma_f64 v[99:100], v[101:102], v[97:98], v[99:100]
	s_waitcnt vmcnt(2)
	v_add_f64 v[53:54], v[53:54], -v[85:86]
	s_waitcnt vmcnt(0)
	v_add_f64 v[55:56], v[55:56], -v[99:100]
	buffer_store_dword v53, off, s[20:23], 0 ; 4-byte Folded Spill
	s_nop 0
	buffer_store_dword v54, off, s[20:23], 0 offset:4 ; 4-byte Folded Spill
	buffer_store_dword v55, off, s[20:23], 0 offset:8 ; 4-byte Folded Spill
	;; [unrolled: 1-line block ×3, first 2 shown]
	ds_read2_b64 v[99:102], v125 offset0:22 offset1:23
	s_waitcnt lgkmcnt(0)
	v_mul_f64 v[85:86], v[101:102], v[87:88]
	v_fma_f64 v[85:86], v[99:100], v[97:98], -v[85:86]
	v_mul_f64 v[99:100], v[99:100], v[87:88]
	v_add_f64 v[49:50], v[49:50], -v[85:86]
	v_fma_f64 v[99:100], v[101:102], v[97:98], v[99:100]
	v_add_f64 v[51:52], v[51:52], -v[99:100]
	ds_read2_b64 v[99:102], v125 offset0:24 offset1:25
	s_waitcnt lgkmcnt(0)
	v_mul_f64 v[85:86], v[101:102], v[87:88]
	v_fma_f64 v[85:86], v[99:100], v[97:98], -v[85:86]
	v_mul_f64 v[99:100], v[99:100], v[87:88]
	v_add_f64 v[45:46], v[45:46], -v[85:86]
	v_fma_f64 v[99:100], v[101:102], v[97:98], v[99:100]
	v_add_f64 v[47:48], v[47:48], -v[99:100]
	;; [unrolled: 8-line block ×13, first 2 shown]
	ds_read2_b64 v[99:102], v125 offset0:48 offset1:49
	s_waitcnt lgkmcnt(0)
	v_mul_f64 v[85:86], v[101:102], v[87:88]
	v_fma_f64 v[85:86], v[99:100], v[97:98], -v[85:86]
	v_mul_f64 v[99:100], v[99:100], v[87:88]
	v_add_f64 v[73:74], v[73:74], -v[85:86]
	v_fma_f64 v[99:100], v[101:102], v[97:98], v[99:100]
	v_mov_b32_e32 v85, v97
	v_mov_b32_e32 v86, v98
	v_add_f64 v[75:76], v[75:76], -v[99:100]
.LBB49_37:
	s_or_b64 exec, exec, s[2:3]
	v_cmp_eq_u32_e32 vcc, 4, v0
	s_waitcnt vmcnt(0)
	s_barrier
	s_and_saveexec_b64 s[4:5], vcc
	s_cbranch_execz .LBB49_44
; %bb.38:
	ds_write2_b64 v127, v[81:82], v[83:84] offset1:1
	ds_write2_b64 v125, v[77:78], v[79:80] offset0:10 offset1:11
	ds_write2_b64 v125, v[69:70], v[71:72] offset0:12 offset1:13
	;; [unrolled: 1-line block ×4, first 2 shown]
	buffer_load_dword v53, off, s[20:23], 0 offset:16 ; 4-byte Folded Reload
	buffer_load_dword v54, off, s[20:23], 0 offset:20 ; 4-byte Folded Reload
	;; [unrolled: 1-line block ×4, first 2 shown]
	s_waitcnt vmcnt(0)
	ds_write2_b64 v125, v[53:54], v[55:56] offset0:18 offset1:19
	buffer_load_dword v53, off, s[20:23], 0 ; 4-byte Folded Reload
	buffer_load_dword v54, off, s[20:23], 0 offset:4 ; 4-byte Folded Reload
	buffer_load_dword v55, off, s[20:23], 0 offset:8 ; 4-byte Folded Reload
	;; [unrolled: 1-line block ×3, first 2 shown]
	s_waitcnt vmcnt(0)
	ds_write2_b64 v125, v[53:54], v[55:56] offset0:20 offset1:21
	ds_write2_b64 v125, v[49:50], v[51:52] offset0:22 offset1:23
	;; [unrolled: 1-line block ×15, first 2 shown]
	ds_read2_b64 v[97:100], v127 offset1:1
	s_waitcnt lgkmcnt(0)
	v_cmp_neq_f64_e32 vcc, 0, v[97:98]
	v_cmp_neq_f64_e64 s[2:3], 0, v[99:100]
	s_or_b64 s[2:3], vcc, s[2:3]
	s_and_b64 exec, exec, s[2:3]
	s_cbranch_execz .LBB49_44
; %bb.39:
	v_cmp_ngt_f64_e64 s[2:3], |v[97:98]|, |v[99:100]|
                                        ; implicit-def: $vgpr101_vgpr102
	s_and_saveexec_b64 s[6:7], s[2:3]
	s_xor_b64 s[2:3], exec, s[6:7]
                                        ; implicit-def: $vgpr103_vgpr104
	s_cbranch_execz .LBB49_41
; %bb.40:
	v_div_scale_f64 v[101:102], s[6:7], v[99:100], v[99:100], v[97:98]
	v_rcp_f64_e32 v[103:104], v[101:102]
	v_fma_f64 v[105:106], -v[101:102], v[103:104], 1.0
	v_fma_f64 v[103:104], v[103:104], v[105:106], v[103:104]
	v_div_scale_f64 v[105:106], vcc, v[97:98], v[99:100], v[97:98]
	v_fma_f64 v[107:108], -v[101:102], v[103:104], 1.0
	v_fma_f64 v[103:104], v[103:104], v[107:108], v[103:104]
	v_mul_f64 v[107:108], v[105:106], v[103:104]
	v_fma_f64 v[101:102], -v[101:102], v[107:108], v[105:106]
	v_div_fmas_f64 v[101:102], v[101:102], v[103:104], v[107:108]
	v_div_fixup_f64 v[101:102], v[101:102], v[99:100], v[97:98]
	v_fma_f64 v[97:98], v[97:98], v[101:102], v[99:100]
	v_div_scale_f64 v[99:100], s[6:7], v[97:98], v[97:98], 1.0
	v_div_scale_f64 v[107:108], vcc, 1.0, v[97:98], 1.0
	v_rcp_f64_e32 v[103:104], v[99:100]
	v_fma_f64 v[105:106], -v[99:100], v[103:104], 1.0
	v_fma_f64 v[103:104], v[103:104], v[105:106], v[103:104]
	v_fma_f64 v[105:106], -v[99:100], v[103:104], 1.0
	v_fma_f64 v[103:104], v[103:104], v[105:106], v[103:104]
	v_mul_f64 v[105:106], v[107:108], v[103:104]
	v_fma_f64 v[99:100], -v[99:100], v[105:106], v[107:108]
	v_div_fmas_f64 v[99:100], v[99:100], v[103:104], v[105:106]
	v_div_fixup_f64 v[103:104], v[99:100], v[97:98], 1.0
                                        ; implicit-def: $vgpr97_vgpr98
	v_mul_f64 v[101:102], v[101:102], v[103:104]
	v_xor_b32_e32 v104, 0x80000000, v104
.LBB49_41:
	s_andn2_saveexec_b64 s[2:3], s[2:3]
	s_cbranch_execz .LBB49_43
; %bb.42:
	v_div_scale_f64 v[101:102], s[6:7], v[97:98], v[97:98], v[99:100]
	v_rcp_f64_e32 v[103:104], v[101:102]
	v_fma_f64 v[105:106], -v[101:102], v[103:104], 1.0
	v_fma_f64 v[103:104], v[103:104], v[105:106], v[103:104]
	v_div_scale_f64 v[105:106], vcc, v[99:100], v[97:98], v[99:100]
	v_fma_f64 v[107:108], -v[101:102], v[103:104], 1.0
	v_fma_f64 v[103:104], v[103:104], v[107:108], v[103:104]
	v_mul_f64 v[107:108], v[105:106], v[103:104]
	v_fma_f64 v[101:102], -v[101:102], v[107:108], v[105:106]
	v_div_fmas_f64 v[101:102], v[101:102], v[103:104], v[107:108]
	v_div_fixup_f64 v[103:104], v[101:102], v[97:98], v[99:100]
	v_fma_f64 v[97:98], v[99:100], v[103:104], v[97:98]
	v_div_scale_f64 v[99:100], s[6:7], v[97:98], v[97:98], 1.0
	v_div_scale_f64 v[107:108], vcc, 1.0, v[97:98], 1.0
	v_rcp_f64_e32 v[101:102], v[99:100]
	v_fma_f64 v[105:106], -v[99:100], v[101:102], 1.0
	v_fma_f64 v[101:102], v[101:102], v[105:106], v[101:102]
	v_fma_f64 v[105:106], -v[99:100], v[101:102], 1.0
	v_fma_f64 v[101:102], v[101:102], v[105:106], v[101:102]
	v_mul_f64 v[105:106], v[107:108], v[101:102]
	v_fma_f64 v[99:100], -v[99:100], v[105:106], v[107:108]
	v_div_fmas_f64 v[99:100], v[99:100], v[101:102], v[105:106]
	v_div_fixup_f64 v[101:102], v[99:100], v[97:98], 1.0
	v_mul_f64 v[103:104], v[103:104], -v[101:102]
.LBB49_43:
	s_or_b64 exec, exec, s[2:3]
	ds_write2_b64 v127, v[101:102], v[103:104] offset1:1
.LBB49_44:
	s_or_b64 exec, exec, s[4:5]
	s_waitcnt lgkmcnt(0)
	s_barrier
	ds_read2_b64 v[97:100], v127 offset1:1
	v_cmp_lt_u32_e32 vcc, 4, v0
	s_waitcnt lgkmcnt(0)
	buffer_store_dword v97, off, s[20:23], 0 offset:320 ; 4-byte Folded Spill
	s_nop 0
	buffer_store_dword v98, off, s[20:23], 0 offset:324 ; 4-byte Folded Spill
	buffer_store_dword v99, off, s[20:23], 0 offset:328 ; 4-byte Folded Spill
	;; [unrolled: 1-line block ×3, first 2 shown]
	s_and_saveexec_b64 s[2:3], vcc
	s_cbranch_execz .LBB49_46
; %bb.45:
	buffer_load_dword v99, off, s[20:23], 0 offset:320 ; 4-byte Folded Reload
	buffer_load_dword v100, off, s[20:23], 0 offset:324 ; 4-byte Folded Reload
	;; [unrolled: 1-line block ×4, first 2 shown]
	s_waitcnt vmcnt(0)
	v_mul_f64 v[97:98], v[101:102], v[83:84]
	v_mul_f64 v[83:84], v[99:100], v[83:84]
	v_fma_f64 v[97:98], v[99:100], v[81:82], -v[97:98]
	v_fma_f64 v[83:84], v[101:102], v[81:82], v[83:84]
	ds_read2_b64 v[99:102], v125 offset0:10 offset1:11
	s_waitcnt lgkmcnt(0)
	v_mul_f64 v[81:82], v[101:102], v[83:84]
	v_fma_f64 v[81:82], v[99:100], v[97:98], -v[81:82]
	v_mul_f64 v[99:100], v[99:100], v[83:84]
	v_add_f64 v[77:78], v[77:78], -v[81:82]
	v_fma_f64 v[99:100], v[101:102], v[97:98], v[99:100]
	v_add_f64 v[79:80], v[79:80], -v[99:100]
	ds_read2_b64 v[99:102], v125 offset0:12 offset1:13
	s_waitcnt lgkmcnt(0)
	v_mul_f64 v[81:82], v[101:102], v[83:84]
	v_fma_f64 v[81:82], v[99:100], v[97:98], -v[81:82]
	v_mul_f64 v[99:100], v[99:100], v[83:84]
	v_add_f64 v[69:70], v[69:70], -v[81:82]
	v_fma_f64 v[99:100], v[101:102], v[97:98], v[99:100]
	v_add_f64 v[71:72], v[71:72], -v[99:100]
	;; [unrolled: 8-line block ×4, first 2 shown]
	ds_read2_b64 v[99:102], v125 offset0:18 offset1:19
	buffer_load_dword v53, off, s[20:23], 0 offset:16 ; 4-byte Folded Reload
	buffer_load_dword v54, off, s[20:23], 0 offset:20 ; 4-byte Folded Reload
	buffer_load_dword v55, off, s[20:23], 0 offset:24 ; 4-byte Folded Reload
	buffer_load_dword v56, off, s[20:23], 0 offset:28 ; 4-byte Folded Reload
	s_waitcnt lgkmcnt(0)
	v_mul_f64 v[81:82], v[101:102], v[83:84]
	v_fma_f64 v[81:82], v[99:100], v[97:98], -v[81:82]
	v_mul_f64 v[99:100], v[99:100], v[83:84]
	v_fma_f64 v[99:100], v[101:102], v[97:98], v[99:100]
	s_waitcnt vmcnt(2)
	v_add_f64 v[53:54], v[53:54], -v[81:82]
	s_waitcnt vmcnt(0)
	v_add_f64 v[55:56], v[55:56], -v[99:100]
	buffer_store_dword v53, off, s[20:23], 0 offset:16 ; 4-byte Folded Spill
	s_nop 0
	buffer_store_dword v54, off, s[20:23], 0 offset:20 ; 4-byte Folded Spill
	buffer_store_dword v55, off, s[20:23], 0 offset:24 ; 4-byte Folded Spill
	;; [unrolled: 1-line block ×3, first 2 shown]
	ds_read2_b64 v[99:102], v125 offset0:20 offset1:21
	buffer_load_dword v53, off, s[20:23], 0 ; 4-byte Folded Reload
	buffer_load_dword v54, off, s[20:23], 0 offset:4 ; 4-byte Folded Reload
	buffer_load_dword v55, off, s[20:23], 0 offset:8 ; 4-byte Folded Reload
	;; [unrolled: 1-line block ×3, first 2 shown]
	s_waitcnt lgkmcnt(0)
	v_mul_f64 v[81:82], v[101:102], v[83:84]
	v_fma_f64 v[81:82], v[99:100], v[97:98], -v[81:82]
	v_mul_f64 v[99:100], v[99:100], v[83:84]
	v_fma_f64 v[99:100], v[101:102], v[97:98], v[99:100]
	s_waitcnt vmcnt(2)
	v_add_f64 v[53:54], v[53:54], -v[81:82]
	s_waitcnt vmcnt(0)
	v_add_f64 v[55:56], v[55:56], -v[99:100]
	buffer_store_dword v53, off, s[20:23], 0 ; 4-byte Folded Spill
	s_nop 0
	buffer_store_dword v54, off, s[20:23], 0 offset:4 ; 4-byte Folded Spill
	buffer_store_dword v55, off, s[20:23], 0 offset:8 ; 4-byte Folded Spill
	;; [unrolled: 1-line block ×3, first 2 shown]
	ds_read2_b64 v[99:102], v125 offset0:22 offset1:23
	s_waitcnt lgkmcnt(0)
	v_mul_f64 v[81:82], v[101:102], v[83:84]
	v_fma_f64 v[81:82], v[99:100], v[97:98], -v[81:82]
	v_mul_f64 v[99:100], v[99:100], v[83:84]
	v_add_f64 v[49:50], v[49:50], -v[81:82]
	v_fma_f64 v[99:100], v[101:102], v[97:98], v[99:100]
	v_add_f64 v[51:52], v[51:52], -v[99:100]
	ds_read2_b64 v[99:102], v125 offset0:24 offset1:25
	s_waitcnt lgkmcnt(0)
	v_mul_f64 v[81:82], v[101:102], v[83:84]
	v_fma_f64 v[81:82], v[99:100], v[97:98], -v[81:82]
	v_mul_f64 v[99:100], v[99:100], v[83:84]
	v_add_f64 v[45:46], v[45:46], -v[81:82]
	v_fma_f64 v[99:100], v[101:102], v[97:98], v[99:100]
	v_add_f64 v[47:48], v[47:48], -v[99:100]
	;; [unrolled: 8-line block ×13, first 2 shown]
	ds_read2_b64 v[99:102], v125 offset0:48 offset1:49
	s_waitcnt lgkmcnt(0)
	v_mul_f64 v[81:82], v[101:102], v[83:84]
	v_fma_f64 v[81:82], v[99:100], v[97:98], -v[81:82]
	v_mul_f64 v[99:100], v[99:100], v[83:84]
	v_add_f64 v[73:74], v[73:74], -v[81:82]
	v_fma_f64 v[99:100], v[101:102], v[97:98], v[99:100]
	v_mov_b32_e32 v81, v97
	v_mov_b32_e32 v82, v98
	v_add_f64 v[75:76], v[75:76], -v[99:100]
.LBB49_46:
	s_or_b64 exec, exec, s[2:3]
	v_cmp_eq_u32_e32 vcc, 5, v0
	s_waitcnt vmcnt(0)
	s_barrier
	s_and_saveexec_b64 s[4:5], vcc
	s_cbranch_execz .LBB49_53
; %bb.47:
	ds_write2_b64 v127, v[77:78], v[79:80] offset1:1
	ds_write2_b64 v125, v[69:70], v[71:72] offset0:12 offset1:13
	ds_write2_b64 v125, v[65:66], v[67:68] offset0:14 offset1:15
	;; [unrolled: 1-line block ×3, first 2 shown]
	buffer_load_dword v53, off, s[20:23], 0 offset:16 ; 4-byte Folded Reload
	buffer_load_dword v54, off, s[20:23], 0 offset:20 ; 4-byte Folded Reload
	;; [unrolled: 1-line block ×4, first 2 shown]
	s_waitcnt vmcnt(0)
	ds_write2_b64 v125, v[53:54], v[55:56] offset0:18 offset1:19
	buffer_load_dword v53, off, s[20:23], 0 ; 4-byte Folded Reload
	buffer_load_dword v54, off, s[20:23], 0 offset:4 ; 4-byte Folded Reload
	buffer_load_dword v55, off, s[20:23], 0 offset:8 ; 4-byte Folded Reload
	;; [unrolled: 1-line block ×3, first 2 shown]
	s_waitcnt vmcnt(0)
	ds_write2_b64 v125, v[53:54], v[55:56] offset0:20 offset1:21
	ds_write2_b64 v125, v[49:50], v[51:52] offset0:22 offset1:23
	ds_write2_b64 v125, v[45:46], v[47:48] offset0:24 offset1:25
	ds_write2_b64 v125, v[41:42], v[43:44] offset0:26 offset1:27
	ds_write2_b64 v125, v[37:38], v[39:40] offset0:28 offset1:29
	ds_write2_b64 v125, v[33:34], v[35:36] offset0:30 offset1:31
	ds_write2_b64 v125, v[29:30], v[31:32] offset0:32 offset1:33
	ds_write2_b64 v125, v[25:26], v[27:28] offset0:34 offset1:35
	ds_write2_b64 v125, v[21:22], v[23:24] offset0:36 offset1:37
	ds_write2_b64 v125, v[17:18], v[19:20] offset0:38 offset1:39
	ds_write2_b64 v125, v[13:14], v[15:16] offset0:40 offset1:41
	ds_write2_b64 v125, v[9:10], v[11:12] offset0:42 offset1:43
	ds_write2_b64 v125, v[5:6], v[7:8] offset0:44 offset1:45
	ds_write2_b64 v125, v[1:2], v[3:4] offset0:46 offset1:47
	ds_write2_b64 v125, v[73:74], v[75:76] offset0:48 offset1:49
	ds_read2_b64 v[97:100], v127 offset1:1
	s_waitcnt lgkmcnt(0)
	v_cmp_neq_f64_e32 vcc, 0, v[97:98]
	v_cmp_neq_f64_e64 s[2:3], 0, v[99:100]
	s_or_b64 s[2:3], vcc, s[2:3]
	s_and_b64 exec, exec, s[2:3]
	s_cbranch_execz .LBB49_53
; %bb.48:
	v_cmp_ngt_f64_e64 s[2:3], |v[97:98]|, |v[99:100]|
                                        ; implicit-def: $vgpr101_vgpr102
	s_and_saveexec_b64 s[6:7], s[2:3]
	s_xor_b64 s[2:3], exec, s[6:7]
                                        ; implicit-def: $vgpr103_vgpr104
	s_cbranch_execz .LBB49_50
; %bb.49:
	v_div_scale_f64 v[101:102], s[6:7], v[99:100], v[99:100], v[97:98]
	v_rcp_f64_e32 v[103:104], v[101:102]
	v_fma_f64 v[105:106], -v[101:102], v[103:104], 1.0
	v_fma_f64 v[103:104], v[103:104], v[105:106], v[103:104]
	v_div_scale_f64 v[105:106], vcc, v[97:98], v[99:100], v[97:98]
	v_fma_f64 v[107:108], -v[101:102], v[103:104], 1.0
	v_fma_f64 v[103:104], v[103:104], v[107:108], v[103:104]
	v_mul_f64 v[107:108], v[105:106], v[103:104]
	v_fma_f64 v[101:102], -v[101:102], v[107:108], v[105:106]
	v_div_fmas_f64 v[101:102], v[101:102], v[103:104], v[107:108]
	v_div_fixup_f64 v[101:102], v[101:102], v[99:100], v[97:98]
	v_fma_f64 v[97:98], v[97:98], v[101:102], v[99:100]
	v_div_scale_f64 v[99:100], s[6:7], v[97:98], v[97:98], 1.0
	v_div_scale_f64 v[107:108], vcc, 1.0, v[97:98], 1.0
	v_rcp_f64_e32 v[103:104], v[99:100]
	v_fma_f64 v[105:106], -v[99:100], v[103:104], 1.0
	v_fma_f64 v[103:104], v[103:104], v[105:106], v[103:104]
	v_fma_f64 v[105:106], -v[99:100], v[103:104], 1.0
	v_fma_f64 v[103:104], v[103:104], v[105:106], v[103:104]
	v_mul_f64 v[105:106], v[107:108], v[103:104]
	v_fma_f64 v[99:100], -v[99:100], v[105:106], v[107:108]
	v_div_fmas_f64 v[99:100], v[99:100], v[103:104], v[105:106]
	v_div_fixup_f64 v[103:104], v[99:100], v[97:98], 1.0
                                        ; implicit-def: $vgpr97_vgpr98
	v_mul_f64 v[101:102], v[101:102], v[103:104]
	v_xor_b32_e32 v104, 0x80000000, v104
.LBB49_50:
	s_andn2_saveexec_b64 s[2:3], s[2:3]
	s_cbranch_execz .LBB49_52
; %bb.51:
	v_div_scale_f64 v[101:102], s[6:7], v[97:98], v[97:98], v[99:100]
	v_rcp_f64_e32 v[103:104], v[101:102]
	v_fma_f64 v[105:106], -v[101:102], v[103:104], 1.0
	v_fma_f64 v[103:104], v[103:104], v[105:106], v[103:104]
	v_div_scale_f64 v[105:106], vcc, v[99:100], v[97:98], v[99:100]
	v_fma_f64 v[107:108], -v[101:102], v[103:104], 1.0
	v_fma_f64 v[103:104], v[103:104], v[107:108], v[103:104]
	v_mul_f64 v[107:108], v[105:106], v[103:104]
	v_fma_f64 v[101:102], -v[101:102], v[107:108], v[105:106]
	v_div_fmas_f64 v[101:102], v[101:102], v[103:104], v[107:108]
	v_div_fixup_f64 v[103:104], v[101:102], v[97:98], v[99:100]
	v_fma_f64 v[97:98], v[99:100], v[103:104], v[97:98]
	v_div_scale_f64 v[99:100], s[6:7], v[97:98], v[97:98], 1.0
	v_div_scale_f64 v[107:108], vcc, 1.0, v[97:98], 1.0
	v_rcp_f64_e32 v[101:102], v[99:100]
	v_fma_f64 v[105:106], -v[99:100], v[101:102], 1.0
	v_fma_f64 v[101:102], v[101:102], v[105:106], v[101:102]
	v_fma_f64 v[105:106], -v[99:100], v[101:102], 1.0
	v_fma_f64 v[101:102], v[101:102], v[105:106], v[101:102]
	v_mul_f64 v[105:106], v[107:108], v[101:102]
	v_fma_f64 v[99:100], -v[99:100], v[105:106], v[107:108]
	v_div_fmas_f64 v[99:100], v[99:100], v[101:102], v[105:106]
	v_div_fixup_f64 v[101:102], v[99:100], v[97:98], 1.0
	v_mul_f64 v[103:104], v[103:104], -v[101:102]
.LBB49_52:
	s_or_b64 exec, exec, s[2:3]
	ds_write2_b64 v127, v[101:102], v[103:104] offset1:1
.LBB49_53:
	s_or_b64 exec, exec, s[4:5]
	s_waitcnt lgkmcnt(0)
	s_barrier
	ds_read2_b64 v[97:100], v127 offset1:1
	v_cmp_lt_u32_e32 vcc, 5, v0
	s_waitcnt lgkmcnt(0)
	buffer_store_dword v97, off, s[20:23], 0 offset:336 ; 4-byte Folded Spill
	s_nop 0
	buffer_store_dword v98, off, s[20:23], 0 offset:340 ; 4-byte Folded Spill
	buffer_store_dword v99, off, s[20:23], 0 offset:344 ; 4-byte Folded Spill
	;; [unrolled: 1-line block ×3, first 2 shown]
	s_and_saveexec_b64 s[2:3], vcc
	s_cbranch_execz .LBB49_55
; %bb.54:
	buffer_load_dword v99, off, s[20:23], 0 offset:336 ; 4-byte Folded Reload
	buffer_load_dword v100, off, s[20:23], 0 offset:340 ; 4-byte Folded Reload
	buffer_load_dword v101, off, s[20:23], 0 offset:344 ; 4-byte Folded Reload
	buffer_load_dword v102, off, s[20:23], 0 offset:348 ; 4-byte Folded Reload
	s_waitcnt vmcnt(0)
	v_mul_f64 v[97:98], v[101:102], v[79:80]
	v_mul_f64 v[79:80], v[99:100], v[79:80]
	v_fma_f64 v[97:98], v[99:100], v[77:78], -v[97:98]
	v_fma_f64 v[79:80], v[101:102], v[77:78], v[79:80]
	ds_read2_b64 v[99:102], v125 offset0:12 offset1:13
	s_waitcnt lgkmcnt(0)
	v_mul_f64 v[77:78], v[101:102], v[79:80]
	v_fma_f64 v[77:78], v[99:100], v[97:98], -v[77:78]
	v_mul_f64 v[99:100], v[99:100], v[79:80]
	v_add_f64 v[69:70], v[69:70], -v[77:78]
	v_fma_f64 v[99:100], v[101:102], v[97:98], v[99:100]
	v_add_f64 v[71:72], v[71:72], -v[99:100]
	ds_read2_b64 v[99:102], v125 offset0:14 offset1:15
	s_waitcnt lgkmcnt(0)
	v_mul_f64 v[77:78], v[101:102], v[79:80]
	v_fma_f64 v[77:78], v[99:100], v[97:98], -v[77:78]
	v_mul_f64 v[99:100], v[99:100], v[79:80]
	v_add_f64 v[65:66], v[65:66], -v[77:78]
	v_fma_f64 v[99:100], v[101:102], v[97:98], v[99:100]
	v_add_f64 v[67:68], v[67:68], -v[99:100]
	;; [unrolled: 8-line block ×3, first 2 shown]
	ds_read2_b64 v[99:102], v125 offset0:18 offset1:19
	buffer_load_dword v53, off, s[20:23], 0 offset:16 ; 4-byte Folded Reload
	buffer_load_dword v54, off, s[20:23], 0 offset:20 ; 4-byte Folded Reload
	;; [unrolled: 1-line block ×4, first 2 shown]
	s_waitcnt lgkmcnt(0)
	v_mul_f64 v[77:78], v[101:102], v[79:80]
	v_fma_f64 v[77:78], v[99:100], v[97:98], -v[77:78]
	v_mul_f64 v[99:100], v[99:100], v[79:80]
	v_fma_f64 v[99:100], v[101:102], v[97:98], v[99:100]
	s_waitcnt vmcnt(2)
	v_add_f64 v[53:54], v[53:54], -v[77:78]
	s_waitcnt vmcnt(0)
	v_add_f64 v[55:56], v[55:56], -v[99:100]
	buffer_store_dword v53, off, s[20:23], 0 offset:16 ; 4-byte Folded Spill
	s_nop 0
	buffer_store_dword v54, off, s[20:23], 0 offset:20 ; 4-byte Folded Spill
	buffer_store_dword v55, off, s[20:23], 0 offset:24 ; 4-byte Folded Spill
	;; [unrolled: 1-line block ×3, first 2 shown]
	ds_read2_b64 v[99:102], v125 offset0:20 offset1:21
	buffer_load_dword v53, off, s[20:23], 0 ; 4-byte Folded Reload
	buffer_load_dword v54, off, s[20:23], 0 offset:4 ; 4-byte Folded Reload
	buffer_load_dword v55, off, s[20:23], 0 offset:8 ; 4-byte Folded Reload
	;; [unrolled: 1-line block ×3, first 2 shown]
	s_waitcnt lgkmcnt(0)
	v_mul_f64 v[77:78], v[101:102], v[79:80]
	v_fma_f64 v[77:78], v[99:100], v[97:98], -v[77:78]
	v_mul_f64 v[99:100], v[99:100], v[79:80]
	v_fma_f64 v[99:100], v[101:102], v[97:98], v[99:100]
	s_waitcnt vmcnt(2)
	v_add_f64 v[53:54], v[53:54], -v[77:78]
	s_waitcnt vmcnt(0)
	v_add_f64 v[55:56], v[55:56], -v[99:100]
	buffer_store_dword v53, off, s[20:23], 0 ; 4-byte Folded Spill
	s_nop 0
	buffer_store_dword v54, off, s[20:23], 0 offset:4 ; 4-byte Folded Spill
	buffer_store_dword v55, off, s[20:23], 0 offset:8 ; 4-byte Folded Spill
	;; [unrolled: 1-line block ×3, first 2 shown]
	ds_read2_b64 v[99:102], v125 offset0:22 offset1:23
	s_waitcnt lgkmcnt(0)
	v_mul_f64 v[77:78], v[101:102], v[79:80]
	v_fma_f64 v[77:78], v[99:100], v[97:98], -v[77:78]
	v_mul_f64 v[99:100], v[99:100], v[79:80]
	v_add_f64 v[49:50], v[49:50], -v[77:78]
	v_fma_f64 v[99:100], v[101:102], v[97:98], v[99:100]
	v_add_f64 v[51:52], v[51:52], -v[99:100]
	ds_read2_b64 v[99:102], v125 offset0:24 offset1:25
	s_waitcnt lgkmcnt(0)
	v_mul_f64 v[77:78], v[101:102], v[79:80]
	v_fma_f64 v[77:78], v[99:100], v[97:98], -v[77:78]
	v_mul_f64 v[99:100], v[99:100], v[79:80]
	v_add_f64 v[45:46], v[45:46], -v[77:78]
	v_fma_f64 v[99:100], v[101:102], v[97:98], v[99:100]
	v_add_f64 v[47:48], v[47:48], -v[99:100]
	;; [unrolled: 8-line block ×13, first 2 shown]
	ds_read2_b64 v[99:102], v125 offset0:48 offset1:49
	s_waitcnt lgkmcnt(0)
	v_mul_f64 v[77:78], v[101:102], v[79:80]
	v_fma_f64 v[77:78], v[99:100], v[97:98], -v[77:78]
	v_mul_f64 v[99:100], v[99:100], v[79:80]
	v_add_f64 v[73:74], v[73:74], -v[77:78]
	v_fma_f64 v[99:100], v[101:102], v[97:98], v[99:100]
	v_mov_b32_e32 v77, v97
	v_mov_b32_e32 v78, v98
	v_add_f64 v[75:76], v[75:76], -v[99:100]
.LBB49_55:
	s_or_b64 exec, exec, s[2:3]
	v_cmp_eq_u32_e32 vcc, 6, v0
	s_waitcnt vmcnt(0)
	s_barrier
	s_and_saveexec_b64 s[4:5], vcc
	s_cbranch_execz .LBB49_62
; %bb.56:
	ds_write2_b64 v127, v[69:70], v[71:72] offset1:1
	ds_write2_b64 v125, v[65:66], v[67:68] offset0:14 offset1:15
	ds_write2_b64 v125, v[61:62], v[63:64] offset0:16 offset1:17
	buffer_load_dword v53, off, s[20:23], 0 offset:16 ; 4-byte Folded Reload
	buffer_load_dword v54, off, s[20:23], 0 offset:20 ; 4-byte Folded Reload
	;; [unrolled: 1-line block ×4, first 2 shown]
	s_waitcnt vmcnt(0)
	ds_write2_b64 v125, v[53:54], v[55:56] offset0:18 offset1:19
	buffer_load_dword v53, off, s[20:23], 0 ; 4-byte Folded Reload
	buffer_load_dword v54, off, s[20:23], 0 offset:4 ; 4-byte Folded Reload
	buffer_load_dword v55, off, s[20:23], 0 offset:8 ; 4-byte Folded Reload
	;; [unrolled: 1-line block ×3, first 2 shown]
	s_waitcnt vmcnt(0)
	ds_write2_b64 v125, v[53:54], v[55:56] offset0:20 offset1:21
	ds_write2_b64 v125, v[49:50], v[51:52] offset0:22 offset1:23
	;; [unrolled: 1-line block ×15, first 2 shown]
	ds_read2_b64 v[97:100], v127 offset1:1
	s_waitcnt lgkmcnt(0)
	v_cmp_neq_f64_e32 vcc, 0, v[97:98]
	v_cmp_neq_f64_e64 s[2:3], 0, v[99:100]
	s_or_b64 s[2:3], vcc, s[2:3]
	s_and_b64 exec, exec, s[2:3]
	s_cbranch_execz .LBB49_62
; %bb.57:
	v_cmp_ngt_f64_e64 s[2:3], |v[97:98]|, |v[99:100]|
                                        ; implicit-def: $vgpr101_vgpr102
	s_and_saveexec_b64 s[6:7], s[2:3]
	s_xor_b64 s[2:3], exec, s[6:7]
                                        ; implicit-def: $vgpr103_vgpr104
	s_cbranch_execz .LBB49_59
; %bb.58:
	v_div_scale_f64 v[101:102], s[6:7], v[99:100], v[99:100], v[97:98]
	v_rcp_f64_e32 v[103:104], v[101:102]
	v_fma_f64 v[105:106], -v[101:102], v[103:104], 1.0
	v_fma_f64 v[103:104], v[103:104], v[105:106], v[103:104]
	v_div_scale_f64 v[105:106], vcc, v[97:98], v[99:100], v[97:98]
	v_fma_f64 v[107:108], -v[101:102], v[103:104], 1.0
	v_fma_f64 v[103:104], v[103:104], v[107:108], v[103:104]
	v_mul_f64 v[107:108], v[105:106], v[103:104]
	v_fma_f64 v[101:102], -v[101:102], v[107:108], v[105:106]
	v_div_fmas_f64 v[101:102], v[101:102], v[103:104], v[107:108]
	v_div_fixup_f64 v[101:102], v[101:102], v[99:100], v[97:98]
	v_fma_f64 v[97:98], v[97:98], v[101:102], v[99:100]
	v_div_scale_f64 v[99:100], s[6:7], v[97:98], v[97:98], 1.0
	v_div_scale_f64 v[107:108], vcc, 1.0, v[97:98], 1.0
	v_rcp_f64_e32 v[103:104], v[99:100]
	v_fma_f64 v[105:106], -v[99:100], v[103:104], 1.0
	v_fma_f64 v[103:104], v[103:104], v[105:106], v[103:104]
	v_fma_f64 v[105:106], -v[99:100], v[103:104], 1.0
	v_fma_f64 v[103:104], v[103:104], v[105:106], v[103:104]
	v_mul_f64 v[105:106], v[107:108], v[103:104]
	v_fma_f64 v[99:100], -v[99:100], v[105:106], v[107:108]
	v_div_fmas_f64 v[99:100], v[99:100], v[103:104], v[105:106]
	v_div_fixup_f64 v[103:104], v[99:100], v[97:98], 1.0
                                        ; implicit-def: $vgpr97_vgpr98
	v_mul_f64 v[101:102], v[101:102], v[103:104]
	v_xor_b32_e32 v104, 0x80000000, v104
.LBB49_59:
	s_andn2_saveexec_b64 s[2:3], s[2:3]
	s_cbranch_execz .LBB49_61
; %bb.60:
	v_div_scale_f64 v[101:102], s[6:7], v[97:98], v[97:98], v[99:100]
	v_rcp_f64_e32 v[103:104], v[101:102]
	v_fma_f64 v[105:106], -v[101:102], v[103:104], 1.0
	v_fma_f64 v[103:104], v[103:104], v[105:106], v[103:104]
	v_div_scale_f64 v[105:106], vcc, v[99:100], v[97:98], v[99:100]
	v_fma_f64 v[107:108], -v[101:102], v[103:104], 1.0
	v_fma_f64 v[103:104], v[103:104], v[107:108], v[103:104]
	v_mul_f64 v[107:108], v[105:106], v[103:104]
	v_fma_f64 v[101:102], -v[101:102], v[107:108], v[105:106]
	v_div_fmas_f64 v[101:102], v[101:102], v[103:104], v[107:108]
	v_div_fixup_f64 v[103:104], v[101:102], v[97:98], v[99:100]
	v_fma_f64 v[97:98], v[99:100], v[103:104], v[97:98]
	v_div_scale_f64 v[99:100], s[6:7], v[97:98], v[97:98], 1.0
	v_div_scale_f64 v[107:108], vcc, 1.0, v[97:98], 1.0
	v_rcp_f64_e32 v[101:102], v[99:100]
	v_fma_f64 v[105:106], -v[99:100], v[101:102], 1.0
	v_fma_f64 v[101:102], v[101:102], v[105:106], v[101:102]
	v_fma_f64 v[105:106], -v[99:100], v[101:102], 1.0
	v_fma_f64 v[101:102], v[101:102], v[105:106], v[101:102]
	v_mul_f64 v[105:106], v[107:108], v[101:102]
	v_fma_f64 v[99:100], -v[99:100], v[105:106], v[107:108]
	v_div_fmas_f64 v[99:100], v[99:100], v[101:102], v[105:106]
	v_div_fixup_f64 v[101:102], v[99:100], v[97:98], 1.0
	v_mul_f64 v[103:104], v[103:104], -v[101:102]
.LBB49_61:
	s_or_b64 exec, exec, s[2:3]
	ds_write2_b64 v127, v[101:102], v[103:104] offset1:1
.LBB49_62:
	s_or_b64 exec, exec, s[4:5]
	s_waitcnt lgkmcnt(0)
	s_barrier
	ds_read2_b64 v[97:100], v127 offset1:1
	v_cmp_lt_u32_e32 vcc, 6, v0
	s_waitcnt lgkmcnt(0)
	buffer_store_dword v97, off, s[20:23], 0 offset:352 ; 4-byte Folded Spill
	s_nop 0
	buffer_store_dword v98, off, s[20:23], 0 offset:356 ; 4-byte Folded Spill
	buffer_store_dword v99, off, s[20:23], 0 offset:360 ; 4-byte Folded Spill
	;; [unrolled: 1-line block ×3, first 2 shown]
	s_and_saveexec_b64 s[2:3], vcc
	s_cbranch_execz .LBB49_64
; %bb.63:
	buffer_load_dword v99, off, s[20:23], 0 offset:352 ; 4-byte Folded Reload
	buffer_load_dword v100, off, s[20:23], 0 offset:356 ; 4-byte Folded Reload
	;; [unrolled: 1-line block ×4, first 2 shown]
	s_waitcnt vmcnt(0)
	v_mul_f64 v[97:98], v[101:102], v[71:72]
	v_mul_f64 v[71:72], v[99:100], v[71:72]
	v_fma_f64 v[97:98], v[99:100], v[69:70], -v[97:98]
	v_fma_f64 v[71:72], v[101:102], v[69:70], v[71:72]
	ds_read2_b64 v[99:102], v125 offset0:14 offset1:15
	s_waitcnt lgkmcnt(0)
	v_mul_f64 v[69:70], v[101:102], v[71:72]
	v_fma_f64 v[69:70], v[99:100], v[97:98], -v[69:70]
	v_mul_f64 v[99:100], v[99:100], v[71:72]
	v_add_f64 v[65:66], v[65:66], -v[69:70]
	v_fma_f64 v[99:100], v[101:102], v[97:98], v[99:100]
	v_add_f64 v[67:68], v[67:68], -v[99:100]
	ds_read2_b64 v[99:102], v125 offset0:16 offset1:17
	s_waitcnt lgkmcnt(0)
	v_mul_f64 v[69:70], v[101:102], v[71:72]
	v_fma_f64 v[69:70], v[99:100], v[97:98], -v[69:70]
	v_mul_f64 v[99:100], v[99:100], v[71:72]
	v_add_f64 v[61:62], v[61:62], -v[69:70]
	v_fma_f64 v[99:100], v[101:102], v[97:98], v[99:100]
	v_add_f64 v[63:64], v[63:64], -v[99:100]
	ds_read2_b64 v[99:102], v125 offset0:18 offset1:19
	buffer_load_dword v53, off, s[20:23], 0 offset:16 ; 4-byte Folded Reload
	buffer_load_dword v54, off, s[20:23], 0 offset:20 ; 4-byte Folded Reload
	;; [unrolled: 1-line block ×4, first 2 shown]
	s_waitcnt lgkmcnt(0)
	v_mul_f64 v[69:70], v[101:102], v[71:72]
	v_fma_f64 v[69:70], v[99:100], v[97:98], -v[69:70]
	v_mul_f64 v[99:100], v[99:100], v[71:72]
	v_fma_f64 v[99:100], v[101:102], v[97:98], v[99:100]
	s_waitcnt vmcnt(2)
	v_add_f64 v[53:54], v[53:54], -v[69:70]
	s_waitcnt vmcnt(0)
	v_add_f64 v[55:56], v[55:56], -v[99:100]
	buffer_store_dword v53, off, s[20:23], 0 offset:16 ; 4-byte Folded Spill
	s_nop 0
	buffer_store_dword v54, off, s[20:23], 0 offset:20 ; 4-byte Folded Spill
	buffer_store_dword v55, off, s[20:23], 0 offset:24 ; 4-byte Folded Spill
	;; [unrolled: 1-line block ×3, first 2 shown]
	ds_read2_b64 v[99:102], v125 offset0:20 offset1:21
	buffer_load_dword v53, off, s[20:23], 0 ; 4-byte Folded Reload
	buffer_load_dword v54, off, s[20:23], 0 offset:4 ; 4-byte Folded Reload
	buffer_load_dword v55, off, s[20:23], 0 offset:8 ; 4-byte Folded Reload
	;; [unrolled: 1-line block ×3, first 2 shown]
	s_waitcnt lgkmcnt(0)
	v_mul_f64 v[69:70], v[101:102], v[71:72]
	v_fma_f64 v[69:70], v[99:100], v[97:98], -v[69:70]
	v_mul_f64 v[99:100], v[99:100], v[71:72]
	v_fma_f64 v[99:100], v[101:102], v[97:98], v[99:100]
	s_waitcnt vmcnt(2)
	v_add_f64 v[53:54], v[53:54], -v[69:70]
	s_waitcnt vmcnt(0)
	v_add_f64 v[55:56], v[55:56], -v[99:100]
	buffer_store_dword v53, off, s[20:23], 0 ; 4-byte Folded Spill
	s_nop 0
	buffer_store_dword v54, off, s[20:23], 0 offset:4 ; 4-byte Folded Spill
	buffer_store_dword v55, off, s[20:23], 0 offset:8 ; 4-byte Folded Spill
	;; [unrolled: 1-line block ×3, first 2 shown]
	ds_read2_b64 v[99:102], v125 offset0:22 offset1:23
	s_waitcnt lgkmcnt(0)
	v_mul_f64 v[69:70], v[101:102], v[71:72]
	v_fma_f64 v[69:70], v[99:100], v[97:98], -v[69:70]
	v_mul_f64 v[99:100], v[99:100], v[71:72]
	v_add_f64 v[49:50], v[49:50], -v[69:70]
	v_fma_f64 v[99:100], v[101:102], v[97:98], v[99:100]
	v_add_f64 v[51:52], v[51:52], -v[99:100]
	ds_read2_b64 v[99:102], v125 offset0:24 offset1:25
	s_waitcnt lgkmcnt(0)
	v_mul_f64 v[69:70], v[101:102], v[71:72]
	v_fma_f64 v[69:70], v[99:100], v[97:98], -v[69:70]
	v_mul_f64 v[99:100], v[99:100], v[71:72]
	v_add_f64 v[45:46], v[45:46], -v[69:70]
	v_fma_f64 v[99:100], v[101:102], v[97:98], v[99:100]
	v_add_f64 v[47:48], v[47:48], -v[99:100]
	;; [unrolled: 8-line block ×13, first 2 shown]
	ds_read2_b64 v[99:102], v125 offset0:48 offset1:49
	s_waitcnt lgkmcnt(0)
	v_mul_f64 v[69:70], v[101:102], v[71:72]
	v_fma_f64 v[69:70], v[99:100], v[97:98], -v[69:70]
	v_mul_f64 v[99:100], v[99:100], v[71:72]
	v_add_f64 v[73:74], v[73:74], -v[69:70]
	v_fma_f64 v[99:100], v[101:102], v[97:98], v[99:100]
	v_mov_b32_e32 v69, v97
	v_mov_b32_e32 v70, v98
	v_add_f64 v[75:76], v[75:76], -v[99:100]
.LBB49_64:
	s_or_b64 exec, exec, s[2:3]
	v_cmp_eq_u32_e32 vcc, 7, v0
	s_waitcnt vmcnt(0)
	s_barrier
	s_and_saveexec_b64 s[4:5], vcc
	s_cbranch_execz .LBB49_71
; %bb.65:
	ds_write2_b64 v127, v[65:66], v[67:68] offset1:1
	ds_write2_b64 v125, v[61:62], v[63:64] offset0:16 offset1:17
	buffer_load_dword v53, off, s[20:23], 0 offset:16 ; 4-byte Folded Reload
	buffer_load_dword v54, off, s[20:23], 0 offset:20 ; 4-byte Folded Reload
	buffer_load_dword v55, off, s[20:23], 0 offset:24 ; 4-byte Folded Reload
	buffer_load_dword v56, off, s[20:23], 0 offset:28 ; 4-byte Folded Reload
	s_waitcnt vmcnt(0)
	ds_write2_b64 v125, v[53:54], v[55:56] offset0:18 offset1:19
	buffer_load_dword v53, off, s[20:23], 0 ; 4-byte Folded Reload
	buffer_load_dword v54, off, s[20:23], 0 offset:4 ; 4-byte Folded Reload
	buffer_load_dword v55, off, s[20:23], 0 offset:8 ; 4-byte Folded Reload
	;; [unrolled: 1-line block ×3, first 2 shown]
	s_waitcnt vmcnt(0)
	ds_write2_b64 v125, v[53:54], v[55:56] offset0:20 offset1:21
	ds_write2_b64 v125, v[49:50], v[51:52] offset0:22 offset1:23
	;; [unrolled: 1-line block ×15, first 2 shown]
	ds_read2_b64 v[97:100], v127 offset1:1
	s_waitcnt lgkmcnt(0)
	v_cmp_neq_f64_e32 vcc, 0, v[97:98]
	v_cmp_neq_f64_e64 s[2:3], 0, v[99:100]
	s_or_b64 s[2:3], vcc, s[2:3]
	s_and_b64 exec, exec, s[2:3]
	s_cbranch_execz .LBB49_71
; %bb.66:
	v_cmp_ngt_f64_e64 s[2:3], |v[97:98]|, |v[99:100]|
                                        ; implicit-def: $vgpr101_vgpr102
	s_and_saveexec_b64 s[6:7], s[2:3]
	s_xor_b64 s[2:3], exec, s[6:7]
                                        ; implicit-def: $vgpr103_vgpr104
	s_cbranch_execz .LBB49_68
; %bb.67:
	v_div_scale_f64 v[101:102], s[6:7], v[99:100], v[99:100], v[97:98]
	v_rcp_f64_e32 v[103:104], v[101:102]
	v_fma_f64 v[105:106], -v[101:102], v[103:104], 1.0
	v_fma_f64 v[103:104], v[103:104], v[105:106], v[103:104]
	v_div_scale_f64 v[105:106], vcc, v[97:98], v[99:100], v[97:98]
	v_fma_f64 v[107:108], -v[101:102], v[103:104], 1.0
	v_fma_f64 v[103:104], v[103:104], v[107:108], v[103:104]
	v_mul_f64 v[107:108], v[105:106], v[103:104]
	v_fma_f64 v[101:102], -v[101:102], v[107:108], v[105:106]
	v_div_fmas_f64 v[101:102], v[101:102], v[103:104], v[107:108]
	v_div_fixup_f64 v[101:102], v[101:102], v[99:100], v[97:98]
	v_fma_f64 v[97:98], v[97:98], v[101:102], v[99:100]
	v_div_scale_f64 v[99:100], s[6:7], v[97:98], v[97:98], 1.0
	v_div_scale_f64 v[107:108], vcc, 1.0, v[97:98], 1.0
	v_rcp_f64_e32 v[103:104], v[99:100]
	v_fma_f64 v[105:106], -v[99:100], v[103:104], 1.0
	v_fma_f64 v[103:104], v[103:104], v[105:106], v[103:104]
	v_fma_f64 v[105:106], -v[99:100], v[103:104], 1.0
	v_fma_f64 v[103:104], v[103:104], v[105:106], v[103:104]
	v_mul_f64 v[105:106], v[107:108], v[103:104]
	v_fma_f64 v[99:100], -v[99:100], v[105:106], v[107:108]
	v_div_fmas_f64 v[99:100], v[99:100], v[103:104], v[105:106]
	v_div_fixup_f64 v[103:104], v[99:100], v[97:98], 1.0
                                        ; implicit-def: $vgpr97_vgpr98
	v_mul_f64 v[101:102], v[101:102], v[103:104]
	v_xor_b32_e32 v104, 0x80000000, v104
.LBB49_68:
	s_andn2_saveexec_b64 s[2:3], s[2:3]
	s_cbranch_execz .LBB49_70
; %bb.69:
	v_div_scale_f64 v[101:102], s[6:7], v[97:98], v[97:98], v[99:100]
	v_rcp_f64_e32 v[103:104], v[101:102]
	v_fma_f64 v[105:106], -v[101:102], v[103:104], 1.0
	v_fma_f64 v[103:104], v[103:104], v[105:106], v[103:104]
	v_div_scale_f64 v[105:106], vcc, v[99:100], v[97:98], v[99:100]
	v_fma_f64 v[107:108], -v[101:102], v[103:104], 1.0
	v_fma_f64 v[103:104], v[103:104], v[107:108], v[103:104]
	v_mul_f64 v[107:108], v[105:106], v[103:104]
	v_fma_f64 v[101:102], -v[101:102], v[107:108], v[105:106]
	v_div_fmas_f64 v[101:102], v[101:102], v[103:104], v[107:108]
	v_div_fixup_f64 v[103:104], v[101:102], v[97:98], v[99:100]
	v_fma_f64 v[97:98], v[99:100], v[103:104], v[97:98]
	v_div_scale_f64 v[99:100], s[6:7], v[97:98], v[97:98], 1.0
	v_div_scale_f64 v[107:108], vcc, 1.0, v[97:98], 1.0
	v_rcp_f64_e32 v[101:102], v[99:100]
	v_fma_f64 v[105:106], -v[99:100], v[101:102], 1.0
	v_fma_f64 v[101:102], v[101:102], v[105:106], v[101:102]
	v_fma_f64 v[105:106], -v[99:100], v[101:102], 1.0
	v_fma_f64 v[101:102], v[101:102], v[105:106], v[101:102]
	v_mul_f64 v[105:106], v[107:108], v[101:102]
	v_fma_f64 v[99:100], -v[99:100], v[105:106], v[107:108]
	v_div_fmas_f64 v[99:100], v[99:100], v[101:102], v[105:106]
	v_div_fixup_f64 v[101:102], v[99:100], v[97:98], 1.0
	v_mul_f64 v[103:104], v[103:104], -v[101:102]
.LBB49_70:
	s_or_b64 exec, exec, s[2:3]
	ds_write2_b64 v127, v[101:102], v[103:104] offset1:1
.LBB49_71:
	s_or_b64 exec, exec, s[4:5]
	s_waitcnt lgkmcnt(0)
	s_barrier
	ds_read2_b64 v[97:100], v127 offset1:1
	v_cmp_lt_u32_e32 vcc, 7, v0
	s_waitcnt lgkmcnt(0)
	buffer_store_dword v97, off, s[20:23], 0 offset:368 ; 4-byte Folded Spill
	s_nop 0
	buffer_store_dword v98, off, s[20:23], 0 offset:372 ; 4-byte Folded Spill
	buffer_store_dword v99, off, s[20:23], 0 offset:376 ; 4-byte Folded Spill
	;; [unrolled: 1-line block ×3, first 2 shown]
	s_and_saveexec_b64 s[2:3], vcc
	s_cbranch_execz .LBB49_73
; %bb.72:
	buffer_load_dword v99, off, s[20:23], 0 offset:368 ; 4-byte Folded Reload
	buffer_load_dword v100, off, s[20:23], 0 offset:372 ; 4-byte Folded Reload
	;; [unrolled: 1-line block ×4, first 2 shown]
	s_waitcnt vmcnt(0)
	v_mul_f64 v[97:98], v[101:102], v[67:68]
	v_mul_f64 v[67:68], v[99:100], v[67:68]
	v_fma_f64 v[97:98], v[99:100], v[65:66], -v[97:98]
	v_fma_f64 v[67:68], v[101:102], v[65:66], v[67:68]
	ds_read2_b64 v[99:102], v125 offset0:16 offset1:17
	s_waitcnt lgkmcnt(0)
	v_mul_f64 v[65:66], v[101:102], v[67:68]
	v_fma_f64 v[65:66], v[99:100], v[97:98], -v[65:66]
	v_mul_f64 v[99:100], v[99:100], v[67:68]
	v_add_f64 v[61:62], v[61:62], -v[65:66]
	v_fma_f64 v[99:100], v[101:102], v[97:98], v[99:100]
	v_add_f64 v[63:64], v[63:64], -v[99:100]
	ds_read2_b64 v[99:102], v125 offset0:18 offset1:19
	buffer_load_dword v53, off, s[20:23], 0 offset:16 ; 4-byte Folded Reload
	buffer_load_dword v54, off, s[20:23], 0 offset:20 ; 4-byte Folded Reload
	;; [unrolled: 1-line block ×4, first 2 shown]
	s_waitcnt lgkmcnt(0)
	v_mul_f64 v[65:66], v[101:102], v[67:68]
	v_fma_f64 v[65:66], v[99:100], v[97:98], -v[65:66]
	v_mul_f64 v[99:100], v[99:100], v[67:68]
	v_fma_f64 v[99:100], v[101:102], v[97:98], v[99:100]
	s_waitcnt vmcnt(2)
	v_add_f64 v[53:54], v[53:54], -v[65:66]
	s_waitcnt vmcnt(0)
	v_add_f64 v[55:56], v[55:56], -v[99:100]
	buffer_store_dword v53, off, s[20:23], 0 offset:16 ; 4-byte Folded Spill
	s_nop 0
	buffer_store_dword v54, off, s[20:23], 0 offset:20 ; 4-byte Folded Spill
	buffer_store_dword v55, off, s[20:23], 0 offset:24 ; 4-byte Folded Spill
	;; [unrolled: 1-line block ×3, first 2 shown]
	ds_read2_b64 v[99:102], v125 offset0:20 offset1:21
	buffer_load_dword v53, off, s[20:23], 0 ; 4-byte Folded Reload
	buffer_load_dword v54, off, s[20:23], 0 offset:4 ; 4-byte Folded Reload
	buffer_load_dword v55, off, s[20:23], 0 offset:8 ; 4-byte Folded Reload
	;; [unrolled: 1-line block ×3, first 2 shown]
	s_waitcnt lgkmcnt(0)
	v_mul_f64 v[65:66], v[101:102], v[67:68]
	v_fma_f64 v[65:66], v[99:100], v[97:98], -v[65:66]
	v_mul_f64 v[99:100], v[99:100], v[67:68]
	v_fma_f64 v[99:100], v[101:102], v[97:98], v[99:100]
	s_waitcnt vmcnt(2)
	v_add_f64 v[53:54], v[53:54], -v[65:66]
	s_waitcnt vmcnt(0)
	v_add_f64 v[55:56], v[55:56], -v[99:100]
	buffer_store_dword v53, off, s[20:23], 0 ; 4-byte Folded Spill
	s_nop 0
	buffer_store_dword v54, off, s[20:23], 0 offset:4 ; 4-byte Folded Spill
	buffer_store_dword v55, off, s[20:23], 0 offset:8 ; 4-byte Folded Spill
	;; [unrolled: 1-line block ×3, first 2 shown]
	ds_read2_b64 v[99:102], v125 offset0:22 offset1:23
	s_waitcnt lgkmcnt(0)
	v_mul_f64 v[65:66], v[101:102], v[67:68]
	v_fma_f64 v[65:66], v[99:100], v[97:98], -v[65:66]
	v_mul_f64 v[99:100], v[99:100], v[67:68]
	v_add_f64 v[49:50], v[49:50], -v[65:66]
	v_fma_f64 v[99:100], v[101:102], v[97:98], v[99:100]
	v_add_f64 v[51:52], v[51:52], -v[99:100]
	ds_read2_b64 v[99:102], v125 offset0:24 offset1:25
	s_waitcnt lgkmcnt(0)
	v_mul_f64 v[65:66], v[101:102], v[67:68]
	v_fma_f64 v[65:66], v[99:100], v[97:98], -v[65:66]
	v_mul_f64 v[99:100], v[99:100], v[67:68]
	v_add_f64 v[45:46], v[45:46], -v[65:66]
	v_fma_f64 v[99:100], v[101:102], v[97:98], v[99:100]
	v_add_f64 v[47:48], v[47:48], -v[99:100]
	;; [unrolled: 8-line block ×13, first 2 shown]
	ds_read2_b64 v[99:102], v125 offset0:48 offset1:49
	s_waitcnt lgkmcnt(0)
	v_mul_f64 v[65:66], v[101:102], v[67:68]
	v_fma_f64 v[65:66], v[99:100], v[97:98], -v[65:66]
	v_mul_f64 v[99:100], v[99:100], v[67:68]
	v_add_f64 v[73:74], v[73:74], -v[65:66]
	v_fma_f64 v[99:100], v[101:102], v[97:98], v[99:100]
	v_mov_b32_e32 v65, v97
	v_mov_b32_e32 v66, v98
	v_add_f64 v[75:76], v[75:76], -v[99:100]
.LBB49_73:
	s_or_b64 exec, exec, s[2:3]
	v_cmp_eq_u32_e32 vcc, 8, v0
	s_waitcnt vmcnt(0)
	s_barrier
	s_and_saveexec_b64 s[4:5], vcc
	s_cbranch_execz .LBB49_80
; %bb.74:
	ds_write2_b64 v127, v[61:62], v[63:64] offset1:1
	buffer_load_dword v53, off, s[20:23], 0 offset:16 ; 4-byte Folded Reload
	buffer_load_dword v54, off, s[20:23], 0 offset:20 ; 4-byte Folded Reload
	;; [unrolled: 1-line block ×4, first 2 shown]
	s_waitcnt vmcnt(0)
	ds_write2_b64 v125, v[53:54], v[55:56] offset0:18 offset1:19
	buffer_load_dword v53, off, s[20:23], 0 ; 4-byte Folded Reload
	buffer_load_dword v54, off, s[20:23], 0 offset:4 ; 4-byte Folded Reload
	buffer_load_dword v55, off, s[20:23], 0 offset:8 ; 4-byte Folded Reload
	;; [unrolled: 1-line block ×3, first 2 shown]
	s_waitcnt vmcnt(0)
	ds_write2_b64 v125, v[53:54], v[55:56] offset0:20 offset1:21
	ds_write2_b64 v125, v[49:50], v[51:52] offset0:22 offset1:23
	;; [unrolled: 1-line block ×15, first 2 shown]
	ds_read2_b64 v[97:100], v127 offset1:1
	s_waitcnt lgkmcnt(0)
	v_cmp_neq_f64_e32 vcc, 0, v[97:98]
	v_cmp_neq_f64_e64 s[2:3], 0, v[99:100]
	s_or_b64 s[2:3], vcc, s[2:3]
	s_and_b64 exec, exec, s[2:3]
	s_cbranch_execz .LBB49_80
; %bb.75:
	v_cmp_ngt_f64_e64 s[2:3], |v[97:98]|, |v[99:100]|
                                        ; implicit-def: $vgpr101_vgpr102
	s_and_saveexec_b64 s[6:7], s[2:3]
	s_xor_b64 s[2:3], exec, s[6:7]
                                        ; implicit-def: $vgpr103_vgpr104
	s_cbranch_execz .LBB49_77
; %bb.76:
	v_div_scale_f64 v[101:102], s[6:7], v[99:100], v[99:100], v[97:98]
	v_rcp_f64_e32 v[103:104], v[101:102]
	v_fma_f64 v[105:106], -v[101:102], v[103:104], 1.0
	v_fma_f64 v[103:104], v[103:104], v[105:106], v[103:104]
	v_div_scale_f64 v[105:106], vcc, v[97:98], v[99:100], v[97:98]
	v_fma_f64 v[107:108], -v[101:102], v[103:104], 1.0
	v_fma_f64 v[103:104], v[103:104], v[107:108], v[103:104]
	v_mul_f64 v[107:108], v[105:106], v[103:104]
	v_fma_f64 v[101:102], -v[101:102], v[107:108], v[105:106]
	v_div_fmas_f64 v[101:102], v[101:102], v[103:104], v[107:108]
	v_div_fixup_f64 v[101:102], v[101:102], v[99:100], v[97:98]
	v_fma_f64 v[97:98], v[97:98], v[101:102], v[99:100]
	v_div_scale_f64 v[99:100], s[6:7], v[97:98], v[97:98], 1.0
	v_div_scale_f64 v[107:108], vcc, 1.0, v[97:98], 1.0
	v_rcp_f64_e32 v[103:104], v[99:100]
	v_fma_f64 v[105:106], -v[99:100], v[103:104], 1.0
	v_fma_f64 v[103:104], v[103:104], v[105:106], v[103:104]
	v_fma_f64 v[105:106], -v[99:100], v[103:104], 1.0
	v_fma_f64 v[103:104], v[103:104], v[105:106], v[103:104]
	v_mul_f64 v[105:106], v[107:108], v[103:104]
	v_fma_f64 v[99:100], -v[99:100], v[105:106], v[107:108]
	v_div_fmas_f64 v[99:100], v[99:100], v[103:104], v[105:106]
	v_div_fixup_f64 v[103:104], v[99:100], v[97:98], 1.0
                                        ; implicit-def: $vgpr97_vgpr98
	v_mul_f64 v[101:102], v[101:102], v[103:104]
	v_xor_b32_e32 v104, 0x80000000, v104
.LBB49_77:
	s_andn2_saveexec_b64 s[2:3], s[2:3]
	s_cbranch_execz .LBB49_79
; %bb.78:
	v_div_scale_f64 v[101:102], s[6:7], v[97:98], v[97:98], v[99:100]
	v_rcp_f64_e32 v[103:104], v[101:102]
	v_fma_f64 v[105:106], -v[101:102], v[103:104], 1.0
	v_fma_f64 v[103:104], v[103:104], v[105:106], v[103:104]
	v_div_scale_f64 v[105:106], vcc, v[99:100], v[97:98], v[99:100]
	v_fma_f64 v[107:108], -v[101:102], v[103:104], 1.0
	v_fma_f64 v[103:104], v[103:104], v[107:108], v[103:104]
	v_mul_f64 v[107:108], v[105:106], v[103:104]
	v_fma_f64 v[101:102], -v[101:102], v[107:108], v[105:106]
	v_div_fmas_f64 v[101:102], v[101:102], v[103:104], v[107:108]
	v_div_fixup_f64 v[103:104], v[101:102], v[97:98], v[99:100]
	v_fma_f64 v[97:98], v[99:100], v[103:104], v[97:98]
	v_div_scale_f64 v[99:100], s[6:7], v[97:98], v[97:98], 1.0
	v_div_scale_f64 v[107:108], vcc, 1.0, v[97:98], 1.0
	v_rcp_f64_e32 v[101:102], v[99:100]
	v_fma_f64 v[105:106], -v[99:100], v[101:102], 1.0
	v_fma_f64 v[101:102], v[101:102], v[105:106], v[101:102]
	v_fma_f64 v[105:106], -v[99:100], v[101:102], 1.0
	v_fma_f64 v[101:102], v[101:102], v[105:106], v[101:102]
	v_mul_f64 v[105:106], v[107:108], v[101:102]
	v_fma_f64 v[99:100], -v[99:100], v[105:106], v[107:108]
	v_div_fmas_f64 v[99:100], v[99:100], v[101:102], v[105:106]
	v_div_fixup_f64 v[101:102], v[99:100], v[97:98], 1.0
	v_mul_f64 v[103:104], v[103:104], -v[101:102]
.LBB49_79:
	s_or_b64 exec, exec, s[2:3]
	ds_write2_b64 v127, v[101:102], v[103:104] offset1:1
.LBB49_80:
	s_or_b64 exec, exec, s[4:5]
	s_waitcnt lgkmcnt(0)
	s_barrier
	ds_read2_b64 v[97:100], v127 offset1:1
	v_cmp_lt_u32_e32 vcc, 8, v0
	s_waitcnt lgkmcnt(0)
	buffer_store_dword v97, off, s[20:23], 0 offset:384 ; 4-byte Folded Spill
	s_nop 0
	buffer_store_dword v98, off, s[20:23], 0 offset:388 ; 4-byte Folded Spill
	buffer_store_dword v99, off, s[20:23], 0 offset:392 ; 4-byte Folded Spill
	;; [unrolled: 1-line block ×3, first 2 shown]
	s_and_saveexec_b64 s[2:3], vcc
	s_cbranch_execz .LBB49_82
; %bb.81:
	buffer_load_dword v99, off, s[20:23], 0 offset:384 ; 4-byte Folded Reload
	buffer_load_dword v100, off, s[20:23], 0 offset:388 ; 4-byte Folded Reload
	;; [unrolled: 1-line block ×4, first 2 shown]
	s_waitcnt vmcnt(2)
	v_mul_f64 v[97:98], v[99:100], v[63:64]
	s_waitcnt vmcnt(0)
	v_mul_f64 v[63:64], v[101:102], v[63:64]
	v_fma_f64 v[97:98], v[101:102], v[61:62], v[97:98]
	v_fma_f64 v[61:62], v[99:100], v[61:62], -v[63:64]
	ds_read2_b64 v[99:102], v125 offset0:18 offset1:19
	buffer_load_dword v53, off, s[20:23], 0 offset:16 ; 4-byte Folded Reload
	buffer_load_dword v54, off, s[20:23], 0 offset:20 ; 4-byte Folded Reload
	;; [unrolled: 1-line block ×4, first 2 shown]
	s_waitcnt lgkmcnt(0)
	v_mul_f64 v[63:64], v[101:102], v[97:98]
	v_fma_f64 v[63:64], v[99:100], v[61:62], -v[63:64]
	v_mul_f64 v[99:100], v[99:100], v[97:98]
	v_fma_f64 v[99:100], v[101:102], v[61:62], v[99:100]
	s_waitcnt vmcnt(2)
	v_add_f64 v[53:54], v[53:54], -v[63:64]
	s_waitcnt vmcnt(0)
	v_add_f64 v[55:56], v[55:56], -v[99:100]
	buffer_store_dword v53, off, s[20:23], 0 offset:16 ; 4-byte Folded Spill
	s_nop 0
	buffer_store_dword v54, off, s[20:23], 0 offset:20 ; 4-byte Folded Spill
	buffer_store_dword v55, off, s[20:23], 0 offset:24 ; 4-byte Folded Spill
	;; [unrolled: 1-line block ×3, first 2 shown]
	ds_read2_b64 v[99:102], v125 offset0:20 offset1:21
	buffer_load_dword v53, off, s[20:23], 0 ; 4-byte Folded Reload
	buffer_load_dword v54, off, s[20:23], 0 offset:4 ; 4-byte Folded Reload
	buffer_load_dword v55, off, s[20:23], 0 offset:8 ; 4-byte Folded Reload
	;; [unrolled: 1-line block ×3, first 2 shown]
	s_waitcnt lgkmcnt(0)
	v_mul_f64 v[63:64], v[101:102], v[97:98]
	v_fma_f64 v[63:64], v[99:100], v[61:62], -v[63:64]
	v_mul_f64 v[99:100], v[99:100], v[97:98]
	v_fma_f64 v[99:100], v[101:102], v[61:62], v[99:100]
	s_waitcnt vmcnt(2)
	v_add_f64 v[53:54], v[53:54], -v[63:64]
	s_waitcnt vmcnt(0)
	v_add_f64 v[55:56], v[55:56], -v[99:100]
	buffer_store_dword v53, off, s[20:23], 0 ; 4-byte Folded Spill
	s_nop 0
	buffer_store_dword v54, off, s[20:23], 0 offset:4 ; 4-byte Folded Spill
	buffer_store_dword v55, off, s[20:23], 0 offset:8 ; 4-byte Folded Spill
	;; [unrolled: 1-line block ×3, first 2 shown]
	ds_read2_b64 v[99:102], v125 offset0:22 offset1:23
	s_waitcnt lgkmcnt(0)
	v_mul_f64 v[63:64], v[101:102], v[97:98]
	v_fma_f64 v[63:64], v[99:100], v[61:62], -v[63:64]
	v_mul_f64 v[99:100], v[99:100], v[97:98]
	v_add_f64 v[49:50], v[49:50], -v[63:64]
	v_fma_f64 v[99:100], v[101:102], v[61:62], v[99:100]
	v_add_f64 v[51:52], v[51:52], -v[99:100]
	ds_read2_b64 v[99:102], v125 offset0:24 offset1:25
	s_waitcnt lgkmcnt(0)
	v_mul_f64 v[63:64], v[101:102], v[97:98]
	v_fma_f64 v[63:64], v[99:100], v[61:62], -v[63:64]
	v_mul_f64 v[99:100], v[99:100], v[97:98]
	v_add_f64 v[45:46], v[45:46], -v[63:64]
	v_fma_f64 v[99:100], v[101:102], v[61:62], v[99:100]
	v_add_f64 v[47:48], v[47:48], -v[99:100]
	;; [unrolled: 8-line block ×13, first 2 shown]
	ds_read2_b64 v[99:102], v125 offset0:48 offset1:49
	s_waitcnt lgkmcnt(0)
	v_mul_f64 v[63:64], v[101:102], v[97:98]
	v_fma_f64 v[63:64], v[99:100], v[61:62], -v[63:64]
	v_mul_f64 v[99:100], v[99:100], v[97:98]
	v_add_f64 v[73:74], v[73:74], -v[63:64]
	v_fma_f64 v[99:100], v[101:102], v[61:62], v[99:100]
	v_mov_b32_e32 v63, v97
	v_mov_b32_e32 v64, v98
	v_add_f64 v[75:76], v[75:76], -v[99:100]
.LBB49_82:
	s_or_b64 exec, exec, s[2:3]
	v_cmp_eq_u32_e32 vcc, 9, v0
	s_waitcnt vmcnt(0)
	s_barrier
	s_and_saveexec_b64 s[4:5], vcc
	s_cbranch_execz .LBB49_89
; %bb.83:
	buffer_load_dword v53, off, s[20:23], 0 offset:16 ; 4-byte Folded Reload
	buffer_load_dword v54, off, s[20:23], 0 offset:20 ; 4-byte Folded Reload
	;; [unrolled: 1-line block ×4, first 2 shown]
	s_waitcnt vmcnt(0)
	ds_write2_b64 v127, v[53:54], v[55:56] offset1:1
	buffer_load_dword v53, off, s[20:23], 0 ; 4-byte Folded Reload
	buffer_load_dword v54, off, s[20:23], 0 offset:4 ; 4-byte Folded Reload
	buffer_load_dword v55, off, s[20:23], 0 offset:8 ; 4-byte Folded Reload
	buffer_load_dword v56, off, s[20:23], 0 offset:12 ; 4-byte Folded Reload
	s_waitcnt vmcnt(0)
	ds_write2_b64 v125, v[53:54], v[55:56] offset0:20 offset1:21
	ds_write2_b64 v125, v[49:50], v[51:52] offset0:22 offset1:23
	;; [unrolled: 1-line block ×15, first 2 shown]
	ds_read2_b64 v[97:100], v127 offset1:1
	s_waitcnt lgkmcnt(0)
	v_cmp_neq_f64_e32 vcc, 0, v[97:98]
	v_cmp_neq_f64_e64 s[2:3], 0, v[99:100]
	s_or_b64 s[2:3], vcc, s[2:3]
	s_and_b64 exec, exec, s[2:3]
	s_cbranch_execz .LBB49_89
; %bb.84:
	v_cmp_ngt_f64_e64 s[2:3], |v[97:98]|, |v[99:100]|
                                        ; implicit-def: $vgpr101_vgpr102
	s_and_saveexec_b64 s[6:7], s[2:3]
	s_xor_b64 s[2:3], exec, s[6:7]
                                        ; implicit-def: $vgpr103_vgpr104
	s_cbranch_execz .LBB49_86
; %bb.85:
	v_div_scale_f64 v[101:102], s[6:7], v[99:100], v[99:100], v[97:98]
	v_rcp_f64_e32 v[103:104], v[101:102]
	v_fma_f64 v[105:106], -v[101:102], v[103:104], 1.0
	v_fma_f64 v[103:104], v[103:104], v[105:106], v[103:104]
	v_div_scale_f64 v[105:106], vcc, v[97:98], v[99:100], v[97:98]
	v_fma_f64 v[107:108], -v[101:102], v[103:104], 1.0
	v_fma_f64 v[103:104], v[103:104], v[107:108], v[103:104]
	v_mul_f64 v[107:108], v[105:106], v[103:104]
	v_fma_f64 v[101:102], -v[101:102], v[107:108], v[105:106]
	v_div_fmas_f64 v[101:102], v[101:102], v[103:104], v[107:108]
	v_div_fixup_f64 v[101:102], v[101:102], v[99:100], v[97:98]
	v_fma_f64 v[97:98], v[97:98], v[101:102], v[99:100]
	v_div_scale_f64 v[99:100], s[6:7], v[97:98], v[97:98], 1.0
	v_div_scale_f64 v[107:108], vcc, 1.0, v[97:98], 1.0
	v_rcp_f64_e32 v[103:104], v[99:100]
	v_fma_f64 v[105:106], -v[99:100], v[103:104], 1.0
	v_fma_f64 v[103:104], v[103:104], v[105:106], v[103:104]
	v_fma_f64 v[105:106], -v[99:100], v[103:104], 1.0
	v_fma_f64 v[103:104], v[103:104], v[105:106], v[103:104]
	v_mul_f64 v[105:106], v[107:108], v[103:104]
	v_fma_f64 v[99:100], -v[99:100], v[105:106], v[107:108]
	v_div_fmas_f64 v[99:100], v[99:100], v[103:104], v[105:106]
	v_div_fixup_f64 v[103:104], v[99:100], v[97:98], 1.0
                                        ; implicit-def: $vgpr97_vgpr98
	v_mul_f64 v[101:102], v[101:102], v[103:104]
	v_xor_b32_e32 v104, 0x80000000, v104
.LBB49_86:
	s_andn2_saveexec_b64 s[2:3], s[2:3]
	s_cbranch_execz .LBB49_88
; %bb.87:
	v_div_scale_f64 v[101:102], s[6:7], v[97:98], v[97:98], v[99:100]
	v_rcp_f64_e32 v[103:104], v[101:102]
	v_fma_f64 v[105:106], -v[101:102], v[103:104], 1.0
	v_fma_f64 v[103:104], v[103:104], v[105:106], v[103:104]
	v_div_scale_f64 v[105:106], vcc, v[99:100], v[97:98], v[99:100]
	v_fma_f64 v[107:108], -v[101:102], v[103:104], 1.0
	v_fma_f64 v[103:104], v[103:104], v[107:108], v[103:104]
	v_mul_f64 v[107:108], v[105:106], v[103:104]
	v_fma_f64 v[101:102], -v[101:102], v[107:108], v[105:106]
	v_div_fmas_f64 v[101:102], v[101:102], v[103:104], v[107:108]
	v_div_fixup_f64 v[103:104], v[101:102], v[97:98], v[99:100]
	v_fma_f64 v[97:98], v[99:100], v[103:104], v[97:98]
	v_div_scale_f64 v[99:100], s[6:7], v[97:98], v[97:98], 1.0
	v_div_scale_f64 v[107:108], vcc, 1.0, v[97:98], 1.0
	v_rcp_f64_e32 v[101:102], v[99:100]
	v_fma_f64 v[105:106], -v[99:100], v[101:102], 1.0
	v_fma_f64 v[101:102], v[101:102], v[105:106], v[101:102]
	v_fma_f64 v[105:106], -v[99:100], v[101:102], 1.0
	v_fma_f64 v[101:102], v[101:102], v[105:106], v[101:102]
	v_mul_f64 v[105:106], v[107:108], v[101:102]
	v_fma_f64 v[99:100], -v[99:100], v[105:106], v[107:108]
	v_div_fmas_f64 v[99:100], v[99:100], v[101:102], v[105:106]
	v_div_fixup_f64 v[101:102], v[99:100], v[97:98], 1.0
	v_mul_f64 v[103:104], v[103:104], -v[101:102]
.LBB49_88:
	s_or_b64 exec, exec, s[2:3]
	ds_write2_b64 v127, v[101:102], v[103:104] offset1:1
.LBB49_89:
	s_or_b64 exec, exec, s[4:5]
	s_waitcnt lgkmcnt(0)
	s_barrier
	ds_read2_b64 v[97:100], v127 offset1:1
	v_cmp_lt_u32_e32 vcc, 9, v0
	s_waitcnt lgkmcnt(0)
	buffer_store_dword v97, off, s[20:23], 0 offset:400 ; 4-byte Folded Spill
	s_nop 0
	buffer_store_dword v98, off, s[20:23], 0 offset:404 ; 4-byte Folded Spill
	buffer_store_dword v99, off, s[20:23], 0 offset:408 ; 4-byte Folded Spill
	buffer_store_dword v100, off, s[20:23], 0 offset:412 ; 4-byte Folded Spill
	s_and_saveexec_b64 s[2:3], vcc
	s_cbranch_execz .LBB49_91
; %bb.90:
	buffer_load_dword v99, off, s[20:23], 0 offset:400 ; 4-byte Folded Reload
	buffer_load_dword v100, off, s[20:23], 0 offset:404 ; 4-byte Folded Reload
	;; [unrolled: 1-line block ×8, first 2 shown]
	s_waitcnt vmcnt(0)
	v_mul_f64 v[97:98], v[99:100], v[59:60]
	v_mul_f64 v[59:60], v[101:102], v[59:60]
	v_fma_f64 v[97:98], v[101:102], v[57:58], v[97:98]
	v_fma_f64 v[57:58], v[99:100], v[57:58], -v[59:60]
	ds_read2_b64 v[99:102], v125 offset0:20 offset1:21
	buffer_load_dword v53, off, s[20:23], 0 ; 4-byte Folded Reload
	buffer_load_dword v54, off, s[20:23], 0 offset:4 ; 4-byte Folded Reload
	buffer_load_dword v55, off, s[20:23], 0 offset:8 ; 4-byte Folded Reload
	;; [unrolled: 1-line block ×3, first 2 shown]
	s_waitcnt lgkmcnt(0)
	v_mul_f64 v[59:60], v[101:102], v[97:98]
	v_fma_f64 v[59:60], v[99:100], v[57:58], -v[59:60]
	v_mul_f64 v[99:100], v[99:100], v[97:98]
	v_fma_f64 v[99:100], v[101:102], v[57:58], v[99:100]
	s_waitcnt vmcnt(2)
	v_add_f64 v[53:54], v[53:54], -v[59:60]
	s_waitcnt vmcnt(0)
	v_add_f64 v[55:56], v[55:56], -v[99:100]
	buffer_store_dword v53, off, s[20:23], 0 ; 4-byte Folded Spill
	s_nop 0
	buffer_store_dword v54, off, s[20:23], 0 offset:4 ; 4-byte Folded Spill
	buffer_store_dword v55, off, s[20:23], 0 offset:8 ; 4-byte Folded Spill
	;; [unrolled: 1-line block ×3, first 2 shown]
	ds_read2_b64 v[99:102], v125 offset0:22 offset1:23
	s_waitcnt lgkmcnt(0)
	v_mul_f64 v[59:60], v[101:102], v[97:98]
	v_fma_f64 v[59:60], v[99:100], v[57:58], -v[59:60]
	v_mul_f64 v[99:100], v[99:100], v[97:98]
	v_add_f64 v[49:50], v[49:50], -v[59:60]
	v_fma_f64 v[99:100], v[101:102], v[57:58], v[99:100]
	v_add_f64 v[51:52], v[51:52], -v[99:100]
	ds_read2_b64 v[99:102], v125 offset0:24 offset1:25
	s_waitcnt lgkmcnt(0)
	v_mul_f64 v[59:60], v[101:102], v[97:98]
	v_fma_f64 v[59:60], v[99:100], v[57:58], -v[59:60]
	v_mul_f64 v[99:100], v[99:100], v[97:98]
	v_add_f64 v[45:46], v[45:46], -v[59:60]
	v_fma_f64 v[99:100], v[101:102], v[57:58], v[99:100]
	v_add_f64 v[47:48], v[47:48], -v[99:100]
	;; [unrolled: 8-line block ×13, first 2 shown]
	ds_read2_b64 v[99:102], v125 offset0:48 offset1:49
	s_waitcnt lgkmcnt(0)
	v_mul_f64 v[59:60], v[101:102], v[97:98]
	v_fma_f64 v[59:60], v[99:100], v[57:58], -v[59:60]
	v_mul_f64 v[99:100], v[99:100], v[97:98]
	v_add_f64 v[73:74], v[73:74], -v[59:60]
	v_fma_f64 v[99:100], v[101:102], v[57:58], v[99:100]
	v_mov_b32_e32 v59, v97
	v_mov_b32_e32 v60, v98
	buffer_store_dword v57, off, s[20:23], 0 offset:16 ; 4-byte Folded Spill
	s_nop 0
	buffer_store_dword v58, off, s[20:23], 0 offset:20 ; 4-byte Folded Spill
	buffer_store_dword v59, off, s[20:23], 0 offset:24 ; 4-byte Folded Spill
	;; [unrolled: 1-line block ×3, first 2 shown]
	v_add_f64 v[75:76], v[75:76], -v[99:100]
.LBB49_91:
	s_or_b64 exec, exec, s[2:3]
	v_cmp_eq_u32_e32 vcc, 10, v0
	s_waitcnt vmcnt(0)
	s_barrier
	s_and_saveexec_b64 s[4:5], vcc
	s_cbranch_execz .LBB49_98
; %bb.92:
	buffer_load_dword v53, off, s[20:23], 0 ; 4-byte Folded Reload
	buffer_load_dword v54, off, s[20:23], 0 offset:4 ; 4-byte Folded Reload
	buffer_load_dword v55, off, s[20:23], 0 offset:8 ; 4-byte Folded Reload
	;; [unrolled: 1-line block ×3, first 2 shown]
	s_waitcnt vmcnt(0)
	ds_write2_b64 v127, v[53:54], v[55:56] offset1:1
	ds_write2_b64 v125, v[49:50], v[51:52] offset0:22 offset1:23
	ds_write2_b64 v125, v[45:46], v[47:48] offset0:24 offset1:25
	;; [unrolled: 1-line block ×14, first 2 shown]
	ds_read2_b64 v[97:100], v127 offset1:1
	s_waitcnt lgkmcnt(0)
	v_cmp_neq_f64_e32 vcc, 0, v[97:98]
	v_cmp_neq_f64_e64 s[2:3], 0, v[99:100]
	s_or_b64 s[2:3], vcc, s[2:3]
	s_and_b64 exec, exec, s[2:3]
	s_cbranch_execz .LBB49_98
; %bb.93:
	v_cmp_ngt_f64_e64 s[2:3], |v[97:98]|, |v[99:100]|
                                        ; implicit-def: $vgpr101_vgpr102
	s_and_saveexec_b64 s[6:7], s[2:3]
	s_xor_b64 s[2:3], exec, s[6:7]
                                        ; implicit-def: $vgpr103_vgpr104
	s_cbranch_execz .LBB49_95
; %bb.94:
	v_div_scale_f64 v[101:102], s[6:7], v[99:100], v[99:100], v[97:98]
	v_rcp_f64_e32 v[103:104], v[101:102]
	v_fma_f64 v[105:106], -v[101:102], v[103:104], 1.0
	v_fma_f64 v[103:104], v[103:104], v[105:106], v[103:104]
	v_div_scale_f64 v[105:106], vcc, v[97:98], v[99:100], v[97:98]
	v_fma_f64 v[107:108], -v[101:102], v[103:104], 1.0
	v_fma_f64 v[103:104], v[103:104], v[107:108], v[103:104]
	v_mul_f64 v[107:108], v[105:106], v[103:104]
	v_fma_f64 v[101:102], -v[101:102], v[107:108], v[105:106]
	v_div_fmas_f64 v[101:102], v[101:102], v[103:104], v[107:108]
	v_div_fixup_f64 v[101:102], v[101:102], v[99:100], v[97:98]
	v_fma_f64 v[97:98], v[97:98], v[101:102], v[99:100]
	v_div_scale_f64 v[99:100], s[6:7], v[97:98], v[97:98], 1.0
	v_div_scale_f64 v[107:108], vcc, 1.0, v[97:98], 1.0
	v_rcp_f64_e32 v[103:104], v[99:100]
	v_fma_f64 v[105:106], -v[99:100], v[103:104], 1.0
	v_fma_f64 v[103:104], v[103:104], v[105:106], v[103:104]
	v_fma_f64 v[105:106], -v[99:100], v[103:104], 1.0
	v_fma_f64 v[103:104], v[103:104], v[105:106], v[103:104]
	v_mul_f64 v[105:106], v[107:108], v[103:104]
	v_fma_f64 v[99:100], -v[99:100], v[105:106], v[107:108]
	v_div_fmas_f64 v[99:100], v[99:100], v[103:104], v[105:106]
	v_div_fixup_f64 v[103:104], v[99:100], v[97:98], 1.0
                                        ; implicit-def: $vgpr97_vgpr98
	v_mul_f64 v[101:102], v[101:102], v[103:104]
	v_xor_b32_e32 v104, 0x80000000, v104
.LBB49_95:
	s_andn2_saveexec_b64 s[2:3], s[2:3]
	s_cbranch_execz .LBB49_97
; %bb.96:
	v_div_scale_f64 v[101:102], s[6:7], v[97:98], v[97:98], v[99:100]
	v_rcp_f64_e32 v[103:104], v[101:102]
	v_fma_f64 v[105:106], -v[101:102], v[103:104], 1.0
	v_fma_f64 v[103:104], v[103:104], v[105:106], v[103:104]
	v_div_scale_f64 v[105:106], vcc, v[99:100], v[97:98], v[99:100]
	v_fma_f64 v[107:108], -v[101:102], v[103:104], 1.0
	v_fma_f64 v[103:104], v[103:104], v[107:108], v[103:104]
	v_mul_f64 v[107:108], v[105:106], v[103:104]
	v_fma_f64 v[101:102], -v[101:102], v[107:108], v[105:106]
	v_div_fmas_f64 v[101:102], v[101:102], v[103:104], v[107:108]
	v_div_fixup_f64 v[103:104], v[101:102], v[97:98], v[99:100]
	v_fma_f64 v[97:98], v[99:100], v[103:104], v[97:98]
	v_div_scale_f64 v[99:100], s[6:7], v[97:98], v[97:98], 1.0
	v_div_scale_f64 v[107:108], vcc, 1.0, v[97:98], 1.0
	v_rcp_f64_e32 v[101:102], v[99:100]
	v_fma_f64 v[105:106], -v[99:100], v[101:102], 1.0
	v_fma_f64 v[101:102], v[101:102], v[105:106], v[101:102]
	v_fma_f64 v[105:106], -v[99:100], v[101:102], 1.0
	v_fma_f64 v[101:102], v[101:102], v[105:106], v[101:102]
	v_mul_f64 v[105:106], v[107:108], v[101:102]
	v_fma_f64 v[99:100], -v[99:100], v[105:106], v[107:108]
	v_div_fmas_f64 v[99:100], v[99:100], v[101:102], v[105:106]
	v_div_fixup_f64 v[101:102], v[99:100], v[97:98], 1.0
	v_mul_f64 v[103:104], v[103:104], -v[101:102]
.LBB49_97:
	s_or_b64 exec, exec, s[2:3]
	ds_write2_b64 v127, v[101:102], v[103:104] offset1:1
.LBB49_98:
	s_or_b64 exec, exec, s[4:5]
	s_waitcnt lgkmcnt(0)
	s_barrier
	ds_read2_b64 v[97:100], v127 offset1:1
	v_cmp_lt_u32_e32 vcc, 10, v0
	s_waitcnt lgkmcnt(0)
	buffer_store_dword v97, off, s[20:23], 0 offset:416 ; 4-byte Folded Spill
	s_nop 0
	buffer_store_dword v98, off, s[20:23], 0 offset:420 ; 4-byte Folded Spill
	buffer_store_dword v99, off, s[20:23], 0 offset:424 ; 4-byte Folded Spill
	;; [unrolled: 1-line block ×3, first 2 shown]
	s_and_saveexec_b64 s[2:3], vcc
	s_cbranch_execz .LBB49_100
; %bb.99:
	buffer_load_dword v99, off, s[20:23], 0 offset:416 ; 4-byte Folded Reload
	buffer_load_dword v100, off, s[20:23], 0 offset:420 ; 4-byte Folded Reload
	;; [unrolled: 1-line block ×4, first 2 shown]
	buffer_load_dword v53, off, s[20:23], 0 ; 4-byte Folded Reload
	buffer_load_dword v54, off, s[20:23], 0 offset:4 ; 4-byte Folded Reload
	buffer_load_dword v55, off, s[20:23], 0 offset:8 ; 4-byte Folded Reload
	;; [unrolled: 1-line block ×3, first 2 shown]
	s_waitcnt vmcnt(0)
	v_mul_f64 v[97:98], v[99:100], v[55:56]
	v_mul_f64 v[55:56], v[101:102], v[55:56]
	v_fma_f64 v[97:98], v[101:102], v[53:54], v[97:98]
	v_fma_f64 v[53:54], v[99:100], v[53:54], -v[55:56]
	ds_read2_b64 v[99:102], v125 offset0:22 offset1:23
	s_waitcnt lgkmcnt(0)
	v_mul_f64 v[55:56], v[101:102], v[97:98]
	v_fma_f64 v[55:56], v[99:100], v[53:54], -v[55:56]
	v_mul_f64 v[99:100], v[99:100], v[97:98]
	v_add_f64 v[49:50], v[49:50], -v[55:56]
	v_fma_f64 v[99:100], v[101:102], v[53:54], v[99:100]
	v_add_f64 v[51:52], v[51:52], -v[99:100]
	ds_read2_b64 v[99:102], v125 offset0:24 offset1:25
	s_waitcnt lgkmcnt(0)
	v_mul_f64 v[55:56], v[101:102], v[97:98]
	v_fma_f64 v[55:56], v[99:100], v[53:54], -v[55:56]
	v_mul_f64 v[99:100], v[99:100], v[97:98]
	v_add_f64 v[45:46], v[45:46], -v[55:56]
	v_fma_f64 v[99:100], v[101:102], v[53:54], v[99:100]
	v_add_f64 v[47:48], v[47:48], -v[99:100]
	;; [unrolled: 8-line block ×13, first 2 shown]
	ds_read2_b64 v[99:102], v125 offset0:48 offset1:49
	s_waitcnt lgkmcnt(0)
	v_mul_f64 v[55:56], v[101:102], v[97:98]
	v_fma_f64 v[55:56], v[99:100], v[53:54], -v[55:56]
	v_mul_f64 v[99:100], v[99:100], v[97:98]
	v_add_f64 v[73:74], v[73:74], -v[55:56]
	v_fma_f64 v[99:100], v[101:102], v[53:54], v[99:100]
	v_mov_b32_e32 v55, v97
	v_mov_b32_e32 v56, v98
	buffer_store_dword v53, off, s[20:23], 0 ; 4-byte Folded Spill
	s_nop 0
	buffer_store_dword v54, off, s[20:23], 0 offset:4 ; 4-byte Folded Spill
	buffer_store_dword v55, off, s[20:23], 0 offset:8 ; 4-byte Folded Spill
	;; [unrolled: 1-line block ×3, first 2 shown]
	v_add_f64 v[75:76], v[75:76], -v[99:100]
.LBB49_100:
	s_or_b64 exec, exec, s[2:3]
	v_cmp_eq_u32_e32 vcc, 11, v0
	s_waitcnt vmcnt(0)
	s_barrier
	s_and_saveexec_b64 s[4:5], vcc
	s_cbranch_execz .LBB49_107
; %bb.101:
	ds_write2_b64 v127, v[49:50], v[51:52] offset1:1
	ds_write2_b64 v125, v[45:46], v[47:48] offset0:24 offset1:25
	ds_write2_b64 v125, v[41:42], v[43:44] offset0:26 offset1:27
	;; [unrolled: 1-line block ×13, first 2 shown]
	ds_read2_b64 v[97:100], v127 offset1:1
	s_waitcnt lgkmcnt(0)
	v_cmp_neq_f64_e32 vcc, 0, v[97:98]
	v_cmp_neq_f64_e64 s[2:3], 0, v[99:100]
	s_or_b64 s[2:3], vcc, s[2:3]
	s_and_b64 exec, exec, s[2:3]
	s_cbranch_execz .LBB49_107
; %bb.102:
	v_cmp_ngt_f64_e64 s[2:3], |v[97:98]|, |v[99:100]|
                                        ; implicit-def: $vgpr101_vgpr102
	s_and_saveexec_b64 s[6:7], s[2:3]
	s_xor_b64 s[2:3], exec, s[6:7]
                                        ; implicit-def: $vgpr103_vgpr104
	s_cbranch_execz .LBB49_104
; %bb.103:
	v_div_scale_f64 v[101:102], s[6:7], v[99:100], v[99:100], v[97:98]
	v_rcp_f64_e32 v[103:104], v[101:102]
	v_fma_f64 v[105:106], -v[101:102], v[103:104], 1.0
	v_fma_f64 v[103:104], v[103:104], v[105:106], v[103:104]
	v_div_scale_f64 v[105:106], vcc, v[97:98], v[99:100], v[97:98]
	v_fma_f64 v[107:108], -v[101:102], v[103:104], 1.0
	v_fma_f64 v[103:104], v[103:104], v[107:108], v[103:104]
	v_mul_f64 v[107:108], v[105:106], v[103:104]
	v_fma_f64 v[101:102], -v[101:102], v[107:108], v[105:106]
	v_div_fmas_f64 v[101:102], v[101:102], v[103:104], v[107:108]
	v_div_fixup_f64 v[101:102], v[101:102], v[99:100], v[97:98]
	v_fma_f64 v[97:98], v[97:98], v[101:102], v[99:100]
	v_div_scale_f64 v[99:100], s[6:7], v[97:98], v[97:98], 1.0
	v_div_scale_f64 v[107:108], vcc, 1.0, v[97:98], 1.0
	v_rcp_f64_e32 v[103:104], v[99:100]
	v_fma_f64 v[105:106], -v[99:100], v[103:104], 1.0
	v_fma_f64 v[103:104], v[103:104], v[105:106], v[103:104]
	v_fma_f64 v[105:106], -v[99:100], v[103:104], 1.0
	v_fma_f64 v[103:104], v[103:104], v[105:106], v[103:104]
	v_mul_f64 v[105:106], v[107:108], v[103:104]
	v_fma_f64 v[99:100], -v[99:100], v[105:106], v[107:108]
	v_div_fmas_f64 v[99:100], v[99:100], v[103:104], v[105:106]
	v_div_fixup_f64 v[103:104], v[99:100], v[97:98], 1.0
                                        ; implicit-def: $vgpr97_vgpr98
	v_mul_f64 v[101:102], v[101:102], v[103:104]
	v_xor_b32_e32 v104, 0x80000000, v104
.LBB49_104:
	s_andn2_saveexec_b64 s[2:3], s[2:3]
	s_cbranch_execz .LBB49_106
; %bb.105:
	v_div_scale_f64 v[101:102], s[6:7], v[97:98], v[97:98], v[99:100]
	v_rcp_f64_e32 v[103:104], v[101:102]
	v_fma_f64 v[105:106], -v[101:102], v[103:104], 1.0
	v_fma_f64 v[103:104], v[103:104], v[105:106], v[103:104]
	v_div_scale_f64 v[105:106], vcc, v[99:100], v[97:98], v[99:100]
	v_fma_f64 v[107:108], -v[101:102], v[103:104], 1.0
	v_fma_f64 v[103:104], v[103:104], v[107:108], v[103:104]
	v_mul_f64 v[107:108], v[105:106], v[103:104]
	v_fma_f64 v[101:102], -v[101:102], v[107:108], v[105:106]
	v_div_fmas_f64 v[101:102], v[101:102], v[103:104], v[107:108]
	v_div_fixup_f64 v[103:104], v[101:102], v[97:98], v[99:100]
	v_fma_f64 v[97:98], v[99:100], v[103:104], v[97:98]
	v_div_scale_f64 v[99:100], s[6:7], v[97:98], v[97:98], 1.0
	v_div_scale_f64 v[107:108], vcc, 1.0, v[97:98], 1.0
	v_rcp_f64_e32 v[101:102], v[99:100]
	v_fma_f64 v[105:106], -v[99:100], v[101:102], 1.0
	v_fma_f64 v[101:102], v[101:102], v[105:106], v[101:102]
	v_fma_f64 v[105:106], -v[99:100], v[101:102], 1.0
	v_fma_f64 v[101:102], v[101:102], v[105:106], v[101:102]
	v_mul_f64 v[105:106], v[107:108], v[101:102]
	v_fma_f64 v[99:100], -v[99:100], v[105:106], v[107:108]
	v_div_fmas_f64 v[99:100], v[99:100], v[101:102], v[105:106]
	v_div_fixup_f64 v[101:102], v[99:100], v[97:98], 1.0
	v_mul_f64 v[103:104], v[103:104], -v[101:102]
.LBB49_106:
	s_or_b64 exec, exec, s[2:3]
	ds_write2_b64 v127, v[101:102], v[103:104] offset1:1
.LBB49_107:
	s_or_b64 exec, exec, s[4:5]
	s_waitcnt lgkmcnt(0)
	s_barrier
	ds_read2_b64 v[97:100], v127 offset1:1
	v_cmp_lt_u32_e32 vcc, 11, v0
	s_waitcnt lgkmcnt(0)
	buffer_store_dword v97, off, s[20:23], 0 offset:432 ; 4-byte Folded Spill
	s_nop 0
	buffer_store_dword v98, off, s[20:23], 0 offset:436 ; 4-byte Folded Spill
	buffer_store_dword v99, off, s[20:23], 0 offset:440 ; 4-byte Folded Spill
	;; [unrolled: 1-line block ×3, first 2 shown]
	s_and_saveexec_b64 s[2:3], vcc
	s_cbranch_execz .LBB49_109
; %bb.108:
	buffer_load_dword v99, off, s[20:23], 0 offset:432 ; 4-byte Folded Reload
	buffer_load_dword v100, off, s[20:23], 0 offset:436 ; 4-byte Folded Reload
	;; [unrolled: 1-line block ×4, first 2 shown]
	s_waitcnt vmcnt(2)
	v_mul_f64 v[97:98], v[99:100], v[51:52]
	s_waitcnt vmcnt(0)
	v_mul_f64 v[51:52], v[101:102], v[51:52]
	v_fma_f64 v[97:98], v[101:102], v[49:50], v[97:98]
	v_fma_f64 v[49:50], v[99:100], v[49:50], -v[51:52]
	ds_read2_b64 v[99:102], v125 offset0:24 offset1:25
	s_waitcnt lgkmcnt(0)
	v_mul_f64 v[51:52], v[101:102], v[97:98]
	v_fma_f64 v[51:52], v[99:100], v[49:50], -v[51:52]
	v_mul_f64 v[99:100], v[99:100], v[97:98]
	v_add_f64 v[45:46], v[45:46], -v[51:52]
	v_fma_f64 v[99:100], v[101:102], v[49:50], v[99:100]
	v_add_f64 v[47:48], v[47:48], -v[99:100]
	ds_read2_b64 v[99:102], v125 offset0:26 offset1:27
	s_waitcnt lgkmcnt(0)
	v_mul_f64 v[51:52], v[101:102], v[97:98]
	v_fma_f64 v[51:52], v[99:100], v[49:50], -v[51:52]
	v_mul_f64 v[99:100], v[99:100], v[97:98]
	v_add_f64 v[41:42], v[41:42], -v[51:52]
	v_fma_f64 v[99:100], v[101:102], v[49:50], v[99:100]
	v_add_f64 v[43:44], v[43:44], -v[99:100]
	;; [unrolled: 8-line block ×12, first 2 shown]
	ds_read2_b64 v[99:102], v125 offset0:48 offset1:49
	s_waitcnt lgkmcnt(0)
	v_mul_f64 v[51:52], v[101:102], v[97:98]
	v_fma_f64 v[51:52], v[99:100], v[49:50], -v[51:52]
	v_mul_f64 v[99:100], v[99:100], v[97:98]
	v_add_f64 v[73:74], v[73:74], -v[51:52]
	v_fma_f64 v[99:100], v[101:102], v[49:50], v[99:100]
	v_mov_b32_e32 v51, v97
	v_mov_b32_e32 v52, v98
	v_add_f64 v[75:76], v[75:76], -v[99:100]
.LBB49_109:
	s_or_b64 exec, exec, s[2:3]
	v_cmp_eq_u32_e32 vcc, 12, v0
	s_waitcnt vmcnt(0)
	s_barrier
	s_and_saveexec_b64 s[4:5], vcc
	s_cbranch_execz .LBB49_116
; %bb.110:
	ds_write2_b64 v127, v[45:46], v[47:48] offset1:1
	ds_write2_b64 v125, v[41:42], v[43:44] offset0:26 offset1:27
	ds_write2_b64 v125, v[37:38], v[39:40] offset0:28 offset1:29
	;; [unrolled: 1-line block ×12, first 2 shown]
	ds_read2_b64 v[97:100], v127 offset1:1
	s_waitcnt lgkmcnt(0)
	v_cmp_neq_f64_e32 vcc, 0, v[97:98]
	v_cmp_neq_f64_e64 s[2:3], 0, v[99:100]
	s_or_b64 s[2:3], vcc, s[2:3]
	s_and_b64 exec, exec, s[2:3]
	s_cbranch_execz .LBB49_116
; %bb.111:
	v_cmp_ngt_f64_e64 s[2:3], |v[97:98]|, |v[99:100]|
                                        ; implicit-def: $vgpr101_vgpr102
	s_and_saveexec_b64 s[6:7], s[2:3]
	s_xor_b64 s[2:3], exec, s[6:7]
                                        ; implicit-def: $vgpr103_vgpr104
	s_cbranch_execz .LBB49_113
; %bb.112:
	v_div_scale_f64 v[101:102], s[6:7], v[99:100], v[99:100], v[97:98]
	v_rcp_f64_e32 v[103:104], v[101:102]
	v_fma_f64 v[105:106], -v[101:102], v[103:104], 1.0
	v_fma_f64 v[103:104], v[103:104], v[105:106], v[103:104]
	v_div_scale_f64 v[105:106], vcc, v[97:98], v[99:100], v[97:98]
	v_fma_f64 v[107:108], -v[101:102], v[103:104], 1.0
	v_fma_f64 v[103:104], v[103:104], v[107:108], v[103:104]
	v_mul_f64 v[107:108], v[105:106], v[103:104]
	v_fma_f64 v[101:102], -v[101:102], v[107:108], v[105:106]
	v_div_fmas_f64 v[101:102], v[101:102], v[103:104], v[107:108]
	v_div_fixup_f64 v[101:102], v[101:102], v[99:100], v[97:98]
	v_fma_f64 v[97:98], v[97:98], v[101:102], v[99:100]
	v_div_scale_f64 v[99:100], s[6:7], v[97:98], v[97:98], 1.0
	v_div_scale_f64 v[107:108], vcc, 1.0, v[97:98], 1.0
	v_rcp_f64_e32 v[103:104], v[99:100]
	v_fma_f64 v[105:106], -v[99:100], v[103:104], 1.0
	v_fma_f64 v[103:104], v[103:104], v[105:106], v[103:104]
	v_fma_f64 v[105:106], -v[99:100], v[103:104], 1.0
	v_fma_f64 v[103:104], v[103:104], v[105:106], v[103:104]
	v_mul_f64 v[105:106], v[107:108], v[103:104]
	v_fma_f64 v[99:100], -v[99:100], v[105:106], v[107:108]
	v_div_fmas_f64 v[99:100], v[99:100], v[103:104], v[105:106]
	v_div_fixup_f64 v[103:104], v[99:100], v[97:98], 1.0
                                        ; implicit-def: $vgpr97_vgpr98
	v_mul_f64 v[101:102], v[101:102], v[103:104]
	v_xor_b32_e32 v104, 0x80000000, v104
.LBB49_113:
	s_andn2_saveexec_b64 s[2:3], s[2:3]
	s_cbranch_execz .LBB49_115
; %bb.114:
	v_div_scale_f64 v[101:102], s[6:7], v[97:98], v[97:98], v[99:100]
	v_rcp_f64_e32 v[103:104], v[101:102]
	v_fma_f64 v[105:106], -v[101:102], v[103:104], 1.0
	v_fma_f64 v[103:104], v[103:104], v[105:106], v[103:104]
	v_div_scale_f64 v[105:106], vcc, v[99:100], v[97:98], v[99:100]
	v_fma_f64 v[107:108], -v[101:102], v[103:104], 1.0
	v_fma_f64 v[103:104], v[103:104], v[107:108], v[103:104]
	v_mul_f64 v[107:108], v[105:106], v[103:104]
	v_fma_f64 v[101:102], -v[101:102], v[107:108], v[105:106]
	v_div_fmas_f64 v[101:102], v[101:102], v[103:104], v[107:108]
	v_div_fixup_f64 v[103:104], v[101:102], v[97:98], v[99:100]
	v_fma_f64 v[97:98], v[99:100], v[103:104], v[97:98]
	v_div_scale_f64 v[99:100], s[6:7], v[97:98], v[97:98], 1.0
	v_div_scale_f64 v[107:108], vcc, 1.0, v[97:98], 1.0
	v_rcp_f64_e32 v[101:102], v[99:100]
	v_fma_f64 v[105:106], -v[99:100], v[101:102], 1.0
	v_fma_f64 v[101:102], v[101:102], v[105:106], v[101:102]
	v_fma_f64 v[105:106], -v[99:100], v[101:102], 1.0
	v_fma_f64 v[101:102], v[101:102], v[105:106], v[101:102]
	v_mul_f64 v[105:106], v[107:108], v[101:102]
	v_fma_f64 v[99:100], -v[99:100], v[105:106], v[107:108]
	v_div_fmas_f64 v[99:100], v[99:100], v[101:102], v[105:106]
	v_div_fixup_f64 v[101:102], v[99:100], v[97:98], 1.0
	v_mul_f64 v[103:104], v[103:104], -v[101:102]
.LBB49_115:
	s_or_b64 exec, exec, s[2:3]
	ds_write2_b64 v127, v[101:102], v[103:104] offset1:1
.LBB49_116:
	s_or_b64 exec, exec, s[4:5]
	s_waitcnt lgkmcnt(0)
	s_barrier
	ds_read2_b64 v[97:100], v127 offset1:1
	v_cmp_lt_u32_e32 vcc, 12, v0
	s_waitcnt lgkmcnt(0)
	buffer_store_dword v97, off, s[20:23], 0 offset:448 ; 4-byte Folded Spill
	s_nop 0
	buffer_store_dword v98, off, s[20:23], 0 offset:452 ; 4-byte Folded Spill
	buffer_store_dword v99, off, s[20:23], 0 offset:456 ; 4-byte Folded Spill
	;; [unrolled: 1-line block ×3, first 2 shown]
	s_and_saveexec_b64 s[2:3], vcc
	s_cbranch_execz .LBB49_118
; %bb.117:
	buffer_load_dword v99, off, s[20:23], 0 offset:448 ; 4-byte Folded Reload
	buffer_load_dword v100, off, s[20:23], 0 offset:452 ; 4-byte Folded Reload
	;; [unrolled: 1-line block ×4, first 2 shown]
	s_waitcnt vmcnt(2)
	v_mul_f64 v[97:98], v[99:100], v[47:48]
	s_waitcnt vmcnt(0)
	v_mul_f64 v[47:48], v[101:102], v[47:48]
	v_fma_f64 v[97:98], v[101:102], v[45:46], v[97:98]
	v_fma_f64 v[45:46], v[99:100], v[45:46], -v[47:48]
	ds_read2_b64 v[99:102], v125 offset0:26 offset1:27
	s_waitcnt lgkmcnt(0)
	v_mul_f64 v[47:48], v[101:102], v[97:98]
	v_fma_f64 v[47:48], v[99:100], v[45:46], -v[47:48]
	v_mul_f64 v[99:100], v[99:100], v[97:98]
	v_add_f64 v[41:42], v[41:42], -v[47:48]
	v_fma_f64 v[99:100], v[101:102], v[45:46], v[99:100]
	v_add_f64 v[43:44], v[43:44], -v[99:100]
	ds_read2_b64 v[99:102], v125 offset0:28 offset1:29
	s_waitcnt lgkmcnt(0)
	v_mul_f64 v[47:48], v[101:102], v[97:98]
	v_fma_f64 v[47:48], v[99:100], v[45:46], -v[47:48]
	v_mul_f64 v[99:100], v[99:100], v[97:98]
	v_add_f64 v[37:38], v[37:38], -v[47:48]
	v_fma_f64 v[99:100], v[101:102], v[45:46], v[99:100]
	v_add_f64 v[39:40], v[39:40], -v[99:100]
	;; [unrolled: 8-line block ×11, first 2 shown]
	ds_read2_b64 v[99:102], v125 offset0:48 offset1:49
	s_waitcnt lgkmcnt(0)
	v_mul_f64 v[47:48], v[101:102], v[97:98]
	v_fma_f64 v[47:48], v[99:100], v[45:46], -v[47:48]
	v_mul_f64 v[99:100], v[99:100], v[97:98]
	v_add_f64 v[73:74], v[73:74], -v[47:48]
	v_fma_f64 v[99:100], v[101:102], v[45:46], v[99:100]
	v_mov_b32_e32 v47, v97
	v_mov_b32_e32 v48, v98
	v_add_f64 v[75:76], v[75:76], -v[99:100]
.LBB49_118:
	s_or_b64 exec, exec, s[2:3]
	v_cmp_eq_u32_e32 vcc, 13, v0
	s_waitcnt vmcnt(0)
	s_barrier
	s_and_saveexec_b64 s[4:5], vcc
	s_cbranch_execz .LBB49_125
; %bb.119:
	ds_write2_b64 v127, v[41:42], v[43:44] offset1:1
	ds_write2_b64 v125, v[37:38], v[39:40] offset0:28 offset1:29
	ds_write2_b64 v125, v[33:34], v[35:36] offset0:30 offset1:31
	;; [unrolled: 1-line block ×11, first 2 shown]
	ds_read2_b64 v[97:100], v127 offset1:1
	s_waitcnt lgkmcnt(0)
	v_cmp_neq_f64_e32 vcc, 0, v[97:98]
	v_cmp_neq_f64_e64 s[2:3], 0, v[99:100]
	s_or_b64 s[2:3], vcc, s[2:3]
	s_and_b64 exec, exec, s[2:3]
	s_cbranch_execz .LBB49_125
; %bb.120:
	v_cmp_ngt_f64_e64 s[2:3], |v[97:98]|, |v[99:100]|
                                        ; implicit-def: $vgpr101_vgpr102
	s_and_saveexec_b64 s[6:7], s[2:3]
	s_xor_b64 s[2:3], exec, s[6:7]
                                        ; implicit-def: $vgpr103_vgpr104
	s_cbranch_execz .LBB49_122
; %bb.121:
	v_div_scale_f64 v[101:102], s[6:7], v[99:100], v[99:100], v[97:98]
	v_rcp_f64_e32 v[103:104], v[101:102]
	v_fma_f64 v[105:106], -v[101:102], v[103:104], 1.0
	v_fma_f64 v[103:104], v[103:104], v[105:106], v[103:104]
	v_div_scale_f64 v[105:106], vcc, v[97:98], v[99:100], v[97:98]
	v_fma_f64 v[107:108], -v[101:102], v[103:104], 1.0
	v_fma_f64 v[103:104], v[103:104], v[107:108], v[103:104]
	v_mul_f64 v[107:108], v[105:106], v[103:104]
	v_fma_f64 v[101:102], -v[101:102], v[107:108], v[105:106]
	v_div_fmas_f64 v[101:102], v[101:102], v[103:104], v[107:108]
	v_div_fixup_f64 v[101:102], v[101:102], v[99:100], v[97:98]
	v_fma_f64 v[97:98], v[97:98], v[101:102], v[99:100]
	v_div_scale_f64 v[99:100], s[6:7], v[97:98], v[97:98], 1.0
	v_div_scale_f64 v[107:108], vcc, 1.0, v[97:98], 1.0
	v_rcp_f64_e32 v[103:104], v[99:100]
	v_fma_f64 v[105:106], -v[99:100], v[103:104], 1.0
	v_fma_f64 v[103:104], v[103:104], v[105:106], v[103:104]
	v_fma_f64 v[105:106], -v[99:100], v[103:104], 1.0
	v_fma_f64 v[103:104], v[103:104], v[105:106], v[103:104]
	v_mul_f64 v[105:106], v[107:108], v[103:104]
	v_fma_f64 v[99:100], -v[99:100], v[105:106], v[107:108]
	v_div_fmas_f64 v[99:100], v[99:100], v[103:104], v[105:106]
	v_div_fixup_f64 v[103:104], v[99:100], v[97:98], 1.0
                                        ; implicit-def: $vgpr97_vgpr98
	v_mul_f64 v[101:102], v[101:102], v[103:104]
	v_xor_b32_e32 v104, 0x80000000, v104
.LBB49_122:
	s_andn2_saveexec_b64 s[2:3], s[2:3]
	s_cbranch_execz .LBB49_124
; %bb.123:
	v_div_scale_f64 v[101:102], s[6:7], v[97:98], v[97:98], v[99:100]
	v_rcp_f64_e32 v[103:104], v[101:102]
	v_fma_f64 v[105:106], -v[101:102], v[103:104], 1.0
	v_fma_f64 v[103:104], v[103:104], v[105:106], v[103:104]
	v_div_scale_f64 v[105:106], vcc, v[99:100], v[97:98], v[99:100]
	v_fma_f64 v[107:108], -v[101:102], v[103:104], 1.0
	v_fma_f64 v[103:104], v[103:104], v[107:108], v[103:104]
	v_mul_f64 v[107:108], v[105:106], v[103:104]
	v_fma_f64 v[101:102], -v[101:102], v[107:108], v[105:106]
	v_div_fmas_f64 v[101:102], v[101:102], v[103:104], v[107:108]
	v_div_fixup_f64 v[103:104], v[101:102], v[97:98], v[99:100]
	v_fma_f64 v[97:98], v[99:100], v[103:104], v[97:98]
	v_div_scale_f64 v[99:100], s[6:7], v[97:98], v[97:98], 1.0
	v_div_scale_f64 v[107:108], vcc, 1.0, v[97:98], 1.0
	v_rcp_f64_e32 v[101:102], v[99:100]
	v_fma_f64 v[105:106], -v[99:100], v[101:102], 1.0
	v_fma_f64 v[101:102], v[101:102], v[105:106], v[101:102]
	v_fma_f64 v[105:106], -v[99:100], v[101:102], 1.0
	v_fma_f64 v[101:102], v[101:102], v[105:106], v[101:102]
	v_mul_f64 v[105:106], v[107:108], v[101:102]
	v_fma_f64 v[99:100], -v[99:100], v[105:106], v[107:108]
	v_div_fmas_f64 v[99:100], v[99:100], v[101:102], v[105:106]
	v_div_fixup_f64 v[101:102], v[99:100], v[97:98], 1.0
	v_mul_f64 v[103:104], v[103:104], -v[101:102]
.LBB49_124:
	s_or_b64 exec, exec, s[2:3]
	ds_write2_b64 v127, v[101:102], v[103:104] offset1:1
.LBB49_125:
	s_or_b64 exec, exec, s[4:5]
	s_waitcnt lgkmcnt(0)
	s_barrier
	ds_read2_b64 v[97:100], v127 offset1:1
	v_cmp_lt_u32_e32 vcc, 13, v0
	s_waitcnt lgkmcnt(0)
	buffer_store_dword v97, off, s[20:23], 0 offset:464 ; 4-byte Folded Spill
	s_nop 0
	buffer_store_dword v98, off, s[20:23], 0 offset:468 ; 4-byte Folded Spill
	buffer_store_dword v99, off, s[20:23], 0 offset:472 ; 4-byte Folded Spill
	;; [unrolled: 1-line block ×3, first 2 shown]
	s_and_saveexec_b64 s[2:3], vcc
	s_cbranch_execz .LBB49_127
; %bb.126:
	buffer_load_dword v99, off, s[20:23], 0 offset:464 ; 4-byte Folded Reload
	buffer_load_dword v100, off, s[20:23], 0 offset:468 ; 4-byte Folded Reload
	;; [unrolled: 1-line block ×4, first 2 shown]
	s_waitcnt vmcnt(2)
	v_mul_f64 v[97:98], v[99:100], v[43:44]
	s_waitcnt vmcnt(0)
	v_mul_f64 v[43:44], v[101:102], v[43:44]
	v_fma_f64 v[97:98], v[101:102], v[41:42], v[97:98]
	v_fma_f64 v[41:42], v[99:100], v[41:42], -v[43:44]
	ds_read2_b64 v[99:102], v125 offset0:28 offset1:29
	s_waitcnt lgkmcnt(0)
	v_mul_f64 v[43:44], v[101:102], v[97:98]
	v_fma_f64 v[43:44], v[99:100], v[41:42], -v[43:44]
	v_mul_f64 v[99:100], v[99:100], v[97:98]
	v_add_f64 v[37:38], v[37:38], -v[43:44]
	v_fma_f64 v[99:100], v[101:102], v[41:42], v[99:100]
	v_add_f64 v[39:40], v[39:40], -v[99:100]
	ds_read2_b64 v[99:102], v125 offset0:30 offset1:31
	s_waitcnt lgkmcnt(0)
	v_mul_f64 v[43:44], v[101:102], v[97:98]
	v_fma_f64 v[43:44], v[99:100], v[41:42], -v[43:44]
	v_mul_f64 v[99:100], v[99:100], v[97:98]
	v_add_f64 v[33:34], v[33:34], -v[43:44]
	v_fma_f64 v[99:100], v[101:102], v[41:42], v[99:100]
	v_add_f64 v[35:36], v[35:36], -v[99:100]
	;; [unrolled: 8-line block ×10, first 2 shown]
	ds_read2_b64 v[99:102], v125 offset0:48 offset1:49
	s_waitcnt lgkmcnt(0)
	v_mul_f64 v[43:44], v[101:102], v[97:98]
	v_fma_f64 v[43:44], v[99:100], v[41:42], -v[43:44]
	v_mul_f64 v[99:100], v[99:100], v[97:98]
	v_add_f64 v[73:74], v[73:74], -v[43:44]
	v_fma_f64 v[99:100], v[101:102], v[41:42], v[99:100]
	v_mov_b32_e32 v43, v97
	v_mov_b32_e32 v44, v98
	v_add_f64 v[75:76], v[75:76], -v[99:100]
.LBB49_127:
	s_or_b64 exec, exec, s[2:3]
	v_cmp_eq_u32_e32 vcc, 14, v0
	s_waitcnt vmcnt(0)
	s_barrier
	s_and_saveexec_b64 s[4:5], vcc
	s_cbranch_execz .LBB49_134
; %bb.128:
	ds_write2_b64 v127, v[37:38], v[39:40] offset1:1
	ds_write2_b64 v125, v[33:34], v[35:36] offset0:30 offset1:31
	ds_write2_b64 v125, v[29:30], v[31:32] offset0:32 offset1:33
	;; [unrolled: 1-line block ×10, first 2 shown]
	ds_read2_b64 v[97:100], v127 offset1:1
	s_waitcnt lgkmcnt(0)
	v_cmp_neq_f64_e32 vcc, 0, v[97:98]
	v_cmp_neq_f64_e64 s[2:3], 0, v[99:100]
	s_or_b64 s[2:3], vcc, s[2:3]
	s_and_b64 exec, exec, s[2:3]
	s_cbranch_execz .LBB49_134
; %bb.129:
	v_cmp_ngt_f64_e64 s[2:3], |v[97:98]|, |v[99:100]|
                                        ; implicit-def: $vgpr101_vgpr102
	s_and_saveexec_b64 s[6:7], s[2:3]
	s_xor_b64 s[2:3], exec, s[6:7]
                                        ; implicit-def: $vgpr103_vgpr104
	s_cbranch_execz .LBB49_131
; %bb.130:
	v_div_scale_f64 v[101:102], s[6:7], v[99:100], v[99:100], v[97:98]
	v_rcp_f64_e32 v[103:104], v[101:102]
	v_fma_f64 v[105:106], -v[101:102], v[103:104], 1.0
	v_fma_f64 v[103:104], v[103:104], v[105:106], v[103:104]
	v_div_scale_f64 v[105:106], vcc, v[97:98], v[99:100], v[97:98]
	v_fma_f64 v[107:108], -v[101:102], v[103:104], 1.0
	v_fma_f64 v[103:104], v[103:104], v[107:108], v[103:104]
	v_mul_f64 v[107:108], v[105:106], v[103:104]
	v_fma_f64 v[101:102], -v[101:102], v[107:108], v[105:106]
	v_div_fmas_f64 v[101:102], v[101:102], v[103:104], v[107:108]
	v_div_fixup_f64 v[101:102], v[101:102], v[99:100], v[97:98]
	v_fma_f64 v[97:98], v[97:98], v[101:102], v[99:100]
	v_div_scale_f64 v[99:100], s[6:7], v[97:98], v[97:98], 1.0
	v_div_scale_f64 v[107:108], vcc, 1.0, v[97:98], 1.0
	v_rcp_f64_e32 v[103:104], v[99:100]
	v_fma_f64 v[105:106], -v[99:100], v[103:104], 1.0
	v_fma_f64 v[103:104], v[103:104], v[105:106], v[103:104]
	v_fma_f64 v[105:106], -v[99:100], v[103:104], 1.0
	v_fma_f64 v[103:104], v[103:104], v[105:106], v[103:104]
	v_mul_f64 v[105:106], v[107:108], v[103:104]
	v_fma_f64 v[99:100], -v[99:100], v[105:106], v[107:108]
	v_div_fmas_f64 v[99:100], v[99:100], v[103:104], v[105:106]
	v_div_fixup_f64 v[103:104], v[99:100], v[97:98], 1.0
                                        ; implicit-def: $vgpr97_vgpr98
	v_mul_f64 v[101:102], v[101:102], v[103:104]
	v_xor_b32_e32 v104, 0x80000000, v104
.LBB49_131:
	s_andn2_saveexec_b64 s[2:3], s[2:3]
	s_cbranch_execz .LBB49_133
; %bb.132:
	v_div_scale_f64 v[101:102], s[6:7], v[97:98], v[97:98], v[99:100]
	v_rcp_f64_e32 v[103:104], v[101:102]
	v_fma_f64 v[105:106], -v[101:102], v[103:104], 1.0
	v_fma_f64 v[103:104], v[103:104], v[105:106], v[103:104]
	v_div_scale_f64 v[105:106], vcc, v[99:100], v[97:98], v[99:100]
	v_fma_f64 v[107:108], -v[101:102], v[103:104], 1.0
	v_fma_f64 v[103:104], v[103:104], v[107:108], v[103:104]
	v_mul_f64 v[107:108], v[105:106], v[103:104]
	v_fma_f64 v[101:102], -v[101:102], v[107:108], v[105:106]
	v_div_fmas_f64 v[101:102], v[101:102], v[103:104], v[107:108]
	v_div_fixup_f64 v[103:104], v[101:102], v[97:98], v[99:100]
	v_fma_f64 v[97:98], v[99:100], v[103:104], v[97:98]
	v_div_scale_f64 v[99:100], s[6:7], v[97:98], v[97:98], 1.0
	v_div_scale_f64 v[107:108], vcc, 1.0, v[97:98], 1.0
	v_rcp_f64_e32 v[101:102], v[99:100]
	v_fma_f64 v[105:106], -v[99:100], v[101:102], 1.0
	v_fma_f64 v[101:102], v[101:102], v[105:106], v[101:102]
	v_fma_f64 v[105:106], -v[99:100], v[101:102], 1.0
	v_fma_f64 v[101:102], v[101:102], v[105:106], v[101:102]
	v_mul_f64 v[105:106], v[107:108], v[101:102]
	v_fma_f64 v[99:100], -v[99:100], v[105:106], v[107:108]
	v_div_fmas_f64 v[99:100], v[99:100], v[101:102], v[105:106]
	v_div_fixup_f64 v[101:102], v[99:100], v[97:98], 1.0
	v_mul_f64 v[103:104], v[103:104], -v[101:102]
.LBB49_133:
	s_or_b64 exec, exec, s[2:3]
	ds_write2_b64 v127, v[101:102], v[103:104] offset1:1
.LBB49_134:
	s_or_b64 exec, exec, s[4:5]
	s_waitcnt lgkmcnt(0)
	s_barrier
	ds_read2_b64 v[97:100], v127 offset1:1
	v_cmp_lt_u32_e32 vcc, 14, v0
	s_waitcnt lgkmcnt(0)
	buffer_store_dword v97, off, s[20:23], 0 offset:480 ; 4-byte Folded Spill
	s_nop 0
	buffer_store_dword v98, off, s[20:23], 0 offset:484 ; 4-byte Folded Spill
	buffer_store_dword v99, off, s[20:23], 0 offset:488 ; 4-byte Folded Spill
	buffer_store_dword v100, off, s[20:23], 0 offset:492 ; 4-byte Folded Spill
	s_and_saveexec_b64 s[2:3], vcc
	s_cbranch_execz .LBB49_136
; %bb.135:
	buffer_load_dword v99, off, s[20:23], 0 offset:480 ; 4-byte Folded Reload
	buffer_load_dword v100, off, s[20:23], 0 offset:484 ; 4-byte Folded Reload
	;; [unrolled: 1-line block ×4, first 2 shown]
	s_waitcnt vmcnt(2)
	v_mul_f64 v[97:98], v[99:100], v[39:40]
	s_waitcnt vmcnt(0)
	v_mul_f64 v[39:40], v[101:102], v[39:40]
	v_fma_f64 v[97:98], v[101:102], v[37:38], v[97:98]
	v_fma_f64 v[37:38], v[99:100], v[37:38], -v[39:40]
	ds_read2_b64 v[99:102], v125 offset0:30 offset1:31
	s_waitcnt lgkmcnt(0)
	v_mul_f64 v[39:40], v[101:102], v[97:98]
	v_fma_f64 v[39:40], v[99:100], v[37:38], -v[39:40]
	v_mul_f64 v[99:100], v[99:100], v[97:98]
	v_add_f64 v[33:34], v[33:34], -v[39:40]
	v_fma_f64 v[99:100], v[101:102], v[37:38], v[99:100]
	v_add_f64 v[35:36], v[35:36], -v[99:100]
	ds_read2_b64 v[99:102], v125 offset0:32 offset1:33
	s_waitcnt lgkmcnt(0)
	v_mul_f64 v[39:40], v[101:102], v[97:98]
	v_fma_f64 v[39:40], v[99:100], v[37:38], -v[39:40]
	v_mul_f64 v[99:100], v[99:100], v[97:98]
	v_add_f64 v[29:30], v[29:30], -v[39:40]
	v_fma_f64 v[99:100], v[101:102], v[37:38], v[99:100]
	v_add_f64 v[31:32], v[31:32], -v[99:100]
	;; [unrolled: 8-line block ×9, first 2 shown]
	ds_read2_b64 v[99:102], v125 offset0:48 offset1:49
	s_waitcnt lgkmcnt(0)
	v_mul_f64 v[39:40], v[101:102], v[97:98]
	v_fma_f64 v[39:40], v[99:100], v[37:38], -v[39:40]
	v_mul_f64 v[99:100], v[99:100], v[97:98]
	v_add_f64 v[73:74], v[73:74], -v[39:40]
	v_fma_f64 v[99:100], v[101:102], v[37:38], v[99:100]
	v_mov_b32_e32 v39, v97
	v_mov_b32_e32 v40, v98
	v_add_f64 v[75:76], v[75:76], -v[99:100]
.LBB49_136:
	s_or_b64 exec, exec, s[2:3]
	v_cmp_eq_u32_e32 vcc, 15, v0
	s_waitcnt vmcnt(0)
	s_barrier
	s_and_saveexec_b64 s[4:5], vcc
	s_cbranch_execz .LBB49_143
; %bb.137:
	ds_write2_b64 v127, v[33:34], v[35:36] offset1:1
	ds_write2_b64 v125, v[29:30], v[31:32] offset0:32 offset1:33
	ds_write2_b64 v125, v[25:26], v[27:28] offset0:34 offset1:35
	;; [unrolled: 1-line block ×9, first 2 shown]
	ds_read2_b64 v[97:100], v127 offset1:1
	s_waitcnt lgkmcnt(0)
	v_cmp_neq_f64_e32 vcc, 0, v[97:98]
	v_cmp_neq_f64_e64 s[2:3], 0, v[99:100]
	s_or_b64 s[2:3], vcc, s[2:3]
	s_and_b64 exec, exec, s[2:3]
	s_cbranch_execz .LBB49_143
; %bb.138:
	v_cmp_ngt_f64_e64 s[2:3], |v[97:98]|, |v[99:100]|
                                        ; implicit-def: $vgpr101_vgpr102
	s_and_saveexec_b64 s[6:7], s[2:3]
	s_xor_b64 s[2:3], exec, s[6:7]
                                        ; implicit-def: $vgpr103_vgpr104
	s_cbranch_execz .LBB49_140
; %bb.139:
	v_div_scale_f64 v[101:102], s[6:7], v[99:100], v[99:100], v[97:98]
	v_rcp_f64_e32 v[103:104], v[101:102]
	v_fma_f64 v[105:106], -v[101:102], v[103:104], 1.0
	v_fma_f64 v[103:104], v[103:104], v[105:106], v[103:104]
	v_div_scale_f64 v[105:106], vcc, v[97:98], v[99:100], v[97:98]
	v_fma_f64 v[107:108], -v[101:102], v[103:104], 1.0
	v_fma_f64 v[103:104], v[103:104], v[107:108], v[103:104]
	v_mul_f64 v[107:108], v[105:106], v[103:104]
	v_fma_f64 v[101:102], -v[101:102], v[107:108], v[105:106]
	v_div_fmas_f64 v[101:102], v[101:102], v[103:104], v[107:108]
	v_div_fixup_f64 v[101:102], v[101:102], v[99:100], v[97:98]
	v_fma_f64 v[97:98], v[97:98], v[101:102], v[99:100]
	v_div_scale_f64 v[99:100], s[6:7], v[97:98], v[97:98], 1.0
	v_div_scale_f64 v[107:108], vcc, 1.0, v[97:98], 1.0
	v_rcp_f64_e32 v[103:104], v[99:100]
	v_fma_f64 v[105:106], -v[99:100], v[103:104], 1.0
	v_fma_f64 v[103:104], v[103:104], v[105:106], v[103:104]
	v_fma_f64 v[105:106], -v[99:100], v[103:104], 1.0
	v_fma_f64 v[103:104], v[103:104], v[105:106], v[103:104]
	v_mul_f64 v[105:106], v[107:108], v[103:104]
	v_fma_f64 v[99:100], -v[99:100], v[105:106], v[107:108]
	v_div_fmas_f64 v[99:100], v[99:100], v[103:104], v[105:106]
	v_div_fixup_f64 v[103:104], v[99:100], v[97:98], 1.0
                                        ; implicit-def: $vgpr97_vgpr98
	v_mul_f64 v[101:102], v[101:102], v[103:104]
	v_xor_b32_e32 v104, 0x80000000, v104
.LBB49_140:
	s_andn2_saveexec_b64 s[2:3], s[2:3]
	s_cbranch_execz .LBB49_142
; %bb.141:
	v_div_scale_f64 v[101:102], s[6:7], v[97:98], v[97:98], v[99:100]
	v_rcp_f64_e32 v[103:104], v[101:102]
	v_fma_f64 v[105:106], -v[101:102], v[103:104], 1.0
	v_fma_f64 v[103:104], v[103:104], v[105:106], v[103:104]
	v_div_scale_f64 v[105:106], vcc, v[99:100], v[97:98], v[99:100]
	v_fma_f64 v[107:108], -v[101:102], v[103:104], 1.0
	v_fma_f64 v[103:104], v[103:104], v[107:108], v[103:104]
	v_mul_f64 v[107:108], v[105:106], v[103:104]
	v_fma_f64 v[101:102], -v[101:102], v[107:108], v[105:106]
	v_div_fmas_f64 v[101:102], v[101:102], v[103:104], v[107:108]
	v_div_fixup_f64 v[103:104], v[101:102], v[97:98], v[99:100]
	v_fma_f64 v[97:98], v[99:100], v[103:104], v[97:98]
	v_div_scale_f64 v[99:100], s[6:7], v[97:98], v[97:98], 1.0
	v_div_scale_f64 v[107:108], vcc, 1.0, v[97:98], 1.0
	v_rcp_f64_e32 v[101:102], v[99:100]
	v_fma_f64 v[105:106], -v[99:100], v[101:102], 1.0
	v_fma_f64 v[101:102], v[101:102], v[105:106], v[101:102]
	v_fma_f64 v[105:106], -v[99:100], v[101:102], 1.0
	v_fma_f64 v[101:102], v[101:102], v[105:106], v[101:102]
	v_mul_f64 v[105:106], v[107:108], v[101:102]
	v_fma_f64 v[99:100], -v[99:100], v[105:106], v[107:108]
	v_div_fmas_f64 v[99:100], v[99:100], v[101:102], v[105:106]
	v_div_fixup_f64 v[101:102], v[99:100], v[97:98], 1.0
	v_mul_f64 v[103:104], v[103:104], -v[101:102]
.LBB49_142:
	s_or_b64 exec, exec, s[2:3]
	ds_write2_b64 v127, v[101:102], v[103:104] offset1:1
.LBB49_143:
	s_or_b64 exec, exec, s[4:5]
	s_waitcnt lgkmcnt(0)
	s_barrier
	ds_read2_b64 v[97:100], v127 offset1:1
	v_cmp_lt_u32_e32 vcc, 15, v0
	s_waitcnt lgkmcnt(0)
	buffer_store_dword v97, off, s[20:23], 0 offset:496 ; 4-byte Folded Spill
	s_nop 0
	buffer_store_dword v98, off, s[20:23], 0 offset:500 ; 4-byte Folded Spill
	buffer_store_dword v99, off, s[20:23], 0 offset:504 ; 4-byte Folded Spill
	;; [unrolled: 1-line block ×3, first 2 shown]
	s_and_saveexec_b64 s[2:3], vcc
	s_cbranch_execz .LBB49_145
; %bb.144:
	buffer_load_dword v99, off, s[20:23], 0 offset:496 ; 4-byte Folded Reload
	buffer_load_dword v100, off, s[20:23], 0 offset:500 ; 4-byte Folded Reload
	;; [unrolled: 1-line block ×4, first 2 shown]
	s_waitcnt vmcnt(2)
	v_mul_f64 v[97:98], v[99:100], v[35:36]
	s_waitcnt vmcnt(0)
	v_mul_f64 v[35:36], v[101:102], v[35:36]
	v_fma_f64 v[97:98], v[101:102], v[33:34], v[97:98]
	v_fma_f64 v[33:34], v[99:100], v[33:34], -v[35:36]
	ds_read2_b64 v[99:102], v125 offset0:32 offset1:33
	s_waitcnt lgkmcnt(0)
	v_mul_f64 v[35:36], v[101:102], v[97:98]
	v_fma_f64 v[35:36], v[99:100], v[33:34], -v[35:36]
	v_mul_f64 v[99:100], v[99:100], v[97:98]
	v_add_f64 v[29:30], v[29:30], -v[35:36]
	v_fma_f64 v[99:100], v[101:102], v[33:34], v[99:100]
	v_add_f64 v[31:32], v[31:32], -v[99:100]
	ds_read2_b64 v[99:102], v125 offset0:34 offset1:35
	s_waitcnt lgkmcnt(0)
	v_mul_f64 v[35:36], v[101:102], v[97:98]
	v_fma_f64 v[35:36], v[99:100], v[33:34], -v[35:36]
	v_mul_f64 v[99:100], v[99:100], v[97:98]
	v_add_f64 v[25:26], v[25:26], -v[35:36]
	v_fma_f64 v[99:100], v[101:102], v[33:34], v[99:100]
	v_add_f64 v[27:28], v[27:28], -v[99:100]
	;; [unrolled: 8-line block ×8, first 2 shown]
	ds_read2_b64 v[99:102], v125 offset0:48 offset1:49
	s_waitcnt lgkmcnt(0)
	v_mul_f64 v[35:36], v[101:102], v[97:98]
	v_fma_f64 v[35:36], v[99:100], v[33:34], -v[35:36]
	v_mul_f64 v[99:100], v[99:100], v[97:98]
	v_add_f64 v[73:74], v[73:74], -v[35:36]
	v_fma_f64 v[99:100], v[101:102], v[33:34], v[99:100]
	v_mov_b32_e32 v35, v97
	v_mov_b32_e32 v36, v98
	v_add_f64 v[75:76], v[75:76], -v[99:100]
.LBB49_145:
	s_or_b64 exec, exec, s[2:3]
	v_cmp_eq_u32_e32 vcc, 16, v0
	s_waitcnt vmcnt(0)
	s_barrier
	s_and_saveexec_b64 s[4:5], vcc
	s_cbranch_execz .LBB49_152
; %bb.146:
	ds_write2_b64 v127, v[29:30], v[31:32] offset1:1
	ds_write2_b64 v125, v[25:26], v[27:28] offset0:34 offset1:35
	ds_write2_b64 v125, v[21:22], v[23:24] offset0:36 offset1:37
	;; [unrolled: 1-line block ×8, first 2 shown]
	ds_read2_b64 v[97:100], v127 offset1:1
	s_waitcnt lgkmcnt(0)
	v_cmp_neq_f64_e32 vcc, 0, v[97:98]
	v_cmp_neq_f64_e64 s[2:3], 0, v[99:100]
	s_or_b64 s[2:3], vcc, s[2:3]
	s_and_b64 exec, exec, s[2:3]
	s_cbranch_execz .LBB49_152
; %bb.147:
	v_cmp_ngt_f64_e64 s[2:3], |v[97:98]|, |v[99:100]|
                                        ; implicit-def: $vgpr101_vgpr102
	s_and_saveexec_b64 s[6:7], s[2:3]
	s_xor_b64 s[2:3], exec, s[6:7]
                                        ; implicit-def: $vgpr103_vgpr104
	s_cbranch_execz .LBB49_149
; %bb.148:
	v_div_scale_f64 v[101:102], s[6:7], v[99:100], v[99:100], v[97:98]
	v_rcp_f64_e32 v[103:104], v[101:102]
	v_fma_f64 v[105:106], -v[101:102], v[103:104], 1.0
	v_fma_f64 v[103:104], v[103:104], v[105:106], v[103:104]
	v_div_scale_f64 v[105:106], vcc, v[97:98], v[99:100], v[97:98]
	v_fma_f64 v[107:108], -v[101:102], v[103:104], 1.0
	v_fma_f64 v[103:104], v[103:104], v[107:108], v[103:104]
	v_mul_f64 v[107:108], v[105:106], v[103:104]
	v_fma_f64 v[101:102], -v[101:102], v[107:108], v[105:106]
	v_div_fmas_f64 v[101:102], v[101:102], v[103:104], v[107:108]
	v_div_fixup_f64 v[101:102], v[101:102], v[99:100], v[97:98]
	v_fma_f64 v[97:98], v[97:98], v[101:102], v[99:100]
	v_div_scale_f64 v[99:100], s[6:7], v[97:98], v[97:98], 1.0
	v_div_scale_f64 v[107:108], vcc, 1.0, v[97:98], 1.0
	v_rcp_f64_e32 v[103:104], v[99:100]
	v_fma_f64 v[105:106], -v[99:100], v[103:104], 1.0
	v_fma_f64 v[103:104], v[103:104], v[105:106], v[103:104]
	v_fma_f64 v[105:106], -v[99:100], v[103:104], 1.0
	v_fma_f64 v[103:104], v[103:104], v[105:106], v[103:104]
	v_mul_f64 v[105:106], v[107:108], v[103:104]
	v_fma_f64 v[99:100], -v[99:100], v[105:106], v[107:108]
	v_div_fmas_f64 v[99:100], v[99:100], v[103:104], v[105:106]
	v_div_fixup_f64 v[103:104], v[99:100], v[97:98], 1.0
                                        ; implicit-def: $vgpr97_vgpr98
	v_mul_f64 v[101:102], v[101:102], v[103:104]
	v_xor_b32_e32 v104, 0x80000000, v104
.LBB49_149:
	s_andn2_saveexec_b64 s[2:3], s[2:3]
	s_cbranch_execz .LBB49_151
; %bb.150:
	v_div_scale_f64 v[101:102], s[6:7], v[97:98], v[97:98], v[99:100]
	v_rcp_f64_e32 v[103:104], v[101:102]
	v_fma_f64 v[105:106], -v[101:102], v[103:104], 1.0
	v_fma_f64 v[103:104], v[103:104], v[105:106], v[103:104]
	v_div_scale_f64 v[105:106], vcc, v[99:100], v[97:98], v[99:100]
	v_fma_f64 v[107:108], -v[101:102], v[103:104], 1.0
	v_fma_f64 v[103:104], v[103:104], v[107:108], v[103:104]
	v_mul_f64 v[107:108], v[105:106], v[103:104]
	v_fma_f64 v[101:102], -v[101:102], v[107:108], v[105:106]
	v_div_fmas_f64 v[101:102], v[101:102], v[103:104], v[107:108]
	v_div_fixup_f64 v[103:104], v[101:102], v[97:98], v[99:100]
	v_fma_f64 v[97:98], v[99:100], v[103:104], v[97:98]
	v_div_scale_f64 v[99:100], s[6:7], v[97:98], v[97:98], 1.0
	v_div_scale_f64 v[107:108], vcc, 1.0, v[97:98], 1.0
	v_rcp_f64_e32 v[101:102], v[99:100]
	v_fma_f64 v[105:106], -v[99:100], v[101:102], 1.0
	v_fma_f64 v[101:102], v[101:102], v[105:106], v[101:102]
	v_fma_f64 v[105:106], -v[99:100], v[101:102], 1.0
	v_fma_f64 v[101:102], v[101:102], v[105:106], v[101:102]
	v_mul_f64 v[105:106], v[107:108], v[101:102]
	v_fma_f64 v[99:100], -v[99:100], v[105:106], v[107:108]
	v_div_fmas_f64 v[99:100], v[99:100], v[101:102], v[105:106]
	v_div_fixup_f64 v[101:102], v[99:100], v[97:98], 1.0
	v_mul_f64 v[103:104], v[103:104], -v[101:102]
.LBB49_151:
	s_or_b64 exec, exec, s[2:3]
	ds_write2_b64 v127, v[101:102], v[103:104] offset1:1
.LBB49_152:
	s_or_b64 exec, exec, s[4:5]
	s_waitcnt lgkmcnt(0)
	s_barrier
	ds_read2_b64 v[97:100], v127 offset1:1
	v_cmp_lt_u32_e32 vcc, 16, v0
	s_waitcnt lgkmcnt(0)
	buffer_store_dword v97, off, s[20:23], 0 offset:512 ; 4-byte Folded Spill
	s_nop 0
	buffer_store_dword v98, off, s[20:23], 0 offset:516 ; 4-byte Folded Spill
	buffer_store_dword v99, off, s[20:23], 0 offset:520 ; 4-byte Folded Spill
	;; [unrolled: 1-line block ×3, first 2 shown]
	s_and_saveexec_b64 s[2:3], vcc
	s_cbranch_execz .LBB49_154
; %bb.153:
	buffer_load_dword v99, off, s[20:23], 0 offset:512 ; 4-byte Folded Reload
	buffer_load_dword v100, off, s[20:23], 0 offset:516 ; 4-byte Folded Reload
	;; [unrolled: 1-line block ×4, first 2 shown]
	s_waitcnt vmcnt(2)
	v_mul_f64 v[97:98], v[99:100], v[31:32]
	s_waitcnt vmcnt(0)
	v_mul_f64 v[31:32], v[101:102], v[31:32]
	v_fma_f64 v[97:98], v[101:102], v[29:30], v[97:98]
	v_fma_f64 v[29:30], v[99:100], v[29:30], -v[31:32]
	ds_read2_b64 v[99:102], v125 offset0:34 offset1:35
	s_waitcnt lgkmcnt(0)
	v_mul_f64 v[31:32], v[101:102], v[97:98]
	v_fma_f64 v[31:32], v[99:100], v[29:30], -v[31:32]
	v_mul_f64 v[99:100], v[99:100], v[97:98]
	v_add_f64 v[25:26], v[25:26], -v[31:32]
	v_fma_f64 v[99:100], v[101:102], v[29:30], v[99:100]
	v_add_f64 v[27:28], v[27:28], -v[99:100]
	ds_read2_b64 v[99:102], v125 offset0:36 offset1:37
	s_waitcnt lgkmcnt(0)
	v_mul_f64 v[31:32], v[101:102], v[97:98]
	v_fma_f64 v[31:32], v[99:100], v[29:30], -v[31:32]
	v_mul_f64 v[99:100], v[99:100], v[97:98]
	v_add_f64 v[21:22], v[21:22], -v[31:32]
	v_fma_f64 v[99:100], v[101:102], v[29:30], v[99:100]
	v_add_f64 v[23:24], v[23:24], -v[99:100]
	;; [unrolled: 8-line block ×7, first 2 shown]
	ds_read2_b64 v[99:102], v125 offset0:48 offset1:49
	s_waitcnt lgkmcnt(0)
	v_mul_f64 v[31:32], v[101:102], v[97:98]
	v_fma_f64 v[31:32], v[99:100], v[29:30], -v[31:32]
	v_mul_f64 v[99:100], v[99:100], v[97:98]
	v_add_f64 v[73:74], v[73:74], -v[31:32]
	v_fma_f64 v[99:100], v[101:102], v[29:30], v[99:100]
	v_mov_b32_e32 v31, v97
	v_mov_b32_e32 v32, v98
	v_add_f64 v[75:76], v[75:76], -v[99:100]
.LBB49_154:
	s_or_b64 exec, exec, s[2:3]
	v_cmp_eq_u32_e32 vcc, 17, v0
	s_waitcnt vmcnt(0)
	s_barrier
	s_and_saveexec_b64 s[4:5], vcc
	s_cbranch_execz .LBB49_161
; %bb.155:
	ds_write2_b64 v127, v[25:26], v[27:28] offset1:1
	ds_write2_b64 v125, v[21:22], v[23:24] offset0:36 offset1:37
	ds_write2_b64 v125, v[17:18], v[19:20] offset0:38 offset1:39
	;; [unrolled: 1-line block ×7, first 2 shown]
	ds_read2_b64 v[97:100], v127 offset1:1
	s_waitcnt lgkmcnt(0)
	v_cmp_neq_f64_e32 vcc, 0, v[97:98]
	v_cmp_neq_f64_e64 s[2:3], 0, v[99:100]
	s_or_b64 s[2:3], vcc, s[2:3]
	s_and_b64 exec, exec, s[2:3]
	s_cbranch_execz .LBB49_161
; %bb.156:
	v_cmp_ngt_f64_e64 s[2:3], |v[97:98]|, |v[99:100]|
                                        ; implicit-def: $vgpr101_vgpr102
	s_and_saveexec_b64 s[6:7], s[2:3]
	s_xor_b64 s[2:3], exec, s[6:7]
                                        ; implicit-def: $vgpr103_vgpr104
	s_cbranch_execz .LBB49_158
; %bb.157:
	v_div_scale_f64 v[101:102], s[6:7], v[99:100], v[99:100], v[97:98]
	v_rcp_f64_e32 v[103:104], v[101:102]
	v_fma_f64 v[105:106], -v[101:102], v[103:104], 1.0
	v_fma_f64 v[103:104], v[103:104], v[105:106], v[103:104]
	v_div_scale_f64 v[105:106], vcc, v[97:98], v[99:100], v[97:98]
	v_fma_f64 v[107:108], -v[101:102], v[103:104], 1.0
	v_fma_f64 v[103:104], v[103:104], v[107:108], v[103:104]
	v_mul_f64 v[107:108], v[105:106], v[103:104]
	v_fma_f64 v[101:102], -v[101:102], v[107:108], v[105:106]
	v_div_fmas_f64 v[101:102], v[101:102], v[103:104], v[107:108]
	v_div_fixup_f64 v[101:102], v[101:102], v[99:100], v[97:98]
	v_fma_f64 v[97:98], v[97:98], v[101:102], v[99:100]
	v_div_scale_f64 v[99:100], s[6:7], v[97:98], v[97:98], 1.0
	v_div_scale_f64 v[107:108], vcc, 1.0, v[97:98], 1.0
	v_rcp_f64_e32 v[103:104], v[99:100]
	v_fma_f64 v[105:106], -v[99:100], v[103:104], 1.0
	v_fma_f64 v[103:104], v[103:104], v[105:106], v[103:104]
	v_fma_f64 v[105:106], -v[99:100], v[103:104], 1.0
	v_fma_f64 v[103:104], v[103:104], v[105:106], v[103:104]
	v_mul_f64 v[105:106], v[107:108], v[103:104]
	v_fma_f64 v[99:100], -v[99:100], v[105:106], v[107:108]
	v_div_fmas_f64 v[99:100], v[99:100], v[103:104], v[105:106]
	v_div_fixup_f64 v[103:104], v[99:100], v[97:98], 1.0
                                        ; implicit-def: $vgpr97_vgpr98
	v_mul_f64 v[101:102], v[101:102], v[103:104]
	v_xor_b32_e32 v104, 0x80000000, v104
.LBB49_158:
	s_andn2_saveexec_b64 s[2:3], s[2:3]
	s_cbranch_execz .LBB49_160
; %bb.159:
	v_div_scale_f64 v[101:102], s[6:7], v[97:98], v[97:98], v[99:100]
	v_rcp_f64_e32 v[103:104], v[101:102]
	v_fma_f64 v[105:106], -v[101:102], v[103:104], 1.0
	v_fma_f64 v[103:104], v[103:104], v[105:106], v[103:104]
	v_div_scale_f64 v[105:106], vcc, v[99:100], v[97:98], v[99:100]
	v_fma_f64 v[107:108], -v[101:102], v[103:104], 1.0
	v_fma_f64 v[103:104], v[103:104], v[107:108], v[103:104]
	v_mul_f64 v[107:108], v[105:106], v[103:104]
	v_fma_f64 v[101:102], -v[101:102], v[107:108], v[105:106]
	v_div_fmas_f64 v[101:102], v[101:102], v[103:104], v[107:108]
	v_div_fixup_f64 v[103:104], v[101:102], v[97:98], v[99:100]
	v_fma_f64 v[97:98], v[99:100], v[103:104], v[97:98]
	v_div_scale_f64 v[99:100], s[6:7], v[97:98], v[97:98], 1.0
	v_div_scale_f64 v[107:108], vcc, 1.0, v[97:98], 1.0
	v_rcp_f64_e32 v[101:102], v[99:100]
	v_fma_f64 v[105:106], -v[99:100], v[101:102], 1.0
	v_fma_f64 v[101:102], v[101:102], v[105:106], v[101:102]
	v_fma_f64 v[105:106], -v[99:100], v[101:102], 1.0
	v_fma_f64 v[101:102], v[101:102], v[105:106], v[101:102]
	v_mul_f64 v[105:106], v[107:108], v[101:102]
	v_fma_f64 v[99:100], -v[99:100], v[105:106], v[107:108]
	v_div_fmas_f64 v[99:100], v[99:100], v[101:102], v[105:106]
	v_div_fixup_f64 v[101:102], v[99:100], v[97:98], 1.0
	v_mul_f64 v[103:104], v[103:104], -v[101:102]
.LBB49_160:
	s_or_b64 exec, exec, s[2:3]
	ds_write2_b64 v127, v[101:102], v[103:104] offset1:1
.LBB49_161:
	s_or_b64 exec, exec, s[4:5]
	s_waitcnt lgkmcnt(0)
	s_barrier
	ds_read2_b64 v[97:100], v127 offset1:1
	v_cmp_lt_u32_e32 vcc, 17, v0
	s_waitcnt lgkmcnt(0)
	buffer_store_dword v97, off, s[20:23], 0 offset:528 ; 4-byte Folded Spill
	s_nop 0
	buffer_store_dword v98, off, s[20:23], 0 offset:532 ; 4-byte Folded Spill
	buffer_store_dword v99, off, s[20:23], 0 offset:536 ; 4-byte Folded Spill
	;; [unrolled: 1-line block ×3, first 2 shown]
	s_and_saveexec_b64 s[2:3], vcc
	s_cbranch_execz .LBB49_163
; %bb.162:
	buffer_load_dword v99, off, s[20:23], 0 offset:528 ; 4-byte Folded Reload
	buffer_load_dword v100, off, s[20:23], 0 offset:532 ; 4-byte Folded Reload
	;; [unrolled: 1-line block ×4, first 2 shown]
	s_waitcnt vmcnt(2)
	v_mul_f64 v[97:98], v[99:100], v[27:28]
	s_waitcnt vmcnt(0)
	v_mul_f64 v[27:28], v[101:102], v[27:28]
	v_fma_f64 v[97:98], v[101:102], v[25:26], v[97:98]
	v_fma_f64 v[25:26], v[99:100], v[25:26], -v[27:28]
	ds_read2_b64 v[99:102], v125 offset0:36 offset1:37
	s_waitcnt lgkmcnt(0)
	v_mul_f64 v[27:28], v[101:102], v[97:98]
	v_fma_f64 v[27:28], v[99:100], v[25:26], -v[27:28]
	v_mul_f64 v[99:100], v[99:100], v[97:98]
	v_add_f64 v[21:22], v[21:22], -v[27:28]
	v_fma_f64 v[99:100], v[101:102], v[25:26], v[99:100]
	v_add_f64 v[23:24], v[23:24], -v[99:100]
	ds_read2_b64 v[99:102], v125 offset0:38 offset1:39
	s_waitcnt lgkmcnt(0)
	v_mul_f64 v[27:28], v[101:102], v[97:98]
	v_fma_f64 v[27:28], v[99:100], v[25:26], -v[27:28]
	v_mul_f64 v[99:100], v[99:100], v[97:98]
	v_add_f64 v[17:18], v[17:18], -v[27:28]
	v_fma_f64 v[99:100], v[101:102], v[25:26], v[99:100]
	v_add_f64 v[19:20], v[19:20], -v[99:100]
	;; [unrolled: 8-line block ×6, first 2 shown]
	ds_read2_b64 v[99:102], v125 offset0:48 offset1:49
	s_waitcnt lgkmcnt(0)
	v_mul_f64 v[27:28], v[101:102], v[97:98]
	v_fma_f64 v[27:28], v[99:100], v[25:26], -v[27:28]
	v_mul_f64 v[99:100], v[99:100], v[97:98]
	v_add_f64 v[73:74], v[73:74], -v[27:28]
	v_fma_f64 v[99:100], v[101:102], v[25:26], v[99:100]
	v_mov_b32_e32 v27, v97
	v_mov_b32_e32 v28, v98
	v_add_f64 v[75:76], v[75:76], -v[99:100]
.LBB49_163:
	s_or_b64 exec, exec, s[2:3]
	v_cmp_eq_u32_e32 vcc, 18, v0
	s_waitcnt vmcnt(0)
	s_barrier
	s_and_saveexec_b64 s[4:5], vcc
	s_cbranch_execz .LBB49_170
; %bb.164:
	ds_write2_b64 v127, v[21:22], v[23:24] offset1:1
	ds_write2_b64 v125, v[17:18], v[19:20] offset0:38 offset1:39
	ds_write2_b64 v125, v[13:14], v[15:16] offset0:40 offset1:41
	;; [unrolled: 1-line block ×6, first 2 shown]
	ds_read2_b64 v[97:100], v127 offset1:1
	s_waitcnt lgkmcnt(0)
	v_cmp_neq_f64_e32 vcc, 0, v[97:98]
	v_cmp_neq_f64_e64 s[2:3], 0, v[99:100]
	s_or_b64 s[2:3], vcc, s[2:3]
	s_and_b64 exec, exec, s[2:3]
	s_cbranch_execz .LBB49_170
; %bb.165:
	v_cmp_ngt_f64_e64 s[2:3], |v[97:98]|, |v[99:100]|
                                        ; implicit-def: $vgpr101_vgpr102
	s_and_saveexec_b64 s[6:7], s[2:3]
	s_xor_b64 s[2:3], exec, s[6:7]
                                        ; implicit-def: $vgpr103_vgpr104
	s_cbranch_execz .LBB49_167
; %bb.166:
	v_div_scale_f64 v[101:102], s[6:7], v[99:100], v[99:100], v[97:98]
	v_rcp_f64_e32 v[103:104], v[101:102]
	v_fma_f64 v[105:106], -v[101:102], v[103:104], 1.0
	v_fma_f64 v[103:104], v[103:104], v[105:106], v[103:104]
	v_div_scale_f64 v[105:106], vcc, v[97:98], v[99:100], v[97:98]
	v_fma_f64 v[107:108], -v[101:102], v[103:104], 1.0
	v_fma_f64 v[103:104], v[103:104], v[107:108], v[103:104]
	v_mul_f64 v[107:108], v[105:106], v[103:104]
	v_fma_f64 v[101:102], -v[101:102], v[107:108], v[105:106]
	v_div_fmas_f64 v[101:102], v[101:102], v[103:104], v[107:108]
	v_div_fixup_f64 v[101:102], v[101:102], v[99:100], v[97:98]
	v_fma_f64 v[97:98], v[97:98], v[101:102], v[99:100]
	v_div_scale_f64 v[99:100], s[6:7], v[97:98], v[97:98], 1.0
	v_div_scale_f64 v[107:108], vcc, 1.0, v[97:98], 1.0
	v_rcp_f64_e32 v[103:104], v[99:100]
	v_fma_f64 v[105:106], -v[99:100], v[103:104], 1.0
	v_fma_f64 v[103:104], v[103:104], v[105:106], v[103:104]
	v_fma_f64 v[105:106], -v[99:100], v[103:104], 1.0
	v_fma_f64 v[103:104], v[103:104], v[105:106], v[103:104]
	v_mul_f64 v[105:106], v[107:108], v[103:104]
	v_fma_f64 v[99:100], -v[99:100], v[105:106], v[107:108]
	v_div_fmas_f64 v[99:100], v[99:100], v[103:104], v[105:106]
	v_div_fixup_f64 v[103:104], v[99:100], v[97:98], 1.0
                                        ; implicit-def: $vgpr97_vgpr98
	v_mul_f64 v[101:102], v[101:102], v[103:104]
	v_xor_b32_e32 v104, 0x80000000, v104
.LBB49_167:
	s_andn2_saveexec_b64 s[2:3], s[2:3]
	s_cbranch_execz .LBB49_169
; %bb.168:
	v_div_scale_f64 v[101:102], s[6:7], v[97:98], v[97:98], v[99:100]
	v_rcp_f64_e32 v[103:104], v[101:102]
	v_fma_f64 v[105:106], -v[101:102], v[103:104], 1.0
	v_fma_f64 v[103:104], v[103:104], v[105:106], v[103:104]
	v_div_scale_f64 v[105:106], vcc, v[99:100], v[97:98], v[99:100]
	v_fma_f64 v[107:108], -v[101:102], v[103:104], 1.0
	v_fma_f64 v[103:104], v[103:104], v[107:108], v[103:104]
	v_mul_f64 v[107:108], v[105:106], v[103:104]
	v_fma_f64 v[101:102], -v[101:102], v[107:108], v[105:106]
	v_div_fmas_f64 v[101:102], v[101:102], v[103:104], v[107:108]
	v_div_fixup_f64 v[103:104], v[101:102], v[97:98], v[99:100]
	v_fma_f64 v[97:98], v[99:100], v[103:104], v[97:98]
	v_div_scale_f64 v[99:100], s[6:7], v[97:98], v[97:98], 1.0
	v_div_scale_f64 v[107:108], vcc, 1.0, v[97:98], 1.0
	v_rcp_f64_e32 v[101:102], v[99:100]
	v_fma_f64 v[105:106], -v[99:100], v[101:102], 1.0
	v_fma_f64 v[101:102], v[101:102], v[105:106], v[101:102]
	v_fma_f64 v[105:106], -v[99:100], v[101:102], 1.0
	v_fma_f64 v[101:102], v[101:102], v[105:106], v[101:102]
	v_mul_f64 v[105:106], v[107:108], v[101:102]
	v_fma_f64 v[99:100], -v[99:100], v[105:106], v[107:108]
	v_div_fmas_f64 v[99:100], v[99:100], v[101:102], v[105:106]
	v_div_fixup_f64 v[101:102], v[99:100], v[97:98], 1.0
	v_mul_f64 v[103:104], v[103:104], -v[101:102]
.LBB49_169:
	s_or_b64 exec, exec, s[2:3]
	ds_write2_b64 v127, v[101:102], v[103:104] offset1:1
.LBB49_170:
	s_or_b64 exec, exec, s[4:5]
	s_waitcnt lgkmcnt(0)
	s_barrier
	ds_read2_b64 v[97:100], v127 offset1:1
	v_cmp_lt_u32_e32 vcc, 18, v0
	s_waitcnt lgkmcnt(0)
	buffer_store_dword v97, off, s[20:23], 0 offset:544 ; 4-byte Folded Spill
	s_nop 0
	buffer_store_dword v98, off, s[20:23], 0 offset:548 ; 4-byte Folded Spill
	buffer_store_dword v99, off, s[20:23], 0 offset:552 ; 4-byte Folded Spill
	;; [unrolled: 1-line block ×3, first 2 shown]
	s_and_saveexec_b64 s[2:3], vcc
	s_cbranch_execz .LBB49_172
; %bb.171:
	buffer_load_dword v99, off, s[20:23], 0 offset:544 ; 4-byte Folded Reload
	buffer_load_dword v100, off, s[20:23], 0 offset:548 ; 4-byte Folded Reload
	;; [unrolled: 1-line block ×4, first 2 shown]
	ds_read2_b64 v[105:108], v125 offset0:38 offset1:39
	s_waitcnt vmcnt(2)
	v_mul_f64 v[97:98], v[99:100], v[23:24]
	s_waitcnt vmcnt(0)
	v_mul_f64 v[23:24], v[101:102], v[23:24]
	v_fma_f64 v[97:98], v[101:102], v[21:22], v[97:98]
	v_fma_f64 v[21:22], v[99:100], v[21:22], -v[23:24]
	s_waitcnt lgkmcnt(0)
	v_mul_f64 v[23:24], v[107:108], v[97:98]
	v_mul_f64 v[99:100], v[105:106], v[97:98]
	v_fma_f64 v[23:24], v[105:106], v[21:22], -v[23:24]
	v_fma_f64 v[99:100], v[107:108], v[21:22], v[99:100]
	ds_read2_b64 v[105:108], v125 offset0:40 offset1:41
	v_add_f64 v[17:18], v[17:18], -v[23:24]
	v_add_f64 v[19:20], v[19:20], -v[99:100]
	s_waitcnt lgkmcnt(0)
	v_mul_f64 v[23:24], v[107:108], v[97:98]
	v_mul_f64 v[99:100], v[105:106], v[97:98]
	v_fma_f64 v[23:24], v[105:106], v[21:22], -v[23:24]
	v_fma_f64 v[99:100], v[107:108], v[21:22], v[99:100]
	ds_read2_b64 v[105:108], v125 offset0:42 offset1:43
	v_add_f64 v[13:14], v[13:14], -v[23:24]
	v_add_f64 v[15:16], v[15:16], -v[99:100]
	s_waitcnt lgkmcnt(0)
	v_mul_f64 v[23:24], v[107:108], v[97:98]
	v_mul_f64 v[99:100], v[105:106], v[97:98]
	v_fma_f64 v[23:24], v[105:106], v[21:22], -v[23:24]
	v_fma_f64 v[99:100], v[107:108], v[21:22], v[99:100]
	ds_read2_b64 v[105:108], v125 offset0:44 offset1:45
	v_add_f64 v[9:10], v[9:10], -v[23:24]
	v_add_f64 v[11:12], v[11:12], -v[99:100]
	s_waitcnt lgkmcnt(0)
	v_mul_f64 v[23:24], v[107:108], v[97:98]
	v_mul_f64 v[99:100], v[105:106], v[97:98]
	v_fma_f64 v[23:24], v[105:106], v[21:22], -v[23:24]
	v_fma_f64 v[99:100], v[107:108], v[21:22], v[99:100]
	ds_read2_b64 v[105:108], v125 offset0:46 offset1:47
	v_add_f64 v[5:6], v[5:6], -v[23:24]
	v_add_f64 v[7:8], v[7:8], -v[99:100]
	s_waitcnt lgkmcnt(0)
	v_mul_f64 v[23:24], v[107:108], v[97:98]
	v_mul_f64 v[99:100], v[105:106], v[97:98]
	v_fma_f64 v[23:24], v[105:106], v[21:22], -v[23:24]
	v_fma_f64 v[99:100], v[107:108], v[21:22], v[99:100]
	ds_read2_b64 v[105:108], v125 offset0:48 offset1:49
	v_add_f64 v[1:2], v[1:2], -v[23:24]
	v_add_f64 v[3:4], v[3:4], -v[99:100]
	s_waitcnt lgkmcnt(0)
	v_mul_f64 v[23:24], v[107:108], v[97:98]
	v_mul_f64 v[99:100], v[105:106], v[97:98]
	v_fma_f64 v[23:24], v[105:106], v[21:22], -v[23:24]
	v_fma_f64 v[99:100], v[107:108], v[21:22], v[99:100]
	v_add_f64 v[73:74], v[73:74], -v[23:24]
	v_add_f64 v[75:76], v[75:76], -v[99:100]
	v_mov_b32_e32 v23, v97
	v_mov_b32_e32 v24, v98
.LBB49_172:
	s_or_b64 exec, exec, s[2:3]
	v_cmp_eq_u32_e32 vcc, 19, v0
	s_waitcnt vmcnt(0)
	s_barrier
	s_and_saveexec_b64 s[4:5], vcc
	s_cbranch_execz .LBB49_179
; %bb.173:
	ds_write2_b64 v127, v[17:18], v[19:20] offset1:1
	ds_write2_b64 v125, v[13:14], v[15:16] offset0:40 offset1:41
	ds_write2_b64 v125, v[9:10], v[11:12] offset0:42 offset1:43
	;; [unrolled: 1-line block ×5, first 2 shown]
	ds_read2_b64 v[97:100], v127 offset1:1
	s_waitcnt lgkmcnt(0)
	v_cmp_neq_f64_e32 vcc, 0, v[97:98]
	v_cmp_neq_f64_e64 s[2:3], 0, v[99:100]
	s_or_b64 s[2:3], vcc, s[2:3]
	s_and_b64 exec, exec, s[2:3]
	s_cbranch_execz .LBB49_179
; %bb.174:
	v_cmp_ngt_f64_e64 s[2:3], |v[97:98]|, |v[99:100]|
                                        ; implicit-def: $vgpr105_vgpr106
	s_and_saveexec_b64 s[6:7], s[2:3]
	s_xor_b64 s[2:3], exec, s[6:7]
                                        ; implicit-def: $vgpr107_vgpr108
	s_cbranch_execz .LBB49_176
; %bb.175:
	v_div_scale_f64 v[105:106], s[6:7], v[99:100], v[99:100], v[97:98]
	v_rcp_f64_e32 v[107:108], v[105:106]
	v_fma_f64 v[109:110], -v[105:106], v[107:108], 1.0
	v_fma_f64 v[107:108], v[107:108], v[109:110], v[107:108]
	v_div_scale_f64 v[109:110], vcc, v[97:98], v[99:100], v[97:98]
	v_fma_f64 v[111:112], -v[105:106], v[107:108], 1.0
	v_fma_f64 v[107:108], v[107:108], v[111:112], v[107:108]
	v_mul_f64 v[111:112], v[109:110], v[107:108]
	v_fma_f64 v[105:106], -v[105:106], v[111:112], v[109:110]
	v_div_fmas_f64 v[105:106], v[105:106], v[107:108], v[111:112]
	v_div_fixup_f64 v[105:106], v[105:106], v[99:100], v[97:98]
	v_fma_f64 v[97:98], v[97:98], v[105:106], v[99:100]
	v_div_scale_f64 v[99:100], s[6:7], v[97:98], v[97:98], 1.0
	v_div_scale_f64 v[111:112], vcc, 1.0, v[97:98], 1.0
	v_rcp_f64_e32 v[107:108], v[99:100]
	v_fma_f64 v[109:110], -v[99:100], v[107:108], 1.0
	v_fma_f64 v[107:108], v[107:108], v[109:110], v[107:108]
	v_fma_f64 v[109:110], -v[99:100], v[107:108], 1.0
	v_fma_f64 v[107:108], v[107:108], v[109:110], v[107:108]
	v_mul_f64 v[109:110], v[111:112], v[107:108]
	v_fma_f64 v[99:100], -v[99:100], v[109:110], v[111:112]
	v_div_fmas_f64 v[99:100], v[99:100], v[107:108], v[109:110]
	v_div_fixup_f64 v[107:108], v[99:100], v[97:98], 1.0
                                        ; implicit-def: $vgpr97_vgpr98
	v_mul_f64 v[105:106], v[105:106], v[107:108]
	v_xor_b32_e32 v108, 0x80000000, v108
.LBB49_176:
	s_andn2_saveexec_b64 s[2:3], s[2:3]
	s_cbranch_execz .LBB49_178
; %bb.177:
	v_div_scale_f64 v[105:106], s[6:7], v[97:98], v[97:98], v[99:100]
	v_rcp_f64_e32 v[107:108], v[105:106]
	v_fma_f64 v[109:110], -v[105:106], v[107:108], 1.0
	v_fma_f64 v[107:108], v[107:108], v[109:110], v[107:108]
	v_div_scale_f64 v[109:110], vcc, v[99:100], v[97:98], v[99:100]
	v_fma_f64 v[111:112], -v[105:106], v[107:108], 1.0
	v_fma_f64 v[107:108], v[107:108], v[111:112], v[107:108]
	v_mul_f64 v[111:112], v[109:110], v[107:108]
	v_fma_f64 v[105:106], -v[105:106], v[111:112], v[109:110]
	v_div_fmas_f64 v[105:106], v[105:106], v[107:108], v[111:112]
	v_div_fixup_f64 v[107:108], v[105:106], v[97:98], v[99:100]
	v_fma_f64 v[97:98], v[99:100], v[107:108], v[97:98]
	v_div_scale_f64 v[99:100], s[6:7], v[97:98], v[97:98], 1.0
	v_div_scale_f64 v[111:112], vcc, 1.0, v[97:98], 1.0
	v_rcp_f64_e32 v[105:106], v[99:100]
	v_fma_f64 v[109:110], -v[99:100], v[105:106], 1.0
	v_fma_f64 v[105:106], v[105:106], v[109:110], v[105:106]
	v_fma_f64 v[109:110], -v[99:100], v[105:106], 1.0
	v_fma_f64 v[105:106], v[105:106], v[109:110], v[105:106]
	v_mul_f64 v[109:110], v[111:112], v[105:106]
	v_fma_f64 v[99:100], -v[99:100], v[109:110], v[111:112]
	v_div_fmas_f64 v[99:100], v[99:100], v[105:106], v[109:110]
	v_div_fixup_f64 v[105:106], v[99:100], v[97:98], 1.0
	v_mul_f64 v[107:108], v[107:108], -v[105:106]
.LBB49_178:
	s_or_b64 exec, exec, s[2:3]
	ds_write2_b64 v127, v[105:106], v[107:108] offset1:1
.LBB49_179:
	s_or_b64 exec, exec, s[4:5]
	s_waitcnt lgkmcnt(0)
	s_barrier
	ds_read2_b64 v[57:60], v127 offset1:1
	v_cmp_lt_u32_e32 vcc, 19, v0
	s_and_saveexec_b64 s[2:3], vcc
	s_cbranch_execz .LBB49_181
; %bb.180:
	s_waitcnt lgkmcnt(0)
	v_mul_f64 v[97:98], v[57:58], v[19:20]
	v_mul_f64 v[19:20], v[59:60], v[19:20]
	v_fma_f64 v[109:110], v[59:60], v[17:18], v[97:98]
	ds_read2_b64 v[97:100], v125 offset0:40 offset1:41
	v_fma_f64 v[17:18], v[57:58], v[17:18], -v[19:20]
	s_waitcnt lgkmcnt(0)
	v_mul_f64 v[19:20], v[99:100], v[109:110]
	v_fma_f64 v[19:20], v[97:98], v[17:18], -v[19:20]
	v_mul_f64 v[97:98], v[97:98], v[109:110]
	v_add_f64 v[13:14], v[13:14], -v[19:20]
	v_fma_f64 v[97:98], v[99:100], v[17:18], v[97:98]
	v_add_f64 v[15:16], v[15:16], -v[97:98]
	ds_read2_b64 v[97:100], v125 offset0:42 offset1:43
	s_waitcnt lgkmcnt(0)
	v_mul_f64 v[19:20], v[99:100], v[109:110]
	v_fma_f64 v[19:20], v[97:98], v[17:18], -v[19:20]
	v_mul_f64 v[97:98], v[97:98], v[109:110]
	v_add_f64 v[9:10], v[9:10], -v[19:20]
	v_fma_f64 v[97:98], v[99:100], v[17:18], v[97:98]
	v_add_f64 v[11:12], v[11:12], -v[97:98]
	ds_read2_b64 v[97:100], v125 offset0:44 offset1:45
	;; [unrolled: 8-line block ×4, first 2 shown]
	s_waitcnt lgkmcnt(0)
	v_mul_f64 v[19:20], v[99:100], v[109:110]
	v_fma_f64 v[19:20], v[97:98], v[17:18], -v[19:20]
	v_mul_f64 v[97:98], v[97:98], v[109:110]
	v_add_f64 v[73:74], v[73:74], -v[19:20]
	v_fma_f64 v[97:98], v[99:100], v[17:18], v[97:98]
	v_mov_b32_e32 v19, v109
	v_mov_b32_e32 v20, v110
	v_add_f64 v[75:76], v[75:76], -v[97:98]
.LBB49_181:
	s_or_b64 exec, exec, s[2:3]
	v_cmp_eq_u32_e32 vcc, 20, v0
	s_waitcnt lgkmcnt(0)
	s_barrier
	s_and_saveexec_b64 s[4:5], vcc
	s_cbranch_execz .LBB49_188
; %bb.182:
	ds_write2_b64 v127, v[13:14], v[15:16] offset1:1
	ds_write2_b64 v125, v[9:10], v[11:12] offset0:42 offset1:43
	ds_write2_b64 v125, v[5:6], v[7:8] offset0:44 offset1:45
	;; [unrolled: 1-line block ×4, first 2 shown]
	ds_read2_b64 v[97:100], v127 offset1:1
	s_waitcnt lgkmcnt(0)
	v_cmp_neq_f64_e32 vcc, 0, v[97:98]
	v_cmp_neq_f64_e64 s[2:3], 0, v[99:100]
	s_or_b64 s[2:3], vcc, s[2:3]
	s_and_b64 exec, exec, s[2:3]
	s_cbranch_execz .LBB49_188
; %bb.183:
	v_cmp_ngt_f64_e64 s[2:3], |v[97:98]|, |v[99:100]|
                                        ; implicit-def: $vgpr109_vgpr110
	s_and_saveexec_b64 s[6:7], s[2:3]
	s_xor_b64 s[2:3], exec, s[6:7]
                                        ; implicit-def: $vgpr111_vgpr112
	s_cbranch_execz .LBB49_185
; %bb.184:
	v_div_scale_f64 v[109:110], s[6:7], v[99:100], v[99:100], v[97:98]
	v_rcp_f64_e32 v[111:112], v[109:110]
	v_fma_f64 v[113:114], -v[109:110], v[111:112], 1.0
	v_fma_f64 v[111:112], v[111:112], v[113:114], v[111:112]
	v_div_scale_f64 v[113:114], vcc, v[97:98], v[99:100], v[97:98]
	v_fma_f64 v[115:116], -v[109:110], v[111:112], 1.0
	v_fma_f64 v[111:112], v[111:112], v[115:116], v[111:112]
	v_mul_f64 v[115:116], v[113:114], v[111:112]
	v_fma_f64 v[109:110], -v[109:110], v[115:116], v[113:114]
	v_div_fmas_f64 v[109:110], v[109:110], v[111:112], v[115:116]
	v_div_fixup_f64 v[109:110], v[109:110], v[99:100], v[97:98]
	v_fma_f64 v[97:98], v[97:98], v[109:110], v[99:100]
	v_div_scale_f64 v[99:100], s[6:7], v[97:98], v[97:98], 1.0
	v_div_scale_f64 v[115:116], vcc, 1.0, v[97:98], 1.0
	v_rcp_f64_e32 v[111:112], v[99:100]
	v_fma_f64 v[113:114], -v[99:100], v[111:112], 1.0
	v_fma_f64 v[111:112], v[111:112], v[113:114], v[111:112]
	v_fma_f64 v[113:114], -v[99:100], v[111:112], 1.0
	v_fma_f64 v[111:112], v[111:112], v[113:114], v[111:112]
	v_mul_f64 v[113:114], v[115:116], v[111:112]
	v_fma_f64 v[99:100], -v[99:100], v[113:114], v[115:116]
	v_div_fmas_f64 v[99:100], v[99:100], v[111:112], v[113:114]
	v_div_fixup_f64 v[111:112], v[99:100], v[97:98], 1.0
                                        ; implicit-def: $vgpr97_vgpr98
	v_mul_f64 v[109:110], v[109:110], v[111:112]
	v_xor_b32_e32 v112, 0x80000000, v112
.LBB49_185:
	s_andn2_saveexec_b64 s[2:3], s[2:3]
	s_cbranch_execz .LBB49_187
; %bb.186:
	v_div_scale_f64 v[109:110], s[6:7], v[97:98], v[97:98], v[99:100]
	v_rcp_f64_e32 v[111:112], v[109:110]
	v_fma_f64 v[113:114], -v[109:110], v[111:112], 1.0
	v_fma_f64 v[111:112], v[111:112], v[113:114], v[111:112]
	v_div_scale_f64 v[113:114], vcc, v[99:100], v[97:98], v[99:100]
	v_fma_f64 v[115:116], -v[109:110], v[111:112], 1.0
	v_fma_f64 v[111:112], v[111:112], v[115:116], v[111:112]
	v_mul_f64 v[115:116], v[113:114], v[111:112]
	v_fma_f64 v[109:110], -v[109:110], v[115:116], v[113:114]
	v_div_fmas_f64 v[109:110], v[109:110], v[111:112], v[115:116]
	v_div_fixup_f64 v[111:112], v[109:110], v[97:98], v[99:100]
	v_fma_f64 v[97:98], v[99:100], v[111:112], v[97:98]
	v_div_scale_f64 v[99:100], s[6:7], v[97:98], v[97:98], 1.0
	v_div_scale_f64 v[115:116], vcc, 1.0, v[97:98], 1.0
	v_rcp_f64_e32 v[109:110], v[99:100]
	v_fma_f64 v[113:114], -v[99:100], v[109:110], 1.0
	v_fma_f64 v[109:110], v[109:110], v[113:114], v[109:110]
	v_fma_f64 v[113:114], -v[99:100], v[109:110], 1.0
	v_fma_f64 v[109:110], v[109:110], v[113:114], v[109:110]
	v_mul_f64 v[113:114], v[115:116], v[109:110]
	v_fma_f64 v[99:100], -v[99:100], v[113:114], v[115:116]
	v_div_fmas_f64 v[99:100], v[99:100], v[109:110], v[113:114]
	v_div_fixup_f64 v[109:110], v[99:100], v[97:98], 1.0
	v_mul_f64 v[111:112], v[111:112], -v[109:110]
.LBB49_187:
	s_or_b64 exec, exec, s[2:3]
	ds_write2_b64 v127, v[109:110], v[111:112] offset1:1
.LBB49_188:
	s_or_b64 exec, exec, s[4:5]
	s_waitcnt lgkmcnt(0)
	s_barrier
	ds_read2_b64 v[53:56], v127 offset1:1
	v_cmp_lt_u32_e32 vcc, 20, v0
	s_and_saveexec_b64 s[2:3], vcc
	s_cbranch_execz .LBB49_190
; %bb.189:
	s_waitcnt lgkmcnt(0)
	v_mul_f64 v[97:98], v[53:54], v[15:16]
	v_mul_f64 v[15:16], v[55:56], v[15:16]
	v_fma_f64 v[113:114], v[55:56], v[13:14], v[97:98]
	ds_read2_b64 v[97:100], v125 offset0:42 offset1:43
	v_fma_f64 v[13:14], v[53:54], v[13:14], -v[15:16]
	s_waitcnt lgkmcnt(0)
	v_mul_f64 v[15:16], v[99:100], v[113:114]
	v_fma_f64 v[15:16], v[97:98], v[13:14], -v[15:16]
	v_mul_f64 v[97:98], v[97:98], v[113:114]
	v_add_f64 v[9:10], v[9:10], -v[15:16]
	v_fma_f64 v[97:98], v[99:100], v[13:14], v[97:98]
	v_add_f64 v[11:12], v[11:12], -v[97:98]
	ds_read2_b64 v[97:100], v125 offset0:44 offset1:45
	s_waitcnt lgkmcnt(0)
	v_mul_f64 v[15:16], v[99:100], v[113:114]
	v_fma_f64 v[15:16], v[97:98], v[13:14], -v[15:16]
	v_mul_f64 v[97:98], v[97:98], v[113:114]
	v_add_f64 v[5:6], v[5:6], -v[15:16]
	v_fma_f64 v[97:98], v[99:100], v[13:14], v[97:98]
	v_add_f64 v[7:8], v[7:8], -v[97:98]
	ds_read2_b64 v[97:100], v125 offset0:46 offset1:47
	;; [unrolled: 8-line block ×3, first 2 shown]
	s_waitcnt lgkmcnt(0)
	v_mul_f64 v[15:16], v[99:100], v[113:114]
	v_fma_f64 v[15:16], v[97:98], v[13:14], -v[15:16]
	v_mul_f64 v[97:98], v[97:98], v[113:114]
	v_add_f64 v[73:74], v[73:74], -v[15:16]
	v_fma_f64 v[97:98], v[99:100], v[13:14], v[97:98]
	v_mov_b32_e32 v15, v113
	v_mov_b32_e32 v16, v114
	v_add_f64 v[75:76], v[75:76], -v[97:98]
.LBB49_190:
	s_or_b64 exec, exec, s[2:3]
	v_cmp_eq_u32_e32 vcc, 21, v0
	s_waitcnt lgkmcnt(0)
	s_barrier
	s_and_saveexec_b64 s[4:5], vcc
	s_cbranch_execz .LBB49_197
; %bb.191:
	ds_write2_b64 v127, v[9:10], v[11:12] offset1:1
	ds_write2_b64 v125, v[5:6], v[7:8] offset0:44 offset1:45
	ds_write2_b64 v125, v[1:2], v[3:4] offset0:46 offset1:47
	;; [unrolled: 1-line block ×3, first 2 shown]
	ds_read2_b64 v[97:100], v127 offset1:1
	s_waitcnt lgkmcnt(0)
	v_cmp_neq_f64_e32 vcc, 0, v[97:98]
	v_cmp_neq_f64_e64 s[2:3], 0, v[99:100]
	s_or_b64 s[2:3], vcc, s[2:3]
	s_and_b64 exec, exec, s[2:3]
	s_cbranch_execz .LBB49_197
; %bb.192:
	v_cmp_ngt_f64_e64 s[2:3], |v[97:98]|, |v[99:100]|
                                        ; implicit-def: $vgpr113_vgpr114
	s_and_saveexec_b64 s[6:7], s[2:3]
	s_xor_b64 s[2:3], exec, s[6:7]
                                        ; implicit-def: $vgpr115_vgpr116
	s_cbranch_execz .LBB49_194
; %bb.193:
	v_div_scale_f64 v[113:114], s[6:7], v[99:100], v[99:100], v[97:98]
	v_rcp_f64_e32 v[115:116], v[113:114]
	v_fma_f64 v[117:118], -v[113:114], v[115:116], 1.0
	v_fma_f64 v[115:116], v[115:116], v[117:118], v[115:116]
	v_div_scale_f64 v[117:118], vcc, v[97:98], v[99:100], v[97:98]
	v_fma_f64 v[119:120], -v[113:114], v[115:116], 1.0
	v_fma_f64 v[115:116], v[115:116], v[119:120], v[115:116]
	v_mul_f64 v[119:120], v[117:118], v[115:116]
	v_fma_f64 v[113:114], -v[113:114], v[119:120], v[117:118]
	v_div_fmas_f64 v[113:114], v[113:114], v[115:116], v[119:120]
	v_div_fixup_f64 v[113:114], v[113:114], v[99:100], v[97:98]
	v_fma_f64 v[97:98], v[97:98], v[113:114], v[99:100]
	v_div_scale_f64 v[99:100], s[6:7], v[97:98], v[97:98], 1.0
	v_div_scale_f64 v[119:120], vcc, 1.0, v[97:98], 1.0
	v_rcp_f64_e32 v[115:116], v[99:100]
	v_fma_f64 v[117:118], -v[99:100], v[115:116], 1.0
	v_fma_f64 v[115:116], v[115:116], v[117:118], v[115:116]
	v_fma_f64 v[117:118], -v[99:100], v[115:116], 1.0
	v_fma_f64 v[115:116], v[115:116], v[117:118], v[115:116]
	v_mul_f64 v[117:118], v[119:120], v[115:116]
	v_fma_f64 v[99:100], -v[99:100], v[117:118], v[119:120]
	v_div_fmas_f64 v[99:100], v[99:100], v[115:116], v[117:118]
	v_div_fixup_f64 v[115:116], v[99:100], v[97:98], 1.0
                                        ; implicit-def: $vgpr97_vgpr98
	v_mul_f64 v[113:114], v[113:114], v[115:116]
	v_xor_b32_e32 v116, 0x80000000, v116
.LBB49_194:
	s_andn2_saveexec_b64 s[2:3], s[2:3]
	s_cbranch_execz .LBB49_196
; %bb.195:
	v_div_scale_f64 v[113:114], s[6:7], v[97:98], v[97:98], v[99:100]
	v_rcp_f64_e32 v[115:116], v[113:114]
	v_fma_f64 v[117:118], -v[113:114], v[115:116], 1.0
	v_fma_f64 v[115:116], v[115:116], v[117:118], v[115:116]
	v_div_scale_f64 v[117:118], vcc, v[99:100], v[97:98], v[99:100]
	v_fma_f64 v[119:120], -v[113:114], v[115:116], 1.0
	v_fma_f64 v[115:116], v[115:116], v[119:120], v[115:116]
	v_mul_f64 v[119:120], v[117:118], v[115:116]
	v_fma_f64 v[113:114], -v[113:114], v[119:120], v[117:118]
	v_div_fmas_f64 v[113:114], v[113:114], v[115:116], v[119:120]
	v_div_fixup_f64 v[115:116], v[113:114], v[97:98], v[99:100]
	v_fma_f64 v[97:98], v[99:100], v[115:116], v[97:98]
	v_div_scale_f64 v[99:100], s[6:7], v[97:98], v[97:98], 1.0
	v_div_scale_f64 v[119:120], vcc, 1.0, v[97:98], 1.0
	v_rcp_f64_e32 v[113:114], v[99:100]
	v_fma_f64 v[117:118], -v[99:100], v[113:114], 1.0
	v_fma_f64 v[113:114], v[113:114], v[117:118], v[113:114]
	v_fma_f64 v[117:118], -v[99:100], v[113:114], 1.0
	v_fma_f64 v[113:114], v[113:114], v[117:118], v[113:114]
	v_mul_f64 v[117:118], v[119:120], v[113:114]
	v_fma_f64 v[99:100], -v[99:100], v[117:118], v[119:120]
	v_div_fmas_f64 v[99:100], v[99:100], v[113:114], v[117:118]
	v_div_fixup_f64 v[113:114], v[99:100], v[97:98], 1.0
	v_mul_f64 v[115:116], v[115:116], -v[113:114]
.LBB49_196:
	s_or_b64 exec, exec, s[2:3]
	ds_write2_b64 v127, v[113:114], v[115:116] offset1:1
.LBB49_197:
	s_or_b64 exec, exec, s[4:5]
	s_waitcnt lgkmcnt(0)
	s_barrier
	ds_read2_b64 v[113:116], v127 offset1:1
	v_cmp_lt_u32_e32 vcc, 21, v0
	s_and_saveexec_b64 s[2:3], vcc
	s_cbranch_execz .LBB49_199
; %bb.198:
	s_waitcnt lgkmcnt(0)
	v_mul_f64 v[97:98], v[113:114], v[11:12]
	v_mul_f64 v[11:12], v[115:116], v[11:12]
	v_fma_f64 v[117:118], v[115:116], v[9:10], v[97:98]
	ds_read2_b64 v[97:100], v125 offset0:44 offset1:45
	v_fma_f64 v[9:10], v[113:114], v[9:10], -v[11:12]
	s_waitcnt lgkmcnt(0)
	v_mul_f64 v[11:12], v[99:100], v[117:118]
	v_fma_f64 v[11:12], v[97:98], v[9:10], -v[11:12]
	v_mul_f64 v[97:98], v[97:98], v[117:118]
	v_add_f64 v[5:6], v[5:6], -v[11:12]
	v_fma_f64 v[97:98], v[99:100], v[9:10], v[97:98]
	v_add_f64 v[7:8], v[7:8], -v[97:98]
	ds_read2_b64 v[97:100], v125 offset0:46 offset1:47
	s_waitcnt lgkmcnt(0)
	v_mul_f64 v[11:12], v[99:100], v[117:118]
	v_fma_f64 v[11:12], v[97:98], v[9:10], -v[11:12]
	v_mul_f64 v[97:98], v[97:98], v[117:118]
	v_add_f64 v[1:2], v[1:2], -v[11:12]
	v_fma_f64 v[97:98], v[99:100], v[9:10], v[97:98]
	v_add_f64 v[3:4], v[3:4], -v[97:98]
	ds_read2_b64 v[97:100], v125 offset0:48 offset1:49
	s_waitcnt lgkmcnt(0)
	v_mul_f64 v[11:12], v[99:100], v[117:118]
	v_fma_f64 v[11:12], v[97:98], v[9:10], -v[11:12]
	v_mul_f64 v[97:98], v[97:98], v[117:118]
	v_add_f64 v[73:74], v[73:74], -v[11:12]
	v_fma_f64 v[97:98], v[99:100], v[9:10], v[97:98]
	v_mov_b32_e32 v11, v117
	v_mov_b32_e32 v12, v118
	v_add_f64 v[75:76], v[75:76], -v[97:98]
.LBB49_199:
	s_or_b64 exec, exec, s[2:3]
	v_cmp_eq_u32_e32 vcc, 22, v0
	s_waitcnt lgkmcnt(0)
	s_barrier
	s_and_saveexec_b64 s[4:5], vcc
	s_cbranch_execz .LBB49_206
; %bb.200:
	ds_write2_b64 v127, v[5:6], v[7:8] offset1:1
	ds_write2_b64 v125, v[1:2], v[3:4] offset0:46 offset1:47
	ds_write2_b64 v125, v[73:74], v[75:76] offset0:48 offset1:49
	ds_read2_b64 v[97:100], v127 offset1:1
	s_waitcnt lgkmcnt(0)
	v_cmp_neq_f64_e32 vcc, 0, v[97:98]
	v_cmp_neq_f64_e64 s[2:3], 0, v[99:100]
	s_or_b64 s[2:3], vcc, s[2:3]
	s_and_b64 exec, exec, s[2:3]
	s_cbranch_execz .LBB49_206
; %bb.201:
	v_cmp_ngt_f64_e64 s[2:3], |v[97:98]|, |v[99:100]|
                                        ; implicit-def: $vgpr117_vgpr118
	s_and_saveexec_b64 s[6:7], s[2:3]
	s_xor_b64 s[2:3], exec, s[6:7]
                                        ; implicit-def: $vgpr119_vgpr120
	s_cbranch_execz .LBB49_203
; %bb.202:
	v_div_scale_f64 v[117:118], s[6:7], v[99:100], v[99:100], v[97:98]
	v_rcp_f64_e32 v[119:120], v[117:118]
	v_fma_f64 v[121:122], -v[117:118], v[119:120], 1.0
	v_fma_f64 v[119:120], v[119:120], v[121:122], v[119:120]
	v_div_scale_f64 v[121:122], vcc, v[97:98], v[99:100], v[97:98]
	v_fma_f64 v[123:124], -v[117:118], v[119:120], 1.0
	v_fma_f64 v[119:120], v[119:120], v[123:124], v[119:120]
	v_mul_f64 v[123:124], v[121:122], v[119:120]
	v_fma_f64 v[117:118], -v[117:118], v[123:124], v[121:122]
	v_div_fmas_f64 v[117:118], v[117:118], v[119:120], v[123:124]
	v_div_fixup_f64 v[117:118], v[117:118], v[99:100], v[97:98]
	v_fma_f64 v[97:98], v[97:98], v[117:118], v[99:100]
	v_div_scale_f64 v[99:100], s[6:7], v[97:98], v[97:98], 1.0
	v_div_scale_f64 v[123:124], vcc, 1.0, v[97:98], 1.0
	v_rcp_f64_e32 v[119:120], v[99:100]
	v_fma_f64 v[121:122], -v[99:100], v[119:120], 1.0
	v_fma_f64 v[119:120], v[119:120], v[121:122], v[119:120]
	v_fma_f64 v[121:122], -v[99:100], v[119:120], 1.0
	v_fma_f64 v[119:120], v[119:120], v[121:122], v[119:120]
	v_mul_f64 v[121:122], v[123:124], v[119:120]
	v_fma_f64 v[99:100], -v[99:100], v[121:122], v[123:124]
	v_div_fmas_f64 v[99:100], v[99:100], v[119:120], v[121:122]
	v_div_fixup_f64 v[119:120], v[99:100], v[97:98], 1.0
                                        ; implicit-def: $vgpr97_vgpr98
	v_mul_f64 v[117:118], v[117:118], v[119:120]
	v_xor_b32_e32 v120, 0x80000000, v120
.LBB49_203:
	s_andn2_saveexec_b64 s[2:3], s[2:3]
	s_cbranch_execz .LBB49_205
; %bb.204:
	v_div_scale_f64 v[117:118], s[6:7], v[97:98], v[97:98], v[99:100]
	v_rcp_f64_e32 v[119:120], v[117:118]
	v_fma_f64 v[121:122], -v[117:118], v[119:120], 1.0
	v_fma_f64 v[119:120], v[119:120], v[121:122], v[119:120]
	v_div_scale_f64 v[121:122], vcc, v[99:100], v[97:98], v[99:100]
	v_fma_f64 v[123:124], -v[117:118], v[119:120], 1.0
	v_fma_f64 v[119:120], v[119:120], v[123:124], v[119:120]
	v_mul_f64 v[123:124], v[121:122], v[119:120]
	v_fma_f64 v[117:118], -v[117:118], v[123:124], v[121:122]
	v_div_fmas_f64 v[117:118], v[117:118], v[119:120], v[123:124]
	v_div_fixup_f64 v[119:120], v[117:118], v[97:98], v[99:100]
	v_fma_f64 v[97:98], v[99:100], v[119:120], v[97:98]
	v_div_scale_f64 v[99:100], s[6:7], v[97:98], v[97:98], 1.0
	v_div_scale_f64 v[123:124], vcc, 1.0, v[97:98], 1.0
	v_rcp_f64_e32 v[117:118], v[99:100]
	v_fma_f64 v[121:122], -v[99:100], v[117:118], 1.0
	v_fma_f64 v[117:118], v[117:118], v[121:122], v[117:118]
	v_fma_f64 v[121:122], -v[99:100], v[117:118], 1.0
	v_fma_f64 v[117:118], v[117:118], v[121:122], v[117:118]
	v_mul_f64 v[121:122], v[123:124], v[117:118]
	v_fma_f64 v[99:100], -v[99:100], v[121:122], v[123:124]
	v_div_fmas_f64 v[99:100], v[99:100], v[117:118], v[121:122]
	v_div_fixup_f64 v[117:118], v[99:100], v[97:98], 1.0
	v_mul_f64 v[119:120], v[119:120], -v[117:118]
.LBB49_205:
	s_or_b64 exec, exec, s[2:3]
	ds_write2_b64 v127, v[117:118], v[119:120] offset1:1
.LBB49_206:
	s_or_b64 exec, exec, s[4:5]
	s_waitcnt lgkmcnt(0)
	s_barrier
	ds_read2_b64 v[121:124], v127 offset1:1
	v_cmp_lt_u32_e32 vcc, 22, v0
	s_and_saveexec_b64 s[2:3], vcc
	s_cbranch_execz .LBB49_208
; %bb.207:
	s_waitcnt lgkmcnt(0)
	v_mul_f64 v[97:98], v[121:122], v[7:8]
	v_mul_f64 v[7:8], v[123:124], v[7:8]
	v_fma_f64 v[117:118], v[123:124], v[5:6], v[97:98]
	ds_read2_b64 v[97:100], v125 offset0:46 offset1:47
	v_fma_f64 v[5:6], v[121:122], v[5:6], -v[7:8]
	s_waitcnt lgkmcnt(0)
	v_mul_f64 v[7:8], v[99:100], v[117:118]
	v_fma_f64 v[7:8], v[97:98], v[5:6], -v[7:8]
	v_mul_f64 v[97:98], v[97:98], v[117:118]
	v_add_f64 v[1:2], v[1:2], -v[7:8]
	v_fma_f64 v[97:98], v[99:100], v[5:6], v[97:98]
	v_add_f64 v[3:4], v[3:4], -v[97:98]
	ds_read2_b64 v[97:100], v125 offset0:48 offset1:49
	s_waitcnt lgkmcnt(0)
	v_mul_f64 v[7:8], v[99:100], v[117:118]
	v_fma_f64 v[7:8], v[97:98], v[5:6], -v[7:8]
	v_mul_f64 v[97:98], v[97:98], v[117:118]
	v_add_f64 v[73:74], v[73:74], -v[7:8]
	v_fma_f64 v[97:98], v[99:100], v[5:6], v[97:98]
	v_mov_b32_e32 v7, v117
	v_mov_b32_e32 v8, v118
	v_add_f64 v[75:76], v[75:76], -v[97:98]
.LBB49_208:
	s_or_b64 exec, exec, s[2:3]
	v_cmp_eq_u32_e32 vcc, 23, v0
	s_waitcnt lgkmcnt(0)
	s_barrier
	s_and_saveexec_b64 s[4:5], vcc
	s_cbranch_execz .LBB49_215
; %bb.209:
	ds_write2_b64 v127, v[1:2], v[3:4] offset1:1
	ds_write2_b64 v125, v[73:74], v[75:76] offset0:48 offset1:49
	ds_read2_b64 v[97:100], v127 offset1:1
	s_waitcnt lgkmcnt(0)
	v_cmp_neq_f64_e32 vcc, 0, v[97:98]
	v_cmp_neq_f64_e64 s[2:3], 0, v[99:100]
	s_or_b64 s[2:3], vcc, s[2:3]
	s_and_b64 exec, exec, s[2:3]
	s_cbranch_execz .LBB49_215
; %bb.210:
	v_cmp_ngt_f64_e64 s[2:3], |v[97:98]|, |v[99:100]|
                                        ; implicit-def: $vgpr117_vgpr118
	s_and_saveexec_b64 s[6:7], s[2:3]
	s_xor_b64 s[2:3], exec, s[6:7]
                                        ; implicit-def: $vgpr119_vgpr120
	s_cbranch_execz .LBB49_212
; %bb.211:
	v_div_scale_f64 v[117:118], s[6:7], v[99:100], v[99:100], v[97:98]
	v_mov_b32_e32 v104, v64
	v_mov_b32_e32 v103, v63
	;; [unrolled: 1-line block ×14, first 2 shown]
	v_rcp_f64_e32 v[119:120], v[117:118]
	v_mov_b32_e32 v71, v79
	v_mov_b32_e32 v72, v80
	;; [unrolled: 1-line block ×14, first 2 shown]
	v_div_scale_f64 v[95:96], vcc, v[97:98], v[99:100], v[97:98]
	v_fma_f64 v[93:94], -v[117:118], v[119:120], 1.0
	v_fma_f64 v[93:94], v[119:120], v[93:94], v[119:120]
	v_fma_f64 v[119:120], -v[117:118], v[93:94], 1.0
	v_fma_f64 v[93:94], v[93:94], v[119:120], v[93:94]
	v_mul_f64 v[119:120], v[95:96], v[93:94]
	v_fma_f64 v[95:96], -v[117:118], v[119:120], v[95:96]
	v_div_fmas_f64 v[93:94], v[95:96], v[93:94], v[119:120]
	v_div_fixup_f64 v[93:94], v[93:94], v[99:100], v[97:98]
	v_fma_f64 v[95:96], v[97:98], v[93:94], v[99:100]
	v_div_scale_f64 v[97:98], s[6:7], v[95:96], v[95:96], 1.0
	v_div_scale_f64 v[119:120], vcc, 1.0, v[95:96], 1.0
	v_rcp_f64_e32 v[99:100], v[97:98]
	v_fma_f64 v[117:118], -v[97:98], v[99:100], 1.0
	v_fma_f64 v[99:100], v[99:100], v[117:118], v[99:100]
	v_fma_f64 v[117:118], -v[97:98], v[99:100], 1.0
	v_fma_f64 v[99:100], v[99:100], v[117:118], v[99:100]
	v_mul_f64 v[117:118], v[119:120], v[99:100]
	v_fma_f64 v[97:98], -v[97:98], v[117:118], v[119:120]
	v_div_fmas_f64 v[97:98], v[97:98], v[99:100], v[117:118]
	v_div_fixup_f64 v[119:120], v[97:98], v[95:96], 1.0
                                        ; implicit-def: $vgpr97_vgpr98
	v_mul_f64 v[117:118], v[93:94], v[119:120]
	v_mov_b32_e32 v96, v88
	v_mov_b32_e32 v95, v87
	;; [unrolled: 1-line block ×28, first 2 shown]
	v_xor_b32_e32 v120, 0x80000000, v120
.LBB49_212:
	s_andn2_saveexec_b64 s[2:3], s[2:3]
	s_cbranch_execz .LBB49_214
; %bb.213:
	v_mov_b32_e32 v104, v96
	v_mov_b32_e32 v103, v95
	;; [unrolled: 1-line block ×4, first 2 shown]
	v_div_scale_f64 v[93:94], s[6:7], v[97:98], v[97:98], v[99:100]
	v_rcp_f64_e32 v[95:96], v[93:94]
	v_fma_f64 v[117:118], -v[93:94], v[95:96], 1.0
	v_fma_f64 v[95:96], v[95:96], v[117:118], v[95:96]
	v_div_scale_f64 v[117:118], vcc, v[99:100], v[97:98], v[99:100]
	v_fma_f64 v[119:120], -v[93:94], v[95:96], 1.0
	v_fma_f64 v[95:96], v[95:96], v[119:120], v[95:96]
	v_mul_f64 v[119:120], v[117:118], v[95:96]
	v_fma_f64 v[93:94], -v[93:94], v[119:120], v[117:118]
	v_div_fmas_f64 v[93:94], v[93:94], v[95:96], v[119:120]
	v_div_fixup_f64 v[93:94], v[93:94], v[97:98], v[99:100]
	v_fma_f64 v[95:96], v[99:100], v[93:94], v[97:98]
	v_div_scale_f64 v[97:98], s[6:7], v[95:96], v[95:96], 1.0
	v_div_scale_f64 v[119:120], vcc, 1.0, v[95:96], 1.0
	v_rcp_f64_e32 v[99:100], v[97:98]
	v_fma_f64 v[117:118], -v[97:98], v[99:100], 1.0
	v_fma_f64 v[99:100], v[99:100], v[117:118], v[99:100]
	v_fma_f64 v[117:118], -v[97:98], v[99:100], 1.0
	v_fma_f64 v[99:100], v[99:100], v[117:118], v[99:100]
	v_mul_f64 v[117:118], v[119:120], v[99:100]
	v_fma_f64 v[97:98], -v[97:98], v[117:118], v[119:120]
	v_div_fmas_f64 v[97:98], v[97:98], v[99:100], v[117:118]
	v_div_fixup_f64 v[117:118], v[97:98], v[95:96], 1.0
	v_mul_f64 v[119:120], v[93:94], -v[117:118]
	v_mov_b32_e32 v93, v101
	v_mov_b32_e32 v94, v102
	;; [unrolled: 1-line block ×4, first 2 shown]
.LBB49_214:
	s_or_b64 exec, exec, s[2:3]
	ds_write2_b64 v127, v[117:118], v[119:120] offset1:1
.LBB49_215:
	s_or_b64 exec, exec, s[4:5]
	s_waitcnt lgkmcnt(0)
	s_barrier
	ds_read2_b64 v[97:100], v127 offset1:1
	v_cmp_lt_u32_e32 vcc, 23, v0
	s_and_saveexec_b64 s[2:3], vcc
	s_cbranch_execz .LBB49_217
; %bb.216:
	v_mov_b32_e32 v104, v96
	v_mov_b32_e32 v103, v95
	;; [unrolled: 1-line block ×4, first 2 shown]
	s_waitcnt lgkmcnt(0)
	v_mul_f64 v[93:94], v[97:98], v[3:4]
	v_mul_f64 v[3:4], v[99:100], v[3:4]
	ds_read2_b64 v[117:120], v125 offset0:48 offset1:49
	v_fma_f64 v[93:94], v[99:100], v[1:2], v[93:94]
	v_fma_f64 v[1:2], v[97:98], v[1:2], -v[3:4]
	s_waitcnt lgkmcnt(0)
	v_mul_f64 v[3:4], v[119:120], v[93:94]
	v_mul_f64 v[95:96], v[117:118], v[93:94]
	v_fma_f64 v[3:4], v[117:118], v[1:2], -v[3:4]
	v_fma_f64 v[95:96], v[119:120], v[1:2], v[95:96]
	v_add_f64 v[73:74], v[73:74], -v[3:4]
	v_add_f64 v[75:76], v[75:76], -v[95:96]
	v_mov_b32_e32 v3, v93
	v_mov_b32_e32 v4, v94
	v_mov_b32_e32 v93, v101
	v_mov_b32_e32 v94, v102
	v_mov_b32_e32 v95, v103
	v_mov_b32_e32 v96, v104
.LBB49_217:
	s_or_b64 exec, exec, s[2:3]
	v_cmp_eq_u32_e32 vcc, 24, v0
	s_waitcnt lgkmcnt(0)
	s_barrier
	s_and_saveexec_b64 s[4:5], vcc
	s_cbranch_execz .LBB49_224
; %bb.218:
	v_cmp_neq_f64_e32 vcc, 0, v[73:74]
	v_cmp_neq_f64_e64 s[2:3], 0, v[75:76]
	ds_write2_b64 v127, v[73:74], v[75:76] offset1:1
	s_or_b64 s[2:3], vcc, s[2:3]
	s_and_b64 exec, exec, s[2:3]
	s_cbranch_execz .LBB49_224
; %bb.219:
	v_cmp_ngt_f64_e64 s[2:3], |v[73:74]|, |v[75:76]|
                                        ; implicit-def: $vgpr117_vgpr118
	s_and_saveexec_b64 s[6:7], s[2:3]
	s_xor_b64 s[2:3], exec, s[6:7]
                                        ; implicit-def: $vgpr119_vgpr120
	s_cbranch_execz .LBB49_221
; %bb.220:
	v_mov_b32_e32 v106, v64
	v_mov_b32_e32 v105, v63
	;; [unrolled: 1-line block ×28, first 2 shown]
	v_div_scale_f64 v[93:94], s[6:7], v[75:76], v[75:76], v[73:74]
	v_mov_b32_e32 v102, v92
	v_mov_b32_e32 v101, v91
	;; [unrolled: 1-line block ×14, first 2 shown]
	v_rcp_f64_e32 v[95:96], v[93:94]
	v_mov_b32_e32 v37, v41
	v_mov_b32_e32 v40, v44
	;; [unrolled: 1-line block ×15, first 2 shown]
	v_fma_f64 v[117:118], -v[93:94], v[95:96], 1.0
	v_mov_b32_e32 v33, v29
	v_mov_b32_e32 v29, v107
	;; [unrolled: 1-line block ×5, first 2 shown]
	v_fma_f64 v[95:96], v[95:96], v[117:118], v[95:96]
	v_div_scale_f64 v[117:118], vcc, v[73:74], v[75:76], v[73:74]
	v_fma_f64 v[119:120], -v[93:94], v[95:96], 1.0
	v_fma_f64 v[95:96], v[95:96], v[119:120], v[95:96]
	v_mul_f64 v[119:120], v[117:118], v[95:96]
	v_fma_f64 v[93:94], -v[93:94], v[119:120], v[117:118]
	v_div_fmas_f64 v[93:94], v[93:94], v[95:96], v[119:120]
	v_div_fixup_f64 v[93:94], v[93:94], v[75:76], v[73:74]
	v_fma_f64 v[95:96], v[73:74], v[93:94], v[75:76]
	v_div_scale_f64 v[117:118], s[6:7], v[95:96], v[95:96], 1.0
	v_div_scale_f64 v[89:90], vcc, 1.0, v[95:96], 1.0
	v_rcp_f64_e32 v[119:120], v[117:118]
	v_fma_f64 v[125:126], -v[117:118], v[119:120], 1.0
	v_fma_f64 v[119:120], v[119:120], v[125:126], v[119:120]
	v_fma_f64 v[125:126], -v[117:118], v[119:120], 1.0
	v_fma_f64 v[91:92], v[119:120], v[125:126], v[119:120]
	v_mul_f64 v[119:120], v[89:90], v[91:92]
	v_fma_f64 v[89:90], -v[117:118], v[119:120], v[89:90]
	v_div_fmas_f64 v[89:90], v[89:90], v[91:92], v[119:120]
	v_mov_b32_e32 v91, v101
	v_mov_b32_e32 v92, v102
	v_div_fixup_f64 v[119:120], v[89:90], v[95:96], 1.0
	v_mul_f64 v[117:118], v[93:94], v[119:120]
	v_mov_b32_e32 v96, v88
	v_mov_b32_e32 v95, v87
	;; [unrolled: 1-line block ×28, first 2 shown]
	v_xor_b32_e32 v120, 0x80000000, v120
.LBB49_221:
	s_andn2_saveexec_b64 s[2:3], s[2:3]
	s_cbranch_execz .LBB49_223
; %bb.222:
	v_div_scale_f64 v[89:90], s[6:7], v[73:74], v[73:74], v[75:76]
	v_mov_b32_e32 v126, v92
	v_mov_b32_e32 v125, v91
	;; [unrolled: 1-line block ×14, first 2 shown]
	v_rcp_f64_e32 v[91:92], v[89:90]
	v_mov_b32_e32 v69, v77
	v_mov_b32_e32 v70, v78
	;; [unrolled: 1-line block ×16, first 2 shown]
	v_fma_f64 v[93:94], -v[89:90], v[91:92], 1.0
	v_fma_f64 v[91:92], v[91:92], v[93:94], v[91:92]
	v_div_scale_f64 v[93:94], vcc, v[75:76], v[73:74], v[75:76]
	v_fma_f64 v[95:96], -v[89:90], v[91:92], 1.0
	v_fma_f64 v[91:92], v[91:92], v[95:96], v[91:92]
	v_mul_f64 v[95:96], v[93:94], v[91:92]
	v_fma_f64 v[89:90], -v[89:90], v[95:96], v[93:94]
	v_div_fmas_f64 v[89:90], v[89:90], v[91:92], v[95:96]
	v_div_fixup_f64 v[89:90], v[89:90], v[73:74], v[75:76]
	v_fma_f64 v[91:92], v[75:76], v[89:90], v[73:74]
	v_div_scale_f64 v[93:94], s[6:7], v[91:92], v[91:92], 1.0
	v_div_scale_f64 v[119:120], vcc, 1.0, v[91:92], 1.0
	v_rcp_f64_e32 v[95:96], v[93:94]
	v_fma_f64 v[117:118], -v[93:94], v[95:96], 1.0
	v_fma_f64 v[95:96], v[95:96], v[117:118], v[95:96]
	v_fma_f64 v[117:118], -v[93:94], v[95:96], 1.0
	v_fma_f64 v[95:96], v[95:96], v[117:118], v[95:96]
	v_mul_f64 v[117:118], v[119:120], v[95:96]
	v_fma_f64 v[93:94], -v[93:94], v[117:118], v[119:120]
	v_div_fmas_f64 v[93:94], v[93:94], v[95:96], v[117:118]
	v_div_fixup_f64 v[117:118], v[93:94], v[91:92], 1.0
	v_mov_b32_e32 v96, v88
	v_mov_b32_e32 v95, v87
	;; [unrolled: 1-line block ×7, first 2 shown]
	v_mul_f64 v[119:120], v[89:90], -v[117:118]
	v_mov_b32_e32 v85, v81
	v_mov_b32_e32 v84, v80
	;; [unrolled: 1-line block ×23, first 2 shown]
.LBB49_223:
	s_or_b64 exec, exec, s[2:3]
	ds_write2_b64 v127, v[117:118], v[119:120] offset1:1
.LBB49_224:
	s_or_b64 exec, exec, s[4:5]
	s_waitcnt lgkmcnt(0)
	s_barrier
	ds_read2_b64 v[117:120], v127 offset1:1
	s_waitcnt lgkmcnt(0)
	s_barrier
	s_and_saveexec_b64 s[2:3], s[0:1]
	s_cbranch_execz .LBB49_227
; %bb.225:
	buffer_load_dword v101, off, s[20:23], 0 offset:256 ; 4-byte Folded Reload
	buffer_load_dword v102, off, s[20:23], 0 offset:260 ; 4-byte Folded Reload
	;; [unrolled: 1-line block ×4, first 2 shown]
	s_waitcnt vmcnt(2)
	v_cmp_eq_f64_e32 vcc, 0, v[101:102]
	s_waitcnt vmcnt(0)
	v_cmp_eq_f64_e64 s[0:1], 0, v[103:104]
	buffer_load_dword v101, off, s[20:23], 0 offset:272 ; 4-byte Folded Reload
	buffer_load_dword v102, off, s[20:23], 0 offset:276 ; 4-byte Folded Reload
	;; [unrolled: 1-line block ×4, first 2 shown]
	s_and_b64 s[4:5], vcc, s[0:1]
	v_cndmask_b32_e64 v89, 0, 1, s[4:5]
	s_waitcnt vmcnt(2)
	v_cmp_neq_f64_e32 vcc, 0, v[101:102]
	s_waitcnt vmcnt(0)
	v_cmp_neq_f64_e64 s[0:1], 0, v[103:104]
	buffer_load_dword v101, off, s[20:23], 0 offset:288 ; 4-byte Folded Reload
	buffer_load_dword v102, off, s[20:23], 0 offset:292 ; 4-byte Folded Reload
	;; [unrolled: 1-line block ×4, first 2 shown]
	s_or_b64 s[0:1], vcc, s[0:1]
	s_or_b64 vcc, s[0:1], s[4:5]
	v_cndmask_b32_e32 v89, 2, v89, vcc
	s_waitcnt vmcnt(2)
	v_cmp_eq_f64_e32 vcc, 0, v[101:102]
	s_waitcnt vmcnt(0)
	v_cmp_eq_f64_e64 s[0:1], 0, v[103:104]
	buffer_load_dword v101, off, s[20:23], 0 offset:304 ; 4-byte Folded Reload
	buffer_load_dword v102, off, s[20:23], 0 offset:308 ; 4-byte Folded Reload
	buffer_load_dword v103, off, s[20:23], 0 offset:312 ; 4-byte Folded Reload
	buffer_load_dword v104, off, s[20:23], 0 offset:316 ; 4-byte Folded Reload
	s_and_b64 s[0:1], vcc, s[0:1]
	v_cmp_eq_u32_e32 vcc, 0, v89
	s_and_b64 s[0:1], s[0:1], vcc
	v_cndmask_b32_e64 v89, v89, 3, s[0:1]
	s_waitcnt vmcnt(2)
	v_cmp_eq_f64_e32 vcc, 0, v[101:102]
	s_waitcnt vmcnt(0)
	v_cmp_eq_f64_e64 s[0:1], 0, v[103:104]
	buffer_load_dword v101, off, s[20:23], 0 offset:320 ; 4-byte Folded Reload
	buffer_load_dword v102, off, s[20:23], 0 offset:324 ; 4-byte Folded Reload
	buffer_load_dword v103, off, s[20:23], 0 offset:328 ; 4-byte Folded Reload
	buffer_load_dword v104, off, s[20:23], 0 offset:332 ; 4-byte Folded Reload
	s_and_b64 s[0:1], vcc, s[0:1]
	v_cmp_eq_u32_e32 vcc, 0, v89
	s_and_b64 s[0:1], s[0:1], vcc
	v_cndmask_b32_e64 v89, v89, 4, s[0:1]
	;; [unrolled: 12-line block ×16, first 2 shown]
	s_waitcnt vmcnt(2)
	v_cmp_eq_f64_e32 vcc, 0, v[101:102]
	s_waitcnt vmcnt(0)
	v_cmp_eq_f64_e64 s[0:1], 0, v[103:104]
	s_and_b64 s[0:1], vcc, s[0:1]
	v_cmp_eq_u32_e32 vcc, 0, v89
	s_and_b64 s[0:1], s[0:1], vcc
	v_cndmask_b32_e64 v89, v89, 19, s[0:1]
	v_cmp_eq_f64_e32 vcc, 0, v[57:58]
	v_cmp_eq_f64_e64 s[0:1], 0, v[59:60]
	s_and_b64 s[0:1], vcc, s[0:1]
	v_cmp_eq_u32_e32 vcc, 0, v89
	s_and_b64 s[0:1], s[0:1], vcc
	v_cndmask_b32_e64 v89, v89, 20, s[0:1]
	v_cmp_eq_f64_e32 vcc, 0, v[53:54]
	;; [unrolled: 6-line block ×6, first 2 shown]
	v_cmp_eq_f64_e64 s[0:1], 0, v[119:120]
	s_and_b64 s[0:1], vcc, s[0:1]
	v_cmp_eq_u32_e32 vcc, 0, v89
	s_and_b64 s[0:1], s[0:1], vcc
	v_cndmask_b32_e64 v99, v89, 25, s[0:1]
	buffer_load_dword v89, off, s[20:23], 0 offset:560 ; 4-byte Folded Reload
	buffer_load_dword v90, off, s[20:23], 0 offset:564 ; 4-byte Folded Reload
	v_cmp_ne_u32_e64 s[0:1], 0, v99
	s_waitcnt vmcnt(0)
	v_lshlrev_b64 v[89:90], 2, v[89:90]
	v_add_co_u32_e32 v97, vcc, s10, v89
	v_mov_b32_e32 v89, s11
	v_addc_co_u32_e32 v98, vcc, v89, v90, vcc
	global_load_dword v89, v[97:98], off
	s_waitcnt vmcnt(0)
	v_cmp_eq_u32_e32 vcc, 0, v89
	s_and_b64 s[0:1], vcc, s[0:1]
	s_and_b64 exec, exec, s[0:1]
	s_cbranch_execz .LBB49_227
; %bb.226:
	v_add_u32_e32 v89, s13, v99
	global_store_dword v[97:98], v89, off
.LBB49_227:
	s_or_b64 exec, exec, s[2:3]
	buffer_load_dword v89, off, s[20:23], 0 offset:240 ; 4-byte Folded Reload
	buffer_load_dword v90, off, s[20:23], 0 offset:244 ; 4-byte Folded Reload
	;; [unrolled: 1-line block ×6, first 2 shown]
	v_cmp_lt_u32_e32 vcc, 24, v0
	s_waitcnt vmcnt(0)
	global_store_dwordx4 v[89:90], v[97:100], off
	buffer_load_dword v89, off, s[20:23], 0 offset:248 ; 4-byte Folded Reload
	s_nop 0
	buffer_load_dword v90, off, s[20:23], 0 offset:252 ; 4-byte Folded Reload
	buffer_load_dword v97, off, s[20:23], 0 offset:32 ; 4-byte Folded Reload
	;; [unrolled: 1-line block ×5, first 2 shown]
	s_waitcnt vmcnt(0)
	global_store_dwordx4 v[89:90], v[97:100], off
	global_store_dwordx4 v[91:92], v[93:96], off
	buffer_load_dword v89, off, s[20:23], 0 offset:64 ; 4-byte Folded Reload
	s_nop 0
	buffer_load_dword v90, off, s[20:23], 0 offset:68 ; 4-byte Folded Reload
	s_waitcnt vmcnt(0)
	global_store_dwordx4 v[89:90], v[85:88], off
	buffer_load_dword v85, off, s[20:23], 0 offset:72 ; 4-byte Folded Reload
	s_nop 0
	buffer_load_dword v86, off, s[20:23], 0 offset:76 ; 4-byte Folded Reload
	s_waitcnt vmcnt(0)
	;; [unrolled: 5-line block ×3, first 2 shown]
	global_store_dwordx4 v[81:82], v[77:80], off
	buffer_load_dword v81, off, s[20:23], 0 offset:88 ; 4-byte Folded Reload
	s_nop 0
	buffer_load_dword v82, off, s[20:23], 0 offset:92 ; 4-byte Folded Reload
	v_mul_f64 v[77:78], v[117:118], v[75:76]
	v_mul_f64 v[79:80], v[119:120], v[75:76]
	v_fma_f64 v[77:78], v[119:120], v[73:74], v[77:78]
	v_fma_f64 v[79:80], v[117:118], v[73:74], -v[79:80]
	s_waitcnt vmcnt(0)
	global_store_dwordx4 v[81:82], v[69:72], off
	buffer_load_dword v69, off, s[20:23], 0 offset:96 ; 4-byte Folded Reload
	s_nop 0
	buffer_load_dword v70, off, s[20:23], 0 offset:100 ; 4-byte Folded Reload
	s_waitcnt vmcnt(0)
	global_store_dwordx4 v[69:70], v[65:68], off
	buffer_load_dword v69, off, s[20:23], 0 offset:104 ; 4-byte Folded Reload
	s_nop 0
	buffer_load_dword v70, off, s[20:23], 0 offset:108 ; 4-byte Folded Reload
	v_cndmask_b32_e32 v68, v76, v78, vcc
	v_cndmask_b32_e32 v67, v75, v77, vcc
	;; [unrolled: 1-line block ×4, first 2 shown]
	s_waitcnt vmcnt(0)
	global_store_dwordx4 v[69:70], v[61:64], off
	buffer_load_dword v61, off, s[20:23], 0 offset:112 ; 4-byte Folded Reload
	s_nop 0
	buffer_load_dword v62, off, s[20:23], 0 offset:116 ; 4-byte Folded Reload
	buffer_load_dword v53, off, s[20:23], 0 offset:16 ; 4-byte Folded Reload
	;; [unrolled: 1-line block ×5, first 2 shown]
	s_waitcnt vmcnt(0)
	global_store_dwordx4 v[61:62], v[53:56], off
	buffer_load_dword v57, off, s[20:23], 0 offset:120 ; 4-byte Folded Reload
	buffer_load_dword v58, off, s[20:23], 0 offset:124 ; 4-byte Folded Reload
	s_nop 0
	buffer_load_dword v53, off, s[20:23], 0 ; 4-byte Folded Reload
	buffer_load_dword v54, off, s[20:23], 0 offset:4 ; 4-byte Folded Reload
	buffer_load_dword v55, off, s[20:23], 0 offset:8 ; 4-byte Folded Reload
	;; [unrolled: 1-line block ×3, first 2 shown]
	s_waitcnt vmcnt(0)
	global_store_dwordx4 v[57:58], v[53:56], off
	buffer_load_dword v53, off, s[20:23], 0 offset:128 ; 4-byte Folded Reload
	s_nop 0
	buffer_load_dword v54, off, s[20:23], 0 offset:132 ; 4-byte Folded Reload
	s_waitcnt vmcnt(0)
	global_store_dwordx4 v[53:54], v[49:52], off
	buffer_load_dword v49, off, s[20:23], 0 offset:136 ; 4-byte Folded Reload
	s_nop 0
	buffer_load_dword v50, off, s[20:23], 0 offset:140 ; 4-byte Folded Reload
	;; [unrolled: 5-line block ×14, first 2 shown]
	s_waitcnt vmcnt(0)
	global_store_dwordx4 v[0:1], v[65:68], off
.LBB49_228:
	s_endpgm
	.section	.rodata,"a",@progbits
	.p2align	6, 0x0
	.amdhsa_kernel _ZN9rocsolver6v33100L23getf2_npvt_small_kernelILi25E19rocblas_complex_numIdEiiPS3_EEvT1_T3_lS5_lPT2_S5_S5_
		.amdhsa_group_segment_fixed_size 0
		.amdhsa_private_segment_fixed_size 572
		.amdhsa_kernarg_size 312
		.amdhsa_user_sgpr_count 6
		.amdhsa_user_sgpr_private_segment_buffer 1
		.amdhsa_user_sgpr_dispatch_ptr 0
		.amdhsa_user_sgpr_queue_ptr 0
		.amdhsa_user_sgpr_kernarg_segment_ptr 1
		.amdhsa_user_sgpr_dispatch_id 0
		.amdhsa_user_sgpr_flat_scratch_init 0
		.amdhsa_user_sgpr_private_segment_size 0
		.amdhsa_uses_dynamic_stack 0
		.amdhsa_system_sgpr_private_segment_wavefront_offset 1
		.amdhsa_system_sgpr_workgroup_id_x 1
		.amdhsa_system_sgpr_workgroup_id_y 1
		.amdhsa_system_sgpr_workgroup_id_z 0
		.amdhsa_system_sgpr_workgroup_info 0
		.amdhsa_system_vgpr_workitem_id 1
		.amdhsa_next_free_vgpr 128
		.amdhsa_next_free_sgpr 24
		.amdhsa_reserve_vcc 1
		.amdhsa_reserve_flat_scratch 0
		.amdhsa_float_round_mode_32 0
		.amdhsa_float_round_mode_16_64 0
		.amdhsa_float_denorm_mode_32 3
		.amdhsa_float_denorm_mode_16_64 3
		.amdhsa_dx10_clamp 1
		.amdhsa_ieee_mode 1
		.amdhsa_fp16_overflow 0
		.amdhsa_exception_fp_ieee_invalid_op 0
		.amdhsa_exception_fp_denorm_src 0
		.amdhsa_exception_fp_ieee_div_zero 0
		.amdhsa_exception_fp_ieee_overflow 0
		.amdhsa_exception_fp_ieee_underflow 0
		.amdhsa_exception_fp_ieee_inexact 0
		.amdhsa_exception_int_div_zero 0
	.end_amdhsa_kernel
	.section	.text._ZN9rocsolver6v33100L23getf2_npvt_small_kernelILi25E19rocblas_complex_numIdEiiPS3_EEvT1_T3_lS5_lPT2_S5_S5_,"axG",@progbits,_ZN9rocsolver6v33100L23getf2_npvt_small_kernelILi25E19rocblas_complex_numIdEiiPS3_EEvT1_T3_lS5_lPT2_S5_S5_,comdat
.Lfunc_end49:
	.size	_ZN9rocsolver6v33100L23getf2_npvt_small_kernelILi25E19rocblas_complex_numIdEiiPS3_EEvT1_T3_lS5_lPT2_S5_S5_, .Lfunc_end49-_ZN9rocsolver6v33100L23getf2_npvt_small_kernelILi25E19rocblas_complex_numIdEiiPS3_EEvT1_T3_lS5_lPT2_S5_S5_
                                        ; -- End function
	.set _ZN9rocsolver6v33100L23getf2_npvt_small_kernelILi25E19rocblas_complex_numIdEiiPS3_EEvT1_T3_lS5_lPT2_S5_S5_.num_vgpr, 128
	.set _ZN9rocsolver6v33100L23getf2_npvt_small_kernelILi25E19rocblas_complex_numIdEiiPS3_EEvT1_T3_lS5_lPT2_S5_S5_.num_agpr, 0
	.set _ZN9rocsolver6v33100L23getf2_npvt_small_kernelILi25E19rocblas_complex_numIdEiiPS3_EEvT1_T3_lS5_lPT2_S5_S5_.numbered_sgpr, 24
	.set _ZN9rocsolver6v33100L23getf2_npvt_small_kernelILi25E19rocblas_complex_numIdEiiPS3_EEvT1_T3_lS5_lPT2_S5_S5_.num_named_barrier, 0
	.set _ZN9rocsolver6v33100L23getf2_npvt_small_kernelILi25E19rocblas_complex_numIdEiiPS3_EEvT1_T3_lS5_lPT2_S5_S5_.private_seg_size, 572
	.set _ZN9rocsolver6v33100L23getf2_npvt_small_kernelILi25E19rocblas_complex_numIdEiiPS3_EEvT1_T3_lS5_lPT2_S5_S5_.uses_vcc, 1
	.set _ZN9rocsolver6v33100L23getf2_npvt_small_kernelILi25E19rocblas_complex_numIdEiiPS3_EEvT1_T3_lS5_lPT2_S5_S5_.uses_flat_scratch, 0
	.set _ZN9rocsolver6v33100L23getf2_npvt_small_kernelILi25E19rocblas_complex_numIdEiiPS3_EEvT1_T3_lS5_lPT2_S5_S5_.has_dyn_sized_stack, 0
	.set _ZN9rocsolver6v33100L23getf2_npvt_small_kernelILi25E19rocblas_complex_numIdEiiPS3_EEvT1_T3_lS5_lPT2_S5_S5_.has_recursion, 0
	.set _ZN9rocsolver6v33100L23getf2_npvt_small_kernelILi25E19rocblas_complex_numIdEiiPS3_EEvT1_T3_lS5_lPT2_S5_S5_.has_indirect_call, 0
	.section	.AMDGPU.csdata,"",@progbits
; Kernel info:
; codeLenInByte = 43684
; TotalNumSgprs: 28
; NumVgprs: 128
; ScratchSize: 572
; MemoryBound: 1
; FloatMode: 240
; IeeeMode: 1
; LDSByteSize: 0 bytes/workgroup (compile time only)
; SGPRBlocks: 3
; VGPRBlocks: 31
; NumSGPRsForWavesPerEU: 28
; NumVGPRsForWavesPerEU: 128
; Occupancy: 2
; WaveLimiterHint : 0
; COMPUTE_PGM_RSRC2:SCRATCH_EN: 1
; COMPUTE_PGM_RSRC2:USER_SGPR: 6
; COMPUTE_PGM_RSRC2:TRAP_HANDLER: 0
; COMPUTE_PGM_RSRC2:TGID_X_EN: 1
; COMPUTE_PGM_RSRC2:TGID_Y_EN: 1
; COMPUTE_PGM_RSRC2:TGID_Z_EN: 0
; COMPUTE_PGM_RSRC2:TIDIG_COMP_CNT: 1
	.section	.text._ZN9rocsolver6v33100L18getf2_small_kernelILi26E19rocblas_complex_numIdEiiPS3_EEvT1_T3_lS5_lPS5_llPT2_S5_S5_S7_l,"axG",@progbits,_ZN9rocsolver6v33100L18getf2_small_kernelILi26E19rocblas_complex_numIdEiiPS3_EEvT1_T3_lS5_lPS5_llPT2_S5_S5_S7_l,comdat
	.globl	_ZN9rocsolver6v33100L18getf2_small_kernelILi26E19rocblas_complex_numIdEiiPS3_EEvT1_T3_lS5_lPS5_llPT2_S5_S5_S7_l ; -- Begin function _ZN9rocsolver6v33100L18getf2_small_kernelILi26E19rocblas_complex_numIdEiiPS3_EEvT1_T3_lS5_lPS5_llPT2_S5_S5_S7_l
	.p2align	8
	.type	_ZN9rocsolver6v33100L18getf2_small_kernelILi26E19rocblas_complex_numIdEiiPS3_EEvT1_T3_lS5_lPS5_llPT2_S5_S5_S7_l,@function
_ZN9rocsolver6v33100L18getf2_small_kernelILi26E19rocblas_complex_numIdEiiPS3_EEvT1_T3_lS5_lPS5_llPT2_S5_S5_S7_l: ; @_ZN9rocsolver6v33100L18getf2_small_kernelILi26E19rocblas_complex_numIdEiiPS3_EEvT1_T3_lS5_lPS5_llPT2_S5_S5_S7_l
; %bb.0:
	s_mov_b64 s[30:31], s[2:3]
	s_mov_b64 s[28:29], s[0:1]
	s_load_dword s0, s[4:5], 0x6c
	s_load_dwordx2 s[16:17], s[4:5], 0x48
	s_add_u32 s28, s28, s8
	s_addc_u32 s29, s29, 0
	s_waitcnt lgkmcnt(0)
	s_lshr_b32 s0, s0, 16
	s_mul_i32 s7, s7, s0
	v_add_u32_e32 v6, s7, v1
	v_cmp_gt_i32_e32 vcc, s16, v6
	s_and_saveexec_b64 s[0:1], vcc
	s_cbranch_execz .LBB50_549
; %bb.1:
	s_load_dwordx4 s[0:3], s[4:5], 0x50
	v_mov_b32_e32 v2, 0
	v_ashrrev_i32_e32 v7, 31, v6
	v_mov_b32_e32 v3, 0
	s_waitcnt lgkmcnt(0)
	s_cmp_eq_u64 s[0:1], 0
	s_cselect_b64 s[18:19], -1, 0
	s_and_b64 vcc, exec, s[18:19]
	s_cbranch_vccnz .LBB50_3
; %bb.2:
	v_mul_lo_u32 v4, s3, v6
	v_mul_lo_u32 v5, s2, v7
	v_mad_u64_u32 v[2:3], s[2:3], s2, v6, 0
	v_add3_u32 v3, v3, v5, v4
	v_lshlrev_b64 v[2:3], 2, v[2:3]
	v_mov_b32_e32 v4, s1
	v_add_co_u32_e32 v2, vcc, s0, v2
	v_addc_co_u32_e32 v3, vcc, v4, v3, vcc
.LBB50_3:
	buffer_store_dword v2, off, s[28:31], 0 ; 4-byte Folded Spill
	s_nop 0
	buffer_store_dword v3, off, s[28:31], 0 offset:4 ; 4-byte Folded Spill
	s_load_dwordx8 s[8:15], s[4:5], 0x20
	s_load_dwordx4 s[0:3], s[4:5], 0x8
	v_lshlrev_b32_e32 v116, 4, v0
	s_waitcnt lgkmcnt(0)
	v_mul_lo_u32 v4, s9, v6
	v_mul_lo_u32 v5, s8, v7
	buffer_store_dword v6, off, s[28:31], 0 offset:8 ; 4-byte Folded Spill
	s_nop 0
	buffer_store_dword v7, off, s[28:31], 0 offset:12 ; 4-byte Folded Spill
	v_mad_u64_u32 v[2:3], s[6:7], s8, v6, 0
	s_load_dword s6, s[4:5], 0x18
	s_load_dword s22, s[4:5], 0x0
	v_mov_b32_e32 v6, s1
	v_add3_u32 v3, v3, v5, v4
	v_lshlrev_b64 v[2:3], 4, v[2:3]
	s_waitcnt lgkmcnt(0)
	s_add_i32 s16, s6, s6
	v_add_co_u32_e32 v2, vcc, s0, v2
	v_addc_co_u32_e32 v3, vcc, v6, v3, vcc
	s_lshl_b64 s[0:1], s[2:3], 4
	v_mov_b32_e32 v4, s1
	v_add_co_u32_e32 v117, vcc, s0, v2
	v_add_u32_e32 v2, s16, v0
	v_addc_co_u32_e32 v118, vcc, v3, v4, vcc
	v_ashrrev_i32_e32 v3, 31, v2
	v_lshlrev_b64 v[3:4], 4, v[2:3]
	v_add_u32_e32 v5, s6, v2
	v_ashrrev_i32_e32 v6, 31, v5
	v_add_co_u32_e32 v3, vcc, v117, v3
	v_lshlrev_b64 v[6:7], 4, v[5:6]
	v_add_u32_e32 v8, s6, v5
	v_addc_co_u32_e32 v4, vcc, v118, v4, vcc
	v_ashrrev_i32_e32 v9, 31, v8
	v_add_co_u32_e32 v6, vcc, v117, v6
	v_lshlrev_b64 v[9:10], 4, v[8:9]
	v_add_u32_e32 v11, s6, v8
	v_addc_co_u32_e32 v7, vcc, v118, v7, vcc
	v_ashrrev_i32_e32 v12, 31, v11
	v_add_co_u32_e32 v9, vcc, v117, v9
	v_lshlrev_b64 v[12:13], 4, v[11:12]
	v_add_u32_e32 v14, s6, v11
	v_addc_co_u32_e32 v10, vcc, v118, v10, vcc
	v_ashrrev_i32_e32 v15, 31, v14
	v_add_co_u32_e32 v12, vcc, v117, v12
	v_lshlrev_b64 v[15:16], 4, v[14:15]
	v_add_u32_e32 v17, s6, v14
	v_addc_co_u32_e32 v13, vcc, v118, v13, vcc
	v_ashrrev_i32_e32 v18, 31, v17
	v_add_co_u32_e32 v15, vcc, v117, v15
	v_lshlrev_b64 v[18:19], 4, v[17:18]
	v_add_u32_e32 v20, s6, v17
	v_addc_co_u32_e32 v16, vcc, v118, v16, vcc
	v_ashrrev_i32_e32 v21, 31, v20
	v_add_co_u32_e32 v18, vcc, v117, v18
	v_lshlrev_b64 v[21:22], 4, v[20:21]
	v_add_u32_e32 v23, s6, v20
	v_addc_co_u32_e32 v19, vcc, v118, v19, vcc
	v_ashrrev_i32_e32 v24, 31, v23
	v_add_co_u32_e32 v21, vcc, v117, v21
	v_lshlrev_b64 v[24:25], 4, v[23:24]
	v_add_u32_e32 v26, s6, v23
	v_addc_co_u32_e32 v22, vcc, v118, v22, vcc
	v_ashrrev_i32_e32 v27, 31, v26
	v_add_co_u32_e32 v24, vcc, v117, v24
	v_lshlrev_b64 v[27:28], 4, v[26:27]
	v_add_u32_e32 v29, s6, v26
	v_addc_co_u32_e32 v25, vcc, v118, v25, vcc
	v_ashrrev_i32_e32 v30, 31, v29
	v_add_co_u32_e32 v27, vcc, v117, v27
	v_lshlrev_b64 v[30:31], 4, v[29:30]
	v_add_u32_e32 v32, s6, v29
	v_addc_co_u32_e32 v28, vcc, v118, v28, vcc
	v_ashrrev_i32_e32 v33, 31, v32
	v_add_co_u32_e32 v30, vcc, v117, v30
	v_lshlrev_b64 v[33:34], 4, v[32:33]
	v_add_u32_e32 v35, s6, v32
	v_addc_co_u32_e32 v31, vcc, v118, v31, vcc
	v_ashrrev_i32_e32 v36, 31, v35
	v_add_co_u32_e32 v33, vcc, v117, v33
	v_lshlrev_b64 v[36:37], 4, v[35:36]
	v_add_u32_e32 v38, s6, v35
	v_addc_co_u32_e32 v34, vcc, v118, v34, vcc
	v_ashrrev_i32_e32 v39, 31, v38
	v_add_co_u32_e32 v36, vcc, v117, v36
	v_lshlrev_b64 v[39:40], 4, v[38:39]
	v_add_u32_e32 v41, s6, v38
	v_addc_co_u32_e32 v37, vcc, v118, v37, vcc
	v_ashrrev_i32_e32 v42, 31, v41
	v_add_co_u32_e32 v39, vcc, v117, v39
	v_lshlrev_b64 v[42:43], 4, v[41:42]
	v_addc_co_u32_e32 v40, vcc, v118, v40, vcc
	v_add_u32_e32 v41, s6, v41
	v_add_co_u32_e32 v102, vcc, v117, v42
	v_ashrrev_i32_e32 v42, 31, v41
	v_addc_co_u32_e32 v103, vcc, v118, v43, vcc
	v_lshlrev_b64 v[42:43], 4, v[41:42]
	v_add_u32_e32 v41, s6, v41
	v_add_co_u32_e32 v104, vcc, v117, v42
	v_ashrrev_i32_e32 v42, 31, v41
	v_addc_co_u32_e32 v105, vcc, v118, v43, vcc
	v_lshlrev_b64 v[42:43], 4, v[41:42]
	;; [unrolled: 5-line block ×9, first 2 shown]
	v_add_u32_e32 v41, s6, v41
	v_add_co_u32_e32 v110, vcc, v117, v42
	v_ashrrev_i32_e32 v42, 31, v41
	v_lshlrev_b64 v[41:42], 4, v[41:42]
	v_addc_co_u32_e32 v111, vcc, v118, v43, vcc
	v_add_co_u32_e32 v112, vcc, v117, v41
	v_addc_co_u32_e32 v113, vcc, v118, v42, vcc
	v_add_co_u32_e32 v41, vcc, v117, v116
	s_ashr_i32 s7, s6, 31
	v_addc_co_u32_e32 v42, vcc, 0, v118, vcc
	s_lshl_b64 s[2:3], s[6:7], 4
	v_mov_b32_e32 v2, s3
	v_add_co_u32_e32 v43, vcc, s2, v41
	v_addc_co_u32_e32 v44, vcc, v42, v2, vcc
	global_load_dwordx4 v[98:101], v[41:42], off
	global_load_dwordx4 v[94:97], v[43:44], off
	;; [unrolled: 1-line block ×15, first 2 shown]
	s_nop 0
	global_load_dwordx4 v[38:41], v[102:103], off
	global_load_dwordx4 v[34:37], v[104:105], off
	;; [unrolled: 1-line block ×11, first 2 shown]
	s_max_i32 s0, s22, 26
	v_mul_lo_u32 v110, s0, v1
	s_load_dwordx2 s[4:5], s[4:5], 0x40
	s_cmp_lt_i32 s22, 2
	v_mov_b32_e32 v114, 0
	v_lshl_add_u32 v1, v110, 4, 0
	v_add_u32_e32 v106, v1, v116
	v_lshlrev_b32_e32 v120, 4, v110
	s_waitcnt vmcnt(25)
	ds_write2_b64 v106, v[98:99], v[100:101] offset1:1
	s_waitcnt vmcnt(0) lgkmcnt(0)
	s_barrier
	ds_read2_b64 v[106:109], v1 offset1:1
	s_cbranch_scc1 .LBB50_6
; %bb.4:
	v_add3_u32 v115, v120, 0, 16
	s_mov_b32 s0, 1
	v_mov_b32_e32 v114, 0
.LBB50_5:                               ; =>This Inner Loop Header: Depth=1
	s_waitcnt lgkmcnt(0)
	v_cmp_gt_f64_e32 vcc, 0, v[106:107]
	v_xor_b32_e32 v110, 0x80000000, v107
	ds_read2_b64 v[121:124], v115 offset1:1
	v_xor_b32_e32 v112, 0x80000000, v109
	v_add_u32_e32 v115, 16, v115
	s_waitcnt lgkmcnt(0)
	v_xor_b32_e32 v116, 0x80000000, v124
	v_cndmask_b32_e32 v111, v107, v110, vcc
	v_cmp_gt_f64_e32 vcc, 0, v[108:109]
	v_mov_b32_e32 v110, v106
	v_mov_b32_e32 v125, v123
	v_cndmask_b32_e32 v113, v109, v112, vcc
	v_cmp_gt_f64_e32 vcc, 0, v[121:122]
	v_mov_b32_e32 v112, v108
	v_add_f64 v[110:111], v[110:111], v[112:113]
	v_xor_b32_e32 v112, 0x80000000, v122
	v_cndmask_b32_e32 v113, v122, v112, vcc
	v_cmp_gt_f64_e32 vcc, 0, v[123:124]
	v_mov_b32_e32 v112, v121
	v_cndmask_b32_e32 v126, v124, v116, vcc
	v_add_f64 v[112:113], v[112:113], v[125:126]
	v_cmp_lt_f64_e32 vcc, v[110:111], v[112:113]
	v_mov_b32_e32 v110, s0
	s_add_i32 s0, s0, 1
	s_cmp_eq_u32 s22, s0
	v_cndmask_b32_e32 v107, v107, v122, vcc
	v_cndmask_b32_e32 v106, v106, v121, vcc
	;; [unrolled: 1-line block ×5, first 2 shown]
	s_cbranch_scc0 .LBB50_5
.LBB50_6:
	buffer_load_dword v126, off, s[28:31], 0 ; 4-byte Folded Reload
	buffer_load_dword v127, off, s[28:31], 0 offset:4 ; 4-byte Folded Reload
	s_waitcnt lgkmcnt(0)
	v_cmp_neq_f64_e32 vcc, 0, v[106:107]
	v_cmp_neq_f64_e64 s[0:1], 0, v[108:109]
	v_mov_b32_e32 v119, 1
	v_mov_b32_e32 v121, 1
	s_or_b64 s[8:9], vcc, s[0:1]
	s_and_saveexec_b64 s[0:1], s[8:9]
	s_cbranch_execz .LBB50_12
; %bb.7:
	v_cmp_ngt_f64_e64 s[8:9], |v[106:107]|, |v[108:109]|
	s_and_saveexec_b64 s[20:21], s[8:9]
	s_xor_b64 s[8:9], exec, s[20:21]
	s_cbranch_execz .LBB50_9
; %bb.8:
	v_div_scale_f64 v[110:111], s[20:21], v[108:109], v[108:109], v[106:107]
	v_rcp_f64_e32 v[112:113], v[110:111]
	v_fma_f64 v[115:116], -v[110:111], v[112:113], 1.0
	v_fma_f64 v[112:113], v[112:113], v[115:116], v[112:113]
	v_div_scale_f64 v[115:116], vcc, v[106:107], v[108:109], v[106:107]
	v_fma_f64 v[121:122], -v[110:111], v[112:113], 1.0
	v_fma_f64 v[112:113], v[112:113], v[121:122], v[112:113]
	v_mul_f64 v[121:122], v[115:116], v[112:113]
	v_fma_f64 v[110:111], -v[110:111], v[121:122], v[115:116]
	v_div_fmas_f64 v[110:111], v[110:111], v[112:113], v[121:122]
	v_div_fixup_f64 v[110:111], v[110:111], v[108:109], v[106:107]
	v_fma_f64 v[106:107], v[106:107], v[110:111], v[108:109]
	v_div_scale_f64 v[108:109], s[20:21], v[106:107], v[106:107], 1.0
	v_div_scale_f64 v[121:122], vcc, 1.0, v[106:107], 1.0
	v_rcp_f64_e32 v[112:113], v[108:109]
	v_fma_f64 v[115:116], -v[108:109], v[112:113], 1.0
	v_fma_f64 v[112:113], v[112:113], v[115:116], v[112:113]
	v_fma_f64 v[115:116], -v[108:109], v[112:113], 1.0
	v_fma_f64 v[112:113], v[112:113], v[115:116], v[112:113]
	v_mul_f64 v[115:116], v[121:122], v[112:113]
	v_fma_f64 v[108:109], -v[108:109], v[115:116], v[121:122]
	v_div_fmas_f64 v[108:109], v[108:109], v[112:113], v[115:116]
	v_div_fixup_f64 v[108:109], v[108:109], v[106:107], 1.0
	v_mul_f64 v[106:107], v[110:111], v[108:109]
	v_xor_b32_e32 v109, 0x80000000, v109
.LBB50_9:
	s_andn2_saveexec_b64 s[8:9], s[8:9]
	s_cbranch_execz .LBB50_11
; %bb.10:
	v_div_scale_f64 v[110:111], s[20:21], v[106:107], v[106:107], v[108:109]
	v_rcp_f64_e32 v[112:113], v[110:111]
	v_fma_f64 v[115:116], -v[110:111], v[112:113], 1.0
	v_fma_f64 v[112:113], v[112:113], v[115:116], v[112:113]
	v_div_scale_f64 v[115:116], vcc, v[108:109], v[106:107], v[108:109]
	v_fma_f64 v[121:122], -v[110:111], v[112:113], 1.0
	v_fma_f64 v[112:113], v[112:113], v[121:122], v[112:113]
	v_mul_f64 v[121:122], v[115:116], v[112:113]
	v_fma_f64 v[110:111], -v[110:111], v[121:122], v[115:116]
	v_div_fmas_f64 v[110:111], v[110:111], v[112:113], v[121:122]
	v_div_fixup_f64 v[110:111], v[110:111], v[106:107], v[108:109]
	v_fma_f64 v[106:107], v[108:109], v[110:111], v[106:107]
	v_div_scale_f64 v[108:109], s[20:21], v[106:107], v[106:107], 1.0
	v_div_scale_f64 v[121:122], vcc, 1.0, v[106:107], 1.0
	v_rcp_f64_e32 v[112:113], v[108:109]
	v_fma_f64 v[115:116], -v[108:109], v[112:113], 1.0
	v_fma_f64 v[112:113], v[112:113], v[115:116], v[112:113]
	v_fma_f64 v[115:116], -v[108:109], v[112:113], 1.0
	v_fma_f64 v[112:113], v[112:113], v[115:116], v[112:113]
	v_mul_f64 v[115:116], v[121:122], v[112:113]
	v_fma_f64 v[108:109], -v[108:109], v[115:116], v[121:122]
	v_div_fmas_f64 v[108:109], v[108:109], v[112:113], v[115:116]
	v_div_fixup_f64 v[106:107], v[108:109], v[106:107], 1.0
	v_mul_f64 v[108:109], v[110:111], -v[106:107]
.LBB50_11:
	s_or_b64 exec, exec, s[8:9]
	v_mov_b32_e32 v121, 0
	v_mov_b32_e32 v119, 2
.LBB50_12:
	s_or_b64 exec, exec, s[0:1]
	v_cmp_ne_u32_e32 vcc, v0, v114
	s_and_saveexec_b64 s[0:1], vcc
	s_xor_b64 s[0:1], exec, s[0:1]
	s_cbranch_execz .LBB50_18
; %bb.13:
	v_cmp_eq_u32_e32 vcc, 0, v0
	s_and_saveexec_b64 s[8:9], vcc
	s_cbranch_execz .LBB50_17
; %bb.14:
	v_cmp_ne_u32_e32 vcc, 0, v114
	s_xor_b64 s[20:21], s[18:19], -1
	s_and_b64 s[24:25], s[20:21], vcc
	s_and_saveexec_b64 s[20:21], s[24:25]
	s_cbranch_execz .LBB50_16
; %bb.15:
	v_ashrrev_i32_e32 v115, 31, v114
	v_lshlrev_b64 v[110:111], 2, v[114:115]
	s_waitcnt vmcnt(1)
	v_add_co_u32_e32 v110, vcc, v126, v110
	s_waitcnt vmcnt(0)
	v_addc_co_u32_e32 v111, vcc, v127, v111, vcc
	global_load_dword v0, v[110:111], off
	global_load_dword v112, v[126:127], off
	s_waitcnt vmcnt(1)
	global_store_dword v[126:127], v0, off
	s_waitcnt vmcnt(1)
	global_store_dword v[110:111], v112, off
.LBB50_16:
	s_or_b64 exec, exec, s[20:21]
	v_mov_b32_e32 v0, v114
.LBB50_17:
	s_or_b64 exec, exec, s[8:9]
.LBB50_18:
	s_or_saveexec_b64 s[0:1], s[0:1]
	v_mov_b32_e32 v116, v0
	s_xor_b64 exec, exec, s[0:1]
	s_cbranch_execz .LBB50_20
; %bb.19:
	v_mov_b32_e32 v116, 0
	ds_write2_b64 v1, v[94:95], v[96:97] offset0:2 offset1:3
	ds_write2_b64 v1, v[90:91], v[92:93] offset0:4 offset1:5
	;; [unrolled: 1-line block ×25, first 2 shown]
.LBB50_20:
	s_or_b64 exec, exec, s[0:1]
	v_cmp_lt_i32_e32 vcc, 0, v116
	s_waitcnt vmcnt(0) lgkmcnt(0)
	s_barrier
	s_and_saveexec_b64 s[0:1], vcc
	s_cbranch_execz .LBB50_22
; %bb.21:
	v_mul_f64 v[110:111], v[108:109], v[100:101]
	v_mul_f64 v[100:101], v[106:107], v[100:101]
	v_fma_f64 v[114:115], v[106:107], v[98:99], -v[110:111]
	v_fma_f64 v[100:101], v[108:109], v[98:99], v[100:101]
	ds_read2_b64 v[106:109], v1 offset0:2 offset1:3
	s_waitcnt lgkmcnt(0)
	v_mul_f64 v[98:99], v[108:109], v[100:101]
	v_fma_f64 v[98:99], v[106:107], v[114:115], -v[98:99]
	v_mul_f64 v[106:107], v[106:107], v[100:101]
	v_add_f64 v[94:95], v[94:95], -v[98:99]
	v_fma_f64 v[106:107], v[108:109], v[114:115], v[106:107]
	v_add_f64 v[96:97], v[96:97], -v[106:107]
	ds_read2_b64 v[106:109], v1 offset0:4 offset1:5
	s_waitcnt lgkmcnt(0)
	v_mul_f64 v[98:99], v[108:109], v[100:101]
	v_fma_f64 v[98:99], v[106:107], v[114:115], -v[98:99]
	v_mul_f64 v[106:107], v[106:107], v[100:101]
	v_add_f64 v[90:91], v[90:91], -v[98:99]
	v_fma_f64 v[106:107], v[108:109], v[114:115], v[106:107]
	v_add_f64 v[92:93], v[92:93], -v[106:107]
	;; [unrolled: 8-line block ×24, first 2 shown]
	ds_read2_b64 v[106:109], v1 offset0:50 offset1:51
	s_waitcnt lgkmcnt(0)
	v_mul_f64 v[98:99], v[108:109], v[100:101]
	v_fma_f64 v[98:99], v[106:107], v[114:115], -v[98:99]
	v_mul_f64 v[106:107], v[106:107], v[100:101]
	v_add_f64 v[102:103], v[102:103], -v[98:99]
	v_fma_f64 v[106:107], v[108:109], v[114:115], v[106:107]
	v_mov_b32_e32 v98, v114
	v_mov_b32_e32 v99, v115
	v_add_f64 v[104:105], v[104:105], -v[106:107]
.LBB50_22:
	s_or_b64 exec, exec, s[0:1]
	v_lshl_add_u32 v106, v116, 4, v1
	s_barrier
	ds_write2_b64 v106, v[94:95], v[96:97] offset1:1
	s_waitcnt lgkmcnt(0)
	s_barrier
	ds_read2_b64 v[106:109], v1 offset0:2 offset1:3
	s_cmp_lt_i32 s22, 3
	v_mov_b32_e32 v114, 1
	s_cbranch_scc1 .LBB50_26
; %bb.23:
	v_add3_u32 v115, v120, 0, 32
	s_mov_b32 s0, 2
	v_mov_b32_e32 v114, 1
.LBB50_24:                              ; =>This Inner Loop Header: Depth=1
	s_waitcnt lgkmcnt(0)
	v_cmp_gt_f64_e32 vcc, 0, v[106:107]
	v_xor_b32_e32 v110, 0x80000000, v107
	ds_read2_b64 v[122:125], v115 offset1:1
	v_xor_b32_e32 v112, 0x80000000, v109
	v_add_u32_e32 v115, 16, v115
	s_waitcnt lgkmcnt(0)
	v_xor_b32_e32 v126, 0x80000000, v125
	v_cndmask_b32_e32 v111, v107, v110, vcc
	v_cmp_gt_f64_e32 vcc, 0, v[108:109]
	v_mov_b32_e32 v110, v106
	v_cndmask_b32_e32 v113, v109, v112, vcc
	v_cmp_gt_f64_e32 vcc, 0, v[122:123]
	v_mov_b32_e32 v112, v108
	v_add_f64 v[110:111], v[110:111], v[112:113]
	v_xor_b32_e32 v112, 0x80000000, v123
	v_cndmask_b32_e32 v113, v123, v112, vcc
	v_cmp_gt_f64_e32 vcc, 0, v[124:125]
	v_mov_b32_e32 v112, v122
	v_cndmask_b32_e32 v127, v125, v126, vcc
	v_mov_b32_e32 v126, v124
	v_add_f64 v[112:113], v[112:113], v[126:127]
	v_cmp_lt_f64_e32 vcc, v[110:111], v[112:113]
	v_mov_b32_e32 v110, s0
	s_add_i32 s0, s0, 1
	s_cmp_lg_u32 s22, s0
	v_cndmask_b32_e32 v107, v107, v123, vcc
	v_cndmask_b32_e32 v106, v106, v122, vcc
	;; [unrolled: 1-line block ×5, first 2 shown]
	s_cbranch_scc1 .LBB50_24
; %bb.25:
	buffer_load_dword v126, off, s[28:31], 0 ; 4-byte Folded Reload
	buffer_load_dword v127, off, s[28:31], 0 offset:4 ; 4-byte Folded Reload
.LBB50_26:
	s_waitcnt lgkmcnt(0)
	v_cmp_neq_f64_e32 vcc, 0, v[106:107]
	v_cmp_neq_f64_e64 s[0:1], 0, v[108:109]
	s_or_b64 s[8:9], vcc, s[0:1]
	s_and_saveexec_b64 s[0:1], s[8:9]
	s_cbranch_execz .LBB50_32
; %bb.27:
	v_cmp_ngt_f64_e64 s[8:9], |v[106:107]|, |v[108:109]|
	s_and_saveexec_b64 s[20:21], s[8:9]
	s_xor_b64 s[8:9], exec, s[20:21]
	s_cbranch_execz .LBB50_29
; %bb.28:
	v_div_scale_f64 v[110:111], s[20:21], v[108:109], v[108:109], v[106:107]
	v_rcp_f64_e32 v[112:113], v[110:111]
	v_fma_f64 v[122:123], -v[110:111], v[112:113], 1.0
	v_fma_f64 v[112:113], v[112:113], v[122:123], v[112:113]
	v_div_scale_f64 v[122:123], vcc, v[106:107], v[108:109], v[106:107]
	v_fma_f64 v[124:125], -v[110:111], v[112:113], 1.0
	v_fma_f64 v[112:113], v[112:113], v[124:125], v[112:113]
	v_mul_f64 v[124:125], v[122:123], v[112:113]
	v_fma_f64 v[110:111], -v[110:111], v[124:125], v[122:123]
	v_div_fmas_f64 v[110:111], v[110:111], v[112:113], v[124:125]
	v_div_fixup_f64 v[110:111], v[110:111], v[108:109], v[106:107]
	v_fma_f64 v[106:107], v[106:107], v[110:111], v[108:109]
	v_div_scale_f64 v[108:109], s[20:21], v[106:107], v[106:107], 1.0
	v_div_scale_f64 v[124:125], vcc, 1.0, v[106:107], 1.0
	v_rcp_f64_e32 v[112:113], v[108:109]
	v_fma_f64 v[122:123], -v[108:109], v[112:113], 1.0
	v_fma_f64 v[112:113], v[112:113], v[122:123], v[112:113]
	v_fma_f64 v[122:123], -v[108:109], v[112:113], 1.0
	v_fma_f64 v[112:113], v[112:113], v[122:123], v[112:113]
	v_mul_f64 v[122:123], v[124:125], v[112:113]
	v_fma_f64 v[108:109], -v[108:109], v[122:123], v[124:125]
	v_div_fmas_f64 v[108:109], v[108:109], v[112:113], v[122:123]
	v_div_fixup_f64 v[108:109], v[108:109], v[106:107], 1.0
	v_mul_f64 v[106:107], v[110:111], v[108:109]
	v_xor_b32_e32 v109, 0x80000000, v109
.LBB50_29:
	s_andn2_saveexec_b64 s[8:9], s[8:9]
	s_cbranch_execz .LBB50_31
; %bb.30:
	v_div_scale_f64 v[110:111], s[20:21], v[106:107], v[106:107], v[108:109]
	v_rcp_f64_e32 v[112:113], v[110:111]
	v_fma_f64 v[122:123], -v[110:111], v[112:113], 1.0
	v_fma_f64 v[112:113], v[112:113], v[122:123], v[112:113]
	v_div_scale_f64 v[122:123], vcc, v[108:109], v[106:107], v[108:109]
	v_fma_f64 v[124:125], -v[110:111], v[112:113], 1.0
	v_fma_f64 v[112:113], v[112:113], v[124:125], v[112:113]
	v_mul_f64 v[124:125], v[122:123], v[112:113]
	v_fma_f64 v[110:111], -v[110:111], v[124:125], v[122:123]
	v_div_fmas_f64 v[110:111], v[110:111], v[112:113], v[124:125]
	v_div_fixup_f64 v[110:111], v[110:111], v[106:107], v[108:109]
	v_fma_f64 v[106:107], v[108:109], v[110:111], v[106:107]
	v_div_scale_f64 v[108:109], s[20:21], v[106:107], v[106:107], 1.0
	v_div_scale_f64 v[124:125], vcc, 1.0, v[106:107], 1.0
	v_rcp_f64_e32 v[112:113], v[108:109]
	v_fma_f64 v[122:123], -v[108:109], v[112:113], 1.0
	v_fma_f64 v[112:113], v[112:113], v[122:123], v[112:113]
	v_fma_f64 v[122:123], -v[108:109], v[112:113], 1.0
	v_fma_f64 v[112:113], v[112:113], v[122:123], v[112:113]
	v_mul_f64 v[122:123], v[124:125], v[112:113]
	v_fma_f64 v[108:109], -v[108:109], v[122:123], v[124:125]
	v_div_fmas_f64 v[108:109], v[108:109], v[112:113], v[122:123]
	v_div_fixup_f64 v[106:107], v[108:109], v[106:107], 1.0
	v_mul_f64 v[108:109], v[110:111], -v[106:107]
.LBB50_31:
	s_or_b64 exec, exec, s[8:9]
	v_mov_b32_e32 v119, v121
.LBB50_32:
	s_or_b64 exec, exec, s[0:1]
	v_cmp_ne_u32_e32 vcc, v116, v114
	s_and_saveexec_b64 s[0:1], vcc
	s_xor_b64 s[0:1], exec, s[0:1]
	s_cbranch_execz .LBB50_38
; %bb.33:
	v_cmp_eq_u32_e32 vcc, 1, v116
	s_and_saveexec_b64 s[8:9], vcc
	s_cbranch_execz .LBB50_37
; %bb.34:
	v_cmp_ne_u32_e32 vcc, 1, v114
	s_xor_b64 s[20:21], s[18:19], -1
	s_and_b64 s[24:25], s[20:21], vcc
	s_and_saveexec_b64 s[20:21], s[24:25]
	s_cbranch_execz .LBB50_36
; %bb.35:
	v_ashrrev_i32_e32 v115, 31, v114
	v_lshlrev_b64 v[110:111], 2, v[114:115]
	s_waitcnt vmcnt(1)
	v_add_co_u32_e32 v110, vcc, v126, v110
	s_waitcnt vmcnt(0)
	v_addc_co_u32_e32 v111, vcc, v127, v111, vcc
	global_load_dword v0, v[110:111], off
	global_load_dword v112, v[126:127], off offset:4
	s_waitcnt vmcnt(1)
	global_store_dword v[126:127], v0, off offset:4
	s_waitcnt vmcnt(1)
	global_store_dword v[110:111], v112, off
.LBB50_36:
	s_or_b64 exec, exec, s[20:21]
	v_mov_b32_e32 v116, v114
	v_mov_b32_e32 v0, v114
.LBB50_37:
	s_or_b64 exec, exec, s[8:9]
.LBB50_38:
	s_andn2_saveexec_b64 s[0:1], s[0:1]
	s_cbranch_execz .LBB50_40
; %bb.39:
	v_mov_b32_e32 v116, 1
	ds_write2_b64 v1, v[90:91], v[92:93] offset0:4 offset1:5
	ds_write2_b64 v1, v[86:87], v[88:89] offset0:6 offset1:7
	;; [unrolled: 1-line block ×24, first 2 shown]
.LBB50_40:
	s_or_b64 exec, exec, s[0:1]
	v_cmp_lt_i32_e32 vcc, 1, v116
	s_waitcnt vmcnt(0) lgkmcnt(0)
	s_barrier
	s_and_saveexec_b64 s[0:1], vcc
	s_cbranch_execz .LBB50_42
; %bb.41:
	v_mul_f64 v[110:111], v[108:109], v[96:97]
	v_mul_f64 v[96:97], v[106:107], v[96:97]
	v_fma_f64 v[114:115], v[106:107], v[94:95], -v[110:111]
	v_fma_f64 v[96:97], v[108:109], v[94:95], v[96:97]
	ds_read2_b64 v[106:109], v1 offset0:4 offset1:5
	s_waitcnt lgkmcnt(0)
	v_mul_f64 v[94:95], v[108:109], v[96:97]
	v_fma_f64 v[94:95], v[106:107], v[114:115], -v[94:95]
	v_mul_f64 v[106:107], v[106:107], v[96:97]
	v_add_f64 v[90:91], v[90:91], -v[94:95]
	v_fma_f64 v[106:107], v[108:109], v[114:115], v[106:107]
	v_add_f64 v[92:93], v[92:93], -v[106:107]
	ds_read2_b64 v[106:109], v1 offset0:6 offset1:7
	s_waitcnt lgkmcnt(0)
	v_mul_f64 v[94:95], v[108:109], v[96:97]
	v_fma_f64 v[94:95], v[106:107], v[114:115], -v[94:95]
	v_mul_f64 v[106:107], v[106:107], v[96:97]
	v_add_f64 v[86:87], v[86:87], -v[94:95]
	v_fma_f64 v[106:107], v[108:109], v[114:115], v[106:107]
	v_add_f64 v[88:89], v[88:89], -v[106:107]
	;; [unrolled: 8-line block ×23, first 2 shown]
	ds_read2_b64 v[106:109], v1 offset0:50 offset1:51
	s_waitcnt lgkmcnt(0)
	v_mul_f64 v[94:95], v[108:109], v[96:97]
	v_fma_f64 v[94:95], v[106:107], v[114:115], -v[94:95]
	v_mul_f64 v[106:107], v[106:107], v[96:97]
	v_add_f64 v[102:103], v[102:103], -v[94:95]
	v_fma_f64 v[106:107], v[108:109], v[114:115], v[106:107]
	v_mov_b32_e32 v94, v114
	v_mov_b32_e32 v95, v115
	v_add_f64 v[104:105], v[104:105], -v[106:107]
.LBB50_42:
	s_or_b64 exec, exec, s[0:1]
	v_lshl_add_u32 v106, v116, 4, v1
	s_barrier
	ds_write2_b64 v106, v[90:91], v[92:93] offset1:1
	s_waitcnt lgkmcnt(0)
	s_barrier
	ds_read2_b64 v[106:109], v1 offset0:4 offset1:5
	s_cmp_lt_i32 s22, 4
	v_mov_b32_e32 v114, 2
	s_cbranch_scc1 .LBB50_46
; %bb.43:
	v_add3_u32 v115, v120, 0, 48
	s_mov_b32 s0, 3
	v_mov_b32_e32 v114, 2
.LBB50_44:                              ; =>This Inner Loop Header: Depth=1
	s_waitcnt lgkmcnt(0)
	v_cmp_gt_f64_e32 vcc, 0, v[106:107]
	v_xor_b32_e32 v110, 0x80000000, v107
	ds_read2_b64 v[121:124], v115 offset1:1
	v_xor_b32_e32 v112, 0x80000000, v109
	v_add_u32_e32 v115, 16, v115
	s_waitcnt lgkmcnt(0)
	v_xor_b32_e32 v125, 0x80000000, v124
	v_cndmask_b32_e32 v111, v107, v110, vcc
	v_cmp_gt_f64_e32 vcc, 0, v[108:109]
	v_mov_b32_e32 v110, v106
	v_cndmask_b32_e32 v113, v109, v112, vcc
	v_cmp_gt_f64_e32 vcc, 0, v[121:122]
	v_mov_b32_e32 v112, v108
	v_add_f64 v[110:111], v[110:111], v[112:113]
	v_xor_b32_e32 v112, 0x80000000, v122
	v_cndmask_b32_e32 v113, v122, v112, vcc
	v_cmp_gt_f64_e32 vcc, 0, v[123:124]
	v_mov_b32_e32 v112, v121
	v_cndmask_b32_e32 v126, v124, v125, vcc
	v_mov_b32_e32 v125, v123
	v_add_f64 v[112:113], v[112:113], v[125:126]
	v_cmp_lt_f64_e32 vcc, v[110:111], v[112:113]
	v_mov_b32_e32 v110, s0
	s_add_i32 s0, s0, 1
	s_cmp_lg_u32 s22, s0
	v_cndmask_b32_e32 v107, v107, v122, vcc
	v_cndmask_b32_e32 v106, v106, v121, vcc
	;; [unrolled: 1-line block ×5, first 2 shown]
	s_cbranch_scc1 .LBB50_44
; %bb.45:
	buffer_load_dword v126, off, s[28:31], 0 ; 4-byte Folded Reload
	buffer_load_dword v127, off, s[28:31], 0 offset:4 ; 4-byte Folded Reload
.LBB50_46:
	s_waitcnt lgkmcnt(0)
	v_cmp_eq_f64_e32 vcc, 0, v[106:107]
	v_cmp_eq_f64_e64 s[0:1], 0, v[108:109]
	s_and_b64 s[0:1], vcc, s[0:1]
	s_and_saveexec_b64 s[8:9], s[0:1]
	s_xor_b64 s[0:1], exec, s[8:9]
; %bb.47:
	v_cmp_ne_u32_e32 vcc, 0, v119
	v_cndmask_b32_e32 v119, 3, v119, vcc
; %bb.48:
	s_andn2_saveexec_b64 s[0:1], s[0:1]
	s_cbranch_execz .LBB50_54
; %bb.49:
	v_cmp_ngt_f64_e64 s[8:9], |v[106:107]|, |v[108:109]|
	s_and_saveexec_b64 s[20:21], s[8:9]
	s_xor_b64 s[8:9], exec, s[20:21]
	s_cbranch_execz .LBB50_51
; %bb.50:
	v_div_scale_f64 v[110:111], s[20:21], v[108:109], v[108:109], v[106:107]
	v_rcp_f64_e32 v[112:113], v[110:111]
	v_fma_f64 v[121:122], -v[110:111], v[112:113], 1.0
	v_fma_f64 v[112:113], v[112:113], v[121:122], v[112:113]
	v_div_scale_f64 v[121:122], vcc, v[106:107], v[108:109], v[106:107]
	v_fma_f64 v[123:124], -v[110:111], v[112:113], 1.0
	v_fma_f64 v[112:113], v[112:113], v[123:124], v[112:113]
	v_mul_f64 v[123:124], v[121:122], v[112:113]
	v_fma_f64 v[110:111], -v[110:111], v[123:124], v[121:122]
	v_div_fmas_f64 v[110:111], v[110:111], v[112:113], v[123:124]
	v_div_fixup_f64 v[110:111], v[110:111], v[108:109], v[106:107]
	v_fma_f64 v[106:107], v[106:107], v[110:111], v[108:109]
	v_div_scale_f64 v[108:109], s[20:21], v[106:107], v[106:107], 1.0
	v_div_scale_f64 v[123:124], vcc, 1.0, v[106:107], 1.0
	v_rcp_f64_e32 v[112:113], v[108:109]
	v_fma_f64 v[121:122], -v[108:109], v[112:113], 1.0
	v_fma_f64 v[112:113], v[112:113], v[121:122], v[112:113]
	v_fma_f64 v[121:122], -v[108:109], v[112:113], 1.0
	v_fma_f64 v[112:113], v[112:113], v[121:122], v[112:113]
	v_mul_f64 v[121:122], v[123:124], v[112:113]
	v_fma_f64 v[108:109], -v[108:109], v[121:122], v[123:124]
	v_div_fmas_f64 v[108:109], v[108:109], v[112:113], v[121:122]
	v_div_fixup_f64 v[108:109], v[108:109], v[106:107], 1.0
	v_mul_f64 v[106:107], v[110:111], v[108:109]
	v_xor_b32_e32 v109, 0x80000000, v109
.LBB50_51:
	s_andn2_saveexec_b64 s[8:9], s[8:9]
	s_cbranch_execz .LBB50_53
; %bb.52:
	v_div_scale_f64 v[110:111], s[20:21], v[106:107], v[106:107], v[108:109]
	v_rcp_f64_e32 v[112:113], v[110:111]
	v_fma_f64 v[121:122], -v[110:111], v[112:113], 1.0
	v_fma_f64 v[112:113], v[112:113], v[121:122], v[112:113]
	v_div_scale_f64 v[121:122], vcc, v[108:109], v[106:107], v[108:109]
	v_fma_f64 v[123:124], -v[110:111], v[112:113], 1.0
	v_fma_f64 v[112:113], v[112:113], v[123:124], v[112:113]
	v_mul_f64 v[123:124], v[121:122], v[112:113]
	v_fma_f64 v[110:111], -v[110:111], v[123:124], v[121:122]
	v_div_fmas_f64 v[110:111], v[110:111], v[112:113], v[123:124]
	v_div_fixup_f64 v[110:111], v[110:111], v[106:107], v[108:109]
	v_fma_f64 v[106:107], v[108:109], v[110:111], v[106:107]
	v_div_scale_f64 v[108:109], s[20:21], v[106:107], v[106:107], 1.0
	v_div_scale_f64 v[123:124], vcc, 1.0, v[106:107], 1.0
	v_rcp_f64_e32 v[112:113], v[108:109]
	v_fma_f64 v[121:122], -v[108:109], v[112:113], 1.0
	v_fma_f64 v[112:113], v[112:113], v[121:122], v[112:113]
	v_fma_f64 v[121:122], -v[108:109], v[112:113], 1.0
	v_fma_f64 v[112:113], v[112:113], v[121:122], v[112:113]
	v_mul_f64 v[121:122], v[123:124], v[112:113]
	v_fma_f64 v[108:109], -v[108:109], v[121:122], v[123:124]
	v_div_fmas_f64 v[108:109], v[108:109], v[112:113], v[121:122]
	v_div_fixup_f64 v[106:107], v[108:109], v[106:107], 1.0
	v_mul_f64 v[108:109], v[110:111], -v[106:107]
.LBB50_53:
	s_or_b64 exec, exec, s[8:9]
.LBB50_54:
	s_or_b64 exec, exec, s[0:1]
	v_cmp_ne_u32_e32 vcc, v116, v114
	s_and_saveexec_b64 s[0:1], vcc
	s_xor_b64 s[0:1], exec, s[0:1]
	s_cbranch_execz .LBB50_60
; %bb.55:
	v_cmp_eq_u32_e32 vcc, 2, v116
	s_and_saveexec_b64 s[8:9], vcc
	s_cbranch_execz .LBB50_59
; %bb.56:
	v_cmp_ne_u32_e32 vcc, 2, v114
	s_xor_b64 s[20:21], s[18:19], -1
	s_and_b64 s[24:25], s[20:21], vcc
	s_and_saveexec_b64 s[20:21], s[24:25]
	s_cbranch_execz .LBB50_58
; %bb.57:
	v_ashrrev_i32_e32 v115, 31, v114
	v_lshlrev_b64 v[110:111], 2, v[114:115]
	s_waitcnt vmcnt(1)
	v_add_co_u32_e32 v110, vcc, v126, v110
	s_waitcnt vmcnt(0)
	v_addc_co_u32_e32 v111, vcc, v127, v111, vcc
	global_load_dword v0, v[110:111], off
	global_load_dword v112, v[126:127], off offset:8
	s_waitcnt vmcnt(1)
	global_store_dword v[126:127], v0, off offset:8
	s_waitcnt vmcnt(1)
	global_store_dword v[110:111], v112, off
.LBB50_58:
	s_or_b64 exec, exec, s[20:21]
	v_mov_b32_e32 v116, v114
	v_mov_b32_e32 v0, v114
.LBB50_59:
	s_or_b64 exec, exec, s[8:9]
.LBB50_60:
	s_andn2_saveexec_b64 s[0:1], s[0:1]
	s_cbranch_execz .LBB50_62
; %bb.61:
	v_mov_b32_e32 v116, 2
	ds_write2_b64 v1, v[86:87], v[88:89] offset0:6 offset1:7
	ds_write2_b64 v1, v[82:83], v[84:85] offset0:8 offset1:9
	;; [unrolled: 1-line block ×23, first 2 shown]
.LBB50_62:
	s_or_b64 exec, exec, s[0:1]
	v_cmp_lt_i32_e32 vcc, 2, v116
	s_waitcnt vmcnt(0) lgkmcnt(0)
	s_barrier
	s_and_saveexec_b64 s[0:1], vcc
	s_cbranch_execz .LBB50_64
; %bb.63:
	v_mul_f64 v[110:111], v[108:109], v[92:93]
	v_mul_f64 v[92:93], v[106:107], v[92:93]
	v_fma_f64 v[114:115], v[106:107], v[90:91], -v[110:111]
	v_fma_f64 v[92:93], v[108:109], v[90:91], v[92:93]
	ds_read2_b64 v[106:109], v1 offset0:6 offset1:7
	s_waitcnt lgkmcnt(0)
	v_mul_f64 v[90:91], v[108:109], v[92:93]
	v_fma_f64 v[90:91], v[106:107], v[114:115], -v[90:91]
	v_mul_f64 v[106:107], v[106:107], v[92:93]
	v_add_f64 v[86:87], v[86:87], -v[90:91]
	v_fma_f64 v[106:107], v[108:109], v[114:115], v[106:107]
	v_add_f64 v[88:89], v[88:89], -v[106:107]
	ds_read2_b64 v[106:109], v1 offset0:8 offset1:9
	s_waitcnt lgkmcnt(0)
	v_mul_f64 v[90:91], v[108:109], v[92:93]
	v_fma_f64 v[90:91], v[106:107], v[114:115], -v[90:91]
	v_mul_f64 v[106:107], v[106:107], v[92:93]
	v_add_f64 v[82:83], v[82:83], -v[90:91]
	v_fma_f64 v[106:107], v[108:109], v[114:115], v[106:107]
	v_add_f64 v[84:85], v[84:85], -v[106:107]
	ds_read2_b64 v[106:109], v1 offset0:10 offset1:11
	s_waitcnt lgkmcnt(0)
	v_mul_f64 v[90:91], v[108:109], v[92:93]
	v_fma_f64 v[90:91], v[106:107], v[114:115], -v[90:91]
	v_mul_f64 v[106:107], v[106:107], v[92:93]
	v_add_f64 v[78:79], v[78:79], -v[90:91]
	v_fma_f64 v[106:107], v[108:109], v[114:115], v[106:107]
	v_add_f64 v[80:81], v[80:81], -v[106:107]
	ds_read2_b64 v[106:109], v1 offset0:12 offset1:13
	s_waitcnt lgkmcnt(0)
	v_mul_f64 v[90:91], v[108:109], v[92:93]
	v_fma_f64 v[90:91], v[106:107], v[114:115], -v[90:91]
	v_mul_f64 v[106:107], v[106:107], v[92:93]
	v_add_f64 v[74:75], v[74:75], -v[90:91]
	v_fma_f64 v[106:107], v[108:109], v[114:115], v[106:107]
	v_add_f64 v[76:77], v[76:77], -v[106:107]
	ds_read2_b64 v[106:109], v1 offset0:14 offset1:15
	s_waitcnt lgkmcnt(0)
	v_mul_f64 v[90:91], v[108:109], v[92:93]
	v_fma_f64 v[90:91], v[106:107], v[114:115], -v[90:91]
	v_mul_f64 v[106:107], v[106:107], v[92:93]
	v_add_f64 v[70:71], v[70:71], -v[90:91]
	v_fma_f64 v[106:107], v[108:109], v[114:115], v[106:107]
	v_add_f64 v[72:73], v[72:73], -v[106:107]
	ds_read2_b64 v[106:109], v1 offset0:16 offset1:17
	s_waitcnt lgkmcnt(0)
	v_mul_f64 v[90:91], v[108:109], v[92:93]
	v_fma_f64 v[90:91], v[106:107], v[114:115], -v[90:91]
	v_mul_f64 v[106:107], v[106:107], v[92:93]
	v_add_f64 v[66:67], v[66:67], -v[90:91]
	v_fma_f64 v[106:107], v[108:109], v[114:115], v[106:107]
	v_add_f64 v[68:69], v[68:69], -v[106:107]
	ds_read2_b64 v[106:109], v1 offset0:18 offset1:19
	s_waitcnt lgkmcnt(0)
	v_mul_f64 v[90:91], v[108:109], v[92:93]
	v_fma_f64 v[90:91], v[106:107], v[114:115], -v[90:91]
	v_mul_f64 v[106:107], v[106:107], v[92:93]
	v_add_f64 v[62:63], v[62:63], -v[90:91]
	v_fma_f64 v[106:107], v[108:109], v[114:115], v[106:107]
	v_add_f64 v[64:65], v[64:65], -v[106:107]
	ds_read2_b64 v[106:109], v1 offset0:20 offset1:21
	s_waitcnt lgkmcnt(0)
	v_mul_f64 v[90:91], v[108:109], v[92:93]
	v_fma_f64 v[90:91], v[106:107], v[114:115], -v[90:91]
	v_mul_f64 v[106:107], v[106:107], v[92:93]
	v_add_f64 v[58:59], v[58:59], -v[90:91]
	v_fma_f64 v[106:107], v[108:109], v[114:115], v[106:107]
	v_add_f64 v[60:61], v[60:61], -v[106:107]
	ds_read2_b64 v[106:109], v1 offset0:22 offset1:23
	s_waitcnt lgkmcnt(0)
	v_mul_f64 v[90:91], v[108:109], v[92:93]
	v_fma_f64 v[90:91], v[106:107], v[114:115], -v[90:91]
	v_mul_f64 v[106:107], v[106:107], v[92:93]
	v_add_f64 v[54:55], v[54:55], -v[90:91]
	v_fma_f64 v[106:107], v[108:109], v[114:115], v[106:107]
	v_add_f64 v[56:57], v[56:57], -v[106:107]
	ds_read2_b64 v[106:109], v1 offset0:24 offset1:25
	s_waitcnt lgkmcnt(0)
	v_mul_f64 v[90:91], v[108:109], v[92:93]
	v_fma_f64 v[90:91], v[106:107], v[114:115], -v[90:91]
	v_mul_f64 v[106:107], v[106:107], v[92:93]
	v_add_f64 v[50:51], v[50:51], -v[90:91]
	v_fma_f64 v[106:107], v[108:109], v[114:115], v[106:107]
	v_add_f64 v[52:53], v[52:53], -v[106:107]
	ds_read2_b64 v[106:109], v1 offset0:26 offset1:27
	s_waitcnt lgkmcnt(0)
	v_mul_f64 v[90:91], v[108:109], v[92:93]
	v_fma_f64 v[90:91], v[106:107], v[114:115], -v[90:91]
	v_mul_f64 v[106:107], v[106:107], v[92:93]
	v_add_f64 v[46:47], v[46:47], -v[90:91]
	v_fma_f64 v[106:107], v[108:109], v[114:115], v[106:107]
	v_add_f64 v[48:49], v[48:49], -v[106:107]
	ds_read2_b64 v[106:109], v1 offset0:28 offset1:29
	s_waitcnt lgkmcnt(0)
	v_mul_f64 v[90:91], v[108:109], v[92:93]
	v_fma_f64 v[90:91], v[106:107], v[114:115], -v[90:91]
	v_mul_f64 v[106:107], v[106:107], v[92:93]
	v_add_f64 v[42:43], v[42:43], -v[90:91]
	v_fma_f64 v[106:107], v[108:109], v[114:115], v[106:107]
	v_add_f64 v[44:45], v[44:45], -v[106:107]
	ds_read2_b64 v[106:109], v1 offset0:30 offset1:31
	s_waitcnt lgkmcnt(0)
	v_mul_f64 v[90:91], v[108:109], v[92:93]
	v_fma_f64 v[90:91], v[106:107], v[114:115], -v[90:91]
	v_mul_f64 v[106:107], v[106:107], v[92:93]
	v_add_f64 v[38:39], v[38:39], -v[90:91]
	v_fma_f64 v[106:107], v[108:109], v[114:115], v[106:107]
	v_add_f64 v[40:41], v[40:41], -v[106:107]
	ds_read2_b64 v[106:109], v1 offset0:32 offset1:33
	s_waitcnt lgkmcnt(0)
	v_mul_f64 v[90:91], v[108:109], v[92:93]
	v_fma_f64 v[90:91], v[106:107], v[114:115], -v[90:91]
	v_mul_f64 v[106:107], v[106:107], v[92:93]
	v_add_f64 v[34:35], v[34:35], -v[90:91]
	v_fma_f64 v[106:107], v[108:109], v[114:115], v[106:107]
	v_add_f64 v[36:37], v[36:37], -v[106:107]
	ds_read2_b64 v[106:109], v1 offset0:34 offset1:35
	s_waitcnt lgkmcnt(0)
	v_mul_f64 v[90:91], v[108:109], v[92:93]
	v_fma_f64 v[90:91], v[106:107], v[114:115], -v[90:91]
	v_mul_f64 v[106:107], v[106:107], v[92:93]
	v_add_f64 v[30:31], v[30:31], -v[90:91]
	v_fma_f64 v[106:107], v[108:109], v[114:115], v[106:107]
	v_add_f64 v[32:33], v[32:33], -v[106:107]
	ds_read2_b64 v[106:109], v1 offset0:36 offset1:37
	s_waitcnt lgkmcnt(0)
	v_mul_f64 v[90:91], v[108:109], v[92:93]
	v_fma_f64 v[90:91], v[106:107], v[114:115], -v[90:91]
	v_mul_f64 v[106:107], v[106:107], v[92:93]
	v_add_f64 v[26:27], v[26:27], -v[90:91]
	v_fma_f64 v[106:107], v[108:109], v[114:115], v[106:107]
	v_add_f64 v[28:29], v[28:29], -v[106:107]
	ds_read2_b64 v[106:109], v1 offset0:38 offset1:39
	s_waitcnt lgkmcnt(0)
	v_mul_f64 v[90:91], v[108:109], v[92:93]
	v_fma_f64 v[90:91], v[106:107], v[114:115], -v[90:91]
	v_mul_f64 v[106:107], v[106:107], v[92:93]
	v_add_f64 v[22:23], v[22:23], -v[90:91]
	v_fma_f64 v[106:107], v[108:109], v[114:115], v[106:107]
	v_add_f64 v[24:25], v[24:25], -v[106:107]
	ds_read2_b64 v[106:109], v1 offset0:40 offset1:41
	s_waitcnt lgkmcnt(0)
	v_mul_f64 v[90:91], v[108:109], v[92:93]
	v_fma_f64 v[90:91], v[106:107], v[114:115], -v[90:91]
	v_mul_f64 v[106:107], v[106:107], v[92:93]
	v_add_f64 v[18:19], v[18:19], -v[90:91]
	v_fma_f64 v[106:107], v[108:109], v[114:115], v[106:107]
	v_add_f64 v[20:21], v[20:21], -v[106:107]
	ds_read2_b64 v[106:109], v1 offset0:42 offset1:43
	s_waitcnt lgkmcnt(0)
	v_mul_f64 v[90:91], v[108:109], v[92:93]
	v_fma_f64 v[90:91], v[106:107], v[114:115], -v[90:91]
	v_mul_f64 v[106:107], v[106:107], v[92:93]
	v_add_f64 v[14:15], v[14:15], -v[90:91]
	v_fma_f64 v[106:107], v[108:109], v[114:115], v[106:107]
	v_add_f64 v[16:17], v[16:17], -v[106:107]
	ds_read2_b64 v[106:109], v1 offset0:44 offset1:45
	s_waitcnt lgkmcnt(0)
	v_mul_f64 v[90:91], v[108:109], v[92:93]
	v_fma_f64 v[90:91], v[106:107], v[114:115], -v[90:91]
	v_mul_f64 v[106:107], v[106:107], v[92:93]
	v_add_f64 v[10:11], v[10:11], -v[90:91]
	v_fma_f64 v[106:107], v[108:109], v[114:115], v[106:107]
	v_add_f64 v[12:13], v[12:13], -v[106:107]
	ds_read2_b64 v[106:109], v1 offset0:46 offset1:47
	s_waitcnt lgkmcnt(0)
	v_mul_f64 v[90:91], v[108:109], v[92:93]
	v_fma_f64 v[90:91], v[106:107], v[114:115], -v[90:91]
	v_mul_f64 v[106:107], v[106:107], v[92:93]
	v_add_f64 v[6:7], v[6:7], -v[90:91]
	v_fma_f64 v[106:107], v[108:109], v[114:115], v[106:107]
	v_add_f64 v[8:9], v[8:9], -v[106:107]
	ds_read2_b64 v[106:109], v1 offset0:48 offset1:49
	s_waitcnt lgkmcnt(0)
	v_mul_f64 v[90:91], v[108:109], v[92:93]
	v_fma_f64 v[90:91], v[106:107], v[114:115], -v[90:91]
	v_mul_f64 v[106:107], v[106:107], v[92:93]
	v_add_f64 v[2:3], v[2:3], -v[90:91]
	v_fma_f64 v[106:107], v[108:109], v[114:115], v[106:107]
	v_add_f64 v[4:5], v[4:5], -v[106:107]
	ds_read2_b64 v[106:109], v1 offset0:50 offset1:51
	s_waitcnt lgkmcnt(0)
	v_mul_f64 v[90:91], v[108:109], v[92:93]
	v_fma_f64 v[90:91], v[106:107], v[114:115], -v[90:91]
	v_mul_f64 v[106:107], v[106:107], v[92:93]
	v_add_f64 v[102:103], v[102:103], -v[90:91]
	v_fma_f64 v[106:107], v[108:109], v[114:115], v[106:107]
	v_mov_b32_e32 v90, v114
	v_mov_b32_e32 v91, v115
	v_add_f64 v[104:105], v[104:105], -v[106:107]
.LBB50_64:
	s_or_b64 exec, exec, s[0:1]
	v_lshl_add_u32 v106, v116, 4, v1
	s_barrier
	ds_write2_b64 v106, v[86:87], v[88:89] offset1:1
	s_waitcnt lgkmcnt(0)
	s_barrier
	ds_read2_b64 v[106:109], v1 offset0:6 offset1:7
	s_mov_b32 s0, 4
	s_cmp_lt_i32 s22, 5
	v_mov_b32_e32 v114, 3
	s_cbranch_scc1 .LBB50_67
; %bb.65:
	v_add3_u32 v115, v120, 0, 64
	v_mov_b32_e32 v114, 3
.LBB50_66:                              ; =>This Inner Loop Header: Depth=1
	s_waitcnt lgkmcnt(0)
	v_cmp_gt_f64_e32 vcc, 0, v[106:107]
	v_xor_b32_e32 v110, 0x80000000, v107
	ds_read2_b64 v[120:123], v115 offset1:1
	v_xor_b32_e32 v112, 0x80000000, v109
	v_add_u32_e32 v115, 16, v115
	s_waitcnt lgkmcnt(0)
	v_xor_b32_e32 v124, 0x80000000, v123
	v_cndmask_b32_e32 v111, v107, v110, vcc
	v_cmp_gt_f64_e32 vcc, 0, v[108:109]
	v_mov_b32_e32 v110, v106
	v_cndmask_b32_e32 v113, v109, v112, vcc
	v_cmp_gt_f64_e32 vcc, 0, v[120:121]
	v_mov_b32_e32 v112, v108
	v_add_f64 v[110:111], v[110:111], v[112:113]
	v_xor_b32_e32 v112, 0x80000000, v121
	v_cndmask_b32_e32 v113, v121, v112, vcc
	v_cmp_gt_f64_e32 vcc, 0, v[122:123]
	v_mov_b32_e32 v112, v120
	v_cndmask_b32_e32 v125, v123, v124, vcc
	v_mov_b32_e32 v124, v122
	v_add_f64 v[112:113], v[112:113], v[124:125]
	v_cmp_lt_f64_e32 vcc, v[110:111], v[112:113]
	v_mov_b32_e32 v110, s0
	s_add_i32 s0, s0, 1
	s_cmp_lg_u32 s22, s0
	v_cndmask_b32_e32 v107, v107, v121, vcc
	v_cndmask_b32_e32 v106, v106, v120, vcc
	;; [unrolled: 1-line block ×5, first 2 shown]
	s_cbranch_scc1 .LBB50_66
.LBB50_67:
	s_waitcnt lgkmcnt(0)
	v_cmp_eq_f64_e32 vcc, 0, v[106:107]
	v_cmp_eq_f64_e64 s[0:1], 0, v[108:109]
	s_and_b64 s[0:1], vcc, s[0:1]
	s_and_saveexec_b64 s[8:9], s[0:1]
	s_xor_b64 s[0:1], exec, s[8:9]
; %bb.68:
	v_cmp_ne_u32_e32 vcc, 0, v119
	v_cndmask_b32_e32 v119, 4, v119, vcc
; %bb.69:
	s_andn2_saveexec_b64 s[0:1], s[0:1]
	s_cbranch_execz .LBB50_75
; %bb.70:
	v_cmp_ngt_f64_e64 s[8:9], |v[106:107]|, |v[108:109]|
	s_and_saveexec_b64 s[20:21], s[8:9]
	s_xor_b64 s[8:9], exec, s[20:21]
	s_cbranch_execz .LBB50_72
; %bb.71:
	v_div_scale_f64 v[110:111], s[20:21], v[108:109], v[108:109], v[106:107]
	v_rcp_f64_e32 v[112:113], v[110:111]
	v_fma_f64 v[120:121], -v[110:111], v[112:113], 1.0
	v_fma_f64 v[112:113], v[112:113], v[120:121], v[112:113]
	v_div_scale_f64 v[120:121], vcc, v[106:107], v[108:109], v[106:107]
	v_fma_f64 v[122:123], -v[110:111], v[112:113], 1.0
	v_fma_f64 v[112:113], v[112:113], v[122:123], v[112:113]
	v_mul_f64 v[122:123], v[120:121], v[112:113]
	v_fma_f64 v[110:111], -v[110:111], v[122:123], v[120:121]
	v_div_fmas_f64 v[110:111], v[110:111], v[112:113], v[122:123]
	v_div_fixup_f64 v[110:111], v[110:111], v[108:109], v[106:107]
	v_fma_f64 v[106:107], v[106:107], v[110:111], v[108:109]
	v_div_scale_f64 v[108:109], s[20:21], v[106:107], v[106:107], 1.0
	v_div_scale_f64 v[122:123], vcc, 1.0, v[106:107], 1.0
	v_rcp_f64_e32 v[112:113], v[108:109]
	v_fma_f64 v[120:121], -v[108:109], v[112:113], 1.0
	v_fma_f64 v[112:113], v[112:113], v[120:121], v[112:113]
	v_fma_f64 v[120:121], -v[108:109], v[112:113], 1.0
	v_fma_f64 v[112:113], v[112:113], v[120:121], v[112:113]
	v_mul_f64 v[120:121], v[122:123], v[112:113]
	v_fma_f64 v[108:109], -v[108:109], v[120:121], v[122:123]
	v_div_fmas_f64 v[108:109], v[108:109], v[112:113], v[120:121]
	v_div_fixup_f64 v[108:109], v[108:109], v[106:107], 1.0
	v_mul_f64 v[106:107], v[110:111], v[108:109]
	v_xor_b32_e32 v109, 0x80000000, v109
.LBB50_72:
	s_andn2_saveexec_b64 s[8:9], s[8:9]
	s_cbranch_execz .LBB50_74
; %bb.73:
	v_div_scale_f64 v[110:111], s[20:21], v[106:107], v[106:107], v[108:109]
	v_rcp_f64_e32 v[112:113], v[110:111]
	v_fma_f64 v[120:121], -v[110:111], v[112:113], 1.0
	v_fma_f64 v[112:113], v[112:113], v[120:121], v[112:113]
	v_div_scale_f64 v[120:121], vcc, v[108:109], v[106:107], v[108:109]
	v_fma_f64 v[122:123], -v[110:111], v[112:113], 1.0
	v_fma_f64 v[112:113], v[112:113], v[122:123], v[112:113]
	v_mul_f64 v[122:123], v[120:121], v[112:113]
	v_fma_f64 v[110:111], -v[110:111], v[122:123], v[120:121]
	v_div_fmas_f64 v[110:111], v[110:111], v[112:113], v[122:123]
	v_div_fixup_f64 v[110:111], v[110:111], v[106:107], v[108:109]
	v_fma_f64 v[106:107], v[108:109], v[110:111], v[106:107]
	v_div_scale_f64 v[108:109], s[20:21], v[106:107], v[106:107], 1.0
	v_div_scale_f64 v[122:123], vcc, 1.0, v[106:107], 1.0
	v_rcp_f64_e32 v[112:113], v[108:109]
	v_fma_f64 v[120:121], -v[108:109], v[112:113], 1.0
	v_fma_f64 v[112:113], v[112:113], v[120:121], v[112:113]
	v_fma_f64 v[120:121], -v[108:109], v[112:113], 1.0
	v_fma_f64 v[112:113], v[112:113], v[120:121], v[112:113]
	v_mul_f64 v[120:121], v[122:123], v[112:113]
	v_fma_f64 v[108:109], -v[108:109], v[120:121], v[122:123]
	v_div_fmas_f64 v[108:109], v[108:109], v[112:113], v[120:121]
	v_div_fixup_f64 v[106:107], v[108:109], v[106:107], 1.0
	v_mul_f64 v[108:109], v[110:111], -v[106:107]
.LBB50_74:
	s_or_b64 exec, exec, s[8:9]
.LBB50_75:
	s_or_b64 exec, exec, s[0:1]
	v_cmp_ne_u32_e32 vcc, v116, v114
	s_and_saveexec_b64 s[0:1], vcc
	s_xor_b64 s[0:1], exec, s[0:1]
	s_cbranch_execz .LBB50_81
; %bb.76:
	v_cmp_eq_u32_e32 vcc, 3, v116
	s_and_saveexec_b64 s[8:9], vcc
	s_cbranch_execz .LBB50_80
; %bb.77:
	v_cmp_ne_u32_e32 vcc, 3, v114
	s_xor_b64 s[20:21], s[18:19], -1
	s_and_b64 s[24:25], s[20:21], vcc
	s_and_saveexec_b64 s[20:21], s[24:25]
	s_cbranch_execz .LBB50_79
; %bb.78:
	v_ashrrev_i32_e32 v115, 31, v114
	v_lshlrev_b64 v[110:111], 2, v[114:115]
	v_add_co_u32_e32 v110, vcc, v126, v110
	v_addc_co_u32_e32 v111, vcc, v127, v111, vcc
	global_load_dword v0, v[110:111], off
	global_load_dword v112, v[126:127], off offset:12
	s_waitcnt vmcnt(1)
	global_store_dword v[126:127], v0, off offset:12
	s_waitcnt vmcnt(1)
	global_store_dword v[110:111], v112, off
.LBB50_79:
	s_or_b64 exec, exec, s[20:21]
	v_mov_b32_e32 v116, v114
	v_mov_b32_e32 v0, v114
.LBB50_80:
	s_or_b64 exec, exec, s[8:9]
.LBB50_81:
	s_andn2_saveexec_b64 s[0:1], s[0:1]
	s_cbranch_execz .LBB50_83
; %bb.82:
	v_mov_b32_e32 v116, 3
	ds_write2_b64 v1, v[82:83], v[84:85] offset0:8 offset1:9
	ds_write2_b64 v1, v[78:79], v[80:81] offset0:10 offset1:11
	;; [unrolled: 1-line block ×22, first 2 shown]
.LBB50_83:
	s_or_b64 exec, exec, s[0:1]
	v_cmp_lt_i32_e32 vcc, 3, v116
	s_waitcnt vmcnt(0) lgkmcnt(0)
	s_barrier
	s_and_saveexec_b64 s[0:1], vcc
	s_cbranch_execz .LBB50_85
; %bb.84:
	v_mul_f64 v[110:111], v[108:109], v[88:89]
	v_mul_f64 v[88:89], v[106:107], v[88:89]
	v_fma_f64 v[114:115], v[106:107], v[86:87], -v[110:111]
	v_fma_f64 v[88:89], v[108:109], v[86:87], v[88:89]
	ds_read2_b64 v[106:109], v1 offset0:8 offset1:9
	s_waitcnt lgkmcnt(0)
	v_mul_f64 v[86:87], v[108:109], v[88:89]
	v_fma_f64 v[86:87], v[106:107], v[114:115], -v[86:87]
	v_mul_f64 v[106:107], v[106:107], v[88:89]
	v_add_f64 v[82:83], v[82:83], -v[86:87]
	v_fma_f64 v[106:107], v[108:109], v[114:115], v[106:107]
	v_add_f64 v[84:85], v[84:85], -v[106:107]
	ds_read2_b64 v[106:109], v1 offset0:10 offset1:11
	s_waitcnt lgkmcnt(0)
	v_mul_f64 v[86:87], v[108:109], v[88:89]
	v_fma_f64 v[86:87], v[106:107], v[114:115], -v[86:87]
	v_mul_f64 v[106:107], v[106:107], v[88:89]
	v_add_f64 v[78:79], v[78:79], -v[86:87]
	v_fma_f64 v[106:107], v[108:109], v[114:115], v[106:107]
	v_add_f64 v[80:81], v[80:81], -v[106:107]
	;; [unrolled: 8-line block ×21, first 2 shown]
	ds_read2_b64 v[106:109], v1 offset0:50 offset1:51
	s_waitcnt lgkmcnt(0)
	v_mul_f64 v[86:87], v[108:109], v[88:89]
	v_fma_f64 v[86:87], v[106:107], v[114:115], -v[86:87]
	v_mul_f64 v[106:107], v[106:107], v[88:89]
	v_add_f64 v[102:103], v[102:103], -v[86:87]
	v_fma_f64 v[106:107], v[108:109], v[114:115], v[106:107]
	v_mov_b32_e32 v86, v114
	v_mov_b32_e32 v87, v115
	v_add_f64 v[104:105], v[104:105], -v[106:107]
.LBB50_85:
	s_or_b64 exec, exec, s[0:1]
	v_lshl_add_u32 v106, v116, 4, v1
	s_barrier
	ds_write2_b64 v106, v[82:83], v[84:85] offset1:1
	s_waitcnt lgkmcnt(0)
	s_barrier
	ds_read2_b64 v[106:109], v1 offset0:8 offset1:9
	s_cmp_lt_i32 s22, 6
	v_mov_b32_e32 v114, 4
	s_cbranch_scc1 .LBB50_88
; %bb.86:
	v_mov_b32_e32 v114, 4
	v_add_u32_e32 v115, 0x50, v1
	s_mov_b32 s0, 5
.LBB50_87:                              ; =>This Inner Loop Header: Depth=1
	s_waitcnt lgkmcnt(0)
	v_cmp_gt_f64_e32 vcc, 0, v[106:107]
	v_xor_b32_e32 v110, 0x80000000, v107
	ds_read2_b64 v[120:123], v115 offset1:1
	v_xor_b32_e32 v112, 0x80000000, v109
	v_add_u32_e32 v115, 16, v115
	s_waitcnt lgkmcnt(0)
	v_xor_b32_e32 v124, 0x80000000, v123
	v_cndmask_b32_e32 v111, v107, v110, vcc
	v_cmp_gt_f64_e32 vcc, 0, v[108:109]
	v_mov_b32_e32 v110, v106
	v_cndmask_b32_e32 v113, v109, v112, vcc
	v_cmp_gt_f64_e32 vcc, 0, v[120:121]
	v_mov_b32_e32 v112, v108
	v_add_f64 v[110:111], v[110:111], v[112:113]
	v_xor_b32_e32 v112, 0x80000000, v121
	v_cndmask_b32_e32 v113, v121, v112, vcc
	v_cmp_gt_f64_e32 vcc, 0, v[122:123]
	v_mov_b32_e32 v112, v120
	v_cndmask_b32_e32 v125, v123, v124, vcc
	v_mov_b32_e32 v124, v122
	v_add_f64 v[112:113], v[112:113], v[124:125]
	v_cmp_lt_f64_e32 vcc, v[110:111], v[112:113]
	v_mov_b32_e32 v110, s0
	s_add_i32 s0, s0, 1
	s_cmp_lg_u32 s22, s0
	v_cndmask_b32_e32 v107, v107, v121, vcc
	v_cndmask_b32_e32 v106, v106, v120, vcc
	;; [unrolled: 1-line block ×5, first 2 shown]
	s_cbranch_scc1 .LBB50_87
.LBB50_88:
	s_waitcnt lgkmcnt(0)
	v_cmp_eq_f64_e32 vcc, 0, v[106:107]
	v_cmp_eq_f64_e64 s[0:1], 0, v[108:109]
	s_and_b64 s[0:1], vcc, s[0:1]
	s_and_saveexec_b64 s[8:9], s[0:1]
	s_xor_b64 s[0:1], exec, s[8:9]
; %bb.89:
	v_cmp_ne_u32_e32 vcc, 0, v119
	v_cndmask_b32_e32 v119, 5, v119, vcc
; %bb.90:
	s_andn2_saveexec_b64 s[0:1], s[0:1]
	s_cbranch_execz .LBB50_96
; %bb.91:
	v_cmp_ngt_f64_e64 s[8:9], |v[106:107]|, |v[108:109]|
	s_and_saveexec_b64 s[20:21], s[8:9]
	s_xor_b64 s[8:9], exec, s[20:21]
	s_cbranch_execz .LBB50_93
; %bb.92:
	v_div_scale_f64 v[110:111], s[20:21], v[108:109], v[108:109], v[106:107]
	v_rcp_f64_e32 v[112:113], v[110:111]
	v_fma_f64 v[120:121], -v[110:111], v[112:113], 1.0
	v_fma_f64 v[112:113], v[112:113], v[120:121], v[112:113]
	v_div_scale_f64 v[120:121], vcc, v[106:107], v[108:109], v[106:107]
	v_fma_f64 v[122:123], -v[110:111], v[112:113], 1.0
	v_fma_f64 v[112:113], v[112:113], v[122:123], v[112:113]
	v_mul_f64 v[122:123], v[120:121], v[112:113]
	v_fma_f64 v[110:111], -v[110:111], v[122:123], v[120:121]
	v_div_fmas_f64 v[110:111], v[110:111], v[112:113], v[122:123]
	v_div_fixup_f64 v[110:111], v[110:111], v[108:109], v[106:107]
	v_fma_f64 v[106:107], v[106:107], v[110:111], v[108:109]
	v_div_scale_f64 v[108:109], s[20:21], v[106:107], v[106:107], 1.0
	v_div_scale_f64 v[122:123], vcc, 1.0, v[106:107], 1.0
	v_rcp_f64_e32 v[112:113], v[108:109]
	v_fma_f64 v[120:121], -v[108:109], v[112:113], 1.0
	v_fma_f64 v[112:113], v[112:113], v[120:121], v[112:113]
	v_fma_f64 v[120:121], -v[108:109], v[112:113], 1.0
	v_fma_f64 v[112:113], v[112:113], v[120:121], v[112:113]
	v_mul_f64 v[120:121], v[122:123], v[112:113]
	v_fma_f64 v[108:109], -v[108:109], v[120:121], v[122:123]
	v_div_fmas_f64 v[108:109], v[108:109], v[112:113], v[120:121]
	v_div_fixup_f64 v[108:109], v[108:109], v[106:107], 1.0
	v_mul_f64 v[106:107], v[110:111], v[108:109]
	v_xor_b32_e32 v109, 0x80000000, v109
.LBB50_93:
	s_andn2_saveexec_b64 s[8:9], s[8:9]
	s_cbranch_execz .LBB50_95
; %bb.94:
	v_div_scale_f64 v[110:111], s[20:21], v[106:107], v[106:107], v[108:109]
	v_rcp_f64_e32 v[112:113], v[110:111]
	v_fma_f64 v[120:121], -v[110:111], v[112:113], 1.0
	v_fma_f64 v[112:113], v[112:113], v[120:121], v[112:113]
	v_div_scale_f64 v[120:121], vcc, v[108:109], v[106:107], v[108:109]
	v_fma_f64 v[122:123], -v[110:111], v[112:113], 1.0
	v_fma_f64 v[112:113], v[112:113], v[122:123], v[112:113]
	v_mul_f64 v[122:123], v[120:121], v[112:113]
	v_fma_f64 v[110:111], -v[110:111], v[122:123], v[120:121]
	v_div_fmas_f64 v[110:111], v[110:111], v[112:113], v[122:123]
	v_div_fixup_f64 v[110:111], v[110:111], v[106:107], v[108:109]
	v_fma_f64 v[106:107], v[108:109], v[110:111], v[106:107]
	v_div_scale_f64 v[108:109], s[20:21], v[106:107], v[106:107], 1.0
	v_div_scale_f64 v[122:123], vcc, 1.0, v[106:107], 1.0
	v_rcp_f64_e32 v[112:113], v[108:109]
	v_fma_f64 v[120:121], -v[108:109], v[112:113], 1.0
	v_fma_f64 v[112:113], v[112:113], v[120:121], v[112:113]
	v_fma_f64 v[120:121], -v[108:109], v[112:113], 1.0
	v_fma_f64 v[112:113], v[112:113], v[120:121], v[112:113]
	v_mul_f64 v[120:121], v[122:123], v[112:113]
	v_fma_f64 v[108:109], -v[108:109], v[120:121], v[122:123]
	v_div_fmas_f64 v[108:109], v[108:109], v[112:113], v[120:121]
	v_div_fixup_f64 v[106:107], v[108:109], v[106:107], 1.0
	v_mul_f64 v[108:109], v[110:111], -v[106:107]
.LBB50_95:
	s_or_b64 exec, exec, s[8:9]
.LBB50_96:
	s_or_b64 exec, exec, s[0:1]
	v_cmp_ne_u32_e32 vcc, v116, v114
	s_and_saveexec_b64 s[0:1], vcc
	s_xor_b64 s[0:1], exec, s[0:1]
	s_cbranch_execz .LBB50_102
; %bb.97:
	v_cmp_eq_u32_e32 vcc, 4, v116
	s_and_saveexec_b64 s[8:9], vcc
	s_cbranch_execz .LBB50_101
; %bb.98:
	v_cmp_ne_u32_e32 vcc, 4, v114
	s_xor_b64 s[20:21], s[18:19], -1
	s_and_b64 s[24:25], s[20:21], vcc
	s_and_saveexec_b64 s[20:21], s[24:25]
	s_cbranch_execz .LBB50_100
; %bb.99:
	v_ashrrev_i32_e32 v115, 31, v114
	v_lshlrev_b64 v[110:111], 2, v[114:115]
	v_add_co_u32_e32 v110, vcc, v126, v110
	v_addc_co_u32_e32 v111, vcc, v127, v111, vcc
	global_load_dword v0, v[110:111], off
	global_load_dword v112, v[126:127], off offset:16
	s_waitcnt vmcnt(1)
	global_store_dword v[126:127], v0, off offset:16
	s_waitcnt vmcnt(1)
	global_store_dword v[110:111], v112, off
.LBB50_100:
	s_or_b64 exec, exec, s[20:21]
	v_mov_b32_e32 v116, v114
	v_mov_b32_e32 v0, v114
.LBB50_101:
	s_or_b64 exec, exec, s[8:9]
.LBB50_102:
	s_andn2_saveexec_b64 s[0:1], s[0:1]
	s_cbranch_execz .LBB50_104
; %bb.103:
	v_mov_b32_e32 v116, 4
	ds_write2_b64 v1, v[78:79], v[80:81] offset0:10 offset1:11
	ds_write2_b64 v1, v[74:75], v[76:77] offset0:12 offset1:13
	;; [unrolled: 1-line block ×21, first 2 shown]
.LBB50_104:
	s_or_b64 exec, exec, s[0:1]
	v_cmp_lt_i32_e32 vcc, 4, v116
	s_waitcnt vmcnt(0) lgkmcnt(0)
	s_barrier
	s_and_saveexec_b64 s[0:1], vcc
	s_cbranch_execz .LBB50_106
; %bb.105:
	v_mul_f64 v[110:111], v[108:109], v[84:85]
	v_mul_f64 v[84:85], v[106:107], v[84:85]
	v_fma_f64 v[114:115], v[106:107], v[82:83], -v[110:111]
	v_fma_f64 v[84:85], v[108:109], v[82:83], v[84:85]
	ds_read2_b64 v[106:109], v1 offset0:10 offset1:11
	s_waitcnt lgkmcnt(0)
	v_mul_f64 v[82:83], v[108:109], v[84:85]
	v_fma_f64 v[82:83], v[106:107], v[114:115], -v[82:83]
	v_mul_f64 v[106:107], v[106:107], v[84:85]
	v_add_f64 v[78:79], v[78:79], -v[82:83]
	v_fma_f64 v[106:107], v[108:109], v[114:115], v[106:107]
	v_add_f64 v[80:81], v[80:81], -v[106:107]
	ds_read2_b64 v[106:109], v1 offset0:12 offset1:13
	s_waitcnt lgkmcnt(0)
	v_mul_f64 v[82:83], v[108:109], v[84:85]
	v_fma_f64 v[82:83], v[106:107], v[114:115], -v[82:83]
	v_mul_f64 v[106:107], v[106:107], v[84:85]
	v_add_f64 v[74:75], v[74:75], -v[82:83]
	v_fma_f64 v[106:107], v[108:109], v[114:115], v[106:107]
	v_add_f64 v[76:77], v[76:77], -v[106:107]
	;; [unrolled: 8-line block ×20, first 2 shown]
	ds_read2_b64 v[106:109], v1 offset0:50 offset1:51
	s_waitcnt lgkmcnt(0)
	v_mul_f64 v[82:83], v[108:109], v[84:85]
	v_fma_f64 v[82:83], v[106:107], v[114:115], -v[82:83]
	v_mul_f64 v[106:107], v[106:107], v[84:85]
	v_add_f64 v[102:103], v[102:103], -v[82:83]
	v_fma_f64 v[106:107], v[108:109], v[114:115], v[106:107]
	v_mov_b32_e32 v82, v114
	v_mov_b32_e32 v83, v115
	v_add_f64 v[104:105], v[104:105], -v[106:107]
.LBB50_106:
	s_or_b64 exec, exec, s[0:1]
	v_lshl_add_u32 v106, v116, 4, v1
	s_barrier
	ds_write2_b64 v106, v[78:79], v[80:81] offset1:1
	s_waitcnt lgkmcnt(0)
	s_barrier
	ds_read2_b64 v[106:109], v1 offset0:10 offset1:11
	s_cmp_lt_i32 s22, 7
	v_mov_b32_e32 v114, 5
	s_cbranch_scc1 .LBB50_109
; %bb.107:
	v_add_u32_e32 v115, 0x60, v1
	s_mov_b32 s0, 6
	v_mov_b32_e32 v114, 5
.LBB50_108:                             ; =>This Inner Loop Header: Depth=1
	s_waitcnt lgkmcnt(0)
	v_cmp_gt_f64_e32 vcc, 0, v[106:107]
	v_xor_b32_e32 v110, 0x80000000, v107
	ds_read2_b64 v[120:123], v115 offset1:1
	v_xor_b32_e32 v112, 0x80000000, v109
	v_add_u32_e32 v115, 16, v115
	s_waitcnt lgkmcnt(0)
	v_xor_b32_e32 v124, 0x80000000, v123
	v_cndmask_b32_e32 v111, v107, v110, vcc
	v_cmp_gt_f64_e32 vcc, 0, v[108:109]
	v_mov_b32_e32 v110, v106
	v_cndmask_b32_e32 v113, v109, v112, vcc
	v_cmp_gt_f64_e32 vcc, 0, v[120:121]
	v_mov_b32_e32 v112, v108
	v_add_f64 v[110:111], v[110:111], v[112:113]
	v_xor_b32_e32 v112, 0x80000000, v121
	v_cndmask_b32_e32 v113, v121, v112, vcc
	v_cmp_gt_f64_e32 vcc, 0, v[122:123]
	v_mov_b32_e32 v112, v120
	v_cndmask_b32_e32 v125, v123, v124, vcc
	v_mov_b32_e32 v124, v122
	v_add_f64 v[112:113], v[112:113], v[124:125]
	v_cmp_lt_f64_e32 vcc, v[110:111], v[112:113]
	v_mov_b32_e32 v110, s0
	s_add_i32 s0, s0, 1
	s_cmp_lg_u32 s22, s0
	v_cndmask_b32_e32 v107, v107, v121, vcc
	v_cndmask_b32_e32 v106, v106, v120, vcc
	;; [unrolled: 1-line block ×5, first 2 shown]
	s_cbranch_scc1 .LBB50_108
.LBB50_109:
	s_waitcnt lgkmcnt(0)
	v_cmp_eq_f64_e32 vcc, 0, v[106:107]
	v_cmp_eq_f64_e64 s[0:1], 0, v[108:109]
	s_and_b64 s[0:1], vcc, s[0:1]
	s_and_saveexec_b64 s[8:9], s[0:1]
	s_xor_b64 s[0:1], exec, s[8:9]
; %bb.110:
	v_cmp_ne_u32_e32 vcc, 0, v119
	v_cndmask_b32_e32 v119, 6, v119, vcc
; %bb.111:
	s_andn2_saveexec_b64 s[0:1], s[0:1]
	s_cbranch_execz .LBB50_117
; %bb.112:
	v_cmp_ngt_f64_e64 s[8:9], |v[106:107]|, |v[108:109]|
	s_and_saveexec_b64 s[20:21], s[8:9]
	s_xor_b64 s[8:9], exec, s[20:21]
	s_cbranch_execz .LBB50_114
; %bb.113:
	v_div_scale_f64 v[110:111], s[20:21], v[108:109], v[108:109], v[106:107]
	v_rcp_f64_e32 v[112:113], v[110:111]
	v_fma_f64 v[120:121], -v[110:111], v[112:113], 1.0
	v_fma_f64 v[112:113], v[112:113], v[120:121], v[112:113]
	v_div_scale_f64 v[120:121], vcc, v[106:107], v[108:109], v[106:107]
	v_fma_f64 v[122:123], -v[110:111], v[112:113], 1.0
	v_fma_f64 v[112:113], v[112:113], v[122:123], v[112:113]
	v_mul_f64 v[122:123], v[120:121], v[112:113]
	v_fma_f64 v[110:111], -v[110:111], v[122:123], v[120:121]
	v_div_fmas_f64 v[110:111], v[110:111], v[112:113], v[122:123]
	v_div_fixup_f64 v[110:111], v[110:111], v[108:109], v[106:107]
	v_fma_f64 v[106:107], v[106:107], v[110:111], v[108:109]
	v_div_scale_f64 v[108:109], s[20:21], v[106:107], v[106:107], 1.0
	v_div_scale_f64 v[122:123], vcc, 1.0, v[106:107], 1.0
	v_rcp_f64_e32 v[112:113], v[108:109]
	v_fma_f64 v[120:121], -v[108:109], v[112:113], 1.0
	v_fma_f64 v[112:113], v[112:113], v[120:121], v[112:113]
	v_fma_f64 v[120:121], -v[108:109], v[112:113], 1.0
	v_fma_f64 v[112:113], v[112:113], v[120:121], v[112:113]
	v_mul_f64 v[120:121], v[122:123], v[112:113]
	v_fma_f64 v[108:109], -v[108:109], v[120:121], v[122:123]
	v_div_fmas_f64 v[108:109], v[108:109], v[112:113], v[120:121]
	v_div_fixup_f64 v[108:109], v[108:109], v[106:107], 1.0
	v_mul_f64 v[106:107], v[110:111], v[108:109]
	v_xor_b32_e32 v109, 0x80000000, v109
.LBB50_114:
	s_andn2_saveexec_b64 s[8:9], s[8:9]
	s_cbranch_execz .LBB50_116
; %bb.115:
	v_div_scale_f64 v[110:111], s[20:21], v[106:107], v[106:107], v[108:109]
	v_rcp_f64_e32 v[112:113], v[110:111]
	v_fma_f64 v[120:121], -v[110:111], v[112:113], 1.0
	v_fma_f64 v[112:113], v[112:113], v[120:121], v[112:113]
	v_div_scale_f64 v[120:121], vcc, v[108:109], v[106:107], v[108:109]
	v_fma_f64 v[122:123], -v[110:111], v[112:113], 1.0
	v_fma_f64 v[112:113], v[112:113], v[122:123], v[112:113]
	v_mul_f64 v[122:123], v[120:121], v[112:113]
	v_fma_f64 v[110:111], -v[110:111], v[122:123], v[120:121]
	v_div_fmas_f64 v[110:111], v[110:111], v[112:113], v[122:123]
	v_div_fixup_f64 v[110:111], v[110:111], v[106:107], v[108:109]
	v_fma_f64 v[106:107], v[108:109], v[110:111], v[106:107]
	v_div_scale_f64 v[108:109], s[20:21], v[106:107], v[106:107], 1.0
	v_div_scale_f64 v[122:123], vcc, 1.0, v[106:107], 1.0
	v_rcp_f64_e32 v[112:113], v[108:109]
	v_fma_f64 v[120:121], -v[108:109], v[112:113], 1.0
	v_fma_f64 v[112:113], v[112:113], v[120:121], v[112:113]
	v_fma_f64 v[120:121], -v[108:109], v[112:113], 1.0
	v_fma_f64 v[112:113], v[112:113], v[120:121], v[112:113]
	v_mul_f64 v[120:121], v[122:123], v[112:113]
	v_fma_f64 v[108:109], -v[108:109], v[120:121], v[122:123]
	v_div_fmas_f64 v[108:109], v[108:109], v[112:113], v[120:121]
	v_div_fixup_f64 v[106:107], v[108:109], v[106:107], 1.0
	v_mul_f64 v[108:109], v[110:111], -v[106:107]
.LBB50_116:
	s_or_b64 exec, exec, s[8:9]
.LBB50_117:
	s_or_b64 exec, exec, s[0:1]
	v_cmp_ne_u32_e32 vcc, v116, v114
	s_and_saveexec_b64 s[0:1], vcc
	s_xor_b64 s[0:1], exec, s[0:1]
	s_cbranch_execz .LBB50_123
; %bb.118:
	v_cmp_eq_u32_e32 vcc, 5, v116
	s_and_saveexec_b64 s[8:9], vcc
	s_cbranch_execz .LBB50_122
; %bb.119:
	v_cmp_ne_u32_e32 vcc, 5, v114
	s_xor_b64 s[20:21], s[18:19], -1
	s_and_b64 s[24:25], s[20:21], vcc
	s_and_saveexec_b64 s[20:21], s[24:25]
	s_cbranch_execz .LBB50_121
; %bb.120:
	v_ashrrev_i32_e32 v115, 31, v114
	v_lshlrev_b64 v[110:111], 2, v[114:115]
	v_add_co_u32_e32 v110, vcc, v126, v110
	v_addc_co_u32_e32 v111, vcc, v127, v111, vcc
	global_load_dword v0, v[110:111], off
	global_load_dword v112, v[126:127], off offset:20
	s_waitcnt vmcnt(1)
	global_store_dword v[126:127], v0, off offset:20
	s_waitcnt vmcnt(1)
	global_store_dword v[110:111], v112, off
.LBB50_121:
	s_or_b64 exec, exec, s[20:21]
	v_mov_b32_e32 v116, v114
	v_mov_b32_e32 v0, v114
.LBB50_122:
	s_or_b64 exec, exec, s[8:9]
.LBB50_123:
	s_andn2_saveexec_b64 s[0:1], s[0:1]
	s_cbranch_execz .LBB50_125
; %bb.124:
	v_mov_b32_e32 v116, 5
	ds_write2_b64 v1, v[74:75], v[76:77] offset0:12 offset1:13
	ds_write2_b64 v1, v[70:71], v[72:73] offset0:14 offset1:15
	;; [unrolled: 1-line block ×20, first 2 shown]
.LBB50_125:
	s_or_b64 exec, exec, s[0:1]
	v_cmp_lt_i32_e32 vcc, 5, v116
	s_waitcnt vmcnt(0) lgkmcnt(0)
	s_barrier
	s_and_saveexec_b64 s[0:1], vcc
	s_cbranch_execz .LBB50_127
; %bb.126:
	v_mul_f64 v[110:111], v[108:109], v[80:81]
	v_mul_f64 v[80:81], v[106:107], v[80:81]
	v_fma_f64 v[114:115], v[106:107], v[78:79], -v[110:111]
	v_fma_f64 v[80:81], v[108:109], v[78:79], v[80:81]
	ds_read2_b64 v[106:109], v1 offset0:12 offset1:13
	s_waitcnt lgkmcnt(0)
	v_mul_f64 v[78:79], v[108:109], v[80:81]
	v_fma_f64 v[78:79], v[106:107], v[114:115], -v[78:79]
	v_mul_f64 v[106:107], v[106:107], v[80:81]
	v_add_f64 v[74:75], v[74:75], -v[78:79]
	v_fma_f64 v[106:107], v[108:109], v[114:115], v[106:107]
	v_add_f64 v[76:77], v[76:77], -v[106:107]
	ds_read2_b64 v[106:109], v1 offset0:14 offset1:15
	s_waitcnt lgkmcnt(0)
	v_mul_f64 v[78:79], v[108:109], v[80:81]
	v_fma_f64 v[78:79], v[106:107], v[114:115], -v[78:79]
	v_mul_f64 v[106:107], v[106:107], v[80:81]
	v_add_f64 v[70:71], v[70:71], -v[78:79]
	v_fma_f64 v[106:107], v[108:109], v[114:115], v[106:107]
	v_add_f64 v[72:73], v[72:73], -v[106:107]
	ds_read2_b64 v[106:109], v1 offset0:16 offset1:17
	s_waitcnt lgkmcnt(0)
	v_mul_f64 v[78:79], v[108:109], v[80:81]
	v_fma_f64 v[78:79], v[106:107], v[114:115], -v[78:79]
	v_mul_f64 v[106:107], v[106:107], v[80:81]
	v_add_f64 v[66:67], v[66:67], -v[78:79]
	v_fma_f64 v[106:107], v[108:109], v[114:115], v[106:107]
	v_add_f64 v[68:69], v[68:69], -v[106:107]
	ds_read2_b64 v[106:109], v1 offset0:18 offset1:19
	s_waitcnt lgkmcnt(0)
	v_mul_f64 v[78:79], v[108:109], v[80:81]
	v_fma_f64 v[78:79], v[106:107], v[114:115], -v[78:79]
	v_mul_f64 v[106:107], v[106:107], v[80:81]
	v_add_f64 v[62:63], v[62:63], -v[78:79]
	v_fma_f64 v[106:107], v[108:109], v[114:115], v[106:107]
	v_add_f64 v[64:65], v[64:65], -v[106:107]
	ds_read2_b64 v[106:109], v1 offset0:20 offset1:21
	s_waitcnt lgkmcnt(0)
	v_mul_f64 v[78:79], v[108:109], v[80:81]
	v_fma_f64 v[78:79], v[106:107], v[114:115], -v[78:79]
	v_mul_f64 v[106:107], v[106:107], v[80:81]
	v_add_f64 v[58:59], v[58:59], -v[78:79]
	v_fma_f64 v[106:107], v[108:109], v[114:115], v[106:107]
	v_add_f64 v[60:61], v[60:61], -v[106:107]
	ds_read2_b64 v[106:109], v1 offset0:22 offset1:23
	s_waitcnt lgkmcnt(0)
	v_mul_f64 v[78:79], v[108:109], v[80:81]
	v_fma_f64 v[78:79], v[106:107], v[114:115], -v[78:79]
	v_mul_f64 v[106:107], v[106:107], v[80:81]
	v_add_f64 v[54:55], v[54:55], -v[78:79]
	v_fma_f64 v[106:107], v[108:109], v[114:115], v[106:107]
	v_add_f64 v[56:57], v[56:57], -v[106:107]
	ds_read2_b64 v[106:109], v1 offset0:24 offset1:25
	s_waitcnt lgkmcnt(0)
	v_mul_f64 v[78:79], v[108:109], v[80:81]
	v_fma_f64 v[78:79], v[106:107], v[114:115], -v[78:79]
	v_mul_f64 v[106:107], v[106:107], v[80:81]
	v_add_f64 v[50:51], v[50:51], -v[78:79]
	v_fma_f64 v[106:107], v[108:109], v[114:115], v[106:107]
	v_add_f64 v[52:53], v[52:53], -v[106:107]
	ds_read2_b64 v[106:109], v1 offset0:26 offset1:27
	s_waitcnt lgkmcnt(0)
	v_mul_f64 v[78:79], v[108:109], v[80:81]
	v_fma_f64 v[78:79], v[106:107], v[114:115], -v[78:79]
	v_mul_f64 v[106:107], v[106:107], v[80:81]
	v_add_f64 v[46:47], v[46:47], -v[78:79]
	v_fma_f64 v[106:107], v[108:109], v[114:115], v[106:107]
	v_add_f64 v[48:49], v[48:49], -v[106:107]
	ds_read2_b64 v[106:109], v1 offset0:28 offset1:29
	s_waitcnt lgkmcnt(0)
	v_mul_f64 v[78:79], v[108:109], v[80:81]
	v_fma_f64 v[78:79], v[106:107], v[114:115], -v[78:79]
	v_mul_f64 v[106:107], v[106:107], v[80:81]
	v_add_f64 v[42:43], v[42:43], -v[78:79]
	v_fma_f64 v[106:107], v[108:109], v[114:115], v[106:107]
	v_add_f64 v[44:45], v[44:45], -v[106:107]
	ds_read2_b64 v[106:109], v1 offset0:30 offset1:31
	s_waitcnt lgkmcnt(0)
	v_mul_f64 v[78:79], v[108:109], v[80:81]
	v_fma_f64 v[78:79], v[106:107], v[114:115], -v[78:79]
	v_mul_f64 v[106:107], v[106:107], v[80:81]
	v_add_f64 v[38:39], v[38:39], -v[78:79]
	v_fma_f64 v[106:107], v[108:109], v[114:115], v[106:107]
	v_add_f64 v[40:41], v[40:41], -v[106:107]
	ds_read2_b64 v[106:109], v1 offset0:32 offset1:33
	s_waitcnt lgkmcnt(0)
	v_mul_f64 v[78:79], v[108:109], v[80:81]
	v_fma_f64 v[78:79], v[106:107], v[114:115], -v[78:79]
	v_mul_f64 v[106:107], v[106:107], v[80:81]
	v_add_f64 v[34:35], v[34:35], -v[78:79]
	v_fma_f64 v[106:107], v[108:109], v[114:115], v[106:107]
	v_add_f64 v[36:37], v[36:37], -v[106:107]
	ds_read2_b64 v[106:109], v1 offset0:34 offset1:35
	s_waitcnt lgkmcnt(0)
	v_mul_f64 v[78:79], v[108:109], v[80:81]
	v_fma_f64 v[78:79], v[106:107], v[114:115], -v[78:79]
	v_mul_f64 v[106:107], v[106:107], v[80:81]
	v_add_f64 v[30:31], v[30:31], -v[78:79]
	v_fma_f64 v[106:107], v[108:109], v[114:115], v[106:107]
	v_add_f64 v[32:33], v[32:33], -v[106:107]
	ds_read2_b64 v[106:109], v1 offset0:36 offset1:37
	s_waitcnt lgkmcnt(0)
	v_mul_f64 v[78:79], v[108:109], v[80:81]
	v_fma_f64 v[78:79], v[106:107], v[114:115], -v[78:79]
	v_mul_f64 v[106:107], v[106:107], v[80:81]
	v_add_f64 v[26:27], v[26:27], -v[78:79]
	v_fma_f64 v[106:107], v[108:109], v[114:115], v[106:107]
	v_add_f64 v[28:29], v[28:29], -v[106:107]
	ds_read2_b64 v[106:109], v1 offset0:38 offset1:39
	s_waitcnt lgkmcnt(0)
	v_mul_f64 v[78:79], v[108:109], v[80:81]
	v_fma_f64 v[78:79], v[106:107], v[114:115], -v[78:79]
	v_mul_f64 v[106:107], v[106:107], v[80:81]
	v_add_f64 v[22:23], v[22:23], -v[78:79]
	v_fma_f64 v[106:107], v[108:109], v[114:115], v[106:107]
	v_add_f64 v[24:25], v[24:25], -v[106:107]
	ds_read2_b64 v[106:109], v1 offset0:40 offset1:41
	s_waitcnt lgkmcnt(0)
	v_mul_f64 v[78:79], v[108:109], v[80:81]
	v_fma_f64 v[78:79], v[106:107], v[114:115], -v[78:79]
	v_mul_f64 v[106:107], v[106:107], v[80:81]
	v_add_f64 v[18:19], v[18:19], -v[78:79]
	v_fma_f64 v[106:107], v[108:109], v[114:115], v[106:107]
	v_add_f64 v[20:21], v[20:21], -v[106:107]
	ds_read2_b64 v[106:109], v1 offset0:42 offset1:43
	s_waitcnt lgkmcnt(0)
	v_mul_f64 v[78:79], v[108:109], v[80:81]
	v_fma_f64 v[78:79], v[106:107], v[114:115], -v[78:79]
	v_mul_f64 v[106:107], v[106:107], v[80:81]
	v_add_f64 v[14:15], v[14:15], -v[78:79]
	v_fma_f64 v[106:107], v[108:109], v[114:115], v[106:107]
	v_add_f64 v[16:17], v[16:17], -v[106:107]
	ds_read2_b64 v[106:109], v1 offset0:44 offset1:45
	s_waitcnt lgkmcnt(0)
	v_mul_f64 v[78:79], v[108:109], v[80:81]
	v_fma_f64 v[78:79], v[106:107], v[114:115], -v[78:79]
	v_mul_f64 v[106:107], v[106:107], v[80:81]
	v_add_f64 v[10:11], v[10:11], -v[78:79]
	v_fma_f64 v[106:107], v[108:109], v[114:115], v[106:107]
	v_add_f64 v[12:13], v[12:13], -v[106:107]
	ds_read2_b64 v[106:109], v1 offset0:46 offset1:47
	s_waitcnt lgkmcnt(0)
	v_mul_f64 v[78:79], v[108:109], v[80:81]
	v_fma_f64 v[78:79], v[106:107], v[114:115], -v[78:79]
	v_mul_f64 v[106:107], v[106:107], v[80:81]
	v_add_f64 v[6:7], v[6:7], -v[78:79]
	v_fma_f64 v[106:107], v[108:109], v[114:115], v[106:107]
	v_add_f64 v[8:9], v[8:9], -v[106:107]
	ds_read2_b64 v[106:109], v1 offset0:48 offset1:49
	s_waitcnt lgkmcnt(0)
	v_mul_f64 v[78:79], v[108:109], v[80:81]
	v_fma_f64 v[78:79], v[106:107], v[114:115], -v[78:79]
	v_mul_f64 v[106:107], v[106:107], v[80:81]
	v_add_f64 v[2:3], v[2:3], -v[78:79]
	v_fma_f64 v[106:107], v[108:109], v[114:115], v[106:107]
	v_add_f64 v[4:5], v[4:5], -v[106:107]
	ds_read2_b64 v[106:109], v1 offset0:50 offset1:51
	s_waitcnt lgkmcnt(0)
	v_mul_f64 v[78:79], v[108:109], v[80:81]
	v_fma_f64 v[78:79], v[106:107], v[114:115], -v[78:79]
	v_mul_f64 v[106:107], v[106:107], v[80:81]
	v_add_f64 v[102:103], v[102:103], -v[78:79]
	v_fma_f64 v[106:107], v[108:109], v[114:115], v[106:107]
	v_mov_b32_e32 v78, v114
	v_mov_b32_e32 v79, v115
	v_add_f64 v[104:105], v[104:105], -v[106:107]
.LBB50_127:
	s_or_b64 exec, exec, s[0:1]
	v_lshl_add_u32 v106, v116, 4, v1
	s_barrier
	ds_write2_b64 v106, v[74:75], v[76:77] offset1:1
	s_waitcnt lgkmcnt(0)
	s_barrier
	ds_read2_b64 v[106:109], v1 offset0:12 offset1:13
	s_cmp_lt_i32 s22, 8
	v_mov_b32_e32 v114, 6
	s_cbranch_scc1 .LBB50_130
; %bb.128:
	v_add_u32_e32 v115, 0x70, v1
	s_mov_b32 s0, 7
	v_mov_b32_e32 v114, 6
.LBB50_129:                             ; =>This Inner Loop Header: Depth=1
	s_waitcnt lgkmcnt(0)
	v_cmp_gt_f64_e32 vcc, 0, v[106:107]
	v_xor_b32_e32 v110, 0x80000000, v107
	ds_read2_b64 v[120:123], v115 offset1:1
	v_xor_b32_e32 v112, 0x80000000, v109
	v_add_u32_e32 v115, 16, v115
	s_waitcnt lgkmcnt(0)
	v_xor_b32_e32 v124, 0x80000000, v123
	v_cndmask_b32_e32 v111, v107, v110, vcc
	v_cmp_gt_f64_e32 vcc, 0, v[108:109]
	v_mov_b32_e32 v110, v106
	v_cndmask_b32_e32 v113, v109, v112, vcc
	v_cmp_gt_f64_e32 vcc, 0, v[120:121]
	v_mov_b32_e32 v112, v108
	v_add_f64 v[110:111], v[110:111], v[112:113]
	v_xor_b32_e32 v112, 0x80000000, v121
	v_cndmask_b32_e32 v113, v121, v112, vcc
	v_cmp_gt_f64_e32 vcc, 0, v[122:123]
	v_mov_b32_e32 v112, v120
	v_cndmask_b32_e32 v125, v123, v124, vcc
	v_mov_b32_e32 v124, v122
	v_add_f64 v[112:113], v[112:113], v[124:125]
	v_cmp_lt_f64_e32 vcc, v[110:111], v[112:113]
	v_mov_b32_e32 v110, s0
	s_add_i32 s0, s0, 1
	s_cmp_lg_u32 s22, s0
	v_cndmask_b32_e32 v107, v107, v121, vcc
	v_cndmask_b32_e32 v106, v106, v120, vcc
	;; [unrolled: 1-line block ×5, first 2 shown]
	s_cbranch_scc1 .LBB50_129
.LBB50_130:
	s_waitcnt lgkmcnt(0)
	v_cmp_eq_f64_e32 vcc, 0, v[106:107]
	v_cmp_eq_f64_e64 s[0:1], 0, v[108:109]
	s_and_b64 s[0:1], vcc, s[0:1]
	s_and_saveexec_b64 s[8:9], s[0:1]
	s_xor_b64 s[0:1], exec, s[8:9]
; %bb.131:
	v_cmp_ne_u32_e32 vcc, 0, v119
	v_cndmask_b32_e32 v119, 7, v119, vcc
; %bb.132:
	s_andn2_saveexec_b64 s[0:1], s[0:1]
	s_cbranch_execz .LBB50_138
; %bb.133:
	v_cmp_ngt_f64_e64 s[8:9], |v[106:107]|, |v[108:109]|
	s_and_saveexec_b64 s[20:21], s[8:9]
	s_xor_b64 s[8:9], exec, s[20:21]
	s_cbranch_execz .LBB50_135
; %bb.134:
	v_div_scale_f64 v[110:111], s[20:21], v[108:109], v[108:109], v[106:107]
	v_rcp_f64_e32 v[112:113], v[110:111]
	v_fma_f64 v[120:121], -v[110:111], v[112:113], 1.0
	v_fma_f64 v[112:113], v[112:113], v[120:121], v[112:113]
	v_div_scale_f64 v[120:121], vcc, v[106:107], v[108:109], v[106:107]
	v_fma_f64 v[122:123], -v[110:111], v[112:113], 1.0
	v_fma_f64 v[112:113], v[112:113], v[122:123], v[112:113]
	v_mul_f64 v[122:123], v[120:121], v[112:113]
	v_fma_f64 v[110:111], -v[110:111], v[122:123], v[120:121]
	v_div_fmas_f64 v[110:111], v[110:111], v[112:113], v[122:123]
	v_div_fixup_f64 v[110:111], v[110:111], v[108:109], v[106:107]
	v_fma_f64 v[106:107], v[106:107], v[110:111], v[108:109]
	v_div_scale_f64 v[108:109], s[20:21], v[106:107], v[106:107], 1.0
	v_div_scale_f64 v[122:123], vcc, 1.0, v[106:107], 1.0
	v_rcp_f64_e32 v[112:113], v[108:109]
	v_fma_f64 v[120:121], -v[108:109], v[112:113], 1.0
	v_fma_f64 v[112:113], v[112:113], v[120:121], v[112:113]
	v_fma_f64 v[120:121], -v[108:109], v[112:113], 1.0
	v_fma_f64 v[112:113], v[112:113], v[120:121], v[112:113]
	v_mul_f64 v[120:121], v[122:123], v[112:113]
	v_fma_f64 v[108:109], -v[108:109], v[120:121], v[122:123]
	v_div_fmas_f64 v[108:109], v[108:109], v[112:113], v[120:121]
	v_div_fixup_f64 v[108:109], v[108:109], v[106:107], 1.0
	v_mul_f64 v[106:107], v[110:111], v[108:109]
	v_xor_b32_e32 v109, 0x80000000, v109
.LBB50_135:
	s_andn2_saveexec_b64 s[8:9], s[8:9]
	s_cbranch_execz .LBB50_137
; %bb.136:
	v_div_scale_f64 v[110:111], s[20:21], v[106:107], v[106:107], v[108:109]
	v_rcp_f64_e32 v[112:113], v[110:111]
	v_fma_f64 v[120:121], -v[110:111], v[112:113], 1.0
	v_fma_f64 v[112:113], v[112:113], v[120:121], v[112:113]
	v_div_scale_f64 v[120:121], vcc, v[108:109], v[106:107], v[108:109]
	v_fma_f64 v[122:123], -v[110:111], v[112:113], 1.0
	v_fma_f64 v[112:113], v[112:113], v[122:123], v[112:113]
	v_mul_f64 v[122:123], v[120:121], v[112:113]
	v_fma_f64 v[110:111], -v[110:111], v[122:123], v[120:121]
	v_div_fmas_f64 v[110:111], v[110:111], v[112:113], v[122:123]
	v_div_fixup_f64 v[110:111], v[110:111], v[106:107], v[108:109]
	v_fma_f64 v[106:107], v[108:109], v[110:111], v[106:107]
	v_div_scale_f64 v[108:109], s[20:21], v[106:107], v[106:107], 1.0
	v_div_scale_f64 v[122:123], vcc, 1.0, v[106:107], 1.0
	v_rcp_f64_e32 v[112:113], v[108:109]
	v_fma_f64 v[120:121], -v[108:109], v[112:113], 1.0
	v_fma_f64 v[112:113], v[112:113], v[120:121], v[112:113]
	v_fma_f64 v[120:121], -v[108:109], v[112:113], 1.0
	v_fma_f64 v[112:113], v[112:113], v[120:121], v[112:113]
	v_mul_f64 v[120:121], v[122:123], v[112:113]
	v_fma_f64 v[108:109], -v[108:109], v[120:121], v[122:123]
	v_div_fmas_f64 v[108:109], v[108:109], v[112:113], v[120:121]
	v_div_fixup_f64 v[106:107], v[108:109], v[106:107], 1.0
	v_mul_f64 v[108:109], v[110:111], -v[106:107]
.LBB50_137:
	s_or_b64 exec, exec, s[8:9]
.LBB50_138:
	s_or_b64 exec, exec, s[0:1]
	v_cmp_ne_u32_e32 vcc, v116, v114
	s_and_saveexec_b64 s[0:1], vcc
	s_xor_b64 s[0:1], exec, s[0:1]
	s_cbranch_execz .LBB50_144
; %bb.139:
	v_cmp_eq_u32_e32 vcc, 6, v116
	s_and_saveexec_b64 s[8:9], vcc
	s_cbranch_execz .LBB50_143
; %bb.140:
	v_cmp_ne_u32_e32 vcc, 6, v114
	s_xor_b64 s[20:21], s[18:19], -1
	s_and_b64 s[24:25], s[20:21], vcc
	s_and_saveexec_b64 s[20:21], s[24:25]
	s_cbranch_execz .LBB50_142
; %bb.141:
	v_ashrrev_i32_e32 v115, 31, v114
	v_lshlrev_b64 v[110:111], 2, v[114:115]
	v_add_co_u32_e32 v110, vcc, v126, v110
	v_addc_co_u32_e32 v111, vcc, v127, v111, vcc
	global_load_dword v0, v[110:111], off
	global_load_dword v112, v[126:127], off offset:24
	s_waitcnt vmcnt(1)
	global_store_dword v[126:127], v0, off offset:24
	s_waitcnt vmcnt(1)
	global_store_dword v[110:111], v112, off
.LBB50_142:
	s_or_b64 exec, exec, s[20:21]
	v_mov_b32_e32 v116, v114
	v_mov_b32_e32 v0, v114
.LBB50_143:
	s_or_b64 exec, exec, s[8:9]
.LBB50_144:
	s_andn2_saveexec_b64 s[0:1], s[0:1]
	s_cbranch_execz .LBB50_146
; %bb.145:
	v_mov_b32_e32 v116, 6
	ds_write2_b64 v1, v[70:71], v[72:73] offset0:14 offset1:15
	ds_write2_b64 v1, v[66:67], v[68:69] offset0:16 offset1:17
	ds_write2_b64 v1, v[62:63], v[64:65] offset0:18 offset1:19
	ds_write2_b64 v1, v[58:59], v[60:61] offset0:20 offset1:21
	ds_write2_b64 v1, v[54:55], v[56:57] offset0:22 offset1:23
	ds_write2_b64 v1, v[50:51], v[52:53] offset0:24 offset1:25
	ds_write2_b64 v1, v[46:47], v[48:49] offset0:26 offset1:27
	ds_write2_b64 v1, v[42:43], v[44:45] offset0:28 offset1:29
	ds_write2_b64 v1, v[38:39], v[40:41] offset0:30 offset1:31
	ds_write2_b64 v1, v[34:35], v[36:37] offset0:32 offset1:33
	ds_write2_b64 v1, v[30:31], v[32:33] offset0:34 offset1:35
	ds_write2_b64 v1, v[26:27], v[28:29] offset0:36 offset1:37
	ds_write2_b64 v1, v[22:23], v[24:25] offset0:38 offset1:39
	ds_write2_b64 v1, v[18:19], v[20:21] offset0:40 offset1:41
	ds_write2_b64 v1, v[14:15], v[16:17] offset0:42 offset1:43
	ds_write2_b64 v1, v[10:11], v[12:13] offset0:44 offset1:45
	ds_write2_b64 v1, v[6:7], v[8:9] offset0:46 offset1:47
	ds_write2_b64 v1, v[2:3], v[4:5] offset0:48 offset1:49
	ds_write2_b64 v1, v[102:103], v[104:105] offset0:50 offset1:51
.LBB50_146:
	s_or_b64 exec, exec, s[0:1]
	v_cmp_lt_i32_e32 vcc, 6, v116
	s_waitcnt vmcnt(0) lgkmcnt(0)
	s_barrier
	s_and_saveexec_b64 s[0:1], vcc
	s_cbranch_execz .LBB50_148
; %bb.147:
	v_mul_f64 v[110:111], v[108:109], v[76:77]
	v_mul_f64 v[76:77], v[106:107], v[76:77]
	v_fma_f64 v[114:115], v[106:107], v[74:75], -v[110:111]
	v_fma_f64 v[76:77], v[108:109], v[74:75], v[76:77]
	ds_read2_b64 v[106:109], v1 offset0:14 offset1:15
	s_waitcnt lgkmcnt(0)
	v_mul_f64 v[74:75], v[108:109], v[76:77]
	v_fma_f64 v[74:75], v[106:107], v[114:115], -v[74:75]
	v_mul_f64 v[106:107], v[106:107], v[76:77]
	v_add_f64 v[70:71], v[70:71], -v[74:75]
	v_fma_f64 v[106:107], v[108:109], v[114:115], v[106:107]
	v_add_f64 v[72:73], v[72:73], -v[106:107]
	ds_read2_b64 v[106:109], v1 offset0:16 offset1:17
	s_waitcnt lgkmcnt(0)
	v_mul_f64 v[74:75], v[108:109], v[76:77]
	v_fma_f64 v[74:75], v[106:107], v[114:115], -v[74:75]
	v_mul_f64 v[106:107], v[106:107], v[76:77]
	v_add_f64 v[66:67], v[66:67], -v[74:75]
	v_fma_f64 v[106:107], v[108:109], v[114:115], v[106:107]
	v_add_f64 v[68:69], v[68:69], -v[106:107]
	;; [unrolled: 8-line block ×18, first 2 shown]
	ds_read2_b64 v[106:109], v1 offset0:50 offset1:51
	s_waitcnt lgkmcnt(0)
	v_mul_f64 v[74:75], v[108:109], v[76:77]
	v_fma_f64 v[74:75], v[106:107], v[114:115], -v[74:75]
	v_mul_f64 v[106:107], v[106:107], v[76:77]
	v_add_f64 v[102:103], v[102:103], -v[74:75]
	v_fma_f64 v[106:107], v[108:109], v[114:115], v[106:107]
	v_mov_b32_e32 v74, v114
	v_mov_b32_e32 v75, v115
	v_add_f64 v[104:105], v[104:105], -v[106:107]
.LBB50_148:
	s_or_b64 exec, exec, s[0:1]
	v_lshl_add_u32 v106, v116, 4, v1
	s_barrier
	ds_write2_b64 v106, v[70:71], v[72:73] offset1:1
	s_waitcnt lgkmcnt(0)
	s_barrier
	ds_read2_b64 v[106:109], v1 offset0:14 offset1:15
	s_cmp_lt_i32 s22, 9
	v_mov_b32_e32 v114, 7
	s_cbranch_scc1 .LBB50_151
; %bb.149:
	v_add_u32_e32 v115, 0x80, v1
	s_mov_b32 s0, 8
	v_mov_b32_e32 v114, 7
.LBB50_150:                             ; =>This Inner Loop Header: Depth=1
	s_waitcnt lgkmcnt(0)
	v_cmp_gt_f64_e32 vcc, 0, v[106:107]
	v_xor_b32_e32 v110, 0x80000000, v107
	ds_read2_b64 v[120:123], v115 offset1:1
	v_xor_b32_e32 v112, 0x80000000, v109
	v_add_u32_e32 v115, 16, v115
	s_waitcnt lgkmcnt(0)
	v_xor_b32_e32 v124, 0x80000000, v123
	v_cndmask_b32_e32 v111, v107, v110, vcc
	v_cmp_gt_f64_e32 vcc, 0, v[108:109]
	v_mov_b32_e32 v110, v106
	v_cndmask_b32_e32 v113, v109, v112, vcc
	v_cmp_gt_f64_e32 vcc, 0, v[120:121]
	v_mov_b32_e32 v112, v108
	v_add_f64 v[110:111], v[110:111], v[112:113]
	v_xor_b32_e32 v112, 0x80000000, v121
	v_cndmask_b32_e32 v113, v121, v112, vcc
	v_cmp_gt_f64_e32 vcc, 0, v[122:123]
	v_mov_b32_e32 v112, v120
	v_cndmask_b32_e32 v125, v123, v124, vcc
	v_mov_b32_e32 v124, v122
	v_add_f64 v[112:113], v[112:113], v[124:125]
	v_cmp_lt_f64_e32 vcc, v[110:111], v[112:113]
	v_mov_b32_e32 v110, s0
	s_add_i32 s0, s0, 1
	s_cmp_lg_u32 s22, s0
	v_cndmask_b32_e32 v107, v107, v121, vcc
	v_cndmask_b32_e32 v106, v106, v120, vcc
	;; [unrolled: 1-line block ×5, first 2 shown]
	s_cbranch_scc1 .LBB50_150
.LBB50_151:
	s_waitcnt lgkmcnt(0)
	v_cmp_eq_f64_e32 vcc, 0, v[106:107]
	v_cmp_eq_f64_e64 s[0:1], 0, v[108:109]
	s_and_b64 s[0:1], vcc, s[0:1]
	s_and_saveexec_b64 s[8:9], s[0:1]
	s_xor_b64 s[0:1], exec, s[8:9]
; %bb.152:
	v_cmp_ne_u32_e32 vcc, 0, v119
	v_cndmask_b32_e32 v119, 8, v119, vcc
; %bb.153:
	s_andn2_saveexec_b64 s[0:1], s[0:1]
	s_cbranch_execz .LBB50_159
; %bb.154:
	v_cmp_ngt_f64_e64 s[8:9], |v[106:107]|, |v[108:109]|
	s_and_saveexec_b64 s[20:21], s[8:9]
	s_xor_b64 s[8:9], exec, s[20:21]
	s_cbranch_execz .LBB50_156
; %bb.155:
	v_div_scale_f64 v[110:111], s[20:21], v[108:109], v[108:109], v[106:107]
	v_rcp_f64_e32 v[112:113], v[110:111]
	v_fma_f64 v[120:121], -v[110:111], v[112:113], 1.0
	v_fma_f64 v[112:113], v[112:113], v[120:121], v[112:113]
	v_div_scale_f64 v[120:121], vcc, v[106:107], v[108:109], v[106:107]
	v_fma_f64 v[122:123], -v[110:111], v[112:113], 1.0
	v_fma_f64 v[112:113], v[112:113], v[122:123], v[112:113]
	v_mul_f64 v[122:123], v[120:121], v[112:113]
	v_fma_f64 v[110:111], -v[110:111], v[122:123], v[120:121]
	v_div_fmas_f64 v[110:111], v[110:111], v[112:113], v[122:123]
	v_div_fixup_f64 v[110:111], v[110:111], v[108:109], v[106:107]
	v_fma_f64 v[106:107], v[106:107], v[110:111], v[108:109]
	v_div_scale_f64 v[108:109], s[20:21], v[106:107], v[106:107], 1.0
	v_div_scale_f64 v[122:123], vcc, 1.0, v[106:107], 1.0
	v_rcp_f64_e32 v[112:113], v[108:109]
	v_fma_f64 v[120:121], -v[108:109], v[112:113], 1.0
	v_fma_f64 v[112:113], v[112:113], v[120:121], v[112:113]
	v_fma_f64 v[120:121], -v[108:109], v[112:113], 1.0
	v_fma_f64 v[112:113], v[112:113], v[120:121], v[112:113]
	v_mul_f64 v[120:121], v[122:123], v[112:113]
	v_fma_f64 v[108:109], -v[108:109], v[120:121], v[122:123]
	v_div_fmas_f64 v[108:109], v[108:109], v[112:113], v[120:121]
	v_div_fixup_f64 v[108:109], v[108:109], v[106:107], 1.0
	v_mul_f64 v[106:107], v[110:111], v[108:109]
	v_xor_b32_e32 v109, 0x80000000, v109
.LBB50_156:
	s_andn2_saveexec_b64 s[8:9], s[8:9]
	s_cbranch_execz .LBB50_158
; %bb.157:
	v_div_scale_f64 v[110:111], s[20:21], v[106:107], v[106:107], v[108:109]
	v_rcp_f64_e32 v[112:113], v[110:111]
	v_fma_f64 v[120:121], -v[110:111], v[112:113], 1.0
	v_fma_f64 v[112:113], v[112:113], v[120:121], v[112:113]
	v_div_scale_f64 v[120:121], vcc, v[108:109], v[106:107], v[108:109]
	v_fma_f64 v[122:123], -v[110:111], v[112:113], 1.0
	v_fma_f64 v[112:113], v[112:113], v[122:123], v[112:113]
	v_mul_f64 v[122:123], v[120:121], v[112:113]
	v_fma_f64 v[110:111], -v[110:111], v[122:123], v[120:121]
	v_div_fmas_f64 v[110:111], v[110:111], v[112:113], v[122:123]
	v_div_fixup_f64 v[110:111], v[110:111], v[106:107], v[108:109]
	v_fma_f64 v[106:107], v[108:109], v[110:111], v[106:107]
	v_div_scale_f64 v[108:109], s[20:21], v[106:107], v[106:107], 1.0
	v_div_scale_f64 v[122:123], vcc, 1.0, v[106:107], 1.0
	v_rcp_f64_e32 v[112:113], v[108:109]
	v_fma_f64 v[120:121], -v[108:109], v[112:113], 1.0
	v_fma_f64 v[112:113], v[112:113], v[120:121], v[112:113]
	v_fma_f64 v[120:121], -v[108:109], v[112:113], 1.0
	v_fma_f64 v[112:113], v[112:113], v[120:121], v[112:113]
	v_mul_f64 v[120:121], v[122:123], v[112:113]
	v_fma_f64 v[108:109], -v[108:109], v[120:121], v[122:123]
	v_div_fmas_f64 v[108:109], v[108:109], v[112:113], v[120:121]
	v_div_fixup_f64 v[106:107], v[108:109], v[106:107], 1.0
	v_mul_f64 v[108:109], v[110:111], -v[106:107]
.LBB50_158:
	s_or_b64 exec, exec, s[8:9]
.LBB50_159:
	s_or_b64 exec, exec, s[0:1]
	v_cmp_ne_u32_e32 vcc, v116, v114
	s_and_saveexec_b64 s[0:1], vcc
	s_xor_b64 s[0:1], exec, s[0:1]
	s_cbranch_execz .LBB50_165
; %bb.160:
	v_cmp_eq_u32_e32 vcc, 7, v116
	s_and_saveexec_b64 s[8:9], vcc
	s_cbranch_execz .LBB50_164
; %bb.161:
	v_cmp_ne_u32_e32 vcc, 7, v114
	s_xor_b64 s[20:21], s[18:19], -1
	s_and_b64 s[24:25], s[20:21], vcc
	s_and_saveexec_b64 s[20:21], s[24:25]
	s_cbranch_execz .LBB50_163
; %bb.162:
	v_ashrrev_i32_e32 v115, 31, v114
	v_lshlrev_b64 v[110:111], 2, v[114:115]
	v_add_co_u32_e32 v110, vcc, v126, v110
	v_addc_co_u32_e32 v111, vcc, v127, v111, vcc
	global_load_dword v0, v[110:111], off
	global_load_dword v112, v[126:127], off offset:28
	s_waitcnt vmcnt(1)
	global_store_dword v[126:127], v0, off offset:28
	s_waitcnt vmcnt(1)
	global_store_dword v[110:111], v112, off
.LBB50_163:
	s_or_b64 exec, exec, s[20:21]
	v_mov_b32_e32 v116, v114
	v_mov_b32_e32 v0, v114
.LBB50_164:
	s_or_b64 exec, exec, s[8:9]
.LBB50_165:
	s_andn2_saveexec_b64 s[0:1], s[0:1]
	s_cbranch_execz .LBB50_167
; %bb.166:
	v_mov_b32_e32 v116, 7
	ds_write2_b64 v1, v[66:67], v[68:69] offset0:16 offset1:17
	ds_write2_b64 v1, v[62:63], v[64:65] offset0:18 offset1:19
	ds_write2_b64 v1, v[58:59], v[60:61] offset0:20 offset1:21
	ds_write2_b64 v1, v[54:55], v[56:57] offset0:22 offset1:23
	ds_write2_b64 v1, v[50:51], v[52:53] offset0:24 offset1:25
	ds_write2_b64 v1, v[46:47], v[48:49] offset0:26 offset1:27
	ds_write2_b64 v1, v[42:43], v[44:45] offset0:28 offset1:29
	ds_write2_b64 v1, v[38:39], v[40:41] offset0:30 offset1:31
	ds_write2_b64 v1, v[34:35], v[36:37] offset0:32 offset1:33
	ds_write2_b64 v1, v[30:31], v[32:33] offset0:34 offset1:35
	ds_write2_b64 v1, v[26:27], v[28:29] offset0:36 offset1:37
	ds_write2_b64 v1, v[22:23], v[24:25] offset0:38 offset1:39
	ds_write2_b64 v1, v[18:19], v[20:21] offset0:40 offset1:41
	ds_write2_b64 v1, v[14:15], v[16:17] offset0:42 offset1:43
	ds_write2_b64 v1, v[10:11], v[12:13] offset0:44 offset1:45
	ds_write2_b64 v1, v[6:7], v[8:9] offset0:46 offset1:47
	ds_write2_b64 v1, v[2:3], v[4:5] offset0:48 offset1:49
	ds_write2_b64 v1, v[102:103], v[104:105] offset0:50 offset1:51
.LBB50_167:
	s_or_b64 exec, exec, s[0:1]
	v_cmp_lt_i32_e32 vcc, 7, v116
	s_waitcnt vmcnt(0) lgkmcnt(0)
	s_barrier
	s_and_saveexec_b64 s[0:1], vcc
	s_cbranch_execz .LBB50_169
; %bb.168:
	v_mul_f64 v[110:111], v[108:109], v[72:73]
	v_mul_f64 v[72:73], v[106:107], v[72:73]
	v_fma_f64 v[114:115], v[106:107], v[70:71], -v[110:111]
	v_fma_f64 v[72:73], v[108:109], v[70:71], v[72:73]
	ds_read2_b64 v[106:109], v1 offset0:16 offset1:17
	s_waitcnt lgkmcnt(0)
	v_mul_f64 v[70:71], v[108:109], v[72:73]
	v_fma_f64 v[70:71], v[106:107], v[114:115], -v[70:71]
	v_mul_f64 v[106:107], v[106:107], v[72:73]
	v_add_f64 v[66:67], v[66:67], -v[70:71]
	v_fma_f64 v[106:107], v[108:109], v[114:115], v[106:107]
	v_add_f64 v[68:69], v[68:69], -v[106:107]
	ds_read2_b64 v[106:109], v1 offset0:18 offset1:19
	s_waitcnt lgkmcnt(0)
	v_mul_f64 v[70:71], v[108:109], v[72:73]
	v_fma_f64 v[70:71], v[106:107], v[114:115], -v[70:71]
	v_mul_f64 v[106:107], v[106:107], v[72:73]
	v_add_f64 v[62:63], v[62:63], -v[70:71]
	v_fma_f64 v[106:107], v[108:109], v[114:115], v[106:107]
	v_add_f64 v[64:65], v[64:65], -v[106:107]
	;; [unrolled: 8-line block ×17, first 2 shown]
	ds_read2_b64 v[106:109], v1 offset0:50 offset1:51
	s_waitcnt lgkmcnt(0)
	v_mul_f64 v[70:71], v[108:109], v[72:73]
	v_fma_f64 v[70:71], v[106:107], v[114:115], -v[70:71]
	v_mul_f64 v[106:107], v[106:107], v[72:73]
	v_add_f64 v[102:103], v[102:103], -v[70:71]
	v_fma_f64 v[106:107], v[108:109], v[114:115], v[106:107]
	v_mov_b32_e32 v70, v114
	v_mov_b32_e32 v71, v115
	v_add_f64 v[104:105], v[104:105], -v[106:107]
.LBB50_169:
	s_or_b64 exec, exec, s[0:1]
	v_lshl_add_u32 v106, v116, 4, v1
	s_barrier
	ds_write2_b64 v106, v[66:67], v[68:69] offset1:1
	s_waitcnt lgkmcnt(0)
	s_barrier
	ds_read2_b64 v[106:109], v1 offset0:16 offset1:17
	s_cmp_lt_i32 s22, 10
	v_mov_b32_e32 v114, 8
	s_cbranch_scc1 .LBB50_172
; %bb.170:
	v_add_u32_e32 v115, 0x90, v1
	s_mov_b32 s0, 9
	v_mov_b32_e32 v114, 8
.LBB50_171:                             ; =>This Inner Loop Header: Depth=1
	s_waitcnt lgkmcnt(0)
	v_cmp_gt_f64_e32 vcc, 0, v[106:107]
	v_xor_b32_e32 v110, 0x80000000, v107
	ds_read2_b64 v[120:123], v115 offset1:1
	v_xor_b32_e32 v112, 0x80000000, v109
	v_add_u32_e32 v115, 16, v115
	s_waitcnt lgkmcnt(0)
	v_xor_b32_e32 v124, 0x80000000, v123
	v_cndmask_b32_e32 v111, v107, v110, vcc
	v_cmp_gt_f64_e32 vcc, 0, v[108:109]
	v_mov_b32_e32 v110, v106
	v_cndmask_b32_e32 v113, v109, v112, vcc
	v_cmp_gt_f64_e32 vcc, 0, v[120:121]
	v_mov_b32_e32 v112, v108
	v_add_f64 v[110:111], v[110:111], v[112:113]
	v_xor_b32_e32 v112, 0x80000000, v121
	v_cndmask_b32_e32 v113, v121, v112, vcc
	v_cmp_gt_f64_e32 vcc, 0, v[122:123]
	v_mov_b32_e32 v112, v120
	v_cndmask_b32_e32 v125, v123, v124, vcc
	v_mov_b32_e32 v124, v122
	v_add_f64 v[112:113], v[112:113], v[124:125]
	v_cmp_lt_f64_e32 vcc, v[110:111], v[112:113]
	v_mov_b32_e32 v110, s0
	s_add_i32 s0, s0, 1
	s_cmp_lg_u32 s22, s0
	v_cndmask_b32_e32 v107, v107, v121, vcc
	v_cndmask_b32_e32 v106, v106, v120, vcc
	;; [unrolled: 1-line block ×5, first 2 shown]
	s_cbranch_scc1 .LBB50_171
.LBB50_172:
	s_waitcnt lgkmcnt(0)
	v_cmp_eq_f64_e32 vcc, 0, v[106:107]
	v_cmp_eq_f64_e64 s[0:1], 0, v[108:109]
	s_and_b64 s[0:1], vcc, s[0:1]
	s_and_saveexec_b64 s[8:9], s[0:1]
	s_xor_b64 s[0:1], exec, s[8:9]
; %bb.173:
	v_cmp_ne_u32_e32 vcc, 0, v119
	v_cndmask_b32_e32 v119, 9, v119, vcc
; %bb.174:
	s_andn2_saveexec_b64 s[0:1], s[0:1]
	s_cbranch_execz .LBB50_180
; %bb.175:
	v_cmp_ngt_f64_e64 s[8:9], |v[106:107]|, |v[108:109]|
	s_and_saveexec_b64 s[20:21], s[8:9]
	s_xor_b64 s[8:9], exec, s[20:21]
	s_cbranch_execz .LBB50_177
; %bb.176:
	v_div_scale_f64 v[110:111], s[20:21], v[108:109], v[108:109], v[106:107]
	v_rcp_f64_e32 v[112:113], v[110:111]
	v_fma_f64 v[120:121], -v[110:111], v[112:113], 1.0
	v_fma_f64 v[112:113], v[112:113], v[120:121], v[112:113]
	v_div_scale_f64 v[120:121], vcc, v[106:107], v[108:109], v[106:107]
	v_fma_f64 v[122:123], -v[110:111], v[112:113], 1.0
	v_fma_f64 v[112:113], v[112:113], v[122:123], v[112:113]
	v_mul_f64 v[122:123], v[120:121], v[112:113]
	v_fma_f64 v[110:111], -v[110:111], v[122:123], v[120:121]
	v_div_fmas_f64 v[110:111], v[110:111], v[112:113], v[122:123]
	v_div_fixup_f64 v[110:111], v[110:111], v[108:109], v[106:107]
	v_fma_f64 v[106:107], v[106:107], v[110:111], v[108:109]
	v_div_scale_f64 v[108:109], s[20:21], v[106:107], v[106:107], 1.0
	v_div_scale_f64 v[122:123], vcc, 1.0, v[106:107], 1.0
	v_rcp_f64_e32 v[112:113], v[108:109]
	v_fma_f64 v[120:121], -v[108:109], v[112:113], 1.0
	v_fma_f64 v[112:113], v[112:113], v[120:121], v[112:113]
	v_fma_f64 v[120:121], -v[108:109], v[112:113], 1.0
	v_fma_f64 v[112:113], v[112:113], v[120:121], v[112:113]
	v_mul_f64 v[120:121], v[122:123], v[112:113]
	v_fma_f64 v[108:109], -v[108:109], v[120:121], v[122:123]
	v_div_fmas_f64 v[108:109], v[108:109], v[112:113], v[120:121]
	v_div_fixup_f64 v[108:109], v[108:109], v[106:107], 1.0
	v_mul_f64 v[106:107], v[110:111], v[108:109]
	v_xor_b32_e32 v109, 0x80000000, v109
.LBB50_177:
	s_andn2_saveexec_b64 s[8:9], s[8:9]
	s_cbranch_execz .LBB50_179
; %bb.178:
	v_div_scale_f64 v[110:111], s[20:21], v[106:107], v[106:107], v[108:109]
	v_rcp_f64_e32 v[112:113], v[110:111]
	v_fma_f64 v[120:121], -v[110:111], v[112:113], 1.0
	v_fma_f64 v[112:113], v[112:113], v[120:121], v[112:113]
	v_div_scale_f64 v[120:121], vcc, v[108:109], v[106:107], v[108:109]
	v_fma_f64 v[122:123], -v[110:111], v[112:113], 1.0
	v_fma_f64 v[112:113], v[112:113], v[122:123], v[112:113]
	v_mul_f64 v[122:123], v[120:121], v[112:113]
	v_fma_f64 v[110:111], -v[110:111], v[122:123], v[120:121]
	v_div_fmas_f64 v[110:111], v[110:111], v[112:113], v[122:123]
	v_div_fixup_f64 v[110:111], v[110:111], v[106:107], v[108:109]
	v_fma_f64 v[106:107], v[108:109], v[110:111], v[106:107]
	v_div_scale_f64 v[108:109], s[20:21], v[106:107], v[106:107], 1.0
	v_div_scale_f64 v[122:123], vcc, 1.0, v[106:107], 1.0
	v_rcp_f64_e32 v[112:113], v[108:109]
	v_fma_f64 v[120:121], -v[108:109], v[112:113], 1.0
	v_fma_f64 v[112:113], v[112:113], v[120:121], v[112:113]
	v_fma_f64 v[120:121], -v[108:109], v[112:113], 1.0
	v_fma_f64 v[112:113], v[112:113], v[120:121], v[112:113]
	v_mul_f64 v[120:121], v[122:123], v[112:113]
	v_fma_f64 v[108:109], -v[108:109], v[120:121], v[122:123]
	v_div_fmas_f64 v[108:109], v[108:109], v[112:113], v[120:121]
	v_div_fixup_f64 v[106:107], v[108:109], v[106:107], 1.0
	v_mul_f64 v[108:109], v[110:111], -v[106:107]
.LBB50_179:
	s_or_b64 exec, exec, s[8:9]
.LBB50_180:
	s_or_b64 exec, exec, s[0:1]
	v_cmp_ne_u32_e32 vcc, v116, v114
	s_and_saveexec_b64 s[0:1], vcc
	s_xor_b64 s[0:1], exec, s[0:1]
	s_cbranch_execz .LBB50_186
; %bb.181:
	v_cmp_eq_u32_e32 vcc, 8, v116
	s_and_saveexec_b64 s[8:9], vcc
	s_cbranch_execz .LBB50_185
; %bb.182:
	v_cmp_ne_u32_e32 vcc, 8, v114
	s_xor_b64 s[20:21], s[18:19], -1
	s_and_b64 s[24:25], s[20:21], vcc
	s_and_saveexec_b64 s[20:21], s[24:25]
	s_cbranch_execz .LBB50_184
; %bb.183:
	v_ashrrev_i32_e32 v115, 31, v114
	v_lshlrev_b64 v[110:111], 2, v[114:115]
	v_add_co_u32_e32 v110, vcc, v126, v110
	v_addc_co_u32_e32 v111, vcc, v127, v111, vcc
	global_load_dword v0, v[110:111], off
	global_load_dword v112, v[126:127], off offset:32
	s_waitcnt vmcnt(1)
	global_store_dword v[126:127], v0, off offset:32
	s_waitcnt vmcnt(1)
	global_store_dword v[110:111], v112, off
.LBB50_184:
	s_or_b64 exec, exec, s[20:21]
	v_mov_b32_e32 v116, v114
	v_mov_b32_e32 v0, v114
.LBB50_185:
	s_or_b64 exec, exec, s[8:9]
.LBB50_186:
	s_andn2_saveexec_b64 s[0:1], s[0:1]
	s_cbranch_execz .LBB50_188
; %bb.187:
	v_mov_b32_e32 v116, 8
	ds_write2_b64 v1, v[62:63], v[64:65] offset0:18 offset1:19
	ds_write2_b64 v1, v[58:59], v[60:61] offset0:20 offset1:21
	;; [unrolled: 1-line block ×17, first 2 shown]
.LBB50_188:
	s_or_b64 exec, exec, s[0:1]
	v_cmp_lt_i32_e32 vcc, 8, v116
	s_waitcnt vmcnt(0) lgkmcnt(0)
	s_barrier
	s_and_saveexec_b64 s[0:1], vcc
	s_cbranch_execz .LBB50_190
; %bb.189:
	v_mul_f64 v[110:111], v[108:109], v[68:69]
	v_mul_f64 v[68:69], v[106:107], v[68:69]
	v_fma_f64 v[114:115], v[106:107], v[66:67], -v[110:111]
	v_fma_f64 v[68:69], v[108:109], v[66:67], v[68:69]
	ds_read2_b64 v[106:109], v1 offset0:18 offset1:19
	s_waitcnt lgkmcnt(0)
	v_mul_f64 v[66:67], v[108:109], v[68:69]
	v_fma_f64 v[66:67], v[106:107], v[114:115], -v[66:67]
	v_mul_f64 v[106:107], v[106:107], v[68:69]
	v_add_f64 v[62:63], v[62:63], -v[66:67]
	v_fma_f64 v[106:107], v[108:109], v[114:115], v[106:107]
	v_add_f64 v[64:65], v[64:65], -v[106:107]
	ds_read2_b64 v[106:109], v1 offset0:20 offset1:21
	s_waitcnt lgkmcnt(0)
	v_mul_f64 v[66:67], v[108:109], v[68:69]
	v_fma_f64 v[66:67], v[106:107], v[114:115], -v[66:67]
	v_mul_f64 v[106:107], v[106:107], v[68:69]
	v_add_f64 v[58:59], v[58:59], -v[66:67]
	v_fma_f64 v[106:107], v[108:109], v[114:115], v[106:107]
	v_add_f64 v[60:61], v[60:61], -v[106:107]
	;; [unrolled: 8-line block ×16, first 2 shown]
	ds_read2_b64 v[106:109], v1 offset0:50 offset1:51
	s_waitcnt lgkmcnt(0)
	v_mul_f64 v[66:67], v[108:109], v[68:69]
	v_fma_f64 v[66:67], v[106:107], v[114:115], -v[66:67]
	v_mul_f64 v[106:107], v[106:107], v[68:69]
	v_add_f64 v[102:103], v[102:103], -v[66:67]
	v_fma_f64 v[106:107], v[108:109], v[114:115], v[106:107]
	v_mov_b32_e32 v66, v114
	v_mov_b32_e32 v67, v115
	v_add_f64 v[104:105], v[104:105], -v[106:107]
.LBB50_190:
	s_or_b64 exec, exec, s[0:1]
	v_lshl_add_u32 v106, v116, 4, v1
	s_barrier
	ds_write2_b64 v106, v[62:63], v[64:65] offset1:1
	s_waitcnt lgkmcnt(0)
	s_barrier
	ds_read2_b64 v[106:109], v1 offset0:18 offset1:19
	s_cmp_lt_i32 s22, 11
	v_mov_b32_e32 v114, 9
	s_cbranch_scc1 .LBB50_193
; %bb.191:
	v_add_u32_e32 v115, 0xa0, v1
	s_mov_b32 s0, 10
	v_mov_b32_e32 v114, 9
.LBB50_192:                             ; =>This Inner Loop Header: Depth=1
	s_waitcnt lgkmcnt(0)
	v_cmp_gt_f64_e32 vcc, 0, v[106:107]
	v_xor_b32_e32 v110, 0x80000000, v107
	ds_read2_b64 v[120:123], v115 offset1:1
	v_xor_b32_e32 v112, 0x80000000, v109
	v_add_u32_e32 v115, 16, v115
	s_waitcnt lgkmcnt(0)
	v_xor_b32_e32 v124, 0x80000000, v123
	v_cndmask_b32_e32 v111, v107, v110, vcc
	v_cmp_gt_f64_e32 vcc, 0, v[108:109]
	v_mov_b32_e32 v110, v106
	v_cndmask_b32_e32 v113, v109, v112, vcc
	v_cmp_gt_f64_e32 vcc, 0, v[120:121]
	v_mov_b32_e32 v112, v108
	v_add_f64 v[110:111], v[110:111], v[112:113]
	v_xor_b32_e32 v112, 0x80000000, v121
	v_cndmask_b32_e32 v113, v121, v112, vcc
	v_cmp_gt_f64_e32 vcc, 0, v[122:123]
	v_mov_b32_e32 v112, v120
	v_cndmask_b32_e32 v125, v123, v124, vcc
	v_mov_b32_e32 v124, v122
	v_add_f64 v[112:113], v[112:113], v[124:125]
	v_cmp_lt_f64_e32 vcc, v[110:111], v[112:113]
	v_mov_b32_e32 v110, s0
	s_add_i32 s0, s0, 1
	s_cmp_lg_u32 s22, s0
	v_cndmask_b32_e32 v107, v107, v121, vcc
	v_cndmask_b32_e32 v106, v106, v120, vcc
	;; [unrolled: 1-line block ×5, first 2 shown]
	s_cbranch_scc1 .LBB50_192
.LBB50_193:
	s_waitcnt lgkmcnt(0)
	v_cmp_eq_f64_e32 vcc, 0, v[106:107]
	v_cmp_eq_f64_e64 s[0:1], 0, v[108:109]
	s_and_b64 s[0:1], vcc, s[0:1]
	s_and_saveexec_b64 s[8:9], s[0:1]
	s_xor_b64 s[0:1], exec, s[8:9]
; %bb.194:
	v_cmp_ne_u32_e32 vcc, 0, v119
	v_cndmask_b32_e32 v119, 10, v119, vcc
; %bb.195:
	s_andn2_saveexec_b64 s[0:1], s[0:1]
	s_cbranch_execz .LBB50_201
; %bb.196:
	v_cmp_ngt_f64_e64 s[8:9], |v[106:107]|, |v[108:109]|
	s_and_saveexec_b64 s[20:21], s[8:9]
	s_xor_b64 s[8:9], exec, s[20:21]
	s_cbranch_execz .LBB50_198
; %bb.197:
	v_div_scale_f64 v[110:111], s[20:21], v[108:109], v[108:109], v[106:107]
	v_rcp_f64_e32 v[112:113], v[110:111]
	v_fma_f64 v[120:121], -v[110:111], v[112:113], 1.0
	v_fma_f64 v[112:113], v[112:113], v[120:121], v[112:113]
	v_div_scale_f64 v[120:121], vcc, v[106:107], v[108:109], v[106:107]
	v_fma_f64 v[122:123], -v[110:111], v[112:113], 1.0
	v_fma_f64 v[112:113], v[112:113], v[122:123], v[112:113]
	v_mul_f64 v[122:123], v[120:121], v[112:113]
	v_fma_f64 v[110:111], -v[110:111], v[122:123], v[120:121]
	v_div_fmas_f64 v[110:111], v[110:111], v[112:113], v[122:123]
	v_div_fixup_f64 v[110:111], v[110:111], v[108:109], v[106:107]
	v_fma_f64 v[106:107], v[106:107], v[110:111], v[108:109]
	v_div_scale_f64 v[108:109], s[20:21], v[106:107], v[106:107], 1.0
	v_div_scale_f64 v[122:123], vcc, 1.0, v[106:107], 1.0
	v_rcp_f64_e32 v[112:113], v[108:109]
	v_fma_f64 v[120:121], -v[108:109], v[112:113], 1.0
	v_fma_f64 v[112:113], v[112:113], v[120:121], v[112:113]
	v_fma_f64 v[120:121], -v[108:109], v[112:113], 1.0
	v_fma_f64 v[112:113], v[112:113], v[120:121], v[112:113]
	v_mul_f64 v[120:121], v[122:123], v[112:113]
	v_fma_f64 v[108:109], -v[108:109], v[120:121], v[122:123]
	v_div_fmas_f64 v[108:109], v[108:109], v[112:113], v[120:121]
	v_div_fixup_f64 v[108:109], v[108:109], v[106:107], 1.0
	v_mul_f64 v[106:107], v[110:111], v[108:109]
	v_xor_b32_e32 v109, 0x80000000, v109
.LBB50_198:
	s_andn2_saveexec_b64 s[8:9], s[8:9]
	s_cbranch_execz .LBB50_200
; %bb.199:
	v_div_scale_f64 v[110:111], s[20:21], v[106:107], v[106:107], v[108:109]
	v_rcp_f64_e32 v[112:113], v[110:111]
	v_fma_f64 v[120:121], -v[110:111], v[112:113], 1.0
	v_fma_f64 v[112:113], v[112:113], v[120:121], v[112:113]
	v_div_scale_f64 v[120:121], vcc, v[108:109], v[106:107], v[108:109]
	v_fma_f64 v[122:123], -v[110:111], v[112:113], 1.0
	v_fma_f64 v[112:113], v[112:113], v[122:123], v[112:113]
	v_mul_f64 v[122:123], v[120:121], v[112:113]
	v_fma_f64 v[110:111], -v[110:111], v[122:123], v[120:121]
	v_div_fmas_f64 v[110:111], v[110:111], v[112:113], v[122:123]
	v_div_fixup_f64 v[110:111], v[110:111], v[106:107], v[108:109]
	v_fma_f64 v[106:107], v[108:109], v[110:111], v[106:107]
	v_div_scale_f64 v[108:109], s[20:21], v[106:107], v[106:107], 1.0
	v_div_scale_f64 v[122:123], vcc, 1.0, v[106:107], 1.0
	v_rcp_f64_e32 v[112:113], v[108:109]
	v_fma_f64 v[120:121], -v[108:109], v[112:113], 1.0
	v_fma_f64 v[112:113], v[112:113], v[120:121], v[112:113]
	v_fma_f64 v[120:121], -v[108:109], v[112:113], 1.0
	v_fma_f64 v[112:113], v[112:113], v[120:121], v[112:113]
	v_mul_f64 v[120:121], v[122:123], v[112:113]
	v_fma_f64 v[108:109], -v[108:109], v[120:121], v[122:123]
	v_div_fmas_f64 v[108:109], v[108:109], v[112:113], v[120:121]
	v_div_fixup_f64 v[106:107], v[108:109], v[106:107], 1.0
	v_mul_f64 v[108:109], v[110:111], -v[106:107]
.LBB50_200:
	s_or_b64 exec, exec, s[8:9]
.LBB50_201:
	s_or_b64 exec, exec, s[0:1]
	v_cmp_ne_u32_e32 vcc, v116, v114
	s_and_saveexec_b64 s[0:1], vcc
	s_xor_b64 s[0:1], exec, s[0:1]
	s_cbranch_execz .LBB50_207
; %bb.202:
	v_cmp_eq_u32_e32 vcc, 9, v116
	s_and_saveexec_b64 s[8:9], vcc
	s_cbranch_execz .LBB50_206
; %bb.203:
	v_cmp_ne_u32_e32 vcc, 9, v114
	s_xor_b64 s[20:21], s[18:19], -1
	s_and_b64 s[24:25], s[20:21], vcc
	s_and_saveexec_b64 s[20:21], s[24:25]
	s_cbranch_execz .LBB50_205
; %bb.204:
	v_ashrrev_i32_e32 v115, 31, v114
	v_lshlrev_b64 v[110:111], 2, v[114:115]
	v_add_co_u32_e32 v110, vcc, v126, v110
	v_addc_co_u32_e32 v111, vcc, v127, v111, vcc
	global_load_dword v0, v[110:111], off
	global_load_dword v112, v[126:127], off offset:36
	s_waitcnt vmcnt(1)
	global_store_dword v[126:127], v0, off offset:36
	s_waitcnt vmcnt(1)
	global_store_dword v[110:111], v112, off
.LBB50_205:
	s_or_b64 exec, exec, s[20:21]
	v_mov_b32_e32 v116, v114
	v_mov_b32_e32 v0, v114
.LBB50_206:
	s_or_b64 exec, exec, s[8:9]
.LBB50_207:
	s_andn2_saveexec_b64 s[0:1], s[0:1]
	s_cbranch_execz .LBB50_209
; %bb.208:
	v_mov_b32_e32 v116, 9
	ds_write2_b64 v1, v[58:59], v[60:61] offset0:20 offset1:21
	ds_write2_b64 v1, v[54:55], v[56:57] offset0:22 offset1:23
	;; [unrolled: 1-line block ×16, first 2 shown]
.LBB50_209:
	s_or_b64 exec, exec, s[0:1]
	v_cmp_lt_i32_e32 vcc, 9, v116
	s_waitcnt vmcnt(0) lgkmcnt(0)
	s_barrier
	s_and_saveexec_b64 s[0:1], vcc
	s_cbranch_execz .LBB50_211
; %bb.210:
	v_mul_f64 v[110:111], v[106:107], v[64:65]
	v_mul_f64 v[64:65], v[108:109], v[64:65]
	v_fma_f64 v[114:115], v[108:109], v[62:63], v[110:111]
	v_fma_f64 v[62:63], v[106:107], v[62:63], -v[64:65]
	ds_read2_b64 v[106:109], v1 offset0:20 offset1:21
	s_waitcnt lgkmcnt(0)
	v_mul_f64 v[64:65], v[108:109], v[114:115]
	v_fma_f64 v[64:65], v[106:107], v[62:63], -v[64:65]
	v_mul_f64 v[106:107], v[106:107], v[114:115]
	v_add_f64 v[58:59], v[58:59], -v[64:65]
	v_fma_f64 v[106:107], v[108:109], v[62:63], v[106:107]
	v_add_f64 v[60:61], v[60:61], -v[106:107]
	ds_read2_b64 v[106:109], v1 offset0:22 offset1:23
	s_waitcnt lgkmcnt(0)
	v_mul_f64 v[64:65], v[108:109], v[114:115]
	v_fma_f64 v[64:65], v[106:107], v[62:63], -v[64:65]
	v_mul_f64 v[106:107], v[106:107], v[114:115]
	v_add_f64 v[54:55], v[54:55], -v[64:65]
	v_fma_f64 v[106:107], v[108:109], v[62:63], v[106:107]
	v_add_f64 v[56:57], v[56:57], -v[106:107]
	;; [unrolled: 8-line block ×15, first 2 shown]
	ds_read2_b64 v[106:109], v1 offset0:50 offset1:51
	s_waitcnt lgkmcnt(0)
	v_mul_f64 v[64:65], v[108:109], v[114:115]
	v_fma_f64 v[64:65], v[106:107], v[62:63], -v[64:65]
	v_mul_f64 v[106:107], v[106:107], v[114:115]
	v_add_f64 v[102:103], v[102:103], -v[64:65]
	v_fma_f64 v[106:107], v[108:109], v[62:63], v[106:107]
	v_mov_b32_e32 v64, v114
	v_mov_b32_e32 v65, v115
	v_add_f64 v[104:105], v[104:105], -v[106:107]
.LBB50_211:
	s_or_b64 exec, exec, s[0:1]
	v_lshl_add_u32 v106, v116, 4, v1
	s_barrier
	ds_write2_b64 v106, v[58:59], v[60:61] offset1:1
	s_waitcnt lgkmcnt(0)
	s_barrier
	ds_read2_b64 v[106:109], v1 offset0:20 offset1:21
	s_cmp_lt_i32 s22, 12
	v_mov_b32_e32 v114, 10
	s_cbranch_scc1 .LBB50_214
; %bb.212:
	v_add_u32_e32 v115, 0xb0, v1
	s_mov_b32 s0, 11
	v_mov_b32_e32 v114, 10
.LBB50_213:                             ; =>This Inner Loop Header: Depth=1
	s_waitcnt lgkmcnt(0)
	v_cmp_gt_f64_e32 vcc, 0, v[106:107]
	v_xor_b32_e32 v110, 0x80000000, v107
	ds_read2_b64 v[120:123], v115 offset1:1
	v_xor_b32_e32 v112, 0x80000000, v109
	v_add_u32_e32 v115, 16, v115
	s_waitcnt lgkmcnt(0)
	v_xor_b32_e32 v124, 0x80000000, v123
	v_cndmask_b32_e32 v111, v107, v110, vcc
	v_cmp_gt_f64_e32 vcc, 0, v[108:109]
	v_mov_b32_e32 v110, v106
	v_cndmask_b32_e32 v113, v109, v112, vcc
	v_cmp_gt_f64_e32 vcc, 0, v[120:121]
	v_mov_b32_e32 v112, v108
	v_add_f64 v[110:111], v[110:111], v[112:113]
	v_xor_b32_e32 v112, 0x80000000, v121
	v_cndmask_b32_e32 v113, v121, v112, vcc
	v_cmp_gt_f64_e32 vcc, 0, v[122:123]
	v_mov_b32_e32 v112, v120
	v_cndmask_b32_e32 v125, v123, v124, vcc
	v_mov_b32_e32 v124, v122
	v_add_f64 v[112:113], v[112:113], v[124:125]
	v_cmp_lt_f64_e32 vcc, v[110:111], v[112:113]
	v_mov_b32_e32 v110, s0
	s_add_i32 s0, s0, 1
	s_cmp_lg_u32 s22, s0
	v_cndmask_b32_e32 v107, v107, v121, vcc
	v_cndmask_b32_e32 v106, v106, v120, vcc
	;; [unrolled: 1-line block ×5, first 2 shown]
	s_cbranch_scc1 .LBB50_213
.LBB50_214:
	s_waitcnt lgkmcnt(0)
	v_cmp_eq_f64_e32 vcc, 0, v[106:107]
	v_cmp_eq_f64_e64 s[0:1], 0, v[108:109]
	s_and_b64 s[0:1], vcc, s[0:1]
	s_and_saveexec_b64 s[8:9], s[0:1]
	s_xor_b64 s[0:1], exec, s[8:9]
; %bb.215:
	v_cmp_ne_u32_e32 vcc, 0, v119
	v_cndmask_b32_e32 v119, 11, v119, vcc
; %bb.216:
	s_andn2_saveexec_b64 s[0:1], s[0:1]
	s_cbranch_execz .LBB50_222
; %bb.217:
	v_cmp_ngt_f64_e64 s[8:9], |v[106:107]|, |v[108:109]|
	s_and_saveexec_b64 s[20:21], s[8:9]
	s_xor_b64 s[8:9], exec, s[20:21]
	s_cbranch_execz .LBB50_219
; %bb.218:
	v_div_scale_f64 v[110:111], s[20:21], v[108:109], v[108:109], v[106:107]
	v_rcp_f64_e32 v[112:113], v[110:111]
	v_fma_f64 v[120:121], -v[110:111], v[112:113], 1.0
	v_fma_f64 v[112:113], v[112:113], v[120:121], v[112:113]
	v_div_scale_f64 v[120:121], vcc, v[106:107], v[108:109], v[106:107]
	v_fma_f64 v[122:123], -v[110:111], v[112:113], 1.0
	v_fma_f64 v[112:113], v[112:113], v[122:123], v[112:113]
	v_mul_f64 v[122:123], v[120:121], v[112:113]
	v_fma_f64 v[110:111], -v[110:111], v[122:123], v[120:121]
	v_div_fmas_f64 v[110:111], v[110:111], v[112:113], v[122:123]
	v_div_fixup_f64 v[110:111], v[110:111], v[108:109], v[106:107]
	v_fma_f64 v[106:107], v[106:107], v[110:111], v[108:109]
	v_div_scale_f64 v[108:109], s[20:21], v[106:107], v[106:107], 1.0
	v_div_scale_f64 v[122:123], vcc, 1.0, v[106:107], 1.0
	v_rcp_f64_e32 v[112:113], v[108:109]
	v_fma_f64 v[120:121], -v[108:109], v[112:113], 1.0
	v_fma_f64 v[112:113], v[112:113], v[120:121], v[112:113]
	v_fma_f64 v[120:121], -v[108:109], v[112:113], 1.0
	v_fma_f64 v[112:113], v[112:113], v[120:121], v[112:113]
	v_mul_f64 v[120:121], v[122:123], v[112:113]
	v_fma_f64 v[108:109], -v[108:109], v[120:121], v[122:123]
	v_div_fmas_f64 v[108:109], v[108:109], v[112:113], v[120:121]
	v_div_fixup_f64 v[108:109], v[108:109], v[106:107], 1.0
	v_mul_f64 v[106:107], v[110:111], v[108:109]
	v_xor_b32_e32 v109, 0x80000000, v109
.LBB50_219:
	s_andn2_saveexec_b64 s[8:9], s[8:9]
	s_cbranch_execz .LBB50_221
; %bb.220:
	v_div_scale_f64 v[110:111], s[20:21], v[106:107], v[106:107], v[108:109]
	v_rcp_f64_e32 v[112:113], v[110:111]
	v_fma_f64 v[120:121], -v[110:111], v[112:113], 1.0
	v_fma_f64 v[112:113], v[112:113], v[120:121], v[112:113]
	v_div_scale_f64 v[120:121], vcc, v[108:109], v[106:107], v[108:109]
	v_fma_f64 v[122:123], -v[110:111], v[112:113], 1.0
	v_fma_f64 v[112:113], v[112:113], v[122:123], v[112:113]
	v_mul_f64 v[122:123], v[120:121], v[112:113]
	v_fma_f64 v[110:111], -v[110:111], v[122:123], v[120:121]
	v_div_fmas_f64 v[110:111], v[110:111], v[112:113], v[122:123]
	v_div_fixup_f64 v[110:111], v[110:111], v[106:107], v[108:109]
	v_fma_f64 v[106:107], v[108:109], v[110:111], v[106:107]
	v_div_scale_f64 v[108:109], s[20:21], v[106:107], v[106:107], 1.0
	v_div_scale_f64 v[122:123], vcc, 1.0, v[106:107], 1.0
	v_rcp_f64_e32 v[112:113], v[108:109]
	v_fma_f64 v[120:121], -v[108:109], v[112:113], 1.0
	v_fma_f64 v[112:113], v[112:113], v[120:121], v[112:113]
	v_fma_f64 v[120:121], -v[108:109], v[112:113], 1.0
	v_fma_f64 v[112:113], v[112:113], v[120:121], v[112:113]
	v_mul_f64 v[120:121], v[122:123], v[112:113]
	v_fma_f64 v[108:109], -v[108:109], v[120:121], v[122:123]
	v_div_fmas_f64 v[108:109], v[108:109], v[112:113], v[120:121]
	v_div_fixup_f64 v[106:107], v[108:109], v[106:107], 1.0
	v_mul_f64 v[108:109], v[110:111], -v[106:107]
.LBB50_221:
	s_or_b64 exec, exec, s[8:9]
.LBB50_222:
	s_or_b64 exec, exec, s[0:1]
	v_cmp_ne_u32_e32 vcc, v116, v114
	s_and_saveexec_b64 s[0:1], vcc
	s_xor_b64 s[0:1], exec, s[0:1]
	s_cbranch_execz .LBB50_228
; %bb.223:
	v_cmp_eq_u32_e32 vcc, 10, v116
	s_and_saveexec_b64 s[8:9], vcc
	s_cbranch_execz .LBB50_227
; %bb.224:
	v_cmp_ne_u32_e32 vcc, 10, v114
	s_xor_b64 s[20:21], s[18:19], -1
	s_and_b64 s[24:25], s[20:21], vcc
	s_and_saveexec_b64 s[20:21], s[24:25]
	s_cbranch_execz .LBB50_226
; %bb.225:
	v_ashrrev_i32_e32 v115, 31, v114
	v_lshlrev_b64 v[110:111], 2, v[114:115]
	v_add_co_u32_e32 v110, vcc, v126, v110
	v_addc_co_u32_e32 v111, vcc, v127, v111, vcc
	global_load_dword v0, v[110:111], off
	global_load_dword v112, v[126:127], off offset:40
	s_waitcnt vmcnt(1)
	global_store_dword v[126:127], v0, off offset:40
	s_waitcnt vmcnt(1)
	global_store_dword v[110:111], v112, off
.LBB50_226:
	s_or_b64 exec, exec, s[20:21]
	v_mov_b32_e32 v116, v114
	v_mov_b32_e32 v0, v114
.LBB50_227:
	s_or_b64 exec, exec, s[8:9]
.LBB50_228:
	s_andn2_saveexec_b64 s[0:1], s[0:1]
	s_cbranch_execz .LBB50_230
; %bb.229:
	v_mov_b32_e32 v116, 10
	ds_write2_b64 v1, v[54:55], v[56:57] offset0:22 offset1:23
	ds_write2_b64 v1, v[50:51], v[52:53] offset0:24 offset1:25
	ds_write2_b64 v1, v[46:47], v[48:49] offset0:26 offset1:27
	ds_write2_b64 v1, v[42:43], v[44:45] offset0:28 offset1:29
	ds_write2_b64 v1, v[38:39], v[40:41] offset0:30 offset1:31
	ds_write2_b64 v1, v[34:35], v[36:37] offset0:32 offset1:33
	ds_write2_b64 v1, v[30:31], v[32:33] offset0:34 offset1:35
	ds_write2_b64 v1, v[26:27], v[28:29] offset0:36 offset1:37
	ds_write2_b64 v1, v[22:23], v[24:25] offset0:38 offset1:39
	ds_write2_b64 v1, v[18:19], v[20:21] offset0:40 offset1:41
	ds_write2_b64 v1, v[14:15], v[16:17] offset0:42 offset1:43
	ds_write2_b64 v1, v[10:11], v[12:13] offset0:44 offset1:45
	ds_write2_b64 v1, v[6:7], v[8:9] offset0:46 offset1:47
	ds_write2_b64 v1, v[2:3], v[4:5] offset0:48 offset1:49
	ds_write2_b64 v1, v[102:103], v[104:105] offset0:50 offset1:51
.LBB50_230:
	s_or_b64 exec, exec, s[0:1]
	v_cmp_lt_i32_e32 vcc, 10, v116
	s_waitcnt vmcnt(0) lgkmcnt(0)
	s_barrier
	s_and_saveexec_b64 s[0:1], vcc
	s_cbranch_execz .LBB50_232
; %bb.231:
	v_mul_f64 v[110:111], v[106:107], v[60:61]
	v_mul_f64 v[60:61], v[108:109], v[60:61]
	v_fma_f64 v[114:115], v[108:109], v[58:59], v[110:111]
	v_fma_f64 v[58:59], v[106:107], v[58:59], -v[60:61]
	ds_read2_b64 v[106:109], v1 offset0:22 offset1:23
	s_waitcnt lgkmcnt(0)
	v_mul_f64 v[60:61], v[108:109], v[114:115]
	v_fma_f64 v[60:61], v[106:107], v[58:59], -v[60:61]
	v_mul_f64 v[106:107], v[106:107], v[114:115]
	v_add_f64 v[54:55], v[54:55], -v[60:61]
	v_fma_f64 v[106:107], v[108:109], v[58:59], v[106:107]
	v_add_f64 v[56:57], v[56:57], -v[106:107]
	ds_read2_b64 v[106:109], v1 offset0:24 offset1:25
	s_waitcnt lgkmcnt(0)
	v_mul_f64 v[60:61], v[108:109], v[114:115]
	v_fma_f64 v[60:61], v[106:107], v[58:59], -v[60:61]
	v_mul_f64 v[106:107], v[106:107], v[114:115]
	v_add_f64 v[50:51], v[50:51], -v[60:61]
	v_fma_f64 v[106:107], v[108:109], v[58:59], v[106:107]
	v_add_f64 v[52:53], v[52:53], -v[106:107]
	;; [unrolled: 8-line block ×14, first 2 shown]
	ds_read2_b64 v[106:109], v1 offset0:50 offset1:51
	s_waitcnt lgkmcnt(0)
	v_mul_f64 v[60:61], v[108:109], v[114:115]
	v_fma_f64 v[60:61], v[106:107], v[58:59], -v[60:61]
	v_mul_f64 v[106:107], v[106:107], v[114:115]
	v_add_f64 v[102:103], v[102:103], -v[60:61]
	v_fma_f64 v[106:107], v[108:109], v[58:59], v[106:107]
	v_mov_b32_e32 v60, v114
	v_mov_b32_e32 v61, v115
	v_add_f64 v[104:105], v[104:105], -v[106:107]
.LBB50_232:
	s_or_b64 exec, exec, s[0:1]
	v_lshl_add_u32 v106, v116, 4, v1
	s_barrier
	ds_write2_b64 v106, v[54:55], v[56:57] offset1:1
	s_waitcnt lgkmcnt(0)
	s_barrier
	ds_read2_b64 v[106:109], v1 offset0:22 offset1:23
	s_cmp_lt_i32 s22, 13
	v_mov_b32_e32 v114, 11
	s_cbranch_scc1 .LBB50_235
; %bb.233:
	v_add_u32_e32 v115, 0xc0, v1
	s_mov_b32 s0, 12
	v_mov_b32_e32 v114, 11
.LBB50_234:                             ; =>This Inner Loop Header: Depth=1
	s_waitcnt lgkmcnt(0)
	v_cmp_gt_f64_e32 vcc, 0, v[106:107]
	v_xor_b32_e32 v110, 0x80000000, v107
	ds_read2_b64 v[120:123], v115 offset1:1
	v_xor_b32_e32 v112, 0x80000000, v109
	v_add_u32_e32 v115, 16, v115
	s_waitcnt lgkmcnt(0)
	v_xor_b32_e32 v124, 0x80000000, v123
	v_cndmask_b32_e32 v111, v107, v110, vcc
	v_cmp_gt_f64_e32 vcc, 0, v[108:109]
	v_mov_b32_e32 v110, v106
	v_cndmask_b32_e32 v113, v109, v112, vcc
	v_cmp_gt_f64_e32 vcc, 0, v[120:121]
	v_mov_b32_e32 v112, v108
	v_add_f64 v[110:111], v[110:111], v[112:113]
	v_xor_b32_e32 v112, 0x80000000, v121
	v_cndmask_b32_e32 v113, v121, v112, vcc
	v_cmp_gt_f64_e32 vcc, 0, v[122:123]
	v_mov_b32_e32 v112, v120
	v_cndmask_b32_e32 v125, v123, v124, vcc
	v_mov_b32_e32 v124, v122
	v_add_f64 v[112:113], v[112:113], v[124:125]
	v_cmp_lt_f64_e32 vcc, v[110:111], v[112:113]
	v_mov_b32_e32 v110, s0
	s_add_i32 s0, s0, 1
	s_cmp_lg_u32 s22, s0
	v_cndmask_b32_e32 v107, v107, v121, vcc
	v_cndmask_b32_e32 v106, v106, v120, vcc
	;; [unrolled: 1-line block ×5, first 2 shown]
	s_cbranch_scc1 .LBB50_234
.LBB50_235:
	s_waitcnt lgkmcnt(0)
	v_cmp_eq_f64_e32 vcc, 0, v[106:107]
	v_cmp_eq_f64_e64 s[0:1], 0, v[108:109]
	s_and_b64 s[0:1], vcc, s[0:1]
	s_and_saveexec_b64 s[8:9], s[0:1]
	s_xor_b64 s[0:1], exec, s[8:9]
; %bb.236:
	v_cmp_ne_u32_e32 vcc, 0, v119
	v_cndmask_b32_e32 v119, 12, v119, vcc
; %bb.237:
	s_andn2_saveexec_b64 s[0:1], s[0:1]
	s_cbranch_execz .LBB50_243
; %bb.238:
	v_cmp_ngt_f64_e64 s[8:9], |v[106:107]|, |v[108:109]|
	s_and_saveexec_b64 s[20:21], s[8:9]
	s_xor_b64 s[8:9], exec, s[20:21]
	s_cbranch_execz .LBB50_240
; %bb.239:
	v_div_scale_f64 v[110:111], s[20:21], v[108:109], v[108:109], v[106:107]
	v_rcp_f64_e32 v[112:113], v[110:111]
	v_fma_f64 v[120:121], -v[110:111], v[112:113], 1.0
	v_fma_f64 v[112:113], v[112:113], v[120:121], v[112:113]
	v_div_scale_f64 v[120:121], vcc, v[106:107], v[108:109], v[106:107]
	v_fma_f64 v[122:123], -v[110:111], v[112:113], 1.0
	v_fma_f64 v[112:113], v[112:113], v[122:123], v[112:113]
	v_mul_f64 v[122:123], v[120:121], v[112:113]
	v_fma_f64 v[110:111], -v[110:111], v[122:123], v[120:121]
	v_div_fmas_f64 v[110:111], v[110:111], v[112:113], v[122:123]
	v_div_fixup_f64 v[110:111], v[110:111], v[108:109], v[106:107]
	v_fma_f64 v[106:107], v[106:107], v[110:111], v[108:109]
	v_div_scale_f64 v[108:109], s[20:21], v[106:107], v[106:107], 1.0
	v_div_scale_f64 v[122:123], vcc, 1.0, v[106:107], 1.0
	v_rcp_f64_e32 v[112:113], v[108:109]
	v_fma_f64 v[120:121], -v[108:109], v[112:113], 1.0
	v_fma_f64 v[112:113], v[112:113], v[120:121], v[112:113]
	v_fma_f64 v[120:121], -v[108:109], v[112:113], 1.0
	v_fma_f64 v[112:113], v[112:113], v[120:121], v[112:113]
	v_mul_f64 v[120:121], v[122:123], v[112:113]
	v_fma_f64 v[108:109], -v[108:109], v[120:121], v[122:123]
	v_div_fmas_f64 v[108:109], v[108:109], v[112:113], v[120:121]
	v_div_fixup_f64 v[108:109], v[108:109], v[106:107], 1.0
	v_mul_f64 v[106:107], v[110:111], v[108:109]
	v_xor_b32_e32 v109, 0x80000000, v109
.LBB50_240:
	s_andn2_saveexec_b64 s[8:9], s[8:9]
	s_cbranch_execz .LBB50_242
; %bb.241:
	v_div_scale_f64 v[110:111], s[20:21], v[106:107], v[106:107], v[108:109]
	v_rcp_f64_e32 v[112:113], v[110:111]
	v_fma_f64 v[120:121], -v[110:111], v[112:113], 1.0
	v_fma_f64 v[112:113], v[112:113], v[120:121], v[112:113]
	v_div_scale_f64 v[120:121], vcc, v[108:109], v[106:107], v[108:109]
	v_fma_f64 v[122:123], -v[110:111], v[112:113], 1.0
	v_fma_f64 v[112:113], v[112:113], v[122:123], v[112:113]
	v_mul_f64 v[122:123], v[120:121], v[112:113]
	v_fma_f64 v[110:111], -v[110:111], v[122:123], v[120:121]
	v_div_fmas_f64 v[110:111], v[110:111], v[112:113], v[122:123]
	v_div_fixup_f64 v[110:111], v[110:111], v[106:107], v[108:109]
	v_fma_f64 v[106:107], v[108:109], v[110:111], v[106:107]
	v_div_scale_f64 v[108:109], s[20:21], v[106:107], v[106:107], 1.0
	v_div_scale_f64 v[122:123], vcc, 1.0, v[106:107], 1.0
	v_rcp_f64_e32 v[112:113], v[108:109]
	v_fma_f64 v[120:121], -v[108:109], v[112:113], 1.0
	v_fma_f64 v[112:113], v[112:113], v[120:121], v[112:113]
	v_fma_f64 v[120:121], -v[108:109], v[112:113], 1.0
	v_fma_f64 v[112:113], v[112:113], v[120:121], v[112:113]
	v_mul_f64 v[120:121], v[122:123], v[112:113]
	v_fma_f64 v[108:109], -v[108:109], v[120:121], v[122:123]
	v_div_fmas_f64 v[108:109], v[108:109], v[112:113], v[120:121]
	v_div_fixup_f64 v[106:107], v[108:109], v[106:107], 1.0
	v_mul_f64 v[108:109], v[110:111], -v[106:107]
.LBB50_242:
	s_or_b64 exec, exec, s[8:9]
.LBB50_243:
	s_or_b64 exec, exec, s[0:1]
	v_cmp_ne_u32_e32 vcc, v116, v114
	s_and_saveexec_b64 s[0:1], vcc
	s_xor_b64 s[0:1], exec, s[0:1]
	s_cbranch_execz .LBB50_249
; %bb.244:
	v_cmp_eq_u32_e32 vcc, 11, v116
	s_and_saveexec_b64 s[8:9], vcc
	s_cbranch_execz .LBB50_248
; %bb.245:
	v_cmp_ne_u32_e32 vcc, 11, v114
	s_xor_b64 s[20:21], s[18:19], -1
	s_and_b64 s[24:25], s[20:21], vcc
	s_and_saveexec_b64 s[20:21], s[24:25]
	s_cbranch_execz .LBB50_247
; %bb.246:
	v_ashrrev_i32_e32 v115, 31, v114
	v_lshlrev_b64 v[110:111], 2, v[114:115]
	v_add_co_u32_e32 v110, vcc, v126, v110
	v_addc_co_u32_e32 v111, vcc, v127, v111, vcc
	global_load_dword v0, v[110:111], off
	global_load_dword v112, v[126:127], off offset:44
	s_waitcnt vmcnt(1)
	global_store_dword v[126:127], v0, off offset:44
	s_waitcnt vmcnt(1)
	global_store_dword v[110:111], v112, off
.LBB50_247:
	s_or_b64 exec, exec, s[20:21]
	v_mov_b32_e32 v116, v114
	v_mov_b32_e32 v0, v114
.LBB50_248:
	s_or_b64 exec, exec, s[8:9]
.LBB50_249:
	s_andn2_saveexec_b64 s[0:1], s[0:1]
	s_cbranch_execz .LBB50_251
; %bb.250:
	v_mov_b32_e32 v116, 11
	ds_write2_b64 v1, v[50:51], v[52:53] offset0:24 offset1:25
	ds_write2_b64 v1, v[46:47], v[48:49] offset0:26 offset1:27
	;; [unrolled: 1-line block ×14, first 2 shown]
.LBB50_251:
	s_or_b64 exec, exec, s[0:1]
	v_cmp_lt_i32_e32 vcc, 11, v116
	s_waitcnt vmcnt(0) lgkmcnt(0)
	s_barrier
	s_and_saveexec_b64 s[0:1], vcc
	s_cbranch_execz .LBB50_253
; %bb.252:
	v_mul_f64 v[110:111], v[106:107], v[56:57]
	v_mul_f64 v[56:57], v[108:109], v[56:57]
	v_fma_f64 v[114:115], v[108:109], v[54:55], v[110:111]
	v_fma_f64 v[54:55], v[106:107], v[54:55], -v[56:57]
	ds_read2_b64 v[106:109], v1 offset0:24 offset1:25
	s_waitcnt lgkmcnt(0)
	v_mul_f64 v[56:57], v[108:109], v[114:115]
	v_fma_f64 v[56:57], v[106:107], v[54:55], -v[56:57]
	v_mul_f64 v[106:107], v[106:107], v[114:115]
	v_add_f64 v[50:51], v[50:51], -v[56:57]
	v_fma_f64 v[106:107], v[108:109], v[54:55], v[106:107]
	v_add_f64 v[52:53], v[52:53], -v[106:107]
	ds_read2_b64 v[106:109], v1 offset0:26 offset1:27
	s_waitcnt lgkmcnt(0)
	v_mul_f64 v[56:57], v[108:109], v[114:115]
	v_fma_f64 v[56:57], v[106:107], v[54:55], -v[56:57]
	v_mul_f64 v[106:107], v[106:107], v[114:115]
	v_add_f64 v[46:47], v[46:47], -v[56:57]
	v_fma_f64 v[106:107], v[108:109], v[54:55], v[106:107]
	v_add_f64 v[48:49], v[48:49], -v[106:107]
	;; [unrolled: 8-line block ×13, first 2 shown]
	ds_read2_b64 v[106:109], v1 offset0:50 offset1:51
	s_waitcnt lgkmcnt(0)
	v_mul_f64 v[56:57], v[108:109], v[114:115]
	v_fma_f64 v[56:57], v[106:107], v[54:55], -v[56:57]
	v_mul_f64 v[106:107], v[106:107], v[114:115]
	v_add_f64 v[102:103], v[102:103], -v[56:57]
	v_fma_f64 v[106:107], v[108:109], v[54:55], v[106:107]
	v_mov_b32_e32 v56, v114
	v_mov_b32_e32 v57, v115
	v_add_f64 v[104:105], v[104:105], -v[106:107]
.LBB50_253:
	s_or_b64 exec, exec, s[0:1]
	v_lshl_add_u32 v106, v116, 4, v1
	s_barrier
	ds_write2_b64 v106, v[50:51], v[52:53] offset1:1
	s_waitcnt lgkmcnt(0)
	s_barrier
	ds_read2_b64 v[106:109], v1 offset0:24 offset1:25
	s_cmp_lt_i32 s22, 14
	v_mov_b32_e32 v114, 12
	s_cbranch_scc1 .LBB50_256
; %bb.254:
	v_add_u32_e32 v115, 0xd0, v1
	s_mov_b32 s0, 13
	v_mov_b32_e32 v114, 12
.LBB50_255:                             ; =>This Inner Loop Header: Depth=1
	s_waitcnt lgkmcnt(0)
	v_cmp_gt_f64_e32 vcc, 0, v[106:107]
	v_xor_b32_e32 v110, 0x80000000, v107
	ds_read2_b64 v[120:123], v115 offset1:1
	v_xor_b32_e32 v112, 0x80000000, v109
	v_add_u32_e32 v115, 16, v115
	s_waitcnt lgkmcnt(0)
	v_xor_b32_e32 v124, 0x80000000, v123
	v_cndmask_b32_e32 v111, v107, v110, vcc
	v_cmp_gt_f64_e32 vcc, 0, v[108:109]
	v_mov_b32_e32 v110, v106
	v_cndmask_b32_e32 v113, v109, v112, vcc
	v_cmp_gt_f64_e32 vcc, 0, v[120:121]
	v_mov_b32_e32 v112, v108
	v_add_f64 v[110:111], v[110:111], v[112:113]
	v_xor_b32_e32 v112, 0x80000000, v121
	v_cndmask_b32_e32 v113, v121, v112, vcc
	v_cmp_gt_f64_e32 vcc, 0, v[122:123]
	v_mov_b32_e32 v112, v120
	v_cndmask_b32_e32 v125, v123, v124, vcc
	v_mov_b32_e32 v124, v122
	v_add_f64 v[112:113], v[112:113], v[124:125]
	v_cmp_lt_f64_e32 vcc, v[110:111], v[112:113]
	v_mov_b32_e32 v110, s0
	s_add_i32 s0, s0, 1
	s_cmp_lg_u32 s22, s0
	v_cndmask_b32_e32 v107, v107, v121, vcc
	v_cndmask_b32_e32 v106, v106, v120, vcc
	v_cndmask_b32_e32 v109, v109, v123, vcc
	v_cndmask_b32_e32 v108, v108, v122, vcc
	v_cndmask_b32_e32 v114, v114, v110, vcc
	s_cbranch_scc1 .LBB50_255
.LBB50_256:
	s_waitcnt lgkmcnt(0)
	v_cmp_eq_f64_e32 vcc, 0, v[106:107]
	v_cmp_eq_f64_e64 s[0:1], 0, v[108:109]
	s_and_b64 s[0:1], vcc, s[0:1]
	s_and_saveexec_b64 s[8:9], s[0:1]
	s_xor_b64 s[0:1], exec, s[8:9]
; %bb.257:
	v_cmp_ne_u32_e32 vcc, 0, v119
	v_cndmask_b32_e32 v119, 13, v119, vcc
; %bb.258:
	s_andn2_saveexec_b64 s[0:1], s[0:1]
	s_cbranch_execz .LBB50_264
; %bb.259:
	v_cmp_ngt_f64_e64 s[8:9], |v[106:107]|, |v[108:109]|
	s_and_saveexec_b64 s[20:21], s[8:9]
	s_xor_b64 s[8:9], exec, s[20:21]
	s_cbranch_execz .LBB50_261
; %bb.260:
	v_div_scale_f64 v[110:111], s[20:21], v[108:109], v[108:109], v[106:107]
	v_rcp_f64_e32 v[112:113], v[110:111]
	v_fma_f64 v[120:121], -v[110:111], v[112:113], 1.0
	v_fma_f64 v[112:113], v[112:113], v[120:121], v[112:113]
	v_div_scale_f64 v[120:121], vcc, v[106:107], v[108:109], v[106:107]
	v_fma_f64 v[122:123], -v[110:111], v[112:113], 1.0
	v_fma_f64 v[112:113], v[112:113], v[122:123], v[112:113]
	v_mul_f64 v[122:123], v[120:121], v[112:113]
	v_fma_f64 v[110:111], -v[110:111], v[122:123], v[120:121]
	v_div_fmas_f64 v[110:111], v[110:111], v[112:113], v[122:123]
	v_div_fixup_f64 v[110:111], v[110:111], v[108:109], v[106:107]
	v_fma_f64 v[106:107], v[106:107], v[110:111], v[108:109]
	v_div_scale_f64 v[108:109], s[20:21], v[106:107], v[106:107], 1.0
	v_div_scale_f64 v[122:123], vcc, 1.0, v[106:107], 1.0
	v_rcp_f64_e32 v[112:113], v[108:109]
	v_fma_f64 v[120:121], -v[108:109], v[112:113], 1.0
	v_fma_f64 v[112:113], v[112:113], v[120:121], v[112:113]
	v_fma_f64 v[120:121], -v[108:109], v[112:113], 1.0
	v_fma_f64 v[112:113], v[112:113], v[120:121], v[112:113]
	v_mul_f64 v[120:121], v[122:123], v[112:113]
	v_fma_f64 v[108:109], -v[108:109], v[120:121], v[122:123]
	v_div_fmas_f64 v[108:109], v[108:109], v[112:113], v[120:121]
	v_div_fixup_f64 v[108:109], v[108:109], v[106:107], 1.0
	v_mul_f64 v[106:107], v[110:111], v[108:109]
	v_xor_b32_e32 v109, 0x80000000, v109
.LBB50_261:
	s_andn2_saveexec_b64 s[8:9], s[8:9]
	s_cbranch_execz .LBB50_263
; %bb.262:
	v_div_scale_f64 v[110:111], s[20:21], v[106:107], v[106:107], v[108:109]
	v_rcp_f64_e32 v[112:113], v[110:111]
	v_fma_f64 v[120:121], -v[110:111], v[112:113], 1.0
	v_fma_f64 v[112:113], v[112:113], v[120:121], v[112:113]
	v_div_scale_f64 v[120:121], vcc, v[108:109], v[106:107], v[108:109]
	v_fma_f64 v[122:123], -v[110:111], v[112:113], 1.0
	v_fma_f64 v[112:113], v[112:113], v[122:123], v[112:113]
	v_mul_f64 v[122:123], v[120:121], v[112:113]
	v_fma_f64 v[110:111], -v[110:111], v[122:123], v[120:121]
	v_div_fmas_f64 v[110:111], v[110:111], v[112:113], v[122:123]
	v_div_fixup_f64 v[110:111], v[110:111], v[106:107], v[108:109]
	v_fma_f64 v[106:107], v[108:109], v[110:111], v[106:107]
	v_div_scale_f64 v[108:109], s[20:21], v[106:107], v[106:107], 1.0
	v_div_scale_f64 v[122:123], vcc, 1.0, v[106:107], 1.0
	v_rcp_f64_e32 v[112:113], v[108:109]
	v_fma_f64 v[120:121], -v[108:109], v[112:113], 1.0
	v_fma_f64 v[112:113], v[112:113], v[120:121], v[112:113]
	v_fma_f64 v[120:121], -v[108:109], v[112:113], 1.0
	v_fma_f64 v[112:113], v[112:113], v[120:121], v[112:113]
	v_mul_f64 v[120:121], v[122:123], v[112:113]
	v_fma_f64 v[108:109], -v[108:109], v[120:121], v[122:123]
	v_div_fmas_f64 v[108:109], v[108:109], v[112:113], v[120:121]
	v_div_fixup_f64 v[106:107], v[108:109], v[106:107], 1.0
	v_mul_f64 v[108:109], v[110:111], -v[106:107]
.LBB50_263:
	s_or_b64 exec, exec, s[8:9]
.LBB50_264:
	s_or_b64 exec, exec, s[0:1]
	v_cmp_ne_u32_e32 vcc, v116, v114
	s_and_saveexec_b64 s[0:1], vcc
	s_xor_b64 s[0:1], exec, s[0:1]
	s_cbranch_execz .LBB50_270
; %bb.265:
	v_cmp_eq_u32_e32 vcc, 12, v116
	s_and_saveexec_b64 s[8:9], vcc
	s_cbranch_execz .LBB50_269
; %bb.266:
	v_cmp_ne_u32_e32 vcc, 12, v114
	s_xor_b64 s[20:21], s[18:19], -1
	s_and_b64 s[24:25], s[20:21], vcc
	s_and_saveexec_b64 s[20:21], s[24:25]
	s_cbranch_execz .LBB50_268
; %bb.267:
	v_ashrrev_i32_e32 v115, 31, v114
	v_lshlrev_b64 v[110:111], 2, v[114:115]
	v_add_co_u32_e32 v110, vcc, v126, v110
	v_addc_co_u32_e32 v111, vcc, v127, v111, vcc
	global_load_dword v0, v[110:111], off
	global_load_dword v112, v[126:127], off offset:48
	s_waitcnt vmcnt(1)
	global_store_dword v[126:127], v0, off offset:48
	s_waitcnt vmcnt(1)
	global_store_dword v[110:111], v112, off
.LBB50_268:
	s_or_b64 exec, exec, s[20:21]
	v_mov_b32_e32 v116, v114
	v_mov_b32_e32 v0, v114
.LBB50_269:
	s_or_b64 exec, exec, s[8:9]
.LBB50_270:
	s_andn2_saveexec_b64 s[0:1], s[0:1]
	s_cbranch_execz .LBB50_272
; %bb.271:
	v_mov_b32_e32 v116, 12
	ds_write2_b64 v1, v[46:47], v[48:49] offset0:26 offset1:27
	ds_write2_b64 v1, v[42:43], v[44:45] offset0:28 offset1:29
	;; [unrolled: 1-line block ×13, first 2 shown]
.LBB50_272:
	s_or_b64 exec, exec, s[0:1]
	v_cmp_lt_i32_e32 vcc, 12, v116
	s_waitcnt vmcnt(0) lgkmcnt(0)
	s_barrier
	s_and_saveexec_b64 s[0:1], vcc
	s_cbranch_execz .LBB50_274
; %bb.273:
	v_mul_f64 v[110:111], v[106:107], v[52:53]
	v_mul_f64 v[52:53], v[108:109], v[52:53]
	v_fma_f64 v[114:115], v[108:109], v[50:51], v[110:111]
	v_fma_f64 v[50:51], v[106:107], v[50:51], -v[52:53]
	ds_read2_b64 v[106:109], v1 offset0:26 offset1:27
	s_waitcnt lgkmcnt(0)
	v_mul_f64 v[52:53], v[108:109], v[114:115]
	v_fma_f64 v[52:53], v[106:107], v[50:51], -v[52:53]
	v_mul_f64 v[106:107], v[106:107], v[114:115]
	v_add_f64 v[46:47], v[46:47], -v[52:53]
	v_fma_f64 v[106:107], v[108:109], v[50:51], v[106:107]
	v_add_f64 v[48:49], v[48:49], -v[106:107]
	ds_read2_b64 v[106:109], v1 offset0:28 offset1:29
	s_waitcnt lgkmcnt(0)
	v_mul_f64 v[52:53], v[108:109], v[114:115]
	v_fma_f64 v[52:53], v[106:107], v[50:51], -v[52:53]
	v_mul_f64 v[106:107], v[106:107], v[114:115]
	v_add_f64 v[42:43], v[42:43], -v[52:53]
	v_fma_f64 v[106:107], v[108:109], v[50:51], v[106:107]
	v_add_f64 v[44:45], v[44:45], -v[106:107]
	ds_read2_b64 v[106:109], v1 offset0:30 offset1:31
	s_waitcnt lgkmcnt(0)
	v_mul_f64 v[52:53], v[108:109], v[114:115]
	v_fma_f64 v[52:53], v[106:107], v[50:51], -v[52:53]
	v_mul_f64 v[106:107], v[106:107], v[114:115]
	v_add_f64 v[38:39], v[38:39], -v[52:53]
	v_fma_f64 v[106:107], v[108:109], v[50:51], v[106:107]
	v_add_f64 v[40:41], v[40:41], -v[106:107]
	ds_read2_b64 v[106:109], v1 offset0:32 offset1:33
	s_waitcnt lgkmcnt(0)
	v_mul_f64 v[52:53], v[108:109], v[114:115]
	v_fma_f64 v[52:53], v[106:107], v[50:51], -v[52:53]
	v_mul_f64 v[106:107], v[106:107], v[114:115]
	v_add_f64 v[34:35], v[34:35], -v[52:53]
	v_fma_f64 v[106:107], v[108:109], v[50:51], v[106:107]
	v_add_f64 v[36:37], v[36:37], -v[106:107]
	ds_read2_b64 v[106:109], v1 offset0:34 offset1:35
	s_waitcnt lgkmcnt(0)
	v_mul_f64 v[52:53], v[108:109], v[114:115]
	v_fma_f64 v[52:53], v[106:107], v[50:51], -v[52:53]
	v_mul_f64 v[106:107], v[106:107], v[114:115]
	v_add_f64 v[30:31], v[30:31], -v[52:53]
	v_fma_f64 v[106:107], v[108:109], v[50:51], v[106:107]
	v_add_f64 v[32:33], v[32:33], -v[106:107]
	ds_read2_b64 v[106:109], v1 offset0:36 offset1:37
	s_waitcnt lgkmcnt(0)
	v_mul_f64 v[52:53], v[108:109], v[114:115]
	v_fma_f64 v[52:53], v[106:107], v[50:51], -v[52:53]
	v_mul_f64 v[106:107], v[106:107], v[114:115]
	v_add_f64 v[26:27], v[26:27], -v[52:53]
	v_fma_f64 v[106:107], v[108:109], v[50:51], v[106:107]
	v_add_f64 v[28:29], v[28:29], -v[106:107]
	ds_read2_b64 v[106:109], v1 offset0:38 offset1:39
	s_waitcnt lgkmcnt(0)
	v_mul_f64 v[52:53], v[108:109], v[114:115]
	v_fma_f64 v[52:53], v[106:107], v[50:51], -v[52:53]
	v_mul_f64 v[106:107], v[106:107], v[114:115]
	v_add_f64 v[22:23], v[22:23], -v[52:53]
	v_fma_f64 v[106:107], v[108:109], v[50:51], v[106:107]
	v_add_f64 v[24:25], v[24:25], -v[106:107]
	ds_read2_b64 v[106:109], v1 offset0:40 offset1:41
	s_waitcnt lgkmcnt(0)
	v_mul_f64 v[52:53], v[108:109], v[114:115]
	v_fma_f64 v[52:53], v[106:107], v[50:51], -v[52:53]
	v_mul_f64 v[106:107], v[106:107], v[114:115]
	v_add_f64 v[18:19], v[18:19], -v[52:53]
	v_fma_f64 v[106:107], v[108:109], v[50:51], v[106:107]
	v_add_f64 v[20:21], v[20:21], -v[106:107]
	ds_read2_b64 v[106:109], v1 offset0:42 offset1:43
	s_waitcnt lgkmcnt(0)
	v_mul_f64 v[52:53], v[108:109], v[114:115]
	v_fma_f64 v[52:53], v[106:107], v[50:51], -v[52:53]
	v_mul_f64 v[106:107], v[106:107], v[114:115]
	v_add_f64 v[14:15], v[14:15], -v[52:53]
	v_fma_f64 v[106:107], v[108:109], v[50:51], v[106:107]
	v_add_f64 v[16:17], v[16:17], -v[106:107]
	ds_read2_b64 v[106:109], v1 offset0:44 offset1:45
	s_waitcnt lgkmcnt(0)
	v_mul_f64 v[52:53], v[108:109], v[114:115]
	v_fma_f64 v[52:53], v[106:107], v[50:51], -v[52:53]
	v_mul_f64 v[106:107], v[106:107], v[114:115]
	v_add_f64 v[10:11], v[10:11], -v[52:53]
	v_fma_f64 v[106:107], v[108:109], v[50:51], v[106:107]
	v_add_f64 v[12:13], v[12:13], -v[106:107]
	ds_read2_b64 v[106:109], v1 offset0:46 offset1:47
	s_waitcnt lgkmcnt(0)
	v_mul_f64 v[52:53], v[108:109], v[114:115]
	v_fma_f64 v[52:53], v[106:107], v[50:51], -v[52:53]
	v_mul_f64 v[106:107], v[106:107], v[114:115]
	v_add_f64 v[6:7], v[6:7], -v[52:53]
	v_fma_f64 v[106:107], v[108:109], v[50:51], v[106:107]
	v_add_f64 v[8:9], v[8:9], -v[106:107]
	ds_read2_b64 v[106:109], v1 offset0:48 offset1:49
	s_waitcnt lgkmcnt(0)
	v_mul_f64 v[52:53], v[108:109], v[114:115]
	v_fma_f64 v[52:53], v[106:107], v[50:51], -v[52:53]
	v_mul_f64 v[106:107], v[106:107], v[114:115]
	v_add_f64 v[2:3], v[2:3], -v[52:53]
	v_fma_f64 v[106:107], v[108:109], v[50:51], v[106:107]
	v_add_f64 v[4:5], v[4:5], -v[106:107]
	ds_read2_b64 v[106:109], v1 offset0:50 offset1:51
	s_waitcnt lgkmcnt(0)
	v_mul_f64 v[52:53], v[108:109], v[114:115]
	v_fma_f64 v[52:53], v[106:107], v[50:51], -v[52:53]
	v_mul_f64 v[106:107], v[106:107], v[114:115]
	v_add_f64 v[102:103], v[102:103], -v[52:53]
	v_fma_f64 v[106:107], v[108:109], v[50:51], v[106:107]
	v_mov_b32_e32 v52, v114
	v_mov_b32_e32 v53, v115
	v_add_f64 v[104:105], v[104:105], -v[106:107]
.LBB50_274:
	s_or_b64 exec, exec, s[0:1]
	v_lshl_add_u32 v106, v116, 4, v1
	s_barrier
	ds_write2_b64 v106, v[46:47], v[48:49] offset1:1
	s_waitcnt lgkmcnt(0)
	s_barrier
	ds_read2_b64 v[106:109], v1 offset0:26 offset1:27
	s_cmp_lt_i32 s22, 15
	v_mov_b32_e32 v114, 13
	s_cbranch_scc1 .LBB50_277
; %bb.275:
	v_add_u32_e32 v115, 0xe0, v1
	s_mov_b32 s0, 14
	v_mov_b32_e32 v114, 13
.LBB50_276:                             ; =>This Inner Loop Header: Depth=1
	s_waitcnt lgkmcnt(0)
	v_cmp_gt_f64_e32 vcc, 0, v[106:107]
	v_xor_b32_e32 v110, 0x80000000, v107
	ds_read2_b64 v[120:123], v115 offset1:1
	v_xor_b32_e32 v112, 0x80000000, v109
	v_add_u32_e32 v115, 16, v115
	s_waitcnt lgkmcnt(0)
	v_xor_b32_e32 v124, 0x80000000, v123
	v_cndmask_b32_e32 v111, v107, v110, vcc
	v_cmp_gt_f64_e32 vcc, 0, v[108:109]
	v_mov_b32_e32 v110, v106
	v_cndmask_b32_e32 v113, v109, v112, vcc
	v_cmp_gt_f64_e32 vcc, 0, v[120:121]
	v_mov_b32_e32 v112, v108
	v_add_f64 v[110:111], v[110:111], v[112:113]
	v_xor_b32_e32 v112, 0x80000000, v121
	v_cndmask_b32_e32 v113, v121, v112, vcc
	v_cmp_gt_f64_e32 vcc, 0, v[122:123]
	v_mov_b32_e32 v112, v120
	v_cndmask_b32_e32 v125, v123, v124, vcc
	v_mov_b32_e32 v124, v122
	v_add_f64 v[112:113], v[112:113], v[124:125]
	v_cmp_lt_f64_e32 vcc, v[110:111], v[112:113]
	v_mov_b32_e32 v110, s0
	s_add_i32 s0, s0, 1
	s_cmp_lg_u32 s22, s0
	v_cndmask_b32_e32 v107, v107, v121, vcc
	v_cndmask_b32_e32 v106, v106, v120, vcc
	;; [unrolled: 1-line block ×5, first 2 shown]
	s_cbranch_scc1 .LBB50_276
.LBB50_277:
	s_waitcnt lgkmcnt(0)
	v_cmp_eq_f64_e32 vcc, 0, v[106:107]
	v_cmp_eq_f64_e64 s[0:1], 0, v[108:109]
	s_and_b64 s[0:1], vcc, s[0:1]
	s_and_saveexec_b64 s[8:9], s[0:1]
	s_xor_b64 s[0:1], exec, s[8:9]
; %bb.278:
	v_cmp_ne_u32_e32 vcc, 0, v119
	v_cndmask_b32_e32 v119, 14, v119, vcc
; %bb.279:
	s_andn2_saveexec_b64 s[0:1], s[0:1]
	s_cbranch_execz .LBB50_285
; %bb.280:
	v_cmp_ngt_f64_e64 s[8:9], |v[106:107]|, |v[108:109]|
	s_and_saveexec_b64 s[20:21], s[8:9]
	s_xor_b64 s[8:9], exec, s[20:21]
	s_cbranch_execz .LBB50_282
; %bb.281:
	v_div_scale_f64 v[110:111], s[20:21], v[108:109], v[108:109], v[106:107]
	v_rcp_f64_e32 v[112:113], v[110:111]
	v_fma_f64 v[120:121], -v[110:111], v[112:113], 1.0
	v_fma_f64 v[112:113], v[112:113], v[120:121], v[112:113]
	v_div_scale_f64 v[120:121], vcc, v[106:107], v[108:109], v[106:107]
	v_fma_f64 v[122:123], -v[110:111], v[112:113], 1.0
	v_fma_f64 v[112:113], v[112:113], v[122:123], v[112:113]
	v_mul_f64 v[122:123], v[120:121], v[112:113]
	v_fma_f64 v[110:111], -v[110:111], v[122:123], v[120:121]
	v_div_fmas_f64 v[110:111], v[110:111], v[112:113], v[122:123]
	v_div_fixup_f64 v[110:111], v[110:111], v[108:109], v[106:107]
	v_fma_f64 v[106:107], v[106:107], v[110:111], v[108:109]
	v_div_scale_f64 v[108:109], s[20:21], v[106:107], v[106:107], 1.0
	v_div_scale_f64 v[122:123], vcc, 1.0, v[106:107], 1.0
	v_rcp_f64_e32 v[112:113], v[108:109]
	v_fma_f64 v[120:121], -v[108:109], v[112:113], 1.0
	v_fma_f64 v[112:113], v[112:113], v[120:121], v[112:113]
	v_fma_f64 v[120:121], -v[108:109], v[112:113], 1.0
	v_fma_f64 v[112:113], v[112:113], v[120:121], v[112:113]
	v_mul_f64 v[120:121], v[122:123], v[112:113]
	v_fma_f64 v[108:109], -v[108:109], v[120:121], v[122:123]
	v_div_fmas_f64 v[108:109], v[108:109], v[112:113], v[120:121]
	v_div_fixup_f64 v[108:109], v[108:109], v[106:107], 1.0
	v_mul_f64 v[106:107], v[110:111], v[108:109]
	v_xor_b32_e32 v109, 0x80000000, v109
.LBB50_282:
	s_andn2_saveexec_b64 s[8:9], s[8:9]
	s_cbranch_execz .LBB50_284
; %bb.283:
	v_div_scale_f64 v[110:111], s[20:21], v[106:107], v[106:107], v[108:109]
	v_rcp_f64_e32 v[112:113], v[110:111]
	v_fma_f64 v[120:121], -v[110:111], v[112:113], 1.0
	v_fma_f64 v[112:113], v[112:113], v[120:121], v[112:113]
	v_div_scale_f64 v[120:121], vcc, v[108:109], v[106:107], v[108:109]
	v_fma_f64 v[122:123], -v[110:111], v[112:113], 1.0
	v_fma_f64 v[112:113], v[112:113], v[122:123], v[112:113]
	v_mul_f64 v[122:123], v[120:121], v[112:113]
	v_fma_f64 v[110:111], -v[110:111], v[122:123], v[120:121]
	v_div_fmas_f64 v[110:111], v[110:111], v[112:113], v[122:123]
	v_div_fixup_f64 v[110:111], v[110:111], v[106:107], v[108:109]
	v_fma_f64 v[106:107], v[108:109], v[110:111], v[106:107]
	v_div_scale_f64 v[108:109], s[20:21], v[106:107], v[106:107], 1.0
	v_div_scale_f64 v[122:123], vcc, 1.0, v[106:107], 1.0
	v_rcp_f64_e32 v[112:113], v[108:109]
	v_fma_f64 v[120:121], -v[108:109], v[112:113], 1.0
	v_fma_f64 v[112:113], v[112:113], v[120:121], v[112:113]
	v_fma_f64 v[120:121], -v[108:109], v[112:113], 1.0
	v_fma_f64 v[112:113], v[112:113], v[120:121], v[112:113]
	v_mul_f64 v[120:121], v[122:123], v[112:113]
	v_fma_f64 v[108:109], -v[108:109], v[120:121], v[122:123]
	v_div_fmas_f64 v[108:109], v[108:109], v[112:113], v[120:121]
	v_div_fixup_f64 v[106:107], v[108:109], v[106:107], 1.0
	v_mul_f64 v[108:109], v[110:111], -v[106:107]
.LBB50_284:
	s_or_b64 exec, exec, s[8:9]
.LBB50_285:
	s_or_b64 exec, exec, s[0:1]
	v_cmp_ne_u32_e32 vcc, v116, v114
	s_and_saveexec_b64 s[0:1], vcc
	s_xor_b64 s[0:1], exec, s[0:1]
	s_cbranch_execz .LBB50_291
; %bb.286:
	v_cmp_eq_u32_e32 vcc, 13, v116
	s_and_saveexec_b64 s[8:9], vcc
	s_cbranch_execz .LBB50_290
; %bb.287:
	v_cmp_ne_u32_e32 vcc, 13, v114
	s_xor_b64 s[20:21], s[18:19], -1
	s_and_b64 s[24:25], s[20:21], vcc
	s_and_saveexec_b64 s[20:21], s[24:25]
	s_cbranch_execz .LBB50_289
; %bb.288:
	v_ashrrev_i32_e32 v115, 31, v114
	v_lshlrev_b64 v[110:111], 2, v[114:115]
	v_add_co_u32_e32 v110, vcc, v126, v110
	v_addc_co_u32_e32 v111, vcc, v127, v111, vcc
	global_load_dword v0, v[110:111], off
	global_load_dword v112, v[126:127], off offset:52
	s_waitcnt vmcnt(1)
	global_store_dword v[126:127], v0, off offset:52
	s_waitcnt vmcnt(1)
	global_store_dword v[110:111], v112, off
.LBB50_289:
	s_or_b64 exec, exec, s[20:21]
	v_mov_b32_e32 v116, v114
	v_mov_b32_e32 v0, v114
.LBB50_290:
	s_or_b64 exec, exec, s[8:9]
.LBB50_291:
	s_andn2_saveexec_b64 s[0:1], s[0:1]
	s_cbranch_execz .LBB50_293
; %bb.292:
	v_mov_b32_e32 v116, 13
	ds_write2_b64 v1, v[42:43], v[44:45] offset0:28 offset1:29
	ds_write2_b64 v1, v[38:39], v[40:41] offset0:30 offset1:31
	;; [unrolled: 1-line block ×12, first 2 shown]
.LBB50_293:
	s_or_b64 exec, exec, s[0:1]
	v_cmp_lt_i32_e32 vcc, 13, v116
	s_waitcnt vmcnt(0) lgkmcnt(0)
	s_barrier
	s_and_saveexec_b64 s[0:1], vcc
	s_cbranch_execz .LBB50_295
; %bb.294:
	v_mul_f64 v[110:111], v[106:107], v[48:49]
	v_mul_f64 v[48:49], v[108:109], v[48:49]
	v_fma_f64 v[114:115], v[108:109], v[46:47], v[110:111]
	v_fma_f64 v[46:47], v[106:107], v[46:47], -v[48:49]
	ds_read2_b64 v[106:109], v1 offset0:28 offset1:29
	s_waitcnt lgkmcnt(0)
	v_mul_f64 v[48:49], v[108:109], v[114:115]
	v_fma_f64 v[48:49], v[106:107], v[46:47], -v[48:49]
	v_mul_f64 v[106:107], v[106:107], v[114:115]
	v_add_f64 v[42:43], v[42:43], -v[48:49]
	v_fma_f64 v[106:107], v[108:109], v[46:47], v[106:107]
	v_add_f64 v[44:45], v[44:45], -v[106:107]
	ds_read2_b64 v[106:109], v1 offset0:30 offset1:31
	s_waitcnt lgkmcnt(0)
	v_mul_f64 v[48:49], v[108:109], v[114:115]
	v_fma_f64 v[48:49], v[106:107], v[46:47], -v[48:49]
	v_mul_f64 v[106:107], v[106:107], v[114:115]
	v_add_f64 v[38:39], v[38:39], -v[48:49]
	v_fma_f64 v[106:107], v[108:109], v[46:47], v[106:107]
	v_add_f64 v[40:41], v[40:41], -v[106:107]
	;; [unrolled: 8-line block ×11, first 2 shown]
	ds_read2_b64 v[106:109], v1 offset0:50 offset1:51
	s_waitcnt lgkmcnt(0)
	v_mul_f64 v[48:49], v[108:109], v[114:115]
	v_fma_f64 v[48:49], v[106:107], v[46:47], -v[48:49]
	v_mul_f64 v[106:107], v[106:107], v[114:115]
	v_add_f64 v[102:103], v[102:103], -v[48:49]
	v_fma_f64 v[106:107], v[108:109], v[46:47], v[106:107]
	v_mov_b32_e32 v48, v114
	v_mov_b32_e32 v49, v115
	v_add_f64 v[104:105], v[104:105], -v[106:107]
.LBB50_295:
	s_or_b64 exec, exec, s[0:1]
	v_lshl_add_u32 v106, v116, 4, v1
	s_barrier
	ds_write2_b64 v106, v[42:43], v[44:45] offset1:1
	s_waitcnt lgkmcnt(0)
	s_barrier
	ds_read2_b64 v[106:109], v1 offset0:28 offset1:29
	s_cmp_lt_i32 s22, 16
	v_mov_b32_e32 v114, 14
	s_cbranch_scc1 .LBB50_298
; %bb.296:
	v_add_u32_e32 v115, 0xf0, v1
	s_mov_b32 s0, 15
	v_mov_b32_e32 v114, 14
.LBB50_297:                             ; =>This Inner Loop Header: Depth=1
	s_waitcnt lgkmcnt(0)
	v_cmp_gt_f64_e32 vcc, 0, v[106:107]
	v_xor_b32_e32 v110, 0x80000000, v107
	ds_read2_b64 v[120:123], v115 offset1:1
	v_xor_b32_e32 v112, 0x80000000, v109
	v_add_u32_e32 v115, 16, v115
	s_waitcnt lgkmcnt(0)
	v_xor_b32_e32 v124, 0x80000000, v123
	v_cndmask_b32_e32 v111, v107, v110, vcc
	v_cmp_gt_f64_e32 vcc, 0, v[108:109]
	v_mov_b32_e32 v110, v106
	v_cndmask_b32_e32 v113, v109, v112, vcc
	v_cmp_gt_f64_e32 vcc, 0, v[120:121]
	v_mov_b32_e32 v112, v108
	v_add_f64 v[110:111], v[110:111], v[112:113]
	v_xor_b32_e32 v112, 0x80000000, v121
	v_cndmask_b32_e32 v113, v121, v112, vcc
	v_cmp_gt_f64_e32 vcc, 0, v[122:123]
	v_mov_b32_e32 v112, v120
	v_cndmask_b32_e32 v125, v123, v124, vcc
	v_mov_b32_e32 v124, v122
	v_add_f64 v[112:113], v[112:113], v[124:125]
	v_cmp_lt_f64_e32 vcc, v[110:111], v[112:113]
	v_mov_b32_e32 v110, s0
	s_add_i32 s0, s0, 1
	s_cmp_lg_u32 s22, s0
	v_cndmask_b32_e32 v107, v107, v121, vcc
	v_cndmask_b32_e32 v106, v106, v120, vcc
	;; [unrolled: 1-line block ×5, first 2 shown]
	s_cbranch_scc1 .LBB50_297
.LBB50_298:
	s_waitcnt lgkmcnt(0)
	v_cmp_eq_f64_e32 vcc, 0, v[106:107]
	v_cmp_eq_f64_e64 s[0:1], 0, v[108:109]
	s_and_b64 s[0:1], vcc, s[0:1]
	s_and_saveexec_b64 s[8:9], s[0:1]
	s_xor_b64 s[0:1], exec, s[8:9]
; %bb.299:
	v_cmp_ne_u32_e32 vcc, 0, v119
	v_cndmask_b32_e32 v119, 15, v119, vcc
; %bb.300:
	s_andn2_saveexec_b64 s[0:1], s[0:1]
	s_cbranch_execz .LBB50_306
; %bb.301:
	v_cmp_ngt_f64_e64 s[8:9], |v[106:107]|, |v[108:109]|
	s_and_saveexec_b64 s[20:21], s[8:9]
	s_xor_b64 s[8:9], exec, s[20:21]
	s_cbranch_execz .LBB50_303
; %bb.302:
	v_div_scale_f64 v[110:111], s[20:21], v[108:109], v[108:109], v[106:107]
	v_rcp_f64_e32 v[112:113], v[110:111]
	v_fma_f64 v[120:121], -v[110:111], v[112:113], 1.0
	v_fma_f64 v[112:113], v[112:113], v[120:121], v[112:113]
	v_div_scale_f64 v[120:121], vcc, v[106:107], v[108:109], v[106:107]
	v_fma_f64 v[122:123], -v[110:111], v[112:113], 1.0
	v_fma_f64 v[112:113], v[112:113], v[122:123], v[112:113]
	v_mul_f64 v[122:123], v[120:121], v[112:113]
	v_fma_f64 v[110:111], -v[110:111], v[122:123], v[120:121]
	v_div_fmas_f64 v[110:111], v[110:111], v[112:113], v[122:123]
	v_div_fixup_f64 v[110:111], v[110:111], v[108:109], v[106:107]
	v_fma_f64 v[106:107], v[106:107], v[110:111], v[108:109]
	v_div_scale_f64 v[108:109], s[20:21], v[106:107], v[106:107], 1.0
	v_div_scale_f64 v[122:123], vcc, 1.0, v[106:107], 1.0
	v_rcp_f64_e32 v[112:113], v[108:109]
	v_fma_f64 v[120:121], -v[108:109], v[112:113], 1.0
	v_fma_f64 v[112:113], v[112:113], v[120:121], v[112:113]
	v_fma_f64 v[120:121], -v[108:109], v[112:113], 1.0
	v_fma_f64 v[112:113], v[112:113], v[120:121], v[112:113]
	v_mul_f64 v[120:121], v[122:123], v[112:113]
	v_fma_f64 v[108:109], -v[108:109], v[120:121], v[122:123]
	v_div_fmas_f64 v[108:109], v[108:109], v[112:113], v[120:121]
	v_div_fixup_f64 v[108:109], v[108:109], v[106:107], 1.0
	v_mul_f64 v[106:107], v[110:111], v[108:109]
	v_xor_b32_e32 v109, 0x80000000, v109
.LBB50_303:
	s_andn2_saveexec_b64 s[8:9], s[8:9]
	s_cbranch_execz .LBB50_305
; %bb.304:
	v_div_scale_f64 v[110:111], s[20:21], v[106:107], v[106:107], v[108:109]
	v_rcp_f64_e32 v[112:113], v[110:111]
	v_fma_f64 v[120:121], -v[110:111], v[112:113], 1.0
	v_fma_f64 v[112:113], v[112:113], v[120:121], v[112:113]
	v_div_scale_f64 v[120:121], vcc, v[108:109], v[106:107], v[108:109]
	v_fma_f64 v[122:123], -v[110:111], v[112:113], 1.0
	v_fma_f64 v[112:113], v[112:113], v[122:123], v[112:113]
	v_mul_f64 v[122:123], v[120:121], v[112:113]
	v_fma_f64 v[110:111], -v[110:111], v[122:123], v[120:121]
	v_div_fmas_f64 v[110:111], v[110:111], v[112:113], v[122:123]
	v_div_fixup_f64 v[110:111], v[110:111], v[106:107], v[108:109]
	v_fma_f64 v[106:107], v[108:109], v[110:111], v[106:107]
	v_div_scale_f64 v[108:109], s[20:21], v[106:107], v[106:107], 1.0
	v_div_scale_f64 v[122:123], vcc, 1.0, v[106:107], 1.0
	v_rcp_f64_e32 v[112:113], v[108:109]
	v_fma_f64 v[120:121], -v[108:109], v[112:113], 1.0
	v_fma_f64 v[112:113], v[112:113], v[120:121], v[112:113]
	v_fma_f64 v[120:121], -v[108:109], v[112:113], 1.0
	v_fma_f64 v[112:113], v[112:113], v[120:121], v[112:113]
	v_mul_f64 v[120:121], v[122:123], v[112:113]
	v_fma_f64 v[108:109], -v[108:109], v[120:121], v[122:123]
	v_div_fmas_f64 v[108:109], v[108:109], v[112:113], v[120:121]
	v_div_fixup_f64 v[106:107], v[108:109], v[106:107], 1.0
	v_mul_f64 v[108:109], v[110:111], -v[106:107]
.LBB50_305:
	s_or_b64 exec, exec, s[8:9]
.LBB50_306:
	s_or_b64 exec, exec, s[0:1]
	v_cmp_ne_u32_e32 vcc, v116, v114
	s_and_saveexec_b64 s[0:1], vcc
	s_xor_b64 s[0:1], exec, s[0:1]
	s_cbranch_execz .LBB50_312
; %bb.307:
	v_cmp_eq_u32_e32 vcc, 14, v116
	s_and_saveexec_b64 s[8:9], vcc
	s_cbranch_execz .LBB50_311
; %bb.308:
	v_cmp_ne_u32_e32 vcc, 14, v114
	s_xor_b64 s[20:21], s[18:19], -1
	s_and_b64 s[24:25], s[20:21], vcc
	s_and_saveexec_b64 s[20:21], s[24:25]
	s_cbranch_execz .LBB50_310
; %bb.309:
	v_ashrrev_i32_e32 v115, 31, v114
	v_lshlrev_b64 v[110:111], 2, v[114:115]
	v_add_co_u32_e32 v110, vcc, v126, v110
	v_addc_co_u32_e32 v111, vcc, v127, v111, vcc
	global_load_dword v0, v[110:111], off
	global_load_dword v112, v[126:127], off offset:56
	s_waitcnt vmcnt(1)
	global_store_dword v[126:127], v0, off offset:56
	s_waitcnt vmcnt(1)
	global_store_dword v[110:111], v112, off
.LBB50_310:
	s_or_b64 exec, exec, s[20:21]
	v_mov_b32_e32 v116, v114
	v_mov_b32_e32 v0, v114
.LBB50_311:
	s_or_b64 exec, exec, s[8:9]
.LBB50_312:
	s_andn2_saveexec_b64 s[0:1], s[0:1]
	s_cbranch_execz .LBB50_314
; %bb.313:
	v_mov_b32_e32 v116, 14
	ds_write2_b64 v1, v[38:39], v[40:41] offset0:30 offset1:31
	ds_write2_b64 v1, v[34:35], v[36:37] offset0:32 offset1:33
	;; [unrolled: 1-line block ×11, first 2 shown]
.LBB50_314:
	s_or_b64 exec, exec, s[0:1]
	v_cmp_lt_i32_e32 vcc, 14, v116
	s_waitcnt vmcnt(0) lgkmcnt(0)
	s_barrier
	s_and_saveexec_b64 s[0:1], vcc
	s_cbranch_execz .LBB50_316
; %bb.315:
	v_mul_f64 v[110:111], v[106:107], v[44:45]
	v_mul_f64 v[44:45], v[108:109], v[44:45]
	v_fma_f64 v[114:115], v[108:109], v[42:43], v[110:111]
	v_fma_f64 v[42:43], v[106:107], v[42:43], -v[44:45]
	ds_read2_b64 v[106:109], v1 offset0:30 offset1:31
	s_waitcnt lgkmcnt(0)
	v_mul_f64 v[44:45], v[108:109], v[114:115]
	v_fma_f64 v[44:45], v[106:107], v[42:43], -v[44:45]
	v_mul_f64 v[106:107], v[106:107], v[114:115]
	v_add_f64 v[38:39], v[38:39], -v[44:45]
	v_fma_f64 v[106:107], v[108:109], v[42:43], v[106:107]
	v_add_f64 v[40:41], v[40:41], -v[106:107]
	ds_read2_b64 v[106:109], v1 offset0:32 offset1:33
	s_waitcnt lgkmcnt(0)
	v_mul_f64 v[44:45], v[108:109], v[114:115]
	v_fma_f64 v[44:45], v[106:107], v[42:43], -v[44:45]
	v_mul_f64 v[106:107], v[106:107], v[114:115]
	v_add_f64 v[34:35], v[34:35], -v[44:45]
	v_fma_f64 v[106:107], v[108:109], v[42:43], v[106:107]
	v_add_f64 v[36:37], v[36:37], -v[106:107]
	;; [unrolled: 8-line block ×10, first 2 shown]
	ds_read2_b64 v[106:109], v1 offset0:50 offset1:51
	s_waitcnt lgkmcnt(0)
	v_mul_f64 v[44:45], v[108:109], v[114:115]
	v_fma_f64 v[44:45], v[106:107], v[42:43], -v[44:45]
	v_mul_f64 v[106:107], v[106:107], v[114:115]
	v_add_f64 v[102:103], v[102:103], -v[44:45]
	v_fma_f64 v[106:107], v[108:109], v[42:43], v[106:107]
	v_mov_b32_e32 v44, v114
	v_mov_b32_e32 v45, v115
	v_add_f64 v[104:105], v[104:105], -v[106:107]
.LBB50_316:
	s_or_b64 exec, exec, s[0:1]
	v_lshl_add_u32 v106, v116, 4, v1
	s_barrier
	ds_write2_b64 v106, v[38:39], v[40:41] offset1:1
	s_waitcnt lgkmcnt(0)
	s_barrier
	ds_read2_b64 v[106:109], v1 offset0:30 offset1:31
	s_cmp_lt_i32 s22, 17
	v_mov_b32_e32 v114, 15
	s_cbranch_scc1 .LBB50_319
; %bb.317:
	v_add_u32_e32 v115, 0x100, v1
	s_mov_b32 s0, 16
	v_mov_b32_e32 v114, 15
.LBB50_318:                             ; =>This Inner Loop Header: Depth=1
	s_waitcnt lgkmcnt(0)
	v_cmp_gt_f64_e32 vcc, 0, v[106:107]
	v_xor_b32_e32 v110, 0x80000000, v107
	ds_read2_b64 v[120:123], v115 offset1:1
	v_xor_b32_e32 v112, 0x80000000, v109
	v_add_u32_e32 v115, 16, v115
	s_waitcnt lgkmcnt(0)
	v_xor_b32_e32 v124, 0x80000000, v123
	v_cndmask_b32_e32 v111, v107, v110, vcc
	v_cmp_gt_f64_e32 vcc, 0, v[108:109]
	v_mov_b32_e32 v110, v106
	v_cndmask_b32_e32 v113, v109, v112, vcc
	v_cmp_gt_f64_e32 vcc, 0, v[120:121]
	v_mov_b32_e32 v112, v108
	v_add_f64 v[110:111], v[110:111], v[112:113]
	v_xor_b32_e32 v112, 0x80000000, v121
	v_cndmask_b32_e32 v113, v121, v112, vcc
	v_cmp_gt_f64_e32 vcc, 0, v[122:123]
	v_mov_b32_e32 v112, v120
	v_cndmask_b32_e32 v125, v123, v124, vcc
	v_mov_b32_e32 v124, v122
	v_add_f64 v[112:113], v[112:113], v[124:125]
	v_cmp_lt_f64_e32 vcc, v[110:111], v[112:113]
	v_mov_b32_e32 v110, s0
	s_add_i32 s0, s0, 1
	s_cmp_lg_u32 s22, s0
	v_cndmask_b32_e32 v107, v107, v121, vcc
	v_cndmask_b32_e32 v106, v106, v120, vcc
	v_cndmask_b32_e32 v109, v109, v123, vcc
	v_cndmask_b32_e32 v108, v108, v122, vcc
	v_cndmask_b32_e32 v114, v114, v110, vcc
	s_cbranch_scc1 .LBB50_318
.LBB50_319:
	s_waitcnt lgkmcnt(0)
	v_cmp_eq_f64_e32 vcc, 0, v[106:107]
	v_cmp_eq_f64_e64 s[0:1], 0, v[108:109]
	s_and_b64 s[0:1], vcc, s[0:1]
	s_and_saveexec_b64 s[8:9], s[0:1]
	s_xor_b64 s[0:1], exec, s[8:9]
; %bb.320:
	v_cmp_ne_u32_e32 vcc, 0, v119
	v_cndmask_b32_e32 v119, 16, v119, vcc
; %bb.321:
	s_andn2_saveexec_b64 s[0:1], s[0:1]
	s_cbranch_execz .LBB50_327
; %bb.322:
	v_cmp_ngt_f64_e64 s[8:9], |v[106:107]|, |v[108:109]|
	s_and_saveexec_b64 s[20:21], s[8:9]
	s_xor_b64 s[8:9], exec, s[20:21]
	s_cbranch_execz .LBB50_324
; %bb.323:
	v_div_scale_f64 v[110:111], s[20:21], v[108:109], v[108:109], v[106:107]
	v_rcp_f64_e32 v[112:113], v[110:111]
	v_fma_f64 v[120:121], -v[110:111], v[112:113], 1.0
	v_fma_f64 v[112:113], v[112:113], v[120:121], v[112:113]
	v_div_scale_f64 v[120:121], vcc, v[106:107], v[108:109], v[106:107]
	v_fma_f64 v[122:123], -v[110:111], v[112:113], 1.0
	v_fma_f64 v[112:113], v[112:113], v[122:123], v[112:113]
	v_mul_f64 v[122:123], v[120:121], v[112:113]
	v_fma_f64 v[110:111], -v[110:111], v[122:123], v[120:121]
	v_div_fmas_f64 v[110:111], v[110:111], v[112:113], v[122:123]
	v_div_fixup_f64 v[110:111], v[110:111], v[108:109], v[106:107]
	v_fma_f64 v[106:107], v[106:107], v[110:111], v[108:109]
	v_div_scale_f64 v[108:109], s[20:21], v[106:107], v[106:107], 1.0
	v_div_scale_f64 v[122:123], vcc, 1.0, v[106:107], 1.0
	v_rcp_f64_e32 v[112:113], v[108:109]
	v_fma_f64 v[120:121], -v[108:109], v[112:113], 1.0
	v_fma_f64 v[112:113], v[112:113], v[120:121], v[112:113]
	v_fma_f64 v[120:121], -v[108:109], v[112:113], 1.0
	v_fma_f64 v[112:113], v[112:113], v[120:121], v[112:113]
	v_mul_f64 v[120:121], v[122:123], v[112:113]
	v_fma_f64 v[108:109], -v[108:109], v[120:121], v[122:123]
	v_div_fmas_f64 v[108:109], v[108:109], v[112:113], v[120:121]
	v_div_fixup_f64 v[108:109], v[108:109], v[106:107], 1.0
	v_mul_f64 v[106:107], v[110:111], v[108:109]
	v_xor_b32_e32 v109, 0x80000000, v109
.LBB50_324:
	s_andn2_saveexec_b64 s[8:9], s[8:9]
	s_cbranch_execz .LBB50_326
; %bb.325:
	v_div_scale_f64 v[110:111], s[20:21], v[106:107], v[106:107], v[108:109]
	v_rcp_f64_e32 v[112:113], v[110:111]
	v_fma_f64 v[120:121], -v[110:111], v[112:113], 1.0
	v_fma_f64 v[112:113], v[112:113], v[120:121], v[112:113]
	v_div_scale_f64 v[120:121], vcc, v[108:109], v[106:107], v[108:109]
	v_fma_f64 v[122:123], -v[110:111], v[112:113], 1.0
	v_fma_f64 v[112:113], v[112:113], v[122:123], v[112:113]
	v_mul_f64 v[122:123], v[120:121], v[112:113]
	v_fma_f64 v[110:111], -v[110:111], v[122:123], v[120:121]
	v_div_fmas_f64 v[110:111], v[110:111], v[112:113], v[122:123]
	v_div_fixup_f64 v[110:111], v[110:111], v[106:107], v[108:109]
	v_fma_f64 v[106:107], v[108:109], v[110:111], v[106:107]
	v_div_scale_f64 v[108:109], s[20:21], v[106:107], v[106:107], 1.0
	v_div_scale_f64 v[122:123], vcc, 1.0, v[106:107], 1.0
	v_rcp_f64_e32 v[112:113], v[108:109]
	v_fma_f64 v[120:121], -v[108:109], v[112:113], 1.0
	v_fma_f64 v[112:113], v[112:113], v[120:121], v[112:113]
	v_fma_f64 v[120:121], -v[108:109], v[112:113], 1.0
	v_fma_f64 v[112:113], v[112:113], v[120:121], v[112:113]
	v_mul_f64 v[120:121], v[122:123], v[112:113]
	v_fma_f64 v[108:109], -v[108:109], v[120:121], v[122:123]
	v_div_fmas_f64 v[108:109], v[108:109], v[112:113], v[120:121]
	v_div_fixup_f64 v[106:107], v[108:109], v[106:107], 1.0
	v_mul_f64 v[108:109], v[110:111], -v[106:107]
.LBB50_326:
	s_or_b64 exec, exec, s[8:9]
.LBB50_327:
	s_or_b64 exec, exec, s[0:1]
	v_cmp_ne_u32_e32 vcc, v116, v114
	s_and_saveexec_b64 s[0:1], vcc
	s_xor_b64 s[0:1], exec, s[0:1]
	s_cbranch_execz .LBB50_333
; %bb.328:
	v_cmp_eq_u32_e32 vcc, 15, v116
	s_and_saveexec_b64 s[8:9], vcc
	s_cbranch_execz .LBB50_332
; %bb.329:
	v_cmp_ne_u32_e32 vcc, 15, v114
	s_xor_b64 s[20:21], s[18:19], -1
	s_and_b64 s[24:25], s[20:21], vcc
	s_and_saveexec_b64 s[20:21], s[24:25]
	s_cbranch_execz .LBB50_331
; %bb.330:
	v_ashrrev_i32_e32 v115, 31, v114
	v_lshlrev_b64 v[110:111], 2, v[114:115]
	v_add_co_u32_e32 v110, vcc, v126, v110
	v_addc_co_u32_e32 v111, vcc, v127, v111, vcc
	global_load_dword v0, v[110:111], off
	global_load_dword v112, v[126:127], off offset:60
	s_waitcnt vmcnt(1)
	global_store_dword v[126:127], v0, off offset:60
	s_waitcnt vmcnt(1)
	global_store_dword v[110:111], v112, off
.LBB50_331:
	s_or_b64 exec, exec, s[20:21]
	v_mov_b32_e32 v116, v114
	v_mov_b32_e32 v0, v114
.LBB50_332:
	s_or_b64 exec, exec, s[8:9]
.LBB50_333:
	s_andn2_saveexec_b64 s[0:1], s[0:1]
	s_cbranch_execz .LBB50_335
; %bb.334:
	v_mov_b32_e32 v116, 15
	ds_write2_b64 v1, v[34:35], v[36:37] offset0:32 offset1:33
	ds_write2_b64 v1, v[30:31], v[32:33] offset0:34 offset1:35
	;; [unrolled: 1-line block ×10, first 2 shown]
.LBB50_335:
	s_or_b64 exec, exec, s[0:1]
	v_cmp_lt_i32_e32 vcc, 15, v116
	s_waitcnt vmcnt(0) lgkmcnt(0)
	s_barrier
	s_and_saveexec_b64 s[0:1], vcc
	s_cbranch_execz .LBB50_337
; %bb.336:
	v_mul_f64 v[110:111], v[106:107], v[40:41]
	v_mul_f64 v[40:41], v[108:109], v[40:41]
	v_fma_f64 v[114:115], v[108:109], v[38:39], v[110:111]
	v_fma_f64 v[38:39], v[106:107], v[38:39], -v[40:41]
	ds_read2_b64 v[106:109], v1 offset0:32 offset1:33
	s_waitcnt lgkmcnt(0)
	v_mul_f64 v[40:41], v[108:109], v[114:115]
	v_fma_f64 v[40:41], v[106:107], v[38:39], -v[40:41]
	v_mul_f64 v[106:107], v[106:107], v[114:115]
	v_add_f64 v[34:35], v[34:35], -v[40:41]
	v_fma_f64 v[106:107], v[108:109], v[38:39], v[106:107]
	v_add_f64 v[36:37], v[36:37], -v[106:107]
	ds_read2_b64 v[106:109], v1 offset0:34 offset1:35
	s_waitcnt lgkmcnt(0)
	v_mul_f64 v[40:41], v[108:109], v[114:115]
	v_fma_f64 v[40:41], v[106:107], v[38:39], -v[40:41]
	v_mul_f64 v[106:107], v[106:107], v[114:115]
	v_add_f64 v[30:31], v[30:31], -v[40:41]
	v_fma_f64 v[106:107], v[108:109], v[38:39], v[106:107]
	v_add_f64 v[32:33], v[32:33], -v[106:107]
	;; [unrolled: 8-line block ×9, first 2 shown]
	ds_read2_b64 v[106:109], v1 offset0:50 offset1:51
	s_waitcnt lgkmcnt(0)
	v_mul_f64 v[40:41], v[108:109], v[114:115]
	v_fma_f64 v[40:41], v[106:107], v[38:39], -v[40:41]
	v_mul_f64 v[106:107], v[106:107], v[114:115]
	v_add_f64 v[102:103], v[102:103], -v[40:41]
	v_fma_f64 v[106:107], v[108:109], v[38:39], v[106:107]
	v_mov_b32_e32 v40, v114
	v_mov_b32_e32 v41, v115
	v_add_f64 v[104:105], v[104:105], -v[106:107]
.LBB50_337:
	s_or_b64 exec, exec, s[0:1]
	v_lshl_add_u32 v106, v116, 4, v1
	s_barrier
	ds_write2_b64 v106, v[34:35], v[36:37] offset1:1
	s_waitcnt lgkmcnt(0)
	s_barrier
	ds_read2_b64 v[106:109], v1 offset0:32 offset1:33
	s_cmp_lt_i32 s22, 18
	v_mov_b32_e32 v114, 16
	s_cbranch_scc1 .LBB50_340
; %bb.338:
	v_add_u32_e32 v115, 0x110, v1
	s_mov_b32 s0, 17
	v_mov_b32_e32 v114, 16
.LBB50_339:                             ; =>This Inner Loop Header: Depth=1
	s_waitcnt lgkmcnt(0)
	v_cmp_gt_f64_e32 vcc, 0, v[106:107]
	v_xor_b32_e32 v110, 0x80000000, v107
	ds_read2_b64 v[120:123], v115 offset1:1
	v_xor_b32_e32 v112, 0x80000000, v109
	v_add_u32_e32 v115, 16, v115
	s_waitcnt lgkmcnt(0)
	v_xor_b32_e32 v124, 0x80000000, v123
	v_cndmask_b32_e32 v111, v107, v110, vcc
	v_cmp_gt_f64_e32 vcc, 0, v[108:109]
	v_mov_b32_e32 v110, v106
	v_cndmask_b32_e32 v113, v109, v112, vcc
	v_cmp_gt_f64_e32 vcc, 0, v[120:121]
	v_mov_b32_e32 v112, v108
	v_add_f64 v[110:111], v[110:111], v[112:113]
	v_xor_b32_e32 v112, 0x80000000, v121
	v_cndmask_b32_e32 v113, v121, v112, vcc
	v_cmp_gt_f64_e32 vcc, 0, v[122:123]
	v_mov_b32_e32 v112, v120
	v_cndmask_b32_e32 v125, v123, v124, vcc
	v_mov_b32_e32 v124, v122
	v_add_f64 v[112:113], v[112:113], v[124:125]
	v_cmp_lt_f64_e32 vcc, v[110:111], v[112:113]
	v_mov_b32_e32 v110, s0
	s_add_i32 s0, s0, 1
	s_cmp_lg_u32 s22, s0
	v_cndmask_b32_e32 v107, v107, v121, vcc
	v_cndmask_b32_e32 v106, v106, v120, vcc
	;; [unrolled: 1-line block ×5, first 2 shown]
	s_cbranch_scc1 .LBB50_339
.LBB50_340:
	s_waitcnt lgkmcnt(0)
	v_cmp_eq_f64_e32 vcc, 0, v[106:107]
	v_cmp_eq_f64_e64 s[0:1], 0, v[108:109]
	s_and_b64 s[0:1], vcc, s[0:1]
	s_and_saveexec_b64 s[8:9], s[0:1]
	s_xor_b64 s[0:1], exec, s[8:9]
; %bb.341:
	v_cmp_ne_u32_e32 vcc, 0, v119
	v_cndmask_b32_e32 v119, 17, v119, vcc
; %bb.342:
	s_andn2_saveexec_b64 s[0:1], s[0:1]
	s_cbranch_execz .LBB50_348
; %bb.343:
	v_cmp_ngt_f64_e64 s[8:9], |v[106:107]|, |v[108:109]|
	s_and_saveexec_b64 s[20:21], s[8:9]
	s_xor_b64 s[8:9], exec, s[20:21]
	s_cbranch_execz .LBB50_345
; %bb.344:
	v_div_scale_f64 v[110:111], s[20:21], v[108:109], v[108:109], v[106:107]
	v_rcp_f64_e32 v[112:113], v[110:111]
	v_fma_f64 v[120:121], -v[110:111], v[112:113], 1.0
	v_fma_f64 v[112:113], v[112:113], v[120:121], v[112:113]
	v_div_scale_f64 v[120:121], vcc, v[106:107], v[108:109], v[106:107]
	v_fma_f64 v[122:123], -v[110:111], v[112:113], 1.0
	v_fma_f64 v[112:113], v[112:113], v[122:123], v[112:113]
	v_mul_f64 v[122:123], v[120:121], v[112:113]
	v_fma_f64 v[110:111], -v[110:111], v[122:123], v[120:121]
	v_div_fmas_f64 v[110:111], v[110:111], v[112:113], v[122:123]
	v_div_fixup_f64 v[110:111], v[110:111], v[108:109], v[106:107]
	v_fma_f64 v[106:107], v[106:107], v[110:111], v[108:109]
	v_div_scale_f64 v[108:109], s[20:21], v[106:107], v[106:107], 1.0
	v_div_scale_f64 v[122:123], vcc, 1.0, v[106:107], 1.0
	v_rcp_f64_e32 v[112:113], v[108:109]
	v_fma_f64 v[120:121], -v[108:109], v[112:113], 1.0
	v_fma_f64 v[112:113], v[112:113], v[120:121], v[112:113]
	v_fma_f64 v[120:121], -v[108:109], v[112:113], 1.0
	v_fma_f64 v[112:113], v[112:113], v[120:121], v[112:113]
	v_mul_f64 v[120:121], v[122:123], v[112:113]
	v_fma_f64 v[108:109], -v[108:109], v[120:121], v[122:123]
	v_div_fmas_f64 v[108:109], v[108:109], v[112:113], v[120:121]
	v_div_fixup_f64 v[108:109], v[108:109], v[106:107], 1.0
	v_mul_f64 v[106:107], v[110:111], v[108:109]
	v_xor_b32_e32 v109, 0x80000000, v109
.LBB50_345:
	s_andn2_saveexec_b64 s[8:9], s[8:9]
	s_cbranch_execz .LBB50_347
; %bb.346:
	v_div_scale_f64 v[110:111], s[20:21], v[106:107], v[106:107], v[108:109]
	v_rcp_f64_e32 v[112:113], v[110:111]
	v_fma_f64 v[120:121], -v[110:111], v[112:113], 1.0
	v_fma_f64 v[112:113], v[112:113], v[120:121], v[112:113]
	v_div_scale_f64 v[120:121], vcc, v[108:109], v[106:107], v[108:109]
	v_fma_f64 v[122:123], -v[110:111], v[112:113], 1.0
	v_fma_f64 v[112:113], v[112:113], v[122:123], v[112:113]
	v_mul_f64 v[122:123], v[120:121], v[112:113]
	v_fma_f64 v[110:111], -v[110:111], v[122:123], v[120:121]
	v_div_fmas_f64 v[110:111], v[110:111], v[112:113], v[122:123]
	v_div_fixup_f64 v[110:111], v[110:111], v[106:107], v[108:109]
	v_fma_f64 v[106:107], v[108:109], v[110:111], v[106:107]
	v_div_scale_f64 v[108:109], s[20:21], v[106:107], v[106:107], 1.0
	v_div_scale_f64 v[122:123], vcc, 1.0, v[106:107], 1.0
	v_rcp_f64_e32 v[112:113], v[108:109]
	v_fma_f64 v[120:121], -v[108:109], v[112:113], 1.0
	v_fma_f64 v[112:113], v[112:113], v[120:121], v[112:113]
	v_fma_f64 v[120:121], -v[108:109], v[112:113], 1.0
	v_fma_f64 v[112:113], v[112:113], v[120:121], v[112:113]
	v_mul_f64 v[120:121], v[122:123], v[112:113]
	v_fma_f64 v[108:109], -v[108:109], v[120:121], v[122:123]
	v_div_fmas_f64 v[108:109], v[108:109], v[112:113], v[120:121]
	v_div_fixup_f64 v[106:107], v[108:109], v[106:107], 1.0
	v_mul_f64 v[108:109], v[110:111], -v[106:107]
.LBB50_347:
	s_or_b64 exec, exec, s[8:9]
.LBB50_348:
	s_or_b64 exec, exec, s[0:1]
	v_cmp_ne_u32_e32 vcc, v116, v114
	s_and_saveexec_b64 s[0:1], vcc
	s_xor_b64 s[0:1], exec, s[0:1]
	s_cbranch_execz .LBB50_354
; %bb.349:
	v_cmp_eq_u32_e32 vcc, 16, v116
	s_and_saveexec_b64 s[8:9], vcc
	s_cbranch_execz .LBB50_353
; %bb.350:
	v_cmp_ne_u32_e32 vcc, 16, v114
	s_xor_b64 s[20:21], s[18:19], -1
	s_and_b64 s[24:25], s[20:21], vcc
	s_and_saveexec_b64 s[20:21], s[24:25]
	s_cbranch_execz .LBB50_352
; %bb.351:
	v_ashrrev_i32_e32 v115, 31, v114
	v_lshlrev_b64 v[110:111], 2, v[114:115]
	v_add_co_u32_e32 v110, vcc, v126, v110
	v_addc_co_u32_e32 v111, vcc, v127, v111, vcc
	global_load_dword v0, v[110:111], off
	global_load_dword v112, v[126:127], off offset:64
	s_waitcnt vmcnt(1)
	global_store_dword v[126:127], v0, off offset:64
	s_waitcnt vmcnt(1)
	global_store_dword v[110:111], v112, off
.LBB50_352:
	s_or_b64 exec, exec, s[20:21]
	v_mov_b32_e32 v116, v114
	v_mov_b32_e32 v0, v114
.LBB50_353:
	s_or_b64 exec, exec, s[8:9]
.LBB50_354:
	s_andn2_saveexec_b64 s[0:1], s[0:1]
	s_cbranch_execz .LBB50_356
; %bb.355:
	v_mov_b32_e32 v116, 16
	ds_write2_b64 v1, v[30:31], v[32:33] offset0:34 offset1:35
	ds_write2_b64 v1, v[26:27], v[28:29] offset0:36 offset1:37
	;; [unrolled: 1-line block ×9, first 2 shown]
.LBB50_356:
	s_or_b64 exec, exec, s[0:1]
	v_cmp_lt_i32_e32 vcc, 16, v116
	s_waitcnt vmcnt(0) lgkmcnt(0)
	s_barrier
	s_and_saveexec_b64 s[0:1], vcc
	s_cbranch_execz .LBB50_358
; %bb.357:
	v_mul_f64 v[110:111], v[106:107], v[36:37]
	v_mul_f64 v[36:37], v[108:109], v[36:37]
	v_fma_f64 v[114:115], v[108:109], v[34:35], v[110:111]
	v_fma_f64 v[34:35], v[106:107], v[34:35], -v[36:37]
	ds_read2_b64 v[106:109], v1 offset0:34 offset1:35
	s_waitcnt lgkmcnt(0)
	v_mul_f64 v[36:37], v[108:109], v[114:115]
	v_fma_f64 v[36:37], v[106:107], v[34:35], -v[36:37]
	v_mul_f64 v[106:107], v[106:107], v[114:115]
	v_add_f64 v[30:31], v[30:31], -v[36:37]
	v_fma_f64 v[106:107], v[108:109], v[34:35], v[106:107]
	v_add_f64 v[32:33], v[32:33], -v[106:107]
	ds_read2_b64 v[106:109], v1 offset0:36 offset1:37
	s_waitcnt lgkmcnt(0)
	v_mul_f64 v[36:37], v[108:109], v[114:115]
	v_fma_f64 v[36:37], v[106:107], v[34:35], -v[36:37]
	v_mul_f64 v[106:107], v[106:107], v[114:115]
	v_add_f64 v[26:27], v[26:27], -v[36:37]
	v_fma_f64 v[106:107], v[108:109], v[34:35], v[106:107]
	v_add_f64 v[28:29], v[28:29], -v[106:107]
	;; [unrolled: 8-line block ×8, first 2 shown]
	ds_read2_b64 v[106:109], v1 offset0:50 offset1:51
	s_waitcnt lgkmcnt(0)
	v_mul_f64 v[36:37], v[108:109], v[114:115]
	v_fma_f64 v[36:37], v[106:107], v[34:35], -v[36:37]
	v_mul_f64 v[106:107], v[106:107], v[114:115]
	v_add_f64 v[102:103], v[102:103], -v[36:37]
	v_fma_f64 v[106:107], v[108:109], v[34:35], v[106:107]
	v_mov_b32_e32 v36, v114
	v_mov_b32_e32 v37, v115
	v_add_f64 v[104:105], v[104:105], -v[106:107]
.LBB50_358:
	s_or_b64 exec, exec, s[0:1]
	v_lshl_add_u32 v106, v116, 4, v1
	s_barrier
	ds_write2_b64 v106, v[30:31], v[32:33] offset1:1
	s_waitcnt lgkmcnt(0)
	s_barrier
	ds_read2_b64 v[106:109], v1 offset0:34 offset1:35
	s_cmp_lt_i32 s22, 19
	v_mov_b32_e32 v114, 17
	s_cbranch_scc1 .LBB50_361
; %bb.359:
	v_add_u32_e32 v115, 0x120, v1
	s_mov_b32 s0, 18
	v_mov_b32_e32 v114, 17
.LBB50_360:                             ; =>This Inner Loop Header: Depth=1
	s_waitcnt lgkmcnt(0)
	v_cmp_gt_f64_e32 vcc, 0, v[106:107]
	v_xor_b32_e32 v110, 0x80000000, v107
	ds_read2_b64 v[120:123], v115 offset1:1
	v_xor_b32_e32 v112, 0x80000000, v109
	v_add_u32_e32 v115, 16, v115
	s_waitcnt lgkmcnt(0)
	v_xor_b32_e32 v124, 0x80000000, v123
	v_cndmask_b32_e32 v111, v107, v110, vcc
	v_cmp_gt_f64_e32 vcc, 0, v[108:109]
	v_mov_b32_e32 v110, v106
	v_cndmask_b32_e32 v113, v109, v112, vcc
	v_cmp_gt_f64_e32 vcc, 0, v[120:121]
	v_mov_b32_e32 v112, v108
	v_add_f64 v[110:111], v[110:111], v[112:113]
	v_xor_b32_e32 v112, 0x80000000, v121
	v_cndmask_b32_e32 v113, v121, v112, vcc
	v_cmp_gt_f64_e32 vcc, 0, v[122:123]
	v_mov_b32_e32 v112, v120
	v_cndmask_b32_e32 v125, v123, v124, vcc
	v_mov_b32_e32 v124, v122
	v_add_f64 v[112:113], v[112:113], v[124:125]
	v_cmp_lt_f64_e32 vcc, v[110:111], v[112:113]
	v_mov_b32_e32 v110, s0
	s_add_i32 s0, s0, 1
	s_cmp_lg_u32 s22, s0
	v_cndmask_b32_e32 v107, v107, v121, vcc
	v_cndmask_b32_e32 v106, v106, v120, vcc
	;; [unrolled: 1-line block ×5, first 2 shown]
	s_cbranch_scc1 .LBB50_360
.LBB50_361:
	s_waitcnt lgkmcnt(0)
	v_cmp_eq_f64_e32 vcc, 0, v[106:107]
	v_cmp_eq_f64_e64 s[0:1], 0, v[108:109]
	s_and_b64 s[0:1], vcc, s[0:1]
	s_and_saveexec_b64 s[8:9], s[0:1]
	s_xor_b64 s[0:1], exec, s[8:9]
; %bb.362:
	v_cmp_ne_u32_e32 vcc, 0, v119
	v_cndmask_b32_e32 v119, 18, v119, vcc
; %bb.363:
	s_andn2_saveexec_b64 s[0:1], s[0:1]
	s_cbranch_execz .LBB50_369
; %bb.364:
	v_cmp_ngt_f64_e64 s[8:9], |v[106:107]|, |v[108:109]|
	s_and_saveexec_b64 s[20:21], s[8:9]
	s_xor_b64 s[8:9], exec, s[20:21]
	s_cbranch_execz .LBB50_366
; %bb.365:
	v_div_scale_f64 v[110:111], s[20:21], v[108:109], v[108:109], v[106:107]
	v_rcp_f64_e32 v[112:113], v[110:111]
	v_fma_f64 v[120:121], -v[110:111], v[112:113], 1.0
	v_fma_f64 v[112:113], v[112:113], v[120:121], v[112:113]
	v_div_scale_f64 v[120:121], vcc, v[106:107], v[108:109], v[106:107]
	v_fma_f64 v[122:123], -v[110:111], v[112:113], 1.0
	v_fma_f64 v[112:113], v[112:113], v[122:123], v[112:113]
	v_mul_f64 v[122:123], v[120:121], v[112:113]
	v_fma_f64 v[110:111], -v[110:111], v[122:123], v[120:121]
	v_div_fmas_f64 v[110:111], v[110:111], v[112:113], v[122:123]
	v_div_fixup_f64 v[110:111], v[110:111], v[108:109], v[106:107]
	v_fma_f64 v[106:107], v[106:107], v[110:111], v[108:109]
	v_div_scale_f64 v[108:109], s[20:21], v[106:107], v[106:107], 1.0
	v_div_scale_f64 v[122:123], vcc, 1.0, v[106:107], 1.0
	v_rcp_f64_e32 v[112:113], v[108:109]
	v_fma_f64 v[120:121], -v[108:109], v[112:113], 1.0
	v_fma_f64 v[112:113], v[112:113], v[120:121], v[112:113]
	v_fma_f64 v[120:121], -v[108:109], v[112:113], 1.0
	v_fma_f64 v[112:113], v[112:113], v[120:121], v[112:113]
	v_mul_f64 v[120:121], v[122:123], v[112:113]
	v_fma_f64 v[108:109], -v[108:109], v[120:121], v[122:123]
	v_div_fmas_f64 v[108:109], v[108:109], v[112:113], v[120:121]
	v_div_fixup_f64 v[108:109], v[108:109], v[106:107], 1.0
	v_mul_f64 v[106:107], v[110:111], v[108:109]
	v_xor_b32_e32 v109, 0x80000000, v109
.LBB50_366:
	s_andn2_saveexec_b64 s[8:9], s[8:9]
	s_cbranch_execz .LBB50_368
; %bb.367:
	v_div_scale_f64 v[110:111], s[20:21], v[106:107], v[106:107], v[108:109]
	v_rcp_f64_e32 v[112:113], v[110:111]
	v_fma_f64 v[120:121], -v[110:111], v[112:113], 1.0
	v_fma_f64 v[112:113], v[112:113], v[120:121], v[112:113]
	v_div_scale_f64 v[120:121], vcc, v[108:109], v[106:107], v[108:109]
	v_fma_f64 v[122:123], -v[110:111], v[112:113], 1.0
	v_fma_f64 v[112:113], v[112:113], v[122:123], v[112:113]
	v_mul_f64 v[122:123], v[120:121], v[112:113]
	v_fma_f64 v[110:111], -v[110:111], v[122:123], v[120:121]
	v_div_fmas_f64 v[110:111], v[110:111], v[112:113], v[122:123]
	v_div_fixup_f64 v[110:111], v[110:111], v[106:107], v[108:109]
	v_fma_f64 v[106:107], v[108:109], v[110:111], v[106:107]
	v_div_scale_f64 v[108:109], s[20:21], v[106:107], v[106:107], 1.0
	v_div_scale_f64 v[122:123], vcc, 1.0, v[106:107], 1.0
	v_rcp_f64_e32 v[112:113], v[108:109]
	v_fma_f64 v[120:121], -v[108:109], v[112:113], 1.0
	v_fma_f64 v[112:113], v[112:113], v[120:121], v[112:113]
	v_fma_f64 v[120:121], -v[108:109], v[112:113], 1.0
	v_fma_f64 v[112:113], v[112:113], v[120:121], v[112:113]
	v_mul_f64 v[120:121], v[122:123], v[112:113]
	v_fma_f64 v[108:109], -v[108:109], v[120:121], v[122:123]
	v_div_fmas_f64 v[108:109], v[108:109], v[112:113], v[120:121]
	v_div_fixup_f64 v[106:107], v[108:109], v[106:107], 1.0
	v_mul_f64 v[108:109], v[110:111], -v[106:107]
.LBB50_368:
	s_or_b64 exec, exec, s[8:9]
.LBB50_369:
	s_or_b64 exec, exec, s[0:1]
	v_cmp_ne_u32_e32 vcc, v116, v114
	s_and_saveexec_b64 s[0:1], vcc
	s_xor_b64 s[0:1], exec, s[0:1]
	s_cbranch_execz .LBB50_375
; %bb.370:
	v_cmp_eq_u32_e32 vcc, 17, v116
	s_and_saveexec_b64 s[8:9], vcc
	s_cbranch_execz .LBB50_374
; %bb.371:
	v_cmp_ne_u32_e32 vcc, 17, v114
	s_xor_b64 s[20:21], s[18:19], -1
	s_and_b64 s[24:25], s[20:21], vcc
	s_and_saveexec_b64 s[20:21], s[24:25]
	s_cbranch_execz .LBB50_373
; %bb.372:
	v_ashrrev_i32_e32 v115, 31, v114
	v_lshlrev_b64 v[110:111], 2, v[114:115]
	v_add_co_u32_e32 v110, vcc, v126, v110
	v_addc_co_u32_e32 v111, vcc, v127, v111, vcc
	global_load_dword v0, v[110:111], off
	global_load_dword v112, v[126:127], off offset:68
	s_waitcnt vmcnt(1)
	global_store_dword v[126:127], v0, off offset:68
	s_waitcnt vmcnt(1)
	global_store_dword v[110:111], v112, off
.LBB50_373:
	s_or_b64 exec, exec, s[20:21]
	v_mov_b32_e32 v116, v114
	v_mov_b32_e32 v0, v114
.LBB50_374:
	s_or_b64 exec, exec, s[8:9]
.LBB50_375:
	s_andn2_saveexec_b64 s[0:1], s[0:1]
	s_cbranch_execz .LBB50_377
; %bb.376:
	v_mov_b32_e32 v116, 17
	ds_write2_b64 v1, v[26:27], v[28:29] offset0:36 offset1:37
	ds_write2_b64 v1, v[22:23], v[24:25] offset0:38 offset1:39
	;; [unrolled: 1-line block ×8, first 2 shown]
.LBB50_377:
	s_or_b64 exec, exec, s[0:1]
	v_cmp_lt_i32_e32 vcc, 17, v116
	s_waitcnt vmcnt(0) lgkmcnt(0)
	s_barrier
	s_and_saveexec_b64 s[0:1], vcc
	s_cbranch_execz .LBB50_379
; %bb.378:
	v_mul_f64 v[110:111], v[106:107], v[32:33]
	v_mul_f64 v[32:33], v[108:109], v[32:33]
	v_fma_f64 v[114:115], v[108:109], v[30:31], v[110:111]
	v_fma_f64 v[30:31], v[106:107], v[30:31], -v[32:33]
	ds_read2_b64 v[106:109], v1 offset0:36 offset1:37
	s_waitcnt lgkmcnt(0)
	v_mul_f64 v[32:33], v[108:109], v[114:115]
	v_fma_f64 v[32:33], v[106:107], v[30:31], -v[32:33]
	v_mul_f64 v[106:107], v[106:107], v[114:115]
	v_add_f64 v[26:27], v[26:27], -v[32:33]
	v_fma_f64 v[106:107], v[108:109], v[30:31], v[106:107]
	v_add_f64 v[28:29], v[28:29], -v[106:107]
	ds_read2_b64 v[106:109], v1 offset0:38 offset1:39
	s_waitcnt lgkmcnt(0)
	v_mul_f64 v[32:33], v[108:109], v[114:115]
	v_fma_f64 v[32:33], v[106:107], v[30:31], -v[32:33]
	v_mul_f64 v[106:107], v[106:107], v[114:115]
	v_add_f64 v[22:23], v[22:23], -v[32:33]
	v_fma_f64 v[106:107], v[108:109], v[30:31], v[106:107]
	v_add_f64 v[24:25], v[24:25], -v[106:107]
	;; [unrolled: 8-line block ×7, first 2 shown]
	ds_read2_b64 v[106:109], v1 offset0:50 offset1:51
	s_waitcnt lgkmcnt(0)
	v_mul_f64 v[32:33], v[108:109], v[114:115]
	v_fma_f64 v[32:33], v[106:107], v[30:31], -v[32:33]
	v_mul_f64 v[106:107], v[106:107], v[114:115]
	v_add_f64 v[102:103], v[102:103], -v[32:33]
	v_fma_f64 v[106:107], v[108:109], v[30:31], v[106:107]
	v_mov_b32_e32 v32, v114
	v_mov_b32_e32 v33, v115
	v_add_f64 v[104:105], v[104:105], -v[106:107]
.LBB50_379:
	s_or_b64 exec, exec, s[0:1]
	v_lshl_add_u32 v106, v116, 4, v1
	s_barrier
	ds_write2_b64 v106, v[26:27], v[28:29] offset1:1
	s_waitcnt lgkmcnt(0)
	s_barrier
	ds_read2_b64 v[106:109], v1 offset0:36 offset1:37
	s_cmp_lt_i32 s22, 20
	v_mov_b32_e32 v114, 18
	s_cbranch_scc1 .LBB50_382
; %bb.380:
	v_add_u32_e32 v115, 0x130, v1
	s_mov_b32 s0, 19
	v_mov_b32_e32 v114, 18
.LBB50_381:                             ; =>This Inner Loop Header: Depth=1
	s_waitcnt lgkmcnt(0)
	v_cmp_gt_f64_e32 vcc, 0, v[106:107]
	v_xor_b32_e32 v110, 0x80000000, v107
	ds_read2_b64 v[120:123], v115 offset1:1
	v_xor_b32_e32 v112, 0x80000000, v109
	v_add_u32_e32 v115, 16, v115
	s_waitcnt lgkmcnt(0)
	v_xor_b32_e32 v124, 0x80000000, v123
	v_cndmask_b32_e32 v111, v107, v110, vcc
	v_cmp_gt_f64_e32 vcc, 0, v[108:109]
	v_mov_b32_e32 v110, v106
	v_cndmask_b32_e32 v113, v109, v112, vcc
	v_cmp_gt_f64_e32 vcc, 0, v[120:121]
	v_mov_b32_e32 v112, v108
	v_add_f64 v[110:111], v[110:111], v[112:113]
	v_xor_b32_e32 v112, 0x80000000, v121
	v_cndmask_b32_e32 v113, v121, v112, vcc
	v_cmp_gt_f64_e32 vcc, 0, v[122:123]
	v_mov_b32_e32 v112, v120
	v_cndmask_b32_e32 v125, v123, v124, vcc
	v_mov_b32_e32 v124, v122
	v_add_f64 v[112:113], v[112:113], v[124:125]
	v_cmp_lt_f64_e32 vcc, v[110:111], v[112:113]
	v_mov_b32_e32 v110, s0
	s_add_i32 s0, s0, 1
	s_cmp_lg_u32 s22, s0
	v_cndmask_b32_e32 v107, v107, v121, vcc
	v_cndmask_b32_e32 v106, v106, v120, vcc
	;; [unrolled: 1-line block ×5, first 2 shown]
	s_cbranch_scc1 .LBB50_381
.LBB50_382:
	s_waitcnt lgkmcnt(0)
	v_cmp_eq_f64_e32 vcc, 0, v[106:107]
	v_cmp_eq_f64_e64 s[0:1], 0, v[108:109]
	s_and_b64 s[0:1], vcc, s[0:1]
	s_and_saveexec_b64 s[8:9], s[0:1]
	s_xor_b64 s[0:1], exec, s[8:9]
; %bb.383:
	v_cmp_ne_u32_e32 vcc, 0, v119
	v_cndmask_b32_e32 v119, 19, v119, vcc
; %bb.384:
	s_andn2_saveexec_b64 s[0:1], s[0:1]
	s_cbranch_execz .LBB50_390
; %bb.385:
	v_cmp_ngt_f64_e64 s[8:9], |v[106:107]|, |v[108:109]|
	s_and_saveexec_b64 s[20:21], s[8:9]
	s_xor_b64 s[8:9], exec, s[20:21]
	s_cbranch_execz .LBB50_387
; %bb.386:
	v_div_scale_f64 v[110:111], s[20:21], v[108:109], v[108:109], v[106:107]
	v_rcp_f64_e32 v[112:113], v[110:111]
	v_fma_f64 v[120:121], -v[110:111], v[112:113], 1.0
	v_fma_f64 v[112:113], v[112:113], v[120:121], v[112:113]
	v_div_scale_f64 v[120:121], vcc, v[106:107], v[108:109], v[106:107]
	v_fma_f64 v[122:123], -v[110:111], v[112:113], 1.0
	v_fma_f64 v[112:113], v[112:113], v[122:123], v[112:113]
	v_mul_f64 v[122:123], v[120:121], v[112:113]
	v_fma_f64 v[110:111], -v[110:111], v[122:123], v[120:121]
	v_div_fmas_f64 v[110:111], v[110:111], v[112:113], v[122:123]
	v_div_fixup_f64 v[110:111], v[110:111], v[108:109], v[106:107]
	v_fma_f64 v[106:107], v[106:107], v[110:111], v[108:109]
	v_div_scale_f64 v[108:109], s[20:21], v[106:107], v[106:107], 1.0
	v_div_scale_f64 v[122:123], vcc, 1.0, v[106:107], 1.0
	v_rcp_f64_e32 v[112:113], v[108:109]
	v_fma_f64 v[120:121], -v[108:109], v[112:113], 1.0
	v_fma_f64 v[112:113], v[112:113], v[120:121], v[112:113]
	v_fma_f64 v[120:121], -v[108:109], v[112:113], 1.0
	v_fma_f64 v[112:113], v[112:113], v[120:121], v[112:113]
	v_mul_f64 v[120:121], v[122:123], v[112:113]
	v_fma_f64 v[108:109], -v[108:109], v[120:121], v[122:123]
	v_div_fmas_f64 v[108:109], v[108:109], v[112:113], v[120:121]
	v_div_fixup_f64 v[108:109], v[108:109], v[106:107], 1.0
	v_mul_f64 v[106:107], v[110:111], v[108:109]
	v_xor_b32_e32 v109, 0x80000000, v109
.LBB50_387:
	s_andn2_saveexec_b64 s[8:9], s[8:9]
	s_cbranch_execz .LBB50_389
; %bb.388:
	v_div_scale_f64 v[110:111], s[20:21], v[106:107], v[106:107], v[108:109]
	v_rcp_f64_e32 v[112:113], v[110:111]
	v_fma_f64 v[120:121], -v[110:111], v[112:113], 1.0
	v_fma_f64 v[112:113], v[112:113], v[120:121], v[112:113]
	v_div_scale_f64 v[120:121], vcc, v[108:109], v[106:107], v[108:109]
	v_fma_f64 v[122:123], -v[110:111], v[112:113], 1.0
	v_fma_f64 v[112:113], v[112:113], v[122:123], v[112:113]
	v_mul_f64 v[122:123], v[120:121], v[112:113]
	v_fma_f64 v[110:111], -v[110:111], v[122:123], v[120:121]
	v_div_fmas_f64 v[110:111], v[110:111], v[112:113], v[122:123]
	v_div_fixup_f64 v[110:111], v[110:111], v[106:107], v[108:109]
	v_fma_f64 v[106:107], v[108:109], v[110:111], v[106:107]
	v_div_scale_f64 v[108:109], s[20:21], v[106:107], v[106:107], 1.0
	v_div_scale_f64 v[122:123], vcc, 1.0, v[106:107], 1.0
	v_rcp_f64_e32 v[112:113], v[108:109]
	v_fma_f64 v[120:121], -v[108:109], v[112:113], 1.0
	v_fma_f64 v[112:113], v[112:113], v[120:121], v[112:113]
	v_fma_f64 v[120:121], -v[108:109], v[112:113], 1.0
	v_fma_f64 v[112:113], v[112:113], v[120:121], v[112:113]
	v_mul_f64 v[120:121], v[122:123], v[112:113]
	v_fma_f64 v[108:109], -v[108:109], v[120:121], v[122:123]
	v_div_fmas_f64 v[108:109], v[108:109], v[112:113], v[120:121]
	v_div_fixup_f64 v[106:107], v[108:109], v[106:107], 1.0
	v_mul_f64 v[108:109], v[110:111], -v[106:107]
.LBB50_389:
	s_or_b64 exec, exec, s[8:9]
.LBB50_390:
	s_or_b64 exec, exec, s[0:1]
	v_cmp_ne_u32_e32 vcc, v116, v114
	s_and_saveexec_b64 s[0:1], vcc
	s_xor_b64 s[0:1], exec, s[0:1]
	s_cbranch_execz .LBB50_396
; %bb.391:
	v_cmp_eq_u32_e32 vcc, 18, v116
	s_and_saveexec_b64 s[8:9], vcc
	s_cbranch_execz .LBB50_395
; %bb.392:
	v_cmp_ne_u32_e32 vcc, 18, v114
	s_xor_b64 s[20:21], s[18:19], -1
	s_and_b64 s[24:25], s[20:21], vcc
	s_and_saveexec_b64 s[20:21], s[24:25]
	s_cbranch_execz .LBB50_394
; %bb.393:
	v_ashrrev_i32_e32 v115, 31, v114
	v_lshlrev_b64 v[110:111], 2, v[114:115]
	v_add_co_u32_e32 v110, vcc, v126, v110
	v_addc_co_u32_e32 v111, vcc, v127, v111, vcc
	global_load_dword v0, v[110:111], off
	global_load_dword v112, v[126:127], off offset:72
	s_waitcnt vmcnt(1)
	global_store_dword v[126:127], v0, off offset:72
	s_waitcnt vmcnt(1)
	global_store_dword v[110:111], v112, off
.LBB50_394:
	s_or_b64 exec, exec, s[20:21]
	v_mov_b32_e32 v116, v114
	v_mov_b32_e32 v0, v114
.LBB50_395:
	s_or_b64 exec, exec, s[8:9]
.LBB50_396:
	s_andn2_saveexec_b64 s[0:1], s[0:1]
	s_cbranch_execz .LBB50_398
; %bb.397:
	v_mov_b32_e32 v116, 18
	ds_write2_b64 v1, v[22:23], v[24:25] offset0:38 offset1:39
	ds_write2_b64 v1, v[18:19], v[20:21] offset0:40 offset1:41
	;; [unrolled: 1-line block ×7, first 2 shown]
.LBB50_398:
	s_or_b64 exec, exec, s[0:1]
	v_cmp_lt_i32_e32 vcc, 18, v116
	s_waitcnt vmcnt(0) lgkmcnt(0)
	s_barrier
	s_and_saveexec_b64 s[0:1], vcc
	s_cbranch_execz .LBB50_400
; %bb.399:
	v_mul_f64 v[110:111], v[106:107], v[28:29]
	v_mul_f64 v[28:29], v[108:109], v[28:29]
	v_fma_f64 v[114:115], v[108:109], v[26:27], v[110:111]
	v_fma_f64 v[26:27], v[106:107], v[26:27], -v[28:29]
	ds_read2_b64 v[106:109], v1 offset0:38 offset1:39
	s_waitcnt lgkmcnt(0)
	v_mul_f64 v[28:29], v[108:109], v[114:115]
	v_fma_f64 v[28:29], v[106:107], v[26:27], -v[28:29]
	v_mul_f64 v[106:107], v[106:107], v[114:115]
	v_add_f64 v[22:23], v[22:23], -v[28:29]
	v_fma_f64 v[106:107], v[108:109], v[26:27], v[106:107]
	v_add_f64 v[24:25], v[24:25], -v[106:107]
	ds_read2_b64 v[106:109], v1 offset0:40 offset1:41
	s_waitcnt lgkmcnt(0)
	v_mul_f64 v[28:29], v[108:109], v[114:115]
	v_fma_f64 v[28:29], v[106:107], v[26:27], -v[28:29]
	v_mul_f64 v[106:107], v[106:107], v[114:115]
	v_add_f64 v[18:19], v[18:19], -v[28:29]
	v_fma_f64 v[106:107], v[108:109], v[26:27], v[106:107]
	v_add_f64 v[20:21], v[20:21], -v[106:107]
	;; [unrolled: 8-line block ×6, first 2 shown]
	ds_read2_b64 v[106:109], v1 offset0:50 offset1:51
	s_waitcnt lgkmcnt(0)
	v_mul_f64 v[28:29], v[108:109], v[114:115]
	v_fma_f64 v[28:29], v[106:107], v[26:27], -v[28:29]
	v_mul_f64 v[106:107], v[106:107], v[114:115]
	v_add_f64 v[102:103], v[102:103], -v[28:29]
	v_fma_f64 v[106:107], v[108:109], v[26:27], v[106:107]
	v_mov_b32_e32 v28, v114
	v_mov_b32_e32 v29, v115
	v_add_f64 v[104:105], v[104:105], -v[106:107]
.LBB50_400:
	s_or_b64 exec, exec, s[0:1]
	v_lshl_add_u32 v106, v116, 4, v1
	s_barrier
	ds_write2_b64 v106, v[22:23], v[24:25] offset1:1
	s_waitcnt lgkmcnt(0)
	s_barrier
	ds_read2_b64 v[106:109], v1 offset0:38 offset1:39
	s_cmp_lt_i32 s22, 21
	v_mov_b32_e32 v114, 19
	s_cbranch_scc1 .LBB50_403
; %bb.401:
	v_add_u32_e32 v115, 0x140, v1
	s_mov_b32 s0, 20
	v_mov_b32_e32 v114, 19
.LBB50_402:                             ; =>This Inner Loop Header: Depth=1
	s_waitcnt lgkmcnt(0)
	v_cmp_gt_f64_e32 vcc, 0, v[106:107]
	v_xor_b32_e32 v110, 0x80000000, v107
	ds_read2_b64 v[120:123], v115 offset1:1
	v_xor_b32_e32 v112, 0x80000000, v109
	v_add_u32_e32 v115, 16, v115
	s_waitcnt lgkmcnt(0)
	v_xor_b32_e32 v124, 0x80000000, v123
	v_cndmask_b32_e32 v111, v107, v110, vcc
	v_cmp_gt_f64_e32 vcc, 0, v[108:109]
	v_mov_b32_e32 v110, v106
	v_cndmask_b32_e32 v113, v109, v112, vcc
	v_cmp_gt_f64_e32 vcc, 0, v[120:121]
	v_mov_b32_e32 v112, v108
	v_add_f64 v[110:111], v[110:111], v[112:113]
	v_xor_b32_e32 v112, 0x80000000, v121
	v_cndmask_b32_e32 v113, v121, v112, vcc
	v_cmp_gt_f64_e32 vcc, 0, v[122:123]
	v_mov_b32_e32 v112, v120
	v_cndmask_b32_e32 v125, v123, v124, vcc
	v_mov_b32_e32 v124, v122
	v_add_f64 v[112:113], v[112:113], v[124:125]
	v_cmp_lt_f64_e32 vcc, v[110:111], v[112:113]
	v_mov_b32_e32 v110, s0
	s_add_i32 s0, s0, 1
	s_cmp_lg_u32 s22, s0
	v_cndmask_b32_e32 v107, v107, v121, vcc
	v_cndmask_b32_e32 v106, v106, v120, vcc
	;; [unrolled: 1-line block ×5, first 2 shown]
	s_cbranch_scc1 .LBB50_402
.LBB50_403:
	s_waitcnt lgkmcnt(0)
	v_cmp_eq_f64_e32 vcc, 0, v[106:107]
	v_cmp_eq_f64_e64 s[0:1], 0, v[108:109]
	s_and_b64 s[0:1], vcc, s[0:1]
	s_and_saveexec_b64 s[8:9], s[0:1]
	s_xor_b64 s[0:1], exec, s[8:9]
; %bb.404:
	v_cmp_ne_u32_e32 vcc, 0, v119
	v_cndmask_b32_e32 v119, 20, v119, vcc
; %bb.405:
	s_andn2_saveexec_b64 s[0:1], s[0:1]
	s_cbranch_execz .LBB50_411
; %bb.406:
	v_cmp_ngt_f64_e64 s[8:9], |v[106:107]|, |v[108:109]|
	s_and_saveexec_b64 s[20:21], s[8:9]
	s_xor_b64 s[8:9], exec, s[20:21]
	s_cbranch_execz .LBB50_408
; %bb.407:
	v_div_scale_f64 v[110:111], s[20:21], v[108:109], v[108:109], v[106:107]
	v_rcp_f64_e32 v[112:113], v[110:111]
	v_fma_f64 v[120:121], -v[110:111], v[112:113], 1.0
	v_fma_f64 v[112:113], v[112:113], v[120:121], v[112:113]
	v_div_scale_f64 v[120:121], vcc, v[106:107], v[108:109], v[106:107]
	v_fma_f64 v[122:123], -v[110:111], v[112:113], 1.0
	v_fma_f64 v[112:113], v[112:113], v[122:123], v[112:113]
	v_mul_f64 v[122:123], v[120:121], v[112:113]
	v_fma_f64 v[110:111], -v[110:111], v[122:123], v[120:121]
	v_div_fmas_f64 v[110:111], v[110:111], v[112:113], v[122:123]
	v_div_fixup_f64 v[110:111], v[110:111], v[108:109], v[106:107]
	v_fma_f64 v[106:107], v[106:107], v[110:111], v[108:109]
	v_div_scale_f64 v[108:109], s[20:21], v[106:107], v[106:107], 1.0
	v_div_scale_f64 v[122:123], vcc, 1.0, v[106:107], 1.0
	v_rcp_f64_e32 v[112:113], v[108:109]
	v_fma_f64 v[120:121], -v[108:109], v[112:113], 1.0
	v_fma_f64 v[112:113], v[112:113], v[120:121], v[112:113]
	v_fma_f64 v[120:121], -v[108:109], v[112:113], 1.0
	v_fma_f64 v[112:113], v[112:113], v[120:121], v[112:113]
	v_mul_f64 v[120:121], v[122:123], v[112:113]
	v_fma_f64 v[108:109], -v[108:109], v[120:121], v[122:123]
	v_div_fmas_f64 v[108:109], v[108:109], v[112:113], v[120:121]
	v_div_fixup_f64 v[108:109], v[108:109], v[106:107], 1.0
	v_mul_f64 v[106:107], v[110:111], v[108:109]
	v_xor_b32_e32 v109, 0x80000000, v109
.LBB50_408:
	s_andn2_saveexec_b64 s[8:9], s[8:9]
	s_cbranch_execz .LBB50_410
; %bb.409:
	v_div_scale_f64 v[110:111], s[20:21], v[106:107], v[106:107], v[108:109]
	v_rcp_f64_e32 v[112:113], v[110:111]
	v_fma_f64 v[120:121], -v[110:111], v[112:113], 1.0
	v_fma_f64 v[112:113], v[112:113], v[120:121], v[112:113]
	v_div_scale_f64 v[120:121], vcc, v[108:109], v[106:107], v[108:109]
	v_fma_f64 v[122:123], -v[110:111], v[112:113], 1.0
	v_fma_f64 v[112:113], v[112:113], v[122:123], v[112:113]
	v_mul_f64 v[122:123], v[120:121], v[112:113]
	v_fma_f64 v[110:111], -v[110:111], v[122:123], v[120:121]
	v_div_fmas_f64 v[110:111], v[110:111], v[112:113], v[122:123]
	v_div_fixup_f64 v[110:111], v[110:111], v[106:107], v[108:109]
	v_fma_f64 v[106:107], v[108:109], v[110:111], v[106:107]
	v_div_scale_f64 v[108:109], s[20:21], v[106:107], v[106:107], 1.0
	v_div_scale_f64 v[122:123], vcc, 1.0, v[106:107], 1.0
	v_rcp_f64_e32 v[112:113], v[108:109]
	v_fma_f64 v[120:121], -v[108:109], v[112:113], 1.0
	v_fma_f64 v[112:113], v[112:113], v[120:121], v[112:113]
	v_fma_f64 v[120:121], -v[108:109], v[112:113], 1.0
	v_fma_f64 v[112:113], v[112:113], v[120:121], v[112:113]
	v_mul_f64 v[120:121], v[122:123], v[112:113]
	v_fma_f64 v[108:109], -v[108:109], v[120:121], v[122:123]
	v_div_fmas_f64 v[108:109], v[108:109], v[112:113], v[120:121]
	v_div_fixup_f64 v[106:107], v[108:109], v[106:107], 1.0
	v_mul_f64 v[108:109], v[110:111], -v[106:107]
.LBB50_410:
	s_or_b64 exec, exec, s[8:9]
.LBB50_411:
	s_or_b64 exec, exec, s[0:1]
	v_cmp_ne_u32_e32 vcc, v116, v114
	s_and_saveexec_b64 s[0:1], vcc
	s_xor_b64 s[0:1], exec, s[0:1]
	s_cbranch_execz .LBB50_417
; %bb.412:
	v_cmp_eq_u32_e32 vcc, 19, v116
	s_and_saveexec_b64 s[8:9], vcc
	s_cbranch_execz .LBB50_416
; %bb.413:
	v_cmp_ne_u32_e32 vcc, 19, v114
	s_xor_b64 s[20:21], s[18:19], -1
	s_and_b64 s[24:25], s[20:21], vcc
	s_and_saveexec_b64 s[20:21], s[24:25]
	s_cbranch_execz .LBB50_415
; %bb.414:
	v_ashrrev_i32_e32 v115, 31, v114
	v_lshlrev_b64 v[110:111], 2, v[114:115]
	v_add_co_u32_e32 v110, vcc, v126, v110
	v_addc_co_u32_e32 v111, vcc, v127, v111, vcc
	global_load_dword v0, v[110:111], off
	global_load_dword v112, v[126:127], off offset:76
	s_waitcnt vmcnt(1)
	global_store_dword v[126:127], v0, off offset:76
	s_waitcnt vmcnt(1)
	global_store_dword v[110:111], v112, off
.LBB50_415:
	s_or_b64 exec, exec, s[20:21]
	v_mov_b32_e32 v116, v114
	v_mov_b32_e32 v0, v114
.LBB50_416:
	s_or_b64 exec, exec, s[8:9]
.LBB50_417:
	s_andn2_saveexec_b64 s[0:1], s[0:1]
	s_cbranch_execz .LBB50_419
; %bb.418:
	v_mov_b32_e32 v116, 19
	ds_write2_b64 v1, v[18:19], v[20:21] offset0:40 offset1:41
	ds_write2_b64 v1, v[14:15], v[16:17] offset0:42 offset1:43
	;; [unrolled: 1-line block ×6, first 2 shown]
.LBB50_419:
	s_or_b64 exec, exec, s[0:1]
	v_cmp_lt_i32_e32 vcc, 19, v116
	s_waitcnt vmcnt(0) lgkmcnt(0)
	s_barrier
	s_and_saveexec_b64 s[0:1], vcc
	s_cbranch_execz .LBB50_421
; %bb.420:
	v_mul_f64 v[110:111], v[106:107], v[24:25]
	v_mul_f64 v[24:25], v[108:109], v[24:25]
	v_fma_f64 v[114:115], v[108:109], v[22:23], v[110:111]
	v_fma_f64 v[22:23], v[106:107], v[22:23], -v[24:25]
	ds_read2_b64 v[106:109], v1 offset0:40 offset1:41
	s_waitcnt lgkmcnt(0)
	v_mul_f64 v[24:25], v[108:109], v[114:115]
	v_fma_f64 v[24:25], v[106:107], v[22:23], -v[24:25]
	v_mul_f64 v[106:107], v[106:107], v[114:115]
	v_add_f64 v[18:19], v[18:19], -v[24:25]
	v_fma_f64 v[106:107], v[108:109], v[22:23], v[106:107]
	v_add_f64 v[20:21], v[20:21], -v[106:107]
	ds_read2_b64 v[106:109], v1 offset0:42 offset1:43
	s_waitcnt lgkmcnt(0)
	v_mul_f64 v[24:25], v[108:109], v[114:115]
	v_fma_f64 v[24:25], v[106:107], v[22:23], -v[24:25]
	v_mul_f64 v[106:107], v[106:107], v[114:115]
	v_add_f64 v[14:15], v[14:15], -v[24:25]
	v_fma_f64 v[106:107], v[108:109], v[22:23], v[106:107]
	v_add_f64 v[16:17], v[16:17], -v[106:107]
	;; [unrolled: 8-line block ×5, first 2 shown]
	ds_read2_b64 v[106:109], v1 offset0:50 offset1:51
	s_waitcnt lgkmcnt(0)
	v_mul_f64 v[24:25], v[108:109], v[114:115]
	v_fma_f64 v[24:25], v[106:107], v[22:23], -v[24:25]
	v_mul_f64 v[106:107], v[106:107], v[114:115]
	v_add_f64 v[102:103], v[102:103], -v[24:25]
	v_fma_f64 v[106:107], v[108:109], v[22:23], v[106:107]
	v_mov_b32_e32 v24, v114
	v_mov_b32_e32 v25, v115
	v_add_f64 v[104:105], v[104:105], -v[106:107]
.LBB50_421:
	s_or_b64 exec, exec, s[0:1]
	v_lshl_add_u32 v106, v116, 4, v1
	s_barrier
	ds_write2_b64 v106, v[18:19], v[20:21] offset1:1
	s_waitcnt lgkmcnt(0)
	s_barrier
	ds_read2_b64 v[106:109], v1 offset0:40 offset1:41
	s_cmp_lt_i32 s22, 22
	v_mov_b32_e32 v114, 20
	s_cbranch_scc1 .LBB50_424
; %bb.422:
	v_add_u32_e32 v115, 0x150, v1
	s_mov_b32 s0, 21
	v_mov_b32_e32 v114, 20
.LBB50_423:                             ; =>This Inner Loop Header: Depth=1
	s_waitcnt lgkmcnt(0)
	v_cmp_gt_f64_e32 vcc, 0, v[106:107]
	v_xor_b32_e32 v110, 0x80000000, v107
	ds_read2_b64 v[120:123], v115 offset1:1
	v_xor_b32_e32 v112, 0x80000000, v109
	v_add_u32_e32 v115, 16, v115
	s_waitcnt lgkmcnt(0)
	v_xor_b32_e32 v124, 0x80000000, v123
	v_cndmask_b32_e32 v111, v107, v110, vcc
	v_cmp_gt_f64_e32 vcc, 0, v[108:109]
	v_mov_b32_e32 v110, v106
	v_cndmask_b32_e32 v113, v109, v112, vcc
	v_cmp_gt_f64_e32 vcc, 0, v[120:121]
	v_mov_b32_e32 v112, v108
	v_add_f64 v[110:111], v[110:111], v[112:113]
	v_xor_b32_e32 v112, 0x80000000, v121
	v_cndmask_b32_e32 v113, v121, v112, vcc
	v_cmp_gt_f64_e32 vcc, 0, v[122:123]
	v_mov_b32_e32 v112, v120
	v_cndmask_b32_e32 v125, v123, v124, vcc
	v_mov_b32_e32 v124, v122
	v_add_f64 v[112:113], v[112:113], v[124:125]
	v_cmp_lt_f64_e32 vcc, v[110:111], v[112:113]
	v_mov_b32_e32 v110, s0
	s_add_i32 s0, s0, 1
	s_cmp_lg_u32 s22, s0
	v_cndmask_b32_e32 v107, v107, v121, vcc
	v_cndmask_b32_e32 v106, v106, v120, vcc
	;; [unrolled: 1-line block ×5, first 2 shown]
	s_cbranch_scc1 .LBB50_423
.LBB50_424:
	s_waitcnt lgkmcnt(0)
	v_cmp_eq_f64_e32 vcc, 0, v[106:107]
	v_cmp_eq_f64_e64 s[0:1], 0, v[108:109]
	s_and_b64 s[0:1], vcc, s[0:1]
	s_and_saveexec_b64 s[8:9], s[0:1]
	s_xor_b64 s[0:1], exec, s[8:9]
; %bb.425:
	v_cmp_ne_u32_e32 vcc, 0, v119
	v_cndmask_b32_e32 v119, 21, v119, vcc
; %bb.426:
	s_andn2_saveexec_b64 s[0:1], s[0:1]
	s_cbranch_execz .LBB50_432
; %bb.427:
	v_cmp_ngt_f64_e64 s[8:9], |v[106:107]|, |v[108:109]|
	s_and_saveexec_b64 s[20:21], s[8:9]
	s_xor_b64 s[8:9], exec, s[20:21]
	s_cbranch_execz .LBB50_429
; %bb.428:
	v_div_scale_f64 v[110:111], s[20:21], v[108:109], v[108:109], v[106:107]
	v_rcp_f64_e32 v[112:113], v[110:111]
	v_fma_f64 v[120:121], -v[110:111], v[112:113], 1.0
	v_fma_f64 v[112:113], v[112:113], v[120:121], v[112:113]
	v_div_scale_f64 v[120:121], vcc, v[106:107], v[108:109], v[106:107]
	v_fma_f64 v[122:123], -v[110:111], v[112:113], 1.0
	v_fma_f64 v[112:113], v[112:113], v[122:123], v[112:113]
	v_mul_f64 v[122:123], v[120:121], v[112:113]
	v_fma_f64 v[110:111], -v[110:111], v[122:123], v[120:121]
	v_div_fmas_f64 v[110:111], v[110:111], v[112:113], v[122:123]
	v_div_fixup_f64 v[110:111], v[110:111], v[108:109], v[106:107]
	v_fma_f64 v[106:107], v[106:107], v[110:111], v[108:109]
	v_div_scale_f64 v[108:109], s[20:21], v[106:107], v[106:107], 1.0
	v_div_scale_f64 v[122:123], vcc, 1.0, v[106:107], 1.0
	v_rcp_f64_e32 v[112:113], v[108:109]
	v_fma_f64 v[120:121], -v[108:109], v[112:113], 1.0
	v_fma_f64 v[112:113], v[112:113], v[120:121], v[112:113]
	v_fma_f64 v[120:121], -v[108:109], v[112:113], 1.0
	v_fma_f64 v[112:113], v[112:113], v[120:121], v[112:113]
	v_mul_f64 v[120:121], v[122:123], v[112:113]
	v_fma_f64 v[108:109], -v[108:109], v[120:121], v[122:123]
	v_div_fmas_f64 v[108:109], v[108:109], v[112:113], v[120:121]
	v_div_fixup_f64 v[108:109], v[108:109], v[106:107], 1.0
	v_mul_f64 v[106:107], v[110:111], v[108:109]
	v_xor_b32_e32 v109, 0x80000000, v109
.LBB50_429:
	s_andn2_saveexec_b64 s[8:9], s[8:9]
	s_cbranch_execz .LBB50_431
; %bb.430:
	v_div_scale_f64 v[110:111], s[20:21], v[106:107], v[106:107], v[108:109]
	v_rcp_f64_e32 v[112:113], v[110:111]
	v_fma_f64 v[120:121], -v[110:111], v[112:113], 1.0
	v_fma_f64 v[112:113], v[112:113], v[120:121], v[112:113]
	v_div_scale_f64 v[120:121], vcc, v[108:109], v[106:107], v[108:109]
	v_fma_f64 v[122:123], -v[110:111], v[112:113], 1.0
	v_fma_f64 v[112:113], v[112:113], v[122:123], v[112:113]
	v_mul_f64 v[122:123], v[120:121], v[112:113]
	v_fma_f64 v[110:111], -v[110:111], v[122:123], v[120:121]
	v_div_fmas_f64 v[110:111], v[110:111], v[112:113], v[122:123]
	v_div_fixup_f64 v[110:111], v[110:111], v[106:107], v[108:109]
	v_fma_f64 v[106:107], v[108:109], v[110:111], v[106:107]
	v_div_scale_f64 v[108:109], s[20:21], v[106:107], v[106:107], 1.0
	v_div_scale_f64 v[122:123], vcc, 1.0, v[106:107], 1.0
	v_rcp_f64_e32 v[112:113], v[108:109]
	v_fma_f64 v[120:121], -v[108:109], v[112:113], 1.0
	v_fma_f64 v[112:113], v[112:113], v[120:121], v[112:113]
	v_fma_f64 v[120:121], -v[108:109], v[112:113], 1.0
	v_fma_f64 v[112:113], v[112:113], v[120:121], v[112:113]
	v_mul_f64 v[120:121], v[122:123], v[112:113]
	v_fma_f64 v[108:109], -v[108:109], v[120:121], v[122:123]
	v_div_fmas_f64 v[108:109], v[108:109], v[112:113], v[120:121]
	v_div_fixup_f64 v[106:107], v[108:109], v[106:107], 1.0
	v_mul_f64 v[108:109], v[110:111], -v[106:107]
.LBB50_431:
	s_or_b64 exec, exec, s[8:9]
.LBB50_432:
	s_or_b64 exec, exec, s[0:1]
	v_cmp_ne_u32_e32 vcc, v116, v114
	s_and_saveexec_b64 s[0:1], vcc
	s_xor_b64 s[0:1], exec, s[0:1]
	s_cbranch_execz .LBB50_438
; %bb.433:
	v_cmp_eq_u32_e32 vcc, 20, v116
	s_and_saveexec_b64 s[8:9], vcc
	s_cbranch_execz .LBB50_437
; %bb.434:
	v_cmp_ne_u32_e32 vcc, 20, v114
	s_xor_b64 s[20:21], s[18:19], -1
	s_and_b64 s[24:25], s[20:21], vcc
	s_and_saveexec_b64 s[20:21], s[24:25]
	s_cbranch_execz .LBB50_436
; %bb.435:
	v_ashrrev_i32_e32 v115, 31, v114
	v_lshlrev_b64 v[110:111], 2, v[114:115]
	v_add_co_u32_e32 v110, vcc, v126, v110
	v_addc_co_u32_e32 v111, vcc, v127, v111, vcc
	global_load_dword v0, v[110:111], off
	global_load_dword v112, v[126:127], off offset:80
	s_waitcnt vmcnt(1)
	global_store_dword v[126:127], v0, off offset:80
	s_waitcnt vmcnt(1)
	global_store_dword v[110:111], v112, off
.LBB50_436:
	s_or_b64 exec, exec, s[20:21]
	v_mov_b32_e32 v116, v114
	v_mov_b32_e32 v0, v114
.LBB50_437:
	s_or_b64 exec, exec, s[8:9]
.LBB50_438:
	s_andn2_saveexec_b64 s[0:1], s[0:1]
	s_cbranch_execz .LBB50_440
; %bb.439:
	v_mov_b32_e32 v116, 20
	ds_write2_b64 v1, v[14:15], v[16:17] offset0:42 offset1:43
	ds_write2_b64 v1, v[10:11], v[12:13] offset0:44 offset1:45
	;; [unrolled: 1-line block ×5, first 2 shown]
.LBB50_440:
	s_or_b64 exec, exec, s[0:1]
	v_cmp_lt_i32_e32 vcc, 20, v116
	s_waitcnt vmcnt(0) lgkmcnt(0)
	s_barrier
	s_and_saveexec_b64 s[0:1], vcc
	s_cbranch_execz .LBB50_442
; %bb.441:
	v_mul_f64 v[110:111], v[106:107], v[20:21]
	v_mul_f64 v[20:21], v[108:109], v[20:21]
	v_fma_f64 v[110:111], v[108:109], v[18:19], v[110:111]
	v_fma_f64 v[18:19], v[106:107], v[18:19], -v[20:21]
	ds_read2_b64 v[106:109], v1 offset0:42 offset1:43
	s_waitcnt lgkmcnt(0)
	v_mul_f64 v[20:21], v[108:109], v[110:111]
	v_fma_f64 v[20:21], v[106:107], v[18:19], -v[20:21]
	v_mul_f64 v[106:107], v[106:107], v[110:111]
	v_add_f64 v[14:15], v[14:15], -v[20:21]
	v_fma_f64 v[106:107], v[108:109], v[18:19], v[106:107]
	v_add_f64 v[16:17], v[16:17], -v[106:107]
	ds_read2_b64 v[106:109], v1 offset0:44 offset1:45
	s_waitcnt lgkmcnt(0)
	v_mul_f64 v[20:21], v[108:109], v[110:111]
	v_fma_f64 v[20:21], v[106:107], v[18:19], -v[20:21]
	v_mul_f64 v[106:107], v[106:107], v[110:111]
	v_add_f64 v[10:11], v[10:11], -v[20:21]
	v_fma_f64 v[106:107], v[108:109], v[18:19], v[106:107]
	v_add_f64 v[12:13], v[12:13], -v[106:107]
	ds_read2_b64 v[106:109], v1 offset0:46 offset1:47
	s_waitcnt lgkmcnt(0)
	v_mul_f64 v[20:21], v[108:109], v[110:111]
	v_fma_f64 v[20:21], v[106:107], v[18:19], -v[20:21]
	v_mul_f64 v[106:107], v[106:107], v[110:111]
	v_add_f64 v[6:7], v[6:7], -v[20:21]
	v_fma_f64 v[106:107], v[108:109], v[18:19], v[106:107]
	v_add_f64 v[8:9], v[8:9], -v[106:107]
	ds_read2_b64 v[106:109], v1 offset0:48 offset1:49
	s_waitcnt lgkmcnt(0)
	v_mul_f64 v[20:21], v[108:109], v[110:111]
	v_fma_f64 v[20:21], v[106:107], v[18:19], -v[20:21]
	v_mul_f64 v[106:107], v[106:107], v[110:111]
	v_add_f64 v[2:3], v[2:3], -v[20:21]
	v_fma_f64 v[106:107], v[108:109], v[18:19], v[106:107]
	v_add_f64 v[4:5], v[4:5], -v[106:107]
	ds_read2_b64 v[106:109], v1 offset0:50 offset1:51
	s_waitcnt lgkmcnt(0)
	v_mul_f64 v[20:21], v[108:109], v[110:111]
	v_fma_f64 v[20:21], v[106:107], v[18:19], -v[20:21]
	v_mul_f64 v[106:107], v[106:107], v[110:111]
	v_add_f64 v[102:103], v[102:103], -v[20:21]
	v_fma_f64 v[106:107], v[108:109], v[18:19], v[106:107]
	v_mov_b32_e32 v20, v110
	v_mov_b32_e32 v21, v111
	v_add_f64 v[104:105], v[104:105], -v[106:107]
.LBB50_442:
	s_or_b64 exec, exec, s[0:1]
	v_lshl_add_u32 v106, v116, 4, v1
	s_barrier
	ds_write2_b64 v106, v[14:15], v[16:17] offset1:1
	s_waitcnt lgkmcnt(0)
	s_barrier
	ds_read2_b64 v[106:109], v1 offset0:42 offset1:43
	s_cmp_lt_i32 s22, 23
	v_mov_b32_e32 v114, 21
	s_cbranch_scc1 .LBB50_445
; %bb.443:
	v_add_u32_e32 v115, 0x160, v1
	s_mov_b32 s0, 22
	v_mov_b32_e32 v114, 21
.LBB50_444:                             ; =>This Inner Loop Header: Depth=1
	s_waitcnt lgkmcnt(0)
	v_cmp_gt_f64_e32 vcc, 0, v[106:107]
	v_xor_b32_e32 v110, 0x80000000, v107
	ds_read2_b64 v[120:123], v115 offset1:1
	v_xor_b32_e32 v112, 0x80000000, v109
	v_add_u32_e32 v115, 16, v115
	s_waitcnt lgkmcnt(0)
	v_xor_b32_e32 v124, 0x80000000, v123
	v_cndmask_b32_e32 v111, v107, v110, vcc
	v_cmp_gt_f64_e32 vcc, 0, v[108:109]
	v_mov_b32_e32 v110, v106
	v_cndmask_b32_e32 v113, v109, v112, vcc
	v_cmp_gt_f64_e32 vcc, 0, v[120:121]
	v_mov_b32_e32 v112, v108
	v_add_f64 v[110:111], v[110:111], v[112:113]
	v_xor_b32_e32 v112, 0x80000000, v121
	v_cndmask_b32_e32 v113, v121, v112, vcc
	v_cmp_gt_f64_e32 vcc, 0, v[122:123]
	v_mov_b32_e32 v112, v120
	v_cndmask_b32_e32 v125, v123, v124, vcc
	v_mov_b32_e32 v124, v122
	v_add_f64 v[112:113], v[112:113], v[124:125]
	v_cmp_lt_f64_e32 vcc, v[110:111], v[112:113]
	v_mov_b32_e32 v110, s0
	s_add_i32 s0, s0, 1
	s_cmp_lg_u32 s22, s0
	v_cndmask_b32_e32 v107, v107, v121, vcc
	v_cndmask_b32_e32 v106, v106, v120, vcc
	;; [unrolled: 1-line block ×5, first 2 shown]
	s_cbranch_scc1 .LBB50_444
.LBB50_445:
	s_waitcnt lgkmcnt(0)
	v_cmp_eq_f64_e32 vcc, 0, v[106:107]
	v_cmp_eq_f64_e64 s[0:1], 0, v[108:109]
	s_and_b64 s[0:1], vcc, s[0:1]
	s_and_saveexec_b64 s[8:9], s[0:1]
	s_xor_b64 s[0:1], exec, s[8:9]
; %bb.446:
	v_cmp_ne_u32_e32 vcc, 0, v119
	v_cndmask_b32_e32 v119, 22, v119, vcc
; %bb.447:
	s_andn2_saveexec_b64 s[0:1], s[0:1]
	s_cbranch_execz .LBB50_453
; %bb.448:
	v_cmp_ngt_f64_e64 s[8:9], |v[106:107]|, |v[108:109]|
	s_and_saveexec_b64 s[20:21], s[8:9]
	s_xor_b64 s[8:9], exec, s[20:21]
	s_cbranch_execz .LBB50_450
; %bb.449:
	v_div_scale_f64 v[110:111], s[20:21], v[108:109], v[108:109], v[106:107]
	v_rcp_f64_e32 v[112:113], v[110:111]
	v_fma_f64 v[120:121], -v[110:111], v[112:113], 1.0
	v_fma_f64 v[112:113], v[112:113], v[120:121], v[112:113]
	v_div_scale_f64 v[120:121], vcc, v[106:107], v[108:109], v[106:107]
	v_fma_f64 v[122:123], -v[110:111], v[112:113], 1.0
	v_fma_f64 v[112:113], v[112:113], v[122:123], v[112:113]
	v_mul_f64 v[122:123], v[120:121], v[112:113]
	v_fma_f64 v[110:111], -v[110:111], v[122:123], v[120:121]
	v_div_fmas_f64 v[110:111], v[110:111], v[112:113], v[122:123]
	v_div_fixup_f64 v[110:111], v[110:111], v[108:109], v[106:107]
	v_fma_f64 v[106:107], v[106:107], v[110:111], v[108:109]
	v_div_scale_f64 v[108:109], s[20:21], v[106:107], v[106:107], 1.0
	v_div_scale_f64 v[122:123], vcc, 1.0, v[106:107], 1.0
	v_rcp_f64_e32 v[112:113], v[108:109]
	v_fma_f64 v[120:121], -v[108:109], v[112:113], 1.0
	v_fma_f64 v[112:113], v[112:113], v[120:121], v[112:113]
	v_fma_f64 v[120:121], -v[108:109], v[112:113], 1.0
	v_fma_f64 v[112:113], v[112:113], v[120:121], v[112:113]
	v_mul_f64 v[120:121], v[122:123], v[112:113]
	v_fma_f64 v[108:109], -v[108:109], v[120:121], v[122:123]
	v_div_fmas_f64 v[108:109], v[108:109], v[112:113], v[120:121]
	v_div_fixup_f64 v[108:109], v[108:109], v[106:107], 1.0
	v_mul_f64 v[106:107], v[110:111], v[108:109]
	v_xor_b32_e32 v109, 0x80000000, v109
.LBB50_450:
	s_andn2_saveexec_b64 s[8:9], s[8:9]
	s_cbranch_execz .LBB50_452
; %bb.451:
	v_div_scale_f64 v[110:111], s[20:21], v[106:107], v[106:107], v[108:109]
	v_rcp_f64_e32 v[112:113], v[110:111]
	v_fma_f64 v[120:121], -v[110:111], v[112:113], 1.0
	v_fma_f64 v[112:113], v[112:113], v[120:121], v[112:113]
	v_div_scale_f64 v[120:121], vcc, v[108:109], v[106:107], v[108:109]
	v_fma_f64 v[122:123], -v[110:111], v[112:113], 1.0
	v_fma_f64 v[112:113], v[112:113], v[122:123], v[112:113]
	v_mul_f64 v[122:123], v[120:121], v[112:113]
	v_fma_f64 v[110:111], -v[110:111], v[122:123], v[120:121]
	v_div_fmas_f64 v[110:111], v[110:111], v[112:113], v[122:123]
	v_div_fixup_f64 v[110:111], v[110:111], v[106:107], v[108:109]
	v_fma_f64 v[106:107], v[108:109], v[110:111], v[106:107]
	v_div_scale_f64 v[108:109], s[20:21], v[106:107], v[106:107], 1.0
	v_div_scale_f64 v[122:123], vcc, 1.0, v[106:107], 1.0
	v_rcp_f64_e32 v[112:113], v[108:109]
	v_fma_f64 v[120:121], -v[108:109], v[112:113], 1.0
	v_fma_f64 v[112:113], v[112:113], v[120:121], v[112:113]
	v_fma_f64 v[120:121], -v[108:109], v[112:113], 1.0
	v_fma_f64 v[112:113], v[112:113], v[120:121], v[112:113]
	v_mul_f64 v[120:121], v[122:123], v[112:113]
	v_fma_f64 v[108:109], -v[108:109], v[120:121], v[122:123]
	v_div_fmas_f64 v[108:109], v[108:109], v[112:113], v[120:121]
	v_div_fixup_f64 v[106:107], v[108:109], v[106:107], 1.0
	v_mul_f64 v[108:109], v[110:111], -v[106:107]
.LBB50_452:
	s_or_b64 exec, exec, s[8:9]
.LBB50_453:
	s_or_b64 exec, exec, s[0:1]
	v_cmp_ne_u32_e32 vcc, v116, v114
	s_and_saveexec_b64 s[0:1], vcc
	s_xor_b64 s[0:1], exec, s[0:1]
	s_cbranch_execz .LBB50_459
; %bb.454:
	v_cmp_eq_u32_e32 vcc, 21, v116
	s_and_saveexec_b64 s[8:9], vcc
	s_cbranch_execz .LBB50_458
; %bb.455:
	v_cmp_ne_u32_e32 vcc, 21, v114
	s_xor_b64 s[20:21], s[18:19], -1
	s_and_b64 s[24:25], s[20:21], vcc
	s_and_saveexec_b64 s[20:21], s[24:25]
	s_cbranch_execz .LBB50_457
; %bb.456:
	v_ashrrev_i32_e32 v115, 31, v114
	v_lshlrev_b64 v[110:111], 2, v[114:115]
	v_add_co_u32_e32 v110, vcc, v126, v110
	v_addc_co_u32_e32 v111, vcc, v127, v111, vcc
	global_load_dword v0, v[110:111], off
	global_load_dword v112, v[126:127], off offset:84
	s_waitcnt vmcnt(1)
	global_store_dword v[126:127], v0, off offset:84
	s_waitcnt vmcnt(1)
	global_store_dword v[110:111], v112, off
.LBB50_457:
	s_or_b64 exec, exec, s[20:21]
	v_mov_b32_e32 v116, v114
	v_mov_b32_e32 v0, v114
.LBB50_458:
	s_or_b64 exec, exec, s[8:9]
.LBB50_459:
	s_andn2_saveexec_b64 s[0:1], s[0:1]
	s_cbranch_execz .LBB50_461
; %bb.460:
	v_mov_b32_e32 v116, 21
	ds_write2_b64 v1, v[10:11], v[12:13] offset0:44 offset1:45
	ds_write2_b64 v1, v[6:7], v[8:9] offset0:46 offset1:47
	;; [unrolled: 1-line block ×4, first 2 shown]
.LBB50_461:
	s_or_b64 exec, exec, s[0:1]
	v_cmp_lt_i32_e32 vcc, 21, v116
	s_waitcnt vmcnt(0) lgkmcnt(0)
	s_barrier
	s_and_saveexec_b64 s[0:1], vcc
	s_cbranch_execz .LBB50_463
; %bb.462:
	v_mul_f64 v[110:111], v[106:107], v[16:17]
	v_mul_f64 v[16:17], v[108:109], v[16:17]
	v_fma_f64 v[110:111], v[108:109], v[14:15], v[110:111]
	v_fma_f64 v[14:15], v[106:107], v[14:15], -v[16:17]
	ds_read2_b64 v[106:109], v1 offset0:44 offset1:45
	s_waitcnt lgkmcnt(0)
	v_mul_f64 v[16:17], v[108:109], v[110:111]
	v_fma_f64 v[16:17], v[106:107], v[14:15], -v[16:17]
	v_mul_f64 v[106:107], v[106:107], v[110:111]
	v_add_f64 v[10:11], v[10:11], -v[16:17]
	v_fma_f64 v[106:107], v[108:109], v[14:15], v[106:107]
	v_add_f64 v[12:13], v[12:13], -v[106:107]
	ds_read2_b64 v[106:109], v1 offset0:46 offset1:47
	s_waitcnt lgkmcnt(0)
	v_mul_f64 v[16:17], v[108:109], v[110:111]
	v_fma_f64 v[16:17], v[106:107], v[14:15], -v[16:17]
	v_mul_f64 v[106:107], v[106:107], v[110:111]
	v_add_f64 v[6:7], v[6:7], -v[16:17]
	v_fma_f64 v[106:107], v[108:109], v[14:15], v[106:107]
	v_add_f64 v[8:9], v[8:9], -v[106:107]
	;; [unrolled: 8-line block ×3, first 2 shown]
	ds_read2_b64 v[106:109], v1 offset0:50 offset1:51
	s_waitcnt lgkmcnt(0)
	v_mul_f64 v[16:17], v[108:109], v[110:111]
	v_fma_f64 v[16:17], v[106:107], v[14:15], -v[16:17]
	v_mul_f64 v[106:107], v[106:107], v[110:111]
	v_add_f64 v[102:103], v[102:103], -v[16:17]
	v_fma_f64 v[106:107], v[108:109], v[14:15], v[106:107]
	v_mov_b32_e32 v16, v110
	v_mov_b32_e32 v17, v111
	v_add_f64 v[104:105], v[104:105], -v[106:107]
.LBB50_463:
	s_or_b64 exec, exec, s[0:1]
	v_lshl_add_u32 v106, v116, 4, v1
	s_barrier
	ds_write2_b64 v106, v[10:11], v[12:13] offset1:1
	s_waitcnt lgkmcnt(0)
	s_barrier
	ds_read2_b64 v[106:109], v1 offset0:44 offset1:45
	s_cmp_lt_i32 s22, 24
	v_mov_b32_e32 v114, 22
	s_cbranch_scc1 .LBB50_466
; %bb.464:
	v_add_u32_e32 v115, 0x170, v1
	s_mov_b32 s0, 23
	v_mov_b32_e32 v114, 22
.LBB50_465:                             ; =>This Inner Loop Header: Depth=1
	s_waitcnt lgkmcnt(0)
	v_cmp_gt_f64_e32 vcc, 0, v[106:107]
	v_xor_b32_e32 v110, 0x80000000, v107
	ds_read2_b64 v[120:123], v115 offset1:1
	v_xor_b32_e32 v112, 0x80000000, v109
	v_add_u32_e32 v115, 16, v115
	s_waitcnt lgkmcnt(0)
	v_xor_b32_e32 v124, 0x80000000, v123
	v_cndmask_b32_e32 v111, v107, v110, vcc
	v_cmp_gt_f64_e32 vcc, 0, v[108:109]
	v_mov_b32_e32 v110, v106
	v_cndmask_b32_e32 v113, v109, v112, vcc
	v_cmp_gt_f64_e32 vcc, 0, v[120:121]
	v_mov_b32_e32 v112, v108
	v_add_f64 v[110:111], v[110:111], v[112:113]
	v_xor_b32_e32 v112, 0x80000000, v121
	v_cndmask_b32_e32 v113, v121, v112, vcc
	v_cmp_gt_f64_e32 vcc, 0, v[122:123]
	v_mov_b32_e32 v112, v120
	v_cndmask_b32_e32 v125, v123, v124, vcc
	v_mov_b32_e32 v124, v122
	v_add_f64 v[112:113], v[112:113], v[124:125]
	v_cmp_lt_f64_e32 vcc, v[110:111], v[112:113]
	v_mov_b32_e32 v110, s0
	s_add_i32 s0, s0, 1
	s_cmp_lg_u32 s22, s0
	v_cndmask_b32_e32 v107, v107, v121, vcc
	v_cndmask_b32_e32 v106, v106, v120, vcc
	;; [unrolled: 1-line block ×5, first 2 shown]
	s_cbranch_scc1 .LBB50_465
.LBB50_466:
	s_waitcnt lgkmcnt(0)
	v_cmp_eq_f64_e32 vcc, 0, v[106:107]
	v_cmp_eq_f64_e64 s[0:1], 0, v[108:109]
	s_and_b64 s[0:1], vcc, s[0:1]
	s_and_saveexec_b64 s[8:9], s[0:1]
	s_xor_b64 s[0:1], exec, s[8:9]
; %bb.467:
	v_cmp_ne_u32_e32 vcc, 0, v119
	v_cndmask_b32_e32 v119, 23, v119, vcc
; %bb.468:
	s_andn2_saveexec_b64 s[0:1], s[0:1]
	s_cbranch_execz .LBB50_474
; %bb.469:
	v_cmp_ngt_f64_e64 s[8:9], |v[106:107]|, |v[108:109]|
	s_and_saveexec_b64 s[20:21], s[8:9]
	s_xor_b64 s[8:9], exec, s[20:21]
	s_cbranch_execz .LBB50_471
; %bb.470:
	v_div_scale_f64 v[110:111], s[20:21], v[108:109], v[108:109], v[106:107]
	v_rcp_f64_e32 v[112:113], v[110:111]
	v_fma_f64 v[120:121], -v[110:111], v[112:113], 1.0
	v_fma_f64 v[112:113], v[112:113], v[120:121], v[112:113]
	v_div_scale_f64 v[120:121], vcc, v[106:107], v[108:109], v[106:107]
	v_fma_f64 v[122:123], -v[110:111], v[112:113], 1.0
	v_fma_f64 v[112:113], v[112:113], v[122:123], v[112:113]
	v_mul_f64 v[122:123], v[120:121], v[112:113]
	v_fma_f64 v[110:111], -v[110:111], v[122:123], v[120:121]
	v_div_fmas_f64 v[110:111], v[110:111], v[112:113], v[122:123]
	v_div_fixup_f64 v[110:111], v[110:111], v[108:109], v[106:107]
	v_fma_f64 v[106:107], v[106:107], v[110:111], v[108:109]
	v_div_scale_f64 v[108:109], s[20:21], v[106:107], v[106:107], 1.0
	v_div_scale_f64 v[122:123], vcc, 1.0, v[106:107], 1.0
	v_rcp_f64_e32 v[112:113], v[108:109]
	v_fma_f64 v[120:121], -v[108:109], v[112:113], 1.0
	v_fma_f64 v[112:113], v[112:113], v[120:121], v[112:113]
	v_fma_f64 v[120:121], -v[108:109], v[112:113], 1.0
	v_fma_f64 v[112:113], v[112:113], v[120:121], v[112:113]
	v_mul_f64 v[120:121], v[122:123], v[112:113]
	v_fma_f64 v[108:109], -v[108:109], v[120:121], v[122:123]
	v_div_fmas_f64 v[108:109], v[108:109], v[112:113], v[120:121]
	v_div_fixup_f64 v[108:109], v[108:109], v[106:107], 1.0
	v_mul_f64 v[106:107], v[110:111], v[108:109]
	v_xor_b32_e32 v109, 0x80000000, v109
.LBB50_471:
	s_andn2_saveexec_b64 s[8:9], s[8:9]
	s_cbranch_execz .LBB50_473
; %bb.472:
	v_div_scale_f64 v[110:111], s[20:21], v[106:107], v[106:107], v[108:109]
	v_rcp_f64_e32 v[112:113], v[110:111]
	v_fma_f64 v[120:121], -v[110:111], v[112:113], 1.0
	v_fma_f64 v[112:113], v[112:113], v[120:121], v[112:113]
	v_div_scale_f64 v[120:121], vcc, v[108:109], v[106:107], v[108:109]
	v_fma_f64 v[122:123], -v[110:111], v[112:113], 1.0
	v_fma_f64 v[112:113], v[112:113], v[122:123], v[112:113]
	v_mul_f64 v[122:123], v[120:121], v[112:113]
	v_fma_f64 v[110:111], -v[110:111], v[122:123], v[120:121]
	v_div_fmas_f64 v[110:111], v[110:111], v[112:113], v[122:123]
	v_div_fixup_f64 v[110:111], v[110:111], v[106:107], v[108:109]
	v_fma_f64 v[106:107], v[108:109], v[110:111], v[106:107]
	v_div_scale_f64 v[108:109], s[20:21], v[106:107], v[106:107], 1.0
	v_div_scale_f64 v[122:123], vcc, 1.0, v[106:107], 1.0
	v_rcp_f64_e32 v[112:113], v[108:109]
	v_fma_f64 v[120:121], -v[108:109], v[112:113], 1.0
	v_fma_f64 v[112:113], v[112:113], v[120:121], v[112:113]
	v_fma_f64 v[120:121], -v[108:109], v[112:113], 1.0
	v_fma_f64 v[112:113], v[112:113], v[120:121], v[112:113]
	v_mul_f64 v[120:121], v[122:123], v[112:113]
	v_fma_f64 v[108:109], -v[108:109], v[120:121], v[122:123]
	v_div_fmas_f64 v[108:109], v[108:109], v[112:113], v[120:121]
	v_div_fixup_f64 v[106:107], v[108:109], v[106:107], 1.0
	v_mul_f64 v[108:109], v[110:111], -v[106:107]
.LBB50_473:
	s_or_b64 exec, exec, s[8:9]
.LBB50_474:
	s_or_b64 exec, exec, s[0:1]
	v_cmp_ne_u32_e32 vcc, v116, v114
	s_and_saveexec_b64 s[0:1], vcc
	s_xor_b64 s[0:1], exec, s[0:1]
	s_cbranch_execz .LBB50_480
; %bb.475:
	v_cmp_eq_u32_e32 vcc, 22, v116
	s_and_saveexec_b64 s[8:9], vcc
	s_cbranch_execz .LBB50_479
; %bb.476:
	v_cmp_ne_u32_e32 vcc, 22, v114
	s_xor_b64 s[20:21], s[18:19], -1
	s_and_b64 s[24:25], s[20:21], vcc
	s_and_saveexec_b64 s[20:21], s[24:25]
	s_cbranch_execz .LBB50_478
; %bb.477:
	v_ashrrev_i32_e32 v115, 31, v114
	v_lshlrev_b64 v[110:111], 2, v[114:115]
	v_add_co_u32_e32 v110, vcc, v126, v110
	v_addc_co_u32_e32 v111, vcc, v127, v111, vcc
	global_load_dword v0, v[110:111], off
	global_load_dword v112, v[126:127], off offset:88
	s_waitcnt vmcnt(1)
	global_store_dword v[126:127], v0, off offset:88
	s_waitcnt vmcnt(1)
	global_store_dword v[110:111], v112, off
.LBB50_478:
	s_or_b64 exec, exec, s[20:21]
	v_mov_b32_e32 v116, v114
	v_mov_b32_e32 v0, v114
.LBB50_479:
	s_or_b64 exec, exec, s[8:9]
.LBB50_480:
	s_andn2_saveexec_b64 s[0:1], s[0:1]
	s_cbranch_execz .LBB50_482
; %bb.481:
	v_mov_b32_e32 v116, 22
	ds_write2_b64 v1, v[6:7], v[8:9] offset0:46 offset1:47
	ds_write2_b64 v1, v[2:3], v[4:5] offset0:48 offset1:49
	;; [unrolled: 1-line block ×3, first 2 shown]
.LBB50_482:
	s_or_b64 exec, exec, s[0:1]
	v_cmp_lt_i32_e32 vcc, 22, v116
	s_waitcnt vmcnt(0) lgkmcnt(0)
	s_barrier
	s_and_saveexec_b64 s[0:1], vcc
	s_cbranch_execz .LBB50_484
; %bb.483:
	v_mul_f64 v[110:111], v[106:107], v[12:13]
	v_mul_f64 v[12:13], v[108:109], v[12:13]
	v_fma_f64 v[110:111], v[108:109], v[10:11], v[110:111]
	v_fma_f64 v[10:11], v[106:107], v[10:11], -v[12:13]
	ds_read2_b64 v[106:109], v1 offset0:46 offset1:47
	s_waitcnt lgkmcnt(0)
	v_mul_f64 v[12:13], v[108:109], v[110:111]
	v_fma_f64 v[12:13], v[106:107], v[10:11], -v[12:13]
	v_mul_f64 v[106:107], v[106:107], v[110:111]
	v_add_f64 v[6:7], v[6:7], -v[12:13]
	v_fma_f64 v[106:107], v[108:109], v[10:11], v[106:107]
	v_add_f64 v[8:9], v[8:9], -v[106:107]
	ds_read2_b64 v[106:109], v1 offset0:48 offset1:49
	s_waitcnt lgkmcnt(0)
	v_mul_f64 v[12:13], v[108:109], v[110:111]
	v_fma_f64 v[12:13], v[106:107], v[10:11], -v[12:13]
	v_mul_f64 v[106:107], v[106:107], v[110:111]
	v_add_f64 v[2:3], v[2:3], -v[12:13]
	v_fma_f64 v[106:107], v[108:109], v[10:11], v[106:107]
	v_add_f64 v[4:5], v[4:5], -v[106:107]
	ds_read2_b64 v[106:109], v1 offset0:50 offset1:51
	s_waitcnt lgkmcnt(0)
	v_mul_f64 v[12:13], v[108:109], v[110:111]
	v_fma_f64 v[12:13], v[106:107], v[10:11], -v[12:13]
	v_mul_f64 v[106:107], v[106:107], v[110:111]
	v_add_f64 v[102:103], v[102:103], -v[12:13]
	v_fma_f64 v[106:107], v[108:109], v[10:11], v[106:107]
	v_mov_b32_e32 v12, v110
	v_mov_b32_e32 v13, v111
	v_add_f64 v[104:105], v[104:105], -v[106:107]
.LBB50_484:
	s_or_b64 exec, exec, s[0:1]
	v_lshl_add_u32 v106, v116, 4, v1
	s_barrier
	ds_write2_b64 v106, v[6:7], v[8:9] offset1:1
	s_waitcnt lgkmcnt(0)
	s_barrier
	ds_read2_b64 v[106:109], v1 offset0:46 offset1:47
	s_cmp_lt_i32 s22, 25
	v_mov_b32_e32 v114, 23
	s_cbranch_scc1 .LBB50_487
; %bb.485:
	v_add_u32_e32 v115, 0x180, v1
	s_mov_b32 s0, 24
	v_mov_b32_e32 v114, 23
.LBB50_486:                             ; =>This Inner Loop Header: Depth=1
	s_waitcnt lgkmcnt(0)
	v_cmp_gt_f64_e32 vcc, 0, v[106:107]
	v_xor_b32_e32 v110, 0x80000000, v107
	ds_read2_b64 v[120:123], v115 offset1:1
	v_xor_b32_e32 v112, 0x80000000, v109
	v_add_u32_e32 v115, 16, v115
	s_waitcnt lgkmcnt(0)
	v_xor_b32_e32 v124, 0x80000000, v123
	v_cndmask_b32_e32 v111, v107, v110, vcc
	v_cmp_gt_f64_e32 vcc, 0, v[108:109]
	v_mov_b32_e32 v110, v106
	v_cndmask_b32_e32 v113, v109, v112, vcc
	v_cmp_gt_f64_e32 vcc, 0, v[120:121]
	v_mov_b32_e32 v112, v108
	v_add_f64 v[110:111], v[110:111], v[112:113]
	v_xor_b32_e32 v112, 0x80000000, v121
	v_cndmask_b32_e32 v113, v121, v112, vcc
	v_cmp_gt_f64_e32 vcc, 0, v[122:123]
	v_mov_b32_e32 v112, v120
	v_cndmask_b32_e32 v125, v123, v124, vcc
	v_mov_b32_e32 v124, v122
	v_add_f64 v[112:113], v[112:113], v[124:125]
	v_cmp_lt_f64_e32 vcc, v[110:111], v[112:113]
	v_mov_b32_e32 v110, s0
	s_add_i32 s0, s0, 1
	s_cmp_lg_u32 s22, s0
	v_cndmask_b32_e32 v107, v107, v121, vcc
	v_cndmask_b32_e32 v106, v106, v120, vcc
	;; [unrolled: 1-line block ×5, first 2 shown]
	s_cbranch_scc1 .LBB50_486
.LBB50_487:
	s_waitcnt lgkmcnt(0)
	v_cmp_eq_f64_e32 vcc, 0, v[106:107]
	v_cmp_eq_f64_e64 s[0:1], 0, v[108:109]
	s_and_b64 s[0:1], vcc, s[0:1]
	s_and_saveexec_b64 s[8:9], s[0:1]
	s_xor_b64 s[0:1], exec, s[8:9]
; %bb.488:
	v_cmp_ne_u32_e32 vcc, 0, v119
	v_cndmask_b32_e32 v119, 24, v119, vcc
; %bb.489:
	s_andn2_saveexec_b64 s[0:1], s[0:1]
	s_cbranch_execz .LBB50_495
; %bb.490:
	v_cmp_ngt_f64_e64 s[8:9], |v[106:107]|, |v[108:109]|
	s_and_saveexec_b64 s[20:21], s[8:9]
	s_xor_b64 s[8:9], exec, s[20:21]
	s_cbranch_execz .LBB50_492
; %bb.491:
	v_div_scale_f64 v[110:111], s[20:21], v[108:109], v[108:109], v[106:107]
	v_rcp_f64_e32 v[112:113], v[110:111]
	v_fma_f64 v[120:121], -v[110:111], v[112:113], 1.0
	v_fma_f64 v[112:113], v[112:113], v[120:121], v[112:113]
	v_div_scale_f64 v[120:121], vcc, v[106:107], v[108:109], v[106:107]
	v_fma_f64 v[122:123], -v[110:111], v[112:113], 1.0
	v_fma_f64 v[112:113], v[112:113], v[122:123], v[112:113]
	v_mul_f64 v[122:123], v[120:121], v[112:113]
	v_fma_f64 v[110:111], -v[110:111], v[122:123], v[120:121]
	v_div_fmas_f64 v[110:111], v[110:111], v[112:113], v[122:123]
	v_div_fixup_f64 v[110:111], v[110:111], v[108:109], v[106:107]
	v_fma_f64 v[106:107], v[106:107], v[110:111], v[108:109]
	v_div_scale_f64 v[108:109], s[20:21], v[106:107], v[106:107], 1.0
	v_div_scale_f64 v[122:123], vcc, 1.0, v[106:107], 1.0
	v_rcp_f64_e32 v[112:113], v[108:109]
	v_fma_f64 v[120:121], -v[108:109], v[112:113], 1.0
	v_fma_f64 v[112:113], v[112:113], v[120:121], v[112:113]
	v_fma_f64 v[120:121], -v[108:109], v[112:113], 1.0
	v_fma_f64 v[112:113], v[112:113], v[120:121], v[112:113]
	v_mul_f64 v[120:121], v[122:123], v[112:113]
	v_fma_f64 v[108:109], -v[108:109], v[120:121], v[122:123]
	v_div_fmas_f64 v[108:109], v[108:109], v[112:113], v[120:121]
	v_div_fixup_f64 v[108:109], v[108:109], v[106:107], 1.0
	v_mul_f64 v[106:107], v[110:111], v[108:109]
	v_xor_b32_e32 v109, 0x80000000, v109
.LBB50_492:
	s_andn2_saveexec_b64 s[8:9], s[8:9]
	s_cbranch_execz .LBB50_494
; %bb.493:
	v_div_scale_f64 v[110:111], s[20:21], v[106:107], v[106:107], v[108:109]
	v_rcp_f64_e32 v[112:113], v[110:111]
	v_fma_f64 v[120:121], -v[110:111], v[112:113], 1.0
	v_fma_f64 v[112:113], v[112:113], v[120:121], v[112:113]
	v_div_scale_f64 v[120:121], vcc, v[108:109], v[106:107], v[108:109]
	v_fma_f64 v[122:123], -v[110:111], v[112:113], 1.0
	v_fma_f64 v[112:113], v[112:113], v[122:123], v[112:113]
	v_mul_f64 v[122:123], v[120:121], v[112:113]
	v_fma_f64 v[110:111], -v[110:111], v[122:123], v[120:121]
	v_div_fmas_f64 v[110:111], v[110:111], v[112:113], v[122:123]
	v_div_fixup_f64 v[110:111], v[110:111], v[106:107], v[108:109]
	v_fma_f64 v[106:107], v[108:109], v[110:111], v[106:107]
	v_div_scale_f64 v[108:109], s[20:21], v[106:107], v[106:107], 1.0
	v_div_scale_f64 v[122:123], vcc, 1.0, v[106:107], 1.0
	v_rcp_f64_e32 v[112:113], v[108:109]
	v_fma_f64 v[120:121], -v[108:109], v[112:113], 1.0
	v_fma_f64 v[112:113], v[112:113], v[120:121], v[112:113]
	v_fma_f64 v[120:121], -v[108:109], v[112:113], 1.0
	v_fma_f64 v[112:113], v[112:113], v[120:121], v[112:113]
	v_mul_f64 v[120:121], v[122:123], v[112:113]
	v_fma_f64 v[108:109], -v[108:109], v[120:121], v[122:123]
	v_div_fmas_f64 v[108:109], v[108:109], v[112:113], v[120:121]
	v_div_fixup_f64 v[106:107], v[108:109], v[106:107], 1.0
	v_mul_f64 v[108:109], v[110:111], -v[106:107]
.LBB50_494:
	s_or_b64 exec, exec, s[8:9]
.LBB50_495:
	s_or_b64 exec, exec, s[0:1]
	v_cmp_ne_u32_e32 vcc, v116, v114
	s_and_saveexec_b64 s[0:1], vcc
	s_xor_b64 s[0:1], exec, s[0:1]
	s_cbranch_execz .LBB50_501
; %bb.496:
	v_cmp_eq_u32_e32 vcc, 23, v116
	s_and_saveexec_b64 s[8:9], vcc
	s_cbranch_execz .LBB50_500
; %bb.497:
	v_cmp_ne_u32_e32 vcc, 23, v114
	s_xor_b64 s[20:21], s[18:19], -1
	s_and_b64 s[24:25], s[20:21], vcc
	s_and_saveexec_b64 s[20:21], s[24:25]
	s_cbranch_execz .LBB50_499
; %bb.498:
	v_ashrrev_i32_e32 v115, 31, v114
	v_lshlrev_b64 v[110:111], 2, v[114:115]
	v_add_co_u32_e32 v110, vcc, v126, v110
	v_addc_co_u32_e32 v111, vcc, v127, v111, vcc
	global_load_dword v0, v[110:111], off
	global_load_dword v112, v[126:127], off offset:92
	s_waitcnt vmcnt(1)
	global_store_dword v[126:127], v0, off offset:92
	s_waitcnt vmcnt(1)
	global_store_dword v[110:111], v112, off
.LBB50_499:
	s_or_b64 exec, exec, s[20:21]
	v_mov_b32_e32 v116, v114
	v_mov_b32_e32 v0, v114
.LBB50_500:
	s_or_b64 exec, exec, s[8:9]
.LBB50_501:
	s_andn2_saveexec_b64 s[0:1], s[0:1]
	s_cbranch_execz .LBB50_503
; %bb.502:
	v_mov_b32_e32 v116, 23
	ds_write2_b64 v1, v[2:3], v[4:5] offset0:48 offset1:49
	ds_write2_b64 v1, v[102:103], v[104:105] offset0:50 offset1:51
.LBB50_503:
	s_or_b64 exec, exec, s[0:1]
	v_cmp_lt_i32_e32 vcc, 23, v116
	s_waitcnt vmcnt(0) lgkmcnt(0)
	s_barrier
	s_and_saveexec_b64 s[0:1], vcc
	s_cbranch_execz .LBB50_505
; %bb.504:
	v_mul_f64 v[110:111], v[106:107], v[8:9]
	v_mul_f64 v[8:9], v[108:109], v[8:9]
	v_fma_f64 v[110:111], v[108:109], v[6:7], v[110:111]
	v_fma_f64 v[6:7], v[106:107], v[6:7], -v[8:9]
	ds_read2_b64 v[106:109], v1 offset0:48 offset1:49
	s_waitcnt lgkmcnt(0)
	v_mul_f64 v[8:9], v[108:109], v[110:111]
	v_fma_f64 v[8:9], v[106:107], v[6:7], -v[8:9]
	v_mul_f64 v[106:107], v[106:107], v[110:111]
	v_add_f64 v[2:3], v[2:3], -v[8:9]
	v_fma_f64 v[106:107], v[108:109], v[6:7], v[106:107]
	v_add_f64 v[4:5], v[4:5], -v[106:107]
	ds_read2_b64 v[106:109], v1 offset0:50 offset1:51
	s_waitcnt lgkmcnt(0)
	v_mul_f64 v[8:9], v[108:109], v[110:111]
	v_fma_f64 v[8:9], v[106:107], v[6:7], -v[8:9]
	v_mul_f64 v[106:107], v[106:107], v[110:111]
	v_add_f64 v[102:103], v[102:103], -v[8:9]
	v_fma_f64 v[106:107], v[108:109], v[6:7], v[106:107]
	v_mov_b32_e32 v8, v110
	v_mov_b32_e32 v9, v111
	v_add_f64 v[104:105], v[104:105], -v[106:107]
.LBB50_505:
	s_or_b64 exec, exec, s[0:1]
	v_lshl_add_u32 v106, v116, 4, v1
	s_barrier
	ds_write2_b64 v106, v[2:3], v[4:5] offset1:1
	s_waitcnt lgkmcnt(0)
	s_barrier
	ds_read2_b64 v[106:109], v1 offset0:48 offset1:49
	s_cmp_lt_i32 s22, 26
	v_mov_b32_e32 v114, 24
	s_cbranch_scc1 .LBB50_508
; %bb.506:
	v_add_u32_e32 v115, 0x190, v1
	s_mov_b32 s0, 25
	v_mov_b32_e32 v114, 24
.LBB50_507:                             ; =>This Inner Loop Header: Depth=1
	s_waitcnt lgkmcnt(0)
	v_cmp_gt_f64_e32 vcc, 0, v[106:107]
	v_xor_b32_e32 v110, 0x80000000, v107
	ds_read2_b64 v[120:123], v115 offset1:1
	v_xor_b32_e32 v112, 0x80000000, v109
	v_add_u32_e32 v115, 16, v115
	s_waitcnt lgkmcnt(0)
	v_xor_b32_e32 v124, 0x80000000, v123
	v_cndmask_b32_e32 v111, v107, v110, vcc
	v_cmp_gt_f64_e32 vcc, 0, v[108:109]
	v_mov_b32_e32 v110, v106
	v_cndmask_b32_e32 v113, v109, v112, vcc
	v_cmp_gt_f64_e32 vcc, 0, v[120:121]
	v_mov_b32_e32 v112, v108
	v_add_f64 v[110:111], v[110:111], v[112:113]
	v_xor_b32_e32 v112, 0x80000000, v121
	v_cndmask_b32_e32 v113, v121, v112, vcc
	v_cmp_gt_f64_e32 vcc, 0, v[122:123]
	v_mov_b32_e32 v112, v120
	v_cndmask_b32_e32 v125, v123, v124, vcc
	v_mov_b32_e32 v124, v122
	v_add_f64 v[112:113], v[112:113], v[124:125]
	v_cmp_lt_f64_e32 vcc, v[110:111], v[112:113]
	v_mov_b32_e32 v110, s0
	s_add_i32 s0, s0, 1
	s_cmp_lg_u32 s22, s0
	v_cndmask_b32_e32 v107, v107, v121, vcc
	v_cndmask_b32_e32 v106, v106, v120, vcc
	;; [unrolled: 1-line block ×5, first 2 shown]
	s_cbranch_scc1 .LBB50_507
.LBB50_508:
	s_waitcnt lgkmcnt(0)
	v_cmp_eq_f64_e32 vcc, 0, v[106:107]
	v_cmp_eq_f64_e64 s[0:1], 0, v[108:109]
	s_and_b64 s[0:1], vcc, s[0:1]
	s_and_saveexec_b64 s[8:9], s[0:1]
	s_xor_b64 s[0:1], exec, s[8:9]
; %bb.509:
	v_cmp_ne_u32_e32 vcc, 0, v119
	v_cndmask_b32_e32 v119, 25, v119, vcc
; %bb.510:
	s_andn2_saveexec_b64 s[0:1], s[0:1]
	s_cbranch_execz .LBB50_516
; %bb.511:
	v_cmp_ngt_f64_e64 s[8:9], |v[106:107]|, |v[108:109]|
	s_and_saveexec_b64 s[20:21], s[8:9]
	s_xor_b64 s[8:9], exec, s[20:21]
	s_cbranch_execz .LBB50_513
; %bb.512:
	v_div_scale_f64 v[110:111], s[20:21], v[108:109], v[108:109], v[106:107]
	v_rcp_f64_e32 v[112:113], v[110:111]
	v_fma_f64 v[120:121], -v[110:111], v[112:113], 1.0
	v_fma_f64 v[112:113], v[112:113], v[120:121], v[112:113]
	v_div_scale_f64 v[120:121], vcc, v[106:107], v[108:109], v[106:107]
	v_fma_f64 v[122:123], -v[110:111], v[112:113], 1.0
	v_fma_f64 v[112:113], v[112:113], v[122:123], v[112:113]
	v_mul_f64 v[122:123], v[120:121], v[112:113]
	v_fma_f64 v[110:111], -v[110:111], v[122:123], v[120:121]
	v_div_fmas_f64 v[110:111], v[110:111], v[112:113], v[122:123]
	v_div_fixup_f64 v[110:111], v[110:111], v[108:109], v[106:107]
	v_fma_f64 v[106:107], v[106:107], v[110:111], v[108:109]
	v_div_scale_f64 v[108:109], s[20:21], v[106:107], v[106:107], 1.0
	v_div_scale_f64 v[122:123], vcc, 1.0, v[106:107], 1.0
	v_rcp_f64_e32 v[112:113], v[108:109]
	v_fma_f64 v[120:121], -v[108:109], v[112:113], 1.0
	v_fma_f64 v[112:113], v[112:113], v[120:121], v[112:113]
	v_fma_f64 v[120:121], -v[108:109], v[112:113], 1.0
	v_fma_f64 v[112:113], v[112:113], v[120:121], v[112:113]
	v_mul_f64 v[120:121], v[122:123], v[112:113]
	v_fma_f64 v[108:109], -v[108:109], v[120:121], v[122:123]
	v_div_fmas_f64 v[108:109], v[108:109], v[112:113], v[120:121]
	v_div_fixup_f64 v[108:109], v[108:109], v[106:107], 1.0
	v_mul_f64 v[106:107], v[110:111], v[108:109]
	v_xor_b32_e32 v109, 0x80000000, v109
.LBB50_513:
	s_andn2_saveexec_b64 s[8:9], s[8:9]
	s_cbranch_execz .LBB50_515
; %bb.514:
	v_div_scale_f64 v[110:111], s[20:21], v[106:107], v[106:107], v[108:109]
	v_rcp_f64_e32 v[112:113], v[110:111]
	v_fma_f64 v[120:121], -v[110:111], v[112:113], 1.0
	v_fma_f64 v[112:113], v[112:113], v[120:121], v[112:113]
	v_div_scale_f64 v[120:121], vcc, v[108:109], v[106:107], v[108:109]
	v_fma_f64 v[122:123], -v[110:111], v[112:113], 1.0
	v_fma_f64 v[112:113], v[112:113], v[122:123], v[112:113]
	v_mul_f64 v[122:123], v[120:121], v[112:113]
	v_fma_f64 v[110:111], -v[110:111], v[122:123], v[120:121]
	v_div_fmas_f64 v[110:111], v[110:111], v[112:113], v[122:123]
	v_div_fixup_f64 v[110:111], v[110:111], v[106:107], v[108:109]
	v_fma_f64 v[106:107], v[108:109], v[110:111], v[106:107]
	v_div_scale_f64 v[108:109], s[20:21], v[106:107], v[106:107], 1.0
	v_div_scale_f64 v[122:123], vcc, 1.0, v[106:107], 1.0
	v_rcp_f64_e32 v[112:113], v[108:109]
	v_fma_f64 v[120:121], -v[108:109], v[112:113], 1.0
	v_fma_f64 v[112:113], v[112:113], v[120:121], v[112:113]
	v_fma_f64 v[120:121], -v[108:109], v[112:113], 1.0
	v_fma_f64 v[112:113], v[112:113], v[120:121], v[112:113]
	v_mul_f64 v[120:121], v[122:123], v[112:113]
	v_fma_f64 v[108:109], -v[108:109], v[120:121], v[122:123]
	v_div_fmas_f64 v[108:109], v[108:109], v[112:113], v[120:121]
	v_div_fixup_f64 v[106:107], v[108:109], v[106:107], 1.0
	v_mul_f64 v[108:109], v[110:111], -v[106:107]
.LBB50_515:
	s_or_b64 exec, exec, s[8:9]
.LBB50_516:
	s_or_b64 exec, exec, s[0:1]
	v_cmp_ne_u32_e32 vcc, v116, v114
	s_and_saveexec_b64 s[0:1], vcc
	s_xor_b64 s[0:1], exec, s[0:1]
	s_cbranch_execz .LBB50_522
; %bb.517:
	v_cmp_eq_u32_e32 vcc, 24, v116
	s_and_saveexec_b64 s[8:9], vcc
	s_cbranch_execz .LBB50_521
; %bb.518:
	v_cmp_ne_u32_e32 vcc, 24, v114
	s_xor_b64 s[20:21], s[18:19], -1
	s_and_b64 s[24:25], s[20:21], vcc
	s_and_saveexec_b64 s[20:21], s[24:25]
	s_cbranch_execz .LBB50_520
; %bb.519:
	v_ashrrev_i32_e32 v115, 31, v114
	v_lshlrev_b64 v[110:111], 2, v[114:115]
	v_add_co_u32_e32 v110, vcc, v126, v110
	v_addc_co_u32_e32 v111, vcc, v127, v111, vcc
	global_load_dword v0, v[110:111], off
	global_load_dword v112, v[126:127], off offset:96
	s_waitcnt vmcnt(1)
	global_store_dword v[126:127], v0, off offset:96
	s_waitcnt vmcnt(1)
	global_store_dword v[110:111], v112, off
.LBB50_520:
	s_or_b64 exec, exec, s[20:21]
	v_mov_b32_e32 v116, v114
	v_mov_b32_e32 v0, v114
.LBB50_521:
	s_or_b64 exec, exec, s[8:9]
.LBB50_522:
	s_andn2_saveexec_b64 s[0:1], s[0:1]
; %bb.523:
	v_mov_b32_e32 v116, 24
	ds_write2_b64 v1, v[102:103], v[104:105] offset0:50 offset1:51
; %bb.524:
	s_or_b64 exec, exec, s[0:1]
	v_cmp_lt_i32_e32 vcc, 24, v116
	s_waitcnt vmcnt(0) lgkmcnt(0)
	s_barrier
	s_and_saveexec_b64 s[0:1], vcc
	s_cbranch_execz .LBB50_526
; %bb.525:
	v_mul_f64 v[110:111], v[106:107], v[4:5]
	v_mul_f64 v[4:5], v[108:109], v[4:5]
	ds_read2_b64 v[120:123], v1 offset0:50 offset1:51
	v_fma_f64 v[108:109], v[108:109], v[2:3], v[110:111]
	v_fma_f64 v[2:3], v[106:107], v[2:3], -v[4:5]
	s_waitcnt lgkmcnt(0)
	v_mul_f64 v[4:5], v[122:123], v[108:109]
	v_mul_f64 v[106:107], v[120:121], v[108:109]
	v_fma_f64 v[4:5], v[120:121], v[2:3], -v[4:5]
	v_fma_f64 v[106:107], v[122:123], v[2:3], v[106:107]
	v_add_f64 v[102:103], v[102:103], -v[4:5]
	v_add_f64 v[104:105], v[104:105], -v[106:107]
	v_mov_b32_e32 v4, v108
	v_mov_b32_e32 v5, v109
.LBB50_526:
	s_or_b64 exec, exec, s[0:1]
	v_lshl_add_u32 v106, v116, 4, v1
	s_barrier
	ds_write2_b64 v106, v[102:103], v[104:105] offset1:1
	s_waitcnt lgkmcnt(0)
	s_barrier
	ds_read2_b64 v[106:109], v1 offset0:50 offset1:51
	s_cmp_lt_i32 s22, 27
	v_mov_b32_e32 v114, 25
	s_cbranch_scc1 .LBB50_529
; %bb.527:
	v_add_u32_e32 v1, 0x1a0, v1
	s_mov_b32 s0, 26
	v_mov_b32_e32 v114, 25
.LBB50_528:                             ; =>This Inner Loop Header: Depth=1
	s_waitcnt lgkmcnt(0)
	v_cmp_gt_f64_e32 vcc, 0, v[106:107]
	v_xor_b32_e32 v110, 0x80000000, v107
	ds_read2_b64 v[120:123], v1 offset1:1
	v_xor_b32_e32 v112, 0x80000000, v109
	v_add_u32_e32 v1, 16, v1
	s_waitcnt lgkmcnt(0)
	v_xor_b32_e32 v115, 0x80000000, v123
	v_cndmask_b32_e32 v111, v107, v110, vcc
	v_cmp_gt_f64_e32 vcc, 0, v[108:109]
	v_mov_b32_e32 v110, v106
	v_mov_b32_e32 v124, v122
	v_cndmask_b32_e32 v113, v109, v112, vcc
	v_cmp_gt_f64_e32 vcc, 0, v[120:121]
	v_mov_b32_e32 v112, v108
	v_add_f64 v[110:111], v[110:111], v[112:113]
	v_xor_b32_e32 v112, 0x80000000, v121
	v_cndmask_b32_e32 v113, v121, v112, vcc
	v_cmp_gt_f64_e32 vcc, 0, v[122:123]
	v_mov_b32_e32 v112, v120
	v_cndmask_b32_e32 v125, v123, v115, vcc
	v_add_f64 v[112:113], v[112:113], v[124:125]
	v_cmp_lt_f64_e32 vcc, v[110:111], v[112:113]
	v_mov_b32_e32 v110, s0
	s_add_i32 s0, s0, 1
	s_cmp_lg_u32 s22, s0
	v_cndmask_b32_e32 v107, v107, v121, vcc
	v_cndmask_b32_e32 v106, v106, v120, vcc
	;; [unrolled: 1-line block ×5, first 2 shown]
	s_cbranch_scc1 .LBB50_528
.LBB50_529:
	s_waitcnt lgkmcnt(0)
	v_cmp_eq_f64_e32 vcc, 0, v[106:107]
	v_cmp_eq_f64_e64 s[0:1], 0, v[108:109]
	s_and_b64 s[0:1], vcc, s[0:1]
	s_and_saveexec_b64 s[8:9], s[0:1]
	s_xor_b64 s[0:1], exec, s[8:9]
; %bb.530:
	v_cmp_ne_u32_e32 vcc, 0, v119
	v_cndmask_b32_e32 v119, 26, v119, vcc
; %bb.531:
	s_andn2_saveexec_b64 s[0:1], s[0:1]
	s_cbranch_execz .LBB50_537
; %bb.532:
	v_cmp_ngt_f64_e64 s[8:9], |v[106:107]|, |v[108:109]|
	s_and_saveexec_b64 s[20:21], s[8:9]
	s_xor_b64 s[8:9], exec, s[20:21]
	s_cbranch_execz .LBB50_534
; %bb.533:
	v_div_scale_f64 v[110:111], s[20:21], v[108:109], v[108:109], v[106:107]
	v_rcp_f64_e32 v[112:113], v[110:111]
	v_fma_f64 v[120:121], -v[110:111], v[112:113], 1.0
	v_fma_f64 v[112:113], v[112:113], v[120:121], v[112:113]
	v_div_scale_f64 v[120:121], vcc, v[106:107], v[108:109], v[106:107]
	v_fma_f64 v[122:123], -v[110:111], v[112:113], 1.0
	v_fma_f64 v[112:113], v[112:113], v[122:123], v[112:113]
	v_mul_f64 v[122:123], v[120:121], v[112:113]
	v_fma_f64 v[110:111], -v[110:111], v[122:123], v[120:121]
	v_div_fmas_f64 v[110:111], v[110:111], v[112:113], v[122:123]
	v_div_fixup_f64 v[110:111], v[110:111], v[108:109], v[106:107]
	v_fma_f64 v[106:107], v[106:107], v[110:111], v[108:109]
	v_div_scale_f64 v[108:109], s[20:21], v[106:107], v[106:107], 1.0
	v_div_scale_f64 v[122:123], vcc, 1.0, v[106:107], 1.0
	v_rcp_f64_e32 v[112:113], v[108:109]
	v_fma_f64 v[120:121], -v[108:109], v[112:113], 1.0
	v_fma_f64 v[112:113], v[112:113], v[120:121], v[112:113]
	v_fma_f64 v[120:121], -v[108:109], v[112:113], 1.0
	v_fma_f64 v[112:113], v[112:113], v[120:121], v[112:113]
	v_mul_f64 v[120:121], v[122:123], v[112:113]
	v_fma_f64 v[108:109], -v[108:109], v[120:121], v[122:123]
	v_div_fmas_f64 v[108:109], v[108:109], v[112:113], v[120:121]
	v_div_fixup_f64 v[108:109], v[108:109], v[106:107], 1.0
	v_mul_f64 v[106:107], v[110:111], v[108:109]
	v_xor_b32_e32 v109, 0x80000000, v109
.LBB50_534:
	s_andn2_saveexec_b64 s[8:9], s[8:9]
	s_cbranch_execz .LBB50_536
; %bb.535:
	v_div_scale_f64 v[110:111], s[20:21], v[106:107], v[106:107], v[108:109]
	v_rcp_f64_e32 v[112:113], v[110:111]
	v_fma_f64 v[120:121], -v[110:111], v[112:113], 1.0
	v_fma_f64 v[112:113], v[112:113], v[120:121], v[112:113]
	v_div_scale_f64 v[120:121], vcc, v[108:109], v[106:107], v[108:109]
	v_fma_f64 v[122:123], -v[110:111], v[112:113], 1.0
	v_fma_f64 v[112:113], v[112:113], v[122:123], v[112:113]
	v_mul_f64 v[122:123], v[120:121], v[112:113]
	v_fma_f64 v[110:111], -v[110:111], v[122:123], v[120:121]
	v_div_fmas_f64 v[110:111], v[110:111], v[112:113], v[122:123]
	v_div_fixup_f64 v[110:111], v[110:111], v[106:107], v[108:109]
	v_fma_f64 v[106:107], v[108:109], v[110:111], v[106:107]
	v_div_scale_f64 v[108:109], s[20:21], v[106:107], v[106:107], 1.0
	v_div_scale_f64 v[122:123], vcc, 1.0, v[106:107], 1.0
	v_rcp_f64_e32 v[112:113], v[108:109]
	v_fma_f64 v[120:121], -v[108:109], v[112:113], 1.0
	v_fma_f64 v[112:113], v[112:113], v[120:121], v[112:113]
	v_fma_f64 v[120:121], -v[108:109], v[112:113], 1.0
	v_fma_f64 v[112:113], v[112:113], v[120:121], v[112:113]
	v_mul_f64 v[120:121], v[122:123], v[112:113]
	v_fma_f64 v[108:109], -v[108:109], v[120:121], v[122:123]
	v_div_fmas_f64 v[108:109], v[108:109], v[112:113], v[120:121]
	v_div_fixup_f64 v[106:107], v[108:109], v[106:107], 1.0
	v_mul_f64 v[108:109], v[110:111], -v[106:107]
.LBB50_536:
	s_or_b64 exec, exec, s[8:9]
.LBB50_537:
	s_or_b64 exec, exec, s[0:1]
	v_cmp_ne_u32_e32 vcc, v116, v114
	v_mov_b32_e32 v115, 25
	s_and_saveexec_b64 s[0:1], vcc
	s_cbranch_execz .LBB50_543
; %bb.538:
	v_cmp_eq_u32_e32 vcc, 25, v116
	s_and_saveexec_b64 s[8:9], vcc
	s_cbranch_execz .LBB50_542
; %bb.539:
	v_cmp_ne_u32_e32 vcc, 25, v114
	s_xor_b64 s[18:19], s[18:19], -1
	s_and_b64 s[20:21], s[18:19], vcc
	s_and_saveexec_b64 s[18:19], s[20:21]
	s_cbranch_execz .LBB50_541
; %bb.540:
	v_ashrrev_i32_e32 v115, 31, v114
	v_lshlrev_b64 v[0:1], 2, v[114:115]
	v_add_co_u32_e32 v0, vcc, v126, v0
	v_addc_co_u32_e32 v1, vcc, v127, v1, vcc
	global_load_dword v110, v[0:1], off
	global_load_dword v111, v[126:127], off offset:100
	s_waitcnt vmcnt(1)
	global_store_dword v[126:127], v110, off offset:100
	s_waitcnt vmcnt(1)
	global_store_dword v[0:1], v111, off
.LBB50_541:
	s_or_b64 exec, exec, s[18:19]
	v_mov_b32_e32 v116, v114
	v_mov_b32_e32 v0, v114
.LBB50_542:
	s_or_b64 exec, exec, s[8:9]
	v_mov_b32_e32 v115, v116
.LBB50_543:
	s_or_b64 exec, exec, s[0:1]
	v_cmp_gt_i32_e32 vcc, 26, v115
	v_ashrrev_i32_e32 v116, 31, v115
	s_waitcnt vmcnt(0)
	s_barrier
	s_barrier
	s_and_saveexec_b64 s[0:1], vcc
	s_cbranch_execz .LBB50_545
; %bb.544:
	buffer_load_dword v110, off, s[28:31], 0 offset:8 ; 4-byte Folded Reload
	buffer_load_dword v111, off, s[28:31], 0 offset:12 ; 4-byte Folded Reload
	v_add3_u32 v0, v0, s17, 1
	s_waitcnt vmcnt(1)
	v_mul_lo_u32 v1, s15, v110
	s_waitcnt vmcnt(0)
	v_mul_lo_u32 v112, s14, v111
	v_mad_u64_u32 v[110:111], s[8:9], s14, v110, 0
	s_lshl_b64 s[8:9], s[12:13], 2
	v_add3_u32 v111, v111, v112, v1
	v_lshlrev_b64 v[110:111], 2, v[110:111]
	v_mov_b32_e32 v1, s11
	v_add_co_u32_e32 v110, vcc, s10, v110
	v_addc_co_u32_e32 v1, vcc, v1, v111, vcc
	v_mov_b32_e32 v111, s9
	v_add_co_u32_e32 v112, vcc, s8, v110
	v_addc_co_u32_e32 v1, vcc, v1, v111, vcc
	v_lshlrev_b64 v[110:111], 2, v[115:116]
	v_add_co_u32_e32 v110, vcc, v112, v110
	v_addc_co_u32_e32 v111, vcc, v1, v111, vcc
	global_store_dword v[110:111], v0, off
.LBB50_545:
	s_or_b64 exec, exec, s[0:1]
	v_cmp_eq_u32_e32 vcc, 0, v115
	s_and_saveexec_b64 s[8:9], vcc
	s_cbranch_execz .LBB50_548
; %bb.546:
	buffer_load_dword v0, off, s[28:31], 0 offset:8 ; 4-byte Folded Reload
	buffer_load_dword v1, off, s[28:31], 0 offset:12 ; 4-byte Folded Reload
	v_mov_b32_e32 v110, s5
	v_cmp_ne_u32_e64 s[0:1], 0, v119
	s_waitcnt vmcnt(0)
	v_lshlrev_b64 v[0:1], 2, v[0:1]
	v_add_co_u32_e32 v0, vcc, s4, v0
	v_addc_co_u32_e32 v1, vcc, v110, v1, vcc
	global_load_dword v110, v[0:1], off
	s_waitcnt vmcnt(0)
	v_cmp_eq_u32_e32 vcc, 0, v110
	s_and_b64 s[0:1], vcc, s[0:1]
	s_and_b64 exec, exec, s[0:1]
	s_cbranch_execz .LBB50_548
; %bb.547:
	v_add_u32_e32 v110, s17, v119
	global_store_dword v[0:1], v110, off
.LBB50_548:
	s_or_b64 exec, exec, s[8:9]
	v_mul_f64 v[0:1], v[106:107], v[104:105]
	v_mul_f64 v[110:111], v[108:109], v[104:105]
	v_lshlrev_b64 v[112:113], 4, v[115:116]
	v_mov_b32_e32 v114, s3
	v_fma_f64 v[0:1], v[108:109], v[102:103], v[0:1]
	v_fma_f64 v[106:107], v[106:107], v[102:103], -v[110:111]
	v_add_co_u32_e32 v108, vcc, v117, v112
	v_addc_co_u32_e32 v109, vcc, v118, v113, vcc
	v_cmp_lt_i32_e32 vcc, 25, v115
	global_store_dwordx4 v[108:109], v[98:101], off
	s_nop 0
	v_cndmask_b32_e32 v101, v105, v1, vcc
	v_cndmask_b32_e32 v100, v104, v0, vcc
	;; [unrolled: 1-line block ×4, first 2 shown]
	v_add_co_u32_e32 v0, vcc, s2, v108
	v_addc_co_u32_e32 v1, vcc, v109, v114, vcc
	global_store_dwordx4 v[0:1], v[94:97], off
	v_add_u32_e32 v0, s16, v115
	v_ashrrev_i32_e32 v1, 31, v0
	v_lshlrev_b64 v[94:95], 4, v[0:1]
	v_add_u32_e32 v0, s6, v0
	v_add_co_u32_e32 v94, vcc, v117, v94
	v_addc_co_u32_e32 v95, vcc, v118, v95, vcc
	v_ashrrev_i32_e32 v1, 31, v0
	global_store_dwordx4 v[94:95], v[90:93], off
	s_nop 0
	v_lshlrev_b64 v[90:91], 4, v[0:1]
	v_add_u32_e32 v0, s6, v0
	v_add_co_u32_e32 v90, vcc, v117, v90
	v_addc_co_u32_e32 v91, vcc, v118, v91, vcc
	v_ashrrev_i32_e32 v1, 31, v0
	global_store_dwordx4 v[90:91], v[86:89], off
	s_nop 0
	;; [unrolled: 7-line block ×22, first 2 shown]
	v_lshlrev_b64 v[6:7], 4, v[0:1]
	v_add_u32_e32 v0, s6, v0
	v_ashrrev_i32_e32 v1, 31, v0
	v_add_co_u32_e32 v6, vcc, v117, v6
	v_lshlrev_b64 v[0:1], 4, v[0:1]
	v_addc_co_u32_e32 v7, vcc, v118, v7, vcc
	v_add_co_u32_e32 v0, vcc, v117, v0
	v_addc_co_u32_e32 v1, vcc, v118, v1, vcc
	global_store_dwordx4 v[6:7], v[2:5], off
	global_store_dwordx4 v[0:1], v[98:101], off
.LBB50_549:
	s_endpgm
	.section	.rodata,"a",@progbits
	.p2align	6, 0x0
	.amdhsa_kernel _ZN9rocsolver6v33100L18getf2_small_kernelILi26E19rocblas_complex_numIdEiiPS3_EEvT1_T3_lS5_lPS5_llPT2_S5_S5_S7_l
		.amdhsa_group_segment_fixed_size 0
		.amdhsa_private_segment_fixed_size 20
		.amdhsa_kernarg_size 352
		.amdhsa_user_sgpr_count 6
		.amdhsa_user_sgpr_private_segment_buffer 1
		.amdhsa_user_sgpr_dispatch_ptr 0
		.amdhsa_user_sgpr_queue_ptr 0
		.amdhsa_user_sgpr_kernarg_segment_ptr 1
		.amdhsa_user_sgpr_dispatch_id 0
		.amdhsa_user_sgpr_flat_scratch_init 0
		.amdhsa_user_sgpr_private_segment_size 0
		.amdhsa_uses_dynamic_stack 0
		.amdhsa_system_sgpr_private_segment_wavefront_offset 1
		.amdhsa_system_sgpr_workgroup_id_x 1
		.amdhsa_system_sgpr_workgroup_id_y 1
		.amdhsa_system_sgpr_workgroup_id_z 0
		.amdhsa_system_sgpr_workgroup_info 0
		.amdhsa_system_vgpr_workitem_id 1
		.amdhsa_next_free_vgpr 128
		.amdhsa_next_free_sgpr 32
		.amdhsa_reserve_vcc 1
		.amdhsa_reserve_flat_scratch 0
		.amdhsa_float_round_mode_32 0
		.amdhsa_float_round_mode_16_64 0
		.amdhsa_float_denorm_mode_32 3
		.amdhsa_float_denorm_mode_16_64 3
		.amdhsa_dx10_clamp 1
		.amdhsa_ieee_mode 1
		.amdhsa_fp16_overflow 0
		.amdhsa_exception_fp_ieee_invalid_op 0
		.amdhsa_exception_fp_denorm_src 0
		.amdhsa_exception_fp_ieee_div_zero 0
		.amdhsa_exception_fp_ieee_overflow 0
		.amdhsa_exception_fp_ieee_underflow 0
		.amdhsa_exception_fp_ieee_inexact 0
		.amdhsa_exception_int_div_zero 0
	.end_amdhsa_kernel
	.section	.text._ZN9rocsolver6v33100L18getf2_small_kernelILi26E19rocblas_complex_numIdEiiPS3_EEvT1_T3_lS5_lPS5_llPT2_S5_S5_S7_l,"axG",@progbits,_ZN9rocsolver6v33100L18getf2_small_kernelILi26E19rocblas_complex_numIdEiiPS3_EEvT1_T3_lS5_lPS5_llPT2_S5_S5_S7_l,comdat
.Lfunc_end50:
	.size	_ZN9rocsolver6v33100L18getf2_small_kernelILi26E19rocblas_complex_numIdEiiPS3_EEvT1_T3_lS5_lPS5_llPT2_S5_S5_S7_l, .Lfunc_end50-_ZN9rocsolver6v33100L18getf2_small_kernelILi26E19rocblas_complex_numIdEiiPS3_EEvT1_T3_lS5_lPS5_llPT2_S5_S5_S7_l
                                        ; -- End function
	.set _ZN9rocsolver6v33100L18getf2_small_kernelILi26E19rocblas_complex_numIdEiiPS3_EEvT1_T3_lS5_lPS5_llPT2_S5_S5_S7_l.num_vgpr, 128
	.set _ZN9rocsolver6v33100L18getf2_small_kernelILi26E19rocblas_complex_numIdEiiPS3_EEvT1_T3_lS5_lPS5_llPT2_S5_S5_S7_l.num_agpr, 0
	.set _ZN9rocsolver6v33100L18getf2_small_kernelILi26E19rocblas_complex_numIdEiiPS3_EEvT1_T3_lS5_lPS5_llPT2_S5_S5_S7_l.numbered_sgpr, 32
	.set _ZN9rocsolver6v33100L18getf2_small_kernelILi26E19rocblas_complex_numIdEiiPS3_EEvT1_T3_lS5_lPS5_llPT2_S5_S5_S7_l.num_named_barrier, 0
	.set _ZN9rocsolver6v33100L18getf2_small_kernelILi26E19rocblas_complex_numIdEiiPS3_EEvT1_T3_lS5_lPS5_llPT2_S5_S5_S7_l.private_seg_size, 20
	.set _ZN9rocsolver6v33100L18getf2_small_kernelILi26E19rocblas_complex_numIdEiiPS3_EEvT1_T3_lS5_lPS5_llPT2_S5_S5_S7_l.uses_vcc, 1
	.set _ZN9rocsolver6v33100L18getf2_small_kernelILi26E19rocblas_complex_numIdEiiPS3_EEvT1_T3_lS5_lPS5_llPT2_S5_S5_S7_l.uses_flat_scratch, 0
	.set _ZN9rocsolver6v33100L18getf2_small_kernelILi26E19rocblas_complex_numIdEiiPS3_EEvT1_T3_lS5_lPS5_llPT2_S5_S5_S7_l.has_dyn_sized_stack, 0
	.set _ZN9rocsolver6v33100L18getf2_small_kernelILi26E19rocblas_complex_numIdEiiPS3_EEvT1_T3_lS5_lPS5_llPT2_S5_S5_S7_l.has_recursion, 0
	.set _ZN9rocsolver6v33100L18getf2_small_kernelILi26E19rocblas_complex_numIdEiiPS3_EEvT1_T3_lS5_lPS5_llPT2_S5_S5_S7_l.has_indirect_call, 0
	.section	.AMDGPU.csdata,"",@progbits
; Kernel info:
; codeLenInByte = 47340
; TotalNumSgprs: 36
; NumVgprs: 128
; ScratchSize: 20
; MemoryBound: 0
; FloatMode: 240
; IeeeMode: 1
; LDSByteSize: 0 bytes/workgroup (compile time only)
; SGPRBlocks: 4
; VGPRBlocks: 31
; NumSGPRsForWavesPerEU: 36
; NumVGPRsForWavesPerEU: 128
; Occupancy: 2
; WaveLimiterHint : 0
; COMPUTE_PGM_RSRC2:SCRATCH_EN: 1
; COMPUTE_PGM_RSRC2:USER_SGPR: 6
; COMPUTE_PGM_RSRC2:TRAP_HANDLER: 0
; COMPUTE_PGM_RSRC2:TGID_X_EN: 1
; COMPUTE_PGM_RSRC2:TGID_Y_EN: 1
; COMPUTE_PGM_RSRC2:TGID_Z_EN: 0
; COMPUTE_PGM_RSRC2:TIDIG_COMP_CNT: 1
	.section	.text._ZN9rocsolver6v33100L23getf2_npvt_small_kernelILi26E19rocblas_complex_numIdEiiPS3_EEvT1_T3_lS5_lPT2_S5_S5_,"axG",@progbits,_ZN9rocsolver6v33100L23getf2_npvt_small_kernelILi26E19rocblas_complex_numIdEiiPS3_EEvT1_T3_lS5_lPT2_S5_S5_,comdat
	.globl	_ZN9rocsolver6v33100L23getf2_npvt_small_kernelILi26E19rocblas_complex_numIdEiiPS3_EEvT1_T3_lS5_lPT2_S5_S5_ ; -- Begin function _ZN9rocsolver6v33100L23getf2_npvt_small_kernelILi26E19rocblas_complex_numIdEiiPS3_EEvT1_T3_lS5_lPT2_S5_S5_
	.p2align	8
	.type	_ZN9rocsolver6v33100L23getf2_npvt_small_kernelILi26E19rocblas_complex_numIdEiiPS3_EEvT1_T3_lS5_lPT2_S5_S5_,@function
_ZN9rocsolver6v33100L23getf2_npvt_small_kernelILi26E19rocblas_complex_numIdEiiPS3_EEvT1_T3_lS5_lPT2_S5_S5_: ; @_ZN9rocsolver6v33100L23getf2_npvt_small_kernelILi26E19rocblas_complex_numIdEiiPS3_EEvT1_T3_lS5_lPT2_S5_S5_
; %bb.0:
	s_mov_b64 s[22:23], s[2:3]
	s_mov_b64 s[20:21], s[0:1]
	s_load_dword s0, s[4:5], 0x44
	s_load_dwordx2 s[12:13], s[4:5], 0x30
	s_add_u32 s20, s20, s8
	s_addc_u32 s21, s21, 0
	s_waitcnt lgkmcnt(0)
	s_lshr_b32 s2, s0, 16
	s_mul_i32 s7, s7, s2
	v_add_u32_e32 v2, s7, v1
	v_cmp_gt_i32_e32 vcc, s12, v2
	s_and_saveexec_b64 s[0:1], vcc
	s_cbranch_execz .LBB51_237
; %bb.1:
	s_load_dwordx4 s[8:11], s[4:5], 0x20
	s_load_dwordx4 s[16:19], s[4:5], 0x8
	v_ashrrev_i32_e32 v3, 31, v2
	s_mulk_i32 s2, 0x1a0
	s_waitcnt lgkmcnt(0)
	v_mul_lo_u32 v4, s9, v2
	v_mul_lo_u32 v5, s8, v3
	buffer_store_dword v2, off, s[20:23], 0 offset:616 ; 4-byte Folded Spill
	s_nop 0
	buffer_store_dword v3, off, s[20:23], 0 offset:620 ; 4-byte Folded Spill
	v_mov_b32_e32 v6, s17
	v_mad_u64_u32 v[2:3], s[0:1], s8, v2, 0
	s_load_dword s0, s[4:5], 0x18
	s_lshl_b64 s[4:5], s[18:19], 4
	v_add3_u32 v3, v3, v5, v4
	v_lshlrev_b64 v[2:3], 4, v[2:3]
	v_mov_b32_e32 v4, s5
	v_add_co_u32_e32 v2, vcc, s16, v2
	v_addc_co_u32_e32 v3, vcc, v6, v3, vcc
	v_add_co_u32_e32 v2, vcc, s4, v2
	s_waitcnt lgkmcnt(0)
	s_add_i32 s1, s0, s0
	v_addc_co_u32_e32 v3, vcc, v3, v4, vcc
	v_add_u32_e32 v4, s1, v0
	v_ashrrev_i32_e32 v5, 31, v4
	v_lshlrev_b64 v[5:6], 4, v[4:5]
	v_add_u32_e32 v4, s0, v4
	v_add_co_u32_e32 v37, vcc, v2, v5
	v_ashrrev_i32_e32 v5, 31, v4
	v_addc_co_u32_e32 v38, vcc, v3, v6, vcc
	v_lshlrev_b64 v[5:6], 4, v[4:5]
	v_add_u32_e32 v4, s0, v4
	v_add_co_u32_e32 v33, vcc, v2, v5
	v_ashrrev_i32_e32 v5, 31, v4
	v_addc_co_u32_e32 v34, vcc, v3, v6, vcc
	;; [unrolled: 5-line block ×22, first 2 shown]
	v_lshlrev_b64 v[5:6], 4, v[4:5]
	v_add_u32_e32 v4, s0, v4
	v_add_co_u32_e32 v97, vcc, v2, v5
	v_ashrrev_i32_e32 v5, 31, v4
	v_lshlrev_b64 v[4:5], 4, v[4:5]
	v_addc_co_u32_e32 v98, vcc, v3, v6, vcc
	v_add_co_u32_e32 v99, vcc, v2, v4
	v_addc_co_u32_e32 v100, vcc, v3, v5, vcc
	v_lshlrev_b32_e32 v4, 4, v0
	v_add_co_u32_e32 v4, vcc, v2, v4
	s_ashr_i32 s1, s0, 31
	v_addc_co_u32_e32 v5, vcc, 0, v3, vcc
	s_lshl_b64 s[0:1], s[0:1], 4
	v_mov_b32_e32 v2, s1
	v_add_co_u32_e32 v31, vcc, s0, v4
	v_addc_co_u32_e32 v32, vcc, v5, v2, vcc
	buffer_store_dword v4, off, s[20:23], 0 offset:256 ; 4-byte Folded Spill
	s_nop 0
	buffer_store_dword v5, off, s[20:23], 0 offset:260 ; 4-byte Folded Spill
	s_movk_i32 s0, 0x1a0
	s_add_i32 s1, s2, 0
	v_mad_u32_u24 v125, v1, s0, 0
	v_lshl_add_u32 v127, v1, 4, s1
	v_cmp_ne_u32_e64 s[2:3], 0, v0
	v_cmp_eq_u32_e64 s[0:1], 0, v0
	global_load_dwordx4 v[1:4], v[4:5], off
	s_waitcnt vmcnt(0)
	buffer_store_dword v1, off, s[20:23], 0 offset:80 ; 4-byte Folded Spill
	s_nop 0
	buffer_store_dword v2, off, s[20:23], 0 offset:84 ; 4-byte Folded Spill
	buffer_store_dword v3, off, s[20:23], 0 offset:88 ; 4-byte Folded Spill
	buffer_store_dword v4, off, s[20:23], 0 offset:92 ; 4-byte Folded Spill
	buffer_store_dword v31, off, s[20:23], 0 offset:264 ; 4-byte Folded Spill
	s_nop 0
	buffer_store_dword v32, off, s[20:23], 0 offset:268 ; 4-byte Folded Spill
	global_load_dwordx4 v[1:4], v[31:32], off
	s_waitcnt vmcnt(0)
	buffer_store_dword v1, off, s[20:23], 0 offset:64 ; 4-byte Folded Spill
	s_nop 0
	buffer_store_dword v2, off, s[20:23], 0 offset:68 ; 4-byte Folded Spill
	buffer_store_dword v3, off, s[20:23], 0 offset:72 ; 4-byte Folded Spill
	buffer_store_dword v4, off, s[20:23], 0 offset:76 ; 4-byte Folded Spill
	buffer_store_dword v37, off, s[20:23], 0 offset:608 ; 4-byte Folded Spill
	s_nop 0
	buffer_store_dword v38, off, s[20:23], 0 offset:612 ; 4-byte Folded Spill
	;; [unrolled: 10-line block ×5, first 2 shown]
	global_load_dwordx4 v[1:4], v[7:8], off
	s_waitcnt vmcnt(0)
	buffer_store_dword v1, off, s[20:23], 0 ; 4-byte Folded Spill
	s_nop 0
	buffer_store_dword v2, off, s[20:23], 0 offset:4 ; 4-byte Folded Spill
	buffer_store_dword v3, off, s[20:23], 0 offset:8 ; 4-byte Folded Spill
	;; [unrolled: 1-line block ×3, first 2 shown]
	global_load_dwordx4 v[77:80], v[121:122], off
	s_nop 0
	buffer_store_dword v9, off, s[20:23], 0 offset:104 ; 4-byte Folded Spill
	s_nop 0
	buffer_store_dword v10, off, s[20:23], 0 offset:108 ; 4-byte Folded Spill
	global_load_dwordx4 v[69:72], v[9:10], off
	s_nop 0
	buffer_store_dword v11, off, s[20:23], 0 offset:112 ; 4-byte Folded Spill
	s_nop 0
	buffer_store_dword v12, off, s[20:23], 0 offset:116 ; 4-byte Folded Spill
	;; [unrolled: 5-line block ×19, first 2 shown]
	global_load_dwordx4 v[73:76], v[99:100], off
	s_and_saveexec_b64 s[6:7], s[0:1]
	s_cbranch_execz .LBB51_8
; %bb.2:
	buffer_load_dword v87, off, s[20:23], 0 offset:80 ; 4-byte Folded Reload
	buffer_load_dword v88, off, s[20:23], 0 offset:84 ; 4-byte Folded Reload
	;; [unrolled: 1-line block ×4, first 2 shown]
	s_waitcnt vmcnt(49)
	v_mov_b32_e32 v84, v60
	v_mov_b32_e32 v83, v59
	;; [unrolled: 1-line block ×4, first 2 shown]
	s_waitcnt vmcnt(0)
	ds_write2_b64 v127, v[87:88], v[89:90] offset1:1
	buffer_load_dword v87, off, s[20:23], 0 offset:64 ; 4-byte Folded Reload
	buffer_load_dword v88, off, s[20:23], 0 offset:68 ; 4-byte Folded Reload
	buffer_load_dword v89, off, s[20:23], 0 offset:72 ; 4-byte Folded Reload
	buffer_load_dword v90, off, s[20:23], 0 offset:76 ; 4-byte Folded Reload
	s_waitcnt vmcnt(0)
	ds_write2_b64 v125, v[87:88], v[89:90] offset0:2 offset1:3
	buffer_load_dword v87, off, s[20:23], 0 offset:48 ; 4-byte Folded Reload
	buffer_load_dword v88, off, s[20:23], 0 offset:52 ; 4-byte Folded Reload
	buffer_load_dword v89, off, s[20:23], 0 offset:56 ; 4-byte Folded Reload
	buffer_load_dword v90, off, s[20:23], 0 offset:60 ; 4-byte Folded Reload
	s_waitcnt vmcnt(0)
	ds_write2_b64 v125, v[87:88], v[89:90] offset0:4 offset1:5
	;; [unrolled: 6-line block ×4, first 2 shown]
	v_mov_b32_e32 v57, v81
	v_mov_b32_e32 v58, v82
	;; [unrolled: 1-line block ×4, first 2 shown]
	buffer_load_dword v81, off, s[20:23], 0 ; 4-byte Folded Reload
	buffer_load_dword v82, off, s[20:23], 0 offset:4 ; 4-byte Folded Reload
	buffer_load_dword v83, off, s[20:23], 0 offset:8 ; 4-byte Folded Reload
	;; [unrolled: 1-line block ×3, first 2 shown]
	s_waitcnt vmcnt(0)
	ds_write2_b64 v125, v[81:82], v[83:84] offset0:10 offset1:11
	ds_write2_b64 v125, v[77:78], v[79:80] offset0:12 offset1:13
	;; [unrolled: 1-line block ×21, first 2 shown]
	ds_read2_b64 v[97:100], v127 offset1:1
	s_waitcnt lgkmcnt(0)
	v_cmp_neq_f64_e32 vcc, 0, v[97:98]
	v_cmp_neq_f64_e64 s[4:5], 0, v[99:100]
	s_or_b64 s[4:5], vcc, s[4:5]
	s_and_b64 exec, exec, s[4:5]
	s_cbranch_execz .LBB51_8
; %bb.3:
	v_cmp_ngt_f64_e64 s[4:5], |v[97:98]|, |v[99:100]|
                                        ; implicit-def: $vgpr101_vgpr102
	s_and_saveexec_b64 s[8:9], s[4:5]
	s_xor_b64 s[4:5], exec, s[8:9]
                                        ; implicit-def: $vgpr103_vgpr104
	s_cbranch_execz .LBB51_5
; %bb.4:
	v_div_scale_f64 v[101:102], s[8:9], v[99:100], v[99:100], v[97:98]
	v_rcp_f64_e32 v[103:104], v[101:102]
	v_fma_f64 v[105:106], -v[101:102], v[103:104], 1.0
	v_fma_f64 v[103:104], v[103:104], v[105:106], v[103:104]
	v_div_scale_f64 v[105:106], vcc, v[97:98], v[99:100], v[97:98]
	v_fma_f64 v[107:108], -v[101:102], v[103:104], 1.0
	v_fma_f64 v[103:104], v[103:104], v[107:108], v[103:104]
	v_mul_f64 v[107:108], v[105:106], v[103:104]
	v_fma_f64 v[101:102], -v[101:102], v[107:108], v[105:106]
	v_div_fmas_f64 v[101:102], v[101:102], v[103:104], v[107:108]
	v_div_fixup_f64 v[101:102], v[101:102], v[99:100], v[97:98]
	v_fma_f64 v[97:98], v[97:98], v[101:102], v[99:100]
	v_div_scale_f64 v[99:100], s[8:9], v[97:98], v[97:98], 1.0
	v_div_scale_f64 v[107:108], vcc, 1.0, v[97:98], 1.0
	v_rcp_f64_e32 v[103:104], v[99:100]
	v_fma_f64 v[105:106], -v[99:100], v[103:104], 1.0
	v_fma_f64 v[103:104], v[103:104], v[105:106], v[103:104]
	v_fma_f64 v[105:106], -v[99:100], v[103:104], 1.0
	v_fma_f64 v[103:104], v[103:104], v[105:106], v[103:104]
	v_mul_f64 v[105:106], v[107:108], v[103:104]
	v_fma_f64 v[99:100], -v[99:100], v[105:106], v[107:108]
	v_div_fmas_f64 v[99:100], v[99:100], v[103:104], v[105:106]
	v_div_fixup_f64 v[103:104], v[99:100], v[97:98], 1.0
                                        ; implicit-def: $vgpr97_vgpr98
	v_mul_f64 v[101:102], v[101:102], v[103:104]
	v_xor_b32_e32 v104, 0x80000000, v104
.LBB51_5:
	s_andn2_saveexec_b64 s[4:5], s[4:5]
	s_cbranch_execz .LBB51_7
; %bb.6:
	v_div_scale_f64 v[101:102], s[8:9], v[97:98], v[97:98], v[99:100]
	v_rcp_f64_e32 v[103:104], v[101:102]
	v_fma_f64 v[105:106], -v[101:102], v[103:104], 1.0
	v_fma_f64 v[103:104], v[103:104], v[105:106], v[103:104]
	v_div_scale_f64 v[105:106], vcc, v[99:100], v[97:98], v[99:100]
	v_fma_f64 v[107:108], -v[101:102], v[103:104], 1.0
	v_fma_f64 v[103:104], v[103:104], v[107:108], v[103:104]
	v_mul_f64 v[107:108], v[105:106], v[103:104]
	v_fma_f64 v[101:102], -v[101:102], v[107:108], v[105:106]
	v_div_fmas_f64 v[101:102], v[101:102], v[103:104], v[107:108]
	v_div_fixup_f64 v[103:104], v[101:102], v[97:98], v[99:100]
	v_fma_f64 v[97:98], v[99:100], v[103:104], v[97:98]
	v_div_scale_f64 v[99:100], s[8:9], v[97:98], v[97:98], 1.0
	v_div_scale_f64 v[107:108], vcc, 1.0, v[97:98], 1.0
	v_rcp_f64_e32 v[101:102], v[99:100]
	v_fma_f64 v[105:106], -v[99:100], v[101:102], 1.0
	v_fma_f64 v[101:102], v[101:102], v[105:106], v[101:102]
	v_fma_f64 v[105:106], -v[99:100], v[101:102], 1.0
	v_fma_f64 v[101:102], v[101:102], v[105:106], v[101:102]
	v_mul_f64 v[105:106], v[107:108], v[101:102]
	v_fma_f64 v[99:100], -v[99:100], v[105:106], v[107:108]
	v_div_fmas_f64 v[99:100], v[99:100], v[101:102], v[105:106]
	v_div_fixup_f64 v[101:102], v[99:100], v[97:98], 1.0
	v_mul_f64 v[103:104], v[103:104], -v[101:102]
.LBB51_7:
	s_or_b64 exec, exec, s[4:5]
	ds_write2_b64 v127, v[101:102], v[103:104] offset1:1
.LBB51_8:
	s_or_b64 exec, exec, s[6:7]
	s_waitcnt vmcnt(0) lgkmcnt(0)
	s_barrier
	ds_read2_b64 v[87:90], v127 offset1:1
	s_waitcnt lgkmcnt(0)
	buffer_store_dword v87, off, s[20:23], 0 offset:272 ; 4-byte Folded Spill
	s_nop 0
	buffer_store_dword v88, off, s[20:23], 0 offset:276 ; 4-byte Folded Spill
	buffer_store_dword v89, off, s[20:23], 0 offset:280 ; 4-byte Folded Spill
	;; [unrolled: 1-line block ×3, first 2 shown]
	s_and_saveexec_b64 s[4:5], s[2:3]
	s_cbranch_execz .LBB51_10
; %bb.9:
	buffer_load_dword v103, off, s[20:23], 0 offset:80 ; 4-byte Folded Reload
	buffer_load_dword v104, off, s[20:23], 0 offset:84 ; 4-byte Folded Reload
	;; [unrolled: 1-line block ×8, first 2 shown]
	v_mov_b32_e32 v84, v60
	v_mov_b32_e32 v83, v59
	;; [unrolled: 1-line block ×4, first 2 shown]
	s_waitcnt vmcnt(2)
	v_mul_f64 v[99:100], v[87:88], v[105:106]
	s_waitcnt vmcnt(0)
	v_mul_f64 v[97:98], v[89:90], v[105:106]
	v_fma_f64 v[105:106], v[89:90], v[103:104], v[99:100]
	ds_read2_b64 v[99:102], v125 offset0:2 offset1:3
	v_fma_f64 v[97:98], v[87:88], v[103:104], -v[97:98]
	buffer_load_dword v87, off, s[20:23], 0 offset:64 ; 4-byte Folded Reload
	buffer_load_dword v88, off, s[20:23], 0 offset:68 ; 4-byte Folded Reload
	buffer_load_dword v89, off, s[20:23], 0 offset:72 ; 4-byte Folded Reload
	buffer_load_dword v90, off, s[20:23], 0 offset:76 ; 4-byte Folded Reload
	s_waitcnt lgkmcnt(0)
	v_mul_f64 v[103:104], v[101:102], v[105:106]
	v_fma_f64 v[103:104], v[99:100], v[97:98], -v[103:104]
	v_mul_f64 v[99:100], v[99:100], v[105:106]
	v_fma_f64 v[99:100], v[101:102], v[97:98], v[99:100]
	s_waitcnt vmcnt(2)
	v_add_f64 v[87:88], v[87:88], -v[103:104]
	s_waitcnt vmcnt(0)
	v_add_f64 v[89:90], v[89:90], -v[99:100]
	buffer_store_dword v87, off, s[20:23], 0 offset:64 ; 4-byte Folded Spill
	s_nop 0
	buffer_store_dword v88, off, s[20:23], 0 offset:68 ; 4-byte Folded Spill
	buffer_store_dword v89, off, s[20:23], 0 offset:72 ; 4-byte Folded Spill
	buffer_store_dword v90, off, s[20:23], 0 offset:76 ; 4-byte Folded Spill
	ds_read2_b64 v[99:102], v125 offset0:4 offset1:5
	buffer_load_dword v87, off, s[20:23], 0 offset:48 ; 4-byte Folded Reload
	buffer_load_dword v88, off, s[20:23], 0 offset:52 ; 4-byte Folded Reload
	buffer_load_dword v89, off, s[20:23], 0 offset:56 ; 4-byte Folded Reload
	buffer_load_dword v90, off, s[20:23], 0 offset:60 ; 4-byte Folded Reload
	s_waitcnt lgkmcnt(0)
	v_mul_f64 v[103:104], v[101:102], v[105:106]
	v_fma_f64 v[103:104], v[99:100], v[97:98], -v[103:104]
	v_mul_f64 v[99:100], v[99:100], v[105:106]
	v_fma_f64 v[99:100], v[101:102], v[97:98], v[99:100]
	s_waitcnt vmcnt(2)
	v_add_f64 v[87:88], v[87:88], -v[103:104]
	s_waitcnt vmcnt(0)
	v_add_f64 v[89:90], v[89:90], -v[99:100]
	buffer_store_dword v87, off, s[20:23], 0 offset:48 ; 4-byte Folded Spill
	s_nop 0
	buffer_store_dword v88, off, s[20:23], 0 offset:52 ; 4-byte Folded Spill
	buffer_store_dword v89, off, s[20:23], 0 offset:56 ; 4-byte Folded Spill
	buffer_store_dword v90, off, s[20:23], 0 offset:60 ; 4-byte Folded Spill
	ds_read2_b64 v[99:102], v125 offset0:6 offset1:7
	;; [unrolled: 19-line block ×3, first 2 shown]
	buffer_load_dword v57, off, s[20:23], 0 offset:16 ; 4-byte Folded Reload
	buffer_load_dword v58, off, s[20:23], 0 offset:20 ; 4-byte Folded Reload
	;; [unrolled: 1-line block ×4, first 2 shown]
	s_waitcnt lgkmcnt(0)
	v_mul_f64 v[103:104], v[101:102], v[105:106]
	v_fma_f64 v[103:104], v[99:100], v[97:98], -v[103:104]
	v_mul_f64 v[99:100], v[99:100], v[105:106]
	v_fma_f64 v[99:100], v[101:102], v[97:98], v[99:100]
	s_waitcnt vmcnt(2)
	v_add_f64 v[57:58], v[57:58], -v[103:104]
	s_waitcnt vmcnt(0)
	v_add_f64 v[59:60], v[59:60], -v[99:100]
	buffer_store_dword v57, off, s[20:23], 0 offset:16 ; 4-byte Folded Spill
	s_nop 0
	buffer_store_dword v58, off, s[20:23], 0 offset:20 ; 4-byte Folded Spill
	buffer_store_dword v59, off, s[20:23], 0 offset:24 ; 4-byte Folded Spill
	;; [unrolled: 1-line block ×3, first 2 shown]
	v_mov_b32_e32 v57, v81
	v_mov_b32_e32 v58, v82
	v_mov_b32_e32 v59, v83
	v_mov_b32_e32 v60, v84
	ds_read2_b64 v[99:102], v125 offset0:10 offset1:11
	buffer_load_dword v81, off, s[20:23], 0 ; 4-byte Folded Reload
	buffer_load_dword v82, off, s[20:23], 0 offset:4 ; 4-byte Folded Reload
	buffer_load_dword v83, off, s[20:23], 0 offset:8 ; 4-byte Folded Reload
	;; [unrolled: 1-line block ×3, first 2 shown]
	s_waitcnt lgkmcnt(0)
	v_mul_f64 v[103:104], v[101:102], v[105:106]
	v_fma_f64 v[103:104], v[99:100], v[97:98], -v[103:104]
	v_mul_f64 v[99:100], v[99:100], v[105:106]
	v_fma_f64 v[99:100], v[101:102], v[97:98], v[99:100]
	s_waitcnt vmcnt(2)
	v_add_f64 v[81:82], v[81:82], -v[103:104]
	s_waitcnt vmcnt(0)
	v_add_f64 v[83:84], v[83:84], -v[99:100]
	buffer_store_dword v81, off, s[20:23], 0 ; 4-byte Folded Spill
	s_nop 0
	buffer_store_dword v82, off, s[20:23], 0 offset:4 ; 4-byte Folded Spill
	buffer_store_dword v83, off, s[20:23], 0 offset:8 ; 4-byte Folded Spill
	;; [unrolled: 1-line block ×3, first 2 shown]
	ds_read2_b64 v[99:102], v125 offset0:12 offset1:13
	s_waitcnt lgkmcnt(0)
	v_mul_f64 v[103:104], v[101:102], v[105:106]
	v_fma_f64 v[103:104], v[99:100], v[97:98], -v[103:104]
	v_mul_f64 v[99:100], v[99:100], v[105:106]
	v_add_f64 v[77:78], v[77:78], -v[103:104]
	v_fma_f64 v[99:100], v[101:102], v[97:98], v[99:100]
	v_add_f64 v[79:80], v[79:80], -v[99:100]
	ds_read2_b64 v[99:102], v125 offset0:14 offset1:15
	s_waitcnt lgkmcnt(0)
	v_mul_f64 v[103:104], v[101:102], v[105:106]
	v_fma_f64 v[103:104], v[99:100], v[97:98], -v[103:104]
	v_mul_f64 v[99:100], v[99:100], v[105:106]
	v_add_f64 v[69:70], v[69:70], -v[103:104]
	v_fma_f64 v[99:100], v[101:102], v[97:98], v[99:100]
	v_add_f64 v[71:72], v[71:72], -v[99:100]
	;; [unrolled: 8-line block ×19, first 2 shown]
	ds_read2_b64 v[99:102], v125 offset0:50 offset1:51
	s_waitcnt lgkmcnt(0)
	v_mul_f64 v[103:104], v[101:102], v[105:106]
	v_fma_f64 v[103:104], v[99:100], v[97:98], -v[103:104]
	v_mul_f64 v[99:100], v[99:100], v[105:106]
	v_add_f64 v[73:74], v[73:74], -v[103:104]
	v_fma_f64 v[99:100], v[101:102], v[97:98], v[99:100]
	v_mov_b32_e32 v104, v98
	v_mov_b32_e32 v103, v97
	buffer_store_dword v103, off, s[20:23], 0 offset:80 ; 4-byte Folded Spill
	s_nop 0
	buffer_store_dword v104, off, s[20:23], 0 offset:84 ; 4-byte Folded Spill
	buffer_store_dword v105, off, s[20:23], 0 offset:88 ; 4-byte Folded Spill
	;; [unrolled: 1-line block ×3, first 2 shown]
	v_add_f64 v[75:76], v[75:76], -v[99:100]
.LBB51_10:
	s_or_b64 exec, exec, s[4:5]
	v_cmp_eq_u32_e32 vcc, 1, v0
	s_waitcnt vmcnt(0)
	s_barrier
	s_and_saveexec_b64 s[4:5], vcc
	s_cbranch_execz .LBB51_17
; %bb.11:
	buffer_load_dword v87, off, s[20:23], 0 offset:64 ; 4-byte Folded Reload
	buffer_load_dword v88, off, s[20:23], 0 offset:68 ; 4-byte Folded Reload
	;; [unrolled: 1-line block ×4, first 2 shown]
	v_mov_b32_e32 v84, v60
	v_mov_b32_e32 v83, v59
	;; [unrolled: 1-line block ×4, first 2 shown]
	s_waitcnt vmcnt(0)
	ds_write2_b64 v127, v[87:88], v[89:90] offset1:1
	buffer_load_dword v87, off, s[20:23], 0 offset:48 ; 4-byte Folded Reload
	buffer_load_dword v88, off, s[20:23], 0 offset:52 ; 4-byte Folded Reload
	buffer_load_dword v89, off, s[20:23], 0 offset:56 ; 4-byte Folded Reload
	buffer_load_dword v90, off, s[20:23], 0 offset:60 ; 4-byte Folded Reload
	s_waitcnt vmcnt(0)
	ds_write2_b64 v125, v[87:88], v[89:90] offset0:4 offset1:5
	buffer_load_dword v87, off, s[20:23], 0 offset:32 ; 4-byte Folded Reload
	buffer_load_dword v88, off, s[20:23], 0 offset:36 ; 4-byte Folded Reload
	buffer_load_dword v89, off, s[20:23], 0 offset:40 ; 4-byte Folded Reload
	buffer_load_dword v90, off, s[20:23], 0 offset:44 ; 4-byte Folded Reload
	s_waitcnt vmcnt(0)
	ds_write2_b64 v125, v[87:88], v[89:90] offset0:6 offset1:7
	;; [unrolled: 6-line block ×3, first 2 shown]
	v_mov_b32_e32 v57, v81
	v_mov_b32_e32 v58, v82
	;; [unrolled: 1-line block ×4, first 2 shown]
	buffer_load_dword v81, off, s[20:23], 0 ; 4-byte Folded Reload
	buffer_load_dword v82, off, s[20:23], 0 offset:4 ; 4-byte Folded Reload
	buffer_load_dword v83, off, s[20:23], 0 offset:8 ; 4-byte Folded Reload
	;; [unrolled: 1-line block ×3, first 2 shown]
	s_waitcnt vmcnt(0)
	ds_write2_b64 v125, v[81:82], v[83:84] offset0:10 offset1:11
	ds_write2_b64 v125, v[77:78], v[79:80] offset0:12 offset1:13
	;; [unrolled: 1-line block ×21, first 2 shown]
	ds_read2_b64 v[97:100], v127 offset1:1
	s_waitcnt lgkmcnt(0)
	v_cmp_neq_f64_e32 vcc, 0, v[97:98]
	v_cmp_neq_f64_e64 s[2:3], 0, v[99:100]
	s_or_b64 s[2:3], vcc, s[2:3]
	s_and_b64 exec, exec, s[2:3]
	s_cbranch_execz .LBB51_17
; %bb.12:
	v_cmp_ngt_f64_e64 s[2:3], |v[97:98]|, |v[99:100]|
                                        ; implicit-def: $vgpr101_vgpr102
	s_and_saveexec_b64 s[6:7], s[2:3]
	s_xor_b64 s[2:3], exec, s[6:7]
                                        ; implicit-def: $vgpr103_vgpr104
	s_cbranch_execz .LBB51_14
; %bb.13:
	v_div_scale_f64 v[101:102], s[6:7], v[99:100], v[99:100], v[97:98]
	v_rcp_f64_e32 v[103:104], v[101:102]
	v_fma_f64 v[105:106], -v[101:102], v[103:104], 1.0
	v_fma_f64 v[103:104], v[103:104], v[105:106], v[103:104]
	v_div_scale_f64 v[105:106], vcc, v[97:98], v[99:100], v[97:98]
	v_fma_f64 v[107:108], -v[101:102], v[103:104], 1.0
	v_fma_f64 v[103:104], v[103:104], v[107:108], v[103:104]
	v_mul_f64 v[107:108], v[105:106], v[103:104]
	v_fma_f64 v[101:102], -v[101:102], v[107:108], v[105:106]
	v_div_fmas_f64 v[101:102], v[101:102], v[103:104], v[107:108]
	v_div_fixup_f64 v[101:102], v[101:102], v[99:100], v[97:98]
	v_fma_f64 v[97:98], v[97:98], v[101:102], v[99:100]
	v_div_scale_f64 v[99:100], s[6:7], v[97:98], v[97:98], 1.0
	v_div_scale_f64 v[107:108], vcc, 1.0, v[97:98], 1.0
	v_rcp_f64_e32 v[103:104], v[99:100]
	v_fma_f64 v[105:106], -v[99:100], v[103:104], 1.0
	v_fma_f64 v[103:104], v[103:104], v[105:106], v[103:104]
	v_fma_f64 v[105:106], -v[99:100], v[103:104], 1.0
	v_fma_f64 v[103:104], v[103:104], v[105:106], v[103:104]
	v_mul_f64 v[105:106], v[107:108], v[103:104]
	v_fma_f64 v[99:100], -v[99:100], v[105:106], v[107:108]
	v_div_fmas_f64 v[99:100], v[99:100], v[103:104], v[105:106]
	v_div_fixup_f64 v[103:104], v[99:100], v[97:98], 1.0
                                        ; implicit-def: $vgpr97_vgpr98
	v_mul_f64 v[101:102], v[101:102], v[103:104]
	v_xor_b32_e32 v104, 0x80000000, v104
.LBB51_14:
	s_andn2_saveexec_b64 s[2:3], s[2:3]
	s_cbranch_execz .LBB51_16
; %bb.15:
	v_div_scale_f64 v[101:102], s[6:7], v[97:98], v[97:98], v[99:100]
	v_rcp_f64_e32 v[103:104], v[101:102]
	v_fma_f64 v[105:106], -v[101:102], v[103:104], 1.0
	v_fma_f64 v[103:104], v[103:104], v[105:106], v[103:104]
	v_div_scale_f64 v[105:106], vcc, v[99:100], v[97:98], v[99:100]
	v_fma_f64 v[107:108], -v[101:102], v[103:104], 1.0
	v_fma_f64 v[103:104], v[103:104], v[107:108], v[103:104]
	v_mul_f64 v[107:108], v[105:106], v[103:104]
	v_fma_f64 v[101:102], -v[101:102], v[107:108], v[105:106]
	v_div_fmas_f64 v[101:102], v[101:102], v[103:104], v[107:108]
	v_div_fixup_f64 v[103:104], v[101:102], v[97:98], v[99:100]
	v_fma_f64 v[97:98], v[99:100], v[103:104], v[97:98]
	v_div_scale_f64 v[99:100], s[6:7], v[97:98], v[97:98], 1.0
	v_div_scale_f64 v[107:108], vcc, 1.0, v[97:98], 1.0
	v_rcp_f64_e32 v[101:102], v[99:100]
	v_fma_f64 v[105:106], -v[99:100], v[101:102], 1.0
	v_fma_f64 v[101:102], v[101:102], v[105:106], v[101:102]
	v_fma_f64 v[105:106], -v[99:100], v[101:102], 1.0
	v_fma_f64 v[101:102], v[101:102], v[105:106], v[101:102]
	v_mul_f64 v[105:106], v[107:108], v[101:102]
	v_fma_f64 v[99:100], -v[99:100], v[105:106], v[107:108]
	v_div_fmas_f64 v[99:100], v[99:100], v[101:102], v[105:106]
	v_div_fixup_f64 v[101:102], v[99:100], v[97:98], 1.0
	v_mul_f64 v[103:104], v[103:104], -v[101:102]
.LBB51_16:
	s_or_b64 exec, exec, s[2:3]
	ds_write2_b64 v127, v[101:102], v[103:104] offset1:1
.LBB51_17:
	s_or_b64 exec, exec, s[4:5]
	s_waitcnt lgkmcnt(0)
	s_barrier
	ds_read2_b64 v[87:90], v127 offset1:1
	v_cmp_lt_u32_e32 vcc, 1, v0
	s_waitcnt lgkmcnt(0)
	buffer_store_dword v87, off, s[20:23], 0 offset:288 ; 4-byte Folded Spill
	s_nop 0
	buffer_store_dword v88, off, s[20:23], 0 offset:292 ; 4-byte Folded Spill
	buffer_store_dword v89, off, s[20:23], 0 offset:296 ; 4-byte Folded Spill
	;; [unrolled: 1-line block ×3, first 2 shown]
	s_and_saveexec_b64 s[2:3], vcc
	s_cbranch_execz .LBB51_19
; %bb.18:
	buffer_load_dword v103, off, s[20:23], 0 offset:64 ; 4-byte Folded Reload
	buffer_load_dword v104, off, s[20:23], 0 offset:68 ; 4-byte Folded Reload
	;; [unrolled: 1-line block ×8, first 2 shown]
	v_mov_b32_e32 v84, v60
	v_mov_b32_e32 v83, v59
	;; [unrolled: 1-line block ×4, first 2 shown]
	s_waitcnt vmcnt(2)
	v_mul_f64 v[99:100], v[87:88], v[105:106]
	s_waitcnt vmcnt(0)
	v_mul_f64 v[97:98], v[89:90], v[105:106]
	v_fma_f64 v[105:106], v[89:90], v[103:104], v[99:100]
	ds_read2_b64 v[99:102], v125 offset0:4 offset1:5
	v_fma_f64 v[97:98], v[87:88], v[103:104], -v[97:98]
	buffer_load_dword v87, off, s[20:23], 0 offset:48 ; 4-byte Folded Reload
	buffer_load_dword v88, off, s[20:23], 0 offset:52 ; 4-byte Folded Reload
	buffer_load_dword v89, off, s[20:23], 0 offset:56 ; 4-byte Folded Reload
	buffer_load_dword v90, off, s[20:23], 0 offset:60 ; 4-byte Folded Reload
	s_waitcnt lgkmcnt(0)
	v_mul_f64 v[103:104], v[101:102], v[105:106]
	v_fma_f64 v[103:104], v[99:100], v[97:98], -v[103:104]
	v_mul_f64 v[99:100], v[99:100], v[105:106]
	v_fma_f64 v[99:100], v[101:102], v[97:98], v[99:100]
	s_waitcnt vmcnt(2)
	v_add_f64 v[87:88], v[87:88], -v[103:104]
	s_waitcnt vmcnt(0)
	v_add_f64 v[89:90], v[89:90], -v[99:100]
	buffer_store_dword v87, off, s[20:23], 0 offset:48 ; 4-byte Folded Spill
	s_nop 0
	buffer_store_dword v88, off, s[20:23], 0 offset:52 ; 4-byte Folded Spill
	buffer_store_dword v89, off, s[20:23], 0 offset:56 ; 4-byte Folded Spill
	;; [unrolled: 1-line block ×3, first 2 shown]
	ds_read2_b64 v[99:102], v125 offset0:6 offset1:7
	buffer_load_dword v87, off, s[20:23], 0 offset:32 ; 4-byte Folded Reload
	buffer_load_dword v88, off, s[20:23], 0 offset:36 ; 4-byte Folded Reload
	;; [unrolled: 1-line block ×4, first 2 shown]
	s_waitcnt lgkmcnt(0)
	v_mul_f64 v[103:104], v[101:102], v[105:106]
	v_fma_f64 v[103:104], v[99:100], v[97:98], -v[103:104]
	v_mul_f64 v[99:100], v[99:100], v[105:106]
	v_fma_f64 v[99:100], v[101:102], v[97:98], v[99:100]
	s_waitcnt vmcnt(2)
	v_add_f64 v[87:88], v[87:88], -v[103:104]
	s_waitcnt vmcnt(0)
	v_add_f64 v[89:90], v[89:90], -v[99:100]
	buffer_store_dword v87, off, s[20:23], 0 offset:32 ; 4-byte Folded Spill
	s_nop 0
	buffer_store_dword v88, off, s[20:23], 0 offset:36 ; 4-byte Folded Spill
	buffer_store_dword v89, off, s[20:23], 0 offset:40 ; 4-byte Folded Spill
	;; [unrolled: 1-line block ×3, first 2 shown]
	ds_read2_b64 v[99:102], v125 offset0:8 offset1:9
	buffer_load_dword v57, off, s[20:23], 0 offset:16 ; 4-byte Folded Reload
	buffer_load_dword v58, off, s[20:23], 0 offset:20 ; 4-byte Folded Reload
	;; [unrolled: 1-line block ×4, first 2 shown]
	s_waitcnt lgkmcnt(0)
	v_mul_f64 v[103:104], v[101:102], v[105:106]
	v_fma_f64 v[103:104], v[99:100], v[97:98], -v[103:104]
	v_mul_f64 v[99:100], v[99:100], v[105:106]
	v_fma_f64 v[99:100], v[101:102], v[97:98], v[99:100]
	s_waitcnt vmcnt(2)
	v_add_f64 v[57:58], v[57:58], -v[103:104]
	s_waitcnt vmcnt(0)
	v_add_f64 v[59:60], v[59:60], -v[99:100]
	buffer_store_dword v57, off, s[20:23], 0 offset:16 ; 4-byte Folded Spill
	s_nop 0
	buffer_store_dword v58, off, s[20:23], 0 offset:20 ; 4-byte Folded Spill
	buffer_store_dword v59, off, s[20:23], 0 offset:24 ; 4-byte Folded Spill
	;; [unrolled: 1-line block ×3, first 2 shown]
	v_mov_b32_e32 v57, v81
	v_mov_b32_e32 v58, v82
	;; [unrolled: 1-line block ×4, first 2 shown]
	ds_read2_b64 v[99:102], v125 offset0:10 offset1:11
	buffer_load_dword v81, off, s[20:23], 0 ; 4-byte Folded Reload
	buffer_load_dword v82, off, s[20:23], 0 offset:4 ; 4-byte Folded Reload
	buffer_load_dword v83, off, s[20:23], 0 offset:8 ; 4-byte Folded Reload
	buffer_load_dword v84, off, s[20:23], 0 offset:12 ; 4-byte Folded Reload
	s_waitcnt lgkmcnt(0)
	v_mul_f64 v[103:104], v[101:102], v[105:106]
	v_fma_f64 v[103:104], v[99:100], v[97:98], -v[103:104]
	v_mul_f64 v[99:100], v[99:100], v[105:106]
	v_fma_f64 v[99:100], v[101:102], v[97:98], v[99:100]
	s_waitcnt vmcnt(2)
	v_add_f64 v[81:82], v[81:82], -v[103:104]
	s_waitcnt vmcnt(0)
	v_add_f64 v[83:84], v[83:84], -v[99:100]
	buffer_store_dword v81, off, s[20:23], 0 ; 4-byte Folded Spill
	s_nop 0
	buffer_store_dword v82, off, s[20:23], 0 offset:4 ; 4-byte Folded Spill
	buffer_store_dword v83, off, s[20:23], 0 offset:8 ; 4-byte Folded Spill
	;; [unrolled: 1-line block ×3, first 2 shown]
	ds_read2_b64 v[99:102], v125 offset0:12 offset1:13
	s_waitcnt lgkmcnt(0)
	v_mul_f64 v[103:104], v[101:102], v[105:106]
	v_fma_f64 v[103:104], v[99:100], v[97:98], -v[103:104]
	v_mul_f64 v[99:100], v[99:100], v[105:106]
	v_add_f64 v[77:78], v[77:78], -v[103:104]
	v_fma_f64 v[99:100], v[101:102], v[97:98], v[99:100]
	v_add_f64 v[79:80], v[79:80], -v[99:100]
	ds_read2_b64 v[99:102], v125 offset0:14 offset1:15
	s_waitcnt lgkmcnt(0)
	v_mul_f64 v[103:104], v[101:102], v[105:106]
	v_fma_f64 v[103:104], v[99:100], v[97:98], -v[103:104]
	v_mul_f64 v[99:100], v[99:100], v[105:106]
	v_add_f64 v[69:70], v[69:70], -v[103:104]
	v_fma_f64 v[99:100], v[101:102], v[97:98], v[99:100]
	v_add_f64 v[71:72], v[71:72], -v[99:100]
	;; [unrolled: 8-line block ×19, first 2 shown]
	ds_read2_b64 v[99:102], v125 offset0:50 offset1:51
	s_waitcnt lgkmcnt(0)
	v_mul_f64 v[103:104], v[101:102], v[105:106]
	v_fma_f64 v[103:104], v[99:100], v[97:98], -v[103:104]
	v_mul_f64 v[99:100], v[99:100], v[105:106]
	v_add_f64 v[73:74], v[73:74], -v[103:104]
	v_fma_f64 v[99:100], v[101:102], v[97:98], v[99:100]
	v_mov_b32_e32 v104, v98
	v_mov_b32_e32 v103, v97
	buffer_store_dword v103, off, s[20:23], 0 offset:64 ; 4-byte Folded Spill
	s_nop 0
	buffer_store_dword v104, off, s[20:23], 0 offset:68 ; 4-byte Folded Spill
	buffer_store_dword v105, off, s[20:23], 0 offset:72 ; 4-byte Folded Spill
	;; [unrolled: 1-line block ×3, first 2 shown]
	v_add_f64 v[75:76], v[75:76], -v[99:100]
.LBB51_19:
	s_or_b64 exec, exec, s[2:3]
	v_cmp_eq_u32_e32 vcc, 2, v0
	s_waitcnt vmcnt(0)
	s_barrier
	s_and_saveexec_b64 s[4:5], vcc
	s_cbranch_execz .LBB51_26
; %bb.20:
	buffer_load_dword v87, off, s[20:23], 0 offset:48 ; 4-byte Folded Reload
	buffer_load_dword v88, off, s[20:23], 0 offset:52 ; 4-byte Folded Reload
	;; [unrolled: 1-line block ×4, first 2 shown]
	v_mov_b32_e32 v84, v60
	v_mov_b32_e32 v83, v59
	;; [unrolled: 1-line block ×4, first 2 shown]
	s_waitcnt vmcnt(0)
	ds_write2_b64 v127, v[87:88], v[89:90] offset1:1
	buffer_load_dword v87, off, s[20:23], 0 offset:32 ; 4-byte Folded Reload
	buffer_load_dword v88, off, s[20:23], 0 offset:36 ; 4-byte Folded Reload
	buffer_load_dword v89, off, s[20:23], 0 offset:40 ; 4-byte Folded Reload
	buffer_load_dword v90, off, s[20:23], 0 offset:44 ; 4-byte Folded Reload
	s_waitcnt vmcnt(0)
	ds_write2_b64 v125, v[87:88], v[89:90] offset0:6 offset1:7
	buffer_load_dword v57, off, s[20:23], 0 offset:16 ; 4-byte Folded Reload
	buffer_load_dword v58, off, s[20:23], 0 offset:20 ; 4-byte Folded Reload
	;; [unrolled: 1-line block ×4, first 2 shown]
	s_waitcnt vmcnt(0)
	ds_write2_b64 v125, v[57:58], v[59:60] offset0:8 offset1:9
	v_mov_b32_e32 v57, v81
	v_mov_b32_e32 v58, v82
	;; [unrolled: 1-line block ×4, first 2 shown]
	buffer_load_dword v81, off, s[20:23], 0 ; 4-byte Folded Reload
	buffer_load_dword v82, off, s[20:23], 0 offset:4 ; 4-byte Folded Reload
	buffer_load_dword v83, off, s[20:23], 0 offset:8 ; 4-byte Folded Reload
	;; [unrolled: 1-line block ×3, first 2 shown]
	s_waitcnt vmcnt(0)
	ds_write2_b64 v125, v[81:82], v[83:84] offset0:10 offset1:11
	ds_write2_b64 v125, v[77:78], v[79:80] offset0:12 offset1:13
	;; [unrolled: 1-line block ×21, first 2 shown]
	ds_read2_b64 v[97:100], v127 offset1:1
	s_waitcnt lgkmcnt(0)
	v_cmp_neq_f64_e32 vcc, 0, v[97:98]
	v_cmp_neq_f64_e64 s[2:3], 0, v[99:100]
	s_or_b64 s[2:3], vcc, s[2:3]
	s_and_b64 exec, exec, s[2:3]
	s_cbranch_execz .LBB51_26
; %bb.21:
	v_cmp_ngt_f64_e64 s[2:3], |v[97:98]|, |v[99:100]|
                                        ; implicit-def: $vgpr101_vgpr102
	s_and_saveexec_b64 s[6:7], s[2:3]
	s_xor_b64 s[2:3], exec, s[6:7]
                                        ; implicit-def: $vgpr103_vgpr104
	s_cbranch_execz .LBB51_23
; %bb.22:
	v_div_scale_f64 v[101:102], s[6:7], v[99:100], v[99:100], v[97:98]
	v_rcp_f64_e32 v[103:104], v[101:102]
	v_fma_f64 v[105:106], -v[101:102], v[103:104], 1.0
	v_fma_f64 v[103:104], v[103:104], v[105:106], v[103:104]
	v_div_scale_f64 v[105:106], vcc, v[97:98], v[99:100], v[97:98]
	v_fma_f64 v[107:108], -v[101:102], v[103:104], 1.0
	v_fma_f64 v[103:104], v[103:104], v[107:108], v[103:104]
	v_mul_f64 v[107:108], v[105:106], v[103:104]
	v_fma_f64 v[101:102], -v[101:102], v[107:108], v[105:106]
	v_div_fmas_f64 v[101:102], v[101:102], v[103:104], v[107:108]
	v_div_fixup_f64 v[101:102], v[101:102], v[99:100], v[97:98]
	v_fma_f64 v[97:98], v[97:98], v[101:102], v[99:100]
	v_div_scale_f64 v[99:100], s[6:7], v[97:98], v[97:98], 1.0
	v_div_scale_f64 v[107:108], vcc, 1.0, v[97:98], 1.0
	v_rcp_f64_e32 v[103:104], v[99:100]
	v_fma_f64 v[105:106], -v[99:100], v[103:104], 1.0
	v_fma_f64 v[103:104], v[103:104], v[105:106], v[103:104]
	v_fma_f64 v[105:106], -v[99:100], v[103:104], 1.0
	v_fma_f64 v[103:104], v[103:104], v[105:106], v[103:104]
	v_mul_f64 v[105:106], v[107:108], v[103:104]
	v_fma_f64 v[99:100], -v[99:100], v[105:106], v[107:108]
	v_div_fmas_f64 v[99:100], v[99:100], v[103:104], v[105:106]
	v_div_fixup_f64 v[103:104], v[99:100], v[97:98], 1.0
                                        ; implicit-def: $vgpr97_vgpr98
	v_mul_f64 v[101:102], v[101:102], v[103:104]
	v_xor_b32_e32 v104, 0x80000000, v104
.LBB51_23:
	s_andn2_saveexec_b64 s[2:3], s[2:3]
	s_cbranch_execz .LBB51_25
; %bb.24:
	v_div_scale_f64 v[101:102], s[6:7], v[97:98], v[97:98], v[99:100]
	v_rcp_f64_e32 v[103:104], v[101:102]
	v_fma_f64 v[105:106], -v[101:102], v[103:104], 1.0
	v_fma_f64 v[103:104], v[103:104], v[105:106], v[103:104]
	v_div_scale_f64 v[105:106], vcc, v[99:100], v[97:98], v[99:100]
	v_fma_f64 v[107:108], -v[101:102], v[103:104], 1.0
	v_fma_f64 v[103:104], v[103:104], v[107:108], v[103:104]
	v_mul_f64 v[107:108], v[105:106], v[103:104]
	v_fma_f64 v[101:102], -v[101:102], v[107:108], v[105:106]
	v_div_fmas_f64 v[101:102], v[101:102], v[103:104], v[107:108]
	v_div_fixup_f64 v[103:104], v[101:102], v[97:98], v[99:100]
	v_fma_f64 v[97:98], v[99:100], v[103:104], v[97:98]
	v_div_scale_f64 v[99:100], s[6:7], v[97:98], v[97:98], 1.0
	v_div_scale_f64 v[107:108], vcc, 1.0, v[97:98], 1.0
	v_rcp_f64_e32 v[101:102], v[99:100]
	v_fma_f64 v[105:106], -v[99:100], v[101:102], 1.0
	v_fma_f64 v[101:102], v[101:102], v[105:106], v[101:102]
	v_fma_f64 v[105:106], -v[99:100], v[101:102], 1.0
	v_fma_f64 v[101:102], v[101:102], v[105:106], v[101:102]
	v_mul_f64 v[105:106], v[107:108], v[101:102]
	v_fma_f64 v[99:100], -v[99:100], v[105:106], v[107:108]
	v_div_fmas_f64 v[99:100], v[99:100], v[101:102], v[105:106]
	v_div_fixup_f64 v[101:102], v[99:100], v[97:98], 1.0
	v_mul_f64 v[103:104], v[103:104], -v[101:102]
.LBB51_25:
	s_or_b64 exec, exec, s[2:3]
	ds_write2_b64 v127, v[101:102], v[103:104] offset1:1
.LBB51_26:
	s_or_b64 exec, exec, s[4:5]
	s_waitcnt lgkmcnt(0)
	s_barrier
	ds_read2_b64 v[87:90], v127 offset1:1
	v_cmp_lt_u32_e32 vcc, 2, v0
	s_waitcnt lgkmcnt(0)
	buffer_store_dword v87, off, s[20:23], 0 offset:304 ; 4-byte Folded Spill
	s_nop 0
	buffer_store_dword v88, off, s[20:23], 0 offset:308 ; 4-byte Folded Spill
	buffer_store_dword v89, off, s[20:23], 0 offset:312 ; 4-byte Folded Spill
	;; [unrolled: 1-line block ×3, first 2 shown]
	s_and_saveexec_b64 s[2:3], vcc
	s_cbranch_execz .LBB51_28
; %bb.27:
	buffer_load_dword v103, off, s[20:23], 0 offset:48 ; 4-byte Folded Reload
	buffer_load_dword v104, off, s[20:23], 0 offset:52 ; 4-byte Folded Reload
	;; [unrolled: 1-line block ×12, first 2 shown]
	s_waitcnt vmcnt(6)
	v_mul_f64 v[95:96], v[99:100], v[105:106]
	s_waitcnt vmcnt(4)
	v_mul_f64 v[97:98], v[101:102], v[105:106]
	v_fma_f64 v[105:106], v[101:102], v[103:104], v[95:96]
	v_fma_f64 v[97:98], v[99:100], v[103:104], -v[97:98]
	ds_read2_b64 v[99:102], v125 offset0:6 offset1:7
	s_waitcnt lgkmcnt(0)
	v_mul_f64 v[93:94], v[101:102], v[105:106]
	v_fma_f64 v[93:94], v[99:100], v[97:98], -v[93:94]
	v_mul_f64 v[99:100], v[99:100], v[105:106]
	v_fma_f64 v[99:100], v[101:102], v[97:98], v[99:100]
	buffer_load_dword v101, off, s[20:23], 0 offset:32 ; 4-byte Folded Reload
	buffer_load_dword v102, off, s[20:23], 0 offset:36 ; 4-byte Folded Reload
	;; [unrolled: 1-line block ×4, first 2 shown]
	s_waitcnt vmcnt(2)
	v_add_f64 v[101:102], v[101:102], -v[93:94]
	s_waitcnt vmcnt(0)
	v_add_f64 v[103:104], v[103:104], -v[99:100]
	buffer_store_dword v101, off, s[20:23], 0 offset:32 ; 4-byte Folded Spill
	s_nop 0
	buffer_store_dword v102, off, s[20:23], 0 offset:36 ; 4-byte Folded Spill
	buffer_store_dword v103, off, s[20:23], 0 offset:40 ; 4-byte Folded Spill
	;; [unrolled: 1-line block ×3, first 2 shown]
	ds_read2_b64 v[99:102], v125 offset0:8 offset1:9
	v_mov_b32_e32 v104, v98
	v_mov_b32_e32 v103, v97
	s_waitcnt lgkmcnt(0)
	v_mul_f64 v[93:94], v[101:102], v[105:106]
	v_fma_f64 v[93:94], v[99:100], v[97:98], -v[93:94]
	v_mul_f64 v[99:100], v[99:100], v[105:106]
	v_add_f64 v[87:88], v[87:88], -v[93:94]
	v_fma_f64 v[99:100], v[101:102], v[97:98], v[99:100]
	v_add_f64 v[89:90], v[89:90], -v[99:100]
	buffer_store_dword v87, off, s[20:23], 0 offset:16 ; 4-byte Folded Spill
	s_nop 0
	buffer_store_dword v88, off, s[20:23], 0 offset:20 ; 4-byte Folded Spill
	buffer_store_dword v89, off, s[20:23], 0 offset:24 ; 4-byte Folded Spill
	;; [unrolled: 1-line block ×3, first 2 shown]
	ds_read2_b64 v[99:102], v125 offset0:10 offset1:11
	buffer_load_dword v81, off, s[20:23], 0 ; 4-byte Folded Reload
	buffer_load_dword v82, off, s[20:23], 0 offset:4 ; 4-byte Folded Reload
	buffer_load_dword v83, off, s[20:23], 0 offset:8 ; 4-byte Folded Reload
	;; [unrolled: 1-line block ×3, first 2 shown]
	s_waitcnt lgkmcnt(0)
	v_mul_f64 v[93:94], v[101:102], v[105:106]
	v_fma_f64 v[93:94], v[99:100], v[97:98], -v[93:94]
	v_mul_f64 v[99:100], v[99:100], v[105:106]
	v_fma_f64 v[99:100], v[101:102], v[97:98], v[99:100]
	s_waitcnt vmcnt(2)
	v_add_f64 v[81:82], v[81:82], -v[93:94]
	s_waitcnt vmcnt(0)
	v_add_f64 v[83:84], v[83:84], -v[99:100]
	buffer_store_dword v81, off, s[20:23], 0 ; 4-byte Folded Spill
	s_nop 0
	buffer_store_dword v82, off, s[20:23], 0 offset:4 ; 4-byte Folded Spill
	buffer_store_dword v83, off, s[20:23], 0 offset:8 ; 4-byte Folded Spill
	;; [unrolled: 1-line block ×3, first 2 shown]
	ds_read2_b64 v[99:102], v125 offset0:12 offset1:13
	s_waitcnt lgkmcnt(0)
	v_mul_f64 v[93:94], v[101:102], v[105:106]
	v_fma_f64 v[93:94], v[99:100], v[97:98], -v[93:94]
	v_mul_f64 v[99:100], v[99:100], v[105:106]
	v_add_f64 v[77:78], v[77:78], -v[93:94]
	v_fma_f64 v[99:100], v[101:102], v[97:98], v[99:100]
	v_add_f64 v[79:80], v[79:80], -v[99:100]
	ds_read2_b64 v[99:102], v125 offset0:14 offset1:15
	s_waitcnt lgkmcnt(0)
	v_mul_f64 v[93:94], v[101:102], v[105:106]
	v_fma_f64 v[93:94], v[99:100], v[97:98], -v[93:94]
	v_mul_f64 v[99:100], v[99:100], v[105:106]
	v_add_f64 v[69:70], v[69:70], -v[93:94]
	v_fma_f64 v[99:100], v[101:102], v[97:98], v[99:100]
	v_add_f64 v[71:72], v[71:72], -v[99:100]
	;; [unrolled: 8-line block ×19, first 2 shown]
	ds_read2_b64 v[99:102], v125 offset0:50 offset1:51
	s_waitcnt lgkmcnt(0)
	v_mul_f64 v[93:94], v[101:102], v[105:106]
	v_fma_f64 v[93:94], v[99:100], v[97:98], -v[93:94]
	v_mul_f64 v[99:100], v[99:100], v[105:106]
	buffer_store_dword v103, off, s[20:23], 0 offset:48 ; 4-byte Folded Spill
	s_nop 0
	buffer_store_dword v104, off, s[20:23], 0 offset:52 ; 4-byte Folded Spill
	buffer_store_dword v105, off, s[20:23], 0 offset:56 ; 4-byte Folded Spill
	;; [unrolled: 1-line block ×3, first 2 shown]
	v_add_f64 v[73:74], v[73:74], -v[93:94]
	v_fma_f64 v[99:100], v[101:102], v[97:98], v[99:100]
	v_add_f64 v[75:76], v[75:76], -v[99:100]
.LBB51_28:
	s_or_b64 exec, exec, s[2:3]
	v_cmp_eq_u32_e32 vcc, 3, v0
	s_waitcnt vmcnt(0)
	s_barrier
	s_and_saveexec_b64 s[4:5], vcc
	s_cbranch_execz .LBB51_35
; %bb.29:
	buffer_load_dword v87, off, s[20:23], 0 offset:32 ; 4-byte Folded Reload
	buffer_load_dword v88, off, s[20:23], 0 offset:36 ; 4-byte Folded Reload
	;; [unrolled: 1-line block ×4, first 2 shown]
	v_mov_b32_e32 v84, v60
	v_mov_b32_e32 v83, v59
	;; [unrolled: 1-line block ×4, first 2 shown]
	s_waitcnt vmcnt(0)
	ds_write2_b64 v127, v[87:88], v[89:90] offset1:1
	buffer_load_dword v57, off, s[20:23], 0 offset:16 ; 4-byte Folded Reload
	buffer_load_dword v58, off, s[20:23], 0 offset:20 ; 4-byte Folded Reload
	buffer_load_dword v59, off, s[20:23], 0 offset:24 ; 4-byte Folded Reload
	buffer_load_dword v60, off, s[20:23], 0 offset:28 ; 4-byte Folded Reload
	s_waitcnt vmcnt(0)
	ds_write2_b64 v125, v[57:58], v[59:60] offset0:8 offset1:9
	v_mov_b32_e32 v57, v81
	v_mov_b32_e32 v58, v82
	;; [unrolled: 1-line block ×4, first 2 shown]
	buffer_load_dword v81, off, s[20:23], 0 ; 4-byte Folded Reload
	buffer_load_dword v82, off, s[20:23], 0 offset:4 ; 4-byte Folded Reload
	buffer_load_dword v83, off, s[20:23], 0 offset:8 ; 4-byte Folded Reload
	;; [unrolled: 1-line block ×3, first 2 shown]
	s_waitcnt vmcnt(0)
	ds_write2_b64 v125, v[81:82], v[83:84] offset0:10 offset1:11
	ds_write2_b64 v125, v[77:78], v[79:80] offset0:12 offset1:13
	;; [unrolled: 1-line block ×21, first 2 shown]
	ds_read2_b64 v[97:100], v127 offset1:1
	s_waitcnt lgkmcnt(0)
	v_cmp_neq_f64_e32 vcc, 0, v[97:98]
	v_cmp_neq_f64_e64 s[2:3], 0, v[99:100]
	s_or_b64 s[2:3], vcc, s[2:3]
	s_and_b64 exec, exec, s[2:3]
	s_cbranch_execz .LBB51_35
; %bb.30:
	v_cmp_ngt_f64_e64 s[2:3], |v[97:98]|, |v[99:100]|
                                        ; implicit-def: $vgpr101_vgpr102
	s_and_saveexec_b64 s[6:7], s[2:3]
	s_xor_b64 s[2:3], exec, s[6:7]
                                        ; implicit-def: $vgpr103_vgpr104
	s_cbranch_execz .LBB51_32
; %bb.31:
	v_div_scale_f64 v[101:102], s[6:7], v[99:100], v[99:100], v[97:98]
	v_rcp_f64_e32 v[103:104], v[101:102]
	v_fma_f64 v[105:106], -v[101:102], v[103:104], 1.0
	v_fma_f64 v[103:104], v[103:104], v[105:106], v[103:104]
	v_div_scale_f64 v[105:106], vcc, v[97:98], v[99:100], v[97:98]
	v_fma_f64 v[107:108], -v[101:102], v[103:104], 1.0
	v_fma_f64 v[103:104], v[103:104], v[107:108], v[103:104]
	v_mul_f64 v[107:108], v[105:106], v[103:104]
	v_fma_f64 v[101:102], -v[101:102], v[107:108], v[105:106]
	v_div_fmas_f64 v[101:102], v[101:102], v[103:104], v[107:108]
	v_div_fixup_f64 v[101:102], v[101:102], v[99:100], v[97:98]
	v_fma_f64 v[97:98], v[97:98], v[101:102], v[99:100]
	v_div_scale_f64 v[99:100], s[6:7], v[97:98], v[97:98], 1.0
	v_div_scale_f64 v[107:108], vcc, 1.0, v[97:98], 1.0
	v_rcp_f64_e32 v[103:104], v[99:100]
	v_fma_f64 v[105:106], -v[99:100], v[103:104], 1.0
	v_fma_f64 v[103:104], v[103:104], v[105:106], v[103:104]
	v_fma_f64 v[105:106], -v[99:100], v[103:104], 1.0
	v_fma_f64 v[103:104], v[103:104], v[105:106], v[103:104]
	v_mul_f64 v[105:106], v[107:108], v[103:104]
	v_fma_f64 v[99:100], -v[99:100], v[105:106], v[107:108]
	v_div_fmas_f64 v[99:100], v[99:100], v[103:104], v[105:106]
	v_div_fixup_f64 v[103:104], v[99:100], v[97:98], 1.0
                                        ; implicit-def: $vgpr97_vgpr98
	v_mul_f64 v[101:102], v[101:102], v[103:104]
	v_xor_b32_e32 v104, 0x80000000, v104
.LBB51_32:
	s_andn2_saveexec_b64 s[2:3], s[2:3]
	s_cbranch_execz .LBB51_34
; %bb.33:
	v_div_scale_f64 v[101:102], s[6:7], v[97:98], v[97:98], v[99:100]
	v_rcp_f64_e32 v[103:104], v[101:102]
	v_fma_f64 v[105:106], -v[101:102], v[103:104], 1.0
	v_fma_f64 v[103:104], v[103:104], v[105:106], v[103:104]
	v_div_scale_f64 v[105:106], vcc, v[99:100], v[97:98], v[99:100]
	v_fma_f64 v[107:108], -v[101:102], v[103:104], 1.0
	v_fma_f64 v[103:104], v[103:104], v[107:108], v[103:104]
	v_mul_f64 v[107:108], v[105:106], v[103:104]
	v_fma_f64 v[101:102], -v[101:102], v[107:108], v[105:106]
	v_div_fmas_f64 v[101:102], v[101:102], v[103:104], v[107:108]
	v_div_fixup_f64 v[103:104], v[101:102], v[97:98], v[99:100]
	v_fma_f64 v[97:98], v[99:100], v[103:104], v[97:98]
	v_div_scale_f64 v[99:100], s[6:7], v[97:98], v[97:98], 1.0
	v_div_scale_f64 v[107:108], vcc, 1.0, v[97:98], 1.0
	v_rcp_f64_e32 v[101:102], v[99:100]
	v_fma_f64 v[105:106], -v[99:100], v[101:102], 1.0
	v_fma_f64 v[101:102], v[101:102], v[105:106], v[101:102]
	v_fma_f64 v[105:106], -v[99:100], v[101:102], 1.0
	v_fma_f64 v[101:102], v[101:102], v[105:106], v[101:102]
	v_mul_f64 v[105:106], v[107:108], v[101:102]
	v_fma_f64 v[99:100], -v[99:100], v[105:106], v[107:108]
	v_div_fmas_f64 v[99:100], v[99:100], v[101:102], v[105:106]
	v_div_fixup_f64 v[101:102], v[99:100], v[97:98], 1.0
	v_mul_f64 v[103:104], v[103:104], -v[101:102]
.LBB51_34:
	s_or_b64 exec, exec, s[2:3]
	ds_write2_b64 v127, v[101:102], v[103:104] offset1:1
.LBB51_35:
	s_or_b64 exec, exec, s[4:5]
	s_waitcnt lgkmcnt(0)
	s_barrier
	ds_read2_b64 v[87:90], v127 offset1:1
	v_cmp_lt_u32_e32 vcc, 3, v0
	s_waitcnt lgkmcnt(0)
	buffer_store_dword v87, off, s[20:23], 0 offset:320 ; 4-byte Folded Spill
	s_nop 0
	buffer_store_dword v88, off, s[20:23], 0 offset:324 ; 4-byte Folded Spill
	buffer_store_dword v89, off, s[20:23], 0 offset:328 ; 4-byte Folded Spill
	;; [unrolled: 1-line block ×3, first 2 shown]
	s_and_saveexec_b64 s[2:3], vcc
	s_cbranch_execz .LBB51_37
; %bb.36:
	buffer_load_dword v101, off, s[20:23], 0 offset:32 ; 4-byte Folded Reload
	buffer_load_dword v102, off, s[20:23], 0 offset:36 ; 4-byte Folded Reload
	buffer_load_dword v103, off, s[20:23], 0 offset:40 ; 4-byte Folded Reload
	buffer_load_dword v104, off, s[20:23], 0 offset:44 ; 4-byte Folded Reload
	buffer_load_dword v105, off, s[20:23], 0 offset:320 ; 4-byte Folded Reload
	buffer_load_dword v106, off, s[20:23], 0 offset:324 ; 4-byte Folded Reload
	buffer_load_dword v107, off, s[20:23], 0 offset:328 ; 4-byte Folded Reload
	buffer_load_dword v108, off, s[20:23], 0 offset:332 ; 4-byte Folded Reload
	v_mov_b32_e32 v84, v60
	v_mov_b32_e32 v83, v59
	;; [unrolled: 1-line block ×4, first 2 shown]
	s_waitcnt vmcnt(2)
	v_mul_f64 v[91:92], v[105:106], v[103:104]
	s_waitcnt vmcnt(0)
	v_mul_f64 v[97:98], v[107:108], v[103:104]
	v_fma_f64 v[103:104], v[107:108], v[101:102], v[91:92]
	v_fma_f64 v[97:98], v[105:106], v[101:102], -v[97:98]
	ds_read2_b64 v[99:102], v125 offset0:8 offset1:9
	buffer_load_dword v57, off, s[20:23], 0 offset:16 ; 4-byte Folded Reload
	buffer_load_dword v58, off, s[20:23], 0 offset:20 ; 4-byte Folded Reload
	;; [unrolled: 1-line block ×4, first 2 shown]
	s_waitcnt lgkmcnt(0)
	v_mul_f64 v[89:90], v[101:102], v[103:104]
	v_fma_f64 v[89:90], v[99:100], v[97:98], -v[89:90]
	v_mul_f64 v[99:100], v[99:100], v[103:104]
	v_fma_f64 v[99:100], v[101:102], v[97:98], v[99:100]
	s_waitcnt vmcnt(2)
	v_add_f64 v[57:58], v[57:58], -v[89:90]
	s_waitcnt vmcnt(0)
	v_add_f64 v[59:60], v[59:60], -v[99:100]
	buffer_store_dword v57, off, s[20:23], 0 offset:16 ; 4-byte Folded Spill
	s_nop 0
	buffer_store_dword v58, off, s[20:23], 0 offset:20 ; 4-byte Folded Spill
	buffer_store_dword v59, off, s[20:23], 0 offset:24 ; 4-byte Folded Spill
	;; [unrolled: 1-line block ×3, first 2 shown]
	v_mov_b32_e32 v57, v81
	v_mov_b32_e32 v58, v82
	;; [unrolled: 1-line block ×4, first 2 shown]
	ds_read2_b64 v[99:102], v125 offset0:10 offset1:11
	buffer_load_dword v81, off, s[20:23], 0 ; 4-byte Folded Reload
	buffer_load_dword v82, off, s[20:23], 0 offset:4 ; 4-byte Folded Reload
	buffer_load_dword v83, off, s[20:23], 0 offset:8 ; 4-byte Folded Reload
	;; [unrolled: 1-line block ×3, first 2 shown]
	s_waitcnt lgkmcnt(0)
	v_mul_f64 v[89:90], v[101:102], v[103:104]
	v_fma_f64 v[89:90], v[99:100], v[97:98], -v[89:90]
	v_mul_f64 v[99:100], v[99:100], v[103:104]
	v_fma_f64 v[99:100], v[101:102], v[97:98], v[99:100]
	s_waitcnt vmcnt(2)
	v_add_f64 v[81:82], v[81:82], -v[89:90]
	s_waitcnt vmcnt(0)
	v_add_f64 v[83:84], v[83:84], -v[99:100]
	buffer_store_dword v81, off, s[20:23], 0 ; 4-byte Folded Spill
	s_nop 0
	buffer_store_dword v82, off, s[20:23], 0 offset:4 ; 4-byte Folded Spill
	buffer_store_dword v83, off, s[20:23], 0 offset:8 ; 4-byte Folded Spill
	;; [unrolled: 1-line block ×3, first 2 shown]
	ds_read2_b64 v[99:102], v125 offset0:12 offset1:13
	s_waitcnt lgkmcnt(0)
	v_mul_f64 v[89:90], v[101:102], v[103:104]
	v_fma_f64 v[89:90], v[99:100], v[97:98], -v[89:90]
	v_mul_f64 v[99:100], v[99:100], v[103:104]
	v_add_f64 v[77:78], v[77:78], -v[89:90]
	v_fma_f64 v[99:100], v[101:102], v[97:98], v[99:100]
	v_add_f64 v[79:80], v[79:80], -v[99:100]
	ds_read2_b64 v[99:102], v125 offset0:14 offset1:15
	s_waitcnt lgkmcnt(0)
	v_mul_f64 v[89:90], v[101:102], v[103:104]
	v_fma_f64 v[89:90], v[99:100], v[97:98], -v[89:90]
	v_mul_f64 v[99:100], v[99:100], v[103:104]
	v_add_f64 v[69:70], v[69:70], -v[89:90]
	v_fma_f64 v[99:100], v[101:102], v[97:98], v[99:100]
	v_add_f64 v[71:72], v[71:72], -v[99:100]
	;; [unrolled: 8-line block ×19, first 2 shown]
	ds_read2_b64 v[99:102], v125 offset0:50 offset1:51
	s_waitcnt lgkmcnt(0)
	v_mul_f64 v[89:90], v[101:102], v[103:104]
	v_fma_f64 v[89:90], v[99:100], v[97:98], -v[89:90]
	v_mul_f64 v[99:100], v[99:100], v[103:104]
	v_add_f64 v[73:74], v[73:74], -v[89:90]
	v_fma_f64 v[99:100], v[101:102], v[97:98], v[99:100]
	v_mov_b32_e32 v102, v98
	v_mov_b32_e32 v101, v97
	buffer_store_dword v101, off, s[20:23], 0 offset:32 ; 4-byte Folded Spill
	s_nop 0
	buffer_store_dword v102, off, s[20:23], 0 offset:36 ; 4-byte Folded Spill
	buffer_store_dword v103, off, s[20:23], 0 offset:40 ; 4-byte Folded Spill
	;; [unrolled: 1-line block ×3, first 2 shown]
	v_add_f64 v[75:76], v[75:76], -v[99:100]
.LBB51_37:
	s_or_b64 exec, exec, s[2:3]
	v_cmp_eq_u32_e32 vcc, 4, v0
	s_waitcnt vmcnt(0)
	s_barrier
	s_and_saveexec_b64 s[4:5], vcc
	s_cbranch_execz .LBB51_44
; %bb.38:
	v_mov_b32_e32 v84, v60
	v_mov_b32_e32 v83, v59
	;; [unrolled: 1-line block ×4, first 2 shown]
	buffer_load_dword v57, off, s[20:23], 0 offset:16 ; 4-byte Folded Reload
	buffer_load_dword v58, off, s[20:23], 0 offset:20 ; 4-byte Folded Reload
	;; [unrolled: 1-line block ×4, first 2 shown]
	s_waitcnt vmcnt(0)
	ds_write2_b64 v127, v[57:58], v[59:60] offset1:1
	v_mov_b32_e32 v57, v81
	v_mov_b32_e32 v58, v82
	;; [unrolled: 1-line block ×4, first 2 shown]
	buffer_load_dword v81, off, s[20:23], 0 ; 4-byte Folded Reload
	buffer_load_dword v82, off, s[20:23], 0 offset:4 ; 4-byte Folded Reload
	buffer_load_dword v83, off, s[20:23], 0 offset:8 ; 4-byte Folded Reload
	;; [unrolled: 1-line block ×3, first 2 shown]
	s_waitcnt vmcnt(0)
	ds_write2_b64 v125, v[81:82], v[83:84] offset0:10 offset1:11
	ds_write2_b64 v125, v[77:78], v[79:80] offset0:12 offset1:13
	;; [unrolled: 1-line block ×21, first 2 shown]
	ds_read2_b64 v[97:100], v127 offset1:1
	s_waitcnt lgkmcnt(0)
	v_cmp_neq_f64_e32 vcc, 0, v[97:98]
	v_cmp_neq_f64_e64 s[2:3], 0, v[99:100]
	s_or_b64 s[2:3], vcc, s[2:3]
	s_and_b64 exec, exec, s[2:3]
	s_cbranch_execz .LBB51_44
; %bb.39:
	v_cmp_ngt_f64_e64 s[2:3], |v[97:98]|, |v[99:100]|
                                        ; implicit-def: $vgpr101_vgpr102
	s_and_saveexec_b64 s[6:7], s[2:3]
	s_xor_b64 s[2:3], exec, s[6:7]
                                        ; implicit-def: $vgpr103_vgpr104
	s_cbranch_execz .LBB51_41
; %bb.40:
	v_div_scale_f64 v[101:102], s[6:7], v[99:100], v[99:100], v[97:98]
	v_rcp_f64_e32 v[103:104], v[101:102]
	v_fma_f64 v[105:106], -v[101:102], v[103:104], 1.0
	v_fma_f64 v[103:104], v[103:104], v[105:106], v[103:104]
	v_div_scale_f64 v[105:106], vcc, v[97:98], v[99:100], v[97:98]
	v_fma_f64 v[107:108], -v[101:102], v[103:104], 1.0
	v_fma_f64 v[103:104], v[103:104], v[107:108], v[103:104]
	v_mul_f64 v[107:108], v[105:106], v[103:104]
	v_fma_f64 v[101:102], -v[101:102], v[107:108], v[105:106]
	v_div_fmas_f64 v[101:102], v[101:102], v[103:104], v[107:108]
	v_div_fixup_f64 v[101:102], v[101:102], v[99:100], v[97:98]
	v_fma_f64 v[97:98], v[97:98], v[101:102], v[99:100]
	v_div_scale_f64 v[99:100], s[6:7], v[97:98], v[97:98], 1.0
	v_div_scale_f64 v[107:108], vcc, 1.0, v[97:98], 1.0
	v_rcp_f64_e32 v[103:104], v[99:100]
	v_fma_f64 v[105:106], -v[99:100], v[103:104], 1.0
	v_fma_f64 v[103:104], v[103:104], v[105:106], v[103:104]
	v_fma_f64 v[105:106], -v[99:100], v[103:104], 1.0
	v_fma_f64 v[103:104], v[103:104], v[105:106], v[103:104]
	v_mul_f64 v[105:106], v[107:108], v[103:104]
	v_fma_f64 v[99:100], -v[99:100], v[105:106], v[107:108]
	v_div_fmas_f64 v[99:100], v[99:100], v[103:104], v[105:106]
	v_div_fixup_f64 v[103:104], v[99:100], v[97:98], 1.0
                                        ; implicit-def: $vgpr97_vgpr98
	v_mul_f64 v[101:102], v[101:102], v[103:104]
	v_xor_b32_e32 v104, 0x80000000, v104
.LBB51_41:
	s_andn2_saveexec_b64 s[2:3], s[2:3]
	s_cbranch_execz .LBB51_43
; %bb.42:
	v_div_scale_f64 v[101:102], s[6:7], v[97:98], v[97:98], v[99:100]
	v_rcp_f64_e32 v[103:104], v[101:102]
	v_fma_f64 v[105:106], -v[101:102], v[103:104], 1.0
	v_fma_f64 v[103:104], v[103:104], v[105:106], v[103:104]
	v_div_scale_f64 v[105:106], vcc, v[99:100], v[97:98], v[99:100]
	v_fma_f64 v[107:108], -v[101:102], v[103:104], 1.0
	v_fma_f64 v[103:104], v[103:104], v[107:108], v[103:104]
	v_mul_f64 v[107:108], v[105:106], v[103:104]
	v_fma_f64 v[101:102], -v[101:102], v[107:108], v[105:106]
	v_div_fmas_f64 v[101:102], v[101:102], v[103:104], v[107:108]
	v_div_fixup_f64 v[103:104], v[101:102], v[97:98], v[99:100]
	v_fma_f64 v[97:98], v[99:100], v[103:104], v[97:98]
	v_div_scale_f64 v[99:100], s[6:7], v[97:98], v[97:98], 1.0
	v_div_scale_f64 v[107:108], vcc, 1.0, v[97:98], 1.0
	v_rcp_f64_e32 v[101:102], v[99:100]
	v_fma_f64 v[105:106], -v[99:100], v[101:102], 1.0
	v_fma_f64 v[101:102], v[101:102], v[105:106], v[101:102]
	v_fma_f64 v[105:106], -v[99:100], v[101:102], 1.0
	v_fma_f64 v[101:102], v[101:102], v[105:106], v[101:102]
	v_mul_f64 v[105:106], v[107:108], v[101:102]
	v_fma_f64 v[99:100], -v[99:100], v[105:106], v[107:108]
	v_div_fmas_f64 v[99:100], v[99:100], v[101:102], v[105:106]
	v_div_fixup_f64 v[101:102], v[99:100], v[97:98], 1.0
	v_mul_f64 v[103:104], v[103:104], -v[101:102]
.LBB51_43:
	s_or_b64 exec, exec, s[2:3]
	ds_write2_b64 v127, v[101:102], v[103:104] offset1:1
.LBB51_44:
	s_or_b64 exec, exec, s[4:5]
	s_waitcnt lgkmcnt(0)
	s_barrier
	ds_read2_b64 v[87:90], v127 offset1:1
	v_cmp_lt_u32_e32 vcc, 4, v0
	s_waitcnt lgkmcnt(0)
	buffer_store_dword v87, off, s[20:23], 0 offset:336 ; 4-byte Folded Spill
	s_nop 0
	buffer_store_dword v88, off, s[20:23], 0 offset:340 ; 4-byte Folded Spill
	buffer_store_dword v89, off, s[20:23], 0 offset:344 ; 4-byte Folded Spill
	;; [unrolled: 1-line block ×3, first 2 shown]
	s_and_saveexec_b64 s[2:3], vcc
	s_cbranch_execz .LBB51_46
; %bb.45:
	buffer_load_dword v99, off, s[20:23], 0 offset:336 ; 4-byte Folded Reload
	buffer_load_dword v100, off, s[20:23], 0 offset:340 ; 4-byte Folded Reload
	;; [unrolled: 1-line block ×8, first 2 shown]
	s_waitcnt vmcnt(0)
	v_mul_f64 v[97:98], v[101:102], v[93:94]
	v_mul_f64 v[87:88], v[99:100], v[93:94]
	v_fma_f64 v[97:98], v[99:100], v[91:92], -v[97:98]
	v_fma_f64 v[93:94], v[101:102], v[91:92], v[87:88]
	ds_read2_b64 v[99:102], v125 offset0:10 offset1:11
	buffer_load_dword v81, off, s[20:23], 0 ; 4-byte Folded Reload
	buffer_load_dword v82, off, s[20:23], 0 offset:4 ; 4-byte Folded Reload
	buffer_load_dword v83, off, s[20:23], 0 offset:8 ; 4-byte Folded Reload
	;; [unrolled: 1-line block ×3, first 2 shown]
	v_mov_b32_e32 v91, v97
	s_waitcnt lgkmcnt(0)
	v_mul_f64 v[85:86], v[101:102], v[93:94]
	v_mov_b32_e32 v92, v98
	v_fma_f64 v[85:86], v[99:100], v[97:98], -v[85:86]
	v_mul_f64 v[99:100], v[99:100], v[93:94]
	v_fma_f64 v[99:100], v[101:102], v[97:98], v[99:100]
	s_waitcnt vmcnt(2)
	v_add_f64 v[81:82], v[81:82], -v[85:86]
	s_waitcnt vmcnt(0)
	v_add_f64 v[83:84], v[83:84], -v[99:100]
	buffer_store_dword v81, off, s[20:23], 0 ; 4-byte Folded Spill
	s_nop 0
	buffer_store_dword v82, off, s[20:23], 0 offset:4 ; 4-byte Folded Spill
	buffer_store_dword v83, off, s[20:23], 0 offset:8 ; 4-byte Folded Spill
	buffer_store_dword v84, off, s[20:23], 0 offset:12 ; 4-byte Folded Spill
	ds_read2_b64 v[99:102], v125 offset0:12 offset1:13
	s_waitcnt lgkmcnt(0)
	v_mul_f64 v[85:86], v[101:102], v[93:94]
	v_fma_f64 v[85:86], v[99:100], v[97:98], -v[85:86]
	v_mul_f64 v[99:100], v[99:100], v[93:94]
	v_add_f64 v[77:78], v[77:78], -v[85:86]
	v_fma_f64 v[99:100], v[101:102], v[97:98], v[99:100]
	v_add_f64 v[79:80], v[79:80], -v[99:100]
	ds_read2_b64 v[99:102], v125 offset0:14 offset1:15
	s_waitcnt lgkmcnt(0)
	v_mul_f64 v[85:86], v[101:102], v[93:94]
	v_fma_f64 v[85:86], v[99:100], v[97:98], -v[85:86]
	v_mul_f64 v[99:100], v[99:100], v[93:94]
	v_add_f64 v[69:70], v[69:70], -v[85:86]
	v_fma_f64 v[99:100], v[101:102], v[97:98], v[99:100]
	v_add_f64 v[71:72], v[71:72], -v[99:100]
	;; [unrolled: 8-line block ×19, first 2 shown]
	ds_read2_b64 v[99:102], v125 offset0:50 offset1:51
	s_waitcnt lgkmcnt(0)
	v_mul_f64 v[85:86], v[101:102], v[93:94]
	v_fma_f64 v[85:86], v[99:100], v[97:98], -v[85:86]
	v_mul_f64 v[99:100], v[99:100], v[93:94]
	buffer_store_dword v91, off, s[20:23], 0 offset:16 ; 4-byte Folded Spill
	s_nop 0
	buffer_store_dword v92, off, s[20:23], 0 offset:20 ; 4-byte Folded Spill
	buffer_store_dword v93, off, s[20:23], 0 offset:24 ; 4-byte Folded Spill
	;; [unrolled: 1-line block ×3, first 2 shown]
	v_add_f64 v[73:74], v[73:74], -v[85:86]
	v_fma_f64 v[99:100], v[101:102], v[97:98], v[99:100]
	v_add_f64 v[75:76], v[75:76], -v[99:100]
.LBB51_46:
	s_or_b64 exec, exec, s[2:3]
	v_cmp_eq_u32_e32 vcc, 5, v0
	s_waitcnt vmcnt(0)
	s_barrier
	s_and_saveexec_b64 s[4:5], vcc
	s_cbranch_execz .LBB51_53
; %bb.47:
	buffer_load_dword v81, off, s[20:23], 0 ; 4-byte Folded Reload
	buffer_load_dword v82, off, s[20:23], 0 offset:4 ; 4-byte Folded Reload
	buffer_load_dword v83, off, s[20:23], 0 offset:8 ; 4-byte Folded Reload
	;; [unrolled: 1-line block ×3, first 2 shown]
	s_waitcnt vmcnt(0)
	ds_write2_b64 v127, v[81:82], v[83:84] offset1:1
	ds_write2_b64 v125, v[77:78], v[79:80] offset0:12 offset1:13
	ds_write2_b64 v125, v[69:70], v[71:72] offset0:14 offset1:15
	ds_write2_b64 v125, v[65:66], v[67:68] offset0:16 offset1:17
	ds_write2_b64 v125, v[61:62], v[63:64] offset0:18 offset1:19
	ds_write2_b64 v125, v[57:58], v[59:60] offset0:20 offset1:21
	ds_write2_b64 v125, v[53:54], v[55:56] offset0:22 offset1:23
	ds_write2_b64 v125, v[49:50], v[51:52] offset0:24 offset1:25
	ds_write2_b64 v125, v[45:46], v[47:48] offset0:26 offset1:27
	ds_write2_b64 v125, v[41:42], v[43:44] offset0:28 offset1:29
	ds_write2_b64 v125, v[37:38], v[39:40] offset0:30 offset1:31
	ds_write2_b64 v125, v[33:34], v[35:36] offset0:32 offset1:33
	ds_write2_b64 v125, v[29:30], v[31:32] offset0:34 offset1:35
	ds_write2_b64 v125, v[25:26], v[27:28] offset0:36 offset1:37
	ds_write2_b64 v125, v[21:22], v[23:24] offset0:38 offset1:39
	ds_write2_b64 v125, v[17:18], v[19:20] offset0:40 offset1:41
	ds_write2_b64 v125, v[13:14], v[15:16] offset0:42 offset1:43
	ds_write2_b64 v125, v[9:10], v[11:12] offset0:44 offset1:45
	ds_write2_b64 v125, v[5:6], v[7:8] offset0:46 offset1:47
	ds_write2_b64 v125, v[1:2], v[3:4] offset0:48 offset1:49
	ds_write2_b64 v125, v[73:74], v[75:76] offset0:50 offset1:51
	ds_read2_b64 v[97:100], v127 offset1:1
	s_waitcnt lgkmcnt(0)
	v_cmp_neq_f64_e32 vcc, 0, v[97:98]
	v_cmp_neq_f64_e64 s[2:3], 0, v[99:100]
	s_or_b64 s[2:3], vcc, s[2:3]
	s_and_b64 exec, exec, s[2:3]
	s_cbranch_execz .LBB51_53
; %bb.48:
	v_cmp_ngt_f64_e64 s[2:3], |v[97:98]|, |v[99:100]|
                                        ; implicit-def: $vgpr101_vgpr102
	s_and_saveexec_b64 s[6:7], s[2:3]
	s_xor_b64 s[2:3], exec, s[6:7]
                                        ; implicit-def: $vgpr103_vgpr104
	s_cbranch_execz .LBB51_50
; %bb.49:
	v_div_scale_f64 v[101:102], s[6:7], v[99:100], v[99:100], v[97:98]
	v_rcp_f64_e32 v[103:104], v[101:102]
	v_fma_f64 v[105:106], -v[101:102], v[103:104], 1.0
	v_fma_f64 v[103:104], v[103:104], v[105:106], v[103:104]
	v_div_scale_f64 v[105:106], vcc, v[97:98], v[99:100], v[97:98]
	v_fma_f64 v[107:108], -v[101:102], v[103:104], 1.0
	v_fma_f64 v[103:104], v[103:104], v[107:108], v[103:104]
	v_mul_f64 v[107:108], v[105:106], v[103:104]
	v_fma_f64 v[101:102], -v[101:102], v[107:108], v[105:106]
	v_div_fmas_f64 v[101:102], v[101:102], v[103:104], v[107:108]
	v_div_fixup_f64 v[101:102], v[101:102], v[99:100], v[97:98]
	v_fma_f64 v[97:98], v[97:98], v[101:102], v[99:100]
	v_div_scale_f64 v[99:100], s[6:7], v[97:98], v[97:98], 1.0
	v_div_scale_f64 v[107:108], vcc, 1.0, v[97:98], 1.0
	v_rcp_f64_e32 v[103:104], v[99:100]
	v_fma_f64 v[105:106], -v[99:100], v[103:104], 1.0
	v_fma_f64 v[103:104], v[103:104], v[105:106], v[103:104]
	v_fma_f64 v[105:106], -v[99:100], v[103:104], 1.0
	v_fma_f64 v[103:104], v[103:104], v[105:106], v[103:104]
	v_mul_f64 v[105:106], v[107:108], v[103:104]
	v_fma_f64 v[99:100], -v[99:100], v[105:106], v[107:108]
	v_div_fmas_f64 v[99:100], v[99:100], v[103:104], v[105:106]
	v_div_fixup_f64 v[103:104], v[99:100], v[97:98], 1.0
                                        ; implicit-def: $vgpr97_vgpr98
	v_mul_f64 v[101:102], v[101:102], v[103:104]
	v_xor_b32_e32 v104, 0x80000000, v104
.LBB51_50:
	s_andn2_saveexec_b64 s[2:3], s[2:3]
	s_cbranch_execz .LBB51_52
; %bb.51:
	v_div_scale_f64 v[101:102], s[6:7], v[97:98], v[97:98], v[99:100]
	v_rcp_f64_e32 v[103:104], v[101:102]
	v_fma_f64 v[105:106], -v[101:102], v[103:104], 1.0
	v_fma_f64 v[103:104], v[103:104], v[105:106], v[103:104]
	v_div_scale_f64 v[105:106], vcc, v[99:100], v[97:98], v[99:100]
	v_fma_f64 v[107:108], -v[101:102], v[103:104], 1.0
	v_fma_f64 v[103:104], v[103:104], v[107:108], v[103:104]
	v_mul_f64 v[107:108], v[105:106], v[103:104]
	v_fma_f64 v[101:102], -v[101:102], v[107:108], v[105:106]
	v_div_fmas_f64 v[101:102], v[101:102], v[103:104], v[107:108]
	v_div_fixup_f64 v[103:104], v[101:102], v[97:98], v[99:100]
	v_fma_f64 v[97:98], v[99:100], v[103:104], v[97:98]
	v_div_scale_f64 v[99:100], s[6:7], v[97:98], v[97:98], 1.0
	v_div_scale_f64 v[107:108], vcc, 1.0, v[97:98], 1.0
	v_rcp_f64_e32 v[101:102], v[99:100]
	v_fma_f64 v[105:106], -v[99:100], v[101:102], 1.0
	v_fma_f64 v[101:102], v[101:102], v[105:106], v[101:102]
	v_fma_f64 v[105:106], -v[99:100], v[101:102], 1.0
	v_fma_f64 v[101:102], v[101:102], v[105:106], v[101:102]
	v_mul_f64 v[105:106], v[107:108], v[101:102]
	v_fma_f64 v[99:100], -v[99:100], v[105:106], v[107:108]
	v_div_fmas_f64 v[99:100], v[99:100], v[101:102], v[105:106]
	v_div_fixup_f64 v[101:102], v[99:100], v[97:98], 1.0
	v_mul_f64 v[103:104], v[103:104], -v[101:102]
.LBB51_52:
	s_or_b64 exec, exec, s[2:3]
	ds_write2_b64 v127, v[101:102], v[103:104] offset1:1
.LBB51_53:
	s_or_b64 exec, exec, s[4:5]
	s_waitcnt lgkmcnt(0)
	s_barrier
	ds_read2_b64 v[87:90], v127 offset1:1
	v_cmp_lt_u32_e32 vcc, 5, v0
	s_waitcnt lgkmcnt(0)
	buffer_store_dword v87, off, s[20:23], 0 offset:352 ; 4-byte Folded Spill
	s_nop 0
	buffer_store_dword v88, off, s[20:23], 0 offset:356 ; 4-byte Folded Spill
	buffer_store_dword v89, off, s[20:23], 0 offset:360 ; 4-byte Folded Spill
	;; [unrolled: 1-line block ×3, first 2 shown]
	s_and_saveexec_b64 s[2:3], vcc
	s_cbranch_execz .LBB51_55
; %bb.54:
	buffer_load_dword v87, off, s[20:23], 0 offset:352 ; 4-byte Folded Reload
	buffer_load_dword v88, off, s[20:23], 0 offset:356 ; 4-byte Folded Reload
	;; [unrolled: 1-line block ×4, first 2 shown]
	buffer_load_dword v81, off, s[20:23], 0 ; 4-byte Folded Reload
	buffer_load_dword v82, off, s[20:23], 0 offset:4 ; 4-byte Folded Reload
	buffer_load_dword v83, off, s[20:23], 0 offset:8 ; 4-byte Folded Reload
	buffer_load_dword v84, off, s[20:23], 0 offset:12 ; 4-byte Folded Reload
	ds_read2_b64 v[99:102], v125 offset0:12 offset1:13
	s_waitcnt vmcnt(0)
	v_mul_f64 v[97:98], v[89:90], v[83:84]
	v_mul_f64 v[83:84], v[87:88], v[83:84]
	v_fma_f64 v[97:98], v[87:88], v[81:82], -v[97:98]
	v_fma_f64 v[83:84], v[89:90], v[81:82], v[83:84]
	s_waitcnt lgkmcnt(0)
	v_mul_f64 v[81:82], v[101:102], v[83:84]
	v_fma_f64 v[81:82], v[99:100], v[97:98], -v[81:82]
	v_mul_f64 v[99:100], v[99:100], v[83:84]
	v_add_f64 v[77:78], v[77:78], -v[81:82]
	v_fma_f64 v[99:100], v[101:102], v[97:98], v[99:100]
	v_add_f64 v[79:80], v[79:80], -v[99:100]
	ds_read2_b64 v[99:102], v125 offset0:14 offset1:15
	s_waitcnt lgkmcnt(0)
	v_mul_f64 v[81:82], v[101:102], v[83:84]
	v_fma_f64 v[81:82], v[99:100], v[97:98], -v[81:82]
	v_mul_f64 v[99:100], v[99:100], v[83:84]
	v_add_f64 v[69:70], v[69:70], -v[81:82]
	v_fma_f64 v[99:100], v[101:102], v[97:98], v[99:100]
	v_add_f64 v[71:72], v[71:72], -v[99:100]
	ds_read2_b64 v[99:102], v125 offset0:16 offset1:17
	;; [unrolled: 8-line block ×19, first 2 shown]
	s_waitcnt lgkmcnt(0)
	v_mul_f64 v[81:82], v[101:102], v[83:84]
	v_fma_f64 v[81:82], v[99:100], v[97:98], -v[81:82]
	v_mul_f64 v[99:100], v[99:100], v[83:84]
	v_add_f64 v[73:74], v[73:74], -v[81:82]
	v_fma_f64 v[99:100], v[101:102], v[97:98], v[99:100]
	v_mov_b32_e32 v81, v97
	v_mov_b32_e32 v82, v98
	buffer_store_dword v81, off, s[20:23], 0 ; 4-byte Folded Spill
	s_nop 0
	buffer_store_dword v82, off, s[20:23], 0 offset:4 ; 4-byte Folded Spill
	buffer_store_dword v83, off, s[20:23], 0 offset:8 ; 4-byte Folded Spill
	buffer_store_dword v84, off, s[20:23], 0 offset:12 ; 4-byte Folded Spill
	v_add_f64 v[75:76], v[75:76], -v[99:100]
.LBB51_55:
	s_or_b64 exec, exec, s[2:3]
	v_cmp_eq_u32_e32 vcc, 6, v0
	s_waitcnt vmcnt(0)
	s_barrier
	s_and_saveexec_b64 s[4:5], vcc
	s_cbranch_execz .LBB51_62
; %bb.56:
	ds_write2_b64 v127, v[77:78], v[79:80] offset1:1
	ds_write2_b64 v125, v[69:70], v[71:72] offset0:14 offset1:15
	ds_write2_b64 v125, v[65:66], v[67:68] offset0:16 offset1:17
	;; [unrolled: 1-line block ×19, first 2 shown]
	ds_read2_b64 v[97:100], v127 offset1:1
	s_waitcnt lgkmcnt(0)
	v_cmp_neq_f64_e32 vcc, 0, v[97:98]
	v_cmp_neq_f64_e64 s[2:3], 0, v[99:100]
	s_or_b64 s[2:3], vcc, s[2:3]
	s_and_b64 exec, exec, s[2:3]
	s_cbranch_execz .LBB51_62
; %bb.57:
	v_cmp_ngt_f64_e64 s[2:3], |v[97:98]|, |v[99:100]|
                                        ; implicit-def: $vgpr101_vgpr102
	s_and_saveexec_b64 s[6:7], s[2:3]
	s_xor_b64 s[2:3], exec, s[6:7]
                                        ; implicit-def: $vgpr103_vgpr104
	s_cbranch_execz .LBB51_59
; %bb.58:
	v_div_scale_f64 v[101:102], s[6:7], v[99:100], v[99:100], v[97:98]
	v_rcp_f64_e32 v[103:104], v[101:102]
	v_fma_f64 v[105:106], -v[101:102], v[103:104], 1.0
	v_fma_f64 v[103:104], v[103:104], v[105:106], v[103:104]
	v_div_scale_f64 v[105:106], vcc, v[97:98], v[99:100], v[97:98]
	v_fma_f64 v[107:108], -v[101:102], v[103:104], 1.0
	v_fma_f64 v[103:104], v[103:104], v[107:108], v[103:104]
	v_mul_f64 v[107:108], v[105:106], v[103:104]
	v_fma_f64 v[101:102], -v[101:102], v[107:108], v[105:106]
	v_div_fmas_f64 v[101:102], v[101:102], v[103:104], v[107:108]
	v_div_fixup_f64 v[101:102], v[101:102], v[99:100], v[97:98]
	v_fma_f64 v[97:98], v[97:98], v[101:102], v[99:100]
	v_div_scale_f64 v[99:100], s[6:7], v[97:98], v[97:98], 1.0
	v_div_scale_f64 v[107:108], vcc, 1.0, v[97:98], 1.0
	v_rcp_f64_e32 v[103:104], v[99:100]
	v_fma_f64 v[105:106], -v[99:100], v[103:104], 1.0
	v_fma_f64 v[103:104], v[103:104], v[105:106], v[103:104]
	v_fma_f64 v[105:106], -v[99:100], v[103:104], 1.0
	v_fma_f64 v[103:104], v[103:104], v[105:106], v[103:104]
	v_mul_f64 v[105:106], v[107:108], v[103:104]
	v_fma_f64 v[99:100], -v[99:100], v[105:106], v[107:108]
	v_div_fmas_f64 v[99:100], v[99:100], v[103:104], v[105:106]
	v_div_fixup_f64 v[103:104], v[99:100], v[97:98], 1.0
                                        ; implicit-def: $vgpr97_vgpr98
	v_mul_f64 v[101:102], v[101:102], v[103:104]
	v_xor_b32_e32 v104, 0x80000000, v104
.LBB51_59:
	s_andn2_saveexec_b64 s[2:3], s[2:3]
	s_cbranch_execz .LBB51_61
; %bb.60:
	v_div_scale_f64 v[101:102], s[6:7], v[97:98], v[97:98], v[99:100]
	v_rcp_f64_e32 v[103:104], v[101:102]
	v_fma_f64 v[105:106], -v[101:102], v[103:104], 1.0
	v_fma_f64 v[103:104], v[103:104], v[105:106], v[103:104]
	v_div_scale_f64 v[105:106], vcc, v[99:100], v[97:98], v[99:100]
	v_fma_f64 v[107:108], -v[101:102], v[103:104], 1.0
	v_fma_f64 v[103:104], v[103:104], v[107:108], v[103:104]
	v_mul_f64 v[107:108], v[105:106], v[103:104]
	v_fma_f64 v[101:102], -v[101:102], v[107:108], v[105:106]
	v_div_fmas_f64 v[101:102], v[101:102], v[103:104], v[107:108]
	v_div_fixup_f64 v[103:104], v[101:102], v[97:98], v[99:100]
	v_fma_f64 v[97:98], v[99:100], v[103:104], v[97:98]
	v_div_scale_f64 v[99:100], s[6:7], v[97:98], v[97:98], 1.0
	v_div_scale_f64 v[107:108], vcc, 1.0, v[97:98], 1.0
	v_rcp_f64_e32 v[101:102], v[99:100]
	v_fma_f64 v[105:106], -v[99:100], v[101:102], 1.0
	v_fma_f64 v[101:102], v[101:102], v[105:106], v[101:102]
	v_fma_f64 v[105:106], -v[99:100], v[101:102], 1.0
	v_fma_f64 v[101:102], v[101:102], v[105:106], v[101:102]
	v_mul_f64 v[105:106], v[107:108], v[101:102]
	v_fma_f64 v[99:100], -v[99:100], v[105:106], v[107:108]
	v_div_fmas_f64 v[99:100], v[99:100], v[101:102], v[105:106]
	v_div_fixup_f64 v[101:102], v[99:100], v[97:98], 1.0
	v_mul_f64 v[103:104], v[103:104], -v[101:102]
.LBB51_61:
	s_or_b64 exec, exec, s[2:3]
	ds_write2_b64 v127, v[101:102], v[103:104] offset1:1
.LBB51_62:
	s_or_b64 exec, exec, s[4:5]
	s_waitcnt lgkmcnt(0)
	s_barrier
	ds_read2_b64 v[87:90], v127 offset1:1
	v_cmp_lt_u32_e32 vcc, 6, v0
	s_waitcnt lgkmcnt(0)
	buffer_store_dword v87, off, s[20:23], 0 offset:368 ; 4-byte Folded Spill
	s_nop 0
	buffer_store_dword v88, off, s[20:23], 0 offset:372 ; 4-byte Folded Spill
	buffer_store_dword v89, off, s[20:23], 0 offset:376 ; 4-byte Folded Spill
	;; [unrolled: 1-line block ×3, first 2 shown]
	s_and_saveexec_b64 s[2:3], vcc
	s_cbranch_execz .LBB51_64
; %bb.63:
	buffer_load_dword v87, off, s[20:23], 0 offset:368 ; 4-byte Folded Reload
	buffer_load_dword v88, off, s[20:23], 0 offset:372 ; 4-byte Folded Reload
	;; [unrolled: 1-line block ×4, first 2 shown]
	ds_read2_b64 v[99:102], v125 offset0:14 offset1:15
	s_waitcnt vmcnt(0)
	v_mul_f64 v[97:98], v[89:90], v[79:80]
	v_mul_f64 v[79:80], v[87:88], v[79:80]
	v_fma_f64 v[97:98], v[87:88], v[77:78], -v[97:98]
	v_fma_f64 v[79:80], v[89:90], v[77:78], v[79:80]
	s_waitcnt lgkmcnt(0)
	v_mul_f64 v[77:78], v[101:102], v[79:80]
	v_fma_f64 v[77:78], v[99:100], v[97:98], -v[77:78]
	v_mul_f64 v[99:100], v[99:100], v[79:80]
	v_add_f64 v[69:70], v[69:70], -v[77:78]
	v_fma_f64 v[99:100], v[101:102], v[97:98], v[99:100]
	v_add_f64 v[71:72], v[71:72], -v[99:100]
	ds_read2_b64 v[99:102], v125 offset0:16 offset1:17
	s_waitcnt lgkmcnt(0)
	v_mul_f64 v[77:78], v[101:102], v[79:80]
	v_fma_f64 v[77:78], v[99:100], v[97:98], -v[77:78]
	v_mul_f64 v[99:100], v[99:100], v[79:80]
	v_add_f64 v[65:66], v[65:66], -v[77:78]
	v_fma_f64 v[99:100], v[101:102], v[97:98], v[99:100]
	v_add_f64 v[67:68], v[67:68], -v[99:100]
	ds_read2_b64 v[99:102], v125 offset0:18 offset1:19
	;; [unrolled: 8-line block ×18, first 2 shown]
	s_waitcnt lgkmcnt(0)
	v_mul_f64 v[77:78], v[101:102], v[79:80]
	v_fma_f64 v[77:78], v[99:100], v[97:98], -v[77:78]
	v_mul_f64 v[99:100], v[99:100], v[79:80]
	v_add_f64 v[73:74], v[73:74], -v[77:78]
	v_fma_f64 v[99:100], v[101:102], v[97:98], v[99:100]
	v_mov_b32_e32 v77, v97
	v_mov_b32_e32 v78, v98
	v_add_f64 v[75:76], v[75:76], -v[99:100]
.LBB51_64:
	s_or_b64 exec, exec, s[2:3]
	v_cmp_eq_u32_e32 vcc, 7, v0
	s_waitcnt vmcnt(0)
	s_barrier
	s_and_saveexec_b64 s[4:5], vcc
	s_cbranch_execz .LBB51_71
; %bb.65:
	ds_write2_b64 v127, v[69:70], v[71:72] offset1:1
	ds_write2_b64 v125, v[65:66], v[67:68] offset0:16 offset1:17
	ds_write2_b64 v125, v[61:62], v[63:64] offset0:18 offset1:19
	;; [unrolled: 1-line block ×18, first 2 shown]
	ds_read2_b64 v[97:100], v127 offset1:1
	s_waitcnt lgkmcnt(0)
	v_cmp_neq_f64_e32 vcc, 0, v[97:98]
	v_cmp_neq_f64_e64 s[2:3], 0, v[99:100]
	s_or_b64 s[2:3], vcc, s[2:3]
	s_and_b64 exec, exec, s[2:3]
	s_cbranch_execz .LBB51_71
; %bb.66:
	v_cmp_ngt_f64_e64 s[2:3], |v[97:98]|, |v[99:100]|
                                        ; implicit-def: $vgpr101_vgpr102
	s_and_saveexec_b64 s[6:7], s[2:3]
	s_xor_b64 s[2:3], exec, s[6:7]
                                        ; implicit-def: $vgpr103_vgpr104
	s_cbranch_execz .LBB51_68
; %bb.67:
	v_div_scale_f64 v[101:102], s[6:7], v[99:100], v[99:100], v[97:98]
	v_rcp_f64_e32 v[103:104], v[101:102]
	v_fma_f64 v[105:106], -v[101:102], v[103:104], 1.0
	v_fma_f64 v[103:104], v[103:104], v[105:106], v[103:104]
	v_div_scale_f64 v[105:106], vcc, v[97:98], v[99:100], v[97:98]
	v_fma_f64 v[107:108], -v[101:102], v[103:104], 1.0
	v_fma_f64 v[103:104], v[103:104], v[107:108], v[103:104]
	v_mul_f64 v[107:108], v[105:106], v[103:104]
	v_fma_f64 v[101:102], -v[101:102], v[107:108], v[105:106]
	v_div_fmas_f64 v[101:102], v[101:102], v[103:104], v[107:108]
	v_div_fixup_f64 v[101:102], v[101:102], v[99:100], v[97:98]
	v_fma_f64 v[97:98], v[97:98], v[101:102], v[99:100]
	v_div_scale_f64 v[99:100], s[6:7], v[97:98], v[97:98], 1.0
	v_div_scale_f64 v[107:108], vcc, 1.0, v[97:98], 1.0
	v_rcp_f64_e32 v[103:104], v[99:100]
	v_fma_f64 v[105:106], -v[99:100], v[103:104], 1.0
	v_fma_f64 v[103:104], v[103:104], v[105:106], v[103:104]
	v_fma_f64 v[105:106], -v[99:100], v[103:104], 1.0
	v_fma_f64 v[103:104], v[103:104], v[105:106], v[103:104]
	v_mul_f64 v[105:106], v[107:108], v[103:104]
	v_fma_f64 v[99:100], -v[99:100], v[105:106], v[107:108]
	v_div_fmas_f64 v[99:100], v[99:100], v[103:104], v[105:106]
	v_div_fixup_f64 v[103:104], v[99:100], v[97:98], 1.0
                                        ; implicit-def: $vgpr97_vgpr98
	v_mul_f64 v[101:102], v[101:102], v[103:104]
	v_xor_b32_e32 v104, 0x80000000, v104
.LBB51_68:
	s_andn2_saveexec_b64 s[2:3], s[2:3]
	s_cbranch_execz .LBB51_70
; %bb.69:
	v_div_scale_f64 v[101:102], s[6:7], v[97:98], v[97:98], v[99:100]
	v_rcp_f64_e32 v[103:104], v[101:102]
	v_fma_f64 v[105:106], -v[101:102], v[103:104], 1.0
	v_fma_f64 v[103:104], v[103:104], v[105:106], v[103:104]
	v_div_scale_f64 v[105:106], vcc, v[99:100], v[97:98], v[99:100]
	v_fma_f64 v[107:108], -v[101:102], v[103:104], 1.0
	v_fma_f64 v[103:104], v[103:104], v[107:108], v[103:104]
	v_mul_f64 v[107:108], v[105:106], v[103:104]
	v_fma_f64 v[101:102], -v[101:102], v[107:108], v[105:106]
	v_div_fmas_f64 v[101:102], v[101:102], v[103:104], v[107:108]
	v_div_fixup_f64 v[103:104], v[101:102], v[97:98], v[99:100]
	v_fma_f64 v[97:98], v[99:100], v[103:104], v[97:98]
	v_div_scale_f64 v[99:100], s[6:7], v[97:98], v[97:98], 1.0
	v_div_scale_f64 v[107:108], vcc, 1.0, v[97:98], 1.0
	v_rcp_f64_e32 v[101:102], v[99:100]
	v_fma_f64 v[105:106], -v[99:100], v[101:102], 1.0
	v_fma_f64 v[101:102], v[101:102], v[105:106], v[101:102]
	v_fma_f64 v[105:106], -v[99:100], v[101:102], 1.0
	v_fma_f64 v[101:102], v[101:102], v[105:106], v[101:102]
	v_mul_f64 v[105:106], v[107:108], v[101:102]
	v_fma_f64 v[99:100], -v[99:100], v[105:106], v[107:108]
	v_div_fmas_f64 v[99:100], v[99:100], v[101:102], v[105:106]
	v_div_fixup_f64 v[101:102], v[99:100], v[97:98], 1.0
	v_mul_f64 v[103:104], v[103:104], -v[101:102]
.LBB51_70:
	s_or_b64 exec, exec, s[2:3]
	ds_write2_b64 v127, v[101:102], v[103:104] offset1:1
.LBB51_71:
	s_or_b64 exec, exec, s[4:5]
	s_waitcnt lgkmcnt(0)
	s_barrier
	ds_read2_b64 v[87:90], v127 offset1:1
	v_cmp_lt_u32_e32 vcc, 7, v0
	s_waitcnt lgkmcnt(0)
	buffer_store_dword v87, off, s[20:23], 0 offset:384 ; 4-byte Folded Spill
	s_nop 0
	buffer_store_dword v88, off, s[20:23], 0 offset:388 ; 4-byte Folded Spill
	buffer_store_dword v89, off, s[20:23], 0 offset:392 ; 4-byte Folded Spill
	;; [unrolled: 1-line block ×3, first 2 shown]
	s_and_saveexec_b64 s[2:3], vcc
	s_cbranch_execz .LBB51_73
; %bb.72:
	buffer_load_dword v87, off, s[20:23], 0 offset:384 ; 4-byte Folded Reload
	buffer_load_dword v88, off, s[20:23], 0 offset:388 ; 4-byte Folded Reload
	;; [unrolled: 1-line block ×4, first 2 shown]
	ds_read2_b64 v[99:102], v125 offset0:16 offset1:17
	s_waitcnt vmcnt(0)
	v_mul_f64 v[97:98], v[89:90], v[71:72]
	v_mul_f64 v[71:72], v[87:88], v[71:72]
	v_fma_f64 v[97:98], v[87:88], v[69:70], -v[97:98]
	v_fma_f64 v[71:72], v[89:90], v[69:70], v[71:72]
	s_waitcnt lgkmcnt(0)
	v_mul_f64 v[69:70], v[101:102], v[71:72]
	v_fma_f64 v[69:70], v[99:100], v[97:98], -v[69:70]
	v_mul_f64 v[99:100], v[99:100], v[71:72]
	v_add_f64 v[65:66], v[65:66], -v[69:70]
	v_fma_f64 v[99:100], v[101:102], v[97:98], v[99:100]
	v_add_f64 v[67:68], v[67:68], -v[99:100]
	ds_read2_b64 v[99:102], v125 offset0:18 offset1:19
	s_waitcnt lgkmcnt(0)
	v_mul_f64 v[69:70], v[101:102], v[71:72]
	v_fma_f64 v[69:70], v[99:100], v[97:98], -v[69:70]
	v_mul_f64 v[99:100], v[99:100], v[71:72]
	v_add_f64 v[61:62], v[61:62], -v[69:70]
	v_fma_f64 v[99:100], v[101:102], v[97:98], v[99:100]
	v_add_f64 v[63:64], v[63:64], -v[99:100]
	ds_read2_b64 v[99:102], v125 offset0:20 offset1:21
	;; [unrolled: 8-line block ×17, first 2 shown]
	s_waitcnt lgkmcnt(0)
	v_mul_f64 v[69:70], v[101:102], v[71:72]
	v_fma_f64 v[69:70], v[99:100], v[97:98], -v[69:70]
	v_mul_f64 v[99:100], v[99:100], v[71:72]
	v_add_f64 v[73:74], v[73:74], -v[69:70]
	v_fma_f64 v[99:100], v[101:102], v[97:98], v[99:100]
	v_mov_b32_e32 v69, v97
	v_mov_b32_e32 v70, v98
	v_add_f64 v[75:76], v[75:76], -v[99:100]
.LBB51_73:
	s_or_b64 exec, exec, s[2:3]
	v_cmp_eq_u32_e32 vcc, 8, v0
	s_waitcnt vmcnt(0)
	s_barrier
	s_and_saveexec_b64 s[4:5], vcc
	s_cbranch_execz .LBB51_80
; %bb.74:
	ds_write2_b64 v127, v[65:66], v[67:68] offset1:1
	ds_write2_b64 v125, v[61:62], v[63:64] offset0:18 offset1:19
	ds_write2_b64 v125, v[57:58], v[59:60] offset0:20 offset1:21
	;; [unrolled: 1-line block ×17, first 2 shown]
	ds_read2_b64 v[97:100], v127 offset1:1
	s_waitcnt lgkmcnt(0)
	v_cmp_neq_f64_e32 vcc, 0, v[97:98]
	v_cmp_neq_f64_e64 s[2:3], 0, v[99:100]
	s_or_b64 s[2:3], vcc, s[2:3]
	s_and_b64 exec, exec, s[2:3]
	s_cbranch_execz .LBB51_80
; %bb.75:
	v_cmp_ngt_f64_e64 s[2:3], |v[97:98]|, |v[99:100]|
                                        ; implicit-def: $vgpr101_vgpr102
	s_and_saveexec_b64 s[6:7], s[2:3]
	s_xor_b64 s[2:3], exec, s[6:7]
                                        ; implicit-def: $vgpr103_vgpr104
	s_cbranch_execz .LBB51_77
; %bb.76:
	v_div_scale_f64 v[101:102], s[6:7], v[99:100], v[99:100], v[97:98]
	v_rcp_f64_e32 v[103:104], v[101:102]
	v_fma_f64 v[105:106], -v[101:102], v[103:104], 1.0
	v_fma_f64 v[103:104], v[103:104], v[105:106], v[103:104]
	v_div_scale_f64 v[105:106], vcc, v[97:98], v[99:100], v[97:98]
	v_fma_f64 v[107:108], -v[101:102], v[103:104], 1.0
	v_fma_f64 v[103:104], v[103:104], v[107:108], v[103:104]
	v_mul_f64 v[107:108], v[105:106], v[103:104]
	v_fma_f64 v[101:102], -v[101:102], v[107:108], v[105:106]
	v_div_fmas_f64 v[101:102], v[101:102], v[103:104], v[107:108]
	v_div_fixup_f64 v[101:102], v[101:102], v[99:100], v[97:98]
	v_fma_f64 v[97:98], v[97:98], v[101:102], v[99:100]
	v_div_scale_f64 v[99:100], s[6:7], v[97:98], v[97:98], 1.0
	v_div_scale_f64 v[107:108], vcc, 1.0, v[97:98], 1.0
	v_rcp_f64_e32 v[103:104], v[99:100]
	v_fma_f64 v[105:106], -v[99:100], v[103:104], 1.0
	v_fma_f64 v[103:104], v[103:104], v[105:106], v[103:104]
	v_fma_f64 v[105:106], -v[99:100], v[103:104], 1.0
	v_fma_f64 v[103:104], v[103:104], v[105:106], v[103:104]
	v_mul_f64 v[105:106], v[107:108], v[103:104]
	v_fma_f64 v[99:100], -v[99:100], v[105:106], v[107:108]
	v_div_fmas_f64 v[99:100], v[99:100], v[103:104], v[105:106]
	v_div_fixup_f64 v[103:104], v[99:100], v[97:98], 1.0
                                        ; implicit-def: $vgpr97_vgpr98
	v_mul_f64 v[101:102], v[101:102], v[103:104]
	v_xor_b32_e32 v104, 0x80000000, v104
.LBB51_77:
	s_andn2_saveexec_b64 s[2:3], s[2:3]
	s_cbranch_execz .LBB51_79
; %bb.78:
	v_div_scale_f64 v[101:102], s[6:7], v[97:98], v[97:98], v[99:100]
	v_rcp_f64_e32 v[103:104], v[101:102]
	v_fma_f64 v[105:106], -v[101:102], v[103:104], 1.0
	v_fma_f64 v[103:104], v[103:104], v[105:106], v[103:104]
	v_div_scale_f64 v[105:106], vcc, v[99:100], v[97:98], v[99:100]
	v_fma_f64 v[107:108], -v[101:102], v[103:104], 1.0
	v_fma_f64 v[103:104], v[103:104], v[107:108], v[103:104]
	v_mul_f64 v[107:108], v[105:106], v[103:104]
	v_fma_f64 v[101:102], -v[101:102], v[107:108], v[105:106]
	v_div_fmas_f64 v[101:102], v[101:102], v[103:104], v[107:108]
	v_div_fixup_f64 v[103:104], v[101:102], v[97:98], v[99:100]
	v_fma_f64 v[97:98], v[99:100], v[103:104], v[97:98]
	v_div_scale_f64 v[99:100], s[6:7], v[97:98], v[97:98], 1.0
	v_div_scale_f64 v[107:108], vcc, 1.0, v[97:98], 1.0
	v_rcp_f64_e32 v[101:102], v[99:100]
	v_fma_f64 v[105:106], -v[99:100], v[101:102], 1.0
	v_fma_f64 v[101:102], v[101:102], v[105:106], v[101:102]
	v_fma_f64 v[105:106], -v[99:100], v[101:102], 1.0
	v_fma_f64 v[101:102], v[101:102], v[105:106], v[101:102]
	v_mul_f64 v[105:106], v[107:108], v[101:102]
	v_fma_f64 v[99:100], -v[99:100], v[105:106], v[107:108]
	v_div_fmas_f64 v[99:100], v[99:100], v[101:102], v[105:106]
	v_div_fixup_f64 v[101:102], v[99:100], v[97:98], 1.0
	v_mul_f64 v[103:104], v[103:104], -v[101:102]
.LBB51_79:
	s_or_b64 exec, exec, s[2:3]
	ds_write2_b64 v127, v[101:102], v[103:104] offset1:1
.LBB51_80:
	s_or_b64 exec, exec, s[4:5]
	s_waitcnt lgkmcnt(0)
	s_barrier
	ds_read2_b64 v[87:90], v127 offset1:1
	v_cmp_lt_u32_e32 vcc, 8, v0
	s_waitcnt lgkmcnt(0)
	buffer_store_dword v87, off, s[20:23], 0 offset:400 ; 4-byte Folded Spill
	s_nop 0
	buffer_store_dword v88, off, s[20:23], 0 offset:404 ; 4-byte Folded Spill
	buffer_store_dword v89, off, s[20:23], 0 offset:408 ; 4-byte Folded Spill
	;; [unrolled: 1-line block ×3, first 2 shown]
	s_and_saveexec_b64 s[2:3], vcc
	s_cbranch_execz .LBB51_82
; %bb.81:
	buffer_load_dword v87, off, s[20:23], 0 offset:400 ; 4-byte Folded Reload
	buffer_load_dword v88, off, s[20:23], 0 offset:404 ; 4-byte Folded Reload
	buffer_load_dword v89, off, s[20:23], 0 offset:408 ; 4-byte Folded Reload
	buffer_load_dword v90, off, s[20:23], 0 offset:412 ; 4-byte Folded Reload
	ds_read2_b64 v[99:102], v125 offset0:18 offset1:19
	s_waitcnt vmcnt(0)
	v_mul_f64 v[97:98], v[89:90], v[67:68]
	v_mul_f64 v[67:68], v[87:88], v[67:68]
	v_fma_f64 v[97:98], v[87:88], v[65:66], -v[97:98]
	v_fma_f64 v[67:68], v[89:90], v[65:66], v[67:68]
	s_waitcnt lgkmcnt(0)
	v_mul_f64 v[65:66], v[101:102], v[67:68]
	v_fma_f64 v[65:66], v[99:100], v[97:98], -v[65:66]
	v_mul_f64 v[99:100], v[99:100], v[67:68]
	v_add_f64 v[61:62], v[61:62], -v[65:66]
	v_fma_f64 v[99:100], v[101:102], v[97:98], v[99:100]
	v_add_f64 v[63:64], v[63:64], -v[99:100]
	ds_read2_b64 v[99:102], v125 offset0:20 offset1:21
	s_waitcnt lgkmcnt(0)
	v_mul_f64 v[65:66], v[101:102], v[67:68]
	v_fma_f64 v[65:66], v[99:100], v[97:98], -v[65:66]
	v_mul_f64 v[99:100], v[99:100], v[67:68]
	v_add_f64 v[57:58], v[57:58], -v[65:66]
	v_fma_f64 v[99:100], v[101:102], v[97:98], v[99:100]
	v_add_f64 v[59:60], v[59:60], -v[99:100]
	ds_read2_b64 v[99:102], v125 offset0:22 offset1:23
	;; [unrolled: 8-line block ×16, first 2 shown]
	s_waitcnt lgkmcnt(0)
	v_mul_f64 v[65:66], v[101:102], v[67:68]
	v_fma_f64 v[65:66], v[99:100], v[97:98], -v[65:66]
	v_mul_f64 v[99:100], v[99:100], v[67:68]
	v_add_f64 v[73:74], v[73:74], -v[65:66]
	v_fma_f64 v[99:100], v[101:102], v[97:98], v[99:100]
	v_mov_b32_e32 v65, v97
	v_mov_b32_e32 v66, v98
	v_add_f64 v[75:76], v[75:76], -v[99:100]
.LBB51_82:
	s_or_b64 exec, exec, s[2:3]
	v_cmp_eq_u32_e32 vcc, 9, v0
	s_waitcnt vmcnt(0)
	s_barrier
	s_and_saveexec_b64 s[4:5], vcc
	s_cbranch_execz .LBB51_89
; %bb.83:
	ds_write2_b64 v127, v[61:62], v[63:64] offset1:1
	ds_write2_b64 v125, v[57:58], v[59:60] offset0:20 offset1:21
	ds_write2_b64 v125, v[53:54], v[55:56] offset0:22 offset1:23
	;; [unrolled: 1-line block ×16, first 2 shown]
	ds_read2_b64 v[97:100], v127 offset1:1
	s_waitcnt lgkmcnt(0)
	v_cmp_neq_f64_e32 vcc, 0, v[97:98]
	v_cmp_neq_f64_e64 s[2:3], 0, v[99:100]
	s_or_b64 s[2:3], vcc, s[2:3]
	s_and_b64 exec, exec, s[2:3]
	s_cbranch_execz .LBB51_89
; %bb.84:
	v_cmp_ngt_f64_e64 s[2:3], |v[97:98]|, |v[99:100]|
                                        ; implicit-def: $vgpr101_vgpr102
	s_and_saveexec_b64 s[6:7], s[2:3]
	s_xor_b64 s[2:3], exec, s[6:7]
                                        ; implicit-def: $vgpr103_vgpr104
	s_cbranch_execz .LBB51_86
; %bb.85:
	v_div_scale_f64 v[101:102], s[6:7], v[99:100], v[99:100], v[97:98]
	v_rcp_f64_e32 v[103:104], v[101:102]
	v_fma_f64 v[105:106], -v[101:102], v[103:104], 1.0
	v_fma_f64 v[103:104], v[103:104], v[105:106], v[103:104]
	v_div_scale_f64 v[105:106], vcc, v[97:98], v[99:100], v[97:98]
	v_fma_f64 v[107:108], -v[101:102], v[103:104], 1.0
	v_fma_f64 v[103:104], v[103:104], v[107:108], v[103:104]
	v_mul_f64 v[107:108], v[105:106], v[103:104]
	v_fma_f64 v[101:102], -v[101:102], v[107:108], v[105:106]
	v_div_fmas_f64 v[101:102], v[101:102], v[103:104], v[107:108]
	v_div_fixup_f64 v[101:102], v[101:102], v[99:100], v[97:98]
	v_fma_f64 v[97:98], v[97:98], v[101:102], v[99:100]
	v_div_scale_f64 v[99:100], s[6:7], v[97:98], v[97:98], 1.0
	v_div_scale_f64 v[107:108], vcc, 1.0, v[97:98], 1.0
	v_rcp_f64_e32 v[103:104], v[99:100]
	v_fma_f64 v[105:106], -v[99:100], v[103:104], 1.0
	v_fma_f64 v[103:104], v[103:104], v[105:106], v[103:104]
	v_fma_f64 v[105:106], -v[99:100], v[103:104], 1.0
	v_fma_f64 v[103:104], v[103:104], v[105:106], v[103:104]
	v_mul_f64 v[105:106], v[107:108], v[103:104]
	v_fma_f64 v[99:100], -v[99:100], v[105:106], v[107:108]
	v_div_fmas_f64 v[99:100], v[99:100], v[103:104], v[105:106]
	v_div_fixup_f64 v[103:104], v[99:100], v[97:98], 1.0
                                        ; implicit-def: $vgpr97_vgpr98
	v_mul_f64 v[101:102], v[101:102], v[103:104]
	v_xor_b32_e32 v104, 0x80000000, v104
.LBB51_86:
	s_andn2_saveexec_b64 s[2:3], s[2:3]
	s_cbranch_execz .LBB51_88
; %bb.87:
	v_div_scale_f64 v[101:102], s[6:7], v[97:98], v[97:98], v[99:100]
	v_rcp_f64_e32 v[103:104], v[101:102]
	v_fma_f64 v[105:106], -v[101:102], v[103:104], 1.0
	v_fma_f64 v[103:104], v[103:104], v[105:106], v[103:104]
	v_div_scale_f64 v[105:106], vcc, v[99:100], v[97:98], v[99:100]
	v_fma_f64 v[107:108], -v[101:102], v[103:104], 1.0
	v_fma_f64 v[103:104], v[103:104], v[107:108], v[103:104]
	v_mul_f64 v[107:108], v[105:106], v[103:104]
	v_fma_f64 v[101:102], -v[101:102], v[107:108], v[105:106]
	v_div_fmas_f64 v[101:102], v[101:102], v[103:104], v[107:108]
	v_div_fixup_f64 v[103:104], v[101:102], v[97:98], v[99:100]
	v_fma_f64 v[97:98], v[99:100], v[103:104], v[97:98]
	v_div_scale_f64 v[99:100], s[6:7], v[97:98], v[97:98], 1.0
	v_div_scale_f64 v[107:108], vcc, 1.0, v[97:98], 1.0
	v_rcp_f64_e32 v[101:102], v[99:100]
	v_fma_f64 v[105:106], -v[99:100], v[101:102], 1.0
	v_fma_f64 v[101:102], v[101:102], v[105:106], v[101:102]
	v_fma_f64 v[105:106], -v[99:100], v[101:102], 1.0
	v_fma_f64 v[101:102], v[101:102], v[105:106], v[101:102]
	v_mul_f64 v[105:106], v[107:108], v[101:102]
	v_fma_f64 v[99:100], -v[99:100], v[105:106], v[107:108]
	v_div_fmas_f64 v[99:100], v[99:100], v[101:102], v[105:106]
	v_div_fixup_f64 v[101:102], v[99:100], v[97:98], 1.0
	v_mul_f64 v[103:104], v[103:104], -v[101:102]
.LBB51_88:
	s_or_b64 exec, exec, s[2:3]
	ds_write2_b64 v127, v[101:102], v[103:104] offset1:1
.LBB51_89:
	s_or_b64 exec, exec, s[4:5]
	s_waitcnt lgkmcnt(0)
	s_barrier
	ds_read2_b64 v[87:90], v127 offset1:1
	v_cmp_lt_u32_e32 vcc, 9, v0
	s_waitcnt lgkmcnt(0)
	buffer_store_dword v87, off, s[20:23], 0 offset:416 ; 4-byte Folded Spill
	s_nop 0
	buffer_store_dword v88, off, s[20:23], 0 offset:420 ; 4-byte Folded Spill
	buffer_store_dword v89, off, s[20:23], 0 offset:424 ; 4-byte Folded Spill
	;; [unrolled: 1-line block ×3, first 2 shown]
	s_and_saveexec_b64 s[2:3], vcc
	s_cbranch_execz .LBB51_91
; %bb.90:
	buffer_load_dword v87, off, s[20:23], 0 offset:416 ; 4-byte Folded Reload
	buffer_load_dword v88, off, s[20:23], 0 offset:420 ; 4-byte Folded Reload
	;; [unrolled: 1-line block ×4, first 2 shown]
	ds_read2_b64 v[99:102], v125 offset0:20 offset1:21
	s_waitcnt vmcnt(2)
	v_mul_f64 v[97:98], v[87:88], v[63:64]
	s_waitcnt vmcnt(0)
	v_mul_f64 v[63:64], v[89:90], v[63:64]
	v_fma_f64 v[97:98], v[89:90], v[61:62], v[97:98]
	v_fma_f64 v[61:62], v[87:88], v[61:62], -v[63:64]
	s_waitcnt lgkmcnt(0)
	v_mul_f64 v[63:64], v[101:102], v[97:98]
	v_fma_f64 v[63:64], v[99:100], v[61:62], -v[63:64]
	v_mul_f64 v[99:100], v[99:100], v[97:98]
	v_add_f64 v[57:58], v[57:58], -v[63:64]
	v_fma_f64 v[99:100], v[101:102], v[61:62], v[99:100]
	v_add_f64 v[59:60], v[59:60], -v[99:100]
	ds_read2_b64 v[99:102], v125 offset0:22 offset1:23
	s_waitcnt lgkmcnt(0)
	v_mul_f64 v[63:64], v[101:102], v[97:98]
	v_fma_f64 v[63:64], v[99:100], v[61:62], -v[63:64]
	v_mul_f64 v[99:100], v[99:100], v[97:98]
	v_add_f64 v[53:54], v[53:54], -v[63:64]
	v_fma_f64 v[99:100], v[101:102], v[61:62], v[99:100]
	v_add_f64 v[55:56], v[55:56], -v[99:100]
	ds_read2_b64 v[99:102], v125 offset0:24 offset1:25
	;; [unrolled: 8-line block ×15, first 2 shown]
	s_waitcnt lgkmcnt(0)
	v_mul_f64 v[63:64], v[101:102], v[97:98]
	v_fma_f64 v[63:64], v[99:100], v[61:62], -v[63:64]
	v_mul_f64 v[99:100], v[99:100], v[97:98]
	v_add_f64 v[73:74], v[73:74], -v[63:64]
	v_fma_f64 v[99:100], v[101:102], v[61:62], v[99:100]
	v_mov_b32_e32 v63, v97
	v_mov_b32_e32 v64, v98
	v_add_f64 v[75:76], v[75:76], -v[99:100]
.LBB51_91:
	s_or_b64 exec, exec, s[2:3]
	v_cmp_eq_u32_e32 vcc, 10, v0
	s_waitcnt vmcnt(0)
	s_barrier
	s_and_saveexec_b64 s[4:5], vcc
	s_cbranch_execz .LBB51_98
; %bb.92:
	ds_write2_b64 v127, v[57:58], v[59:60] offset1:1
	ds_write2_b64 v125, v[53:54], v[55:56] offset0:22 offset1:23
	ds_write2_b64 v125, v[49:50], v[51:52] offset0:24 offset1:25
	;; [unrolled: 1-line block ×15, first 2 shown]
	ds_read2_b64 v[97:100], v127 offset1:1
	s_waitcnt lgkmcnt(0)
	v_cmp_neq_f64_e32 vcc, 0, v[97:98]
	v_cmp_neq_f64_e64 s[2:3], 0, v[99:100]
	s_or_b64 s[2:3], vcc, s[2:3]
	s_and_b64 exec, exec, s[2:3]
	s_cbranch_execz .LBB51_98
; %bb.93:
	v_cmp_ngt_f64_e64 s[2:3], |v[97:98]|, |v[99:100]|
                                        ; implicit-def: $vgpr101_vgpr102
	s_and_saveexec_b64 s[6:7], s[2:3]
	s_xor_b64 s[2:3], exec, s[6:7]
                                        ; implicit-def: $vgpr103_vgpr104
	s_cbranch_execz .LBB51_95
; %bb.94:
	v_div_scale_f64 v[101:102], s[6:7], v[99:100], v[99:100], v[97:98]
	v_rcp_f64_e32 v[103:104], v[101:102]
	v_fma_f64 v[105:106], -v[101:102], v[103:104], 1.0
	v_fma_f64 v[103:104], v[103:104], v[105:106], v[103:104]
	v_div_scale_f64 v[105:106], vcc, v[97:98], v[99:100], v[97:98]
	v_fma_f64 v[107:108], -v[101:102], v[103:104], 1.0
	v_fma_f64 v[103:104], v[103:104], v[107:108], v[103:104]
	v_mul_f64 v[107:108], v[105:106], v[103:104]
	v_fma_f64 v[101:102], -v[101:102], v[107:108], v[105:106]
	v_div_fmas_f64 v[101:102], v[101:102], v[103:104], v[107:108]
	v_div_fixup_f64 v[101:102], v[101:102], v[99:100], v[97:98]
	v_fma_f64 v[97:98], v[97:98], v[101:102], v[99:100]
	v_div_scale_f64 v[99:100], s[6:7], v[97:98], v[97:98], 1.0
	v_div_scale_f64 v[107:108], vcc, 1.0, v[97:98], 1.0
	v_rcp_f64_e32 v[103:104], v[99:100]
	v_fma_f64 v[105:106], -v[99:100], v[103:104], 1.0
	v_fma_f64 v[103:104], v[103:104], v[105:106], v[103:104]
	v_fma_f64 v[105:106], -v[99:100], v[103:104], 1.0
	v_fma_f64 v[103:104], v[103:104], v[105:106], v[103:104]
	v_mul_f64 v[105:106], v[107:108], v[103:104]
	v_fma_f64 v[99:100], -v[99:100], v[105:106], v[107:108]
	v_div_fmas_f64 v[99:100], v[99:100], v[103:104], v[105:106]
	v_div_fixup_f64 v[103:104], v[99:100], v[97:98], 1.0
                                        ; implicit-def: $vgpr97_vgpr98
	v_mul_f64 v[101:102], v[101:102], v[103:104]
	v_xor_b32_e32 v104, 0x80000000, v104
.LBB51_95:
	s_andn2_saveexec_b64 s[2:3], s[2:3]
	s_cbranch_execz .LBB51_97
; %bb.96:
	v_div_scale_f64 v[101:102], s[6:7], v[97:98], v[97:98], v[99:100]
	v_rcp_f64_e32 v[103:104], v[101:102]
	v_fma_f64 v[105:106], -v[101:102], v[103:104], 1.0
	v_fma_f64 v[103:104], v[103:104], v[105:106], v[103:104]
	v_div_scale_f64 v[105:106], vcc, v[99:100], v[97:98], v[99:100]
	v_fma_f64 v[107:108], -v[101:102], v[103:104], 1.0
	v_fma_f64 v[103:104], v[103:104], v[107:108], v[103:104]
	v_mul_f64 v[107:108], v[105:106], v[103:104]
	v_fma_f64 v[101:102], -v[101:102], v[107:108], v[105:106]
	v_div_fmas_f64 v[101:102], v[101:102], v[103:104], v[107:108]
	v_div_fixup_f64 v[103:104], v[101:102], v[97:98], v[99:100]
	v_fma_f64 v[97:98], v[99:100], v[103:104], v[97:98]
	v_div_scale_f64 v[99:100], s[6:7], v[97:98], v[97:98], 1.0
	v_div_scale_f64 v[107:108], vcc, 1.0, v[97:98], 1.0
	v_rcp_f64_e32 v[101:102], v[99:100]
	v_fma_f64 v[105:106], -v[99:100], v[101:102], 1.0
	v_fma_f64 v[101:102], v[101:102], v[105:106], v[101:102]
	v_fma_f64 v[105:106], -v[99:100], v[101:102], 1.0
	v_fma_f64 v[101:102], v[101:102], v[105:106], v[101:102]
	v_mul_f64 v[105:106], v[107:108], v[101:102]
	v_fma_f64 v[99:100], -v[99:100], v[105:106], v[107:108]
	v_div_fmas_f64 v[99:100], v[99:100], v[101:102], v[105:106]
	v_div_fixup_f64 v[101:102], v[99:100], v[97:98], 1.0
	v_mul_f64 v[103:104], v[103:104], -v[101:102]
.LBB51_97:
	s_or_b64 exec, exec, s[2:3]
	ds_write2_b64 v127, v[101:102], v[103:104] offset1:1
.LBB51_98:
	s_or_b64 exec, exec, s[4:5]
	s_waitcnt lgkmcnt(0)
	s_barrier
	ds_read2_b64 v[87:90], v127 offset1:1
	v_cmp_lt_u32_e32 vcc, 10, v0
	s_waitcnt lgkmcnt(0)
	buffer_store_dword v87, off, s[20:23], 0 offset:432 ; 4-byte Folded Spill
	s_nop 0
	buffer_store_dword v88, off, s[20:23], 0 offset:436 ; 4-byte Folded Spill
	buffer_store_dword v89, off, s[20:23], 0 offset:440 ; 4-byte Folded Spill
	buffer_store_dword v90, off, s[20:23], 0 offset:444 ; 4-byte Folded Spill
	s_and_saveexec_b64 s[2:3], vcc
	s_cbranch_execz .LBB51_100
; %bb.99:
	buffer_load_dword v87, off, s[20:23], 0 offset:432 ; 4-byte Folded Reload
	buffer_load_dword v88, off, s[20:23], 0 offset:436 ; 4-byte Folded Reload
	;; [unrolled: 1-line block ×4, first 2 shown]
	ds_read2_b64 v[99:102], v125 offset0:22 offset1:23
	s_waitcnt vmcnt(2)
	v_mul_f64 v[97:98], v[87:88], v[59:60]
	s_waitcnt vmcnt(0)
	v_mul_f64 v[59:60], v[89:90], v[59:60]
	v_fma_f64 v[97:98], v[89:90], v[57:58], v[97:98]
	v_fma_f64 v[57:58], v[87:88], v[57:58], -v[59:60]
	s_waitcnt lgkmcnt(0)
	v_mul_f64 v[59:60], v[101:102], v[97:98]
	v_fma_f64 v[59:60], v[99:100], v[57:58], -v[59:60]
	v_mul_f64 v[99:100], v[99:100], v[97:98]
	v_add_f64 v[53:54], v[53:54], -v[59:60]
	v_fma_f64 v[99:100], v[101:102], v[57:58], v[99:100]
	v_add_f64 v[55:56], v[55:56], -v[99:100]
	ds_read2_b64 v[99:102], v125 offset0:24 offset1:25
	s_waitcnt lgkmcnt(0)
	v_mul_f64 v[59:60], v[101:102], v[97:98]
	v_fma_f64 v[59:60], v[99:100], v[57:58], -v[59:60]
	v_mul_f64 v[99:100], v[99:100], v[97:98]
	v_add_f64 v[49:50], v[49:50], -v[59:60]
	v_fma_f64 v[99:100], v[101:102], v[57:58], v[99:100]
	v_add_f64 v[51:52], v[51:52], -v[99:100]
	ds_read2_b64 v[99:102], v125 offset0:26 offset1:27
	;; [unrolled: 8-line block ×14, first 2 shown]
	s_waitcnt lgkmcnt(0)
	v_mul_f64 v[59:60], v[101:102], v[97:98]
	v_fma_f64 v[59:60], v[99:100], v[57:58], -v[59:60]
	v_mul_f64 v[99:100], v[99:100], v[97:98]
	v_add_f64 v[73:74], v[73:74], -v[59:60]
	v_fma_f64 v[99:100], v[101:102], v[57:58], v[99:100]
	v_mov_b32_e32 v59, v97
	v_mov_b32_e32 v60, v98
	v_add_f64 v[75:76], v[75:76], -v[99:100]
.LBB51_100:
	s_or_b64 exec, exec, s[2:3]
	v_cmp_eq_u32_e32 vcc, 11, v0
	s_waitcnt vmcnt(0)
	s_barrier
	s_and_saveexec_b64 s[4:5], vcc
	s_cbranch_execz .LBB51_107
; %bb.101:
	ds_write2_b64 v127, v[53:54], v[55:56] offset1:1
	ds_write2_b64 v125, v[49:50], v[51:52] offset0:24 offset1:25
	ds_write2_b64 v125, v[45:46], v[47:48] offset0:26 offset1:27
	;; [unrolled: 1-line block ×14, first 2 shown]
	ds_read2_b64 v[97:100], v127 offset1:1
	s_waitcnt lgkmcnt(0)
	v_cmp_neq_f64_e32 vcc, 0, v[97:98]
	v_cmp_neq_f64_e64 s[2:3], 0, v[99:100]
	s_or_b64 s[2:3], vcc, s[2:3]
	s_and_b64 exec, exec, s[2:3]
	s_cbranch_execz .LBB51_107
; %bb.102:
	v_cmp_ngt_f64_e64 s[2:3], |v[97:98]|, |v[99:100]|
                                        ; implicit-def: $vgpr101_vgpr102
	s_and_saveexec_b64 s[6:7], s[2:3]
	s_xor_b64 s[2:3], exec, s[6:7]
                                        ; implicit-def: $vgpr103_vgpr104
	s_cbranch_execz .LBB51_104
; %bb.103:
	v_div_scale_f64 v[101:102], s[6:7], v[99:100], v[99:100], v[97:98]
	v_rcp_f64_e32 v[103:104], v[101:102]
	v_fma_f64 v[105:106], -v[101:102], v[103:104], 1.0
	v_fma_f64 v[103:104], v[103:104], v[105:106], v[103:104]
	v_div_scale_f64 v[105:106], vcc, v[97:98], v[99:100], v[97:98]
	v_fma_f64 v[107:108], -v[101:102], v[103:104], 1.0
	v_fma_f64 v[103:104], v[103:104], v[107:108], v[103:104]
	v_mul_f64 v[107:108], v[105:106], v[103:104]
	v_fma_f64 v[101:102], -v[101:102], v[107:108], v[105:106]
	v_div_fmas_f64 v[101:102], v[101:102], v[103:104], v[107:108]
	v_div_fixup_f64 v[101:102], v[101:102], v[99:100], v[97:98]
	v_fma_f64 v[97:98], v[97:98], v[101:102], v[99:100]
	v_div_scale_f64 v[99:100], s[6:7], v[97:98], v[97:98], 1.0
	v_div_scale_f64 v[107:108], vcc, 1.0, v[97:98], 1.0
	v_rcp_f64_e32 v[103:104], v[99:100]
	v_fma_f64 v[105:106], -v[99:100], v[103:104], 1.0
	v_fma_f64 v[103:104], v[103:104], v[105:106], v[103:104]
	v_fma_f64 v[105:106], -v[99:100], v[103:104], 1.0
	v_fma_f64 v[103:104], v[103:104], v[105:106], v[103:104]
	v_mul_f64 v[105:106], v[107:108], v[103:104]
	v_fma_f64 v[99:100], -v[99:100], v[105:106], v[107:108]
	v_div_fmas_f64 v[99:100], v[99:100], v[103:104], v[105:106]
	v_div_fixup_f64 v[103:104], v[99:100], v[97:98], 1.0
                                        ; implicit-def: $vgpr97_vgpr98
	v_mul_f64 v[101:102], v[101:102], v[103:104]
	v_xor_b32_e32 v104, 0x80000000, v104
.LBB51_104:
	s_andn2_saveexec_b64 s[2:3], s[2:3]
	s_cbranch_execz .LBB51_106
; %bb.105:
	v_div_scale_f64 v[101:102], s[6:7], v[97:98], v[97:98], v[99:100]
	v_rcp_f64_e32 v[103:104], v[101:102]
	v_fma_f64 v[105:106], -v[101:102], v[103:104], 1.0
	v_fma_f64 v[103:104], v[103:104], v[105:106], v[103:104]
	v_div_scale_f64 v[105:106], vcc, v[99:100], v[97:98], v[99:100]
	v_fma_f64 v[107:108], -v[101:102], v[103:104], 1.0
	v_fma_f64 v[103:104], v[103:104], v[107:108], v[103:104]
	v_mul_f64 v[107:108], v[105:106], v[103:104]
	v_fma_f64 v[101:102], -v[101:102], v[107:108], v[105:106]
	v_div_fmas_f64 v[101:102], v[101:102], v[103:104], v[107:108]
	v_div_fixup_f64 v[103:104], v[101:102], v[97:98], v[99:100]
	v_fma_f64 v[97:98], v[99:100], v[103:104], v[97:98]
	v_div_scale_f64 v[99:100], s[6:7], v[97:98], v[97:98], 1.0
	v_div_scale_f64 v[107:108], vcc, 1.0, v[97:98], 1.0
	v_rcp_f64_e32 v[101:102], v[99:100]
	v_fma_f64 v[105:106], -v[99:100], v[101:102], 1.0
	v_fma_f64 v[101:102], v[101:102], v[105:106], v[101:102]
	v_fma_f64 v[105:106], -v[99:100], v[101:102], 1.0
	v_fma_f64 v[101:102], v[101:102], v[105:106], v[101:102]
	v_mul_f64 v[105:106], v[107:108], v[101:102]
	v_fma_f64 v[99:100], -v[99:100], v[105:106], v[107:108]
	v_div_fmas_f64 v[99:100], v[99:100], v[101:102], v[105:106]
	v_div_fixup_f64 v[101:102], v[99:100], v[97:98], 1.0
	v_mul_f64 v[103:104], v[103:104], -v[101:102]
.LBB51_106:
	s_or_b64 exec, exec, s[2:3]
	ds_write2_b64 v127, v[101:102], v[103:104] offset1:1
.LBB51_107:
	s_or_b64 exec, exec, s[4:5]
	s_waitcnt lgkmcnt(0)
	s_barrier
	ds_read2_b64 v[87:90], v127 offset1:1
	v_cmp_lt_u32_e32 vcc, 11, v0
	s_waitcnt lgkmcnt(0)
	buffer_store_dword v87, off, s[20:23], 0 offset:448 ; 4-byte Folded Spill
	s_nop 0
	buffer_store_dword v88, off, s[20:23], 0 offset:452 ; 4-byte Folded Spill
	buffer_store_dword v89, off, s[20:23], 0 offset:456 ; 4-byte Folded Spill
	;; [unrolled: 1-line block ×3, first 2 shown]
	s_and_saveexec_b64 s[2:3], vcc
	s_cbranch_execz .LBB51_109
; %bb.108:
	buffer_load_dword v87, off, s[20:23], 0 offset:448 ; 4-byte Folded Reload
	buffer_load_dword v88, off, s[20:23], 0 offset:452 ; 4-byte Folded Reload
	;; [unrolled: 1-line block ×4, first 2 shown]
	ds_read2_b64 v[99:102], v125 offset0:24 offset1:25
	s_waitcnt vmcnt(2)
	v_mul_f64 v[97:98], v[87:88], v[55:56]
	s_waitcnt vmcnt(0)
	v_mul_f64 v[55:56], v[89:90], v[55:56]
	v_fma_f64 v[97:98], v[89:90], v[53:54], v[97:98]
	v_fma_f64 v[53:54], v[87:88], v[53:54], -v[55:56]
	s_waitcnt lgkmcnt(0)
	v_mul_f64 v[55:56], v[101:102], v[97:98]
	v_fma_f64 v[55:56], v[99:100], v[53:54], -v[55:56]
	v_mul_f64 v[99:100], v[99:100], v[97:98]
	v_add_f64 v[49:50], v[49:50], -v[55:56]
	v_fma_f64 v[99:100], v[101:102], v[53:54], v[99:100]
	v_add_f64 v[51:52], v[51:52], -v[99:100]
	ds_read2_b64 v[99:102], v125 offset0:26 offset1:27
	s_waitcnt lgkmcnt(0)
	v_mul_f64 v[55:56], v[101:102], v[97:98]
	v_fma_f64 v[55:56], v[99:100], v[53:54], -v[55:56]
	v_mul_f64 v[99:100], v[99:100], v[97:98]
	v_add_f64 v[45:46], v[45:46], -v[55:56]
	v_fma_f64 v[99:100], v[101:102], v[53:54], v[99:100]
	v_add_f64 v[47:48], v[47:48], -v[99:100]
	ds_read2_b64 v[99:102], v125 offset0:28 offset1:29
	;; [unrolled: 8-line block ×13, first 2 shown]
	s_waitcnt lgkmcnt(0)
	v_mul_f64 v[55:56], v[101:102], v[97:98]
	v_fma_f64 v[55:56], v[99:100], v[53:54], -v[55:56]
	v_mul_f64 v[99:100], v[99:100], v[97:98]
	v_add_f64 v[73:74], v[73:74], -v[55:56]
	v_fma_f64 v[99:100], v[101:102], v[53:54], v[99:100]
	v_mov_b32_e32 v55, v97
	v_mov_b32_e32 v56, v98
	v_add_f64 v[75:76], v[75:76], -v[99:100]
.LBB51_109:
	s_or_b64 exec, exec, s[2:3]
	v_cmp_eq_u32_e32 vcc, 12, v0
	s_waitcnt vmcnt(0)
	s_barrier
	s_and_saveexec_b64 s[4:5], vcc
	s_cbranch_execz .LBB51_116
; %bb.110:
	ds_write2_b64 v127, v[49:50], v[51:52] offset1:1
	ds_write2_b64 v125, v[45:46], v[47:48] offset0:26 offset1:27
	ds_write2_b64 v125, v[41:42], v[43:44] offset0:28 offset1:29
	;; [unrolled: 1-line block ×13, first 2 shown]
	ds_read2_b64 v[97:100], v127 offset1:1
	s_waitcnt lgkmcnt(0)
	v_cmp_neq_f64_e32 vcc, 0, v[97:98]
	v_cmp_neq_f64_e64 s[2:3], 0, v[99:100]
	s_or_b64 s[2:3], vcc, s[2:3]
	s_and_b64 exec, exec, s[2:3]
	s_cbranch_execz .LBB51_116
; %bb.111:
	v_cmp_ngt_f64_e64 s[2:3], |v[97:98]|, |v[99:100]|
                                        ; implicit-def: $vgpr101_vgpr102
	s_and_saveexec_b64 s[6:7], s[2:3]
	s_xor_b64 s[2:3], exec, s[6:7]
                                        ; implicit-def: $vgpr103_vgpr104
	s_cbranch_execz .LBB51_113
; %bb.112:
	v_div_scale_f64 v[101:102], s[6:7], v[99:100], v[99:100], v[97:98]
	v_rcp_f64_e32 v[103:104], v[101:102]
	v_fma_f64 v[105:106], -v[101:102], v[103:104], 1.0
	v_fma_f64 v[103:104], v[103:104], v[105:106], v[103:104]
	v_div_scale_f64 v[105:106], vcc, v[97:98], v[99:100], v[97:98]
	v_fma_f64 v[107:108], -v[101:102], v[103:104], 1.0
	v_fma_f64 v[103:104], v[103:104], v[107:108], v[103:104]
	v_mul_f64 v[107:108], v[105:106], v[103:104]
	v_fma_f64 v[101:102], -v[101:102], v[107:108], v[105:106]
	v_div_fmas_f64 v[101:102], v[101:102], v[103:104], v[107:108]
	v_div_fixup_f64 v[101:102], v[101:102], v[99:100], v[97:98]
	v_fma_f64 v[97:98], v[97:98], v[101:102], v[99:100]
	v_div_scale_f64 v[99:100], s[6:7], v[97:98], v[97:98], 1.0
	v_div_scale_f64 v[107:108], vcc, 1.0, v[97:98], 1.0
	v_rcp_f64_e32 v[103:104], v[99:100]
	v_fma_f64 v[105:106], -v[99:100], v[103:104], 1.0
	v_fma_f64 v[103:104], v[103:104], v[105:106], v[103:104]
	v_fma_f64 v[105:106], -v[99:100], v[103:104], 1.0
	v_fma_f64 v[103:104], v[103:104], v[105:106], v[103:104]
	v_mul_f64 v[105:106], v[107:108], v[103:104]
	v_fma_f64 v[99:100], -v[99:100], v[105:106], v[107:108]
	v_div_fmas_f64 v[99:100], v[99:100], v[103:104], v[105:106]
	v_div_fixup_f64 v[103:104], v[99:100], v[97:98], 1.0
                                        ; implicit-def: $vgpr97_vgpr98
	v_mul_f64 v[101:102], v[101:102], v[103:104]
	v_xor_b32_e32 v104, 0x80000000, v104
.LBB51_113:
	s_andn2_saveexec_b64 s[2:3], s[2:3]
	s_cbranch_execz .LBB51_115
; %bb.114:
	v_div_scale_f64 v[101:102], s[6:7], v[97:98], v[97:98], v[99:100]
	v_rcp_f64_e32 v[103:104], v[101:102]
	v_fma_f64 v[105:106], -v[101:102], v[103:104], 1.0
	v_fma_f64 v[103:104], v[103:104], v[105:106], v[103:104]
	v_div_scale_f64 v[105:106], vcc, v[99:100], v[97:98], v[99:100]
	v_fma_f64 v[107:108], -v[101:102], v[103:104], 1.0
	v_fma_f64 v[103:104], v[103:104], v[107:108], v[103:104]
	v_mul_f64 v[107:108], v[105:106], v[103:104]
	v_fma_f64 v[101:102], -v[101:102], v[107:108], v[105:106]
	v_div_fmas_f64 v[101:102], v[101:102], v[103:104], v[107:108]
	v_div_fixup_f64 v[103:104], v[101:102], v[97:98], v[99:100]
	v_fma_f64 v[97:98], v[99:100], v[103:104], v[97:98]
	v_div_scale_f64 v[99:100], s[6:7], v[97:98], v[97:98], 1.0
	v_div_scale_f64 v[107:108], vcc, 1.0, v[97:98], 1.0
	v_rcp_f64_e32 v[101:102], v[99:100]
	v_fma_f64 v[105:106], -v[99:100], v[101:102], 1.0
	v_fma_f64 v[101:102], v[101:102], v[105:106], v[101:102]
	v_fma_f64 v[105:106], -v[99:100], v[101:102], 1.0
	v_fma_f64 v[101:102], v[101:102], v[105:106], v[101:102]
	v_mul_f64 v[105:106], v[107:108], v[101:102]
	v_fma_f64 v[99:100], -v[99:100], v[105:106], v[107:108]
	v_div_fmas_f64 v[99:100], v[99:100], v[101:102], v[105:106]
	v_div_fixup_f64 v[101:102], v[99:100], v[97:98], 1.0
	v_mul_f64 v[103:104], v[103:104], -v[101:102]
.LBB51_115:
	s_or_b64 exec, exec, s[2:3]
	ds_write2_b64 v127, v[101:102], v[103:104] offset1:1
.LBB51_116:
	s_or_b64 exec, exec, s[4:5]
	s_waitcnt lgkmcnt(0)
	s_barrier
	ds_read2_b64 v[87:90], v127 offset1:1
	v_cmp_lt_u32_e32 vcc, 12, v0
	s_waitcnt lgkmcnt(0)
	buffer_store_dword v87, off, s[20:23], 0 offset:464 ; 4-byte Folded Spill
	s_nop 0
	buffer_store_dword v88, off, s[20:23], 0 offset:468 ; 4-byte Folded Spill
	buffer_store_dword v89, off, s[20:23], 0 offset:472 ; 4-byte Folded Spill
	;; [unrolled: 1-line block ×3, first 2 shown]
	s_and_saveexec_b64 s[2:3], vcc
	s_cbranch_execz .LBB51_118
; %bb.117:
	buffer_load_dword v87, off, s[20:23], 0 offset:464 ; 4-byte Folded Reload
	buffer_load_dword v88, off, s[20:23], 0 offset:468 ; 4-byte Folded Reload
	;; [unrolled: 1-line block ×4, first 2 shown]
	ds_read2_b64 v[99:102], v125 offset0:26 offset1:27
	s_waitcnt vmcnt(2)
	v_mul_f64 v[97:98], v[87:88], v[51:52]
	s_waitcnt vmcnt(0)
	v_mul_f64 v[51:52], v[89:90], v[51:52]
	v_fma_f64 v[97:98], v[89:90], v[49:50], v[97:98]
	v_fma_f64 v[49:50], v[87:88], v[49:50], -v[51:52]
	s_waitcnt lgkmcnt(0)
	v_mul_f64 v[51:52], v[101:102], v[97:98]
	v_fma_f64 v[51:52], v[99:100], v[49:50], -v[51:52]
	v_mul_f64 v[99:100], v[99:100], v[97:98]
	v_add_f64 v[45:46], v[45:46], -v[51:52]
	v_fma_f64 v[99:100], v[101:102], v[49:50], v[99:100]
	v_add_f64 v[47:48], v[47:48], -v[99:100]
	ds_read2_b64 v[99:102], v125 offset0:28 offset1:29
	s_waitcnt lgkmcnt(0)
	v_mul_f64 v[51:52], v[101:102], v[97:98]
	v_fma_f64 v[51:52], v[99:100], v[49:50], -v[51:52]
	v_mul_f64 v[99:100], v[99:100], v[97:98]
	v_add_f64 v[41:42], v[41:42], -v[51:52]
	v_fma_f64 v[99:100], v[101:102], v[49:50], v[99:100]
	v_add_f64 v[43:44], v[43:44], -v[99:100]
	ds_read2_b64 v[99:102], v125 offset0:30 offset1:31
	s_waitcnt lgkmcnt(0)
	v_mul_f64 v[51:52], v[101:102], v[97:98]
	v_fma_f64 v[51:52], v[99:100], v[49:50], -v[51:52]
	v_mul_f64 v[99:100], v[99:100], v[97:98]
	v_add_f64 v[37:38], v[37:38], -v[51:52]
	v_fma_f64 v[99:100], v[101:102], v[49:50], v[99:100]
	v_add_f64 v[39:40], v[39:40], -v[99:100]
	ds_read2_b64 v[99:102], v125 offset0:32 offset1:33
	s_waitcnt lgkmcnt(0)
	v_mul_f64 v[51:52], v[101:102], v[97:98]
	v_fma_f64 v[51:52], v[99:100], v[49:50], -v[51:52]
	v_mul_f64 v[99:100], v[99:100], v[97:98]
	v_add_f64 v[33:34], v[33:34], -v[51:52]
	v_fma_f64 v[99:100], v[101:102], v[49:50], v[99:100]
	v_add_f64 v[35:36], v[35:36], -v[99:100]
	ds_read2_b64 v[99:102], v125 offset0:34 offset1:35
	s_waitcnt lgkmcnt(0)
	v_mul_f64 v[51:52], v[101:102], v[97:98]
	v_fma_f64 v[51:52], v[99:100], v[49:50], -v[51:52]
	v_mul_f64 v[99:100], v[99:100], v[97:98]
	v_add_f64 v[29:30], v[29:30], -v[51:52]
	v_fma_f64 v[99:100], v[101:102], v[49:50], v[99:100]
	v_add_f64 v[31:32], v[31:32], -v[99:100]
	ds_read2_b64 v[99:102], v125 offset0:36 offset1:37
	s_waitcnt lgkmcnt(0)
	v_mul_f64 v[51:52], v[101:102], v[97:98]
	v_fma_f64 v[51:52], v[99:100], v[49:50], -v[51:52]
	v_mul_f64 v[99:100], v[99:100], v[97:98]
	v_add_f64 v[25:26], v[25:26], -v[51:52]
	v_fma_f64 v[99:100], v[101:102], v[49:50], v[99:100]
	v_add_f64 v[27:28], v[27:28], -v[99:100]
	ds_read2_b64 v[99:102], v125 offset0:38 offset1:39
	s_waitcnt lgkmcnt(0)
	v_mul_f64 v[51:52], v[101:102], v[97:98]
	v_fma_f64 v[51:52], v[99:100], v[49:50], -v[51:52]
	v_mul_f64 v[99:100], v[99:100], v[97:98]
	v_add_f64 v[21:22], v[21:22], -v[51:52]
	v_fma_f64 v[99:100], v[101:102], v[49:50], v[99:100]
	v_add_f64 v[23:24], v[23:24], -v[99:100]
	ds_read2_b64 v[99:102], v125 offset0:40 offset1:41
	s_waitcnt lgkmcnt(0)
	v_mul_f64 v[51:52], v[101:102], v[97:98]
	v_fma_f64 v[51:52], v[99:100], v[49:50], -v[51:52]
	v_mul_f64 v[99:100], v[99:100], v[97:98]
	v_add_f64 v[17:18], v[17:18], -v[51:52]
	v_fma_f64 v[99:100], v[101:102], v[49:50], v[99:100]
	v_add_f64 v[19:20], v[19:20], -v[99:100]
	ds_read2_b64 v[99:102], v125 offset0:42 offset1:43
	s_waitcnt lgkmcnt(0)
	v_mul_f64 v[51:52], v[101:102], v[97:98]
	v_fma_f64 v[51:52], v[99:100], v[49:50], -v[51:52]
	v_mul_f64 v[99:100], v[99:100], v[97:98]
	v_add_f64 v[13:14], v[13:14], -v[51:52]
	v_fma_f64 v[99:100], v[101:102], v[49:50], v[99:100]
	v_add_f64 v[15:16], v[15:16], -v[99:100]
	ds_read2_b64 v[99:102], v125 offset0:44 offset1:45
	s_waitcnt lgkmcnt(0)
	v_mul_f64 v[51:52], v[101:102], v[97:98]
	v_fma_f64 v[51:52], v[99:100], v[49:50], -v[51:52]
	v_mul_f64 v[99:100], v[99:100], v[97:98]
	v_add_f64 v[9:10], v[9:10], -v[51:52]
	v_fma_f64 v[99:100], v[101:102], v[49:50], v[99:100]
	v_add_f64 v[11:12], v[11:12], -v[99:100]
	ds_read2_b64 v[99:102], v125 offset0:46 offset1:47
	s_waitcnt lgkmcnt(0)
	v_mul_f64 v[51:52], v[101:102], v[97:98]
	v_fma_f64 v[51:52], v[99:100], v[49:50], -v[51:52]
	v_mul_f64 v[99:100], v[99:100], v[97:98]
	v_add_f64 v[5:6], v[5:6], -v[51:52]
	v_fma_f64 v[99:100], v[101:102], v[49:50], v[99:100]
	v_add_f64 v[7:8], v[7:8], -v[99:100]
	ds_read2_b64 v[99:102], v125 offset0:48 offset1:49
	s_waitcnt lgkmcnt(0)
	v_mul_f64 v[51:52], v[101:102], v[97:98]
	v_fma_f64 v[51:52], v[99:100], v[49:50], -v[51:52]
	v_mul_f64 v[99:100], v[99:100], v[97:98]
	v_add_f64 v[1:2], v[1:2], -v[51:52]
	v_fma_f64 v[99:100], v[101:102], v[49:50], v[99:100]
	v_add_f64 v[3:4], v[3:4], -v[99:100]
	ds_read2_b64 v[99:102], v125 offset0:50 offset1:51
	s_waitcnt lgkmcnt(0)
	v_mul_f64 v[51:52], v[101:102], v[97:98]
	v_fma_f64 v[51:52], v[99:100], v[49:50], -v[51:52]
	v_mul_f64 v[99:100], v[99:100], v[97:98]
	v_add_f64 v[73:74], v[73:74], -v[51:52]
	v_fma_f64 v[99:100], v[101:102], v[49:50], v[99:100]
	v_mov_b32_e32 v51, v97
	v_mov_b32_e32 v52, v98
	v_add_f64 v[75:76], v[75:76], -v[99:100]
.LBB51_118:
	s_or_b64 exec, exec, s[2:3]
	v_cmp_eq_u32_e32 vcc, 13, v0
	s_waitcnt vmcnt(0)
	s_barrier
	s_and_saveexec_b64 s[4:5], vcc
	s_cbranch_execz .LBB51_125
; %bb.119:
	ds_write2_b64 v127, v[45:46], v[47:48] offset1:1
	ds_write2_b64 v125, v[41:42], v[43:44] offset0:28 offset1:29
	ds_write2_b64 v125, v[37:38], v[39:40] offset0:30 offset1:31
	;; [unrolled: 1-line block ×12, first 2 shown]
	ds_read2_b64 v[97:100], v127 offset1:1
	s_waitcnt lgkmcnt(0)
	v_cmp_neq_f64_e32 vcc, 0, v[97:98]
	v_cmp_neq_f64_e64 s[2:3], 0, v[99:100]
	s_or_b64 s[2:3], vcc, s[2:3]
	s_and_b64 exec, exec, s[2:3]
	s_cbranch_execz .LBB51_125
; %bb.120:
	v_cmp_ngt_f64_e64 s[2:3], |v[97:98]|, |v[99:100]|
                                        ; implicit-def: $vgpr101_vgpr102
	s_and_saveexec_b64 s[6:7], s[2:3]
	s_xor_b64 s[2:3], exec, s[6:7]
                                        ; implicit-def: $vgpr103_vgpr104
	s_cbranch_execz .LBB51_122
; %bb.121:
	v_div_scale_f64 v[101:102], s[6:7], v[99:100], v[99:100], v[97:98]
	v_rcp_f64_e32 v[103:104], v[101:102]
	v_fma_f64 v[105:106], -v[101:102], v[103:104], 1.0
	v_fma_f64 v[103:104], v[103:104], v[105:106], v[103:104]
	v_div_scale_f64 v[105:106], vcc, v[97:98], v[99:100], v[97:98]
	v_fma_f64 v[107:108], -v[101:102], v[103:104], 1.0
	v_fma_f64 v[103:104], v[103:104], v[107:108], v[103:104]
	v_mul_f64 v[107:108], v[105:106], v[103:104]
	v_fma_f64 v[101:102], -v[101:102], v[107:108], v[105:106]
	v_div_fmas_f64 v[101:102], v[101:102], v[103:104], v[107:108]
	v_div_fixup_f64 v[101:102], v[101:102], v[99:100], v[97:98]
	v_fma_f64 v[97:98], v[97:98], v[101:102], v[99:100]
	v_div_scale_f64 v[99:100], s[6:7], v[97:98], v[97:98], 1.0
	v_div_scale_f64 v[107:108], vcc, 1.0, v[97:98], 1.0
	v_rcp_f64_e32 v[103:104], v[99:100]
	v_fma_f64 v[105:106], -v[99:100], v[103:104], 1.0
	v_fma_f64 v[103:104], v[103:104], v[105:106], v[103:104]
	v_fma_f64 v[105:106], -v[99:100], v[103:104], 1.0
	v_fma_f64 v[103:104], v[103:104], v[105:106], v[103:104]
	v_mul_f64 v[105:106], v[107:108], v[103:104]
	v_fma_f64 v[99:100], -v[99:100], v[105:106], v[107:108]
	v_div_fmas_f64 v[99:100], v[99:100], v[103:104], v[105:106]
	v_div_fixup_f64 v[103:104], v[99:100], v[97:98], 1.0
                                        ; implicit-def: $vgpr97_vgpr98
	v_mul_f64 v[101:102], v[101:102], v[103:104]
	v_xor_b32_e32 v104, 0x80000000, v104
.LBB51_122:
	s_andn2_saveexec_b64 s[2:3], s[2:3]
	s_cbranch_execz .LBB51_124
; %bb.123:
	v_div_scale_f64 v[101:102], s[6:7], v[97:98], v[97:98], v[99:100]
	v_rcp_f64_e32 v[103:104], v[101:102]
	v_fma_f64 v[105:106], -v[101:102], v[103:104], 1.0
	v_fma_f64 v[103:104], v[103:104], v[105:106], v[103:104]
	v_div_scale_f64 v[105:106], vcc, v[99:100], v[97:98], v[99:100]
	v_fma_f64 v[107:108], -v[101:102], v[103:104], 1.0
	v_fma_f64 v[103:104], v[103:104], v[107:108], v[103:104]
	v_mul_f64 v[107:108], v[105:106], v[103:104]
	v_fma_f64 v[101:102], -v[101:102], v[107:108], v[105:106]
	v_div_fmas_f64 v[101:102], v[101:102], v[103:104], v[107:108]
	v_div_fixup_f64 v[103:104], v[101:102], v[97:98], v[99:100]
	v_fma_f64 v[97:98], v[99:100], v[103:104], v[97:98]
	v_div_scale_f64 v[99:100], s[6:7], v[97:98], v[97:98], 1.0
	v_div_scale_f64 v[107:108], vcc, 1.0, v[97:98], 1.0
	v_rcp_f64_e32 v[101:102], v[99:100]
	v_fma_f64 v[105:106], -v[99:100], v[101:102], 1.0
	v_fma_f64 v[101:102], v[101:102], v[105:106], v[101:102]
	v_fma_f64 v[105:106], -v[99:100], v[101:102], 1.0
	v_fma_f64 v[101:102], v[101:102], v[105:106], v[101:102]
	v_mul_f64 v[105:106], v[107:108], v[101:102]
	v_fma_f64 v[99:100], -v[99:100], v[105:106], v[107:108]
	v_div_fmas_f64 v[99:100], v[99:100], v[101:102], v[105:106]
	v_div_fixup_f64 v[101:102], v[99:100], v[97:98], 1.0
	v_mul_f64 v[103:104], v[103:104], -v[101:102]
.LBB51_124:
	s_or_b64 exec, exec, s[2:3]
	ds_write2_b64 v127, v[101:102], v[103:104] offset1:1
.LBB51_125:
	s_or_b64 exec, exec, s[4:5]
	s_waitcnt lgkmcnt(0)
	s_barrier
	ds_read2_b64 v[87:90], v127 offset1:1
	v_cmp_lt_u32_e32 vcc, 13, v0
	s_waitcnt lgkmcnt(0)
	buffer_store_dword v87, off, s[20:23], 0 offset:480 ; 4-byte Folded Spill
	s_nop 0
	buffer_store_dword v88, off, s[20:23], 0 offset:484 ; 4-byte Folded Spill
	buffer_store_dword v89, off, s[20:23], 0 offset:488 ; 4-byte Folded Spill
	;; [unrolled: 1-line block ×3, first 2 shown]
	s_and_saveexec_b64 s[2:3], vcc
	s_cbranch_execz .LBB51_127
; %bb.126:
	buffer_load_dword v87, off, s[20:23], 0 offset:480 ; 4-byte Folded Reload
	buffer_load_dword v88, off, s[20:23], 0 offset:484 ; 4-byte Folded Reload
	buffer_load_dword v89, off, s[20:23], 0 offset:488 ; 4-byte Folded Reload
	buffer_load_dword v90, off, s[20:23], 0 offset:492 ; 4-byte Folded Reload
	ds_read2_b64 v[99:102], v125 offset0:28 offset1:29
	s_waitcnt vmcnt(2)
	v_mul_f64 v[97:98], v[87:88], v[47:48]
	s_waitcnt vmcnt(0)
	v_mul_f64 v[47:48], v[89:90], v[47:48]
	v_fma_f64 v[97:98], v[89:90], v[45:46], v[97:98]
	v_fma_f64 v[45:46], v[87:88], v[45:46], -v[47:48]
	s_waitcnt lgkmcnt(0)
	v_mul_f64 v[47:48], v[101:102], v[97:98]
	v_fma_f64 v[47:48], v[99:100], v[45:46], -v[47:48]
	v_mul_f64 v[99:100], v[99:100], v[97:98]
	v_add_f64 v[41:42], v[41:42], -v[47:48]
	v_fma_f64 v[99:100], v[101:102], v[45:46], v[99:100]
	v_add_f64 v[43:44], v[43:44], -v[99:100]
	ds_read2_b64 v[99:102], v125 offset0:30 offset1:31
	s_waitcnt lgkmcnt(0)
	v_mul_f64 v[47:48], v[101:102], v[97:98]
	v_fma_f64 v[47:48], v[99:100], v[45:46], -v[47:48]
	v_mul_f64 v[99:100], v[99:100], v[97:98]
	v_add_f64 v[37:38], v[37:38], -v[47:48]
	v_fma_f64 v[99:100], v[101:102], v[45:46], v[99:100]
	v_add_f64 v[39:40], v[39:40], -v[99:100]
	ds_read2_b64 v[99:102], v125 offset0:32 offset1:33
	;; [unrolled: 8-line block ×11, first 2 shown]
	s_waitcnt lgkmcnt(0)
	v_mul_f64 v[47:48], v[101:102], v[97:98]
	v_fma_f64 v[47:48], v[99:100], v[45:46], -v[47:48]
	v_mul_f64 v[99:100], v[99:100], v[97:98]
	v_add_f64 v[73:74], v[73:74], -v[47:48]
	v_fma_f64 v[99:100], v[101:102], v[45:46], v[99:100]
	v_mov_b32_e32 v47, v97
	v_mov_b32_e32 v48, v98
	v_add_f64 v[75:76], v[75:76], -v[99:100]
.LBB51_127:
	s_or_b64 exec, exec, s[2:3]
	v_cmp_eq_u32_e32 vcc, 14, v0
	s_waitcnt vmcnt(0)
	s_barrier
	s_and_saveexec_b64 s[4:5], vcc
	s_cbranch_execz .LBB51_134
; %bb.128:
	ds_write2_b64 v127, v[41:42], v[43:44] offset1:1
	ds_write2_b64 v125, v[37:38], v[39:40] offset0:30 offset1:31
	ds_write2_b64 v125, v[33:34], v[35:36] offset0:32 offset1:33
	ds_write2_b64 v125, v[29:30], v[31:32] offset0:34 offset1:35
	ds_write2_b64 v125, v[25:26], v[27:28] offset0:36 offset1:37
	ds_write2_b64 v125, v[21:22], v[23:24] offset0:38 offset1:39
	ds_write2_b64 v125, v[17:18], v[19:20] offset0:40 offset1:41
	ds_write2_b64 v125, v[13:14], v[15:16] offset0:42 offset1:43
	ds_write2_b64 v125, v[9:10], v[11:12] offset0:44 offset1:45
	ds_write2_b64 v125, v[5:6], v[7:8] offset0:46 offset1:47
	ds_write2_b64 v125, v[1:2], v[3:4] offset0:48 offset1:49
	ds_write2_b64 v125, v[73:74], v[75:76] offset0:50 offset1:51
	ds_read2_b64 v[97:100], v127 offset1:1
	s_waitcnt lgkmcnt(0)
	v_cmp_neq_f64_e32 vcc, 0, v[97:98]
	v_cmp_neq_f64_e64 s[2:3], 0, v[99:100]
	s_or_b64 s[2:3], vcc, s[2:3]
	s_and_b64 exec, exec, s[2:3]
	s_cbranch_execz .LBB51_134
; %bb.129:
	v_cmp_ngt_f64_e64 s[2:3], |v[97:98]|, |v[99:100]|
                                        ; implicit-def: $vgpr101_vgpr102
	s_and_saveexec_b64 s[6:7], s[2:3]
	s_xor_b64 s[2:3], exec, s[6:7]
                                        ; implicit-def: $vgpr103_vgpr104
	s_cbranch_execz .LBB51_131
; %bb.130:
	v_div_scale_f64 v[101:102], s[6:7], v[99:100], v[99:100], v[97:98]
	v_rcp_f64_e32 v[103:104], v[101:102]
	v_fma_f64 v[105:106], -v[101:102], v[103:104], 1.0
	v_fma_f64 v[103:104], v[103:104], v[105:106], v[103:104]
	v_div_scale_f64 v[105:106], vcc, v[97:98], v[99:100], v[97:98]
	v_fma_f64 v[107:108], -v[101:102], v[103:104], 1.0
	v_fma_f64 v[103:104], v[103:104], v[107:108], v[103:104]
	v_mul_f64 v[107:108], v[105:106], v[103:104]
	v_fma_f64 v[101:102], -v[101:102], v[107:108], v[105:106]
	v_div_fmas_f64 v[101:102], v[101:102], v[103:104], v[107:108]
	v_div_fixup_f64 v[101:102], v[101:102], v[99:100], v[97:98]
	v_fma_f64 v[97:98], v[97:98], v[101:102], v[99:100]
	v_div_scale_f64 v[99:100], s[6:7], v[97:98], v[97:98], 1.0
	v_div_scale_f64 v[107:108], vcc, 1.0, v[97:98], 1.0
	v_rcp_f64_e32 v[103:104], v[99:100]
	v_fma_f64 v[105:106], -v[99:100], v[103:104], 1.0
	v_fma_f64 v[103:104], v[103:104], v[105:106], v[103:104]
	v_fma_f64 v[105:106], -v[99:100], v[103:104], 1.0
	v_fma_f64 v[103:104], v[103:104], v[105:106], v[103:104]
	v_mul_f64 v[105:106], v[107:108], v[103:104]
	v_fma_f64 v[99:100], -v[99:100], v[105:106], v[107:108]
	v_div_fmas_f64 v[99:100], v[99:100], v[103:104], v[105:106]
	v_div_fixup_f64 v[103:104], v[99:100], v[97:98], 1.0
                                        ; implicit-def: $vgpr97_vgpr98
	v_mul_f64 v[101:102], v[101:102], v[103:104]
	v_xor_b32_e32 v104, 0x80000000, v104
.LBB51_131:
	s_andn2_saveexec_b64 s[2:3], s[2:3]
	s_cbranch_execz .LBB51_133
; %bb.132:
	v_div_scale_f64 v[101:102], s[6:7], v[97:98], v[97:98], v[99:100]
	v_rcp_f64_e32 v[103:104], v[101:102]
	v_fma_f64 v[105:106], -v[101:102], v[103:104], 1.0
	v_fma_f64 v[103:104], v[103:104], v[105:106], v[103:104]
	v_div_scale_f64 v[105:106], vcc, v[99:100], v[97:98], v[99:100]
	v_fma_f64 v[107:108], -v[101:102], v[103:104], 1.0
	v_fma_f64 v[103:104], v[103:104], v[107:108], v[103:104]
	v_mul_f64 v[107:108], v[105:106], v[103:104]
	v_fma_f64 v[101:102], -v[101:102], v[107:108], v[105:106]
	v_div_fmas_f64 v[101:102], v[101:102], v[103:104], v[107:108]
	v_div_fixup_f64 v[103:104], v[101:102], v[97:98], v[99:100]
	v_fma_f64 v[97:98], v[99:100], v[103:104], v[97:98]
	v_div_scale_f64 v[99:100], s[6:7], v[97:98], v[97:98], 1.0
	v_div_scale_f64 v[107:108], vcc, 1.0, v[97:98], 1.0
	v_rcp_f64_e32 v[101:102], v[99:100]
	v_fma_f64 v[105:106], -v[99:100], v[101:102], 1.0
	v_fma_f64 v[101:102], v[101:102], v[105:106], v[101:102]
	v_fma_f64 v[105:106], -v[99:100], v[101:102], 1.0
	v_fma_f64 v[101:102], v[101:102], v[105:106], v[101:102]
	v_mul_f64 v[105:106], v[107:108], v[101:102]
	v_fma_f64 v[99:100], -v[99:100], v[105:106], v[107:108]
	v_div_fmas_f64 v[99:100], v[99:100], v[101:102], v[105:106]
	v_div_fixup_f64 v[101:102], v[99:100], v[97:98], 1.0
	v_mul_f64 v[103:104], v[103:104], -v[101:102]
.LBB51_133:
	s_or_b64 exec, exec, s[2:3]
	ds_write2_b64 v127, v[101:102], v[103:104] offset1:1
.LBB51_134:
	s_or_b64 exec, exec, s[4:5]
	s_waitcnt lgkmcnt(0)
	s_barrier
	ds_read2_b64 v[87:90], v127 offset1:1
	v_cmp_lt_u32_e32 vcc, 14, v0
	s_waitcnt lgkmcnt(0)
	buffer_store_dword v87, off, s[20:23], 0 offset:496 ; 4-byte Folded Spill
	s_nop 0
	buffer_store_dword v88, off, s[20:23], 0 offset:500 ; 4-byte Folded Spill
	buffer_store_dword v89, off, s[20:23], 0 offset:504 ; 4-byte Folded Spill
	buffer_store_dword v90, off, s[20:23], 0 offset:508 ; 4-byte Folded Spill
	s_and_saveexec_b64 s[2:3], vcc
	s_cbranch_execz .LBB51_136
; %bb.135:
	buffer_load_dword v87, off, s[20:23], 0 offset:496 ; 4-byte Folded Reload
	buffer_load_dword v88, off, s[20:23], 0 offset:500 ; 4-byte Folded Reload
	;; [unrolled: 1-line block ×4, first 2 shown]
	ds_read2_b64 v[99:102], v125 offset0:30 offset1:31
	s_waitcnt vmcnt(2)
	v_mul_f64 v[97:98], v[87:88], v[43:44]
	s_waitcnt vmcnt(0)
	v_mul_f64 v[43:44], v[89:90], v[43:44]
	v_fma_f64 v[97:98], v[89:90], v[41:42], v[97:98]
	v_fma_f64 v[41:42], v[87:88], v[41:42], -v[43:44]
	s_waitcnt lgkmcnt(0)
	v_mul_f64 v[43:44], v[101:102], v[97:98]
	v_fma_f64 v[43:44], v[99:100], v[41:42], -v[43:44]
	v_mul_f64 v[99:100], v[99:100], v[97:98]
	v_add_f64 v[37:38], v[37:38], -v[43:44]
	v_fma_f64 v[99:100], v[101:102], v[41:42], v[99:100]
	v_add_f64 v[39:40], v[39:40], -v[99:100]
	ds_read2_b64 v[99:102], v125 offset0:32 offset1:33
	s_waitcnt lgkmcnt(0)
	v_mul_f64 v[43:44], v[101:102], v[97:98]
	v_fma_f64 v[43:44], v[99:100], v[41:42], -v[43:44]
	v_mul_f64 v[99:100], v[99:100], v[97:98]
	v_add_f64 v[33:34], v[33:34], -v[43:44]
	v_fma_f64 v[99:100], v[101:102], v[41:42], v[99:100]
	v_add_f64 v[35:36], v[35:36], -v[99:100]
	ds_read2_b64 v[99:102], v125 offset0:34 offset1:35
	;; [unrolled: 8-line block ×10, first 2 shown]
	s_waitcnt lgkmcnt(0)
	v_mul_f64 v[43:44], v[101:102], v[97:98]
	v_fma_f64 v[43:44], v[99:100], v[41:42], -v[43:44]
	v_mul_f64 v[99:100], v[99:100], v[97:98]
	v_add_f64 v[73:74], v[73:74], -v[43:44]
	v_fma_f64 v[99:100], v[101:102], v[41:42], v[99:100]
	v_mov_b32_e32 v43, v97
	v_mov_b32_e32 v44, v98
	v_add_f64 v[75:76], v[75:76], -v[99:100]
.LBB51_136:
	s_or_b64 exec, exec, s[2:3]
	v_cmp_eq_u32_e32 vcc, 15, v0
	s_waitcnt vmcnt(0)
	s_barrier
	s_and_saveexec_b64 s[4:5], vcc
	s_cbranch_execz .LBB51_143
; %bb.137:
	ds_write2_b64 v127, v[37:38], v[39:40] offset1:1
	ds_write2_b64 v125, v[33:34], v[35:36] offset0:32 offset1:33
	ds_write2_b64 v125, v[29:30], v[31:32] offset0:34 offset1:35
	;; [unrolled: 1-line block ×10, first 2 shown]
	ds_read2_b64 v[97:100], v127 offset1:1
	s_waitcnt lgkmcnt(0)
	v_cmp_neq_f64_e32 vcc, 0, v[97:98]
	v_cmp_neq_f64_e64 s[2:3], 0, v[99:100]
	s_or_b64 s[2:3], vcc, s[2:3]
	s_and_b64 exec, exec, s[2:3]
	s_cbranch_execz .LBB51_143
; %bb.138:
	v_cmp_ngt_f64_e64 s[2:3], |v[97:98]|, |v[99:100]|
                                        ; implicit-def: $vgpr101_vgpr102
	s_and_saveexec_b64 s[6:7], s[2:3]
	s_xor_b64 s[2:3], exec, s[6:7]
                                        ; implicit-def: $vgpr103_vgpr104
	s_cbranch_execz .LBB51_140
; %bb.139:
	v_div_scale_f64 v[101:102], s[6:7], v[99:100], v[99:100], v[97:98]
	v_rcp_f64_e32 v[103:104], v[101:102]
	v_fma_f64 v[105:106], -v[101:102], v[103:104], 1.0
	v_fma_f64 v[103:104], v[103:104], v[105:106], v[103:104]
	v_div_scale_f64 v[105:106], vcc, v[97:98], v[99:100], v[97:98]
	v_fma_f64 v[107:108], -v[101:102], v[103:104], 1.0
	v_fma_f64 v[103:104], v[103:104], v[107:108], v[103:104]
	v_mul_f64 v[107:108], v[105:106], v[103:104]
	v_fma_f64 v[101:102], -v[101:102], v[107:108], v[105:106]
	v_div_fmas_f64 v[101:102], v[101:102], v[103:104], v[107:108]
	v_div_fixup_f64 v[101:102], v[101:102], v[99:100], v[97:98]
	v_fma_f64 v[97:98], v[97:98], v[101:102], v[99:100]
	v_div_scale_f64 v[99:100], s[6:7], v[97:98], v[97:98], 1.0
	v_div_scale_f64 v[107:108], vcc, 1.0, v[97:98], 1.0
	v_rcp_f64_e32 v[103:104], v[99:100]
	v_fma_f64 v[105:106], -v[99:100], v[103:104], 1.0
	v_fma_f64 v[103:104], v[103:104], v[105:106], v[103:104]
	v_fma_f64 v[105:106], -v[99:100], v[103:104], 1.0
	v_fma_f64 v[103:104], v[103:104], v[105:106], v[103:104]
	v_mul_f64 v[105:106], v[107:108], v[103:104]
	v_fma_f64 v[99:100], -v[99:100], v[105:106], v[107:108]
	v_div_fmas_f64 v[99:100], v[99:100], v[103:104], v[105:106]
	v_div_fixup_f64 v[103:104], v[99:100], v[97:98], 1.0
                                        ; implicit-def: $vgpr97_vgpr98
	v_mul_f64 v[101:102], v[101:102], v[103:104]
	v_xor_b32_e32 v104, 0x80000000, v104
.LBB51_140:
	s_andn2_saveexec_b64 s[2:3], s[2:3]
	s_cbranch_execz .LBB51_142
; %bb.141:
	v_div_scale_f64 v[101:102], s[6:7], v[97:98], v[97:98], v[99:100]
	v_rcp_f64_e32 v[103:104], v[101:102]
	v_fma_f64 v[105:106], -v[101:102], v[103:104], 1.0
	v_fma_f64 v[103:104], v[103:104], v[105:106], v[103:104]
	v_div_scale_f64 v[105:106], vcc, v[99:100], v[97:98], v[99:100]
	v_fma_f64 v[107:108], -v[101:102], v[103:104], 1.0
	v_fma_f64 v[103:104], v[103:104], v[107:108], v[103:104]
	v_mul_f64 v[107:108], v[105:106], v[103:104]
	v_fma_f64 v[101:102], -v[101:102], v[107:108], v[105:106]
	v_div_fmas_f64 v[101:102], v[101:102], v[103:104], v[107:108]
	v_div_fixup_f64 v[103:104], v[101:102], v[97:98], v[99:100]
	v_fma_f64 v[97:98], v[99:100], v[103:104], v[97:98]
	v_div_scale_f64 v[99:100], s[6:7], v[97:98], v[97:98], 1.0
	v_div_scale_f64 v[107:108], vcc, 1.0, v[97:98], 1.0
	v_rcp_f64_e32 v[101:102], v[99:100]
	v_fma_f64 v[105:106], -v[99:100], v[101:102], 1.0
	v_fma_f64 v[101:102], v[101:102], v[105:106], v[101:102]
	v_fma_f64 v[105:106], -v[99:100], v[101:102], 1.0
	v_fma_f64 v[101:102], v[101:102], v[105:106], v[101:102]
	v_mul_f64 v[105:106], v[107:108], v[101:102]
	v_fma_f64 v[99:100], -v[99:100], v[105:106], v[107:108]
	v_div_fmas_f64 v[99:100], v[99:100], v[101:102], v[105:106]
	v_div_fixup_f64 v[101:102], v[99:100], v[97:98], 1.0
	v_mul_f64 v[103:104], v[103:104], -v[101:102]
.LBB51_142:
	s_or_b64 exec, exec, s[2:3]
	ds_write2_b64 v127, v[101:102], v[103:104] offset1:1
.LBB51_143:
	s_or_b64 exec, exec, s[4:5]
	s_waitcnt lgkmcnt(0)
	s_barrier
	ds_read2_b64 v[87:90], v127 offset1:1
	v_cmp_lt_u32_e32 vcc, 15, v0
	s_waitcnt lgkmcnt(0)
	buffer_store_dword v87, off, s[20:23], 0 offset:512 ; 4-byte Folded Spill
	s_nop 0
	buffer_store_dword v88, off, s[20:23], 0 offset:516 ; 4-byte Folded Spill
	buffer_store_dword v89, off, s[20:23], 0 offset:520 ; 4-byte Folded Spill
	buffer_store_dword v90, off, s[20:23], 0 offset:524 ; 4-byte Folded Spill
	s_and_saveexec_b64 s[2:3], vcc
	s_cbranch_execz .LBB51_145
; %bb.144:
	buffer_load_dword v87, off, s[20:23], 0 offset:512 ; 4-byte Folded Reload
	buffer_load_dword v88, off, s[20:23], 0 offset:516 ; 4-byte Folded Reload
	;; [unrolled: 1-line block ×4, first 2 shown]
	ds_read2_b64 v[99:102], v125 offset0:32 offset1:33
	s_waitcnt vmcnt(2)
	v_mul_f64 v[97:98], v[87:88], v[39:40]
	s_waitcnt vmcnt(0)
	v_mul_f64 v[39:40], v[89:90], v[39:40]
	v_fma_f64 v[97:98], v[89:90], v[37:38], v[97:98]
	v_fma_f64 v[37:38], v[87:88], v[37:38], -v[39:40]
	s_waitcnt lgkmcnt(0)
	v_mul_f64 v[39:40], v[101:102], v[97:98]
	v_fma_f64 v[39:40], v[99:100], v[37:38], -v[39:40]
	v_mul_f64 v[99:100], v[99:100], v[97:98]
	v_add_f64 v[33:34], v[33:34], -v[39:40]
	v_fma_f64 v[99:100], v[101:102], v[37:38], v[99:100]
	v_add_f64 v[35:36], v[35:36], -v[99:100]
	ds_read2_b64 v[99:102], v125 offset0:34 offset1:35
	s_waitcnt lgkmcnt(0)
	v_mul_f64 v[39:40], v[101:102], v[97:98]
	v_fma_f64 v[39:40], v[99:100], v[37:38], -v[39:40]
	v_mul_f64 v[99:100], v[99:100], v[97:98]
	v_add_f64 v[29:30], v[29:30], -v[39:40]
	v_fma_f64 v[99:100], v[101:102], v[37:38], v[99:100]
	v_add_f64 v[31:32], v[31:32], -v[99:100]
	ds_read2_b64 v[99:102], v125 offset0:36 offset1:37
	;; [unrolled: 8-line block ×9, first 2 shown]
	s_waitcnt lgkmcnt(0)
	v_mul_f64 v[39:40], v[101:102], v[97:98]
	v_fma_f64 v[39:40], v[99:100], v[37:38], -v[39:40]
	v_mul_f64 v[99:100], v[99:100], v[97:98]
	v_add_f64 v[73:74], v[73:74], -v[39:40]
	v_fma_f64 v[99:100], v[101:102], v[37:38], v[99:100]
	v_mov_b32_e32 v39, v97
	v_mov_b32_e32 v40, v98
	v_add_f64 v[75:76], v[75:76], -v[99:100]
.LBB51_145:
	s_or_b64 exec, exec, s[2:3]
	v_cmp_eq_u32_e32 vcc, 16, v0
	s_waitcnt vmcnt(0)
	s_barrier
	s_and_saveexec_b64 s[4:5], vcc
	s_cbranch_execz .LBB51_152
; %bb.146:
	ds_write2_b64 v127, v[33:34], v[35:36] offset1:1
	ds_write2_b64 v125, v[29:30], v[31:32] offset0:34 offset1:35
	ds_write2_b64 v125, v[25:26], v[27:28] offset0:36 offset1:37
	;; [unrolled: 1-line block ×9, first 2 shown]
	ds_read2_b64 v[97:100], v127 offset1:1
	s_waitcnt lgkmcnt(0)
	v_cmp_neq_f64_e32 vcc, 0, v[97:98]
	v_cmp_neq_f64_e64 s[2:3], 0, v[99:100]
	s_or_b64 s[2:3], vcc, s[2:3]
	s_and_b64 exec, exec, s[2:3]
	s_cbranch_execz .LBB51_152
; %bb.147:
	v_cmp_ngt_f64_e64 s[2:3], |v[97:98]|, |v[99:100]|
                                        ; implicit-def: $vgpr101_vgpr102
	s_and_saveexec_b64 s[6:7], s[2:3]
	s_xor_b64 s[2:3], exec, s[6:7]
                                        ; implicit-def: $vgpr103_vgpr104
	s_cbranch_execz .LBB51_149
; %bb.148:
	v_div_scale_f64 v[101:102], s[6:7], v[99:100], v[99:100], v[97:98]
	v_rcp_f64_e32 v[103:104], v[101:102]
	v_fma_f64 v[105:106], -v[101:102], v[103:104], 1.0
	v_fma_f64 v[103:104], v[103:104], v[105:106], v[103:104]
	v_div_scale_f64 v[105:106], vcc, v[97:98], v[99:100], v[97:98]
	v_fma_f64 v[107:108], -v[101:102], v[103:104], 1.0
	v_fma_f64 v[103:104], v[103:104], v[107:108], v[103:104]
	v_mul_f64 v[107:108], v[105:106], v[103:104]
	v_fma_f64 v[101:102], -v[101:102], v[107:108], v[105:106]
	v_div_fmas_f64 v[101:102], v[101:102], v[103:104], v[107:108]
	v_div_fixup_f64 v[101:102], v[101:102], v[99:100], v[97:98]
	v_fma_f64 v[97:98], v[97:98], v[101:102], v[99:100]
	v_div_scale_f64 v[99:100], s[6:7], v[97:98], v[97:98], 1.0
	v_div_scale_f64 v[107:108], vcc, 1.0, v[97:98], 1.0
	v_rcp_f64_e32 v[103:104], v[99:100]
	v_fma_f64 v[105:106], -v[99:100], v[103:104], 1.0
	v_fma_f64 v[103:104], v[103:104], v[105:106], v[103:104]
	v_fma_f64 v[105:106], -v[99:100], v[103:104], 1.0
	v_fma_f64 v[103:104], v[103:104], v[105:106], v[103:104]
	v_mul_f64 v[105:106], v[107:108], v[103:104]
	v_fma_f64 v[99:100], -v[99:100], v[105:106], v[107:108]
	v_div_fmas_f64 v[99:100], v[99:100], v[103:104], v[105:106]
	v_div_fixup_f64 v[103:104], v[99:100], v[97:98], 1.0
                                        ; implicit-def: $vgpr97_vgpr98
	v_mul_f64 v[101:102], v[101:102], v[103:104]
	v_xor_b32_e32 v104, 0x80000000, v104
.LBB51_149:
	s_andn2_saveexec_b64 s[2:3], s[2:3]
	s_cbranch_execz .LBB51_151
; %bb.150:
	v_div_scale_f64 v[101:102], s[6:7], v[97:98], v[97:98], v[99:100]
	v_rcp_f64_e32 v[103:104], v[101:102]
	v_fma_f64 v[105:106], -v[101:102], v[103:104], 1.0
	v_fma_f64 v[103:104], v[103:104], v[105:106], v[103:104]
	v_div_scale_f64 v[105:106], vcc, v[99:100], v[97:98], v[99:100]
	v_fma_f64 v[107:108], -v[101:102], v[103:104], 1.0
	v_fma_f64 v[103:104], v[103:104], v[107:108], v[103:104]
	v_mul_f64 v[107:108], v[105:106], v[103:104]
	v_fma_f64 v[101:102], -v[101:102], v[107:108], v[105:106]
	v_div_fmas_f64 v[101:102], v[101:102], v[103:104], v[107:108]
	v_div_fixup_f64 v[103:104], v[101:102], v[97:98], v[99:100]
	v_fma_f64 v[97:98], v[99:100], v[103:104], v[97:98]
	v_div_scale_f64 v[99:100], s[6:7], v[97:98], v[97:98], 1.0
	v_div_scale_f64 v[107:108], vcc, 1.0, v[97:98], 1.0
	v_rcp_f64_e32 v[101:102], v[99:100]
	v_fma_f64 v[105:106], -v[99:100], v[101:102], 1.0
	v_fma_f64 v[101:102], v[101:102], v[105:106], v[101:102]
	v_fma_f64 v[105:106], -v[99:100], v[101:102], 1.0
	v_fma_f64 v[101:102], v[101:102], v[105:106], v[101:102]
	v_mul_f64 v[105:106], v[107:108], v[101:102]
	v_fma_f64 v[99:100], -v[99:100], v[105:106], v[107:108]
	v_div_fmas_f64 v[99:100], v[99:100], v[101:102], v[105:106]
	v_div_fixup_f64 v[101:102], v[99:100], v[97:98], 1.0
	v_mul_f64 v[103:104], v[103:104], -v[101:102]
.LBB51_151:
	s_or_b64 exec, exec, s[2:3]
	ds_write2_b64 v127, v[101:102], v[103:104] offset1:1
.LBB51_152:
	s_or_b64 exec, exec, s[4:5]
	s_waitcnt lgkmcnt(0)
	s_barrier
	ds_read2_b64 v[87:90], v127 offset1:1
	v_cmp_lt_u32_e32 vcc, 16, v0
	s_waitcnt lgkmcnt(0)
	buffer_store_dword v87, off, s[20:23], 0 offset:528 ; 4-byte Folded Spill
	s_nop 0
	buffer_store_dword v88, off, s[20:23], 0 offset:532 ; 4-byte Folded Spill
	buffer_store_dword v89, off, s[20:23], 0 offset:536 ; 4-byte Folded Spill
	;; [unrolled: 1-line block ×3, first 2 shown]
	s_and_saveexec_b64 s[2:3], vcc
	s_cbranch_execz .LBB51_154
; %bb.153:
	buffer_load_dword v87, off, s[20:23], 0 offset:528 ; 4-byte Folded Reload
	buffer_load_dword v88, off, s[20:23], 0 offset:532 ; 4-byte Folded Reload
	;; [unrolled: 1-line block ×4, first 2 shown]
	ds_read2_b64 v[99:102], v125 offset0:34 offset1:35
	s_waitcnt vmcnt(2)
	v_mul_f64 v[97:98], v[87:88], v[35:36]
	s_waitcnt vmcnt(0)
	v_mul_f64 v[35:36], v[89:90], v[35:36]
	v_fma_f64 v[97:98], v[89:90], v[33:34], v[97:98]
	v_fma_f64 v[33:34], v[87:88], v[33:34], -v[35:36]
	s_waitcnt lgkmcnt(0)
	v_mul_f64 v[35:36], v[101:102], v[97:98]
	v_fma_f64 v[35:36], v[99:100], v[33:34], -v[35:36]
	v_mul_f64 v[99:100], v[99:100], v[97:98]
	v_add_f64 v[29:30], v[29:30], -v[35:36]
	v_fma_f64 v[99:100], v[101:102], v[33:34], v[99:100]
	v_add_f64 v[31:32], v[31:32], -v[99:100]
	ds_read2_b64 v[99:102], v125 offset0:36 offset1:37
	s_waitcnt lgkmcnt(0)
	v_mul_f64 v[35:36], v[101:102], v[97:98]
	v_fma_f64 v[35:36], v[99:100], v[33:34], -v[35:36]
	v_mul_f64 v[99:100], v[99:100], v[97:98]
	v_add_f64 v[25:26], v[25:26], -v[35:36]
	v_fma_f64 v[99:100], v[101:102], v[33:34], v[99:100]
	v_add_f64 v[27:28], v[27:28], -v[99:100]
	ds_read2_b64 v[99:102], v125 offset0:38 offset1:39
	;; [unrolled: 8-line block ×8, first 2 shown]
	s_waitcnt lgkmcnt(0)
	v_mul_f64 v[35:36], v[101:102], v[97:98]
	v_fma_f64 v[35:36], v[99:100], v[33:34], -v[35:36]
	v_mul_f64 v[99:100], v[99:100], v[97:98]
	v_add_f64 v[73:74], v[73:74], -v[35:36]
	v_fma_f64 v[99:100], v[101:102], v[33:34], v[99:100]
	v_mov_b32_e32 v35, v97
	v_mov_b32_e32 v36, v98
	v_add_f64 v[75:76], v[75:76], -v[99:100]
.LBB51_154:
	s_or_b64 exec, exec, s[2:3]
	v_cmp_eq_u32_e32 vcc, 17, v0
	s_waitcnt vmcnt(0)
	s_barrier
	s_and_saveexec_b64 s[4:5], vcc
	s_cbranch_execz .LBB51_161
; %bb.155:
	ds_write2_b64 v127, v[29:30], v[31:32] offset1:1
	ds_write2_b64 v125, v[25:26], v[27:28] offset0:36 offset1:37
	ds_write2_b64 v125, v[21:22], v[23:24] offset0:38 offset1:39
	;; [unrolled: 1-line block ×8, first 2 shown]
	ds_read2_b64 v[97:100], v127 offset1:1
	s_waitcnt lgkmcnt(0)
	v_cmp_neq_f64_e32 vcc, 0, v[97:98]
	v_cmp_neq_f64_e64 s[2:3], 0, v[99:100]
	s_or_b64 s[2:3], vcc, s[2:3]
	s_and_b64 exec, exec, s[2:3]
	s_cbranch_execz .LBB51_161
; %bb.156:
	v_cmp_ngt_f64_e64 s[2:3], |v[97:98]|, |v[99:100]|
                                        ; implicit-def: $vgpr101_vgpr102
	s_and_saveexec_b64 s[6:7], s[2:3]
	s_xor_b64 s[2:3], exec, s[6:7]
                                        ; implicit-def: $vgpr103_vgpr104
	s_cbranch_execz .LBB51_158
; %bb.157:
	v_div_scale_f64 v[101:102], s[6:7], v[99:100], v[99:100], v[97:98]
	v_rcp_f64_e32 v[103:104], v[101:102]
	v_fma_f64 v[105:106], -v[101:102], v[103:104], 1.0
	v_fma_f64 v[103:104], v[103:104], v[105:106], v[103:104]
	v_div_scale_f64 v[105:106], vcc, v[97:98], v[99:100], v[97:98]
	v_fma_f64 v[107:108], -v[101:102], v[103:104], 1.0
	v_fma_f64 v[103:104], v[103:104], v[107:108], v[103:104]
	v_mul_f64 v[107:108], v[105:106], v[103:104]
	v_fma_f64 v[101:102], -v[101:102], v[107:108], v[105:106]
	v_div_fmas_f64 v[101:102], v[101:102], v[103:104], v[107:108]
	v_div_fixup_f64 v[101:102], v[101:102], v[99:100], v[97:98]
	v_fma_f64 v[97:98], v[97:98], v[101:102], v[99:100]
	v_div_scale_f64 v[99:100], s[6:7], v[97:98], v[97:98], 1.0
	v_div_scale_f64 v[107:108], vcc, 1.0, v[97:98], 1.0
	v_rcp_f64_e32 v[103:104], v[99:100]
	v_fma_f64 v[105:106], -v[99:100], v[103:104], 1.0
	v_fma_f64 v[103:104], v[103:104], v[105:106], v[103:104]
	v_fma_f64 v[105:106], -v[99:100], v[103:104], 1.0
	v_fma_f64 v[103:104], v[103:104], v[105:106], v[103:104]
	v_mul_f64 v[105:106], v[107:108], v[103:104]
	v_fma_f64 v[99:100], -v[99:100], v[105:106], v[107:108]
	v_div_fmas_f64 v[99:100], v[99:100], v[103:104], v[105:106]
	v_div_fixup_f64 v[103:104], v[99:100], v[97:98], 1.0
                                        ; implicit-def: $vgpr97_vgpr98
	v_mul_f64 v[101:102], v[101:102], v[103:104]
	v_xor_b32_e32 v104, 0x80000000, v104
.LBB51_158:
	s_andn2_saveexec_b64 s[2:3], s[2:3]
	s_cbranch_execz .LBB51_160
; %bb.159:
	v_div_scale_f64 v[101:102], s[6:7], v[97:98], v[97:98], v[99:100]
	v_rcp_f64_e32 v[103:104], v[101:102]
	v_fma_f64 v[105:106], -v[101:102], v[103:104], 1.0
	v_fma_f64 v[103:104], v[103:104], v[105:106], v[103:104]
	v_div_scale_f64 v[105:106], vcc, v[99:100], v[97:98], v[99:100]
	v_fma_f64 v[107:108], -v[101:102], v[103:104], 1.0
	v_fma_f64 v[103:104], v[103:104], v[107:108], v[103:104]
	v_mul_f64 v[107:108], v[105:106], v[103:104]
	v_fma_f64 v[101:102], -v[101:102], v[107:108], v[105:106]
	v_div_fmas_f64 v[101:102], v[101:102], v[103:104], v[107:108]
	v_div_fixup_f64 v[103:104], v[101:102], v[97:98], v[99:100]
	v_fma_f64 v[97:98], v[99:100], v[103:104], v[97:98]
	v_div_scale_f64 v[99:100], s[6:7], v[97:98], v[97:98], 1.0
	v_div_scale_f64 v[107:108], vcc, 1.0, v[97:98], 1.0
	v_rcp_f64_e32 v[101:102], v[99:100]
	v_fma_f64 v[105:106], -v[99:100], v[101:102], 1.0
	v_fma_f64 v[101:102], v[101:102], v[105:106], v[101:102]
	v_fma_f64 v[105:106], -v[99:100], v[101:102], 1.0
	v_fma_f64 v[101:102], v[101:102], v[105:106], v[101:102]
	v_mul_f64 v[105:106], v[107:108], v[101:102]
	v_fma_f64 v[99:100], -v[99:100], v[105:106], v[107:108]
	v_div_fmas_f64 v[99:100], v[99:100], v[101:102], v[105:106]
	v_div_fixup_f64 v[101:102], v[99:100], v[97:98], 1.0
	v_mul_f64 v[103:104], v[103:104], -v[101:102]
.LBB51_160:
	s_or_b64 exec, exec, s[2:3]
	ds_write2_b64 v127, v[101:102], v[103:104] offset1:1
.LBB51_161:
	s_or_b64 exec, exec, s[4:5]
	s_waitcnt lgkmcnt(0)
	s_barrier
	ds_read2_b64 v[87:90], v127 offset1:1
	v_cmp_lt_u32_e32 vcc, 17, v0
	s_waitcnt lgkmcnt(0)
	buffer_store_dword v87, off, s[20:23], 0 offset:544 ; 4-byte Folded Spill
	s_nop 0
	buffer_store_dword v88, off, s[20:23], 0 offset:548 ; 4-byte Folded Spill
	buffer_store_dword v89, off, s[20:23], 0 offset:552 ; 4-byte Folded Spill
	;; [unrolled: 1-line block ×3, first 2 shown]
	s_and_saveexec_b64 s[2:3], vcc
	s_cbranch_execz .LBB51_163
; %bb.162:
	buffer_load_dword v87, off, s[20:23], 0 offset:544 ; 4-byte Folded Reload
	buffer_load_dword v88, off, s[20:23], 0 offset:548 ; 4-byte Folded Reload
	;; [unrolled: 1-line block ×4, first 2 shown]
	ds_read2_b64 v[99:102], v125 offset0:36 offset1:37
	s_waitcnt vmcnt(2)
	v_mul_f64 v[97:98], v[87:88], v[31:32]
	s_waitcnt vmcnt(0)
	v_mul_f64 v[31:32], v[89:90], v[31:32]
	v_fma_f64 v[97:98], v[89:90], v[29:30], v[97:98]
	v_fma_f64 v[29:30], v[87:88], v[29:30], -v[31:32]
	s_waitcnt lgkmcnt(0)
	v_mul_f64 v[31:32], v[101:102], v[97:98]
	v_fma_f64 v[31:32], v[99:100], v[29:30], -v[31:32]
	v_mul_f64 v[99:100], v[99:100], v[97:98]
	v_add_f64 v[25:26], v[25:26], -v[31:32]
	v_fma_f64 v[99:100], v[101:102], v[29:30], v[99:100]
	v_add_f64 v[27:28], v[27:28], -v[99:100]
	ds_read2_b64 v[99:102], v125 offset0:38 offset1:39
	s_waitcnt lgkmcnt(0)
	v_mul_f64 v[31:32], v[101:102], v[97:98]
	v_fma_f64 v[31:32], v[99:100], v[29:30], -v[31:32]
	v_mul_f64 v[99:100], v[99:100], v[97:98]
	v_add_f64 v[21:22], v[21:22], -v[31:32]
	v_fma_f64 v[99:100], v[101:102], v[29:30], v[99:100]
	v_add_f64 v[23:24], v[23:24], -v[99:100]
	ds_read2_b64 v[99:102], v125 offset0:40 offset1:41
	;; [unrolled: 8-line block ×7, first 2 shown]
	s_waitcnt lgkmcnt(0)
	v_mul_f64 v[31:32], v[101:102], v[97:98]
	v_fma_f64 v[31:32], v[99:100], v[29:30], -v[31:32]
	v_mul_f64 v[99:100], v[99:100], v[97:98]
	v_add_f64 v[73:74], v[73:74], -v[31:32]
	v_fma_f64 v[99:100], v[101:102], v[29:30], v[99:100]
	v_mov_b32_e32 v31, v97
	v_mov_b32_e32 v32, v98
	v_add_f64 v[75:76], v[75:76], -v[99:100]
.LBB51_163:
	s_or_b64 exec, exec, s[2:3]
	v_cmp_eq_u32_e32 vcc, 18, v0
	s_waitcnt vmcnt(0)
	s_barrier
	s_and_saveexec_b64 s[4:5], vcc
	s_cbranch_execz .LBB51_170
; %bb.164:
	ds_write2_b64 v127, v[25:26], v[27:28] offset1:1
	ds_write2_b64 v125, v[21:22], v[23:24] offset0:38 offset1:39
	ds_write2_b64 v125, v[17:18], v[19:20] offset0:40 offset1:41
	;; [unrolled: 1-line block ×7, first 2 shown]
	ds_read2_b64 v[97:100], v127 offset1:1
	s_waitcnt lgkmcnt(0)
	v_cmp_neq_f64_e32 vcc, 0, v[97:98]
	v_cmp_neq_f64_e64 s[2:3], 0, v[99:100]
	s_or_b64 s[2:3], vcc, s[2:3]
	s_and_b64 exec, exec, s[2:3]
	s_cbranch_execz .LBB51_170
; %bb.165:
	v_cmp_ngt_f64_e64 s[2:3], |v[97:98]|, |v[99:100]|
                                        ; implicit-def: $vgpr101_vgpr102
	s_and_saveexec_b64 s[6:7], s[2:3]
	s_xor_b64 s[2:3], exec, s[6:7]
                                        ; implicit-def: $vgpr103_vgpr104
	s_cbranch_execz .LBB51_167
; %bb.166:
	v_div_scale_f64 v[101:102], s[6:7], v[99:100], v[99:100], v[97:98]
	v_rcp_f64_e32 v[103:104], v[101:102]
	v_fma_f64 v[105:106], -v[101:102], v[103:104], 1.0
	v_fma_f64 v[103:104], v[103:104], v[105:106], v[103:104]
	v_div_scale_f64 v[105:106], vcc, v[97:98], v[99:100], v[97:98]
	v_fma_f64 v[107:108], -v[101:102], v[103:104], 1.0
	v_fma_f64 v[103:104], v[103:104], v[107:108], v[103:104]
	v_mul_f64 v[107:108], v[105:106], v[103:104]
	v_fma_f64 v[101:102], -v[101:102], v[107:108], v[105:106]
	v_div_fmas_f64 v[101:102], v[101:102], v[103:104], v[107:108]
	v_div_fixup_f64 v[101:102], v[101:102], v[99:100], v[97:98]
	v_fma_f64 v[97:98], v[97:98], v[101:102], v[99:100]
	v_div_scale_f64 v[99:100], s[6:7], v[97:98], v[97:98], 1.0
	v_div_scale_f64 v[107:108], vcc, 1.0, v[97:98], 1.0
	v_rcp_f64_e32 v[103:104], v[99:100]
	v_fma_f64 v[105:106], -v[99:100], v[103:104], 1.0
	v_fma_f64 v[103:104], v[103:104], v[105:106], v[103:104]
	v_fma_f64 v[105:106], -v[99:100], v[103:104], 1.0
	v_fma_f64 v[103:104], v[103:104], v[105:106], v[103:104]
	v_mul_f64 v[105:106], v[107:108], v[103:104]
	v_fma_f64 v[99:100], -v[99:100], v[105:106], v[107:108]
	v_div_fmas_f64 v[99:100], v[99:100], v[103:104], v[105:106]
	v_div_fixup_f64 v[103:104], v[99:100], v[97:98], 1.0
                                        ; implicit-def: $vgpr97_vgpr98
	v_mul_f64 v[101:102], v[101:102], v[103:104]
	v_xor_b32_e32 v104, 0x80000000, v104
.LBB51_167:
	s_andn2_saveexec_b64 s[2:3], s[2:3]
	s_cbranch_execz .LBB51_169
; %bb.168:
	v_div_scale_f64 v[101:102], s[6:7], v[97:98], v[97:98], v[99:100]
	v_rcp_f64_e32 v[103:104], v[101:102]
	v_fma_f64 v[105:106], -v[101:102], v[103:104], 1.0
	v_fma_f64 v[103:104], v[103:104], v[105:106], v[103:104]
	v_div_scale_f64 v[105:106], vcc, v[99:100], v[97:98], v[99:100]
	v_fma_f64 v[107:108], -v[101:102], v[103:104], 1.0
	v_fma_f64 v[103:104], v[103:104], v[107:108], v[103:104]
	v_mul_f64 v[107:108], v[105:106], v[103:104]
	v_fma_f64 v[101:102], -v[101:102], v[107:108], v[105:106]
	v_div_fmas_f64 v[101:102], v[101:102], v[103:104], v[107:108]
	v_div_fixup_f64 v[103:104], v[101:102], v[97:98], v[99:100]
	v_fma_f64 v[97:98], v[99:100], v[103:104], v[97:98]
	v_div_scale_f64 v[99:100], s[6:7], v[97:98], v[97:98], 1.0
	v_div_scale_f64 v[107:108], vcc, 1.0, v[97:98], 1.0
	v_rcp_f64_e32 v[101:102], v[99:100]
	v_fma_f64 v[105:106], -v[99:100], v[101:102], 1.0
	v_fma_f64 v[101:102], v[101:102], v[105:106], v[101:102]
	v_fma_f64 v[105:106], -v[99:100], v[101:102], 1.0
	v_fma_f64 v[101:102], v[101:102], v[105:106], v[101:102]
	v_mul_f64 v[105:106], v[107:108], v[101:102]
	v_fma_f64 v[99:100], -v[99:100], v[105:106], v[107:108]
	v_div_fmas_f64 v[99:100], v[99:100], v[101:102], v[105:106]
	v_div_fixup_f64 v[101:102], v[99:100], v[97:98], 1.0
	v_mul_f64 v[103:104], v[103:104], -v[101:102]
.LBB51_169:
	s_or_b64 exec, exec, s[2:3]
	ds_write2_b64 v127, v[101:102], v[103:104] offset1:1
.LBB51_170:
	s_or_b64 exec, exec, s[4:5]
	s_waitcnt lgkmcnt(0)
	s_barrier
	ds_read2_b64 v[87:90], v127 offset1:1
	v_cmp_lt_u32_e32 vcc, 18, v0
	s_waitcnt lgkmcnt(0)
	buffer_store_dword v87, off, s[20:23], 0 offset:560 ; 4-byte Folded Spill
	s_nop 0
	buffer_store_dword v88, off, s[20:23], 0 offset:564 ; 4-byte Folded Spill
	buffer_store_dword v89, off, s[20:23], 0 offset:568 ; 4-byte Folded Spill
	;; [unrolled: 1-line block ×3, first 2 shown]
	s_and_saveexec_b64 s[2:3], vcc
	s_cbranch_execz .LBB51_172
; %bb.171:
	buffer_load_dword v87, off, s[20:23], 0 offset:560 ; 4-byte Folded Reload
	buffer_load_dword v88, off, s[20:23], 0 offset:564 ; 4-byte Folded Reload
	;; [unrolled: 1-line block ×4, first 2 shown]
	ds_read2_b64 v[99:102], v125 offset0:38 offset1:39
	s_waitcnt vmcnt(2)
	v_mul_f64 v[97:98], v[87:88], v[27:28]
	s_waitcnt vmcnt(0)
	v_mul_f64 v[27:28], v[89:90], v[27:28]
	v_fma_f64 v[97:98], v[89:90], v[25:26], v[97:98]
	v_fma_f64 v[25:26], v[87:88], v[25:26], -v[27:28]
	s_waitcnt lgkmcnt(0)
	v_mul_f64 v[27:28], v[101:102], v[97:98]
	v_fma_f64 v[27:28], v[99:100], v[25:26], -v[27:28]
	v_mul_f64 v[99:100], v[99:100], v[97:98]
	v_add_f64 v[21:22], v[21:22], -v[27:28]
	v_fma_f64 v[99:100], v[101:102], v[25:26], v[99:100]
	v_add_f64 v[23:24], v[23:24], -v[99:100]
	ds_read2_b64 v[99:102], v125 offset0:40 offset1:41
	s_waitcnt lgkmcnt(0)
	v_mul_f64 v[27:28], v[101:102], v[97:98]
	v_fma_f64 v[27:28], v[99:100], v[25:26], -v[27:28]
	v_mul_f64 v[99:100], v[99:100], v[97:98]
	v_add_f64 v[17:18], v[17:18], -v[27:28]
	v_fma_f64 v[99:100], v[101:102], v[25:26], v[99:100]
	v_add_f64 v[19:20], v[19:20], -v[99:100]
	ds_read2_b64 v[99:102], v125 offset0:42 offset1:43
	;; [unrolled: 8-line block ×6, first 2 shown]
	s_waitcnt lgkmcnt(0)
	v_mul_f64 v[27:28], v[101:102], v[97:98]
	v_fma_f64 v[27:28], v[99:100], v[25:26], -v[27:28]
	v_mul_f64 v[99:100], v[99:100], v[97:98]
	v_add_f64 v[73:74], v[73:74], -v[27:28]
	v_fma_f64 v[99:100], v[101:102], v[25:26], v[99:100]
	v_mov_b32_e32 v27, v97
	v_mov_b32_e32 v28, v98
	v_add_f64 v[75:76], v[75:76], -v[99:100]
.LBB51_172:
	s_or_b64 exec, exec, s[2:3]
	v_cmp_eq_u32_e32 vcc, 19, v0
	s_waitcnt vmcnt(0)
	s_barrier
	s_and_saveexec_b64 s[4:5], vcc
	s_cbranch_execz .LBB51_179
; %bb.173:
	ds_write2_b64 v127, v[21:22], v[23:24] offset1:1
	ds_write2_b64 v125, v[17:18], v[19:20] offset0:40 offset1:41
	ds_write2_b64 v125, v[13:14], v[15:16] offset0:42 offset1:43
	;; [unrolled: 1-line block ×6, first 2 shown]
	ds_read2_b64 v[97:100], v127 offset1:1
	s_waitcnt lgkmcnt(0)
	v_cmp_neq_f64_e32 vcc, 0, v[97:98]
	v_cmp_neq_f64_e64 s[2:3], 0, v[99:100]
	s_or_b64 s[2:3], vcc, s[2:3]
	s_and_b64 exec, exec, s[2:3]
	s_cbranch_execz .LBB51_179
; %bb.174:
	v_cmp_ngt_f64_e64 s[2:3], |v[97:98]|, |v[99:100]|
                                        ; implicit-def: $vgpr101_vgpr102
	s_and_saveexec_b64 s[6:7], s[2:3]
	s_xor_b64 s[2:3], exec, s[6:7]
                                        ; implicit-def: $vgpr103_vgpr104
	s_cbranch_execz .LBB51_176
; %bb.175:
	v_div_scale_f64 v[101:102], s[6:7], v[99:100], v[99:100], v[97:98]
	v_rcp_f64_e32 v[103:104], v[101:102]
	v_fma_f64 v[105:106], -v[101:102], v[103:104], 1.0
	v_fma_f64 v[103:104], v[103:104], v[105:106], v[103:104]
	v_div_scale_f64 v[105:106], vcc, v[97:98], v[99:100], v[97:98]
	v_fma_f64 v[107:108], -v[101:102], v[103:104], 1.0
	v_fma_f64 v[103:104], v[103:104], v[107:108], v[103:104]
	v_mul_f64 v[107:108], v[105:106], v[103:104]
	v_fma_f64 v[101:102], -v[101:102], v[107:108], v[105:106]
	v_div_fmas_f64 v[101:102], v[101:102], v[103:104], v[107:108]
	v_div_fixup_f64 v[101:102], v[101:102], v[99:100], v[97:98]
	v_fma_f64 v[97:98], v[97:98], v[101:102], v[99:100]
	v_div_scale_f64 v[99:100], s[6:7], v[97:98], v[97:98], 1.0
	v_div_scale_f64 v[107:108], vcc, 1.0, v[97:98], 1.0
	v_rcp_f64_e32 v[103:104], v[99:100]
	v_fma_f64 v[105:106], -v[99:100], v[103:104], 1.0
	v_fma_f64 v[103:104], v[103:104], v[105:106], v[103:104]
	v_fma_f64 v[105:106], -v[99:100], v[103:104], 1.0
	v_fma_f64 v[103:104], v[103:104], v[105:106], v[103:104]
	v_mul_f64 v[105:106], v[107:108], v[103:104]
	v_fma_f64 v[99:100], -v[99:100], v[105:106], v[107:108]
	v_div_fmas_f64 v[99:100], v[99:100], v[103:104], v[105:106]
	v_div_fixup_f64 v[103:104], v[99:100], v[97:98], 1.0
                                        ; implicit-def: $vgpr97_vgpr98
	v_mul_f64 v[101:102], v[101:102], v[103:104]
	v_xor_b32_e32 v104, 0x80000000, v104
.LBB51_176:
	s_andn2_saveexec_b64 s[2:3], s[2:3]
	s_cbranch_execz .LBB51_178
; %bb.177:
	v_div_scale_f64 v[101:102], s[6:7], v[97:98], v[97:98], v[99:100]
	v_rcp_f64_e32 v[103:104], v[101:102]
	v_fma_f64 v[105:106], -v[101:102], v[103:104], 1.0
	v_fma_f64 v[103:104], v[103:104], v[105:106], v[103:104]
	v_div_scale_f64 v[105:106], vcc, v[99:100], v[97:98], v[99:100]
	v_fma_f64 v[107:108], -v[101:102], v[103:104], 1.0
	v_fma_f64 v[103:104], v[103:104], v[107:108], v[103:104]
	v_mul_f64 v[107:108], v[105:106], v[103:104]
	v_fma_f64 v[101:102], -v[101:102], v[107:108], v[105:106]
	v_div_fmas_f64 v[101:102], v[101:102], v[103:104], v[107:108]
	v_div_fixup_f64 v[103:104], v[101:102], v[97:98], v[99:100]
	v_fma_f64 v[97:98], v[99:100], v[103:104], v[97:98]
	v_div_scale_f64 v[99:100], s[6:7], v[97:98], v[97:98], 1.0
	v_div_scale_f64 v[107:108], vcc, 1.0, v[97:98], 1.0
	v_rcp_f64_e32 v[101:102], v[99:100]
	v_fma_f64 v[105:106], -v[99:100], v[101:102], 1.0
	v_fma_f64 v[101:102], v[101:102], v[105:106], v[101:102]
	v_fma_f64 v[105:106], -v[99:100], v[101:102], 1.0
	v_fma_f64 v[101:102], v[101:102], v[105:106], v[101:102]
	v_mul_f64 v[105:106], v[107:108], v[101:102]
	v_fma_f64 v[99:100], -v[99:100], v[105:106], v[107:108]
	v_div_fmas_f64 v[99:100], v[99:100], v[101:102], v[105:106]
	v_div_fixup_f64 v[101:102], v[99:100], v[97:98], 1.0
	v_mul_f64 v[103:104], v[103:104], -v[101:102]
.LBB51_178:
	s_or_b64 exec, exec, s[2:3]
	ds_write2_b64 v127, v[101:102], v[103:104] offset1:1
.LBB51_179:
	s_or_b64 exec, exec, s[4:5]
	s_waitcnt lgkmcnt(0)
	s_barrier
	ds_read2_b64 v[87:90], v127 offset1:1
	v_cmp_lt_u32_e32 vcc, 19, v0
	s_waitcnt lgkmcnt(0)
	buffer_store_dword v87, off, s[20:23], 0 offset:576 ; 4-byte Folded Spill
	s_nop 0
	buffer_store_dword v88, off, s[20:23], 0 offset:580 ; 4-byte Folded Spill
	buffer_store_dword v89, off, s[20:23], 0 offset:584 ; 4-byte Folded Spill
	;; [unrolled: 1-line block ×3, first 2 shown]
	s_and_saveexec_b64 s[2:3], vcc
	s_cbranch_execz .LBB51_181
; %bb.180:
	buffer_load_dword v87, off, s[20:23], 0 offset:576 ; 4-byte Folded Reload
	buffer_load_dword v88, off, s[20:23], 0 offset:580 ; 4-byte Folded Reload
	;; [unrolled: 1-line block ×4, first 2 shown]
	ds_read2_b64 v[99:102], v125 offset0:40 offset1:41
	s_waitcnt vmcnt(2)
	v_mul_f64 v[97:98], v[87:88], v[23:24]
	s_waitcnt vmcnt(0)
	v_mul_f64 v[23:24], v[89:90], v[23:24]
	v_fma_f64 v[97:98], v[89:90], v[21:22], v[97:98]
	v_fma_f64 v[21:22], v[87:88], v[21:22], -v[23:24]
	s_waitcnt lgkmcnt(0)
	v_mul_f64 v[23:24], v[101:102], v[97:98]
	v_fma_f64 v[23:24], v[99:100], v[21:22], -v[23:24]
	v_mul_f64 v[99:100], v[99:100], v[97:98]
	v_add_f64 v[17:18], v[17:18], -v[23:24]
	v_fma_f64 v[99:100], v[101:102], v[21:22], v[99:100]
	v_add_f64 v[19:20], v[19:20], -v[99:100]
	ds_read2_b64 v[99:102], v125 offset0:42 offset1:43
	s_waitcnt lgkmcnt(0)
	v_mul_f64 v[23:24], v[101:102], v[97:98]
	v_fma_f64 v[23:24], v[99:100], v[21:22], -v[23:24]
	v_mul_f64 v[99:100], v[99:100], v[97:98]
	v_add_f64 v[13:14], v[13:14], -v[23:24]
	v_fma_f64 v[99:100], v[101:102], v[21:22], v[99:100]
	v_add_f64 v[15:16], v[15:16], -v[99:100]
	ds_read2_b64 v[99:102], v125 offset0:44 offset1:45
	;; [unrolled: 8-line block ×5, first 2 shown]
	s_waitcnt lgkmcnt(0)
	v_mul_f64 v[23:24], v[101:102], v[97:98]
	v_fma_f64 v[23:24], v[99:100], v[21:22], -v[23:24]
	v_mul_f64 v[99:100], v[99:100], v[97:98]
	v_add_f64 v[73:74], v[73:74], -v[23:24]
	v_fma_f64 v[99:100], v[101:102], v[21:22], v[99:100]
	v_mov_b32_e32 v23, v97
	v_mov_b32_e32 v24, v98
	v_add_f64 v[75:76], v[75:76], -v[99:100]
.LBB51_181:
	s_or_b64 exec, exec, s[2:3]
	v_cmp_eq_u32_e32 vcc, 20, v0
	s_waitcnt vmcnt(0)
	s_barrier
	s_and_saveexec_b64 s[4:5], vcc
	s_cbranch_execz .LBB51_188
; %bb.182:
	ds_write2_b64 v127, v[17:18], v[19:20] offset1:1
	ds_write2_b64 v125, v[13:14], v[15:16] offset0:42 offset1:43
	ds_write2_b64 v125, v[9:10], v[11:12] offset0:44 offset1:45
	;; [unrolled: 1-line block ×5, first 2 shown]
	ds_read2_b64 v[97:100], v127 offset1:1
	s_waitcnt lgkmcnt(0)
	v_cmp_neq_f64_e32 vcc, 0, v[97:98]
	v_cmp_neq_f64_e64 s[2:3], 0, v[99:100]
	s_or_b64 s[2:3], vcc, s[2:3]
	s_and_b64 exec, exec, s[2:3]
	s_cbranch_execz .LBB51_188
; %bb.183:
	v_cmp_ngt_f64_e64 s[2:3], |v[97:98]|, |v[99:100]|
                                        ; implicit-def: $vgpr101_vgpr102
	s_and_saveexec_b64 s[6:7], s[2:3]
	s_xor_b64 s[2:3], exec, s[6:7]
                                        ; implicit-def: $vgpr103_vgpr104
	s_cbranch_execz .LBB51_185
; %bb.184:
	v_div_scale_f64 v[101:102], s[6:7], v[99:100], v[99:100], v[97:98]
	v_rcp_f64_e32 v[103:104], v[101:102]
	v_fma_f64 v[105:106], -v[101:102], v[103:104], 1.0
	v_fma_f64 v[103:104], v[103:104], v[105:106], v[103:104]
	v_div_scale_f64 v[105:106], vcc, v[97:98], v[99:100], v[97:98]
	v_fma_f64 v[107:108], -v[101:102], v[103:104], 1.0
	v_fma_f64 v[103:104], v[103:104], v[107:108], v[103:104]
	v_mul_f64 v[107:108], v[105:106], v[103:104]
	v_fma_f64 v[101:102], -v[101:102], v[107:108], v[105:106]
	v_div_fmas_f64 v[101:102], v[101:102], v[103:104], v[107:108]
	v_div_fixup_f64 v[101:102], v[101:102], v[99:100], v[97:98]
	v_fma_f64 v[97:98], v[97:98], v[101:102], v[99:100]
	v_div_scale_f64 v[99:100], s[6:7], v[97:98], v[97:98], 1.0
	v_div_scale_f64 v[107:108], vcc, 1.0, v[97:98], 1.0
	v_rcp_f64_e32 v[103:104], v[99:100]
	v_fma_f64 v[105:106], -v[99:100], v[103:104], 1.0
	v_fma_f64 v[103:104], v[103:104], v[105:106], v[103:104]
	v_fma_f64 v[105:106], -v[99:100], v[103:104], 1.0
	v_fma_f64 v[103:104], v[103:104], v[105:106], v[103:104]
	v_mul_f64 v[105:106], v[107:108], v[103:104]
	v_fma_f64 v[99:100], -v[99:100], v[105:106], v[107:108]
	v_div_fmas_f64 v[99:100], v[99:100], v[103:104], v[105:106]
	v_div_fixup_f64 v[103:104], v[99:100], v[97:98], 1.0
                                        ; implicit-def: $vgpr97_vgpr98
	v_mul_f64 v[101:102], v[101:102], v[103:104]
	v_xor_b32_e32 v104, 0x80000000, v104
.LBB51_185:
	s_andn2_saveexec_b64 s[2:3], s[2:3]
	s_cbranch_execz .LBB51_187
; %bb.186:
	v_div_scale_f64 v[101:102], s[6:7], v[97:98], v[97:98], v[99:100]
	v_rcp_f64_e32 v[103:104], v[101:102]
	v_fma_f64 v[105:106], -v[101:102], v[103:104], 1.0
	v_fma_f64 v[103:104], v[103:104], v[105:106], v[103:104]
	v_div_scale_f64 v[105:106], vcc, v[99:100], v[97:98], v[99:100]
	v_fma_f64 v[107:108], -v[101:102], v[103:104], 1.0
	v_fma_f64 v[103:104], v[103:104], v[107:108], v[103:104]
	v_mul_f64 v[107:108], v[105:106], v[103:104]
	v_fma_f64 v[101:102], -v[101:102], v[107:108], v[105:106]
	v_div_fmas_f64 v[101:102], v[101:102], v[103:104], v[107:108]
	v_div_fixup_f64 v[103:104], v[101:102], v[97:98], v[99:100]
	v_fma_f64 v[97:98], v[99:100], v[103:104], v[97:98]
	v_div_scale_f64 v[99:100], s[6:7], v[97:98], v[97:98], 1.0
	v_div_scale_f64 v[107:108], vcc, 1.0, v[97:98], 1.0
	v_rcp_f64_e32 v[101:102], v[99:100]
	v_fma_f64 v[105:106], -v[99:100], v[101:102], 1.0
	v_fma_f64 v[101:102], v[101:102], v[105:106], v[101:102]
	v_fma_f64 v[105:106], -v[99:100], v[101:102], 1.0
	v_fma_f64 v[101:102], v[101:102], v[105:106], v[101:102]
	v_mul_f64 v[105:106], v[107:108], v[101:102]
	v_fma_f64 v[99:100], -v[99:100], v[105:106], v[107:108]
	v_div_fmas_f64 v[99:100], v[99:100], v[101:102], v[105:106]
	v_div_fixup_f64 v[101:102], v[99:100], v[97:98], 1.0
	v_mul_f64 v[103:104], v[103:104], -v[101:102]
.LBB51_187:
	s_or_b64 exec, exec, s[2:3]
	ds_write2_b64 v127, v[101:102], v[103:104] offset1:1
.LBB51_188:
	s_or_b64 exec, exec, s[4:5]
	s_waitcnt lgkmcnt(0)
	s_barrier
	ds_read2_b64 v[105:108], v127 offset1:1
	v_cmp_lt_u32_e32 vcc, 20, v0
	s_and_saveexec_b64 s[2:3], vcc
	s_cbranch_execz .LBB51_190
; %bb.189:
	s_waitcnt lgkmcnt(0)
	v_mul_f64 v[97:98], v[105:106], v[19:20]
	v_mul_f64 v[19:20], v[107:108], v[19:20]
	v_fma_f64 v[101:102], v[107:108], v[17:18], v[97:98]
	ds_read2_b64 v[97:100], v125 offset0:42 offset1:43
	v_fma_f64 v[17:18], v[105:106], v[17:18], -v[19:20]
	s_waitcnt lgkmcnt(0)
	v_mul_f64 v[19:20], v[99:100], v[101:102]
	v_fma_f64 v[19:20], v[97:98], v[17:18], -v[19:20]
	v_mul_f64 v[97:98], v[97:98], v[101:102]
	v_add_f64 v[13:14], v[13:14], -v[19:20]
	v_fma_f64 v[97:98], v[99:100], v[17:18], v[97:98]
	v_add_f64 v[15:16], v[15:16], -v[97:98]
	ds_read2_b64 v[97:100], v125 offset0:44 offset1:45
	s_waitcnt lgkmcnt(0)
	v_mul_f64 v[19:20], v[99:100], v[101:102]
	v_fma_f64 v[19:20], v[97:98], v[17:18], -v[19:20]
	v_mul_f64 v[97:98], v[97:98], v[101:102]
	v_add_f64 v[9:10], v[9:10], -v[19:20]
	v_fma_f64 v[97:98], v[99:100], v[17:18], v[97:98]
	v_add_f64 v[11:12], v[11:12], -v[97:98]
	ds_read2_b64 v[97:100], v125 offset0:46 offset1:47
	;; [unrolled: 8-line block ×4, first 2 shown]
	s_waitcnt lgkmcnt(0)
	v_mul_f64 v[19:20], v[99:100], v[101:102]
	v_fma_f64 v[19:20], v[97:98], v[17:18], -v[19:20]
	v_mul_f64 v[97:98], v[97:98], v[101:102]
	v_add_f64 v[73:74], v[73:74], -v[19:20]
	v_fma_f64 v[97:98], v[99:100], v[17:18], v[97:98]
	v_mov_b32_e32 v19, v101
	v_mov_b32_e32 v20, v102
	v_add_f64 v[75:76], v[75:76], -v[97:98]
.LBB51_190:
	s_or_b64 exec, exec, s[2:3]
	v_cmp_eq_u32_e32 vcc, 21, v0
	s_waitcnt lgkmcnt(0)
	s_barrier
	s_and_saveexec_b64 s[4:5], vcc
	s_cbranch_execz .LBB51_197
; %bb.191:
	ds_write2_b64 v127, v[13:14], v[15:16] offset1:1
	ds_write2_b64 v125, v[9:10], v[11:12] offset0:44 offset1:45
	ds_write2_b64 v125, v[5:6], v[7:8] offset0:46 offset1:47
	;; [unrolled: 1-line block ×4, first 2 shown]
	ds_read2_b64 v[97:100], v127 offset1:1
	s_waitcnt lgkmcnt(0)
	v_cmp_neq_f64_e32 vcc, 0, v[97:98]
	v_cmp_neq_f64_e64 s[2:3], 0, v[99:100]
	s_or_b64 s[2:3], vcc, s[2:3]
	s_and_b64 exec, exec, s[2:3]
	s_cbranch_execz .LBB51_197
; %bb.192:
	v_cmp_ngt_f64_e64 s[2:3], |v[97:98]|, |v[99:100]|
                                        ; implicit-def: $vgpr101_vgpr102
	s_and_saveexec_b64 s[6:7], s[2:3]
	s_xor_b64 s[2:3], exec, s[6:7]
                                        ; implicit-def: $vgpr103_vgpr104
	s_cbranch_execz .LBB51_194
; %bb.193:
	v_div_scale_f64 v[101:102], s[6:7], v[99:100], v[99:100], v[97:98]
	v_rcp_f64_e32 v[103:104], v[101:102]
	v_fma_f64 v[109:110], -v[101:102], v[103:104], 1.0
	v_fma_f64 v[103:104], v[103:104], v[109:110], v[103:104]
	v_div_scale_f64 v[109:110], vcc, v[97:98], v[99:100], v[97:98]
	v_fma_f64 v[111:112], -v[101:102], v[103:104], 1.0
	v_fma_f64 v[103:104], v[103:104], v[111:112], v[103:104]
	v_mul_f64 v[111:112], v[109:110], v[103:104]
	v_fma_f64 v[101:102], -v[101:102], v[111:112], v[109:110]
	v_div_fmas_f64 v[101:102], v[101:102], v[103:104], v[111:112]
	v_div_fixup_f64 v[101:102], v[101:102], v[99:100], v[97:98]
	v_fma_f64 v[97:98], v[97:98], v[101:102], v[99:100]
	v_div_scale_f64 v[99:100], s[6:7], v[97:98], v[97:98], 1.0
	v_div_scale_f64 v[111:112], vcc, 1.0, v[97:98], 1.0
	v_rcp_f64_e32 v[103:104], v[99:100]
	v_fma_f64 v[109:110], -v[99:100], v[103:104], 1.0
	v_fma_f64 v[103:104], v[103:104], v[109:110], v[103:104]
	v_fma_f64 v[109:110], -v[99:100], v[103:104], 1.0
	v_fma_f64 v[103:104], v[103:104], v[109:110], v[103:104]
	v_mul_f64 v[109:110], v[111:112], v[103:104]
	v_fma_f64 v[99:100], -v[99:100], v[109:110], v[111:112]
	v_div_fmas_f64 v[99:100], v[99:100], v[103:104], v[109:110]
	v_div_fixup_f64 v[103:104], v[99:100], v[97:98], 1.0
                                        ; implicit-def: $vgpr97_vgpr98
	v_mul_f64 v[101:102], v[101:102], v[103:104]
	v_xor_b32_e32 v104, 0x80000000, v104
.LBB51_194:
	s_andn2_saveexec_b64 s[2:3], s[2:3]
	s_cbranch_execz .LBB51_196
; %bb.195:
	v_div_scale_f64 v[101:102], s[6:7], v[97:98], v[97:98], v[99:100]
	v_rcp_f64_e32 v[103:104], v[101:102]
	v_fma_f64 v[109:110], -v[101:102], v[103:104], 1.0
	v_fma_f64 v[103:104], v[103:104], v[109:110], v[103:104]
	v_div_scale_f64 v[109:110], vcc, v[99:100], v[97:98], v[99:100]
	v_fma_f64 v[111:112], -v[101:102], v[103:104], 1.0
	v_fma_f64 v[103:104], v[103:104], v[111:112], v[103:104]
	v_mul_f64 v[111:112], v[109:110], v[103:104]
	v_fma_f64 v[101:102], -v[101:102], v[111:112], v[109:110]
	v_div_fmas_f64 v[101:102], v[101:102], v[103:104], v[111:112]
	v_div_fixup_f64 v[103:104], v[101:102], v[97:98], v[99:100]
	v_fma_f64 v[97:98], v[99:100], v[103:104], v[97:98]
	v_div_scale_f64 v[99:100], s[6:7], v[97:98], v[97:98], 1.0
	v_div_scale_f64 v[111:112], vcc, 1.0, v[97:98], 1.0
	v_rcp_f64_e32 v[101:102], v[99:100]
	v_fma_f64 v[109:110], -v[99:100], v[101:102], 1.0
	v_fma_f64 v[101:102], v[101:102], v[109:110], v[101:102]
	v_fma_f64 v[109:110], -v[99:100], v[101:102], 1.0
	v_fma_f64 v[101:102], v[101:102], v[109:110], v[101:102]
	v_mul_f64 v[109:110], v[111:112], v[101:102]
	v_fma_f64 v[99:100], -v[99:100], v[109:110], v[111:112]
	v_div_fmas_f64 v[99:100], v[99:100], v[101:102], v[109:110]
	v_div_fixup_f64 v[101:102], v[99:100], v[97:98], 1.0
	v_mul_f64 v[103:104], v[103:104], -v[101:102]
.LBB51_196:
	s_or_b64 exec, exec, s[2:3]
	ds_write2_b64 v127, v[101:102], v[103:104] offset1:1
.LBB51_197:
	s_or_b64 exec, exec, s[4:5]
	s_waitcnt lgkmcnt(0)
	s_barrier
	ds_read2_b64 v[109:112], v127 offset1:1
	v_cmp_lt_u32_e32 vcc, 21, v0
	s_and_saveexec_b64 s[2:3], vcc
	s_cbranch_execz .LBB51_199
; %bb.198:
	s_waitcnt lgkmcnt(0)
	v_mul_f64 v[97:98], v[109:110], v[15:16]
	v_mul_f64 v[15:16], v[111:112], v[15:16]
	v_fma_f64 v[101:102], v[111:112], v[13:14], v[97:98]
	ds_read2_b64 v[97:100], v125 offset0:44 offset1:45
	v_fma_f64 v[13:14], v[109:110], v[13:14], -v[15:16]
	s_waitcnt lgkmcnt(0)
	v_mul_f64 v[15:16], v[99:100], v[101:102]
	v_fma_f64 v[15:16], v[97:98], v[13:14], -v[15:16]
	v_mul_f64 v[97:98], v[97:98], v[101:102]
	v_add_f64 v[9:10], v[9:10], -v[15:16]
	v_fma_f64 v[97:98], v[99:100], v[13:14], v[97:98]
	v_add_f64 v[11:12], v[11:12], -v[97:98]
	ds_read2_b64 v[97:100], v125 offset0:46 offset1:47
	s_waitcnt lgkmcnt(0)
	v_mul_f64 v[15:16], v[99:100], v[101:102]
	v_fma_f64 v[15:16], v[97:98], v[13:14], -v[15:16]
	v_mul_f64 v[97:98], v[97:98], v[101:102]
	v_add_f64 v[5:6], v[5:6], -v[15:16]
	v_fma_f64 v[97:98], v[99:100], v[13:14], v[97:98]
	v_add_f64 v[7:8], v[7:8], -v[97:98]
	ds_read2_b64 v[97:100], v125 offset0:48 offset1:49
	;; [unrolled: 8-line block ×3, first 2 shown]
	s_waitcnt lgkmcnt(0)
	v_mul_f64 v[15:16], v[99:100], v[101:102]
	v_fma_f64 v[15:16], v[97:98], v[13:14], -v[15:16]
	v_mul_f64 v[97:98], v[97:98], v[101:102]
	v_add_f64 v[73:74], v[73:74], -v[15:16]
	v_fma_f64 v[97:98], v[99:100], v[13:14], v[97:98]
	v_mov_b32_e32 v15, v101
	v_mov_b32_e32 v16, v102
	v_add_f64 v[75:76], v[75:76], -v[97:98]
.LBB51_199:
	s_or_b64 exec, exec, s[2:3]
	v_cmp_eq_u32_e32 vcc, 22, v0
	s_waitcnt lgkmcnt(0)
	s_barrier
	s_and_saveexec_b64 s[4:5], vcc
	s_cbranch_execz .LBB51_206
; %bb.200:
	ds_write2_b64 v127, v[9:10], v[11:12] offset1:1
	ds_write2_b64 v125, v[5:6], v[7:8] offset0:46 offset1:47
	ds_write2_b64 v125, v[1:2], v[3:4] offset0:48 offset1:49
	ds_write2_b64 v125, v[73:74], v[75:76] offset0:50 offset1:51
	ds_read2_b64 v[97:100], v127 offset1:1
	s_waitcnt lgkmcnt(0)
	v_cmp_neq_f64_e32 vcc, 0, v[97:98]
	v_cmp_neq_f64_e64 s[2:3], 0, v[99:100]
	s_or_b64 s[2:3], vcc, s[2:3]
	s_and_b64 exec, exec, s[2:3]
	s_cbranch_execz .LBB51_206
; %bb.201:
	v_cmp_ngt_f64_e64 s[2:3], |v[97:98]|, |v[99:100]|
                                        ; implicit-def: $vgpr101_vgpr102
	s_and_saveexec_b64 s[6:7], s[2:3]
	s_xor_b64 s[2:3], exec, s[6:7]
                                        ; implicit-def: $vgpr103_vgpr104
	s_cbranch_execz .LBB51_203
; %bb.202:
	v_div_scale_f64 v[101:102], s[6:7], v[99:100], v[99:100], v[97:98]
	v_rcp_f64_e32 v[103:104], v[101:102]
	v_fma_f64 v[113:114], -v[101:102], v[103:104], 1.0
	v_fma_f64 v[103:104], v[103:104], v[113:114], v[103:104]
	v_div_scale_f64 v[113:114], vcc, v[97:98], v[99:100], v[97:98]
	v_fma_f64 v[115:116], -v[101:102], v[103:104], 1.0
	v_fma_f64 v[103:104], v[103:104], v[115:116], v[103:104]
	v_mul_f64 v[115:116], v[113:114], v[103:104]
	v_fma_f64 v[101:102], -v[101:102], v[115:116], v[113:114]
	v_div_fmas_f64 v[101:102], v[101:102], v[103:104], v[115:116]
	v_div_fixup_f64 v[101:102], v[101:102], v[99:100], v[97:98]
	v_fma_f64 v[97:98], v[97:98], v[101:102], v[99:100]
	v_div_scale_f64 v[99:100], s[6:7], v[97:98], v[97:98], 1.0
	v_div_scale_f64 v[115:116], vcc, 1.0, v[97:98], 1.0
	v_rcp_f64_e32 v[103:104], v[99:100]
	v_fma_f64 v[113:114], -v[99:100], v[103:104], 1.0
	v_fma_f64 v[103:104], v[103:104], v[113:114], v[103:104]
	v_fma_f64 v[113:114], -v[99:100], v[103:104], 1.0
	v_fma_f64 v[103:104], v[103:104], v[113:114], v[103:104]
	v_mul_f64 v[113:114], v[115:116], v[103:104]
	v_fma_f64 v[99:100], -v[99:100], v[113:114], v[115:116]
	v_div_fmas_f64 v[99:100], v[99:100], v[103:104], v[113:114]
	v_div_fixup_f64 v[103:104], v[99:100], v[97:98], 1.0
                                        ; implicit-def: $vgpr97_vgpr98
	v_mul_f64 v[101:102], v[101:102], v[103:104]
	v_xor_b32_e32 v104, 0x80000000, v104
.LBB51_203:
	s_andn2_saveexec_b64 s[2:3], s[2:3]
	s_cbranch_execz .LBB51_205
; %bb.204:
	v_div_scale_f64 v[101:102], s[6:7], v[97:98], v[97:98], v[99:100]
	v_rcp_f64_e32 v[103:104], v[101:102]
	v_fma_f64 v[113:114], -v[101:102], v[103:104], 1.0
	v_fma_f64 v[103:104], v[103:104], v[113:114], v[103:104]
	v_div_scale_f64 v[113:114], vcc, v[99:100], v[97:98], v[99:100]
	v_fma_f64 v[115:116], -v[101:102], v[103:104], 1.0
	v_fma_f64 v[103:104], v[103:104], v[115:116], v[103:104]
	v_mul_f64 v[115:116], v[113:114], v[103:104]
	v_fma_f64 v[101:102], -v[101:102], v[115:116], v[113:114]
	v_div_fmas_f64 v[101:102], v[101:102], v[103:104], v[115:116]
	v_div_fixup_f64 v[103:104], v[101:102], v[97:98], v[99:100]
	v_fma_f64 v[97:98], v[99:100], v[103:104], v[97:98]
	v_div_scale_f64 v[99:100], s[6:7], v[97:98], v[97:98], 1.0
	v_div_scale_f64 v[115:116], vcc, 1.0, v[97:98], 1.0
	v_rcp_f64_e32 v[101:102], v[99:100]
	v_fma_f64 v[113:114], -v[99:100], v[101:102], 1.0
	v_fma_f64 v[101:102], v[101:102], v[113:114], v[101:102]
	v_fma_f64 v[113:114], -v[99:100], v[101:102], 1.0
	v_fma_f64 v[101:102], v[101:102], v[113:114], v[101:102]
	v_mul_f64 v[113:114], v[115:116], v[101:102]
	v_fma_f64 v[99:100], -v[99:100], v[113:114], v[115:116]
	v_div_fmas_f64 v[99:100], v[99:100], v[101:102], v[113:114]
	v_div_fixup_f64 v[101:102], v[99:100], v[97:98], 1.0
	v_mul_f64 v[103:104], v[103:104], -v[101:102]
.LBB51_205:
	s_or_b64 exec, exec, s[2:3]
	ds_write2_b64 v127, v[101:102], v[103:104] offset1:1
.LBB51_206:
	s_or_b64 exec, exec, s[4:5]
	s_waitcnt lgkmcnt(0)
	s_barrier
	ds_read2_b64 v[113:116], v127 offset1:1
	v_cmp_lt_u32_e32 vcc, 22, v0
	s_and_saveexec_b64 s[2:3], vcc
	s_cbranch_execz .LBB51_208
; %bb.207:
	s_waitcnt lgkmcnt(0)
	v_mul_f64 v[97:98], v[113:114], v[11:12]
	v_mul_f64 v[11:12], v[115:116], v[11:12]
	v_fma_f64 v[101:102], v[115:116], v[9:10], v[97:98]
	ds_read2_b64 v[97:100], v125 offset0:46 offset1:47
	v_fma_f64 v[9:10], v[113:114], v[9:10], -v[11:12]
	s_waitcnt lgkmcnt(0)
	v_mul_f64 v[11:12], v[99:100], v[101:102]
	v_fma_f64 v[11:12], v[97:98], v[9:10], -v[11:12]
	v_mul_f64 v[97:98], v[97:98], v[101:102]
	v_add_f64 v[5:6], v[5:6], -v[11:12]
	v_fma_f64 v[97:98], v[99:100], v[9:10], v[97:98]
	v_add_f64 v[7:8], v[7:8], -v[97:98]
	ds_read2_b64 v[97:100], v125 offset0:48 offset1:49
	s_waitcnt lgkmcnt(0)
	v_mul_f64 v[11:12], v[99:100], v[101:102]
	v_fma_f64 v[11:12], v[97:98], v[9:10], -v[11:12]
	v_mul_f64 v[97:98], v[97:98], v[101:102]
	v_add_f64 v[1:2], v[1:2], -v[11:12]
	v_fma_f64 v[97:98], v[99:100], v[9:10], v[97:98]
	v_add_f64 v[3:4], v[3:4], -v[97:98]
	ds_read2_b64 v[97:100], v125 offset0:50 offset1:51
	s_waitcnt lgkmcnt(0)
	v_mul_f64 v[11:12], v[99:100], v[101:102]
	v_fma_f64 v[11:12], v[97:98], v[9:10], -v[11:12]
	v_mul_f64 v[97:98], v[97:98], v[101:102]
	v_add_f64 v[73:74], v[73:74], -v[11:12]
	v_fma_f64 v[97:98], v[99:100], v[9:10], v[97:98]
	v_mov_b32_e32 v11, v101
	v_mov_b32_e32 v12, v102
	v_add_f64 v[75:76], v[75:76], -v[97:98]
.LBB51_208:
	s_or_b64 exec, exec, s[2:3]
	v_cmp_eq_u32_e32 vcc, 23, v0
	s_waitcnt lgkmcnt(0)
	s_barrier
	s_and_saveexec_b64 s[4:5], vcc
	s_cbranch_execz .LBB51_215
; %bb.209:
	ds_write2_b64 v127, v[5:6], v[7:8] offset1:1
	ds_write2_b64 v125, v[1:2], v[3:4] offset0:48 offset1:49
	ds_write2_b64 v125, v[73:74], v[75:76] offset0:50 offset1:51
	ds_read2_b64 v[97:100], v127 offset1:1
	s_waitcnt lgkmcnt(0)
	v_cmp_neq_f64_e32 vcc, 0, v[97:98]
	v_cmp_neq_f64_e64 s[2:3], 0, v[99:100]
	s_or_b64 s[2:3], vcc, s[2:3]
	s_and_b64 exec, exec, s[2:3]
	s_cbranch_execz .LBB51_215
; %bb.210:
	v_cmp_ngt_f64_e64 s[2:3], |v[97:98]|, |v[99:100]|
                                        ; implicit-def: $vgpr101_vgpr102
	s_and_saveexec_b64 s[6:7], s[2:3]
	s_xor_b64 s[2:3], exec, s[6:7]
                                        ; implicit-def: $vgpr103_vgpr104
	s_cbranch_execz .LBB51_212
; %bb.211:
	v_div_scale_f64 v[101:102], s[6:7], v[99:100], v[99:100], v[97:98]
	v_rcp_f64_e32 v[103:104], v[101:102]
	v_fma_f64 v[117:118], -v[101:102], v[103:104], 1.0
	v_fma_f64 v[103:104], v[103:104], v[117:118], v[103:104]
	v_div_scale_f64 v[117:118], vcc, v[97:98], v[99:100], v[97:98]
	v_fma_f64 v[119:120], -v[101:102], v[103:104], 1.0
	v_fma_f64 v[103:104], v[103:104], v[119:120], v[103:104]
	v_mul_f64 v[119:120], v[117:118], v[103:104]
	v_fma_f64 v[101:102], -v[101:102], v[119:120], v[117:118]
	v_div_fmas_f64 v[101:102], v[101:102], v[103:104], v[119:120]
	v_div_fixup_f64 v[101:102], v[101:102], v[99:100], v[97:98]
	v_fma_f64 v[97:98], v[97:98], v[101:102], v[99:100]
	v_div_scale_f64 v[99:100], s[6:7], v[97:98], v[97:98], 1.0
	v_div_scale_f64 v[119:120], vcc, 1.0, v[97:98], 1.0
	v_rcp_f64_e32 v[103:104], v[99:100]
	v_fma_f64 v[117:118], -v[99:100], v[103:104], 1.0
	v_fma_f64 v[103:104], v[103:104], v[117:118], v[103:104]
	v_fma_f64 v[117:118], -v[99:100], v[103:104], 1.0
	v_fma_f64 v[103:104], v[103:104], v[117:118], v[103:104]
	v_mul_f64 v[117:118], v[119:120], v[103:104]
	v_fma_f64 v[99:100], -v[99:100], v[117:118], v[119:120]
	v_div_fmas_f64 v[99:100], v[99:100], v[103:104], v[117:118]
	v_div_fixup_f64 v[103:104], v[99:100], v[97:98], 1.0
                                        ; implicit-def: $vgpr97_vgpr98
	v_mul_f64 v[101:102], v[101:102], v[103:104]
	v_xor_b32_e32 v104, 0x80000000, v104
.LBB51_212:
	s_andn2_saveexec_b64 s[2:3], s[2:3]
	s_cbranch_execz .LBB51_214
; %bb.213:
	v_div_scale_f64 v[101:102], s[6:7], v[97:98], v[97:98], v[99:100]
	v_rcp_f64_e32 v[103:104], v[101:102]
	v_fma_f64 v[117:118], -v[101:102], v[103:104], 1.0
	v_fma_f64 v[103:104], v[103:104], v[117:118], v[103:104]
	v_div_scale_f64 v[117:118], vcc, v[99:100], v[97:98], v[99:100]
	v_fma_f64 v[119:120], -v[101:102], v[103:104], 1.0
	v_fma_f64 v[103:104], v[103:104], v[119:120], v[103:104]
	v_mul_f64 v[119:120], v[117:118], v[103:104]
	v_fma_f64 v[101:102], -v[101:102], v[119:120], v[117:118]
	v_div_fmas_f64 v[101:102], v[101:102], v[103:104], v[119:120]
	v_div_fixup_f64 v[103:104], v[101:102], v[97:98], v[99:100]
	v_fma_f64 v[97:98], v[99:100], v[103:104], v[97:98]
	v_div_scale_f64 v[99:100], s[6:7], v[97:98], v[97:98], 1.0
	v_div_scale_f64 v[119:120], vcc, 1.0, v[97:98], 1.0
	v_rcp_f64_e32 v[101:102], v[99:100]
	v_fma_f64 v[117:118], -v[99:100], v[101:102], 1.0
	v_fma_f64 v[101:102], v[101:102], v[117:118], v[101:102]
	v_fma_f64 v[117:118], -v[99:100], v[101:102], 1.0
	v_fma_f64 v[101:102], v[101:102], v[117:118], v[101:102]
	v_mul_f64 v[117:118], v[119:120], v[101:102]
	v_fma_f64 v[99:100], -v[99:100], v[117:118], v[119:120]
	v_div_fmas_f64 v[99:100], v[99:100], v[101:102], v[117:118]
	v_div_fixup_f64 v[101:102], v[99:100], v[97:98], 1.0
	v_mul_f64 v[103:104], v[103:104], -v[101:102]
.LBB51_214:
	s_or_b64 exec, exec, s[2:3]
	ds_write2_b64 v127, v[101:102], v[103:104] offset1:1
.LBB51_215:
	s_or_b64 exec, exec, s[4:5]
	s_waitcnt lgkmcnt(0)
	s_barrier
	ds_read2_b64 v[101:104], v127 offset1:1
	v_cmp_lt_u32_e32 vcc, 23, v0
	s_and_saveexec_b64 s[2:3], vcc
	s_cbranch_execz .LBB51_217
; %bb.216:
	s_waitcnt lgkmcnt(0)
	v_mul_f64 v[97:98], v[101:102], v[7:8]
	v_mul_f64 v[7:8], v[103:104], v[7:8]
	v_fma_f64 v[117:118], v[103:104], v[5:6], v[97:98]
	ds_read2_b64 v[97:100], v125 offset0:48 offset1:49
	v_fma_f64 v[5:6], v[101:102], v[5:6], -v[7:8]
	s_waitcnt lgkmcnt(0)
	v_mul_f64 v[7:8], v[99:100], v[117:118]
	v_fma_f64 v[7:8], v[97:98], v[5:6], -v[7:8]
	v_mul_f64 v[97:98], v[97:98], v[117:118]
	v_add_f64 v[1:2], v[1:2], -v[7:8]
	v_fma_f64 v[97:98], v[99:100], v[5:6], v[97:98]
	v_add_f64 v[3:4], v[3:4], -v[97:98]
	ds_read2_b64 v[97:100], v125 offset0:50 offset1:51
	s_waitcnt lgkmcnt(0)
	v_mul_f64 v[7:8], v[99:100], v[117:118]
	v_fma_f64 v[7:8], v[97:98], v[5:6], -v[7:8]
	v_mul_f64 v[97:98], v[97:98], v[117:118]
	v_add_f64 v[73:74], v[73:74], -v[7:8]
	v_fma_f64 v[97:98], v[99:100], v[5:6], v[97:98]
	v_mov_b32_e32 v7, v117
	v_mov_b32_e32 v8, v118
	v_add_f64 v[75:76], v[75:76], -v[97:98]
.LBB51_217:
	s_or_b64 exec, exec, s[2:3]
	v_cmp_eq_u32_e32 vcc, 24, v0
	s_waitcnt lgkmcnt(0)
	s_barrier
	s_and_saveexec_b64 s[4:5], vcc
	s_cbranch_execz .LBB51_224
; %bb.218:
	ds_write2_b64 v127, v[1:2], v[3:4] offset1:1
	ds_write2_b64 v125, v[73:74], v[75:76] offset0:50 offset1:51
	ds_read2_b64 v[97:100], v127 offset1:1
	s_waitcnt lgkmcnt(0)
	v_cmp_neq_f64_e32 vcc, 0, v[97:98]
	v_cmp_neq_f64_e64 s[2:3], 0, v[99:100]
	s_or_b64 s[2:3], vcc, s[2:3]
	s_and_b64 exec, exec, s[2:3]
	s_cbranch_execz .LBB51_224
; %bb.219:
	v_cmp_ngt_f64_e64 s[2:3], |v[97:98]|, |v[99:100]|
                                        ; implicit-def: $vgpr117_vgpr118
	s_and_saveexec_b64 s[6:7], s[2:3]
	s_xor_b64 s[2:3], exec, s[6:7]
                                        ; implicit-def: $vgpr119_vgpr120
	s_cbranch_execz .LBB51_221
; %bb.220:
	v_div_scale_f64 v[117:118], s[6:7], v[99:100], v[99:100], v[97:98]
	v_div_scale_f64 v[95:96], vcc, v[97:98], v[99:100], v[97:98]
	v_mov_b32_e32 v90, v68
	v_mov_b32_e32 v87, v65
	;; [unrolled: 1-line block ×8, first 2 shown]
	v_rcp_f64_e32 v[119:120], v[117:118]
	v_fma_f64 v[93:94], -v[117:118], v[119:120], 1.0
	v_fma_f64 v[93:94], v[119:120], v[93:94], v[119:120]
	v_fma_f64 v[119:120], -v[117:118], v[93:94], 1.0
	v_fma_f64 v[93:94], v[93:94], v[119:120], v[93:94]
	v_mul_f64 v[119:120], v[95:96], v[93:94]
	v_fma_f64 v[95:96], -v[117:118], v[119:120], v[95:96]
	v_div_fmas_f64 v[93:94], v[95:96], v[93:94], v[119:120]
	v_div_fixup_f64 v[93:94], v[93:94], v[99:100], v[97:98]
	v_fma_f64 v[95:96], v[97:98], v[93:94], v[99:100]
	v_div_scale_f64 v[97:98], s[6:7], v[95:96], v[95:96], 1.0
	v_div_scale_f64 v[119:120], vcc, 1.0, v[95:96], 1.0
	v_rcp_f64_e32 v[99:100], v[97:98]
	v_fma_f64 v[117:118], -v[97:98], v[99:100], 1.0
	v_fma_f64 v[99:100], v[99:100], v[117:118], v[99:100]
	v_fma_f64 v[117:118], -v[97:98], v[99:100], 1.0
	v_fma_f64 v[99:100], v[99:100], v[117:118], v[99:100]
	v_mul_f64 v[117:118], v[119:120], v[99:100]
	v_fma_f64 v[97:98], -v[97:98], v[117:118], v[119:120]
	v_div_fmas_f64 v[97:98], v[97:98], v[99:100], v[117:118]
	v_div_fixup_f64 v[119:120], v[97:98], v[95:96], 1.0
                                        ; implicit-def: $vgpr97_vgpr98
	v_mul_f64 v[117:118], v[93:94], v[119:120]
	v_xor_b32_e32 v120, 0x80000000, v120
.LBB51_221:
	s_andn2_saveexec_b64 s[2:3], s[2:3]
	s_cbranch_execz .LBB51_223
; %bb.222:
	v_div_scale_f64 v[93:94], s[6:7], v[97:98], v[97:98], v[99:100]
	v_rcp_f64_e32 v[95:96], v[93:94]
	v_fma_f64 v[117:118], -v[93:94], v[95:96], 1.0
	v_fma_f64 v[95:96], v[95:96], v[117:118], v[95:96]
	v_div_scale_f64 v[117:118], vcc, v[99:100], v[97:98], v[99:100]
	v_fma_f64 v[119:120], -v[93:94], v[95:96], 1.0
	v_fma_f64 v[95:96], v[95:96], v[119:120], v[95:96]
	v_mul_f64 v[119:120], v[117:118], v[95:96]
	v_fma_f64 v[93:94], -v[93:94], v[119:120], v[117:118]
	v_div_fmas_f64 v[93:94], v[93:94], v[95:96], v[119:120]
	v_div_fixup_f64 v[93:94], v[93:94], v[97:98], v[99:100]
	v_fma_f64 v[95:96], v[99:100], v[93:94], v[97:98]
	v_div_scale_f64 v[97:98], s[6:7], v[95:96], v[95:96], 1.0
	v_div_scale_f64 v[119:120], vcc, 1.0, v[95:96], 1.0
	v_rcp_f64_e32 v[99:100], v[97:98]
	v_fma_f64 v[117:118], -v[97:98], v[99:100], 1.0
	v_fma_f64 v[99:100], v[99:100], v[117:118], v[99:100]
	v_fma_f64 v[117:118], -v[97:98], v[99:100], 1.0
	v_fma_f64 v[99:100], v[99:100], v[117:118], v[99:100]
	v_mul_f64 v[117:118], v[119:120], v[99:100]
	v_fma_f64 v[97:98], -v[97:98], v[117:118], v[119:120]
	v_div_fmas_f64 v[97:98], v[97:98], v[99:100], v[117:118]
	v_div_fixup_f64 v[117:118], v[97:98], v[95:96], 1.0
	v_mul_f64 v[119:120], v[93:94], -v[117:118]
.LBB51_223:
	s_or_b64 exec, exec, s[2:3]
	ds_write2_b64 v127, v[117:118], v[119:120] offset1:1
.LBB51_224:
	s_or_b64 exec, exec, s[4:5]
	s_waitcnt lgkmcnt(0)
	s_barrier
	ds_read2_b64 v[97:100], v127 offset1:1
	v_cmp_lt_u32_e32 vcc, 24, v0
	s_and_saveexec_b64 s[2:3], vcc
	s_cbranch_execz .LBB51_226
; %bb.225:
	s_waitcnt lgkmcnt(0)
	v_mul_f64 v[93:94], v[97:98], v[3:4]
	v_mul_f64 v[3:4], v[99:100], v[3:4]
	ds_read2_b64 v[117:120], v125 offset0:50 offset1:51
	v_fma_f64 v[93:94], v[99:100], v[1:2], v[93:94]
	v_fma_f64 v[1:2], v[97:98], v[1:2], -v[3:4]
	s_waitcnt lgkmcnt(0)
	v_mul_f64 v[3:4], v[119:120], v[93:94]
	v_mul_f64 v[95:96], v[117:118], v[93:94]
	v_fma_f64 v[3:4], v[117:118], v[1:2], -v[3:4]
	v_fma_f64 v[95:96], v[119:120], v[1:2], v[95:96]
	v_add_f64 v[73:74], v[73:74], -v[3:4]
	v_add_f64 v[75:76], v[75:76], -v[95:96]
	v_mov_b32_e32 v3, v93
	v_mov_b32_e32 v4, v94
.LBB51_226:
	s_or_b64 exec, exec, s[2:3]
	v_cmp_eq_u32_e32 vcc, 25, v0
	s_waitcnt lgkmcnt(0)
	s_barrier
	s_and_saveexec_b64 s[4:5], vcc
	s_cbranch_execz .LBB51_233
; %bb.227:
	v_cmp_neq_f64_e32 vcc, 0, v[73:74]
	v_cmp_neq_f64_e64 s[2:3], 0, v[75:76]
	ds_write2_b64 v127, v[73:74], v[75:76] offset1:1
	s_or_b64 s[2:3], vcc, s[2:3]
	s_and_b64 exec, exec, s[2:3]
	s_cbranch_execz .LBB51_233
; %bb.228:
	v_cmp_ngt_f64_e64 s[2:3], |v[73:74]|, |v[75:76]|
                                        ; implicit-def: $vgpr117_vgpr118
	s_and_saveexec_b64 s[6:7], s[2:3]
	s_xor_b64 s[2:3], exec, s[6:7]
                                        ; implicit-def: $vgpr119_vgpr120
	s_cbranch_execz .LBB51_230
; %bb.229:
	v_div_scale_f64 v[93:94], s[6:7], v[75:76], v[75:76], v[73:74]
	v_mov_b32_e32 v84, v60
	v_mov_b32_e32 v83, v59
	;; [unrolled: 1-line block ×14, first 2 shown]
	v_rcp_f64_e32 v[95:96], v[93:94]
	v_mov_b32_e32 v107, v67
	v_mov_b32_e32 v106, v66
	;; [unrolled: 1-line block ×15, first 2 shown]
	v_fma_f64 v[117:118], -v[93:94], v[95:96], 1.0
	v_mov_b32_e32 v58, v82
	v_mov_b32_e32 v59, v83
	;; [unrolled: 1-line block ×3, first 2 shown]
	v_fma_f64 v[95:96], v[95:96], v[117:118], v[95:96]
	v_div_scale_f64 v[117:118], vcc, v[73:74], v[75:76], v[73:74]
	v_fma_f64 v[119:120], -v[93:94], v[95:96], 1.0
	v_fma_f64 v[95:96], v[95:96], v[119:120], v[95:96]
	v_mul_f64 v[119:120], v[117:118], v[95:96]
	v_fma_f64 v[93:94], -v[93:94], v[119:120], v[117:118]
	v_div_fmas_f64 v[93:94], v[93:94], v[95:96], v[119:120]
	v_div_fixup_f64 v[93:94], v[93:94], v[75:76], v[73:74]
	v_fma_f64 v[95:96], v[73:74], v[93:94], v[75:76]
	v_div_scale_f64 v[117:118], s[6:7], v[95:96], v[95:96], 1.0
	v_div_scale_f64 v[89:90], vcc, 1.0, v[95:96], 1.0
	v_rcp_f64_e32 v[119:120], v[117:118]
	v_fma_f64 v[125:126], -v[117:118], v[119:120], 1.0
	v_fma_f64 v[119:120], v[119:120], v[125:126], v[119:120]
	v_fma_f64 v[125:126], -v[117:118], v[119:120], 1.0
	v_fma_f64 v[91:92], v[119:120], v[125:126], v[119:120]
	v_mul_f64 v[119:120], v[89:90], v[91:92]
	v_fma_f64 v[89:90], -v[117:118], v[119:120], v[89:90]
	v_div_fmas_f64 v[89:90], v[89:90], v[91:92], v[119:120]
	v_div_fixup_f64 v[119:120], v[89:90], v[95:96], 1.0
	v_mul_f64 v[117:118], v[93:94], v[119:120]
	v_xor_b32_e32 v120, 0x80000000, v120
.LBB51_230:
	s_andn2_saveexec_b64 s[2:3], s[2:3]
	s_cbranch_execz .LBB51_232
; %bb.231:
	v_div_scale_f64 v[89:90], s[6:7], v[73:74], v[73:74], v[75:76]
	v_mov_b32_e32 v84, v60
	v_mov_b32_e32 v83, v59
	;; [unrolled: 1-line block ×14, first 2 shown]
	v_rcp_f64_e32 v[91:92], v[89:90]
	v_mov_b32_e32 v107, v67
	v_mov_b32_e32 v106, v66
	v_mov_b32_e32 v65, v105
	v_mov_b32_e32 v66, v106
	v_mov_b32_e32 v67, v107
	v_mov_b32_e32 v68, v108
	v_mov_b32_e32 v108, v64
	v_mov_b32_e32 v107, v63
	v_mov_b32_e32 v106, v62
	v_mov_b32_e32 v105, v61
	v_mov_b32_e32 v64, v60
	v_mov_b32_e32 v63, v59
	v_mov_b32_e32 v62, v58
	v_mov_b32_e32 v61, v57
	v_mov_b32_e32 v57, v81
	v_fma_f64 v[93:94], -v[89:90], v[91:92], 1.0
	v_mov_b32_e32 v58, v82
	v_mov_b32_e32 v59, v83
	;; [unrolled: 1-line block ×3, first 2 shown]
	v_fma_f64 v[91:92], v[91:92], v[93:94], v[91:92]
	v_div_scale_f64 v[93:94], vcc, v[75:76], v[73:74], v[75:76]
	v_fma_f64 v[95:96], -v[89:90], v[91:92], 1.0
	v_fma_f64 v[91:92], v[91:92], v[95:96], v[91:92]
	v_mul_f64 v[95:96], v[93:94], v[91:92]
	v_fma_f64 v[89:90], -v[89:90], v[95:96], v[93:94]
	v_div_fmas_f64 v[89:90], v[89:90], v[91:92], v[95:96]
	v_div_fixup_f64 v[89:90], v[89:90], v[73:74], v[75:76]
	v_fma_f64 v[91:92], v[75:76], v[89:90], v[73:74]
	v_div_scale_f64 v[93:94], s[6:7], v[91:92], v[91:92], 1.0
	v_div_scale_f64 v[119:120], vcc, 1.0, v[91:92], 1.0
	v_rcp_f64_e32 v[95:96], v[93:94]
	v_fma_f64 v[117:118], -v[93:94], v[95:96], 1.0
	v_fma_f64 v[95:96], v[95:96], v[117:118], v[95:96]
	v_fma_f64 v[117:118], -v[93:94], v[95:96], 1.0
	v_fma_f64 v[95:96], v[95:96], v[117:118], v[95:96]
	v_mul_f64 v[117:118], v[119:120], v[95:96]
	v_fma_f64 v[93:94], -v[93:94], v[117:118], v[119:120]
	v_div_fmas_f64 v[93:94], v[93:94], v[95:96], v[117:118]
	v_div_fixup_f64 v[117:118], v[93:94], v[91:92], 1.0
	v_mul_f64 v[119:120], v[89:90], -v[117:118]
.LBB51_232:
	s_or_b64 exec, exec, s[2:3]
	ds_write2_b64 v127, v[117:118], v[119:120] offset1:1
.LBB51_233:
	s_or_b64 exec, exec, s[4:5]
	s_waitcnt lgkmcnt(0)
	s_barrier
	ds_read2_b64 v[117:120], v127 offset1:1
	v_mov_b32_e32 v86, v60
	v_mov_b32_e32 v94, v64
	;; [unrolled: 1-line block ×8, first 2 shown]
	s_waitcnt lgkmcnt(0)
	s_barrier
	s_and_saveexec_b64 s[2:3], s[0:1]
	s_cbranch_execz .LBB51_236
; %bb.234:
	buffer_load_dword v87, off, s[20:23], 0 offset:272 ; 4-byte Folded Reload
	buffer_load_dword v88, off, s[20:23], 0 offset:276 ; 4-byte Folded Reload
	;; [unrolled: 1-line block ×4, first 2 shown]
	v_mov_b32_e32 v126, v108
	v_mov_b32_e32 v125, v107
	;; [unrolled: 1-line block ×4, first 2 shown]
	buffer_load_dword v105, off, s[20:23], 0 offset:288 ; 4-byte Folded Reload
	buffer_load_dword v106, off, s[20:23], 0 offset:292 ; 4-byte Folded Reload
	buffer_load_dword v107, off, s[20:23], 0 offset:296 ; 4-byte Folded Reload
	buffer_load_dword v108, off, s[20:23], 0 offset:300 ; 4-byte Folded Reload
	s_waitcnt vmcnt(6)
	v_cmp_eq_f64_e32 vcc, 0, v[87:88]
	s_waitcnt vmcnt(4)
	v_cmp_eq_f64_e64 s[0:1], 0, v[89:90]
	s_and_b64 s[4:5], vcc, s[0:1]
	s_waitcnt vmcnt(2)
	v_cmp_neq_f64_e32 vcc, 0, v[105:106]
	s_waitcnt vmcnt(0)
	v_cmp_neq_f64_e64 s[0:1], 0, v[107:108]
	buffer_load_dword v105, off, s[20:23], 0 offset:304 ; 4-byte Folded Reload
	buffer_load_dword v106, off, s[20:23], 0 offset:308 ; 4-byte Folded Reload
	;; [unrolled: 1-line block ×4, first 2 shown]
	v_cndmask_b32_e64 v89, 0, 1, s[4:5]
	s_or_b64 s[0:1], vcc, s[0:1]
	s_or_b64 vcc, s[0:1], s[4:5]
	v_cndmask_b32_e32 v89, 2, v89, vcc
	s_waitcnt vmcnt(2)
	v_cmp_eq_f64_e32 vcc, 0, v[105:106]
	s_waitcnt vmcnt(0)
	v_cmp_eq_f64_e64 s[0:1], 0, v[107:108]
	buffer_load_dword v105, off, s[20:23], 0 offset:320 ; 4-byte Folded Reload
	buffer_load_dword v106, off, s[20:23], 0 offset:324 ; 4-byte Folded Reload
	buffer_load_dword v107, off, s[20:23], 0 offset:328 ; 4-byte Folded Reload
	buffer_load_dword v108, off, s[20:23], 0 offset:332 ; 4-byte Folded Reload
	s_and_b64 s[0:1], vcc, s[0:1]
	v_cmp_eq_u32_e32 vcc, 0, v89
	s_and_b64 s[0:1], s[0:1], vcc
	v_cndmask_b32_e64 v89, v89, 3, s[0:1]
	s_waitcnt vmcnt(2)
	v_cmp_eq_f64_e32 vcc, 0, v[105:106]
	s_waitcnt vmcnt(0)
	v_cmp_eq_f64_e64 s[0:1], 0, v[107:108]
	buffer_load_dword v105, off, s[20:23], 0 offset:336 ; 4-byte Folded Reload
	buffer_load_dword v106, off, s[20:23], 0 offset:340 ; 4-byte Folded Reload
	buffer_load_dword v107, off, s[20:23], 0 offset:344 ; 4-byte Folded Reload
	buffer_load_dword v108, off, s[20:23], 0 offset:348 ; 4-byte Folded Reload
	s_and_b64 s[0:1], vcc, s[0:1]
	v_cmp_eq_u32_e32 vcc, 0, v89
	s_and_b64 s[0:1], s[0:1], vcc
	v_cndmask_b32_e64 v89, v89, 4, s[0:1]
	;; [unrolled: 12-line block ×16, first 2 shown]
	s_waitcnt vmcnt(2)
	v_cmp_eq_f64_e32 vcc, 0, v[105:106]
	s_waitcnt vmcnt(0)
	v_cmp_eq_f64_e64 s[0:1], 0, v[107:108]
	buffer_load_dword v105, off, s[20:23], 0 offset:576 ; 4-byte Folded Reload
	buffer_load_dword v106, off, s[20:23], 0 offset:580 ; 4-byte Folded Reload
	;; [unrolled: 1-line block ×6, first 2 shown]
	s_and_b64 s[0:1], vcc, s[0:1]
	v_cmp_eq_u32_e32 vcc, 0, v89
	s_and_b64 s[0:1], s[0:1], vcc
	v_cndmask_b32_e64 v89, v89, 19, s[0:1]
	s_waitcnt vmcnt(4)
	v_cmp_eq_f64_e32 vcc, 0, v[105:106]
	s_waitcnt vmcnt(2)
	v_cmp_eq_f64_e64 s[0:1], 0, v[107:108]
	s_and_b64 s[0:1], vcc, s[0:1]
	v_cmp_eq_u32_e32 vcc, 0, v89
	s_and_b64 s[0:1], s[0:1], vcc
	v_cndmask_b32_e64 v89, v89, 20, s[0:1]
	v_cmp_eq_f64_e32 vcc, 0, v[123:124]
	v_cmp_eq_f64_e64 s[0:1], 0, v[125:126]
	s_and_b64 s[0:1], vcc, s[0:1]
	v_cmp_eq_u32_e32 vcc, 0, v89
	s_and_b64 s[0:1], s[0:1], vcc
	v_cndmask_b32_e64 v89, v89, 21, s[0:1]
	v_cmp_eq_f64_e32 vcc, 0, v[109:110]
	;; [unrolled: 6-line block ×6, first 2 shown]
	v_cmp_eq_f64_e64 s[0:1], 0, v[119:120]
	s_and_b64 s[0:1], vcc, s[0:1]
	v_cmp_eq_u32_e32 vcc, 0, v89
	s_and_b64 s[0:1], s[0:1], vcc
	v_cndmask_b32_e64 v99, v89, 26, s[0:1]
	s_waitcnt vmcnt(0)
	v_lshlrev_b64 v[89:90], 2, v[87:88]
	v_cmp_ne_u32_e64 s[0:1], 0, v99
	v_add_co_u32_e32 v97, vcc, s10, v89
	v_mov_b32_e32 v89, s11
	v_addc_co_u32_e32 v98, vcc, v89, v90, vcc
	global_load_dword v89, v[97:98], off
	s_waitcnt vmcnt(0)
	v_cmp_eq_u32_e32 vcc, 0, v89
	s_and_b64 s[0:1], vcc, s[0:1]
	s_and_b64 exec, exec, s[0:1]
	s_cbranch_execz .LBB51_236
; %bb.235:
	v_add_u32_e32 v89, s13, v99
	global_store_dword v[97:98], v89, off
.LBB51_236:
	s_or_b64 exec, exec, s[2:3]
	buffer_load_dword v87, off, s[20:23], 0 offset:256 ; 4-byte Folded Reload
	buffer_load_dword v88, off, s[20:23], 0 offset:260 ; 4-byte Folded Reload
	;; [unrolled: 1-line block ×6, first 2 shown]
	v_cmp_lt_u32_e32 vcc, 25, v0
	s_waitcnt vmcnt(0)
	global_store_dwordx4 v[87:88], v[97:100], off
	buffer_load_dword v87, off, s[20:23], 0 offset:264 ; 4-byte Folded Reload
	s_nop 0
	buffer_load_dword v88, off, s[20:23], 0 offset:268 ; 4-byte Folded Reload
	buffer_load_dword v97, off, s[20:23], 0 offset:64 ; 4-byte Folded Reload
	buffer_load_dword v98, off, s[20:23], 0 offset:68 ; 4-byte Folded Reload
	buffer_load_dword v99, off, s[20:23], 0 offset:72 ; 4-byte Folded Reload
	buffer_load_dword v100, off, s[20:23], 0 offset:76 ; 4-byte Folded Reload
	s_waitcnt vmcnt(0)
	global_store_dwordx4 v[87:88], v[97:100], off
	buffer_load_dword v87, off, s[20:23], 0 offset:48 ; 4-byte Folded Reload
	s_nop 0
	buffer_load_dword v88, off, s[20:23], 0 offset:52 ; 4-byte Folded Reload
	buffer_load_dword v89, off, s[20:23], 0 offset:56 ; 4-byte Folded Reload
	buffer_load_dword v90, off, s[20:23], 0 offset:60 ; 4-byte Folded Reload
	buffer_load_dword v57, off, s[20:23], 0 offset:608 ; 4-byte Folded Reload
	buffer_load_dword v58, off, s[20:23], 0 offset:612 ; 4-byte Folded Reload
	;; [unrolled: 9-line block ×3, first 2 shown]
	s_waitcnt vmcnt(0)
	global_store_dwordx4 v[61:62], v[87:90], off
	buffer_load_dword v57, off, s[20:23], 0 offset:16 ; 4-byte Folded Reload
	buffer_load_dword v58, off, s[20:23], 0 offset:20 ; 4-byte Folded Reload
	;; [unrolled: 1-line block ×4, first 2 shown]
	s_nop 0
	buffer_load_dword v61, off, s[20:23], 0 offset:600 ; 4-byte Folded Reload
	buffer_load_dword v62, off, s[20:23], 0 offset:604 ; 4-byte Folded Reload
	s_waitcnt vmcnt(0)
	global_store_dwordx4 v[61:62], v[57:60], off
	buffer_load_dword v87, off, s[20:23], 0 offset:96 ; 4-byte Folded Reload
	buffer_load_dword v88, off, s[20:23], 0 offset:100 ; 4-byte Folded Reload
	s_nop 0
	buffer_load_dword v57, off, s[20:23], 0 ; 4-byte Folded Reload
	buffer_load_dword v58, off, s[20:23], 0 offset:4 ; 4-byte Folded Reload
	buffer_load_dword v59, off, s[20:23], 0 offset:8 ; 4-byte Folded Reload
	;; [unrolled: 1-line block ×3, first 2 shown]
	s_waitcnt vmcnt(0)
	global_store_dwordx4 v[87:88], v[57:60], off
	global_store_dwordx4 v[121:122], v[77:80], off
	buffer_load_dword v81, off, s[20:23], 0 offset:104 ; 4-byte Folded Reload
	buffer_load_dword v82, off, s[20:23], 0 offset:108 ; 4-byte Folded Reload
	v_mul_f64 v[79:80], v[119:120], v[75:76]
	v_mul_f64 v[77:78], v[117:118], v[75:76]
	v_fma_f64 v[79:80], v[117:118], v[73:74], -v[79:80]
	v_fma_f64 v[77:78], v[119:120], v[73:74], v[77:78]
	s_waitcnt vmcnt(0)
	global_store_dwordx4 v[81:82], v[69:72], off
	s_nop 0
	v_cndmask_b32_e32 v70, v74, v80, vcc
	v_cndmask_b32_e32 v69, v73, v79, vcc
	buffer_load_dword v73, off, s[20:23], 0 offset:112 ; 4-byte Folded Reload
	buffer_load_dword v74, off, s[20:23], 0 offset:116 ; 4-byte Folded Reload
	v_cndmask_b32_e32 v72, v76, v78, vcc
	v_cndmask_b32_e32 v71, v75, v77, vcc
	s_waitcnt vmcnt(0)
	global_store_dwordx4 v[73:74], v[65:68], off
	buffer_load_dword v65, off, s[20:23], 0 offset:120 ; 4-byte Folded Reload
	s_nop 0
	buffer_load_dword v66, off, s[20:23], 0 offset:124 ; 4-byte Folded Reload
	s_waitcnt vmcnt(0)
	global_store_dwordx4 v[65:66], v[91:94], off
	buffer_load_dword v61, off, s[20:23], 0 offset:128 ; 4-byte Folded Reload
	buffer_load_dword v62, off, s[20:23], 0 offset:132 ; 4-byte Folded Reload
	s_waitcnt vmcnt(0)
	global_store_dwordx4 v[61:62], v[83:86], off
	buffer_load_dword v57, off, s[20:23], 0 offset:136 ; 4-byte Folded Reload
	;; [unrolled: 4-line block ×3, first 2 shown]
	s_nop 0
	buffer_load_dword v54, off, s[20:23], 0 offset:148 ; 4-byte Folded Reload
	s_waitcnt vmcnt(0)
	global_store_dwordx4 v[53:54], v[49:52], off
	buffer_load_dword v49, off, s[20:23], 0 offset:152 ; 4-byte Folded Reload
	s_nop 0
	buffer_load_dword v50, off, s[20:23], 0 offset:156 ; 4-byte Folded Reload
	s_waitcnt vmcnt(0)
	global_store_dwordx4 v[49:50], v[45:48], off
	buffer_load_dword v45, off, s[20:23], 0 offset:160 ; 4-byte Folded Reload
	;; [unrolled: 5-line block ×13, first 2 shown]
	s_nop 0
	buffer_load_dword v1, off, s[20:23], 0 offset:252 ; 4-byte Folded Reload
	s_waitcnt vmcnt(0)
	global_store_dwordx4 v[0:1], v[69:72], off
.LBB51_237:
	s_endpgm
	.section	.rodata,"a",@progbits
	.p2align	6, 0x0
	.amdhsa_kernel _ZN9rocsolver6v33100L23getf2_npvt_small_kernelILi26E19rocblas_complex_numIdEiiPS3_EEvT1_T3_lS5_lPT2_S5_S5_
		.amdhsa_group_segment_fixed_size 0
		.amdhsa_private_segment_fixed_size 628
		.amdhsa_kernarg_size 312
		.amdhsa_user_sgpr_count 6
		.amdhsa_user_sgpr_private_segment_buffer 1
		.amdhsa_user_sgpr_dispatch_ptr 0
		.amdhsa_user_sgpr_queue_ptr 0
		.amdhsa_user_sgpr_kernarg_segment_ptr 1
		.amdhsa_user_sgpr_dispatch_id 0
		.amdhsa_user_sgpr_flat_scratch_init 0
		.amdhsa_user_sgpr_private_segment_size 0
		.amdhsa_uses_dynamic_stack 0
		.amdhsa_system_sgpr_private_segment_wavefront_offset 1
		.amdhsa_system_sgpr_workgroup_id_x 1
		.amdhsa_system_sgpr_workgroup_id_y 1
		.amdhsa_system_sgpr_workgroup_id_z 0
		.amdhsa_system_sgpr_workgroup_info 0
		.amdhsa_system_vgpr_workitem_id 1
		.amdhsa_next_free_vgpr 128
		.amdhsa_next_free_sgpr 24
		.amdhsa_reserve_vcc 1
		.amdhsa_reserve_flat_scratch 0
		.amdhsa_float_round_mode_32 0
		.amdhsa_float_round_mode_16_64 0
		.amdhsa_float_denorm_mode_32 3
		.amdhsa_float_denorm_mode_16_64 3
		.amdhsa_dx10_clamp 1
		.amdhsa_ieee_mode 1
		.amdhsa_fp16_overflow 0
		.amdhsa_exception_fp_ieee_invalid_op 0
		.amdhsa_exception_fp_denorm_src 0
		.amdhsa_exception_fp_ieee_div_zero 0
		.amdhsa_exception_fp_ieee_overflow 0
		.amdhsa_exception_fp_ieee_underflow 0
		.amdhsa_exception_fp_ieee_inexact 0
		.amdhsa_exception_int_div_zero 0
	.end_amdhsa_kernel
	.section	.text._ZN9rocsolver6v33100L23getf2_npvt_small_kernelILi26E19rocblas_complex_numIdEiiPS3_EEvT1_T3_lS5_lPT2_S5_S5_,"axG",@progbits,_ZN9rocsolver6v33100L23getf2_npvt_small_kernelILi26E19rocblas_complex_numIdEiiPS3_EEvT1_T3_lS5_lPT2_S5_S5_,comdat
.Lfunc_end51:
	.size	_ZN9rocsolver6v33100L23getf2_npvt_small_kernelILi26E19rocblas_complex_numIdEiiPS3_EEvT1_T3_lS5_lPT2_S5_S5_, .Lfunc_end51-_ZN9rocsolver6v33100L23getf2_npvt_small_kernelILi26E19rocblas_complex_numIdEiiPS3_EEvT1_T3_lS5_lPT2_S5_S5_
                                        ; -- End function
	.set _ZN9rocsolver6v33100L23getf2_npvt_small_kernelILi26E19rocblas_complex_numIdEiiPS3_EEvT1_T3_lS5_lPT2_S5_S5_.num_vgpr, 128
	.set _ZN9rocsolver6v33100L23getf2_npvt_small_kernelILi26E19rocblas_complex_numIdEiiPS3_EEvT1_T3_lS5_lPT2_S5_S5_.num_agpr, 0
	.set _ZN9rocsolver6v33100L23getf2_npvt_small_kernelILi26E19rocblas_complex_numIdEiiPS3_EEvT1_T3_lS5_lPT2_S5_S5_.numbered_sgpr, 24
	.set _ZN9rocsolver6v33100L23getf2_npvt_small_kernelILi26E19rocblas_complex_numIdEiiPS3_EEvT1_T3_lS5_lPT2_S5_S5_.num_named_barrier, 0
	.set _ZN9rocsolver6v33100L23getf2_npvt_small_kernelILi26E19rocblas_complex_numIdEiiPS3_EEvT1_T3_lS5_lPT2_S5_S5_.private_seg_size, 628
	.set _ZN9rocsolver6v33100L23getf2_npvt_small_kernelILi26E19rocblas_complex_numIdEiiPS3_EEvT1_T3_lS5_lPT2_S5_S5_.uses_vcc, 1
	.set _ZN9rocsolver6v33100L23getf2_npvt_small_kernelILi26E19rocblas_complex_numIdEiiPS3_EEvT1_T3_lS5_lPT2_S5_S5_.uses_flat_scratch, 0
	.set _ZN9rocsolver6v33100L23getf2_npvt_small_kernelILi26E19rocblas_complex_numIdEiiPS3_EEvT1_T3_lS5_lPT2_S5_S5_.has_dyn_sized_stack, 0
	.set _ZN9rocsolver6v33100L23getf2_npvt_small_kernelILi26E19rocblas_complex_numIdEiiPS3_EEvT1_T3_lS5_lPT2_S5_S5_.has_recursion, 0
	.set _ZN9rocsolver6v33100L23getf2_npvt_small_kernelILi26E19rocblas_complex_numIdEiiPS3_EEvT1_T3_lS5_lPT2_S5_S5_.has_indirect_call, 0
	.section	.AMDGPU.csdata,"",@progbits
; Kernel info:
; codeLenInByte = 45592
; TotalNumSgprs: 28
; NumVgprs: 128
; ScratchSize: 628
; MemoryBound: 1
; FloatMode: 240
; IeeeMode: 1
; LDSByteSize: 0 bytes/workgroup (compile time only)
; SGPRBlocks: 3
; VGPRBlocks: 31
; NumSGPRsForWavesPerEU: 28
; NumVGPRsForWavesPerEU: 128
; Occupancy: 2
; WaveLimiterHint : 0
; COMPUTE_PGM_RSRC2:SCRATCH_EN: 1
; COMPUTE_PGM_RSRC2:USER_SGPR: 6
; COMPUTE_PGM_RSRC2:TRAP_HANDLER: 0
; COMPUTE_PGM_RSRC2:TGID_X_EN: 1
; COMPUTE_PGM_RSRC2:TGID_Y_EN: 1
; COMPUTE_PGM_RSRC2:TGID_Z_EN: 0
; COMPUTE_PGM_RSRC2:TIDIG_COMP_CNT: 1
	.section	.text._ZN9rocsolver6v33100L18getf2_small_kernelILi27E19rocblas_complex_numIdEiiPS3_EEvT1_T3_lS5_lPS5_llPT2_S5_S5_S7_l,"axG",@progbits,_ZN9rocsolver6v33100L18getf2_small_kernelILi27E19rocblas_complex_numIdEiiPS3_EEvT1_T3_lS5_lPS5_llPT2_S5_S5_S7_l,comdat
	.globl	_ZN9rocsolver6v33100L18getf2_small_kernelILi27E19rocblas_complex_numIdEiiPS3_EEvT1_T3_lS5_lPS5_llPT2_S5_S5_S7_l ; -- Begin function _ZN9rocsolver6v33100L18getf2_small_kernelILi27E19rocblas_complex_numIdEiiPS3_EEvT1_T3_lS5_lPS5_llPT2_S5_S5_S7_l
	.p2align	8
	.type	_ZN9rocsolver6v33100L18getf2_small_kernelILi27E19rocblas_complex_numIdEiiPS3_EEvT1_T3_lS5_lPS5_llPT2_S5_S5_S7_l,@function
_ZN9rocsolver6v33100L18getf2_small_kernelILi27E19rocblas_complex_numIdEiiPS3_EEvT1_T3_lS5_lPS5_llPT2_S5_S5_S7_l: ; @_ZN9rocsolver6v33100L18getf2_small_kernelILi27E19rocblas_complex_numIdEiiPS3_EEvT1_T3_lS5_lPS5_llPT2_S5_S5_S7_l
; %bb.0:
	s_mov_b64 s[30:31], s[2:3]
	s_mov_b64 s[28:29], s[0:1]
	s_load_dword s0, s[4:5], 0x6c
	s_load_dwordx2 s[16:17], s[4:5], 0x48
	s_add_u32 s28, s28, s8
	s_addc_u32 s29, s29, 0
	s_waitcnt lgkmcnt(0)
	s_lshr_b32 s0, s0, 16
	s_mul_i32 s7, s7, s0
	v_add_u32_e32 v6, s7, v1
	v_cmp_gt_i32_e32 vcc, s16, v6
	s_and_saveexec_b64 s[0:1], vcc
	s_cbranch_execz .LBB52_570
; %bb.1:
	s_load_dwordx4 s[0:3], s[4:5], 0x50
	v_mov_b32_e32 v2, 0
	v_ashrrev_i32_e32 v7, 31, v6
	v_mov_b32_e32 v3, 0
	s_waitcnt lgkmcnt(0)
	s_cmp_eq_u64 s[0:1], 0
	s_cselect_b64 s[18:19], -1, 0
	s_and_b64 vcc, exec, s[18:19]
	s_cbranch_vccnz .LBB52_3
; %bb.2:
	v_mul_lo_u32 v4, s3, v6
	v_mul_lo_u32 v5, s2, v7
	v_mad_u64_u32 v[2:3], s[2:3], s2, v6, 0
	v_add3_u32 v3, v3, v5, v4
	v_lshlrev_b64 v[2:3], 2, v[2:3]
	v_mov_b32_e32 v4, s1
	v_add_co_u32_e32 v2, vcc, s0, v2
	v_addc_co_u32_e32 v3, vcc, v4, v3, vcc
.LBB52_3:
	buffer_store_dword v2, off, s[28:31], 0 ; 4-byte Folded Spill
	s_nop 0
	buffer_store_dword v3, off, s[28:31], 0 offset:4 ; 4-byte Folded Spill
	s_load_dwordx8 s[8:15], s[4:5], 0x20
	s_load_dwordx4 s[0:3], s[4:5], 0x8
	v_lshlrev_b32_e32 v120, 4, v0
	s_waitcnt lgkmcnt(0)
	v_mul_lo_u32 v4, s9, v6
	v_mul_lo_u32 v5, s8, v7
	buffer_store_dword v6, off, s[28:31], 0 offset:24 ; 4-byte Folded Spill
	s_nop 0
	buffer_store_dword v7, off, s[28:31], 0 offset:28 ; 4-byte Folded Spill
	v_mad_u64_u32 v[2:3], s[6:7], s8, v6, 0
	s_load_dword s6, s[4:5], 0x18
	s_load_dword s22, s[4:5], 0x0
	v_mov_b32_e32 v6, s1
	v_add3_u32 v3, v3, v5, v4
	v_lshlrev_b64 v[2:3], 4, v[2:3]
	s_waitcnt lgkmcnt(0)
	s_add_i32 s16, s6, s6
	v_add_co_u32_e32 v2, vcc, s0, v2
	v_addc_co_u32_e32 v3, vcc, v6, v3, vcc
	s_lshl_b64 s[0:1], s[2:3], 4
	v_mov_b32_e32 v4, s1
	v_add_co_u32_e32 v121, vcc, s0, v2
	v_add_u32_e32 v2, s16, v0
	v_addc_co_u32_e32 v122, vcc, v3, v4, vcc
	v_ashrrev_i32_e32 v3, 31, v2
	v_lshlrev_b64 v[3:4], 4, v[2:3]
	v_add_u32_e32 v5, s6, v2
	v_ashrrev_i32_e32 v6, 31, v5
	v_add_co_u32_e32 v3, vcc, v121, v3
	v_lshlrev_b64 v[6:7], 4, v[5:6]
	v_add_u32_e32 v8, s6, v5
	v_addc_co_u32_e32 v4, vcc, v122, v4, vcc
	v_ashrrev_i32_e32 v9, 31, v8
	v_add_co_u32_e32 v6, vcc, v121, v6
	v_lshlrev_b64 v[9:10], 4, v[8:9]
	v_add_u32_e32 v11, s6, v8
	v_addc_co_u32_e32 v7, vcc, v122, v7, vcc
	;; [unrolled: 5-line block ×13, first 2 shown]
	v_ashrrev_i32_e32 v45, 31, v44
	v_add_co_u32_e32 v42, vcc, v121, v42
	v_lshlrev_b64 v[45:46], 4, v[44:45]
	v_addc_co_u32_e32 v43, vcc, v122, v43, vcc
	v_add_u32_e32 v44, s6, v44
	v_add_co_u32_e32 v106, vcc, v121, v45
	v_ashrrev_i32_e32 v45, 31, v44
	v_addc_co_u32_e32 v107, vcc, v122, v46, vcc
	v_lshlrev_b64 v[45:46], 4, v[44:45]
	v_add_u32_e32 v44, s6, v44
	v_add_co_u32_e32 v108, vcc, v121, v45
	v_ashrrev_i32_e32 v45, 31, v44
	v_addc_co_u32_e32 v109, vcc, v122, v46, vcc
	v_lshlrev_b64 v[45:46], 4, v[44:45]
	;; [unrolled: 5-line block ×9, first 2 shown]
	v_add_u32_e32 v44, s6, v44
	v_add_co_u32_e32 v102, vcc, v121, v45
	v_ashrrev_i32_e32 v45, 31, v44
	v_lshlrev_b64 v[44:45], 4, v[44:45]
	v_addc_co_u32_e32 v103, vcc, v122, v46, vcc
	v_add_co_u32_e32 v104, vcc, v121, v44
	v_addc_co_u32_e32 v105, vcc, v122, v45, vcc
	v_add_co_u32_e32 v44, vcc, v121, v120
	s_ashr_i32 s7, s6, 31
	v_addc_co_u32_e32 v45, vcc, 0, v122, vcc
	s_lshl_b64 s[2:3], s[6:7], 4
	v_mov_b32_e32 v2, s3
	v_add_co_u32_e32 v46, vcc, s2, v44
	v_addc_co_u32_e32 v47, vcc, v45, v2, vcc
	global_load_dwordx4 v[98:101], v[44:45], off
	global_load_dwordx4 v[94:97], v[46:47], off
	;; [unrolled: 1-line block ×3, first 2 shown]
	s_nop 0
	global_load_dwordx4 v[2:5], v[6:7], off
	s_waitcnt vmcnt(0)
	buffer_store_dword v2, off, s[28:31], 0 offset:32 ; 4-byte Folded Spill
	s_nop 0
	buffer_store_dword v3, off, s[28:31], 0 offset:36 ; 4-byte Folded Spill
	buffer_store_dword v4, off, s[28:31], 0 offset:40 ; 4-byte Folded Spill
	buffer_store_dword v5, off, s[28:31], 0 offset:44 ; 4-byte Folded Spill
	global_load_dwordx4 v[86:89], v[9:10], off
	global_load_dwordx4 v[82:85], v[12:13], off
	;; [unrolled: 1-line block ×11, first 2 shown]
	s_nop 0
	global_load_dwordx4 v[42:45], v[42:43], off
	s_nop 0
	global_load_dwordx4 v[38:41], v[106:107], off
	global_load_dwordx4 v[34:37], v[108:109], off
	;; [unrolled: 1-line block ×11, first 2 shown]
	s_nop 0
	buffer_store_dword v98, off, s[28:31], 0 offset:8 ; 4-byte Folded Spill
	s_nop 0
	buffer_store_dword v99, off, s[28:31], 0 offset:12 ; 4-byte Folded Spill
	buffer_store_dword v100, off, s[28:31], 0 offset:16 ; 4-byte Folded Spill
	;; [unrolled: 1-line block ×3, first 2 shown]
	s_max_i32 s0, s22, 27
	v_mul_lo_u32 v102, s0, v1
	s_load_dwordx2 s[4:5], s[4:5], 0x40
	s_cmp_lt_i32 s22, 2
	v_mov_b32_e32 v118, 0
	v_lshl_add_u32 v1, v102, 4, 0
	v_add_u32_e32 v103, v1, v120
	v_lshlrev_b32_e32 v124, 4, v102
	ds_write2_b64 v103, v[98:99], v[100:101] offset1:1
	s_waitcnt vmcnt(0) lgkmcnt(0)
	s_barrier
	ds_read2_b64 v[110:113], v1 offset1:1
	s_cbranch_scc1 .LBB52_6
; %bb.4:
	v_add3_u32 v119, v124, 0, 16
	s_mov_b32 s0, 1
	v_mov_b32_e32 v118, 0
.LBB52_5:                               ; =>This Inner Loop Header: Depth=1
	s_waitcnt lgkmcnt(0)
	v_cmp_gt_f64_e32 vcc, 0, v[110:111]
	v_xor_b32_e32 v102, 0x80000000, v111
	ds_read2_b64 v[114:117], v119 offset1:1
	v_xor_b32_e32 v104, 0x80000000, v113
	v_add_u32_e32 v119, 16, v119
	s_waitcnt lgkmcnt(0)
	v_xor_b32_e32 v120, 0x80000000, v117
	v_cndmask_b32_e32 v103, v111, v102, vcc
	v_cmp_gt_f64_e32 vcc, 0, v[112:113]
	v_mov_b32_e32 v102, v110
	v_mov_b32_e32 v125, v116
	v_cndmask_b32_e32 v105, v113, v104, vcc
	v_cmp_gt_f64_e32 vcc, 0, v[114:115]
	v_mov_b32_e32 v104, v112
	v_add_f64 v[102:103], v[102:103], v[104:105]
	v_xor_b32_e32 v104, 0x80000000, v115
	v_cndmask_b32_e32 v105, v115, v104, vcc
	v_cmp_gt_f64_e32 vcc, 0, v[116:117]
	v_mov_b32_e32 v104, v114
	v_cndmask_b32_e32 v126, v117, v120, vcc
	v_add_f64 v[104:105], v[104:105], v[125:126]
	v_cmp_lt_f64_e32 vcc, v[102:103], v[104:105]
	v_mov_b32_e32 v102, s0
	s_add_i32 s0, s0, 1
	s_cmp_eq_u32 s22, s0
	v_cndmask_b32_e32 v111, v111, v115, vcc
	v_cndmask_b32_e32 v110, v110, v114, vcc
	;; [unrolled: 1-line block ×5, first 2 shown]
	s_cbranch_scc0 .LBB52_5
.LBB52_6:
	buffer_load_dword v126, off, s[28:31], 0 ; 4-byte Folded Reload
	buffer_load_dword v127, off, s[28:31], 0 offset:4 ; 4-byte Folded Reload
	s_waitcnt lgkmcnt(0)
	v_cmp_neq_f64_e32 vcc, 0, v[110:111]
	v_cmp_neq_f64_e64 s[0:1], 0, v[112:113]
	v_mov_b32_e32 v101, v97
	v_mov_b32_e32 v100, v96
	v_mov_b32_e32 v99, v95
	v_mov_b32_e32 v98, v94
	v_mov_b32_e32 v97, v93
	v_mov_b32_e32 v96, v92
	v_mov_b32_e32 v95, v91
	v_mov_b32_e32 v94, v90
	v_mov_b32_e32 v123, 1
	v_mov_b32_e32 v125, 1
	s_or_b64 s[8:9], vcc, s[0:1]
	s_mov_b64 s[0:1], exec
	buffer_load_dword v90, off, s[28:31], 0 offset:32 ; 4-byte Folded Reload
	buffer_load_dword v91, off, s[28:31], 0 offset:36 ; 4-byte Folded Reload
	;; [unrolled: 1-line block ×4, first 2 shown]
	s_and_b64 s[8:9], s[0:1], s[8:9]
	s_mov_b64 exec, s[8:9]
	s_cbranch_execz .LBB52_12
; %bb.7:
	v_cmp_ngt_f64_e64 s[8:9], |v[110:111]|, |v[112:113]|
	s_and_saveexec_b64 s[20:21], s[8:9]
	s_xor_b64 s[8:9], exec, s[20:21]
	s_cbranch_execz .LBB52_9
; %bb.8:
	v_div_scale_f64 v[102:103], s[20:21], v[112:113], v[112:113], v[110:111]
	v_rcp_f64_e32 v[104:105], v[102:103]
	v_fma_f64 v[114:115], -v[102:103], v[104:105], 1.0
	v_fma_f64 v[104:105], v[104:105], v[114:115], v[104:105]
	v_div_scale_f64 v[114:115], vcc, v[110:111], v[112:113], v[110:111]
	v_fma_f64 v[116:117], -v[102:103], v[104:105], 1.0
	v_fma_f64 v[104:105], v[104:105], v[116:117], v[104:105]
	v_mul_f64 v[116:117], v[114:115], v[104:105]
	v_fma_f64 v[102:103], -v[102:103], v[116:117], v[114:115]
	v_div_fmas_f64 v[102:103], v[102:103], v[104:105], v[116:117]
	v_div_fixup_f64 v[102:103], v[102:103], v[112:113], v[110:111]
	v_fma_f64 v[104:105], v[110:111], v[102:103], v[112:113]
	v_div_scale_f64 v[110:111], s[20:21], v[104:105], v[104:105], 1.0
	v_div_scale_f64 v[116:117], vcc, 1.0, v[104:105], 1.0
	v_rcp_f64_e32 v[112:113], v[110:111]
	v_fma_f64 v[114:115], -v[110:111], v[112:113], 1.0
	v_fma_f64 v[112:113], v[112:113], v[114:115], v[112:113]
	v_fma_f64 v[114:115], -v[110:111], v[112:113], 1.0
	v_fma_f64 v[112:113], v[112:113], v[114:115], v[112:113]
	v_mul_f64 v[114:115], v[116:117], v[112:113]
	v_fma_f64 v[110:111], -v[110:111], v[114:115], v[116:117]
	v_div_fmas_f64 v[110:111], v[110:111], v[112:113], v[114:115]
	v_div_fixup_f64 v[112:113], v[110:111], v[104:105], 1.0
	v_mul_f64 v[110:111], v[102:103], v[112:113]
	v_xor_b32_e32 v113, 0x80000000, v113
.LBB52_9:
	s_andn2_saveexec_b64 s[8:9], s[8:9]
	s_cbranch_execz .LBB52_11
; %bb.10:
	v_div_scale_f64 v[102:103], s[20:21], v[110:111], v[110:111], v[112:113]
	v_rcp_f64_e32 v[104:105], v[102:103]
	v_fma_f64 v[114:115], -v[102:103], v[104:105], 1.0
	v_fma_f64 v[104:105], v[104:105], v[114:115], v[104:105]
	v_div_scale_f64 v[114:115], vcc, v[112:113], v[110:111], v[112:113]
	v_fma_f64 v[116:117], -v[102:103], v[104:105], 1.0
	v_fma_f64 v[104:105], v[104:105], v[116:117], v[104:105]
	v_mul_f64 v[116:117], v[114:115], v[104:105]
	v_fma_f64 v[102:103], -v[102:103], v[116:117], v[114:115]
	v_div_fmas_f64 v[102:103], v[102:103], v[104:105], v[116:117]
	v_div_fixup_f64 v[102:103], v[102:103], v[110:111], v[112:113]
	v_fma_f64 v[104:105], v[112:113], v[102:103], v[110:111]
	v_div_scale_f64 v[110:111], s[20:21], v[104:105], v[104:105], 1.0
	v_div_scale_f64 v[116:117], vcc, 1.0, v[104:105], 1.0
	v_rcp_f64_e32 v[112:113], v[110:111]
	v_fma_f64 v[114:115], -v[110:111], v[112:113], 1.0
	v_fma_f64 v[112:113], v[112:113], v[114:115], v[112:113]
	v_fma_f64 v[114:115], -v[110:111], v[112:113], 1.0
	v_fma_f64 v[112:113], v[112:113], v[114:115], v[112:113]
	v_mul_f64 v[114:115], v[116:117], v[112:113]
	v_fma_f64 v[110:111], -v[110:111], v[114:115], v[116:117]
	v_div_fmas_f64 v[110:111], v[110:111], v[112:113], v[114:115]
	v_div_fixup_f64 v[110:111], v[110:111], v[104:105], 1.0
	v_mul_f64 v[112:113], v[102:103], -v[110:111]
.LBB52_11:
	s_or_b64 exec, exec, s[8:9]
	v_mov_b32_e32 v125, 0
	v_mov_b32_e32 v123, 2
.LBB52_12:
	s_or_b64 exec, exec, s[0:1]
	v_cmp_ne_u32_e32 vcc, v0, v118
	s_and_saveexec_b64 s[0:1], vcc
	s_xor_b64 s[0:1], exec, s[0:1]
	s_cbranch_execz .LBB52_18
; %bb.13:
	v_cmp_eq_u32_e32 vcc, 0, v0
	s_and_saveexec_b64 s[8:9], vcc
	s_cbranch_execz .LBB52_17
; %bb.14:
	v_cmp_ne_u32_e32 vcc, 0, v118
	s_xor_b64 s[20:21], s[18:19], -1
	s_and_b64 s[24:25], s[20:21], vcc
	s_and_saveexec_b64 s[20:21], s[24:25]
	s_cbranch_execz .LBB52_16
; %bb.15:
	v_ashrrev_i32_e32 v119, 31, v118
	v_lshlrev_b64 v[102:103], 2, v[118:119]
	s_waitcnt vmcnt(5)
	v_add_co_u32_e32 v102, vcc, v126, v102
	s_waitcnt vmcnt(4)
	v_addc_co_u32_e32 v103, vcc, v127, v103, vcc
	global_load_dword v0, v[102:103], off
	global_load_dword v104, v[126:127], off
	s_waitcnt vmcnt(1)
	global_store_dword v[126:127], v0, off
	s_waitcnt vmcnt(1)
	global_store_dword v[102:103], v104, off
.LBB52_16:
	s_or_b64 exec, exec, s[20:21]
	v_mov_b32_e32 v0, v118
.LBB52_17:
	s_or_b64 exec, exec, s[8:9]
.LBB52_18:
	s_or_saveexec_b64 s[0:1], s[0:1]
	v_mov_b32_e32 v120, v0
	s_xor_b64 exec, exec, s[0:1]
	s_cbranch_execz .LBB52_20
; %bb.19:
	v_mov_b32_e32 v120, 0
	ds_write2_b64 v1, v[98:99], v[100:101] offset0:2 offset1:3
	ds_write2_b64 v1, v[94:95], v[96:97] offset0:4 offset1:5
	s_waitcnt vmcnt(0)
	ds_write2_b64 v1, v[90:91], v[92:93] offset0:6 offset1:7
	ds_write2_b64 v1, v[86:87], v[88:89] offset0:8 offset1:9
	;; [unrolled: 1-line block ×24, first 2 shown]
.LBB52_20:
	s_or_b64 exec, exec, s[0:1]
	v_cmp_lt_i32_e32 vcc, 0, v120
	s_waitcnt vmcnt(0) lgkmcnt(0)
	s_barrier
	s_and_saveexec_b64 s[0:1], vcc
	s_cbranch_execz .LBB52_22
; %bb.21:
	buffer_load_dword v114, off, s[28:31], 0 offset:8 ; 4-byte Folded Reload
	buffer_load_dword v115, off, s[28:31], 0 offset:12 ; 4-byte Folded Reload
	;; [unrolled: 1-line block ×4, first 2 shown]
	s_waitcnt vmcnt(0)
	v_mul_f64 v[102:103], v[112:113], v[116:117]
	v_fma_f64 v[118:119], v[110:111], v[114:115], -v[102:103]
	v_mul_f64 v[102:103], v[110:111], v[116:117]
	v_fma_f64 v[116:117], v[112:113], v[114:115], v[102:103]
	ds_read2_b64 v[110:113], v1 offset0:2 offset1:3
	v_mov_b32_e32 v114, v118
	v_mov_b32_e32 v115, v119
	s_waitcnt lgkmcnt(0)
	v_mul_f64 v[102:103], v[112:113], v[116:117]
	v_mul_f64 v[104:105], v[110:111], v[116:117]
	v_fma_f64 v[102:103], v[110:111], v[118:119], -v[102:103]
	v_fma_f64 v[104:105], v[112:113], v[118:119], v[104:105]
	ds_read2_b64 v[110:113], v1 offset0:4 offset1:5
	v_add_f64 v[98:99], v[98:99], -v[102:103]
	v_add_f64 v[100:101], v[100:101], -v[104:105]
	s_waitcnt lgkmcnt(0)
	v_mul_f64 v[102:103], v[112:113], v[116:117]
	v_mul_f64 v[104:105], v[110:111], v[116:117]
	v_fma_f64 v[102:103], v[110:111], v[118:119], -v[102:103]
	v_fma_f64 v[104:105], v[112:113], v[118:119], v[104:105]
	ds_read2_b64 v[110:113], v1 offset0:6 offset1:7
	v_add_f64 v[94:95], v[94:95], -v[102:103]
	v_add_f64 v[96:97], v[96:97], -v[104:105]
	;; [unrolled: 8-line block ×25, first 2 shown]
	s_waitcnt lgkmcnt(0)
	v_mul_f64 v[102:103], v[112:113], v[116:117]
	v_mul_f64 v[104:105], v[110:111], v[116:117]
	buffer_store_dword v114, off, s[28:31], 0 offset:8 ; 4-byte Folded Spill
	s_nop 0
	buffer_store_dword v115, off, s[28:31], 0 offset:12 ; 4-byte Folded Spill
	buffer_store_dword v116, off, s[28:31], 0 offset:16 ; 4-byte Folded Spill
	;; [unrolled: 1-line block ×3, first 2 shown]
	v_fma_f64 v[102:103], v[110:111], v[118:119], -v[102:103]
	v_fma_f64 v[104:105], v[112:113], v[118:119], v[104:105]
	v_add_f64 v[106:107], v[106:107], -v[102:103]
	v_add_f64 v[108:109], v[108:109], -v[104:105]
.LBB52_22:
	s_or_b64 exec, exec, s[0:1]
	v_lshl_add_u32 v102, v120, 4, v1
	s_waitcnt vmcnt(0)
	s_barrier
	ds_write2_b64 v102, v[98:99], v[100:101] offset1:1
	s_waitcnt lgkmcnt(0)
	s_barrier
	ds_read2_b64 v[110:113], v1 offset0:2 offset1:3
	s_cmp_lt_i32 s22, 3
	v_mov_b32_e32 v118, 1
	s_cbranch_scc1 .LBB52_26
; %bb.23:
	v_add3_u32 v119, v124, 0, 32
	s_mov_b32 s0, 2
	v_mov_b32_e32 v118, 1
.LBB52_24:                              ; =>This Inner Loop Header: Depth=1
	s_waitcnt lgkmcnt(0)
	v_cmp_gt_f64_e32 vcc, 0, v[110:111]
	v_xor_b32_e32 v102, 0x80000000, v111
	ds_read2_b64 v[114:117], v119 offset1:1
	v_xor_b32_e32 v104, 0x80000000, v113
	v_add_u32_e32 v119, 16, v119
	s_waitcnt lgkmcnt(0)
	v_xor_b32_e32 v126, 0x80000000, v117
	v_cndmask_b32_e32 v103, v111, v102, vcc
	v_cmp_gt_f64_e32 vcc, 0, v[112:113]
	v_mov_b32_e32 v102, v110
	v_cndmask_b32_e32 v105, v113, v104, vcc
	v_cmp_gt_f64_e32 vcc, 0, v[114:115]
	v_mov_b32_e32 v104, v112
	v_add_f64 v[102:103], v[102:103], v[104:105]
	v_xor_b32_e32 v104, 0x80000000, v115
	v_cndmask_b32_e32 v105, v115, v104, vcc
	v_cmp_gt_f64_e32 vcc, 0, v[116:117]
	v_mov_b32_e32 v104, v114
	v_cndmask_b32_e32 v127, v117, v126, vcc
	v_mov_b32_e32 v126, v116
	v_add_f64 v[104:105], v[104:105], v[126:127]
	v_cmp_lt_f64_e32 vcc, v[102:103], v[104:105]
	v_mov_b32_e32 v102, s0
	s_add_i32 s0, s0, 1
	s_cmp_lg_u32 s22, s0
	v_cndmask_b32_e32 v111, v111, v115, vcc
	v_cndmask_b32_e32 v110, v110, v114, vcc
	;; [unrolled: 1-line block ×5, first 2 shown]
	s_cbranch_scc1 .LBB52_24
; %bb.25:
	buffer_load_dword v126, off, s[28:31], 0 ; 4-byte Folded Reload
	buffer_load_dword v127, off, s[28:31], 0 offset:4 ; 4-byte Folded Reload
.LBB52_26:
	s_waitcnt lgkmcnt(0)
	v_cmp_neq_f64_e32 vcc, 0, v[110:111]
	v_cmp_neq_f64_e64 s[0:1], 0, v[112:113]
	s_or_b64 s[8:9], vcc, s[0:1]
	s_and_saveexec_b64 s[0:1], s[8:9]
	s_cbranch_execz .LBB52_32
; %bb.27:
	v_cmp_ngt_f64_e64 s[8:9], |v[110:111]|, |v[112:113]|
	s_and_saveexec_b64 s[20:21], s[8:9]
	s_xor_b64 s[8:9], exec, s[20:21]
	s_cbranch_execz .LBB52_29
; %bb.28:
	v_div_scale_f64 v[102:103], s[20:21], v[112:113], v[112:113], v[110:111]
	v_rcp_f64_e32 v[104:105], v[102:103]
	v_fma_f64 v[114:115], -v[102:103], v[104:105], 1.0
	v_fma_f64 v[104:105], v[104:105], v[114:115], v[104:105]
	v_div_scale_f64 v[114:115], vcc, v[110:111], v[112:113], v[110:111]
	v_fma_f64 v[116:117], -v[102:103], v[104:105], 1.0
	v_fma_f64 v[104:105], v[104:105], v[116:117], v[104:105]
	v_mul_f64 v[116:117], v[114:115], v[104:105]
	v_fma_f64 v[102:103], -v[102:103], v[116:117], v[114:115]
	v_div_fmas_f64 v[102:103], v[102:103], v[104:105], v[116:117]
	v_div_fixup_f64 v[102:103], v[102:103], v[112:113], v[110:111]
	v_fma_f64 v[104:105], v[110:111], v[102:103], v[112:113]
	v_div_scale_f64 v[110:111], s[20:21], v[104:105], v[104:105], 1.0
	v_div_scale_f64 v[116:117], vcc, 1.0, v[104:105], 1.0
	v_rcp_f64_e32 v[112:113], v[110:111]
	v_fma_f64 v[114:115], -v[110:111], v[112:113], 1.0
	v_fma_f64 v[112:113], v[112:113], v[114:115], v[112:113]
	v_fma_f64 v[114:115], -v[110:111], v[112:113], 1.0
	v_fma_f64 v[112:113], v[112:113], v[114:115], v[112:113]
	v_mul_f64 v[114:115], v[116:117], v[112:113]
	v_fma_f64 v[110:111], -v[110:111], v[114:115], v[116:117]
	v_div_fmas_f64 v[110:111], v[110:111], v[112:113], v[114:115]
	v_div_fixup_f64 v[112:113], v[110:111], v[104:105], 1.0
	v_mul_f64 v[110:111], v[102:103], v[112:113]
	v_xor_b32_e32 v113, 0x80000000, v113
.LBB52_29:
	s_andn2_saveexec_b64 s[8:9], s[8:9]
	s_cbranch_execz .LBB52_31
; %bb.30:
	v_div_scale_f64 v[102:103], s[20:21], v[110:111], v[110:111], v[112:113]
	v_rcp_f64_e32 v[104:105], v[102:103]
	v_fma_f64 v[114:115], -v[102:103], v[104:105], 1.0
	v_fma_f64 v[104:105], v[104:105], v[114:115], v[104:105]
	v_div_scale_f64 v[114:115], vcc, v[112:113], v[110:111], v[112:113]
	v_fma_f64 v[116:117], -v[102:103], v[104:105], 1.0
	v_fma_f64 v[104:105], v[104:105], v[116:117], v[104:105]
	v_mul_f64 v[116:117], v[114:115], v[104:105]
	v_fma_f64 v[102:103], -v[102:103], v[116:117], v[114:115]
	v_div_fmas_f64 v[102:103], v[102:103], v[104:105], v[116:117]
	v_div_fixup_f64 v[102:103], v[102:103], v[110:111], v[112:113]
	v_fma_f64 v[104:105], v[112:113], v[102:103], v[110:111]
	v_div_scale_f64 v[110:111], s[20:21], v[104:105], v[104:105], 1.0
	v_div_scale_f64 v[116:117], vcc, 1.0, v[104:105], 1.0
	v_rcp_f64_e32 v[112:113], v[110:111]
	v_fma_f64 v[114:115], -v[110:111], v[112:113], 1.0
	v_fma_f64 v[112:113], v[112:113], v[114:115], v[112:113]
	v_fma_f64 v[114:115], -v[110:111], v[112:113], 1.0
	v_fma_f64 v[112:113], v[112:113], v[114:115], v[112:113]
	v_mul_f64 v[114:115], v[116:117], v[112:113]
	v_fma_f64 v[110:111], -v[110:111], v[114:115], v[116:117]
	v_div_fmas_f64 v[110:111], v[110:111], v[112:113], v[114:115]
	v_div_fixup_f64 v[110:111], v[110:111], v[104:105], 1.0
	v_mul_f64 v[112:113], v[102:103], -v[110:111]
.LBB52_31:
	s_or_b64 exec, exec, s[8:9]
	v_mov_b32_e32 v123, v125
.LBB52_32:
	s_or_b64 exec, exec, s[0:1]
	v_cmp_ne_u32_e32 vcc, v120, v118
	s_and_saveexec_b64 s[0:1], vcc
	s_xor_b64 s[0:1], exec, s[0:1]
	s_cbranch_execz .LBB52_38
; %bb.33:
	v_cmp_eq_u32_e32 vcc, 1, v120
	s_and_saveexec_b64 s[8:9], vcc
	s_cbranch_execz .LBB52_37
; %bb.34:
	v_cmp_ne_u32_e32 vcc, 1, v118
	s_xor_b64 s[20:21], s[18:19], -1
	s_and_b64 s[24:25], s[20:21], vcc
	s_and_saveexec_b64 s[20:21], s[24:25]
	s_cbranch_execz .LBB52_36
; %bb.35:
	v_ashrrev_i32_e32 v119, 31, v118
	v_lshlrev_b64 v[102:103], 2, v[118:119]
	s_waitcnt vmcnt(1)
	v_add_co_u32_e32 v102, vcc, v126, v102
	s_waitcnt vmcnt(0)
	v_addc_co_u32_e32 v103, vcc, v127, v103, vcc
	global_load_dword v0, v[102:103], off
	global_load_dword v104, v[126:127], off offset:4
	s_waitcnt vmcnt(1)
	global_store_dword v[126:127], v0, off offset:4
	s_waitcnt vmcnt(1)
	global_store_dword v[102:103], v104, off
.LBB52_36:
	s_or_b64 exec, exec, s[20:21]
	v_mov_b32_e32 v120, v118
	v_mov_b32_e32 v0, v118
.LBB52_37:
	s_or_b64 exec, exec, s[8:9]
.LBB52_38:
	s_andn2_saveexec_b64 s[0:1], s[0:1]
	s_cbranch_execz .LBB52_40
; %bb.39:
	v_mov_b32_e32 v120, 1
	ds_write2_b64 v1, v[94:95], v[96:97] offset0:4 offset1:5
	ds_write2_b64 v1, v[90:91], v[92:93] offset0:6 offset1:7
	;; [unrolled: 1-line block ×25, first 2 shown]
.LBB52_40:
	s_or_b64 exec, exec, s[0:1]
	v_cmp_lt_i32_e32 vcc, 1, v120
	s_waitcnt vmcnt(0) lgkmcnt(0)
	s_barrier
	s_and_saveexec_b64 s[0:1], vcc
	s_cbranch_execz .LBB52_42
; %bb.41:
	v_mul_f64 v[102:103], v[112:113], v[100:101]
	v_mul_f64 v[100:101], v[110:111], v[100:101]
	v_fma_f64 v[118:119], v[110:111], v[98:99], -v[102:103]
	v_fma_f64 v[100:101], v[112:113], v[98:99], v[100:101]
	ds_read2_b64 v[110:113], v1 offset0:4 offset1:5
	s_waitcnt lgkmcnt(0)
	v_mul_f64 v[98:99], v[112:113], v[100:101]
	v_mul_f64 v[102:103], v[110:111], v[100:101]
	v_fma_f64 v[98:99], v[110:111], v[118:119], -v[98:99]
	v_fma_f64 v[102:103], v[112:113], v[118:119], v[102:103]
	ds_read2_b64 v[110:113], v1 offset0:6 offset1:7
	v_add_f64 v[94:95], v[94:95], -v[98:99]
	v_add_f64 v[96:97], v[96:97], -v[102:103]
	s_waitcnt lgkmcnt(0)
	v_mul_f64 v[98:99], v[112:113], v[100:101]
	v_mul_f64 v[102:103], v[110:111], v[100:101]
	v_fma_f64 v[98:99], v[110:111], v[118:119], -v[98:99]
	v_fma_f64 v[102:103], v[112:113], v[118:119], v[102:103]
	ds_read2_b64 v[110:113], v1 offset0:8 offset1:9
	v_add_f64 v[90:91], v[90:91], -v[98:99]
	v_add_f64 v[92:93], v[92:93], -v[102:103]
	s_waitcnt lgkmcnt(0)
	v_mul_f64 v[98:99], v[112:113], v[100:101]
	v_mul_f64 v[102:103], v[110:111], v[100:101]
	v_fma_f64 v[98:99], v[110:111], v[118:119], -v[98:99]
	v_fma_f64 v[102:103], v[112:113], v[118:119], v[102:103]
	ds_read2_b64 v[110:113], v1 offset0:10 offset1:11
	v_add_f64 v[86:87], v[86:87], -v[98:99]
	v_add_f64 v[88:89], v[88:89], -v[102:103]
	s_waitcnt lgkmcnt(0)
	v_mul_f64 v[98:99], v[112:113], v[100:101]
	v_mul_f64 v[102:103], v[110:111], v[100:101]
	v_fma_f64 v[98:99], v[110:111], v[118:119], -v[98:99]
	v_fma_f64 v[102:103], v[112:113], v[118:119], v[102:103]
	ds_read2_b64 v[110:113], v1 offset0:12 offset1:13
	v_add_f64 v[82:83], v[82:83], -v[98:99]
	v_add_f64 v[84:85], v[84:85], -v[102:103]
	s_waitcnt lgkmcnt(0)
	v_mul_f64 v[98:99], v[112:113], v[100:101]
	v_mul_f64 v[102:103], v[110:111], v[100:101]
	v_fma_f64 v[98:99], v[110:111], v[118:119], -v[98:99]
	v_fma_f64 v[102:103], v[112:113], v[118:119], v[102:103]
	ds_read2_b64 v[110:113], v1 offset0:14 offset1:15
	v_add_f64 v[78:79], v[78:79], -v[98:99]
	v_add_f64 v[80:81], v[80:81], -v[102:103]
	s_waitcnt lgkmcnt(0)
	v_mul_f64 v[98:99], v[112:113], v[100:101]
	v_mul_f64 v[102:103], v[110:111], v[100:101]
	v_fma_f64 v[98:99], v[110:111], v[118:119], -v[98:99]
	v_fma_f64 v[102:103], v[112:113], v[118:119], v[102:103]
	ds_read2_b64 v[110:113], v1 offset0:16 offset1:17
	v_add_f64 v[74:75], v[74:75], -v[98:99]
	v_add_f64 v[76:77], v[76:77], -v[102:103]
	s_waitcnt lgkmcnt(0)
	v_mul_f64 v[98:99], v[112:113], v[100:101]
	v_mul_f64 v[102:103], v[110:111], v[100:101]
	v_fma_f64 v[98:99], v[110:111], v[118:119], -v[98:99]
	v_fma_f64 v[102:103], v[112:113], v[118:119], v[102:103]
	ds_read2_b64 v[110:113], v1 offset0:18 offset1:19
	v_add_f64 v[70:71], v[70:71], -v[98:99]
	v_add_f64 v[72:73], v[72:73], -v[102:103]
	s_waitcnt lgkmcnt(0)
	v_mul_f64 v[98:99], v[112:113], v[100:101]
	v_mul_f64 v[102:103], v[110:111], v[100:101]
	v_fma_f64 v[98:99], v[110:111], v[118:119], -v[98:99]
	v_fma_f64 v[102:103], v[112:113], v[118:119], v[102:103]
	ds_read2_b64 v[110:113], v1 offset0:20 offset1:21
	v_add_f64 v[66:67], v[66:67], -v[98:99]
	v_add_f64 v[68:69], v[68:69], -v[102:103]
	s_waitcnt lgkmcnt(0)
	v_mul_f64 v[98:99], v[112:113], v[100:101]
	v_mul_f64 v[102:103], v[110:111], v[100:101]
	v_fma_f64 v[98:99], v[110:111], v[118:119], -v[98:99]
	v_fma_f64 v[102:103], v[112:113], v[118:119], v[102:103]
	ds_read2_b64 v[110:113], v1 offset0:22 offset1:23
	v_add_f64 v[62:63], v[62:63], -v[98:99]
	v_add_f64 v[64:65], v[64:65], -v[102:103]
	s_waitcnt lgkmcnt(0)
	v_mul_f64 v[98:99], v[112:113], v[100:101]
	v_mul_f64 v[102:103], v[110:111], v[100:101]
	v_fma_f64 v[98:99], v[110:111], v[118:119], -v[98:99]
	v_fma_f64 v[102:103], v[112:113], v[118:119], v[102:103]
	ds_read2_b64 v[110:113], v1 offset0:24 offset1:25
	v_add_f64 v[58:59], v[58:59], -v[98:99]
	v_add_f64 v[60:61], v[60:61], -v[102:103]
	s_waitcnt lgkmcnt(0)
	v_mul_f64 v[98:99], v[112:113], v[100:101]
	v_mul_f64 v[102:103], v[110:111], v[100:101]
	v_fma_f64 v[98:99], v[110:111], v[118:119], -v[98:99]
	v_fma_f64 v[102:103], v[112:113], v[118:119], v[102:103]
	ds_read2_b64 v[110:113], v1 offset0:26 offset1:27
	v_add_f64 v[54:55], v[54:55], -v[98:99]
	v_add_f64 v[56:57], v[56:57], -v[102:103]
	s_waitcnt lgkmcnt(0)
	v_mul_f64 v[98:99], v[112:113], v[100:101]
	v_mul_f64 v[102:103], v[110:111], v[100:101]
	v_fma_f64 v[98:99], v[110:111], v[118:119], -v[98:99]
	v_fma_f64 v[102:103], v[112:113], v[118:119], v[102:103]
	ds_read2_b64 v[110:113], v1 offset0:28 offset1:29
	v_add_f64 v[50:51], v[50:51], -v[98:99]
	v_add_f64 v[52:53], v[52:53], -v[102:103]
	s_waitcnt lgkmcnt(0)
	v_mul_f64 v[98:99], v[112:113], v[100:101]
	v_mul_f64 v[102:103], v[110:111], v[100:101]
	v_fma_f64 v[98:99], v[110:111], v[118:119], -v[98:99]
	v_fma_f64 v[102:103], v[112:113], v[118:119], v[102:103]
	ds_read2_b64 v[110:113], v1 offset0:30 offset1:31
	v_add_f64 v[46:47], v[46:47], -v[98:99]
	v_add_f64 v[48:49], v[48:49], -v[102:103]
	s_waitcnt lgkmcnt(0)
	v_mul_f64 v[98:99], v[112:113], v[100:101]
	v_mul_f64 v[102:103], v[110:111], v[100:101]
	v_fma_f64 v[98:99], v[110:111], v[118:119], -v[98:99]
	v_fma_f64 v[102:103], v[112:113], v[118:119], v[102:103]
	ds_read2_b64 v[110:113], v1 offset0:32 offset1:33
	v_add_f64 v[42:43], v[42:43], -v[98:99]
	v_add_f64 v[44:45], v[44:45], -v[102:103]
	s_waitcnt lgkmcnt(0)
	v_mul_f64 v[98:99], v[112:113], v[100:101]
	v_mul_f64 v[102:103], v[110:111], v[100:101]
	v_fma_f64 v[98:99], v[110:111], v[118:119], -v[98:99]
	v_fma_f64 v[102:103], v[112:113], v[118:119], v[102:103]
	ds_read2_b64 v[110:113], v1 offset0:34 offset1:35
	v_add_f64 v[38:39], v[38:39], -v[98:99]
	v_add_f64 v[40:41], v[40:41], -v[102:103]
	s_waitcnt lgkmcnt(0)
	v_mul_f64 v[98:99], v[112:113], v[100:101]
	v_mul_f64 v[102:103], v[110:111], v[100:101]
	v_fma_f64 v[98:99], v[110:111], v[118:119], -v[98:99]
	v_fma_f64 v[102:103], v[112:113], v[118:119], v[102:103]
	ds_read2_b64 v[110:113], v1 offset0:36 offset1:37
	v_add_f64 v[34:35], v[34:35], -v[98:99]
	v_add_f64 v[36:37], v[36:37], -v[102:103]
	s_waitcnt lgkmcnt(0)
	v_mul_f64 v[98:99], v[112:113], v[100:101]
	v_mul_f64 v[102:103], v[110:111], v[100:101]
	v_fma_f64 v[98:99], v[110:111], v[118:119], -v[98:99]
	v_fma_f64 v[102:103], v[112:113], v[118:119], v[102:103]
	ds_read2_b64 v[110:113], v1 offset0:38 offset1:39
	v_add_f64 v[30:31], v[30:31], -v[98:99]
	v_add_f64 v[32:33], v[32:33], -v[102:103]
	s_waitcnt lgkmcnt(0)
	v_mul_f64 v[98:99], v[112:113], v[100:101]
	v_mul_f64 v[102:103], v[110:111], v[100:101]
	v_fma_f64 v[98:99], v[110:111], v[118:119], -v[98:99]
	v_fma_f64 v[102:103], v[112:113], v[118:119], v[102:103]
	ds_read2_b64 v[110:113], v1 offset0:40 offset1:41
	v_add_f64 v[26:27], v[26:27], -v[98:99]
	v_add_f64 v[28:29], v[28:29], -v[102:103]
	s_waitcnt lgkmcnt(0)
	v_mul_f64 v[98:99], v[112:113], v[100:101]
	v_mul_f64 v[102:103], v[110:111], v[100:101]
	v_fma_f64 v[98:99], v[110:111], v[118:119], -v[98:99]
	v_fma_f64 v[102:103], v[112:113], v[118:119], v[102:103]
	ds_read2_b64 v[110:113], v1 offset0:42 offset1:43
	v_add_f64 v[22:23], v[22:23], -v[98:99]
	v_add_f64 v[24:25], v[24:25], -v[102:103]
	s_waitcnt lgkmcnt(0)
	v_mul_f64 v[98:99], v[112:113], v[100:101]
	v_mul_f64 v[102:103], v[110:111], v[100:101]
	v_fma_f64 v[98:99], v[110:111], v[118:119], -v[98:99]
	v_fma_f64 v[102:103], v[112:113], v[118:119], v[102:103]
	ds_read2_b64 v[110:113], v1 offset0:44 offset1:45
	v_add_f64 v[18:19], v[18:19], -v[98:99]
	v_add_f64 v[20:21], v[20:21], -v[102:103]
	s_waitcnt lgkmcnt(0)
	v_mul_f64 v[98:99], v[112:113], v[100:101]
	v_mul_f64 v[102:103], v[110:111], v[100:101]
	v_fma_f64 v[98:99], v[110:111], v[118:119], -v[98:99]
	v_fma_f64 v[102:103], v[112:113], v[118:119], v[102:103]
	ds_read2_b64 v[110:113], v1 offset0:46 offset1:47
	v_add_f64 v[14:15], v[14:15], -v[98:99]
	v_add_f64 v[16:17], v[16:17], -v[102:103]
	s_waitcnt lgkmcnt(0)
	v_mul_f64 v[98:99], v[112:113], v[100:101]
	v_mul_f64 v[102:103], v[110:111], v[100:101]
	v_fma_f64 v[98:99], v[110:111], v[118:119], -v[98:99]
	v_fma_f64 v[102:103], v[112:113], v[118:119], v[102:103]
	ds_read2_b64 v[110:113], v1 offset0:48 offset1:49
	v_add_f64 v[10:11], v[10:11], -v[98:99]
	v_add_f64 v[12:13], v[12:13], -v[102:103]
	s_waitcnt lgkmcnt(0)
	v_mul_f64 v[98:99], v[112:113], v[100:101]
	v_mul_f64 v[102:103], v[110:111], v[100:101]
	v_fma_f64 v[98:99], v[110:111], v[118:119], -v[98:99]
	v_fma_f64 v[102:103], v[112:113], v[118:119], v[102:103]
	ds_read2_b64 v[110:113], v1 offset0:50 offset1:51
	v_add_f64 v[6:7], v[6:7], -v[98:99]
	v_add_f64 v[8:9], v[8:9], -v[102:103]
	s_waitcnt lgkmcnt(0)
	v_mul_f64 v[98:99], v[112:113], v[100:101]
	v_mul_f64 v[102:103], v[110:111], v[100:101]
	v_fma_f64 v[98:99], v[110:111], v[118:119], -v[98:99]
	v_fma_f64 v[102:103], v[112:113], v[118:119], v[102:103]
	ds_read2_b64 v[110:113], v1 offset0:52 offset1:53
	v_add_f64 v[2:3], v[2:3], -v[98:99]
	v_add_f64 v[4:5], v[4:5], -v[102:103]
	s_waitcnt lgkmcnt(0)
	v_mul_f64 v[98:99], v[112:113], v[100:101]
	v_mul_f64 v[102:103], v[110:111], v[100:101]
	v_fma_f64 v[98:99], v[110:111], v[118:119], -v[98:99]
	v_fma_f64 v[102:103], v[112:113], v[118:119], v[102:103]
	v_add_f64 v[106:107], v[106:107], -v[98:99]
	v_add_f64 v[108:109], v[108:109], -v[102:103]
	v_mov_b32_e32 v98, v118
	v_mov_b32_e32 v99, v119
.LBB52_42:
	s_or_b64 exec, exec, s[0:1]
	v_lshl_add_u32 v102, v120, 4, v1
	s_barrier
	ds_write2_b64 v102, v[94:95], v[96:97] offset1:1
	s_waitcnt lgkmcnt(0)
	s_barrier
	ds_read2_b64 v[110:113], v1 offset0:4 offset1:5
	s_cmp_lt_i32 s22, 4
	v_mov_b32_e32 v118, 2
	s_cbranch_scc1 .LBB52_46
; %bb.43:
	v_add3_u32 v119, v124, 0, 48
	s_mov_b32 s0, 3
	v_mov_b32_e32 v118, 2
.LBB52_44:                              ; =>This Inner Loop Header: Depth=1
	s_waitcnt lgkmcnt(0)
	v_cmp_gt_f64_e32 vcc, 0, v[110:111]
	v_xor_b32_e32 v102, 0x80000000, v111
	ds_read2_b64 v[114:117], v119 offset1:1
	v_xor_b32_e32 v104, 0x80000000, v113
	v_add_u32_e32 v119, 16, v119
	s_waitcnt lgkmcnt(0)
	v_xor_b32_e32 v125, 0x80000000, v117
	v_cndmask_b32_e32 v103, v111, v102, vcc
	v_cmp_gt_f64_e32 vcc, 0, v[112:113]
	v_mov_b32_e32 v102, v110
	v_cndmask_b32_e32 v105, v113, v104, vcc
	v_cmp_gt_f64_e32 vcc, 0, v[114:115]
	v_mov_b32_e32 v104, v112
	v_add_f64 v[102:103], v[102:103], v[104:105]
	v_xor_b32_e32 v104, 0x80000000, v115
	v_cndmask_b32_e32 v105, v115, v104, vcc
	v_cmp_gt_f64_e32 vcc, 0, v[116:117]
	v_mov_b32_e32 v104, v114
	v_cndmask_b32_e32 v126, v117, v125, vcc
	v_mov_b32_e32 v125, v116
	v_add_f64 v[104:105], v[104:105], v[125:126]
	v_cmp_lt_f64_e32 vcc, v[102:103], v[104:105]
	v_mov_b32_e32 v102, s0
	s_add_i32 s0, s0, 1
	s_cmp_lg_u32 s22, s0
	v_cndmask_b32_e32 v111, v111, v115, vcc
	v_cndmask_b32_e32 v110, v110, v114, vcc
	;; [unrolled: 1-line block ×5, first 2 shown]
	s_cbranch_scc1 .LBB52_44
; %bb.45:
	buffer_load_dword v126, off, s[28:31], 0 ; 4-byte Folded Reload
	buffer_load_dword v127, off, s[28:31], 0 offset:4 ; 4-byte Folded Reload
.LBB52_46:
	s_waitcnt lgkmcnt(0)
	v_cmp_eq_f64_e32 vcc, 0, v[110:111]
	v_cmp_eq_f64_e64 s[0:1], 0, v[112:113]
	s_and_b64 s[0:1], vcc, s[0:1]
	s_and_saveexec_b64 s[8:9], s[0:1]
	s_xor_b64 s[0:1], exec, s[8:9]
; %bb.47:
	v_cmp_ne_u32_e32 vcc, 0, v123
	v_cndmask_b32_e32 v123, 3, v123, vcc
; %bb.48:
	s_andn2_saveexec_b64 s[0:1], s[0:1]
	s_cbranch_execz .LBB52_54
; %bb.49:
	v_cmp_ngt_f64_e64 s[8:9], |v[110:111]|, |v[112:113]|
	s_and_saveexec_b64 s[20:21], s[8:9]
	s_xor_b64 s[8:9], exec, s[20:21]
	s_cbranch_execz .LBB52_51
; %bb.50:
	v_div_scale_f64 v[102:103], s[20:21], v[112:113], v[112:113], v[110:111]
	v_rcp_f64_e32 v[104:105], v[102:103]
	v_fma_f64 v[114:115], -v[102:103], v[104:105], 1.0
	v_fma_f64 v[104:105], v[104:105], v[114:115], v[104:105]
	v_div_scale_f64 v[114:115], vcc, v[110:111], v[112:113], v[110:111]
	v_fma_f64 v[116:117], -v[102:103], v[104:105], 1.0
	v_fma_f64 v[104:105], v[104:105], v[116:117], v[104:105]
	v_mul_f64 v[116:117], v[114:115], v[104:105]
	v_fma_f64 v[102:103], -v[102:103], v[116:117], v[114:115]
	v_div_fmas_f64 v[102:103], v[102:103], v[104:105], v[116:117]
	v_div_fixup_f64 v[102:103], v[102:103], v[112:113], v[110:111]
	v_fma_f64 v[104:105], v[110:111], v[102:103], v[112:113]
	v_div_scale_f64 v[110:111], s[20:21], v[104:105], v[104:105], 1.0
	v_div_scale_f64 v[116:117], vcc, 1.0, v[104:105], 1.0
	v_rcp_f64_e32 v[112:113], v[110:111]
	v_fma_f64 v[114:115], -v[110:111], v[112:113], 1.0
	v_fma_f64 v[112:113], v[112:113], v[114:115], v[112:113]
	v_fma_f64 v[114:115], -v[110:111], v[112:113], 1.0
	v_fma_f64 v[112:113], v[112:113], v[114:115], v[112:113]
	v_mul_f64 v[114:115], v[116:117], v[112:113]
	v_fma_f64 v[110:111], -v[110:111], v[114:115], v[116:117]
	v_div_fmas_f64 v[110:111], v[110:111], v[112:113], v[114:115]
	v_div_fixup_f64 v[112:113], v[110:111], v[104:105], 1.0
	v_mul_f64 v[110:111], v[102:103], v[112:113]
	v_xor_b32_e32 v113, 0x80000000, v113
.LBB52_51:
	s_andn2_saveexec_b64 s[8:9], s[8:9]
	s_cbranch_execz .LBB52_53
; %bb.52:
	v_div_scale_f64 v[102:103], s[20:21], v[110:111], v[110:111], v[112:113]
	v_rcp_f64_e32 v[104:105], v[102:103]
	v_fma_f64 v[114:115], -v[102:103], v[104:105], 1.0
	v_fma_f64 v[104:105], v[104:105], v[114:115], v[104:105]
	v_div_scale_f64 v[114:115], vcc, v[112:113], v[110:111], v[112:113]
	v_fma_f64 v[116:117], -v[102:103], v[104:105], 1.0
	v_fma_f64 v[104:105], v[104:105], v[116:117], v[104:105]
	v_mul_f64 v[116:117], v[114:115], v[104:105]
	v_fma_f64 v[102:103], -v[102:103], v[116:117], v[114:115]
	v_div_fmas_f64 v[102:103], v[102:103], v[104:105], v[116:117]
	v_div_fixup_f64 v[102:103], v[102:103], v[110:111], v[112:113]
	v_fma_f64 v[104:105], v[112:113], v[102:103], v[110:111]
	v_div_scale_f64 v[110:111], s[20:21], v[104:105], v[104:105], 1.0
	v_div_scale_f64 v[116:117], vcc, 1.0, v[104:105], 1.0
	v_rcp_f64_e32 v[112:113], v[110:111]
	v_fma_f64 v[114:115], -v[110:111], v[112:113], 1.0
	v_fma_f64 v[112:113], v[112:113], v[114:115], v[112:113]
	v_fma_f64 v[114:115], -v[110:111], v[112:113], 1.0
	v_fma_f64 v[112:113], v[112:113], v[114:115], v[112:113]
	v_mul_f64 v[114:115], v[116:117], v[112:113]
	v_fma_f64 v[110:111], -v[110:111], v[114:115], v[116:117]
	v_div_fmas_f64 v[110:111], v[110:111], v[112:113], v[114:115]
	v_div_fixup_f64 v[110:111], v[110:111], v[104:105], 1.0
	v_mul_f64 v[112:113], v[102:103], -v[110:111]
.LBB52_53:
	s_or_b64 exec, exec, s[8:9]
.LBB52_54:
	s_or_b64 exec, exec, s[0:1]
	v_cmp_ne_u32_e32 vcc, v120, v118
	s_and_saveexec_b64 s[0:1], vcc
	s_xor_b64 s[0:1], exec, s[0:1]
	s_cbranch_execz .LBB52_60
; %bb.55:
	v_cmp_eq_u32_e32 vcc, 2, v120
	s_and_saveexec_b64 s[8:9], vcc
	s_cbranch_execz .LBB52_59
; %bb.56:
	v_cmp_ne_u32_e32 vcc, 2, v118
	s_xor_b64 s[20:21], s[18:19], -1
	s_and_b64 s[24:25], s[20:21], vcc
	s_and_saveexec_b64 s[20:21], s[24:25]
	s_cbranch_execz .LBB52_58
; %bb.57:
	v_ashrrev_i32_e32 v119, 31, v118
	v_lshlrev_b64 v[102:103], 2, v[118:119]
	s_waitcnt vmcnt(1)
	v_add_co_u32_e32 v102, vcc, v126, v102
	s_waitcnt vmcnt(0)
	v_addc_co_u32_e32 v103, vcc, v127, v103, vcc
	global_load_dword v0, v[102:103], off
	global_load_dword v104, v[126:127], off offset:8
	s_waitcnt vmcnt(1)
	global_store_dword v[126:127], v0, off offset:8
	s_waitcnt vmcnt(1)
	global_store_dword v[102:103], v104, off
.LBB52_58:
	s_or_b64 exec, exec, s[20:21]
	v_mov_b32_e32 v120, v118
	v_mov_b32_e32 v0, v118
.LBB52_59:
	s_or_b64 exec, exec, s[8:9]
.LBB52_60:
	s_andn2_saveexec_b64 s[0:1], s[0:1]
	s_cbranch_execz .LBB52_62
; %bb.61:
	v_mov_b32_e32 v120, 2
	ds_write2_b64 v1, v[90:91], v[92:93] offset0:6 offset1:7
	ds_write2_b64 v1, v[86:87], v[88:89] offset0:8 offset1:9
	;; [unrolled: 1-line block ×24, first 2 shown]
.LBB52_62:
	s_or_b64 exec, exec, s[0:1]
	v_cmp_lt_i32_e32 vcc, 2, v120
	s_waitcnt vmcnt(0) lgkmcnt(0)
	s_barrier
	s_and_saveexec_b64 s[0:1], vcc
	s_cbranch_execz .LBB52_64
; %bb.63:
	v_mul_f64 v[102:103], v[112:113], v[96:97]
	v_mul_f64 v[96:97], v[110:111], v[96:97]
	v_fma_f64 v[118:119], v[110:111], v[94:95], -v[102:103]
	v_fma_f64 v[96:97], v[112:113], v[94:95], v[96:97]
	ds_read2_b64 v[110:113], v1 offset0:6 offset1:7
	s_waitcnt lgkmcnt(0)
	v_mul_f64 v[94:95], v[112:113], v[96:97]
	v_mul_f64 v[102:103], v[110:111], v[96:97]
	v_fma_f64 v[94:95], v[110:111], v[118:119], -v[94:95]
	v_fma_f64 v[102:103], v[112:113], v[118:119], v[102:103]
	ds_read2_b64 v[110:113], v1 offset0:8 offset1:9
	v_add_f64 v[90:91], v[90:91], -v[94:95]
	v_add_f64 v[92:93], v[92:93], -v[102:103]
	s_waitcnt lgkmcnt(0)
	v_mul_f64 v[94:95], v[112:113], v[96:97]
	v_mul_f64 v[102:103], v[110:111], v[96:97]
	v_fma_f64 v[94:95], v[110:111], v[118:119], -v[94:95]
	v_fma_f64 v[102:103], v[112:113], v[118:119], v[102:103]
	ds_read2_b64 v[110:113], v1 offset0:10 offset1:11
	v_add_f64 v[86:87], v[86:87], -v[94:95]
	v_add_f64 v[88:89], v[88:89], -v[102:103]
	;; [unrolled: 8-line block ×23, first 2 shown]
	s_waitcnt lgkmcnt(0)
	v_mul_f64 v[94:95], v[112:113], v[96:97]
	v_mul_f64 v[102:103], v[110:111], v[96:97]
	v_fma_f64 v[94:95], v[110:111], v[118:119], -v[94:95]
	v_fma_f64 v[102:103], v[112:113], v[118:119], v[102:103]
	v_add_f64 v[106:107], v[106:107], -v[94:95]
	v_add_f64 v[108:109], v[108:109], -v[102:103]
	v_mov_b32_e32 v94, v118
	v_mov_b32_e32 v95, v119
.LBB52_64:
	s_or_b64 exec, exec, s[0:1]
	v_lshl_add_u32 v102, v120, 4, v1
	s_barrier
	ds_write2_b64 v102, v[90:91], v[92:93] offset1:1
	s_waitcnt lgkmcnt(0)
	s_barrier
	ds_read2_b64 v[110:113], v1 offset0:6 offset1:7
	s_mov_b32 s0, 4
	s_cmp_lt_i32 s22, 5
	v_mov_b32_e32 v118, 3
	s_cbranch_scc1 .LBB52_67
; %bb.65:
	v_add3_u32 v119, v124, 0, 64
	v_mov_b32_e32 v118, 3
.LBB52_66:                              ; =>This Inner Loop Header: Depth=1
	s_waitcnt lgkmcnt(0)
	v_cmp_gt_f64_e32 vcc, 0, v[110:111]
	v_xor_b32_e32 v102, 0x80000000, v111
	ds_read2_b64 v[114:117], v119 offset1:1
	v_xor_b32_e32 v104, 0x80000000, v113
	v_add_u32_e32 v119, 16, v119
	s_waitcnt lgkmcnt(0)
	v_xor_b32_e32 v124, 0x80000000, v117
	v_cndmask_b32_e32 v103, v111, v102, vcc
	v_cmp_gt_f64_e32 vcc, 0, v[112:113]
	v_mov_b32_e32 v102, v110
	v_cndmask_b32_e32 v105, v113, v104, vcc
	v_cmp_gt_f64_e32 vcc, 0, v[114:115]
	v_mov_b32_e32 v104, v112
	v_add_f64 v[102:103], v[102:103], v[104:105]
	v_xor_b32_e32 v104, 0x80000000, v115
	v_cndmask_b32_e32 v105, v115, v104, vcc
	v_cmp_gt_f64_e32 vcc, 0, v[116:117]
	v_mov_b32_e32 v104, v114
	v_cndmask_b32_e32 v125, v117, v124, vcc
	v_mov_b32_e32 v124, v116
	v_add_f64 v[104:105], v[104:105], v[124:125]
	v_cmp_lt_f64_e32 vcc, v[102:103], v[104:105]
	v_mov_b32_e32 v102, s0
	s_add_i32 s0, s0, 1
	s_cmp_lg_u32 s22, s0
	v_cndmask_b32_e32 v111, v111, v115, vcc
	v_cndmask_b32_e32 v110, v110, v114, vcc
	;; [unrolled: 1-line block ×5, first 2 shown]
	s_cbranch_scc1 .LBB52_66
.LBB52_67:
	s_waitcnt lgkmcnt(0)
	v_cmp_eq_f64_e32 vcc, 0, v[110:111]
	v_cmp_eq_f64_e64 s[0:1], 0, v[112:113]
	s_and_b64 s[0:1], vcc, s[0:1]
	s_and_saveexec_b64 s[8:9], s[0:1]
	s_xor_b64 s[0:1], exec, s[8:9]
; %bb.68:
	v_cmp_ne_u32_e32 vcc, 0, v123
	v_cndmask_b32_e32 v123, 4, v123, vcc
; %bb.69:
	s_andn2_saveexec_b64 s[0:1], s[0:1]
	s_cbranch_execz .LBB52_75
; %bb.70:
	v_cmp_ngt_f64_e64 s[8:9], |v[110:111]|, |v[112:113]|
	s_and_saveexec_b64 s[20:21], s[8:9]
	s_xor_b64 s[8:9], exec, s[20:21]
	s_cbranch_execz .LBB52_72
; %bb.71:
	v_div_scale_f64 v[102:103], s[20:21], v[112:113], v[112:113], v[110:111]
	v_rcp_f64_e32 v[104:105], v[102:103]
	v_fma_f64 v[114:115], -v[102:103], v[104:105], 1.0
	v_fma_f64 v[104:105], v[104:105], v[114:115], v[104:105]
	v_div_scale_f64 v[114:115], vcc, v[110:111], v[112:113], v[110:111]
	v_fma_f64 v[116:117], -v[102:103], v[104:105], 1.0
	v_fma_f64 v[104:105], v[104:105], v[116:117], v[104:105]
	v_mul_f64 v[116:117], v[114:115], v[104:105]
	v_fma_f64 v[102:103], -v[102:103], v[116:117], v[114:115]
	v_div_fmas_f64 v[102:103], v[102:103], v[104:105], v[116:117]
	v_div_fixup_f64 v[102:103], v[102:103], v[112:113], v[110:111]
	v_fma_f64 v[104:105], v[110:111], v[102:103], v[112:113]
	v_div_scale_f64 v[110:111], s[20:21], v[104:105], v[104:105], 1.0
	v_div_scale_f64 v[116:117], vcc, 1.0, v[104:105], 1.0
	v_rcp_f64_e32 v[112:113], v[110:111]
	v_fma_f64 v[114:115], -v[110:111], v[112:113], 1.0
	v_fma_f64 v[112:113], v[112:113], v[114:115], v[112:113]
	v_fma_f64 v[114:115], -v[110:111], v[112:113], 1.0
	v_fma_f64 v[112:113], v[112:113], v[114:115], v[112:113]
	v_mul_f64 v[114:115], v[116:117], v[112:113]
	v_fma_f64 v[110:111], -v[110:111], v[114:115], v[116:117]
	v_div_fmas_f64 v[110:111], v[110:111], v[112:113], v[114:115]
	v_div_fixup_f64 v[112:113], v[110:111], v[104:105], 1.0
	v_mul_f64 v[110:111], v[102:103], v[112:113]
	v_xor_b32_e32 v113, 0x80000000, v113
.LBB52_72:
	s_andn2_saveexec_b64 s[8:9], s[8:9]
	s_cbranch_execz .LBB52_74
; %bb.73:
	v_div_scale_f64 v[102:103], s[20:21], v[110:111], v[110:111], v[112:113]
	v_rcp_f64_e32 v[104:105], v[102:103]
	v_fma_f64 v[114:115], -v[102:103], v[104:105], 1.0
	v_fma_f64 v[104:105], v[104:105], v[114:115], v[104:105]
	v_div_scale_f64 v[114:115], vcc, v[112:113], v[110:111], v[112:113]
	v_fma_f64 v[116:117], -v[102:103], v[104:105], 1.0
	v_fma_f64 v[104:105], v[104:105], v[116:117], v[104:105]
	v_mul_f64 v[116:117], v[114:115], v[104:105]
	v_fma_f64 v[102:103], -v[102:103], v[116:117], v[114:115]
	v_div_fmas_f64 v[102:103], v[102:103], v[104:105], v[116:117]
	v_div_fixup_f64 v[102:103], v[102:103], v[110:111], v[112:113]
	v_fma_f64 v[104:105], v[112:113], v[102:103], v[110:111]
	v_div_scale_f64 v[110:111], s[20:21], v[104:105], v[104:105], 1.0
	v_div_scale_f64 v[116:117], vcc, 1.0, v[104:105], 1.0
	v_rcp_f64_e32 v[112:113], v[110:111]
	v_fma_f64 v[114:115], -v[110:111], v[112:113], 1.0
	v_fma_f64 v[112:113], v[112:113], v[114:115], v[112:113]
	v_fma_f64 v[114:115], -v[110:111], v[112:113], 1.0
	v_fma_f64 v[112:113], v[112:113], v[114:115], v[112:113]
	v_mul_f64 v[114:115], v[116:117], v[112:113]
	v_fma_f64 v[110:111], -v[110:111], v[114:115], v[116:117]
	v_div_fmas_f64 v[110:111], v[110:111], v[112:113], v[114:115]
	v_div_fixup_f64 v[110:111], v[110:111], v[104:105], 1.0
	v_mul_f64 v[112:113], v[102:103], -v[110:111]
.LBB52_74:
	s_or_b64 exec, exec, s[8:9]
.LBB52_75:
	s_or_b64 exec, exec, s[0:1]
	v_cmp_ne_u32_e32 vcc, v120, v118
	s_and_saveexec_b64 s[0:1], vcc
	s_xor_b64 s[0:1], exec, s[0:1]
	s_cbranch_execz .LBB52_81
; %bb.76:
	v_cmp_eq_u32_e32 vcc, 3, v120
	s_and_saveexec_b64 s[8:9], vcc
	s_cbranch_execz .LBB52_80
; %bb.77:
	v_cmp_ne_u32_e32 vcc, 3, v118
	s_xor_b64 s[20:21], s[18:19], -1
	s_and_b64 s[24:25], s[20:21], vcc
	s_and_saveexec_b64 s[20:21], s[24:25]
	s_cbranch_execz .LBB52_79
; %bb.78:
	v_ashrrev_i32_e32 v119, 31, v118
	v_lshlrev_b64 v[102:103], 2, v[118:119]
	v_add_co_u32_e32 v102, vcc, v126, v102
	v_addc_co_u32_e32 v103, vcc, v127, v103, vcc
	global_load_dword v0, v[102:103], off
	global_load_dword v104, v[126:127], off offset:12
	s_waitcnt vmcnt(1)
	global_store_dword v[126:127], v0, off offset:12
	s_waitcnt vmcnt(1)
	global_store_dword v[102:103], v104, off
.LBB52_79:
	s_or_b64 exec, exec, s[20:21]
	v_mov_b32_e32 v120, v118
	v_mov_b32_e32 v0, v118
.LBB52_80:
	s_or_b64 exec, exec, s[8:9]
.LBB52_81:
	s_andn2_saveexec_b64 s[0:1], s[0:1]
	s_cbranch_execz .LBB52_83
; %bb.82:
	v_mov_b32_e32 v120, 3
	ds_write2_b64 v1, v[86:87], v[88:89] offset0:8 offset1:9
	ds_write2_b64 v1, v[82:83], v[84:85] offset0:10 offset1:11
	ds_write2_b64 v1, v[78:79], v[80:81] offset0:12 offset1:13
	ds_write2_b64 v1, v[74:75], v[76:77] offset0:14 offset1:15
	ds_write2_b64 v1, v[70:71], v[72:73] offset0:16 offset1:17
	ds_write2_b64 v1, v[66:67], v[68:69] offset0:18 offset1:19
	ds_write2_b64 v1, v[62:63], v[64:65] offset0:20 offset1:21
	ds_write2_b64 v1, v[58:59], v[60:61] offset0:22 offset1:23
	ds_write2_b64 v1, v[54:55], v[56:57] offset0:24 offset1:25
	ds_write2_b64 v1, v[50:51], v[52:53] offset0:26 offset1:27
	ds_write2_b64 v1, v[46:47], v[48:49] offset0:28 offset1:29
	ds_write2_b64 v1, v[42:43], v[44:45] offset0:30 offset1:31
	ds_write2_b64 v1, v[38:39], v[40:41] offset0:32 offset1:33
	ds_write2_b64 v1, v[34:35], v[36:37] offset0:34 offset1:35
	ds_write2_b64 v1, v[30:31], v[32:33] offset0:36 offset1:37
	ds_write2_b64 v1, v[26:27], v[28:29] offset0:38 offset1:39
	ds_write2_b64 v1, v[22:23], v[24:25] offset0:40 offset1:41
	ds_write2_b64 v1, v[18:19], v[20:21] offset0:42 offset1:43
	ds_write2_b64 v1, v[14:15], v[16:17] offset0:44 offset1:45
	ds_write2_b64 v1, v[10:11], v[12:13] offset0:46 offset1:47
	ds_write2_b64 v1, v[6:7], v[8:9] offset0:48 offset1:49
	ds_write2_b64 v1, v[2:3], v[4:5] offset0:50 offset1:51
	ds_write2_b64 v1, v[106:107], v[108:109] offset0:52 offset1:53
.LBB52_83:
	s_or_b64 exec, exec, s[0:1]
	v_cmp_lt_i32_e32 vcc, 3, v120
	s_waitcnt vmcnt(0) lgkmcnt(0)
	s_barrier
	s_and_saveexec_b64 s[0:1], vcc
	s_cbranch_execz .LBB52_85
; %bb.84:
	v_mul_f64 v[102:103], v[112:113], v[92:93]
	v_mul_f64 v[92:93], v[110:111], v[92:93]
	v_fma_f64 v[118:119], v[110:111], v[90:91], -v[102:103]
	v_fma_f64 v[92:93], v[112:113], v[90:91], v[92:93]
	ds_read2_b64 v[110:113], v1 offset0:8 offset1:9
	s_waitcnt lgkmcnt(0)
	v_mul_f64 v[90:91], v[112:113], v[92:93]
	v_mul_f64 v[102:103], v[110:111], v[92:93]
	v_fma_f64 v[90:91], v[110:111], v[118:119], -v[90:91]
	v_fma_f64 v[102:103], v[112:113], v[118:119], v[102:103]
	ds_read2_b64 v[110:113], v1 offset0:10 offset1:11
	v_add_f64 v[86:87], v[86:87], -v[90:91]
	v_add_f64 v[88:89], v[88:89], -v[102:103]
	s_waitcnt lgkmcnt(0)
	v_mul_f64 v[90:91], v[112:113], v[92:93]
	v_mul_f64 v[102:103], v[110:111], v[92:93]
	v_fma_f64 v[90:91], v[110:111], v[118:119], -v[90:91]
	v_fma_f64 v[102:103], v[112:113], v[118:119], v[102:103]
	ds_read2_b64 v[110:113], v1 offset0:12 offset1:13
	v_add_f64 v[82:83], v[82:83], -v[90:91]
	v_add_f64 v[84:85], v[84:85], -v[102:103]
	;; [unrolled: 8-line block ×22, first 2 shown]
	s_waitcnt lgkmcnt(0)
	v_mul_f64 v[90:91], v[112:113], v[92:93]
	v_mul_f64 v[102:103], v[110:111], v[92:93]
	v_fma_f64 v[90:91], v[110:111], v[118:119], -v[90:91]
	v_fma_f64 v[102:103], v[112:113], v[118:119], v[102:103]
	v_add_f64 v[106:107], v[106:107], -v[90:91]
	v_add_f64 v[108:109], v[108:109], -v[102:103]
	v_mov_b32_e32 v90, v118
	v_mov_b32_e32 v91, v119
.LBB52_85:
	s_or_b64 exec, exec, s[0:1]
	v_lshl_add_u32 v102, v120, 4, v1
	s_barrier
	ds_write2_b64 v102, v[86:87], v[88:89] offset1:1
	s_waitcnt lgkmcnt(0)
	s_barrier
	ds_read2_b64 v[110:113], v1 offset0:8 offset1:9
	s_cmp_lt_i32 s22, 6
	v_mov_b32_e32 v118, 4
	s_cbranch_scc1 .LBB52_88
; %bb.86:
	v_mov_b32_e32 v118, 4
	v_add_u32_e32 v119, 0x50, v1
	s_mov_b32 s0, 5
.LBB52_87:                              ; =>This Inner Loop Header: Depth=1
	s_waitcnt lgkmcnt(0)
	v_cmp_gt_f64_e32 vcc, 0, v[110:111]
	v_xor_b32_e32 v102, 0x80000000, v111
	ds_read2_b64 v[114:117], v119 offset1:1
	v_xor_b32_e32 v104, 0x80000000, v113
	v_add_u32_e32 v119, 16, v119
	s_waitcnt lgkmcnt(0)
	v_xor_b32_e32 v124, 0x80000000, v117
	v_cndmask_b32_e32 v103, v111, v102, vcc
	v_cmp_gt_f64_e32 vcc, 0, v[112:113]
	v_mov_b32_e32 v102, v110
	v_cndmask_b32_e32 v105, v113, v104, vcc
	v_cmp_gt_f64_e32 vcc, 0, v[114:115]
	v_mov_b32_e32 v104, v112
	v_add_f64 v[102:103], v[102:103], v[104:105]
	v_xor_b32_e32 v104, 0x80000000, v115
	v_cndmask_b32_e32 v105, v115, v104, vcc
	v_cmp_gt_f64_e32 vcc, 0, v[116:117]
	v_mov_b32_e32 v104, v114
	v_cndmask_b32_e32 v125, v117, v124, vcc
	v_mov_b32_e32 v124, v116
	v_add_f64 v[104:105], v[104:105], v[124:125]
	v_cmp_lt_f64_e32 vcc, v[102:103], v[104:105]
	v_mov_b32_e32 v102, s0
	s_add_i32 s0, s0, 1
	s_cmp_lg_u32 s22, s0
	v_cndmask_b32_e32 v111, v111, v115, vcc
	v_cndmask_b32_e32 v110, v110, v114, vcc
	;; [unrolled: 1-line block ×5, first 2 shown]
	s_cbranch_scc1 .LBB52_87
.LBB52_88:
	s_waitcnt lgkmcnt(0)
	v_cmp_eq_f64_e32 vcc, 0, v[110:111]
	v_cmp_eq_f64_e64 s[0:1], 0, v[112:113]
	s_and_b64 s[0:1], vcc, s[0:1]
	s_and_saveexec_b64 s[8:9], s[0:1]
	s_xor_b64 s[0:1], exec, s[8:9]
; %bb.89:
	v_cmp_ne_u32_e32 vcc, 0, v123
	v_cndmask_b32_e32 v123, 5, v123, vcc
; %bb.90:
	s_andn2_saveexec_b64 s[0:1], s[0:1]
	s_cbranch_execz .LBB52_96
; %bb.91:
	v_cmp_ngt_f64_e64 s[8:9], |v[110:111]|, |v[112:113]|
	s_and_saveexec_b64 s[20:21], s[8:9]
	s_xor_b64 s[8:9], exec, s[20:21]
	s_cbranch_execz .LBB52_93
; %bb.92:
	v_div_scale_f64 v[102:103], s[20:21], v[112:113], v[112:113], v[110:111]
	v_rcp_f64_e32 v[104:105], v[102:103]
	v_fma_f64 v[114:115], -v[102:103], v[104:105], 1.0
	v_fma_f64 v[104:105], v[104:105], v[114:115], v[104:105]
	v_div_scale_f64 v[114:115], vcc, v[110:111], v[112:113], v[110:111]
	v_fma_f64 v[116:117], -v[102:103], v[104:105], 1.0
	v_fma_f64 v[104:105], v[104:105], v[116:117], v[104:105]
	v_mul_f64 v[116:117], v[114:115], v[104:105]
	v_fma_f64 v[102:103], -v[102:103], v[116:117], v[114:115]
	v_div_fmas_f64 v[102:103], v[102:103], v[104:105], v[116:117]
	v_div_fixup_f64 v[102:103], v[102:103], v[112:113], v[110:111]
	v_fma_f64 v[104:105], v[110:111], v[102:103], v[112:113]
	v_div_scale_f64 v[110:111], s[20:21], v[104:105], v[104:105], 1.0
	v_div_scale_f64 v[116:117], vcc, 1.0, v[104:105], 1.0
	v_rcp_f64_e32 v[112:113], v[110:111]
	v_fma_f64 v[114:115], -v[110:111], v[112:113], 1.0
	v_fma_f64 v[112:113], v[112:113], v[114:115], v[112:113]
	v_fma_f64 v[114:115], -v[110:111], v[112:113], 1.0
	v_fma_f64 v[112:113], v[112:113], v[114:115], v[112:113]
	v_mul_f64 v[114:115], v[116:117], v[112:113]
	v_fma_f64 v[110:111], -v[110:111], v[114:115], v[116:117]
	v_div_fmas_f64 v[110:111], v[110:111], v[112:113], v[114:115]
	v_div_fixup_f64 v[112:113], v[110:111], v[104:105], 1.0
	v_mul_f64 v[110:111], v[102:103], v[112:113]
	v_xor_b32_e32 v113, 0x80000000, v113
.LBB52_93:
	s_andn2_saveexec_b64 s[8:9], s[8:9]
	s_cbranch_execz .LBB52_95
; %bb.94:
	v_div_scale_f64 v[102:103], s[20:21], v[110:111], v[110:111], v[112:113]
	v_rcp_f64_e32 v[104:105], v[102:103]
	v_fma_f64 v[114:115], -v[102:103], v[104:105], 1.0
	v_fma_f64 v[104:105], v[104:105], v[114:115], v[104:105]
	v_div_scale_f64 v[114:115], vcc, v[112:113], v[110:111], v[112:113]
	v_fma_f64 v[116:117], -v[102:103], v[104:105], 1.0
	v_fma_f64 v[104:105], v[104:105], v[116:117], v[104:105]
	v_mul_f64 v[116:117], v[114:115], v[104:105]
	v_fma_f64 v[102:103], -v[102:103], v[116:117], v[114:115]
	v_div_fmas_f64 v[102:103], v[102:103], v[104:105], v[116:117]
	v_div_fixup_f64 v[102:103], v[102:103], v[110:111], v[112:113]
	v_fma_f64 v[104:105], v[112:113], v[102:103], v[110:111]
	v_div_scale_f64 v[110:111], s[20:21], v[104:105], v[104:105], 1.0
	v_div_scale_f64 v[116:117], vcc, 1.0, v[104:105], 1.0
	v_rcp_f64_e32 v[112:113], v[110:111]
	v_fma_f64 v[114:115], -v[110:111], v[112:113], 1.0
	v_fma_f64 v[112:113], v[112:113], v[114:115], v[112:113]
	v_fma_f64 v[114:115], -v[110:111], v[112:113], 1.0
	v_fma_f64 v[112:113], v[112:113], v[114:115], v[112:113]
	v_mul_f64 v[114:115], v[116:117], v[112:113]
	v_fma_f64 v[110:111], -v[110:111], v[114:115], v[116:117]
	v_div_fmas_f64 v[110:111], v[110:111], v[112:113], v[114:115]
	v_div_fixup_f64 v[110:111], v[110:111], v[104:105], 1.0
	v_mul_f64 v[112:113], v[102:103], -v[110:111]
.LBB52_95:
	s_or_b64 exec, exec, s[8:9]
.LBB52_96:
	s_or_b64 exec, exec, s[0:1]
	v_cmp_ne_u32_e32 vcc, v120, v118
	s_and_saveexec_b64 s[0:1], vcc
	s_xor_b64 s[0:1], exec, s[0:1]
	s_cbranch_execz .LBB52_102
; %bb.97:
	v_cmp_eq_u32_e32 vcc, 4, v120
	s_and_saveexec_b64 s[8:9], vcc
	s_cbranch_execz .LBB52_101
; %bb.98:
	v_cmp_ne_u32_e32 vcc, 4, v118
	s_xor_b64 s[20:21], s[18:19], -1
	s_and_b64 s[24:25], s[20:21], vcc
	s_and_saveexec_b64 s[20:21], s[24:25]
	s_cbranch_execz .LBB52_100
; %bb.99:
	v_ashrrev_i32_e32 v119, 31, v118
	v_lshlrev_b64 v[102:103], 2, v[118:119]
	v_add_co_u32_e32 v102, vcc, v126, v102
	v_addc_co_u32_e32 v103, vcc, v127, v103, vcc
	global_load_dword v0, v[102:103], off
	global_load_dword v104, v[126:127], off offset:16
	s_waitcnt vmcnt(1)
	global_store_dword v[126:127], v0, off offset:16
	s_waitcnt vmcnt(1)
	global_store_dword v[102:103], v104, off
.LBB52_100:
	s_or_b64 exec, exec, s[20:21]
	v_mov_b32_e32 v120, v118
	v_mov_b32_e32 v0, v118
.LBB52_101:
	s_or_b64 exec, exec, s[8:9]
.LBB52_102:
	s_andn2_saveexec_b64 s[0:1], s[0:1]
	s_cbranch_execz .LBB52_104
; %bb.103:
	v_mov_b32_e32 v120, 4
	ds_write2_b64 v1, v[82:83], v[84:85] offset0:10 offset1:11
	ds_write2_b64 v1, v[78:79], v[80:81] offset0:12 offset1:13
	;; [unrolled: 1-line block ×22, first 2 shown]
.LBB52_104:
	s_or_b64 exec, exec, s[0:1]
	v_cmp_lt_i32_e32 vcc, 4, v120
	s_waitcnt vmcnt(0) lgkmcnt(0)
	s_barrier
	s_and_saveexec_b64 s[0:1], vcc
	s_cbranch_execz .LBB52_106
; %bb.105:
	v_mul_f64 v[102:103], v[112:113], v[88:89]
	v_mul_f64 v[88:89], v[110:111], v[88:89]
	v_fma_f64 v[118:119], v[110:111], v[86:87], -v[102:103]
	v_fma_f64 v[88:89], v[112:113], v[86:87], v[88:89]
	ds_read2_b64 v[110:113], v1 offset0:10 offset1:11
	s_waitcnt lgkmcnt(0)
	v_mul_f64 v[86:87], v[112:113], v[88:89]
	v_mul_f64 v[102:103], v[110:111], v[88:89]
	v_fma_f64 v[86:87], v[110:111], v[118:119], -v[86:87]
	v_fma_f64 v[102:103], v[112:113], v[118:119], v[102:103]
	ds_read2_b64 v[110:113], v1 offset0:12 offset1:13
	v_add_f64 v[82:83], v[82:83], -v[86:87]
	v_add_f64 v[84:85], v[84:85], -v[102:103]
	s_waitcnt lgkmcnt(0)
	v_mul_f64 v[86:87], v[112:113], v[88:89]
	v_mul_f64 v[102:103], v[110:111], v[88:89]
	v_fma_f64 v[86:87], v[110:111], v[118:119], -v[86:87]
	v_fma_f64 v[102:103], v[112:113], v[118:119], v[102:103]
	ds_read2_b64 v[110:113], v1 offset0:14 offset1:15
	v_add_f64 v[78:79], v[78:79], -v[86:87]
	v_add_f64 v[80:81], v[80:81], -v[102:103]
	;; [unrolled: 8-line block ×21, first 2 shown]
	s_waitcnt lgkmcnt(0)
	v_mul_f64 v[86:87], v[112:113], v[88:89]
	v_mul_f64 v[102:103], v[110:111], v[88:89]
	v_fma_f64 v[86:87], v[110:111], v[118:119], -v[86:87]
	v_fma_f64 v[102:103], v[112:113], v[118:119], v[102:103]
	v_add_f64 v[106:107], v[106:107], -v[86:87]
	v_add_f64 v[108:109], v[108:109], -v[102:103]
	v_mov_b32_e32 v86, v118
	v_mov_b32_e32 v87, v119
.LBB52_106:
	s_or_b64 exec, exec, s[0:1]
	v_lshl_add_u32 v102, v120, 4, v1
	s_barrier
	ds_write2_b64 v102, v[82:83], v[84:85] offset1:1
	s_waitcnt lgkmcnt(0)
	s_barrier
	ds_read2_b64 v[110:113], v1 offset0:10 offset1:11
	s_cmp_lt_i32 s22, 7
	v_mov_b32_e32 v118, 5
	s_cbranch_scc1 .LBB52_109
; %bb.107:
	v_add_u32_e32 v119, 0x60, v1
	s_mov_b32 s0, 6
	v_mov_b32_e32 v118, 5
.LBB52_108:                             ; =>This Inner Loop Header: Depth=1
	s_waitcnt lgkmcnt(0)
	v_cmp_gt_f64_e32 vcc, 0, v[110:111]
	v_xor_b32_e32 v102, 0x80000000, v111
	ds_read2_b64 v[114:117], v119 offset1:1
	v_xor_b32_e32 v104, 0x80000000, v113
	v_add_u32_e32 v119, 16, v119
	s_waitcnt lgkmcnt(0)
	v_xor_b32_e32 v124, 0x80000000, v117
	v_cndmask_b32_e32 v103, v111, v102, vcc
	v_cmp_gt_f64_e32 vcc, 0, v[112:113]
	v_mov_b32_e32 v102, v110
	v_cndmask_b32_e32 v105, v113, v104, vcc
	v_cmp_gt_f64_e32 vcc, 0, v[114:115]
	v_mov_b32_e32 v104, v112
	v_add_f64 v[102:103], v[102:103], v[104:105]
	v_xor_b32_e32 v104, 0x80000000, v115
	v_cndmask_b32_e32 v105, v115, v104, vcc
	v_cmp_gt_f64_e32 vcc, 0, v[116:117]
	v_mov_b32_e32 v104, v114
	v_cndmask_b32_e32 v125, v117, v124, vcc
	v_mov_b32_e32 v124, v116
	v_add_f64 v[104:105], v[104:105], v[124:125]
	v_cmp_lt_f64_e32 vcc, v[102:103], v[104:105]
	v_mov_b32_e32 v102, s0
	s_add_i32 s0, s0, 1
	s_cmp_lg_u32 s22, s0
	v_cndmask_b32_e32 v111, v111, v115, vcc
	v_cndmask_b32_e32 v110, v110, v114, vcc
	v_cndmask_b32_e32 v113, v113, v117, vcc
	v_cndmask_b32_e32 v112, v112, v116, vcc
	v_cndmask_b32_e32 v118, v118, v102, vcc
	s_cbranch_scc1 .LBB52_108
.LBB52_109:
	s_waitcnt lgkmcnt(0)
	v_cmp_eq_f64_e32 vcc, 0, v[110:111]
	v_cmp_eq_f64_e64 s[0:1], 0, v[112:113]
	s_and_b64 s[0:1], vcc, s[0:1]
	s_and_saveexec_b64 s[8:9], s[0:1]
	s_xor_b64 s[0:1], exec, s[8:9]
; %bb.110:
	v_cmp_ne_u32_e32 vcc, 0, v123
	v_cndmask_b32_e32 v123, 6, v123, vcc
; %bb.111:
	s_andn2_saveexec_b64 s[0:1], s[0:1]
	s_cbranch_execz .LBB52_117
; %bb.112:
	v_cmp_ngt_f64_e64 s[8:9], |v[110:111]|, |v[112:113]|
	s_and_saveexec_b64 s[20:21], s[8:9]
	s_xor_b64 s[8:9], exec, s[20:21]
	s_cbranch_execz .LBB52_114
; %bb.113:
	v_div_scale_f64 v[102:103], s[20:21], v[112:113], v[112:113], v[110:111]
	v_rcp_f64_e32 v[104:105], v[102:103]
	v_fma_f64 v[114:115], -v[102:103], v[104:105], 1.0
	v_fma_f64 v[104:105], v[104:105], v[114:115], v[104:105]
	v_div_scale_f64 v[114:115], vcc, v[110:111], v[112:113], v[110:111]
	v_fma_f64 v[116:117], -v[102:103], v[104:105], 1.0
	v_fma_f64 v[104:105], v[104:105], v[116:117], v[104:105]
	v_mul_f64 v[116:117], v[114:115], v[104:105]
	v_fma_f64 v[102:103], -v[102:103], v[116:117], v[114:115]
	v_div_fmas_f64 v[102:103], v[102:103], v[104:105], v[116:117]
	v_div_fixup_f64 v[102:103], v[102:103], v[112:113], v[110:111]
	v_fma_f64 v[104:105], v[110:111], v[102:103], v[112:113]
	v_div_scale_f64 v[110:111], s[20:21], v[104:105], v[104:105], 1.0
	v_div_scale_f64 v[116:117], vcc, 1.0, v[104:105], 1.0
	v_rcp_f64_e32 v[112:113], v[110:111]
	v_fma_f64 v[114:115], -v[110:111], v[112:113], 1.0
	v_fma_f64 v[112:113], v[112:113], v[114:115], v[112:113]
	v_fma_f64 v[114:115], -v[110:111], v[112:113], 1.0
	v_fma_f64 v[112:113], v[112:113], v[114:115], v[112:113]
	v_mul_f64 v[114:115], v[116:117], v[112:113]
	v_fma_f64 v[110:111], -v[110:111], v[114:115], v[116:117]
	v_div_fmas_f64 v[110:111], v[110:111], v[112:113], v[114:115]
	v_div_fixup_f64 v[112:113], v[110:111], v[104:105], 1.0
	v_mul_f64 v[110:111], v[102:103], v[112:113]
	v_xor_b32_e32 v113, 0x80000000, v113
.LBB52_114:
	s_andn2_saveexec_b64 s[8:9], s[8:9]
	s_cbranch_execz .LBB52_116
; %bb.115:
	v_div_scale_f64 v[102:103], s[20:21], v[110:111], v[110:111], v[112:113]
	v_rcp_f64_e32 v[104:105], v[102:103]
	v_fma_f64 v[114:115], -v[102:103], v[104:105], 1.0
	v_fma_f64 v[104:105], v[104:105], v[114:115], v[104:105]
	v_div_scale_f64 v[114:115], vcc, v[112:113], v[110:111], v[112:113]
	v_fma_f64 v[116:117], -v[102:103], v[104:105], 1.0
	v_fma_f64 v[104:105], v[104:105], v[116:117], v[104:105]
	v_mul_f64 v[116:117], v[114:115], v[104:105]
	v_fma_f64 v[102:103], -v[102:103], v[116:117], v[114:115]
	v_div_fmas_f64 v[102:103], v[102:103], v[104:105], v[116:117]
	v_div_fixup_f64 v[102:103], v[102:103], v[110:111], v[112:113]
	v_fma_f64 v[104:105], v[112:113], v[102:103], v[110:111]
	v_div_scale_f64 v[110:111], s[20:21], v[104:105], v[104:105], 1.0
	v_div_scale_f64 v[116:117], vcc, 1.0, v[104:105], 1.0
	v_rcp_f64_e32 v[112:113], v[110:111]
	v_fma_f64 v[114:115], -v[110:111], v[112:113], 1.0
	v_fma_f64 v[112:113], v[112:113], v[114:115], v[112:113]
	v_fma_f64 v[114:115], -v[110:111], v[112:113], 1.0
	v_fma_f64 v[112:113], v[112:113], v[114:115], v[112:113]
	v_mul_f64 v[114:115], v[116:117], v[112:113]
	v_fma_f64 v[110:111], -v[110:111], v[114:115], v[116:117]
	v_div_fmas_f64 v[110:111], v[110:111], v[112:113], v[114:115]
	v_div_fixup_f64 v[110:111], v[110:111], v[104:105], 1.0
	v_mul_f64 v[112:113], v[102:103], -v[110:111]
.LBB52_116:
	s_or_b64 exec, exec, s[8:9]
.LBB52_117:
	s_or_b64 exec, exec, s[0:1]
	v_cmp_ne_u32_e32 vcc, v120, v118
	s_and_saveexec_b64 s[0:1], vcc
	s_xor_b64 s[0:1], exec, s[0:1]
	s_cbranch_execz .LBB52_123
; %bb.118:
	v_cmp_eq_u32_e32 vcc, 5, v120
	s_and_saveexec_b64 s[8:9], vcc
	s_cbranch_execz .LBB52_122
; %bb.119:
	v_cmp_ne_u32_e32 vcc, 5, v118
	s_xor_b64 s[20:21], s[18:19], -1
	s_and_b64 s[24:25], s[20:21], vcc
	s_and_saveexec_b64 s[20:21], s[24:25]
	s_cbranch_execz .LBB52_121
; %bb.120:
	v_ashrrev_i32_e32 v119, 31, v118
	v_lshlrev_b64 v[102:103], 2, v[118:119]
	v_add_co_u32_e32 v102, vcc, v126, v102
	v_addc_co_u32_e32 v103, vcc, v127, v103, vcc
	global_load_dword v0, v[102:103], off
	global_load_dword v104, v[126:127], off offset:20
	s_waitcnt vmcnt(1)
	global_store_dword v[126:127], v0, off offset:20
	s_waitcnt vmcnt(1)
	global_store_dword v[102:103], v104, off
.LBB52_121:
	s_or_b64 exec, exec, s[20:21]
	v_mov_b32_e32 v120, v118
	v_mov_b32_e32 v0, v118
.LBB52_122:
	s_or_b64 exec, exec, s[8:9]
.LBB52_123:
	s_andn2_saveexec_b64 s[0:1], s[0:1]
	s_cbranch_execz .LBB52_125
; %bb.124:
	v_mov_b32_e32 v120, 5
	ds_write2_b64 v1, v[78:79], v[80:81] offset0:12 offset1:13
	ds_write2_b64 v1, v[74:75], v[76:77] offset0:14 offset1:15
	;; [unrolled: 1-line block ×21, first 2 shown]
.LBB52_125:
	s_or_b64 exec, exec, s[0:1]
	v_cmp_lt_i32_e32 vcc, 5, v120
	s_waitcnt vmcnt(0) lgkmcnt(0)
	s_barrier
	s_and_saveexec_b64 s[0:1], vcc
	s_cbranch_execz .LBB52_127
; %bb.126:
	v_mul_f64 v[102:103], v[112:113], v[84:85]
	v_mul_f64 v[84:85], v[110:111], v[84:85]
	v_fma_f64 v[118:119], v[110:111], v[82:83], -v[102:103]
	v_fma_f64 v[84:85], v[112:113], v[82:83], v[84:85]
	ds_read2_b64 v[110:113], v1 offset0:12 offset1:13
	s_waitcnt lgkmcnt(0)
	v_mul_f64 v[82:83], v[112:113], v[84:85]
	v_mul_f64 v[102:103], v[110:111], v[84:85]
	v_fma_f64 v[82:83], v[110:111], v[118:119], -v[82:83]
	v_fma_f64 v[102:103], v[112:113], v[118:119], v[102:103]
	ds_read2_b64 v[110:113], v1 offset0:14 offset1:15
	v_add_f64 v[78:79], v[78:79], -v[82:83]
	v_add_f64 v[80:81], v[80:81], -v[102:103]
	s_waitcnt lgkmcnt(0)
	v_mul_f64 v[82:83], v[112:113], v[84:85]
	v_mul_f64 v[102:103], v[110:111], v[84:85]
	v_fma_f64 v[82:83], v[110:111], v[118:119], -v[82:83]
	v_fma_f64 v[102:103], v[112:113], v[118:119], v[102:103]
	ds_read2_b64 v[110:113], v1 offset0:16 offset1:17
	v_add_f64 v[74:75], v[74:75], -v[82:83]
	v_add_f64 v[76:77], v[76:77], -v[102:103]
	;; [unrolled: 8-line block ×20, first 2 shown]
	s_waitcnt lgkmcnt(0)
	v_mul_f64 v[82:83], v[112:113], v[84:85]
	v_mul_f64 v[102:103], v[110:111], v[84:85]
	v_fma_f64 v[82:83], v[110:111], v[118:119], -v[82:83]
	v_fma_f64 v[102:103], v[112:113], v[118:119], v[102:103]
	v_add_f64 v[106:107], v[106:107], -v[82:83]
	v_add_f64 v[108:109], v[108:109], -v[102:103]
	v_mov_b32_e32 v82, v118
	v_mov_b32_e32 v83, v119
.LBB52_127:
	s_or_b64 exec, exec, s[0:1]
	v_lshl_add_u32 v102, v120, 4, v1
	s_barrier
	ds_write2_b64 v102, v[78:79], v[80:81] offset1:1
	s_waitcnt lgkmcnt(0)
	s_barrier
	ds_read2_b64 v[110:113], v1 offset0:12 offset1:13
	s_cmp_lt_i32 s22, 8
	v_mov_b32_e32 v118, 6
	s_cbranch_scc1 .LBB52_130
; %bb.128:
	v_add_u32_e32 v119, 0x70, v1
	s_mov_b32 s0, 7
	v_mov_b32_e32 v118, 6
.LBB52_129:                             ; =>This Inner Loop Header: Depth=1
	s_waitcnt lgkmcnt(0)
	v_cmp_gt_f64_e32 vcc, 0, v[110:111]
	v_xor_b32_e32 v102, 0x80000000, v111
	ds_read2_b64 v[114:117], v119 offset1:1
	v_xor_b32_e32 v104, 0x80000000, v113
	v_add_u32_e32 v119, 16, v119
	s_waitcnt lgkmcnt(0)
	v_xor_b32_e32 v124, 0x80000000, v117
	v_cndmask_b32_e32 v103, v111, v102, vcc
	v_cmp_gt_f64_e32 vcc, 0, v[112:113]
	v_mov_b32_e32 v102, v110
	v_cndmask_b32_e32 v105, v113, v104, vcc
	v_cmp_gt_f64_e32 vcc, 0, v[114:115]
	v_mov_b32_e32 v104, v112
	v_add_f64 v[102:103], v[102:103], v[104:105]
	v_xor_b32_e32 v104, 0x80000000, v115
	v_cndmask_b32_e32 v105, v115, v104, vcc
	v_cmp_gt_f64_e32 vcc, 0, v[116:117]
	v_mov_b32_e32 v104, v114
	v_cndmask_b32_e32 v125, v117, v124, vcc
	v_mov_b32_e32 v124, v116
	v_add_f64 v[104:105], v[104:105], v[124:125]
	v_cmp_lt_f64_e32 vcc, v[102:103], v[104:105]
	v_mov_b32_e32 v102, s0
	s_add_i32 s0, s0, 1
	s_cmp_lg_u32 s22, s0
	v_cndmask_b32_e32 v111, v111, v115, vcc
	v_cndmask_b32_e32 v110, v110, v114, vcc
	;; [unrolled: 1-line block ×5, first 2 shown]
	s_cbranch_scc1 .LBB52_129
.LBB52_130:
	s_waitcnt lgkmcnt(0)
	v_cmp_eq_f64_e32 vcc, 0, v[110:111]
	v_cmp_eq_f64_e64 s[0:1], 0, v[112:113]
	s_and_b64 s[0:1], vcc, s[0:1]
	s_and_saveexec_b64 s[8:9], s[0:1]
	s_xor_b64 s[0:1], exec, s[8:9]
; %bb.131:
	v_cmp_ne_u32_e32 vcc, 0, v123
	v_cndmask_b32_e32 v123, 7, v123, vcc
; %bb.132:
	s_andn2_saveexec_b64 s[0:1], s[0:1]
	s_cbranch_execz .LBB52_138
; %bb.133:
	v_cmp_ngt_f64_e64 s[8:9], |v[110:111]|, |v[112:113]|
	s_and_saveexec_b64 s[20:21], s[8:9]
	s_xor_b64 s[8:9], exec, s[20:21]
	s_cbranch_execz .LBB52_135
; %bb.134:
	v_div_scale_f64 v[102:103], s[20:21], v[112:113], v[112:113], v[110:111]
	v_rcp_f64_e32 v[104:105], v[102:103]
	v_fma_f64 v[114:115], -v[102:103], v[104:105], 1.0
	v_fma_f64 v[104:105], v[104:105], v[114:115], v[104:105]
	v_div_scale_f64 v[114:115], vcc, v[110:111], v[112:113], v[110:111]
	v_fma_f64 v[116:117], -v[102:103], v[104:105], 1.0
	v_fma_f64 v[104:105], v[104:105], v[116:117], v[104:105]
	v_mul_f64 v[116:117], v[114:115], v[104:105]
	v_fma_f64 v[102:103], -v[102:103], v[116:117], v[114:115]
	v_div_fmas_f64 v[102:103], v[102:103], v[104:105], v[116:117]
	v_div_fixup_f64 v[102:103], v[102:103], v[112:113], v[110:111]
	v_fma_f64 v[104:105], v[110:111], v[102:103], v[112:113]
	v_div_scale_f64 v[110:111], s[20:21], v[104:105], v[104:105], 1.0
	v_div_scale_f64 v[116:117], vcc, 1.0, v[104:105], 1.0
	v_rcp_f64_e32 v[112:113], v[110:111]
	v_fma_f64 v[114:115], -v[110:111], v[112:113], 1.0
	v_fma_f64 v[112:113], v[112:113], v[114:115], v[112:113]
	v_fma_f64 v[114:115], -v[110:111], v[112:113], 1.0
	v_fma_f64 v[112:113], v[112:113], v[114:115], v[112:113]
	v_mul_f64 v[114:115], v[116:117], v[112:113]
	v_fma_f64 v[110:111], -v[110:111], v[114:115], v[116:117]
	v_div_fmas_f64 v[110:111], v[110:111], v[112:113], v[114:115]
	v_div_fixup_f64 v[112:113], v[110:111], v[104:105], 1.0
	v_mul_f64 v[110:111], v[102:103], v[112:113]
	v_xor_b32_e32 v113, 0x80000000, v113
.LBB52_135:
	s_andn2_saveexec_b64 s[8:9], s[8:9]
	s_cbranch_execz .LBB52_137
; %bb.136:
	v_div_scale_f64 v[102:103], s[20:21], v[110:111], v[110:111], v[112:113]
	v_rcp_f64_e32 v[104:105], v[102:103]
	v_fma_f64 v[114:115], -v[102:103], v[104:105], 1.0
	v_fma_f64 v[104:105], v[104:105], v[114:115], v[104:105]
	v_div_scale_f64 v[114:115], vcc, v[112:113], v[110:111], v[112:113]
	v_fma_f64 v[116:117], -v[102:103], v[104:105], 1.0
	v_fma_f64 v[104:105], v[104:105], v[116:117], v[104:105]
	v_mul_f64 v[116:117], v[114:115], v[104:105]
	v_fma_f64 v[102:103], -v[102:103], v[116:117], v[114:115]
	v_div_fmas_f64 v[102:103], v[102:103], v[104:105], v[116:117]
	v_div_fixup_f64 v[102:103], v[102:103], v[110:111], v[112:113]
	v_fma_f64 v[104:105], v[112:113], v[102:103], v[110:111]
	v_div_scale_f64 v[110:111], s[20:21], v[104:105], v[104:105], 1.0
	v_div_scale_f64 v[116:117], vcc, 1.0, v[104:105], 1.0
	v_rcp_f64_e32 v[112:113], v[110:111]
	v_fma_f64 v[114:115], -v[110:111], v[112:113], 1.0
	v_fma_f64 v[112:113], v[112:113], v[114:115], v[112:113]
	v_fma_f64 v[114:115], -v[110:111], v[112:113], 1.0
	v_fma_f64 v[112:113], v[112:113], v[114:115], v[112:113]
	v_mul_f64 v[114:115], v[116:117], v[112:113]
	v_fma_f64 v[110:111], -v[110:111], v[114:115], v[116:117]
	v_div_fmas_f64 v[110:111], v[110:111], v[112:113], v[114:115]
	v_div_fixup_f64 v[110:111], v[110:111], v[104:105], 1.0
	v_mul_f64 v[112:113], v[102:103], -v[110:111]
.LBB52_137:
	s_or_b64 exec, exec, s[8:9]
.LBB52_138:
	s_or_b64 exec, exec, s[0:1]
	v_cmp_ne_u32_e32 vcc, v120, v118
	s_and_saveexec_b64 s[0:1], vcc
	s_xor_b64 s[0:1], exec, s[0:1]
	s_cbranch_execz .LBB52_144
; %bb.139:
	v_cmp_eq_u32_e32 vcc, 6, v120
	s_and_saveexec_b64 s[8:9], vcc
	s_cbranch_execz .LBB52_143
; %bb.140:
	v_cmp_ne_u32_e32 vcc, 6, v118
	s_xor_b64 s[20:21], s[18:19], -1
	s_and_b64 s[24:25], s[20:21], vcc
	s_and_saveexec_b64 s[20:21], s[24:25]
	s_cbranch_execz .LBB52_142
; %bb.141:
	v_ashrrev_i32_e32 v119, 31, v118
	v_lshlrev_b64 v[102:103], 2, v[118:119]
	v_add_co_u32_e32 v102, vcc, v126, v102
	v_addc_co_u32_e32 v103, vcc, v127, v103, vcc
	global_load_dword v0, v[102:103], off
	global_load_dword v104, v[126:127], off offset:24
	s_waitcnt vmcnt(1)
	global_store_dword v[126:127], v0, off offset:24
	s_waitcnt vmcnt(1)
	global_store_dword v[102:103], v104, off
.LBB52_142:
	s_or_b64 exec, exec, s[20:21]
	v_mov_b32_e32 v120, v118
	v_mov_b32_e32 v0, v118
.LBB52_143:
	s_or_b64 exec, exec, s[8:9]
.LBB52_144:
	s_andn2_saveexec_b64 s[0:1], s[0:1]
	s_cbranch_execz .LBB52_146
; %bb.145:
	v_mov_b32_e32 v120, 6
	ds_write2_b64 v1, v[74:75], v[76:77] offset0:14 offset1:15
	ds_write2_b64 v1, v[70:71], v[72:73] offset0:16 offset1:17
	;; [unrolled: 1-line block ×20, first 2 shown]
.LBB52_146:
	s_or_b64 exec, exec, s[0:1]
	v_cmp_lt_i32_e32 vcc, 6, v120
	s_waitcnt vmcnt(0) lgkmcnt(0)
	s_barrier
	s_and_saveexec_b64 s[0:1], vcc
	s_cbranch_execz .LBB52_148
; %bb.147:
	v_mul_f64 v[102:103], v[112:113], v[80:81]
	v_mul_f64 v[80:81], v[110:111], v[80:81]
	v_fma_f64 v[118:119], v[110:111], v[78:79], -v[102:103]
	v_fma_f64 v[80:81], v[112:113], v[78:79], v[80:81]
	ds_read2_b64 v[110:113], v1 offset0:14 offset1:15
	s_waitcnt lgkmcnt(0)
	v_mul_f64 v[78:79], v[112:113], v[80:81]
	v_mul_f64 v[102:103], v[110:111], v[80:81]
	v_fma_f64 v[78:79], v[110:111], v[118:119], -v[78:79]
	v_fma_f64 v[102:103], v[112:113], v[118:119], v[102:103]
	ds_read2_b64 v[110:113], v1 offset0:16 offset1:17
	v_add_f64 v[74:75], v[74:75], -v[78:79]
	v_add_f64 v[76:77], v[76:77], -v[102:103]
	s_waitcnt lgkmcnt(0)
	v_mul_f64 v[78:79], v[112:113], v[80:81]
	v_mul_f64 v[102:103], v[110:111], v[80:81]
	v_fma_f64 v[78:79], v[110:111], v[118:119], -v[78:79]
	v_fma_f64 v[102:103], v[112:113], v[118:119], v[102:103]
	ds_read2_b64 v[110:113], v1 offset0:18 offset1:19
	v_add_f64 v[70:71], v[70:71], -v[78:79]
	v_add_f64 v[72:73], v[72:73], -v[102:103]
	;; [unrolled: 8-line block ×19, first 2 shown]
	s_waitcnt lgkmcnt(0)
	v_mul_f64 v[78:79], v[112:113], v[80:81]
	v_mul_f64 v[102:103], v[110:111], v[80:81]
	v_fma_f64 v[78:79], v[110:111], v[118:119], -v[78:79]
	v_fma_f64 v[102:103], v[112:113], v[118:119], v[102:103]
	v_add_f64 v[106:107], v[106:107], -v[78:79]
	v_add_f64 v[108:109], v[108:109], -v[102:103]
	v_mov_b32_e32 v78, v118
	v_mov_b32_e32 v79, v119
.LBB52_148:
	s_or_b64 exec, exec, s[0:1]
	v_lshl_add_u32 v102, v120, 4, v1
	s_barrier
	ds_write2_b64 v102, v[74:75], v[76:77] offset1:1
	s_waitcnt lgkmcnt(0)
	s_barrier
	ds_read2_b64 v[110:113], v1 offset0:14 offset1:15
	s_cmp_lt_i32 s22, 9
	v_mov_b32_e32 v118, 7
	s_cbranch_scc1 .LBB52_151
; %bb.149:
	v_add_u32_e32 v119, 0x80, v1
	s_mov_b32 s0, 8
	v_mov_b32_e32 v118, 7
.LBB52_150:                             ; =>This Inner Loop Header: Depth=1
	s_waitcnt lgkmcnt(0)
	v_cmp_gt_f64_e32 vcc, 0, v[110:111]
	v_xor_b32_e32 v102, 0x80000000, v111
	ds_read2_b64 v[114:117], v119 offset1:1
	v_xor_b32_e32 v104, 0x80000000, v113
	v_add_u32_e32 v119, 16, v119
	s_waitcnt lgkmcnt(0)
	v_xor_b32_e32 v124, 0x80000000, v117
	v_cndmask_b32_e32 v103, v111, v102, vcc
	v_cmp_gt_f64_e32 vcc, 0, v[112:113]
	v_mov_b32_e32 v102, v110
	v_cndmask_b32_e32 v105, v113, v104, vcc
	v_cmp_gt_f64_e32 vcc, 0, v[114:115]
	v_mov_b32_e32 v104, v112
	v_add_f64 v[102:103], v[102:103], v[104:105]
	v_xor_b32_e32 v104, 0x80000000, v115
	v_cndmask_b32_e32 v105, v115, v104, vcc
	v_cmp_gt_f64_e32 vcc, 0, v[116:117]
	v_mov_b32_e32 v104, v114
	v_cndmask_b32_e32 v125, v117, v124, vcc
	v_mov_b32_e32 v124, v116
	v_add_f64 v[104:105], v[104:105], v[124:125]
	v_cmp_lt_f64_e32 vcc, v[102:103], v[104:105]
	v_mov_b32_e32 v102, s0
	s_add_i32 s0, s0, 1
	s_cmp_lg_u32 s22, s0
	v_cndmask_b32_e32 v111, v111, v115, vcc
	v_cndmask_b32_e32 v110, v110, v114, vcc
	;; [unrolled: 1-line block ×5, first 2 shown]
	s_cbranch_scc1 .LBB52_150
.LBB52_151:
	s_waitcnt lgkmcnt(0)
	v_cmp_eq_f64_e32 vcc, 0, v[110:111]
	v_cmp_eq_f64_e64 s[0:1], 0, v[112:113]
	s_and_b64 s[0:1], vcc, s[0:1]
	s_and_saveexec_b64 s[8:9], s[0:1]
	s_xor_b64 s[0:1], exec, s[8:9]
; %bb.152:
	v_cmp_ne_u32_e32 vcc, 0, v123
	v_cndmask_b32_e32 v123, 8, v123, vcc
; %bb.153:
	s_andn2_saveexec_b64 s[0:1], s[0:1]
	s_cbranch_execz .LBB52_159
; %bb.154:
	v_cmp_ngt_f64_e64 s[8:9], |v[110:111]|, |v[112:113]|
	s_and_saveexec_b64 s[20:21], s[8:9]
	s_xor_b64 s[8:9], exec, s[20:21]
	s_cbranch_execz .LBB52_156
; %bb.155:
	v_div_scale_f64 v[102:103], s[20:21], v[112:113], v[112:113], v[110:111]
	v_rcp_f64_e32 v[104:105], v[102:103]
	v_fma_f64 v[114:115], -v[102:103], v[104:105], 1.0
	v_fma_f64 v[104:105], v[104:105], v[114:115], v[104:105]
	v_div_scale_f64 v[114:115], vcc, v[110:111], v[112:113], v[110:111]
	v_fma_f64 v[116:117], -v[102:103], v[104:105], 1.0
	v_fma_f64 v[104:105], v[104:105], v[116:117], v[104:105]
	v_mul_f64 v[116:117], v[114:115], v[104:105]
	v_fma_f64 v[102:103], -v[102:103], v[116:117], v[114:115]
	v_div_fmas_f64 v[102:103], v[102:103], v[104:105], v[116:117]
	v_div_fixup_f64 v[102:103], v[102:103], v[112:113], v[110:111]
	v_fma_f64 v[104:105], v[110:111], v[102:103], v[112:113]
	v_div_scale_f64 v[110:111], s[20:21], v[104:105], v[104:105], 1.0
	v_div_scale_f64 v[116:117], vcc, 1.0, v[104:105], 1.0
	v_rcp_f64_e32 v[112:113], v[110:111]
	v_fma_f64 v[114:115], -v[110:111], v[112:113], 1.0
	v_fma_f64 v[112:113], v[112:113], v[114:115], v[112:113]
	v_fma_f64 v[114:115], -v[110:111], v[112:113], 1.0
	v_fma_f64 v[112:113], v[112:113], v[114:115], v[112:113]
	v_mul_f64 v[114:115], v[116:117], v[112:113]
	v_fma_f64 v[110:111], -v[110:111], v[114:115], v[116:117]
	v_div_fmas_f64 v[110:111], v[110:111], v[112:113], v[114:115]
	v_div_fixup_f64 v[112:113], v[110:111], v[104:105], 1.0
	v_mul_f64 v[110:111], v[102:103], v[112:113]
	v_xor_b32_e32 v113, 0x80000000, v113
.LBB52_156:
	s_andn2_saveexec_b64 s[8:9], s[8:9]
	s_cbranch_execz .LBB52_158
; %bb.157:
	v_div_scale_f64 v[102:103], s[20:21], v[110:111], v[110:111], v[112:113]
	v_rcp_f64_e32 v[104:105], v[102:103]
	v_fma_f64 v[114:115], -v[102:103], v[104:105], 1.0
	v_fma_f64 v[104:105], v[104:105], v[114:115], v[104:105]
	v_div_scale_f64 v[114:115], vcc, v[112:113], v[110:111], v[112:113]
	v_fma_f64 v[116:117], -v[102:103], v[104:105], 1.0
	v_fma_f64 v[104:105], v[104:105], v[116:117], v[104:105]
	v_mul_f64 v[116:117], v[114:115], v[104:105]
	v_fma_f64 v[102:103], -v[102:103], v[116:117], v[114:115]
	v_div_fmas_f64 v[102:103], v[102:103], v[104:105], v[116:117]
	v_div_fixup_f64 v[102:103], v[102:103], v[110:111], v[112:113]
	v_fma_f64 v[104:105], v[112:113], v[102:103], v[110:111]
	v_div_scale_f64 v[110:111], s[20:21], v[104:105], v[104:105], 1.0
	v_div_scale_f64 v[116:117], vcc, 1.0, v[104:105], 1.0
	v_rcp_f64_e32 v[112:113], v[110:111]
	v_fma_f64 v[114:115], -v[110:111], v[112:113], 1.0
	v_fma_f64 v[112:113], v[112:113], v[114:115], v[112:113]
	v_fma_f64 v[114:115], -v[110:111], v[112:113], 1.0
	v_fma_f64 v[112:113], v[112:113], v[114:115], v[112:113]
	v_mul_f64 v[114:115], v[116:117], v[112:113]
	v_fma_f64 v[110:111], -v[110:111], v[114:115], v[116:117]
	v_div_fmas_f64 v[110:111], v[110:111], v[112:113], v[114:115]
	v_div_fixup_f64 v[110:111], v[110:111], v[104:105], 1.0
	v_mul_f64 v[112:113], v[102:103], -v[110:111]
.LBB52_158:
	s_or_b64 exec, exec, s[8:9]
.LBB52_159:
	s_or_b64 exec, exec, s[0:1]
	v_cmp_ne_u32_e32 vcc, v120, v118
	s_and_saveexec_b64 s[0:1], vcc
	s_xor_b64 s[0:1], exec, s[0:1]
	s_cbranch_execz .LBB52_165
; %bb.160:
	v_cmp_eq_u32_e32 vcc, 7, v120
	s_and_saveexec_b64 s[8:9], vcc
	s_cbranch_execz .LBB52_164
; %bb.161:
	v_cmp_ne_u32_e32 vcc, 7, v118
	s_xor_b64 s[20:21], s[18:19], -1
	s_and_b64 s[24:25], s[20:21], vcc
	s_and_saveexec_b64 s[20:21], s[24:25]
	s_cbranch_execz .LBB52_163
; %bb.162:
	v_ashrrev_i32_e32 v119, 31, v118
	v_lshlrev_b64 v[102:103], 2, v[118:119]
	v_add_co_u32_e32 v102, vcc, v126, v102
	v_addc_co_u32_e32 v103, vcc, v127, v103, vcc
	global_load_dword v0, v[102:103], off
	global_load_dword v104, v[126:127], off offset:28
	s_waitcnt vmcnt(1)
	global_store_dword v[126:127], v0, off offset:28
	s_waitcnt vmcnt(1)
	global_store_dword v[102:103], v104, off
.LBB52_163:
	s_or_b64 exec, exec, s[20:21]
	v_mov_b32_e32 v120, v118
	v_mov_b32_e32 v0, v118
.LBB52_164:
	s_or_b64 exec, exec, s[8:9]
.LBB52_165:
	s_andn2_saveexec_b64 s[0:1], s[0:1]
	s_cbranch_execz .LBB52_167
; %bb.166:
	v_mov_b32_e32 v120, 7
	ds_write2_b64 v1, v[70:71], v[72:73] offset0:16 offset1:17
	ds_write2_b64 v1, v[66:67], v[68:69] offset0:18 offset1:19
	;; [unrolled: 1-line block ×19, first 2 shown]
.LBB52_167:
	s_or_b64 exec, exec, s[0:1]
	v_cmp_lt_i32_e32 vcc, 7, v120
	s_waitcnt vmcnt(0) lgkmcnt(0)
	s_barrier
	s_and_saveexec_b64 s[0:1], vcc
	s_cbranch_execz .LBB52_169
; %bb.168:
	v_mul_f64 v[102:103], v[112:113], v[76:77]
	v_mul_f64 v[76:77], v[110:111], v[76:77]
	v_fma_f64 v[118:119], v[110:111], v[74:75], -v[102:103]
	v_fma_f64 v[76:77], v[112:113], v[74:75], v[76:77]
	ds_read2_b64 v[110:113], v1 offset0:16 offset1:17
	s_waitcnt lgkmcnt(0)
	v_mul_f64 v[74:75], v[112:113], v[76:77]
	v_mul_f64 v[102:103], v[110:111], v[76:77]
	v_fma_f64 v[74:75], v[110:111], v[118:119], -v[74:75]
	v_fma_f64 v[102:103], v[112:113], v[118:119], v[102:103]
	ds_read2_b64 v[110:113], v1 offset0:18 offset1:19
	v_add_f64 v[70:71], v[70:71], -v[74:75]
	v_add_f64 v[72:73], v[72:73], -v[102:103]
	s_waitcnt lgkmcnt(0)
	v_mul_f64 v[74:75], v[112:113], v[76:77]
	v_mul_f64 v[102:103], v[110:111], v[76:77]
	v_fma_f64 v[74:75], v[110:111], v[118:119], -v[74:75]
	v_fma_f64 v[102:103], v[112:113], v[118:119], v[102:103]
	ds_read2_b64 v[110:113], v1 offset0:20 offset1:21
	v_add_f64 v[66:67], v[66:67], -v[74:75]
	v_add_f64 v[68:69], v[68:69], -v[102:103]
	;; [unrolled: 8-line block ×18, first 2 shown]
	s_waitcnt lgkmcnt(0)
	v_mul_f64 v[74:75], v[112:113], v[76:77]
	v_mul_f64 v[102:103], v[110:111], v[76:77]
	v_fma_f64 v[74:75], v[110:111], v[118:119], -v[74:75]
	v_fma_f64 v[102:103], v[112:113], v[118:119], v[102:103]
	v_add_f64 v[106:107], v[106:107], -v[74:75]
	v_add_f64 v[108:109], v[108:109], -v[102:103]
	v_mov_b32_e32 v74, v118
	v_mov_b32_e32 v75, v119
.LBB52_169:
	s_or_b64 exec, exec, s[0:1]
	v_lshl_add_u32 v102, v120, 4, v1
	s_barrier
	ds_write2_b64 v102, v[70:71], v[72:73] offset1:1
	s_waitcnt lgkmcnt(0)
	s_barrier
	ds_read2_b64 v[110:113], v1 offset0:16 offset1:17
	s_cmp_lt_i32 s22, 10
	v_mov_b32_e32 v118, 8
	s_cbranch_scc1 .LBB52_172
; %bb.170:
	v_add_u32_e32 v119, 0x90, v1
	s_mov_b32 s0, 9
	v_mov_b32_e32 v118, 8
.LBB52_171:                             ; =>This Inner Loop Header: Depth=1
	s_waitcnt lgkmcnt(0)
	v_cmp_gt_f64_e32 vcc, 0, v[110:111]
	v_xor_b32_e32 v102, 0x80000000, v111
	ds_read2_b64 v[114:117], v119 offset1:1
	v_xor_b32_e32 v104, 0x80000000, v113
	v_add_u32_e32 v119, 16, v119
	s_waitcnt lgkmcnt(0)
	v_xor_b32_e32 v124, 0x80000000, v117
	v_cndmask_b32_e32 v103, v111, v102, vcc
	v_cmp_gt_f64_e32 vcc, 0, v[112:113]
	v_mov_b32_e32 v102, v110
	v_cndmask_b32_e32 v105, v113, v104, vcc
	v_cmp_gt_f64_e32 vcc, 0, v[114:115]
	v_mov_b32_e32 v104, v112
	v_add_f64 v[102:103], v[102:103], v[104:105]
	v_xor_b32_e32 v104, 0x80000000, v115
	v_cndmask_b32_e32 v105, v115, v104, vcc
	v_cmp_gt_f64_e32 vcc, 0, v[116:117]
	v_mov_b32_e32 v104, v114
	v_cndmask_b32_e32 v125, v117, v124, vcc
	v_mov_b32_e32 v124, v116
	v_add_f64 v[104:105], v[104:105], v[124:125]
	v_cmp_lt_f64_e32 vcc, v[102:103], v[104:105]
	v_mov_b32_e32 v102, s0
	s_add_i32 s0, s0, 1
	s_cmp_lg_u32 s22, s0
	v_cndmask_b32_e32 v111, v111, v115, vcc
	v_cndmask_b32_e32 v110, v110, v114, vcc
	;; [unrolled: 1-line block ×5, first 2 shown]
	s_cbranch_scc1 .LBB52_171
.LBB52_172:
	s_waitcnt lgkmcnt(0)
	v_cmp_eq_f64_e32 vcc, 0, v[110:111]
	v_cmp_eq_f64_e64 s[0:1], 0, v[112:113]
	s_and_b64 s[0:1], vcc, s[0:1]
	s_and_saveexec_b64 s[8:9], s[0:1]
	s_xor_b64 s[0:1], exec, s[8:9]
; %bb.173:
	v_cmp_ne_u32_e32 vcc, 0, v123
	v_cndmask_b32_e32 v123, 9, v123, vcc
; %bb.174:
	s_andn2_saveexec_b64 s[0:1], s[0:1]
	s_cbranch_execz .LBB52_180
; %bb.175:
	v_cmp_ngt_f64_e64 s[8:9], |v[110:111]|, |v[112:113]|
	s_and_saveexec_b64 s[20:21], s[8:9]
	s_xor_b64 s[8:9], exec, s[20:21]
	s_cbranch_execz .LBB52_177
; %bb.176:
	v_div_scale_f64 v[102:103], s[20:21], v[112:113], v[112:113], v[110:111]
	v_rcp_f64_e32 v[104:105], v[102:103]
	v_fma_f64 v[114:115], -v[102:103], v[104:105], 1.0
	v_fma_f64 v[104:105], v[104:105], v[114:115], v[104:105]
	v_div_scale_f64 v[114:115], vcc, v[110:111], v[112:113], v[110:111]
	v_fma_f64 v[116:117], -v[102:103], v[104:105], 1.0
	v_fma_f64 v[104:105], v[104:105], v[116:117], v[104:105]
	v_mul_f64 v[116:117], v[114:115], v[104:105]
	v_fma_f64 v[102:103], -v[102:103], v[116:117], v[114:115]
	v_div_fmas_f64 v[102:103], v[102:103], v[104:105], v[116:117]
	v_div_fixup_f64 v[102:103], v[102:103], v[112:113], v[110:111]
	v_fma_f64 v[104:105], v[110:111], v[102:103], v[112:113]
	v_div_scale_f64 v[110:111], s[20:21], v[104:105], v[104:105], 1.0
	v_div_scale_f64 v[116:117], vcc, 1.0, v[104:105], 1.0
	v_rcp_f64_e32 v[112:113], v[110:111]
	v_fma_f64 v[114:115], -v[110:111], v[112:113], 1.0
	v_fma_f64 v[112:113], v[112:113], v[114:115], v[112:113]
	v_fma_f64 v[114:115], -v[110:111], v[112:113], 1.0
	v_fma_f64 v[112:113], v[112:113], v[114:115], v[112:113]
	v_mul_f64 v[114:115], v[116:117], v[112:113]
	v_fma_f64 v[110:111], -v[110:111], v[114:115], v[116:117]
	v_div_fmas_f64 v[110:111], v[110:111], v[112:113], v[114:115]
	v_div_fixup_f64 v[112:113], v[110:111], v[104:105], 1.0
	v_mul_f64 v[110:111], v[102:103], v[112:113]
	v_xor_b32_e32 v113, 0x80000000, v113
.LBB52_177:
	s_andn2_saveexec_b64 s[8:9], s[8:9]
	s_cbranch_execz .LBB52_179
; %bb.178:
	v_div_scale_f64 v[102:103], s[20:21], v[110:111], v[110:111], v[112:113]
	v_rcp_f64_e32 v[104:105], v[102:103]
	v_fma_f64 v[114:115], -v[102:103], v[104:105], 1.0
	v_fma_f64 v[104:105], v[104:105], v[114:115], v[104:105]
	v_div_scale_f64 v[114:115], vcc, v[112:113], v[110:111], v[112:113]
	v_fma_f64 v[116:117], -v[102:103], v[104:105], 1.0
	v_fma_f64 v[104:105], v[104:105], v[116:117], v[104:105]
	v_mul_f64 v[116:117], v[114:115], v[104:105]
	v_fma_f64 v[102:103], -v[102:103], v[116:117], v[114:115]
	v_div_fmas_f64 v[102:103], v[102:103], v[104:105], v[116:117]
	v_div_fixup_f64 v[102:103], v[102:103], v[110:111], v[112:113]
	v_fma_f64 v[104:105], v[112:113], v[102:103], v[110:111]
	v_div_scale_f64 v[110:111], s[20:21], v[104:105], v[104:105], 1.0
	v_div_scale_f64 v[116:117], vcc, 1.0, v[104:105], 1.0
	v_rcp_f64_e32 v[112:113], v[110:111]
	v_fma_f64 v[114:115], -v[110:111], v[112:113], 1.0
	v_fma_f64 v[112:113], v[112:113], v[114:115], v[112:113]
	v_fma_f64 v[114:115], -v[110:111], v[112:113], 1.0
	v_fma_f64 v[112:113], v[112:113], v[114:115], v[112:113]
	v_mul_f64 v[114:115], v[116:117], v[112:113]
	v_fma_f64 v[110:111], -v[110:111], v[114:115], v[116:117]
	v_div_fmas_f64 v[110:111], v[110:111], v[112:113], v[114:115]
	v_div_fixup_f64 v[110:111], v[110:111], v[104:105], 1.0
	v_mul_f64 v[112:113], v[102:103], -v[110:111]
.LBB52_179:
	s_or_b64 exec, exec, s[8:9]
.LBB52_180:
	s_or_b64 exec, exec, s[0:1]
	v_cmp_ne_u32_e32 vcc, v120, v118
	s_and_saveexec_b64 s[0:1], vcc
	s_xor_b64 s[0:1], exec, s[0:1]
	s_cbranch_execz .LBB52_186
; %bb.181:
	v_cmp_eq_u32_e32 vcc, 8, v120
	s_and_saveexec_b64 s[8:9], vcc
	s_cbranch_execz .LBB52_185
; %bb.182:
	v_cmp_ne_u32_e32 vcc, 8, v118
	s_xor_b64 s[20:21], s[18:19], -1
	s_and_b64 s[24:25], s[20:21], vcc
	s_and_saveexec_b64 s[20:21], s[24:25]
	s_cbranch_execz .LBB52_184
; %bb.183:
	v_ashrrev_i32_e32 v119, 31, v118
	v_lshlrev_b64 v[102:103], 2, v[118:119]
	v_add_co_u32_e32 v102, vcc, v126, v102
	v_addc_co_u32_e32 v103, vcc, v127, v103, vcc
	global_load_dword v0, v[102:103], off
	global_load_dword v104, v[126:127], off offset:32
	s_waitcnt vmcnt(1)
	global_store_dword v[126:127], v0, off offset:32
	s_waitcnt vmcnt(1)
	global_store_dword v[102:103], v104, off
.LBB52_184:
	s_or_b64 exec, exec, s[20:21]
	v_mov_b32_e32 v120, v118
	v_mov_b32_e32 v0, v118
.LBB52_185:
	s_or_b64 exec, exec, s[8:9]
.LBB52_186:
	s_andn2_saveexec_b64 s[0:1], s[0:1]
	s_cbranch_execz .LBB52_188
; %bb.187:
	v_mov_b32_e32 v120, 8
	ds_write2_b64 v1, v[66:67], v[68:69] offset0:18 offset1:19
	ds_write2_b64 v1, v[62:63], v[64:65] offset0:20 offset1:21
	;; [unrolled: 1-line block ×18, first 2 shown]
.LBB52_188:
	s_or_b64 exec, exec, s[0:1]
	v_cmp_lt_i32_e32 vcc, 8, v120
	s_waitcnt vmcnt(0) lgkmcnt(0)
	s_barrier
	s_and_saveexec_b64 s[0:1], vcc
	s_cbranch_execz .LBB52_190
; %bb.189:
	v_mul_f64 v[102:103], v[112:113], v[72:73]
	v_mul_f64 v[72:73], v[110:111], v[72:73]
	v_fma_f64 v[118:119], v[110:111], v[70:71], -v[102:103]
	v_fma_f64 v[72:73], v[112:113], v[70:71], v[72:73]
	ds_read2_b64 v[110:113], v1 offset0:18 offset1:19
	s_waitcnt lgkmcnt(0)
	v_mul_f64 v[70:71], v[112:113], v[72:73]
	v_mul_f64 v[102:103], v[110:111], v[72:73]
	v_fma_f64 v[70:71], v[110:111], v[118:119], -v[70:71]
	v_fma_f64 v[102:103], v[112:113], v[118:119], v[102:103]
	ds_read2_b64 v[110:113], v1 offset0:20 offset1:21
	v_add_f64 v[66:67], v[66:67], -v[70:71]
	v_add_f64 v[68:69], v[68:69], -v[102:103]
	s_waitcnt lgkmcnt(0)
	v_mul_f64 v[70:71], v[112:113], v[72:73]
	v_mul_f64 v[102:103], v[110:111], v[72:73]
	v_fma_f64 v[70:71], v[110:111], v[118:119], -v[70:71]
	v_fma_f64 v[102:103], v[112:113], v[118:119], v[102:103]
	ds_read2_b64 v[110:113], v1 offset0:22 offset1:23
	v_add_f64 v[62:63], v[62:63], -v[70:71]
	v_add_f64 v[64:65], v[64:65], -v[102:103]
	;; [unrolled: 8-line block ×17, first 2 shown]
	s_waitcnt lgkmcnt(0)
	v_mul_f64 v[70:71], v[112:113], v[72:73]
	v_mul_f64 v[102:103], v[110:111], v[72:73]
	v_fma_f64 v[70:71], v[110:111], v[118:119], -v[70:71]
	v_fma_f64 v[102:103], v[112:113], v[118:119], v[102:103]
	v_add_f64 v[106:107], v[106:107], -v[70:71]
	v_add_f64 v[108:109], v[108:109], -v[102:103]
	v_mov_b32_e32 v70, v118
	v_mov_b32_e32 v71, v119
.LBB52_190:
	s_or_b64 exec, exec, s[0:1]
	v_lshl_add_u32 v102, v120, 4, v1
	s_barrier
	ds_write2_b64 v102, v[66:67], v[68:69] offset1:1
	s_waitcnt lgkmcnt(0)
	s_barrier
	ds_read2_b64 v[110:113], v1 offset0:18 offset1:19
	s_cmp_lt_i32 s22, 11
	v_mov_b32_e32 v118, 9
	s_cbranch_scc1 .LBB52_193
; %bb.191:
	v_add_u32_e32 v119, 0xa0, v1
	s_mov_b32 s0, 10
	v_mov_b32_e32 v118, 9
.LBB52_192:                             ; =>This Inner Loop Header: Depth=1
	s_waitcnt lgkmcnt(0)
	v_cmp_gt_f64_e32 vcc, 0, v[110:111]
	v_xor_b32_e32 v102, 0x80000000, v111
	ds_read2_b64 v[114:117], v119 offset1:1
	v_xor_b32_e32 v104, 0x80000000, v113
	v_add_u32_e32 v119, 16, v119
	s_waitcnt lgkmcnt(0)
	v_xor_b32_e32 v124, 0x80000000, v117
	v_cndmask_b32_e32 v103, v111, v102, vcc
	v_cmp_gt_f64_e32 vcc, 0, v[112:113]
	v_mov_b32_e32 v102, v110
	v_cndmask_b32_e32 v105, v113, v104, vcc
	v_cmp_gt_f64_e32 vcc, 0, v[114:115]
	v_mov_b32_e32 v104, v112
	v_add_f64 v[102:103], v[102:103], v[104:105]
	v_xor_b32_e32 v104, 0x80000000, v115
	v_cndmask_b32_e32 v105, v115, v104, vcc
	v_cmp_gt_f64_e32 vcc, 0, v[116:117]
	v_mov_b32_e32 v104, v114
	v_cndmask_b32_e32 v125, v117, v124, vcc
	v_mov_b32_e32 v124, v116
	v_add_f64 v[104:105], v[104:105], v[124:125]
	v_cmp_lt_f64_e32 vcc, v[102:103], v[104:105]
	v_mov_b32_e32 v102, s0
	s_add_i32 s0, s0, 1
	s_cmp_lg_u32 s22, s0
	v_cndmask_b32_e32 v111, v111, v115, vcc
	v_cndmask_b32_e32 v110, v110, v114, vcc
	;; [unrolled: 1-line block ×5, first 2 shown]
	s_cbranch_scc1 .LBB52_192
.LBB52_193:
	s_waitcnt lgkmcnt(0)
	v_cmp_eq_f64_e32 vcc, 0, v[110:111]
	v_cmp_eq_f64_e64 s[0:1], 0, v[112:113]
	s_and_b64 s[0:1], vcc, s[0:1]
	s_and_saveexec_b64 s[8:9], s[0:1]
	s_xor_b64 s[0:1], exec, s[8:9]
; %bb.194:
	v_cmp_ne_u32_e32 vcc, 0, v123
	v_cndmask_b32_e32 v123, 10, v123, vcc
; %bb.195:
	s_andn2_saveexec_b64 s[0:1], s[0:1]
	s_cbranch_execz .LBB52_201
; %bb.196:
	v_cmp_ngt_f64_e64 s[8:9], |v[110:111]|, |v[112:113]|
	s_and_saveexec_b64 s[20:21], s[8:9]
	s_xor_b64 s[8:9], exec, s[20:21]
	s_cbranch_execz .LBB52_198
; %bb.197:
	v_div_scale_f64 v[102:103], s[20:21], v[112:113], v[112:113], v[110:111]
	v_rcp_f64_e32 v[104:105], v[102:103]
	v_fma_f64 v[114:115], -v[102:103], v[104:105], 1.0
	v_fma_f64 v[104:105], v[104:105], v[114:115], v[104:105]
	v_div_scale_f64 v[114:115], vcc, v[110:111], v[112:113], v[110:111]
	v_fma_f64 v[116:117], -v[102:103], v[104:105], 1.0
	v_fma_f64 v[104:105], v[104:105], v[116:117], v[104:105]
	v_mul_f64 v[116:117], v[114:115], v[104:105]
	v_fma_f64 v[102:103], -v[102:103], v[116:117], v[114:115]
	v_div_fmas_f64 v[102:103], v[102:103], v[104:105], v[116:117]
	v_div_fixup_f64 v[102:103], v[102:103], v[112:113], v[110:111]
	v_fma_f64 v[104:105], v[110:111], v[102:103], v[112:113]
	v_div_scale_f64 v[110:111], s[20:21], v[104:105], v[104:105], 1.0
	v_div_scale_f64 v[116:117], vcc, 1.0, v[104:105], 1.0
	v_rcp_f64_e32 v[112:113], v[110:111]
	v_fma_f64 v[114:115], -v[110:111], v[112:113], 1.0
	v_fma_f64 v[112:113], v[112:113], v[114:115], v[112:113]
	v_fma_f64 v[114:115], -v[110:111], v[112:113], 1.0
	v_fma_f64 v[112:113], v[112:113], v[114:115], v[112:113]
	v_mul_f64 v[114:115], v[116:117], v[112:113]
	v_fma_f64 v[110:111], -v[110:111], v[114:115], v[116:117]
	v_div_fmas_f64 v[110:111], v[110:111], v[112:113], v[114:115]
	v_div_fixup_f64 v[112:113], v[110:111], v[104:105], 1.0
	v_mul_f64 v[110:111], v[102:103], v[112:113]
	v_xor_b32_e32 v113, 0x80000000, v113
.LBB52_198:
	s_andn2_saveexec_b64 s[8:9], s[8:9]
	s_cbranch_execz .LBB52_200
; %bb.199:
	v_div_scale_f64 v[102:103], s[20:21], v[110:111], v[110:111], v[112:113]
	v_rcp_f64_e32 v[104:105], v[102:103]
	v_fma_f64 v[114:115], -v[102:103], v[104:105], 1.0
	v_fma_f64 v[104:105], v[104:105], v[114:115], v[104:105]
	v_div_scale_f64 v[114:115], vcc, v[112:113], v[110:111], v[112:113]
	v_fma_f64 v[116:117], -v[102:103], v[104:105], 1.0
	v_fma_f64 v[104:105], v[104:105], v[116:117], v[104:105]
	v_mul_f64 v[116:117], v[114:115], v[104:105]
	v_fma_f64 v[102:103], -v[102:103], v[116:117], v[114:115]
	v_div_fmas_f64 v[102:103], v[102:103], v[104:105], v[116:117]
	v_div_fixup_f64 v[102:103], v[102:103], v[110:111], v[112:113]
	v_fma_f64 v[104:105], v[112:113], v[102:103], v[110:111]
	v_div_scale_f64 v[110:111], s[20:21], v[104:105], v[104:105], 1.0
	v_div_scale_f64 v[116:117], vcc, 1.0, v[104:105], 1.0
	v_rcp_f64_e32 v[112:113], v[110:111]
	v_fma_f64 v[114:115], -v[110:111], v[112:113], 1.0
	v_fma_f64 v[112:113], v[112:113], v[114:115], v[112:113]
	v_fma_f64 v[114:115], -v[110:111], v[112:113], 1.0
	v_fma_f64 v[112:113], v[112:113], v[114:115], v[112:113]
	v_mul_f64 v[114:115], v[116:117], v[112:113]
	v_fma_f64 v[110:111], -v[110:111], v[114:115], v[116:117]
	v_div_fmas_f64 v[110:111], v[110:111], v[112:113], v[114:115]
	v_div_fixup_f64 v[110:111], v[110:111], v[104:105], 1.0
	v_mul_f64 v[112:113], v[102:103], -v[110:111]
.LBB52_200:
	s_or_b64 exec, exec, s[8:9]
.LBB52_201:
	s_or_b64 exec, exec, s[0:1]
	v_cmp_ne_u32_e32 vcc, v120, v118
	s_and_saveexec_b64 s[0:1], vcc
	s_xor_b64 s[0:1], exec, s[0:1]
	s_cbranch_execz .LBB52_207
; %bb.202:
	v_cmp_eq_u32_e32 vcc, 9, v120
	s_and_saveexec_b64 s[8:9], vcc
	s_cbranch_execz .LBB52_206
; %bb.203:
	v_cmp_ne_u32_e32 vcc, 9, v118
	s_xor_b64 s[20:21], s[18:19], -1
	s_and_b64 s[24:25], s[20:21], vcc
	s_and_saveexec_b64 s[20:21], s[24:25]
	s_cbranch_execz .LBB52_205
; %bb.204:
	v_ashrrev_i32_e32 v119, 31, v118
	v_lshlrev_b64 v[102:103], 2, v[118:119]
	v_add_co_u32_e32 v102, vcc, v126, v102
	v_addc_co_u32_e32 v103, vcc, v127, v103, vcc
	global_load_dword v0, v[102:103], off
	global_load_dword v104, v[126:127], off offset:36
	s_waitcnt vmcnt(1)
	global_store_dword v[126:127], v0, off offset:36
	s_waitcnt vmcnt(1)
	global_store_dword v[102:103], v104, off
.LBB52_205:
	s_or_b64 exec, exec, s[20:21]
	v_mov_b32_e32 v120, v118
	v_mov_b32_e32 v0, v118
.LBB52_206:
	s_or_b64 exec, exec, s[8:9]
.LBB52_207:
	s_andn2_saveexec_b64 s[0:1], s[0:1]
	s_cbranch_execz .LBB52_209
; %bb.208:
	v_mov_b32_e32 v120, 9
	ds_write2_b64 v1, v[62:63], v[64:65] offset0:20 offset1:21
	ds_write2_b64 v1, v[58:59], v[60:61] offset0:22 offset1:23
	;; [unrolled: 1-line block ×17, first 2 shown]
.LBB52_209:
	s_or_b64 exec, exec, s[0:1]
	v_cmp_lt_i32_e32 vcc, 9, v120
	s_waitcnt vmcnt(0) lgkmcnt(0)
	s_barrier
	s_and_saveexec_b64 s[0:1], vcc
	s_cbranch_execz .LBB52_211
; %bb.210:
	v_mul_f64 v[102:103], v[112:113], v[68:69]
	v_mul_f64 v[68:69], v[110:111], v[68:69]
	v_fma_f64 v[118:119], v[110:111], v[66:67], -v[102:103]
	v_fma_f64 v[68:69], v[112:113], v[66:67], v[68:69]
	ds_read2_b64 v[110:113], v1 offset0:20 offset1:21
	s_waitcnt lgkmcnt(0)
	v_mul_f64 v[66:67], v[112:113], v[68:69]
	v_mul_f64 v[102:103], v[110:111], v[68:69]
	v_fma_f64 v[66:67], v[110:111], v[118:119], -v[66:67]
	v_fma_f64 v[102:103], v[112:113], v[118:119], v[102:103]
	ds_read2_b64 v[110:113], v1 offset0:22 offset1:23
	v_add_f64 v[62:63], v[62:63], -v[66:67]
	v_add_f64 v[64:65], v[64:65], -v[102:103]
	s_waitcnt lgkmcnt(0)
	v_mul_f64 v[66:67], v[112:113], v[68:69]
	v_mul_f64 v[102:103], v[110:111], v[68:69]
	v_fma_f64 v[66:67], v[110:111], v[118:119], -v[66:67]
	v_fma_f64 v[102:103], v[112:113], v[118:119], v[102:103]
	ds_read2_b64 v[110:113], v1 offset0:24 offset1:25
	v_add_f64 v[58:59], v[58:59], -v[66:67]
	v_add_f64 v[60:61], v[60:61], -v[102:103]
	;; [unrolled: 8-line block ×16, first 2 shown]
	s_waitcnt lgkmcnt(0)
	v_mul_f64 v[66:67], v[112:113], v[68:69]
	v_mul_f64 v[102:103], v[110:111], v[68:69]
	v_fma_f64 v[66:67], v[110:111], v[118:119], -v[66:67]
	v_fma_f64 v[102:103], v[112:113], v[118:119], v[102:103]
	v_add_f64 v[106:107], v[106:107], -v[66:67]
	v_add_f64 v[108:109], v[108:109], -v[102:103]
	v_mov_b32_e32 v66, v118
	v_mov_b32_e32 v67, v119
.LBB52_211:
	s_or_b64 exec, exec, s[0:1]
	v_lshl_add_u32 v102, v120, 4, v1
	s_barrier
	ds_write2_b64 v102, v[62:63], v[64:65] offset1:1
	s_waitcnt lgkmcnt(0)
	s_barrier
	ds_read2_b64 v[110:113], v1 offset0:20 offset1:21
	s_cmp_lt_i32 s22, 12
	v_mov_b32_e32 v118, 10
	s_cbranch_scc1 .LBB52_214
; %bb.212:
	v_add_u32_e32 v119, 0xb0, v1
	s_mov_b32 s0, 11
	v_mov_b32_e32 v118, 10
.LBB52_213:                             ; =>This Inner Loop Header: Depth=1
	s_waitcnt lgkmcnt(0)
	v_cmp_gt_f64_e32 vcc, 0, v[110:111]
	v_xor_b32_e32 v102, 0x80000000, v111
	ds_read2_b64 v[114:117], v119 offset1:1
	v_xor_b32_e32 v104, 0x80000000, v113
	v_add_u32_e32 v119, 16, v119
	s_waitcnt lgkmcnt(0)
	v_xor_b32_e32 v124, 0x80000000, v117
	v_cndmask_b32_e32 v103, v111, v102, vcc
	v_cmp_gt_f64_e32 vcc, 0, v[112:113]
	v_mov_b32_e32 v102, v110
	v_cndmask_b32_e32 v105, v113, v104, vcc
	v_cmp_gt_f64_e32 vcc, 0, v[114:115]
	v_mov_b32_e32 v104, v112
	v_add_f64 v[102:103], v[102:103], v[104:105]
	v_xor_b32_e32 v104, 0x80000000, v115
	v_cndmask_b32_e32 v105, v115, v104, vcc
	v_cmp_gt_f64_e32 vcc, 0, v[116:117]
	v_mov_b32_e32 v104, v114
	v_cndmask_b32_e32 v125, v117, v124, vcc
	v_mov_b32_e32 v124, v116
	v_add_f64 v[104:105], v[104:105], v[124:125]
	v_cmp_lt_f64_e32 vcc, v[102:103], v[104:105]
	v_mov_b32_e32 v102, s0
	s_add_i32 s0, s0, 1
	s_cmp_lg_u32 s22, s0
	v_cndmask_b32_e32 v111, v111, v115, vcc
	v_cndmask_b32_e32 v110, v110, v114, vcc
	;; [unrolled: 1-line block ×5, first 2 shown]
	s_cbranch_scc1 .LBB52_213
.LBB52_214:
	s_waitcnt lgkmcnt(0)
	v_cmp_eq_f64_e32 vcc, 0, v[110:111]
	v_cmp_eq_f64_e64 s[0:1], 0, v[112:113]
	s_and_b64 s[0:1], vcc, s[0:1]
	s_and_saveexec_b64 s[8:9], s[0:1]
	s_xor_b64 s[0:1], exec, s[8:9]
; %bb.215:
	v_cmp_ne_u32_e32 vcc, 0, v123
	v_cndmask_b32_e32 v123, 11, v123, vcc
; %bb.216:
	s_andn2_saveexec_b64 s[0:1], s[0:1]
	s_cbranch_execz .LBB52_222
; %bb.217:
	v_cmp_ngt_f64_e64 s[8:9], |v[110:111]|, |v[112:113]|
	s_and_saveexec_b64 s[20:21], s[8:9]
	s_xor_b64 s[8:9], exec, s[20:21]
	s_cbranch_execz .LBB52_219
; %bb.218:
	v_div_scale_f64 v[102:103], s[20:21], v[112:113], v[112:113], v[110:111]
	v_rcp_f64_e32 v[104:105], v[102:103]
	v_fma_f64 v[114:115], -v[102:103], v[104:105], 1.0
	v_fma_f64 v[104:105], v[104:105], v[114:115], v[104:105]
	v_div_scale_f64 v[114:115], vcc, v[110:111], v[112:113], v[110:111]
	v_fma_f64 v[116:117], -v[102:103], v[104:105], 1.0
	v_fma_f64 v[104:105], v[104:105], v[116:117], v[104:105]
	v_mul_f64 v[116:117], v[114:115], v[104:105]
	v_fma_f64 v[102:103], -v[102:103], v[116:117], v[114:115]
	v_div_fmas_f64 v[102:103], v[102:103], v[104:105], v[116:117]
	v_div_fixup_f64 v[102:103], v[102:103], v[112:113], v[110:111]
	v_fma_f64 v[104:105], v[110:111], v[102:103], v[112:113]
	v_div_scale_f64 v[110:111], s[20:21], v[104:105], v[104:105], 1.0
	v_div_scale_f64 v[116:117], vcc, 1.0, v[104:105], 1.0
	v_rcp_f64_e32 v[112:113], v[110:111]
	v_fma_f64 v[114:115], -v[110:111], v[112:113], 1.0
	v_fma_f64 v[112:113], v[112:113], v[114:115], v[112:113]
	v_fma_f64 v[114:115], -v[110:111], v[112:113], 1.0
	v_fma_f64 v[112:113], v[112:113], v[114:115], v[112:113]
	v_mul_f64 v[114:115], v[116:117], v[112:113]
	v_fma_f64 v[110:111], -v[110:111], v[114:115], v[116:117]
	v_div_fmas_f64 v[110:111], v[110:111], v[112:113], v[114:115]
	v_div_fixup_f64 v[112:113], v[110:111], v[104:105], 1.0
	v_mul_f64 v[110:111], v[102:103], v[112:113]
	v_xor_b32_e32 v113, 0x80000000, v113
.LBB52_219:
	s_andn2_saveexec_b64 s[8:9], s[8:9]
	s_cbranch_execz .LBB52_221
; %bb.220:
	v_div_scale_f64 v[102:103], s[20:21], v[110:111], v[110:111], v[112:113]
	v_rcp_f64_e32 v[104:105], v[102:103]
	v_fma_f64 v[114:115], -v[102:103], v[104:105], 1.0
	v_fma_f64 v[104:105], v[104:105], v[114:115], v[104:105]
	v_div_scale_f64 v[114:115], vcc, v[112:113], v[110:111], v[112:113]
	v_fma_f64 v[116:117], -v[102:103], v[104:105], 1.0
	v_fma_f64 v[104:105], v[104:105], v[116:117], v[104:105]
	v_mul_f64 v[116:117], v[114:115], v[104:105]
	v_fma_f64 v[102:103], -v[102:103], v[116:117], v[114:115]
	v_div_fmas_f64 v[102:103], v[102:103], v[104:105], v[116:117]
	v_div_fixup_f64 v[102:103], v[102:103], v[110:111], v[112:113]
	v_fma_f64 v[104:105], v[112:113], v[102:103], v[110:111]
	v_div_scale_f64 v[110:111], s[20:21], v[104:105], v[104:105], 1.0
	v_div_scale_f64 v[116:117], vcc, 1.0, v[104:105], 1.0
	v_rcp_f64_e32 v[112:113], v[110:111]
	v_fma_f64 v[114:115], -v[110:111], v[112:113], 1.0
	v_fma_f64 v[112:113], v[112:113], v[114:115], v[112:113]
	v_fma_f64 v[114:115], -v[110:111], v[112:113], 1.0
	v_fma_f64 v[112:113], v[112:113], v[114:115], v[112:113]
	v_mul_f64 v[114:115], v[116:117], v[112:113]
	v_fma_f64 v[110:111], -v[110:111], v[114:115], v[116:117]
	v_div_fmas_f64 v[110:111], v[110:111], v[112:113], v[114:115]
	v_div_fixup_f64 v[110:111], v[110:111], v[104:105], 1.0
	v_mul_f64 v[112:113], v[102:103], -v[110:111]
.LBB52_221:
	s_or_b64 exec, exec, s[8:9]
.LBB52_222:
	s_or_b64 exec, exec, s[0:1]
	v_cmp_ne_u32_e32 vcc, v120, v118
	s_and_saveexec_b64 s[0:1], vcc
	s_xor_b64 s[0:1], exec, s[0:1]
	s_cbranch_execz .LBB52_228
; %bb.223:
	v_cmp_eq_u32_e32 vcc, 10, v120
	s_and_saveexec_b64 s[8:9], vcc
	s_cbranch_execz .LBB52_227
; %bb.224:
	v_cmp_ne_u32_e32 vcc, 10, v118
	s_xor_b64 s[20:21], s[18:19], -1
	s_and_b64 s[24:25], s[20:21], vcc
	s_and_saveexec_b64 s[20:21], s[24:25]
	s_cbranch_execz .LBB52_226
; %bb.225:
	v_ashrrev_i32_e32 v119, 31, v118
	v_lshlrev_b64 v[102:103], 2, v[118:119]
	v_add_co_u32_e32 v102, vcc, v126, v102
	v_addc_co_u32_e32 v103, vcc, v127, v103, vcc
	global_load_dword v0, v[102:103], off
	global_load_dword v104, v[126:127], off offset:40
	s_waitcnt vmcnt(1)
	global_store_dword v[126:127], v0, off offset:40
	s_waitcnt vmcnt(1)
	global_store_dword v[102:103], v104, off
.LBB52_226:
	s_or_b64 exec, exec, s[20:21]
	v_mov_b32_e32 v120, v118
	v_mov_b32_e32 v0, v118
.LBB52_227:
	s_or_b64 exec, exec, s[8:9]
.LBB52_228:
	s_andn2_saveexec_b64 s[0:1], s[0:1]
	s_cbranch_execz .LBB52_230
; %bb.229:
	v_mov_b32_e32 v120, 10
	ds_write2_b64 v1, v[58:59], v[60:61] offset0:22 offset1:23
	ds_write2_b64 v1, v[54:55], v[56:57] offset0:24 offset1:25
	;; [unrolled: 1-line block ×16, first 2 shown]
.LBB52_230:
	s_or_b64 exec, exec, s[0:1]
	v_cmp_lt_i32_e32 vcc, 10, v120
	s_waitcnt vmcnt(0) lgkmcnt(0)
	s_barrier
	s_and_saveexec_b64 s[0:1], vcc
	s_cbranch_execz .LBB52_232
; %bb.231:
	v_mul_f64 v[102:103], v[110:111], v[64:65]
	v_mul_f64 v[64:65], v[112:113], v[64:65]
	v_fma_f64 v[118:119], v[112:113], v[62:63], v[102:103]
	v_fma_f64 v[62:63], v[110:111], v[62:63], -v[64:65]
	ds_read2_b64 v[110:113], v1 offset0:22 offset1:23
	s_waitcnt lgkmcnt(0)
	v_mul_f64 v[64:65], v[112:113], v[118:119]
	v_mul_f64 v[102:103], v[110:111], v[118:119]
	v_fma_f64 v[64:65], v[110:111], v[62:63], -v[64:65]
	v_fma_f64 v[102:103], v[112:113], v[62:63], v[102:103]
	ds_read2_b64 v[110:113], v1 offset0:24 offset1:25
	v_add_f64 v[58:59], v[58:59], -v[64:65]
	v_add_f64 v[60:61], v[60:61], -v[102:103]
	s_waitcnt lgkmcnt(0)
	v_mul_f64 v[64:65], v[112:113], v[118:119]
	v_mul_f64 v[102:103], v[110:111], v[118:119]
	v_fma_f64 v[64:65], v[110:111], v[62:63], -v[64:65]
	v_fma_f64 v[102:103], v[112:113], v[62:63], v[102:103]
	ds_read2_b64 v[110:113], v1 offset0:26 offset1:27
	v_add_f64 v[54:55], v[54:55], -v[64:65]
	v_add_f64 v[56:57], v[56:57], -v[102:103]
	;; [unrolled: 8-line block ×15, first 2 shown]
	s_waitcnt lgkmcnt(0)
	v_mul_f64 v[64:65], v[112:113], v[118:119]
	v_mul_f64 v[102:103], v[110:111], v[118:119]
	v_fma_f64 v[64:65], v[110:111], v[62:63], -v[64:65]
	v_fma_f64 v[102:103], v[112:113], v[62:63], v[102:103]
	v_add_f64 v[106:107], v[106:107], -v[64:65]
	v_add_f64 v[108:109], v[108:109], -v[102:103]
	v_mov_b32_e32 v64, v118
	v_mov_b32_e32 v65, v119
.LBB52_232:
	s_or_b64 exec, exec, s[0:1]
	v_lshl_add_u32 v102, v120, 4, v1
	s_barrier
	ds_write2_b64 v102, v[58:59], v[60:61] offset1:1
	s_waitcnt lgkmcnt(0)
	s_barrier
	ds_read2_b64 v[110:113], v1 offset0:22 offset1:23
	s_cmp_lt_i32 s22, 13
	v_mov_b32_e32 v118, 11
	s_cbranch_scc1 .LBB52_235
; %bb.233:
	v_add_u32_e32 v119, 0xc0, v1
	s_mov_b32 s0, 12
	v_mov_b32_e32 v118, 11
.LBB52_234:                             ; =>This Inner Loop Header: Depth=1
	s_waitcnt lgkmcnt(0)
	v_cmp_gt_f64_e32 vcc, 0, v[110:111]
	v_xor_b32_e32 v102, 0x80000000, v111
	ds_read2_b64 v[114:117], v119 offset1:1
	v_xor_b32_e32 v104, 0x80000000, v113
	v_add_u32_e32 v119, 16, v119
	s_waitcnt lgkmcnt(0)
	v_xor_b32_e32 v124, 0x80000000, v117
	v_cndmask_b32_e32 v103, v111, v102, vcc
	v_cmp_gt_f64_e32 vcc, 0, v[112:113]
	v_mov_b32_e32 v102, v110
	v_cndmask_b32_e32 v105, v113, v104, vcc
	v_cmp_gt_f64_e32 vcc, 0, v[114:115]
	v_mov_b32_e32 v104, v112
	v_add_f64 v[102:103], v[102:103], v[104:105]
	v_xor_b32_e32 v104, 0x80000000, v115
	v_cndmask_b32_e32 v105, v115, v104, vcc
	v_cmp_gt_f64_e32 vcc, 0, v[116:117]
	v_mov_b32_e32 v104, v114
	v_cndmask_b32_e32 v125, v117, v124, vcc
	v_mov_b32_e32 v124, v116
	v_add_f64 v[104:105], v[104:105], v[124:125]
	v_cmp_lt_f64_e32 vcc, v[102:103], v[104:105]
	v_mov_b32_e32 v102, s0
	s_add_i32 s0, s0, 1
	s_cmp_lg_u32 s22, s0
	v_cndmask_b32_e32 v111, v111, v115, vcc
	v_cndmask_b32_e32 v110, v110, v114, vcc
	;; [unrolled: 1-line block ×5, first 2 shown]
	s_cbranch_scc1 .LBB52_234
.LBB52_235:
	s_waitcnt lgkmcnt(0)
	v_cmp_eq_f64_e32 vcc, 0, v[110:111]
	v_cmp_eq_f64_e64 s[0:1], 0, v[112:113]
	s_and_b64 s[0:1], vcc, s[0:1]
	s_and_saveexec_b64 s[8:9], s[0:1]
	s_xor_b64 s[0:1], exec, s[8:9]
; %bb.236:
	v_cmp_ne_u32_e32 vcc, 0, v123
	v_cndmask_b32_e32 v123, 12, v123, vcc
; %bb.237:
	s_andn2_saveexec_b64 s[0:1], s[0:1]
	s_cbranch_execz .LBB52_243
; %bb.238:
	v_cmp_ngt_f64_e64 s[8:9], |v[110:111]|, |v[112:113]|
	s_and_saveexec_b64 s[20:21], s[8:9]
	s_xor_b64 s[8:9], exec, s[20:21]
	s_cbranch_execz .LBB52_240
; %bb.239:
	v_div_scale_f64 v[102:103], s[20:21], v[112:113], v[112:113], v[110:111]
	v_rcp_f64_e32 v[104:105], v[102:103]
	v_fma_f64 v[114:115], -v[102:103], v[104:105], 1.0
	v_fma_f64 v[104:105], v[104:105], v[114:115], v[104:105]
	v_div_scale_f64 v[114:115], vcc, v[110:111], v[112:113], v[110:111]
	v_fma_f64 v[116:117], -v[102:103], v[104:105], 1.0
	v_fma_f64 v[104:105], v[104:105], v[116:117], v[104:105]
	v_mul_f64 v[116:117], v[114:115], v[104:105]
	v_fma_f64 v[102:103], -v[102:103], v[116:117], v[114:115]
	v_div_fmas_f64 v[102:103], v[102:103], v[104:105], v[116:117]
	v_div_fixup_f64 v[102:103], v[102:103], v[112:113], v[110:111]
	v_fma_f64 v[104:105], v[110:111], v[102:103], v[112:113]
	v_div_scale_f64 v[110:111], s[20:21], v[104:105], v[104:105], 1.0
	v_div_scale_f64 v[116:117], vcc, 1.0, v[104:105], 1.0
	v_rcp_f64_e32 v[112:113], v[110:111]
	v_fma_f64 v[114:115], -v[110:111], v[112:113], 1.0
	v_fma_f64 v[112:113], v[112:113], v[114:115], v[112:113]
	v_fma_f64 v[114:115], -v[110:111], v[112:113], 1.0
	v_fma_f64 v[112:113], v[112:113], v[114:115], v[112:113]
	v_mul_f64 v[114:115], v[116:117], v[112:113]
	v_fma_f64 v[110:111], -v[110:111], v[114:115], v[116:117]
	v_div_fmas_f64 v[110:111], v[110:111], v[112:113], v[114:115]
	v_div_fixup_f64 v[112:113], v[110:111], v[104:105], 1.0
	v_mul_f64 v[110:111], v[102:103], v[112:113]
	v_xor_b32_e32 v113, 0x80000000, v113
.LBB52_240:
	s_andn2_saveexec_b64 s[8:9], s[8:9]
	s_cbranch_execz .LBB52_242
; %bb.241:
	v_div_scale_f64 v[102:103], s[20:21], v[110:111], v[110:111], v[112:113]
	v_rcp_f64_e32 v[104:105], v[102:103]
	v_fma_f64 v[114:115], -v[102:103], v[104:105], 1.0
	v_fma_f64 v[104:105], v[104:105], v[114:115], v[104:105]
	v_div_scale_f64 v[114:115], vcc, v[112:113], v[110:111], v[112:113]
	v_fma_f64 v[116:117], -v[102:103], v[104:105], 1.0
	v_fma_f64 v[104:105], v[104:105], v[116:117], v[104:105]
	v_mul_f64 v[116:117], v[114:115], v[104:105]
	v_fma_f64 v[102:103], -v[102:103], v[116:117], v[114:115]
	v_div_fmas_f64 v[102:103], v[102:103], v[104:105], v[116:117]
	v_div_fixup_f64 v[102:103], v[102:103], v[110:111], v[112:113]
	v_fma_f64 v[104:105], v[112:113], v[102:103], v[110:111]
	v_div_scale_f64 v[110:111], s[20:21], v[104:105], v[104:105], 1.0
	v_div_scale_f64 v[116:117], vcc, 1.0, v[104:105], 1.0
	v_rcp_f64_e32 v[112:113], v[110:111]
	v_fma_f64 v[114:115], -v[110:111], v[112:113], 1.0
	v_fma_f64 v[112:113], v[112:113], v[114:115], v[112:113]
	v_fma_f64 v[114:115], -v[110:111], v[112:113], 1.0
	v_fma_f64 v[112:113], v[112:113], v[114:115], v[112:113]
	v_mul_f64 v[114:115], v[116:117], v[112:113]
	v_fma_f64 v[110:111], -v[110:111], v[114:115], v[116:117]
	v_div_fmas_f64 v[110:111], v[110:111], v[112:113], v[114:115]
	v_div_fixup_f64 v[110:111], v[110:111], v[104:105], 1.0
	v_mul_f64 v[112:113], v[102:103], -v[110:111]
.LBB52_242:
	s_or_b64 exec, exec, s[8:9]
.LBB52_243:
	s_or_b64 exec, exec, s[0:1]
	v_cmp_ne_u32_e32 vcc, v120, v118
	s_and_saveexec_b64 s[0:1], vcc
	s_xor_b64 s[0:1], exec, s[0:1]
	s_cbranch_execz .LBB52_249
; %bb.244:
	v_cmp_eq_u32_e32 vcc, 11, v120
	s_and_saveexec_b64 s[8:9], vcc
	s_cbranch_execz .LBB52_248
; %bb.245:
	v_cmp_ne_u32_e32 vcc, 11, v118
	s_xor_b64 s[20:21], s[18:19], -1
	s_and_b64 s[24:25], s[20:21], vcc
	s_and_saveexec_b64 s[20:21], s[24:25]
	s_cbranch_execz .LBB52_247
; %bb.246:
	v_ashrrev_i32_e32 v119, 31, v118
	v_lshlrev_b64 v[102:103], 2, v[118:119]
	v_add_co_u32_e32 v102, vcc, v126, v102
	v_addc_co_u32_e32 v103, vcc, v127, v103, vcc
	global_load_dword v0, v[102:103], off
	global_load_dword v104, v[126:127], off offset:44
	s_waitcnt vmcnt(1)
	global_store_dword v[126:127], v0, off offset:44
	s_waitcnt vmcnt(1)
	global_store_dword v[102:103], v104, off
.LBB52_247:
	s_or_b64 exec, exec, s[20:21]
	v_mov_b32_e32 v120, v118
	v_mov_b32_e32 v0, v118
.LBB52_248:
	s_or_b64 exec, exec, s[8:9]
.LBB52_249:
	s_andn2_saveexec_b64 s[0:1], s[0:1]
	s_cbranch_execz .LBB52_251
; %bb.250:
	v_mov_b32_e32 v120, 11
	ds_write2_b64 v1, v[54:55], v[56:57] offset0:24 offset1:25
	ds_write2_b64 v1, v[50:51], v[52:53] offset0:26 offset1:27
	;; [unrolled: 1-line block ×15, first 2 shown]
.LBB52_251:
	s_or_b64 exec, exec, s[0:1]
	v_cmp_lt_i32_e32 vcc, 11, v120
	s_waitcnt vmcnt(0) lgkmcnt(0)
	s_barrier
	s_and_saveexec_b64 s[0:1], vcc
	s_cbranch_execz .LBB52_253
; %bb.252:
	v_mul_f64 v[102:103], v[110:111], v[60:61]
	v_mul_f64 v[60:61], v[112:113], v[60:61]
	v_fma_f64 v[118:119], v[112:113], v[58:59], v[102:103]
	v_fma_f64 v[58:59], v[110:111], v[58:59], -v[60:61]
	ds_read2_b64 v[110:113], v1 offset0:24 offset1:25
	s_waitcnt lgkmcnt(0)
	v_mul_f64 v[60:61], v[112:113], v[118:119]
	v_mul_f64 v[102:103], v[110:111], v[118:119]
	v_fma_f64 v[60:61], v[110:111], v[58:59], -v[60:61]
	v_fma_f64 v[102:103], v[112:113], v[58:59], v[102:103]
	ds_read2_b64 v[110:113], v1 offset0:26 offset1:27
	v_add_f64 v[54:55], v[54:55], -v[60:61]
	v_add_f64 v[56:57], v[56:57], -v[102:103]
	s_waitcnt lgkmcnt(0)
	v_mul_f64 v[60:61], v[112:113], v[118:119]
	v_mul_f64 v[102:103], v[110:111], v[118:119]
	v_fma_f64 v[60:61], v[110:111], v[58:59], -v[60:61]
	v_fma_f64 v[102:103], v[112:113], v[58:59], v[102:103]
	ds_read2_b64 v[110:113], v1 offset0:28 offset1:29
	v_add_f64 v[50:51], v[50:51], -v[60:61]
	v_add_f64 v[52:53], v[52:53], -v[102:103]
	;; [unrolled: 8-line block ×14, first 2 shown]
	s_waitcnt lgkmcnt(0)
	v_mul_f64 v[60:61], v[112:113], v[118:119]
	v_mul_f64 v[102:103], v[110:111], v[118:119]
	v_fma_f64 v[60:61], v[110:111], v[58:59], -v[60:61]
	v_fma_f64 v[102:103], v[112:113], v[58:59], v[102:103]
	v_add_f64 v[106:107], v[106:107], -v[60:61]
	v_add_f64 v[108:109], v[108:109], -v[102:103]
	v_mov_b32_e32 v60, v118
	v_mov_b32_e32 v61, v119
.LBB52_253:
	s_or_b64 exec, exec, s[0:1]
	v_lshl_add_u32 v102, v120, 4, v1
	s_barrier
	ds_write2_b64 v102, v[54:55], v[56:57] offset1:1
	s_waitcnt lgkmcnt(0)
	s_barrier
	ds_read2_b64 v[110:113], v1 offset0:24 offset1:25
	s_cmp_lt_i32 s22, 14
	v_mov_b32_e32 v118, 12
	s_cbranch_scc1 .LBB52_256
; %bb.254:
	v_add_u32_e32 v119, 0xd0, v1
	s_mov_b32 s0, 13
	v_mov_b32_e32 v118, 12
.LBB52_255:                             ; =>This Inner Loop Header: Depth=1
	s_waitcnt lgkmcnt(0)
	v_cmp_gt_f64_e32 vcc, 0, v[110:111]
	v_xor_b32_e32 v102, 0x80000000, v111
	ds_read2_b64 v[114:117], v119 offset1:1
	v_xor_b32_e32 v104, 0x80000000, v113
	v_add_u32_e32 v119, 16, v119
	s_waitcnt lgkmcnt(0)
	v_xor_b32_e32 v124, 0x80000000, v117
	v_cndmask_b32_e32 v103, v111, v102, vcc
	v_cmp_gt_f64_e32 vcc, 0, v[112:113]
	v_mov_b32_e32 v102, v110
	v_cndmask_b32_e32 v105, v113, v104, vcc
	v_cmp_gt_f64_e32 vcc, 0, v[114:115]
	v_mov_b32_e32 v104, v112
	v_add_f64 v[102:103], v[102:103], v[104:105]
	v_xor_b32_e32 v104, 0x80000000, v115
	v_cndmask_b32_e32 v105, v115, v104, vcc
	v_cmp_gt_f64_e32 vcc, 0, v[116:117]
	v_mov_b32_e32 v104, v114
	v_cndmask_b32_e32 v125, v117, v124, vcc
	v_mov_b32_e32 v124, v116
	v_add_f64 v[104:105], v[104:105], v[124:125]
	v_cmp_lt_f64_e32 vcc, v[102:103], v[104:105]
	v_mov_b32_e32 v102, s0
	s_add_i32 s0, s0, 1
	s_cmp_lg_u32 s22, s0
	v_cndmask_b32_e32 v111, v111, v115, vcc
	v_cndmask_b32_e32 v110, v110, v114, vcc
	;; [unrolled: 1-line block ×5, first 2 shown]
	s_cbranch_scc1 .LBB52_255
.LBB52_256:
	s_waitcnt lgkmcnt(0)
	v_cmp_eq_f64_e32 vcc, 0, v[110:111]
	v_cmp_eq_f64_e64 s[0:1], 0, v[112:113]
	s_and_b64 s[0:1], vcc, s[0:1]
	s_and_saveexec_b64 s[8:9], s[0:1]
	s_xor_b64 s[0:1], exec, s[8:9]
; %bb.257:
	v_cmp_ne_u32_e32 vcc, 0, v123
	v_cndmask_b32_e32 v123, 13, v123, vcc
; %bb.258:
	s_andn2_saveexec_b64 s[0:1], s[0:1]
	s_cbranch_execz .LBB52_264
; %bb.259:
	v_cmp_ngt_f64_e64 s[8:9], |v[110:111]|, |v[112:113]|
	s_and_saveexec_b64 s[20:21], s[8:9]
	s_xor_b64 s[8:9], exec, s[20:21]
	s_cbranch_execz .LBB52_261
; %bb.260:
	v_div_scale_f64 v[102:103], s[20:21], v[112:113], v[112:113], v[110:111]
	v_rcp_f64_e32 v[104:105], v[102:103]
	v_fma_f64 v[114:115], -v[102:103], v[104:105], 1.0
	v_fma_f64 v[104:105], v[104:105], v[114:115], v[104:105]
	v_div_scale_f64 v[114:115], vcc, v[110:111], v[112:113], v[110:111]
	v_fma_f64 v[116:117], -v[102:103], v[104:105], 1.0
	v_fma_f64 v[104:105], v[104:105], v[116:117], v[104:105]
	v_mul_f64 v[116:117], v[114:115], v[104:105]
	v_fma_f64 v[102:103], -v[102:103], v[116:117], v[114:115]
	v_div_fmas_f64 v[102:103], v[102:103], v[104:105], v[116:117]
	v_div_fixup_f64 v[102:103], v[102:103], v[112:113], v[110:111]
	v_fma_f64 v[104:105], v[110:111], v[102:103], v[112:113]
	v_div_scale_f64 v[110:111], s[20:21], v[104:105], v[104:105], 1.0
	v_div_scale_f64 v[116:117], vcc, 1.0, v[104:105], 1.0
	v_rcp_f64_e32 v[112:113], v[110:111]
	v_fma_f64 v[114:115], -v[110:111], v[112:113], 1.0
	v_fma_f64 v[112:113], v[112:113], v[114:115], v[112:113]
	v_fma_f64 v[114:115], -v[110:111], v[112:113], 1.0
	v_fma_f64 v[112:113], v[112:113], v[114:115], v[112:113]
	v_mul_f64 v[114:115], v[116:117], v[112:113]
	v_fma_f64 v[110:111], -v[110:111], v[114:115], v[116:117]
	v_div_fmas_f64 v[110:111], v[110:111], v[112:113], v[114:115]
	v_div_fixup_f64 v[112:113], v[110:111], v[104:105], 1.0
	v_mul_f64 v[110:111], v[102:103], v[112:113]
	v_xor_b32_e32 v113, 0x80000000, v113
.LBB52_261:
	s_andn2_saveexec_b64 s[8:9], s[8:9]
	s_cbranch_execz .LBB52_263
; %bb.262:
	v_div_scale_f64 v[102:103], s[20:21], v[110:111], v[110:111], v[112:113]
	v_rcp_f64_e32 v[104:105], v[102:103]
	v_fma_f64 v[114:115], -v[102:103], v[104:105], 1.0
	v_fma_f64 v[104:105], v[104:105], v[114:115], v[104:105]
	v_div_scale_f64 v[114:115], vcc, v[112:113], v[110:111], v[112:113]
	v_fma_f64 v[116:117], -v[102:103], v[104:105], 1.0
	v_fma_f64 v[104:105], v[104:105], v[116:117], v[104:105]
	v_mul_f64 v[116:117], v[114:115], v[104:105]
	v_fma_f64 v[102:103], -v[102:103], v[116:117], v[114:115]
	v_div_fmas_f64 v[102:103], v[102:103], v[104:105], v[116:117]
	v_div_fixup_f64 v[102:103], v[102:103], v[110:111], v[112:113]
	v_fma_f64 v[104:105], v[112:113], v[102:103], v[110:111]
	v_div_scale_f64 v[110:111], s[20:21], v[104:105], v[104:105], 1.0
	v_div_scale_f64 v[116:117], vcc, 1.0, v[104:105], 1.0
	v_rcp_f64_e32 v[112:113], v[110:111]
	v_fma_f64 v[114:115], -v[110:111], v[112:113], 1.0
	v_fma_f64 v[112:113], v[112:113], v[114:115], v[112:113]
	v_fma_f64 v[114:115], -v[110:111], v[112:113], 1.0
	v_fma_f64 v[112:113], v[112:113], v[114:115], v[112:113]
	v_mul_f64 v[114:115], v[116:117], v[112:113]
	v_fma_f64 v[110:111], -v[110:111], v[114:115], v[116:117]
	v_div_fmas_f64 v[110:111], v[110:111], v[112:113], v[114:115]
	v_div_fixup_f64 v[110:111], v[110:111], v[104:105], 1.0
	v_mul_f64 v[112:113], v[102:103], -v[110:111]
.LBB52_263:
	s_or_b64 exec, exec, s[8:9]
.LBB52_264:
	s_or_b64 exec, exec, s[0:1]
	v_cmp_ne_u32_e32 vcc, v120, v118
	s_and_saveexec_b64 s[0:1], vcc
	s_xor_b64 s[0:1], exec, s[0:1]
	s_cbranch_execz .LBB52_270
; %bb.265:
	v_cmp_eq_u32_e32 vcc, 12, v120
	s_and_saveexec_b64 s[8:9], vcc
	s_cbranch_execz .LBB52_269
; %bb.266:
	v_cmp_ne_u32_e32 vcc, 12, v118
	s_xor_b64 s[20:21], s[18:19], -1
	s_and_b64 s[24:25], s[20:21], vcc
	s_and_saveexec_b64 s[20:21], s[24:25]
	s_cbranch_execz .LBB52_268
; %bb.267:
	v_ashrrev_i32_e32 v119, 31, v118
	v_lshlrev_b64 v[102:103], 2, v[118:119]
	v_add_co_u32_e32 v102, vcc, v126, v102
	v_addc_co_u32_e32 v103, vcc, v127, v103, vcc
	global_load_dword v0, v[102:103], off
	global_load_dword v104, v[126:127], off offset:48
	s_waitcnt vmcnt(1)
	global_store_dword v[126:127], v0, off offset:48
	s_waitcnt vmcnt(1)
	global_store_dword v[102:103], v104, off
.LBB52_268:
	s_or_b64 exec, exec, s[20:21]
	v_mov_b32_e32 v120, v118
	v_mov_b32_e32 v0, v118
.LBB52_269:
	s_or_b64 exec, exec, s[8:9]
.LBB52_270:
	s_andn2_saveexec_b64 s[0:1], s[0:1]
	s_cbranch_execz .LBB52_272
; %bb.271:
	v_mov_b32_e32 v120, 12
	ds_write2_b64 v1, v[50:51], v[52:53] offset0:26 offset1:27
	ds_write2_b64 v1, v[46:47], v[48:49] offset0:28 offset1:29
	;; [unrolled: 1-line block ×14, first 2 shown]
.LBB52_272:
	s_or_b64 exec, exec, s[0:1]
	v_cmp_lt_i32_e32 vcc, 12, v120
	s_waitcnt vmcnt(0) lgkmcnt(0)
	s_barrier
	s_and_saveexec_b64 s[0:1], vcc
	s_cbranch_execz .LBB52_274
; %bb.273:
	v_mul_f64 v[102:103], v[110:111], v[56:57]
	v_mul_f64 v[56:57], v[112:113], v[56:57]
	v_fma_f64 v[118:119], v[112:113], v[54:55], v[102:103]
	v_fma_f64 v[54:55], v[110:111], v[54:55], -v[56:57]
	ds_read2_b64 v[110:113], v1 offset0:26 offset1:27
	s_waitcnt lgkmcnt(0)
	v_mul_f64 v[56:57], v[112:113], v[118:119]
	v_mul_f64 v[102:103], v[110:111], v[118:119]
	v_fma_f64 v[56:57], v[110:111], v[54:55], -v[56:57]
	v_fma_f64 v[102:103], v[112:113], v[54:55], v[102:103]
	ds_read2_b64 v[110:113], v1 offset0:28 offset1:29
	v_add_f64 v[50:51], v[50:51], -v[56:57]
	v_add_f64 v[52:53], v[52:53], -v[102:103]
	s_waitcnt lgkmcnt(0)
	v_mul_f64 v[56:57], v[112:113], v[118:119]
	v_mul_f64 v[102:103], v[110:111], v[118:119]
	v_fma_f64 v[56:57], v[110:111], v[54:55], -v[56:57]
	v_fma_f64 v[102:103], v[112:113], v[54:55], v[102:103]
	ds_read2_b64 v[110:113], v1 offset0:30 offset1:31
	v_add_f64 v[46:47], v[46:47], -v[56:57]
	v_add_f64 v[48:49], v[48:49], -v[102:103]
	;; [unrolled: 8-line block ×13, first 2 shown]
	s_waitcnt lgkmcnt(0)
	v_mul_f64 v[56:57], v[112:113], v[118:119]
	v_mul_f64 v[102:103], v[110:111], v[118:119]
	v_fma_f64 v[56:57], v[110:111], v[54:55], -v[56:57]
	v_fma_f64 v[102:103], v[112:113], v[54:55], v[102:103]
	v_add_f64 v[106:107], v[106:107], -v[56:57]
	v_add_f64 v[108:109], v[108:109], -v[102:103]
	v_mov_b32_e32 v56, v118
	v_mov_b32_e32 v57, v119
.LBB52_274:
	s_or_b64 exec, exec, s[0:1]
	v_lshl_add_u32 v102, v120, 4, v1
	s_barrier
	ds_write2_b64 v102, v[50:51], v[52:53] offset1:1
	s_waitcnt lgkmcnt(0)
	s_barrier
	ds_read2_b64 v[110:113], v1 offset0:26 offset1:27
	s_cmp_lt_i32 s22, 15
	v_mov_b32_e32 v118, 13
	s_cbranch_scc1 .LBB52_277
; %bb.275:
	v_add_u32_e32 v119, 0xe0, v1
	s_mov_b32 s0, 14
	v_mov_b32_e32 v118, 13
.LBB52_276:                             ; =>This Inner Loop Header: Depth=1
	s_waitcnt lgkmcnt(0)
	v_cmp_gt_f64_e32 vcc, 0, v[110:111]
	v_xor_b32_e32 v102, 0x80000000, v111
	ds_read2_b64 v[114:117], v119 offset1:1
	v_xor_b32_e32 v104, 0x80000000, v113
	v_add_u32_e32 v119, 16, v119
	s_waitcnt lgkmcnt(0)
	v_xor_b32_e32 v124, 0x80000000, v117
	v_cndmask_b32_e32 v103, v111, v102, vcc
	v_cmp_gt_f64_e32 vcc, 0, v[112:113]
	v_mov_b32_e32 v102, v110
	v_cndmask_b32_e32 v105, v113, v104, vcc
	v_cmp_gt_f64_e32 vcc, 0, v[114:115]
	v_mov_b32_e32 v104, v112
	v_add_f64 v[102:103], v[102:103], v[104:105]
	v_xor_b32_e32 v104, 0x80000000, v115
	v_cndmask_b32_e32 v105, v115, v104, vcc
	v_cmp_gt_f64_e32 vcc, 0, v[116:117]
	v_mov_b32_e32 v104, v114
	v_cndmask_b32_e32 v125, v117, v124, vcc
	v_mov_b32_e32 v124, v116
	v_add_f64 v[104:105], v[104:105], v[124:125]
	v_cmp_lt_f64_e32 vcc, v[102:103], v[104:105]
	v_mov_b32_e32 v102, s0
	s_add_i32 s0, s0, 1
	s_cmp_lg_u32 s22, s0
	v_cndmask_b32_e32 v111, v111, v115, vcc
	v_cndmask_b32_e32 v110, v110, v114, vcc
	v_cndmask_b32_e32 v113, v113, v117, vcc
	v_cndmask_b32_e32 v112, v112, v116, vcc
	v_cndmask_b32_e32 v118, v118, v102, vcc
	s_cbranch_scc1 .LBB52_276
.LBB52_277:
	s_waitcnt lgkmcnt(0)
	v_cmp_eq_f64_e32 vcc, 0, v[110:111]
	v_cmp_eq_f64_e64 s[0:1], 0, v[112:113]
	s_and_b64 s[0:1], vcc, s[0:1]
	s_and_saveexec_b64 s[8:9], s[0:1]
	s_xor_b64 s[0:1], exec, s[8:9]
; %bb.278:
	v_cmp_ne_u32_e32 vcc, 0, v123
	v_cndmask_b32_e32 v123, 14, v123, vcc
; %bb.279:
	s_andn2_saveexec_b64 s[0:1], s[0:1]
	s_cbranch_execz .LBB52_285
; %bb.280:
	v_cmp_ngt_f64_e64 s[8:9], |v[110:111]|, |v[112:113]|
	s_and_saveexec_b64 s[20:21], s[8:9]
	s_xor_b64 s[8:9], exec, s[20:21]
	s_cbranch_execz .LBB52_282
; %bb.281:
	v_div_scale_f64 v[102:103], s[20:21], v[112:113], v[112:113], v[110:111]
	v_rcp_f64_e32 v[104:105], v[102:103]
	v_fma_f64 v[114:115], -v[102:103], v[104:105], 1.0
	v_fma_f64 v[104:105], v[104:105], v[114:115], v[104:105]
	v_div_scale_f64 v[114:115], vcc, v[110:111], v[112:113], v[110:111]
	v_fma_f64 v[116:117], -v[102:103], v[104:105], 1.0
	v_fma_f64 v[104:105], v[104:105], v[116:117], v[104:105]
	v_mul_f64 v[116:117], v[114:115], v[104:105]
	v_fma_f64 v[102:103], -v[102:103], v[116:117], v[114:115]
	v_div_fmas_f64 v[102:103], v[102:103], v[104:105], v[116:117]
	v_div_fixup_f64 v[102:103], v[102:103], v[112:113], v[110:111]
	v_fma_f64 v[104:105], v[110:111], v[102:103], v[112:113]
	v_div_scale_f64 v[110:111], s[20:21], v[104:105], v[104:105], 1.0
	v_div_scale_f64 v[116:117], vcc, 1.0, v[104:105], 1.0
	v_rcp_f64_e32 v[112:113], v[110:111]
	v_fma_f64 v[114:115], -v[110:111], v[112:113], 1.0
	v_fma_f64 v[112:113], v[112:113], v[114:115], v[112:113]
	v_fma_f64 v[114:115], -v[110:111], v[112:113], 1.0
	v_fma_f64 v[112:113], v[112:113], v[114:115], v[112:113]
	v_mul_f64 v[114:115], v[116:117], v[112:113]
	v_fma_f64 v[110:111], -v[110:111], v[114:115], v[116:117]
	v_div_fmas_f64 v[110:111], v[110:111], v[112:113], v[114:115]
	v_div_fixup_f64 v[112:113], v[110:111], v[104:105], 1.0
	v_mul_f64 v[110:111], v[102:103], v[112:113]
	v_xor_b32_e32 v113, 0x80000000, v113
.LBB52_282:
	s_andn2_saveexec_b64 s[8:9], s[8:9]
	s_cbranch_execz .LBB52_284
; %bb.283:
	v_div_scale_f64 v[102:103], s[20:21], v[110:111], v[110:111], v[112:113]
	v_rcp_f64_e32 v[104:105], v[102:103]
	v_fma_f64 v[114:115], -v[102:103], v[104:105], 1.0
	v_fma_f64 v[104:105], v[104:105], v[114:115], v[104:105]
	v_div_scale_f64 v[114:115], vcc, v[112:113], v[110:111], v[112:113]
	v_fma_f64 v[116:117], -v[102:103], v[104:105], 1.0
	v_fma_f64 v[104:105], v[104:105], v[116:117], v[104:105]
	v_mul_f64 v[116:117], v[114:115], v[104:105]
	v_fma_f64 v[102:103], -v[102:103], v[116:117], v[114:115]
	v_div_fmas_f64 v[102:103], v[102:103], v[104:105], v[116:117]
	v_div_fixup_f64 v[102:103], v[102:103], v[110:111], v[112:113]
	v_fma_f64 v[104:105], v[112:113], v[102:103], v[110:111]
	v_div_scale_f64 v[110:111], s[20:21], v[104:105], v[104:105], 1.0
	v_div_scale_f64 v[116:117], vcc, 1.0, v[104:105], 1.0
	v_rcp_f64_e32 v[112:113], v[110:111]
	v_fma_f64 v[114:115], -v[110:111], v[112:113], 1.0
	v_fma_f64 v[112:113], v[112:113], v[114:115], v[112:113]
	v_fma_f64 v[114:115], -v[110:111], v[112:113], 1.0
	v_fma_f64 v[112:113], v[112:113], v[114:115], v[112:113]
	v_mul_f64 v[114:115], v[116:117], v[112:113]
	v_fma_f64 v[110:111], -v[110:111], v[114:115], v[116:117]
	v_div_fmas_f64 v[110:111], v[110:111], v[112:113], v[114:115]
	v_div_fixup_f64 v[110:111], v[110:111], v[104:105], 1.0
	v_mul_f64 v[112:113], v[102:103], -v[110:111]
.LBB52_284:
	s_or_b64 exec, exec, s[8:9]
.LBB52_285:
	s_or_b64 exec, exec, s[0:1]
	v_cmp_ne_u32_e32 vcc, v120, v118
	s_and_saveexec_b64 s[0:1], vcc
	s_xor_b64 s[0:1], exec, s[0:1]
	s_cbranch_execz .LBB52_291
; %bb.286:
	v_cmp_eq_u32_e32 vcc, 13, v120
	s_and_saveexec_b64 s[8:9], vcc
	s_cbranch_execz .LBB52_290
; %bb.287:
	v_cmp_ne_u32_e32 vcc, 13, v118
	s_xor_b64 s[20:21], s[18:19], -1
	s_and_b64 s[24:25], s[20:21], vcc
	s_and_saveexec_b64 s[20:21], s[24:25]
	s_cbranch_execz .LBB52_289
; %bb.288:
	v_ashrrev_i32_e32 v119, 31, v118
	v_lshlrev_b64 v[102:103], 2, v[118:119]
	v_add_co_u32_e32 v102, vcc, v126, v102
	v_addc_co_u32_e32 v103, vcc, v127, v103, vcc
	global_load_dword v0, v[102:103], off
	global_load_dword v104, v[126:127], off offset:52
	s_waitcnt vmcnt(1)
	global_store_dword v[126:127], v0, off offset:52
	s_waitcnt vmcnt(1)
	global_store_dword v[102:103], v104, off
.LBB52_289:
	s_or_b64 exec, exec, s[20:21]
	v_mov_b32_e32 v120, v118
	v_mov_b32_e32 v0, v118
.LBB52_290:
	s_or_b64 exec, exec, s[8:9]
.LBB52_291:
	s_andn2_saveexec_b64 s[0:1], s[0:1]
	s_cbranch_execz .LBB52_293
; %bb.292:
	v_mov_b32_e32 v120, 13
	ds_write2_b64 v1, v[46:47], v[48:49] offset0:28 offset1:29
	ds_write2_b64 v1, v[42:43], v[44:45] offset0:30 offset1:31
	;; [unrolled: 1-line block ×13, first 2 shown]
.LBB52_293:
	s_or_b64 exec, exec, s[0:1]
	v_cmp_lt_i32_e32 vcc, 13, v120
	s_waitcnt vmcnt(0) lgkmcnt(0)
	s_barrier
	s_and_saveexec_b64 s[0:1], vcc
	s_cbranch_execz .LBB52_295
; %bb.294:
	v_mul_f64 v[102:103], v[110:111], v[52:53]
	v_mul_f64 v[52:53], v[112:113], v[52:53]
	v_fma_f64 v[118:119], v[112:113], v[50:51], v[102:103]
	v_fma_f64 v[50:51], v[110:111], v[50:51], -v[52:53]
	ds_read2_b64 v[110:113], v1 offset0:28 offset1:29
	s_waitcnt lgkmcnt(0)
	v_mul_f64 v[52:53], v[112:113], v[118:119]
	v_mul_f64 v[102:103], v[110:111], v[118:119]
	v_fma_f64 v[52:53], v[110:111], v[50:51], -v[52:53]
	v_fma_f64 v[102:103], v[112:113], v[50:51], v[102:103]
	ds_read2_b64 v[110:113], v1 offset0:30 offset1:31
	v_add_f64 v[46:47], v[46:47], -v[52:53]
	v_add_f64 v[48:49], v[48:49], -v[102:103]
	s_waitcnt lgkmcnt(0)
	v_mul_f64 v[52:53], v[112:113], v[118:119]
	v_mul_f64 v[102:103], v[110:111], v[118:119]
	v_fma_f64 v[52:53], v[110:111], v[50:51], -v[52:53]
	v_fma_f64 v[102:103], v[112:113], v[50:51], v[102:103]
	ds_read2_b64 v[110:113], v1 offset0:32 offset1:33
	v_add_f64 v[42:43], v[42:43], -v[52:53]
	v_add_f64 v[44:45], v[44:45], -v[102:103]
	;; [unrolled: 8-line block ×12, first 2 shown]
	s_waitcnt lgkmcnt(0)
	v_mul_f64 v[52:53], v[112:113], v[118:119]
	v_mul_f64 v[102:103], v[110:111], v[118:119]
	v_fma_f64 v[52:53], v[110:111], v[50:51], -v[52:53]
	v_fma_f64 v[102:103], v[112:113], v[50:51], v[102:103]
	v_add_f64 v[106:107], v[106:107], -v[52:53]
	v_add_f64 v[108:109], v[108:109], -v[102:103]
	v_mov_b32_e32 v52, v118
	v_mov_b32_e32 v53, v119
.LBB52_295:
	s_or_b64 exec, exec, s[0:1]
	v_lshl_add_u32 v102, v120, 4, v1
	s_barrier
	ds_write2_b64 v102, v[46:47], v[48:49] offset1:1
	s_waitcnt lgkmcnt(0)
	s_barrier
	ds_read2_b64 v[110:113], v1 offset0:28 offset1:29
	s_cmp_lt_i32 s22, 16
	v_mov_b32_e32 v118, 14
	s_cbranch_scc1 .LBB52_298
; %bb.296:
	v_add_u32_e32 v119, 0xf0, v1
	s_mov_b32 s0, 15
	v_mov_b32_e32 v118, 14
.LBB52_297:                             ; =>This Inner Loop Header: Depth=1
	s_waitcnt lgkmcnt(0)
	v_cmp_gt_f64_e32 vcc, 0, v[110:111]
	v_xor_b32_e32 v102, 0x80000000, v111
	ds_read2_b64 v[114:117], v119 offset1:1
	v_xor_b32_e32 v104, 0x80000000, v113
	v_add_u32_e32 v119, 16, v119
	s_waitcnt lgkmcnt(0)
	v_xor_b32_e32 v124, 0x80000000, v117
	v_cndmask_b32_e32 v103, v111, v102, vcc
	v_cmp_gt_f64_e32 vcc, 0, v[112:113]
	v_mov_b32_e32 v102, v110
	v_cndmask_b32_e32 v105, v113, v104, vcc
	v_cmp_gt_f64_e32 vcc, 0, v[114:115]
	v_mov_b32_e32 v104, v112
	v_add_f64 v[102:103], v[102:103], v[104:105]
	v_xor_b32_e32 v104, 0x80000000, v115
	v_cndmask_b32_e32 v105, v115, v104, vcc
	v_cmp_gt_f64_e32 vcc, 0, v[116:117]
	v_mov_b32_e32 v104, v114
	v_cndmask_b32_e32 v125, v117, v124, vcc
	v_mov_b32_e32 v124, v116
	v_add_f64 v[104:105], v[104:105], v[124:125]
	v_cmp_lt_f64_e32 vcc, v[102:103], v[104:105]
	v_mov_b32_e32 v102, s0
	s_add_i32 s0, s0, 1
	s_cmp_lg_u32 s22, s0
	v_cndmask_b32_e32 v111, v111, v115, vcc
	v_cndmask_b32_e32 v110, v110, v114, vcc
	;; [unrolled: 1-line block ×5, first 2 shown]
	s_cbranch_scc1 .LBB52_297
.LBB52_298:
	s_waitcnt lgkmcnt(0)
	v_cmp_eq_f64_e32 vcc, 0, v[110:111]
	v_cmp_eq_f64_e64 s[0:1], 0, v[112:113]
	s_and_b64 s[0:1], vcc, s[0:1]
	s_and_saveexec_b64 s[8:9], s[0:1]
	s_xor_b64 s[0:1], exec, s[8:9]
; %bb.299:
	v_cmp_ne_u32_e32 vcc, 0, v123
	v_cndmask_b32_e32 v123, 15, v123, vcc
; %bb.300:
	s_andn2_saveexec_b64 s[0:1], s[0:1]
	s_cbranch_execz .LBB52_306
; %bb.301:
	v_cmp_ngt_f64_e64 s[8:9], |v[110:111]|, |v[112:113]|
	s_and_saveexec_b64 s[20:21], s[8:9]
	s_xor_b64 s[8:9], exec, s[20:21]
	s_cbranch_execz .LBB52_303
; %bb.302:
	v_div_scale_f64 v[102:103], s[20:21], v[112:113], v[112:113], v[110:111]
	v_rcp_f64_e32 v[104:105], v[102:103]
	v_fma_f64 v[114:115], -v[102:103], v[104:105], 1.0
	v_fma_f64 v[104:105], v[104:105], v[114:115], v[104:105]
	v_div_scale_f64 v[114:115], vcc, v[110:111], v[112:113], v[110:111]
	v_fma_f64 v[116:117], -v[102:103], v[104:105], 1.0
	v_fma_f64 v[104:105], v[104:105], v[116:117], v[104:105]
	v_mul_f64 v[116:117], v[114:115], v[104:105]
	v_fma_f64 v[102:103], -v[102:103], v[116:117], v[114:115]
	v_div_fmas_f64 v[102:103], v[102:103], v[104:105], v[116:117]
	v_div_fixup_f64 v[102:103], v[102:103], v[112:113], v[110:111]
	v_fma_f64 v[104:105], v[110:111], v[102:103], v[112:113]
	v_div_scale_f64 v[110:111], s[20:21], v[104:105], v[104:105], 1.0
	v_div_scale_f64 v[116:117], vcc, 1.0, v[104:105], 1.0
	v_rcp_f64_e32 v[112:113], v[110:111]
	v_fma_f64 v[114:115], -v[110:111], v[112:113], 1.0
	v_fma_f64 v[112:113], v[112:113], v[114:115], v[112:113]
	v_fma_f64 v[114:115], -v[110:111], v[112:113], 1.0
	v_fma_f64 v[112:113], v[112:113], v[114:115], v[112:113]
	v_mul_f64 v[114:115], v[116:117], v[112:113]
	v_fma_f64 v[110:111], -v[110:111], v[114:115], v[116:117]
	v_div_fmas_f64 v[110:111], v[110:111], v[112:113], v[114:115]
	v_div_fixup_f64 v[112:113], v[110:111], v[104:105], 1.0
	v_mul_f64 v[110:111], v[102:103], v[112:113]
	v_xor_b32_e32 v113, 0x80000000, v113
.LBB52_303:
	s_andn2_saveexec_b64 s[8:9], s[8:9]
	s_cbranch_execz .LBB52_305
; %bb.304:
	v_div_scale_f64 v[102:103], s[20:21], v[110:111], v[110:111], v[112:113]
	v_rcp_f64_e32 v[104:105], v[102:103]
	v_fma_f64 v[114:115], -v[102:103], v[104:105], 1.0
	v_fma_f64 v[104:105], v[104:105], v[114:115], v[104:105]
	v_div_scale_f64 v[114:115], vcc, v[112:113], v[110:111], v[112:113]
	v_fma_f64 v[116:117], -v[102:103], v[104:105], 1.0
	v_fma_f64 v[104:105], v[104:105], v[116:117], v[104:105]
	v_mul_f64 v[116:117], v[114:115], v[104:105]
	v_fma_f64 v[102:103], -v[102:103], v[116:117], v[114:115]
	v_div_fmas_f64 v[102:103], v[102:103], v[104:105], v[116:117]
	v_div_fixup_f64 v[102:103], v[102:103], v[110:111], v[112:113]
	v_fma_f64 v[104:105], v[112:113], v[102:103], v[110:111]
	v_div_scale_f64 v[110:111], s[20:21], v[104:105], v[104:105], 1.0
	v_div_scale_f64 v[116:117], vcc, 1.0, v[104:105], 1.0
	v_rcp_f64_e32 v[112:113], v[110:111]
	v_fma_f64 v[114:115], -v[110:111], v[112:113], 1.0
	v_fma_f64 v[112:113], v[112:113], v[114:115], v[112:113]
	v_fma_f64 v[114:115], -v[110:111], v[112:113], 1.0
	v_fma_f64 v[112:113], v[112:113], v[114:115], v[112:113]
	v_mul_f64 v[114:115], v[116:117], v[112:113]
	v_fma_f64 v[110:111], -v[110:111], v[114:115], v[116:117]
	v_div_fmas_f64 v[110:111], v[110:111], v[112:113], v[114:115]
	v_div_fixup_f64 v[110:111], v[110:111], v[104:105], 1.0
	v_mul_f64 v[112:113], v[102:103], -v[110:111]
.LBB52_305:
	s_or_b64 exec, exec, s[8:9]
.LBB52_306:
	s_or_b64 exec, exec, s[0:1]
	v_cmp_ne_u32_e32 vcc, v120, v118
	s_and_saveexec_b64 s[0:1], vcc
	s_xor_b64 s[0:1], exec, s[0:1]
	s_cbranch_execz .LBB52_312
; %bb.307:
	v_cmp_eq_u32_e32 vcc, 14, v120
	s_and_saveexec_b64 s[8:9], vcc
	s_cbranch_execz .LBB52_311
; %bb.308:
	v_cmp_ne_u32_e32 vcc, 14, v118
	s_xor_b64 s[20:21], s[18:19], -1
	s_and_b64 s[24:25], s[20:21], vcc
	s_and_saveexec_b64 s[20:21], s[24:25]
	s_cbranch_execz .LBB52_310
; %bb.309:
	v_ashrrev_i32_e32 v119, 31, v118
	v_lshlrev_b64 v[102:103], 2, v[118:119]
	v_add_co_u32_e32 v102, vcc, v126, v102
	v_addc_co_u32_e32 v103, vcc, v127, v103, vcc
	global_load_dword v0, v[102:103], off
	global_load_dword v104, v[126:127], off offset:56
	s_waitcnt vmcnt(1)
	global_store_dword v[126:127], v0, off offset:56
	s_waitcnt vmcnt(1)
	global_store_dword v[102:103], v104, off
.LBB52_310:
	s_or_b64 exec, exec, s[20:21]
	v_mov_b32_e32 v120, v118
	v_mov_b32_e32 v0, v118
.LBB52_311:
	s_or_b64 exec, exec, s[8:9]
.LBB52_312:
	s_andn2_saveexec_b64 s[0:1], s[0:1]
	s_cbranch_execz .LBB52_314
; %bb.313:
	v_mov_b32_e32 v120, 14
	ds_write2_b64 v1, v[42:43], v[44:45] offset0:30 offset1:31
	ds_write2_b64 v1, v[38:39], v[40:41] offset0:32 offset1:33
	;; [unrolled: 1-line block ×12, first 2 shown]
.LBB52_314:
	s_or_b64 exec, exec, s[0:1]
	v_cmp_lt_i32_e32 vcc, 14, v120
	s_waitcnt vmcnt(0) lgkmcnt(0)
	s_barrier
	s_and_saveexec_b64 s[0:1], vcc
	s_cbranch_execz .LBB52_316
; %bb.315:
	v_mul_f64 v[102:103], v[110:111], v[48:49]
	v_mul_f64 v[48:49], v[112:113], v[48:49]
	v_fma_f64 v[118:119], v[112:113], v[46:47], v[102:103]
	v_fma_f64 v[46:47], v[110:111], v[46:47], -v[48:49]
	ds_read2_b64 v[110:113], v1 offset0:30 offset1:31
	s_waitcnt lgkmcnt(0)
	v_mul_f64 v[48:49], v[112:113], v[118:119]
	v_mul_f64 v[102:103], v[110:111], v[118:119]
	v_fma_f64 v[48:49], v[110:111], v[46:47], -v[48:49]
	v_fma_f64 v[102:103], v[112:113], v[46:47], v[102:103]
	ds_read2_b64 v[110:113], v1 offset0:32 offset1:33
	v_add_f64 v[42:43], v[42:43], -v[48:49]
	v_add_f64 v[44:45], v[44:45], -v[102:103]
	s_waitcnt lgkmcnt(0)
	v_mul_f64 v[48:49], v[112:113], v[118:119]
	v_mul_f64 v[102:103], v[110:111], v[118:119]
	v_fma_f64 v[48:49], v[110:111], v[46:47], -v[48:49]
	v_fma_f64 v[102:103], v[112:113], v[46:47], v[102:103]
	ds_read2_b64 v[110:113], v1 offset0:34 offset1:35
	v_add_f64 v[38:39], v[38:39], -v[48:49]
	v_add_f64 v[40:41], v[40:41], -v[102:103]
	;; [unrolled: 8-line block ×11, first 2 shown]
	s_waitcnt lgkmcnt(0)
	v_mul_f64 v[48:49], v[112:113], v[118:119]
	v_mul_f64 v[102:103], v[110:111], v[118:119]
	v_fma_f64 v[48:49], v[110:111], v[46:47], -v[48:49]
	v_fma_f64 v[102:103], v[112:113], v[46:47], v[102:103]
	v_add_f64 v[106:107], v[106:107], -v[48:49]
	v_add_f64 v[108:109], v[108:109], -v[102:103]
	v_mov_b32_e32 v48, v118
	v_mov_b32_e32 v49, v119
.LBB52_316:
	s_or_b64 exec, exec, s[0:1]
	v_lshl_add_u32 v102, v120, 4, v1
	s_barrier
	ds_write2_b64 v102, v[42:43], v[44:45] offset1:1
	s_waitcnt lgkmcnt(0)
	s_barrier
	ds_read2_b64 v[110:113], v1 offset0:30 offset1:31
	s_cmp_lt_i32 s22, 17
	v_mov_b32_e32 v118, 15
	s_cbranch_scc1 .LBB52_319
; %bb.317:
	v_add_u32_e32 v119, 0x100, v1
	s_mov_b32 s0, 16
	v_mov_b32_e32 v118, 15
.LBB52_318:                             ; =>This Inner Loop Header: Depth=1
	s_waitcnt lgkmcnt(0)
	v_cmp_gt_f64_e32 vcc, 0, v[110:111]
	v_xor_b32_e32 v102, 0x80000000, v111
	ds_read2_b64 v[114:117], v119 offset1:1
	v_xor_b32_e32 v104, 0x80000000, v113
	v_add_u32_e32 v119, 16, v119
	s_waitcnt lgkmcnt(0)
	v_xor_b32_e32 v124, 0x80000000, v117
	v_cndmask_b32_e32 v103, v111, v102, vcc
	v_cmp_gt_f64_e32 vcc, 0, v[112:113]
	v_mov_b32_e32 v102, v110
	v_cndmask_b32_e32 v105, v113, v104, vcc
	v_cmp_gt_f64_e32 vcc, 0, v[114:115]
	v_mov_b32_e32 v104, v112
	v_add_f64 v[102:103], v[102:103], v[104:105]
	v_xor_b32_e32 v104, 0x80000000, v115
	v_cndmask_b32_e32 v105, v115, v104, vcc
	v_cmp_gt_f64_e32 vcc, 0, v[116:117]
	v_mov_b32_e32 v104, v114
	v_cndmask_b32_e32 v125, v117, v124, vcc
	v_mov_b32_e32 v124, v116
	v_add_f64 v[104:105], v[104:105], v[124:125]
	v_cmp_lt_f64_e32 vcc, v[102:103], v[104:105]
	v_mov_b32_e32 v102, s0
	s_add_i32 s0, s0, 1
	s_cmp_lg_u32 s22, s0
	v_cndmask_b32_e32 v111, v111, v115, vcc
	v_cndmask_b32_e32 v110, v110, v114, vcc
	;; [unrolled: 1-line block ×5, first 2 shown]
	s_cbranch_scc1 .LBB52_318
.LBB52_319:
	s_waitcnt lgkmcnt(0)
	v_cmp_eq_f64_e32 vcc, 0, v[110:111]
	v_cmp_eq_f64_e64 s[0:1], 0, v[112:113]
	s_and_b64 s[0:1], vcc, s[0:1]
	s_and_saveexec_b64 s[8:9], s[0:1]
	s_xor_b64 s[0:1], exec, s[8:9]
; %bb.320:
	v_cmp_ne_u32_e32 vcc, 0, v123
	v_cndmask_b32_e32 v123, 16, v123, vcc
; %bb.321:
	s_andn2_saveexec_b64 s[0:1], s[0:1]
	s_cbranch_execz .LBB52_327
; %bb.322:
	v_cmp_ngt_f64_e64 s[8:9], |v[110:111]|, |v[112:113]|
	s_and_saveexec_b64 s[20:21], s[8:9]
	s_xor_b64 s[8:9], exec, s[20:21]
	s_cbranch_execz .LBB52_324
; %bb.323:
	v_div_scale_f64 v[102:103], s[20:21], v[112:113], v[112:113], v[110:111]
	v_rcp_f64_e32 v[104:105], v[102:103]
	v_fma_f64 v[114:115], -v[102:103], v[104:105], 1.0
	v_fma_f64 v[104:105], v[104:105], v[114:115], v[104:105]
	v_div_scale_f64 v[114:115], vcc, v[110:111], v[112:113], v[110:111]
	v_fma_f64 v[116:117], -v[102:103], v[104:105], 1.0
	v_fma_f64 v[104:105], v[104:105], v[116:117], v[104:105]
	v_mul_f64 v[116:117], v[114:115], v[104:105]
	v_fma_f64 v[102:103], -v[102:103], v[116:117], v[114:115]
	v_div_fmas_f64 v[102:103], v[102:103], v[104:105], v[116:117]
	v_div_fixup_f64 v[102:103], v[102:103], v[112:113], v[110:111]
	v_fma_f64 v[104:105], v[110:111], v[102:103], v[112:113]
	v_div_scale_f64 v[110:111], s[20:21], v[104:105], v[104:105], 1.0
	v_div_scale_f64 v[116:117], vcc, 1.0, v[104:105], 1.0
	v_rcp_f64_e32 v[112:113], v[110:111]
	v_fma_f64 v[114:115], -v[110:111], v[112:113], 1.0
	v_fma_f64 v[112:113], v[112:113], v[114:115], v[112:113]
	v_fma_f64 v[114:115], -v[110:111], v[112:113], 1.0
	v_fma_f64 v[112:113], v[112:113], v[114:115], v[112:113]
	v_mul_f64 v[114:115], v[116:117], v[112:113]
	v_fma_f64 v[110:111], -v[110:111], v[114:115], v[116:117]
	v_div_fmas_f64 v[110:111], v[110:111], v[112:113], v[114:115]
	v_div_fixup_f64 v[112:113], v[110:111], v[104:105], 1.0
	v_mul_f64 v[110:111], v[102:103], v[112:113]
	v_xor_b32_e32 v113, 0x80000000, v113
.LBB52_324:
	s_andn2_saveexec_b64 s[8:9], s[8:9]
	s_cbranch_execz .LBB52_326
; %bb.325:
	v_div_scale_f64 v[102:103], s[20:21], v[110:111], v[110:111], v[112:113]
	v_rcp_f64_e32 v[104:105], v[102:103]
	v_fma_f64 v[114:115], -v[102:103], v[104:105], 1.0
	v_fma_f64 v[104:105], v[104:105], v[114:115], v[104:105]
	v_div_scale_f64 v[114:115], vcc, v[112:113], v[110:111], v[112:113]
	v_fma_f64 v[116:117], -v[102:103], v[104:105], 1.0
	v_fma_f64 v[104:105], v[104:105], v[116:117], v[104:105]
	v_mul_f64 v[116:117], v[114:115], v[104:105]
	v_fma_f64 v[102:103], -v[102:103], v[116:117], v[114:115]
	v_div_fmas_f64 v[102:103], v[102:103], v[104:105], v[116:117]
	v_div_fixup_f64 v[102:103], v[102:103], v[110:111], v[112:113]
	v_fma_f64 v[104:105], v[112:113], v[102:103], v[110:111]
	v_div_scale_f64 v[110:111], s[20:21], v[104:105], v[104:105], 1.0
	v_div_scale_f64 v[116:117], vcc, 1.0, v[104:105], 1.0
	v_rcp_f64_e32 v[112:113], v[110:111]
	v_fma_f64 v[114:115], -v[110:111], v[112:113], 1.0
	v_fma_f64 v[112:113], v[112:113], v[114:115], v[112:113]
	v_fma_f64 v[114:115], -v[110:111], v[112:113], 1.0
	v_fma_f64 v[112:113], v[112:113], v[114:115], v[112:113]
	v_mul_f64 v[114:115], v[116:117], v[112:113]
	v_fma_f64 v[110:111], -v[110:111], v[114:115], v[116:117]
	v_div_fmas_f64 v[110:111], v[110:111], v[112:113], v[114:115]
	v_div_fixup_f64 v[110:111], v[110:111], v[104:105], 1.0
	v_mul_f64 v[112:113], v[102:103], -v[110:111]
.LBB52_326:
	s_or_b64 exec, exec, s[8:9]
.LBB52_327:
	s_or_b64 exec, exec, s[0:1]
	v_cmp_ne_u32_e32 vcc, v120, v118
	s_and_saveexec_b64 s[0:1], vcc
	s_xor_b64 s[0:1], exec, s[0:1]
	s_cbranch_execz .LBB52_333
; %bb.328:
	v_cmp_eq_u32_e32 vcc, 15, v120
	s_and_saveexec_b64 s[8:9], vcc
	s_cbranch_execz .LBB52_332
; %bb.329:
	v_cmp_ne_u32_e32 vcc, 15, v118
	s_xor_b64 s[20:21], s[18:19], -1
	s_and_b64 s[24:25], s[20:21], vcc
	s_and_saveexec_b64 s[20:21], s[24:25]
	s_cbranch_execz .LBB52_331
; %bb.330:
	v_ashrrev_i32_e32 v119, 31, v118
	v_lshlrev_b64 v[102:103], 2, v[118:119]
	v_add_co_u32_e32 v102, vcc, v126, v102
	v_addc_co_u32_e32 v103, vcc, v127, v103, vcc
	global_load_dword v0, v[102:103], off
	global_load_dword v104, v[126:127], off offset:60
	s_waitcnt vmcnt(1)
	global_store_dword v[126:127], v0, off offset:60
	s_waitcnt vmcnt(1)
	global_store_dword v[102:103], v104, off
.LBB52_331:
	s_or_b64 exec, exec, s[20:21]
	v_mov_b32_e32 v120, v118
	v_mov_b32_e32 v0, v118
.LBB52_332:
	s_or_b64 exec, exec, s[8:9]
.LBB52_333:
	s_andn2_saveexec_b64 s[0:1], s[0:1]
	s_cbranch_execz .LBB52_335
; %bb.334:
	v_mov_b32_e32 v120, 15
	ds_write2_b64 v1, v[38:39], v[40:41] offset0:32 offset1:33
	ds_write2_b64 v1, v[34:35], v[36:37] offset0:34 offset1:35
	;; [unrolled: 1-line block ×11, first 2 shown]
.LBB52_335:
	s_or_b64 exec, exec, s[0:1]
	v_cmp_lt_i32_e32 vcc, 15, v120
	s_waitcnt vmcnt(0) lgkmcnt(0)
	s_barrier
	s_and_saveexec_b64 s[0:1], vcc
	s_cbranch_execz .LBB52_337
; %bb.336:
	v_mul_f64 v[102:103], v[110:111], v[44:45]
	v_mul_f64 v[44:45], v[112:113], v[44:45]
	v_fma_f64 v[118:119], v[112:113], v[42:43], v[102:103]
	v_fma_f64 v[42:43], v[110:111], v[42:43], -v[44:45]
	ds_read2_b64 v[110:113], v1 offset0:32 offset1:33
	s_waitcnt lgkmcnt(0)
	v_mul_f64 v[44:45], v[112:113], v[118:119]
	v_mul_f64 v[102:103], v[110:111], v[118:119]
	v_fma_f64 v[44:45], v[110:111], v[42:43], -v[44:45]
	v_fma_f64 v[102:103], v[112:113], v[42:43], v[102:103]
	ds_read2_b64 v[110:113], v1 offset0:34 offset1:35
	v_add_f64 v[38:39], v[38:39], -v[44:45]
	v_add_f64 v[40:41], v[40:41], -v[102:103]
	s_waitcnt lgkmcnt(0)
	v_mul_f64 v[44:45], v[112:113], v[118:119]
	v_mul_f64 v[102:103], v[110:111], v[118:119]
	v_fma_f64 v[44:45], v[110:111], v[42:43], -v[44:45]
	v_fma_f64 v[102:103], v[112:113], v[42:43], v[102:103]
	ds_read2_b64 v[110:113], v1 offset0:36 offset1:37
	v_add_f64 v[34:35], v[34:35], -v[44:45]
	v_add_f64 v[36:37], v[36:37], -v[102:103]
	;; [unrolled: 8-line block ×10, first 2 shown]
	s_waitcnt lgkmcnt(0)
	v_mul_f64 v[44:45], v[112:113], v[118:119]
	v_mul_f64 v[102:103], v[110:111], v[118:119]
	v_fma_f64 v[44:45], v[110:111], v[42:43], -v[44:45]
	v_fma_f64 v[102:103], v[112:113], v[42:43], v[102:103]
	v_add_f64 v[106:107], v[106:107], -v[44:45]
	v_add_f64 v[108:109], v[108:109], -v[102:103]
	v_mov_b32_e32 v44, v118
	v_mov_b32_e32 v45, v119
.LBB52_337:
	s_or_b64 exec, exec, s[0:1]
	v_lshl_add_u32 v102, v120, 4, v1
	s_barrier
	ds_write2_b64 v102, v[38:39], v[40:41] offset1:1
	s_waitcnt lgkmcnt(0)
	s_barrier
	ds_read2_b64 v[110:113], v1 offset0:32 offset1:33
	s_cmp_lt_i32 s22, 18
	v_mov_b32_e32 v118, 16
	s_cbranch_scc1 .LBB52_340
; %bb.338:
	v_add_u32_e32 v119, 0x110, v1
	s_mov_b32 s0, 17
	v_mov_b32_e32 v118, 16
.LBB52_339:                             ; =>This Inner Loop Header: Depth=1
	s_waitcnt lgkmcnt(0)
	v_cmp_gt_f64_e32 vcc, 0, v[110:111]
	v_xor_b32_e32 v102, 0x80000000, v111
	ds_read2_b64 v[114:117], v119 offset1:1
	v_xor_b32_e32 v104, 0x80000000, v113
	v_add_u32_e32 v119, 16, v119
	s_waitcnt lgkmcnt(0)
	v_xor_b32_e32 v124, 0x80000000, v117
	v_cndmask_b32_e32 v103, v111, v102, vcc
	v_cmp_gt_f64_e32 vcc, 0, v[112:113]
	v_mov_b32_e32 v102, v110
	v_cndmask_b32_e32 v105, v113, v104, vcc
	v_cmp_gt_f64_e32 vcc, 0, v[114:115]
	v_mov_b32_e32 v104, v112
	v_add_f64 v[102:103], v[102:103], v[104:105]
	v_xor_b32_e32 v104, 0x80000000, v115
	v_cndmask_b32_e32 v105, v115, v104, vcc
	v_cmp_gt_f64_e32 vcc, 0, v[116:117]
	v_mov_b32_e32 v104, v114
	v_cndmask_b32_e32 v125, v117, v124, vcc
	v_mov_b32_e32 v124, v116
	v_add_f64 v[104:105], v[104:105], v[124:125]
	v_cmp_lt_f64_e32 vcc, v[102:103], v[104:105]
	v_mov_b32_e32 v102, s0
	s_add_i32 s0, s0, 1
	s_cmp_lg_u32 s22, s0
	v_cndmask_b32_e32 v111, v111, v115, vcc
	v_cndmask_b32_e32 v110, v110, v114, vcc
	v_cndmask_b32_e32 v113, v113, v117, vcc
	v_cndmask_b32_e32 v112, v112, v116, vcc
	v_cndmask_b32_e32 v118, v118, v102, vcc
	s_cbranch_scc1 .LBB52_339
.LBB52_340:
	s_waitcnt lgkmcnt(0)
	v_cmp_eq_f64_e32 vcc, 0, v[110:111]
	v_cmp_eq_f64_e64 s[0:1], 0, v[112:113]
	s_and_b64 s[0:1], vcc, s[0:1]
	s_and_saveexec_b64 s[8:9], s[0:1]
	s_xor_b64 s[0:1], exec, s[8:9]
; %bb.341:
	v_cmp_ne_u32_e32 vcc, 0, v123
	v_cndmask_b32_e32 v123, 17, v123, vcc
; %bb.342:
	s_andn2_saveexec_b64 s[0:1], s[0:1]
	s_cbranch_execz .LBB52_348
; %bb.343:
	v_cmp_ngt_f64_e64 s[8:9], |v[110:111]|, |v[112:113]|
	s_and_saveexec_b64 s[20:21], s[8:9]
	s_xor_b64 s[8:9], exec, s[20:21]
	s_cbranch_execz .LBB52_345
; %bb.344:
	v_div_scale_f64 v[102:103], s[20:21], v[112:113], v[112:113], v[110:111]
	v_rcp_f64_e32 v[104:105], v[102:103]
	v_fma_f64 v[114:115], -v[102:103], v[104:105], 1.0
	v_fma_f64 v[104:105], v[104:105], v[114:115], v[104:105]
	v_div_scale_f64 v[114:115], vcc, v[110:111], v[112:113], v[110:111]
	v_fma_f64 v[116:117], -v[102:103], v[104:105], 1.0
	v_fma_f64 v[104:105], v[104:105], v[116:117], v[104:105]
	v_mul_f64 v[116:117], v[114:115], v[104:105]
	v_fma_f64 v[102:103], -v[102:103], v[116:117], v[114:115]
	v_div_fmas_f64 v[102:103], v[102:103], v[104:105], v[116:117]
	v_div_fixup_f64 v[102:103], v[102:103], v[112:113], v[110:111]
	v_fma_f64 v[104:105], v[110:111], v[102:103], v[112:113]
	v_div_scale_f64 v[110:111], s[20:21], v[104:105], v[104:105], 1.0
	v_div_scale_f64 v[116:117], vcc, 1.0, v[104:105], 1.0
	v_rcp_f64_e32 v[112:113], v[110:111]
	v_fma_f64 v[114:115], -v[110:111], v[112:113], 1.0
	v_fma_f64 v[112:113], v[112:113], v[114:115], v[112:113]
	v_fma_f64 v[114:115], -v[110:111], v[112:113], 1.0
	v_fma_f64 v[112:113], v[112:113], v[114:115], v[112:113]
	v_mul_f64 v[114:115], v[116:117], v[112:113]
	v_fma_f64 v[110:111], -v[110:111], v[114:115], v[116:117]
	v_div_fmas_f64 v[110:111], v[110:111], v[112:113], v[114:115]
	v_div_fixup_f64 v[112:113], v[110:111], v[104:105], 1.0
	v_mul_f64 v[110:111], v[102:103], v[112:113]
	v_xor_b32_e32 v113, 0x80000000, v113
.LBB52_345:
	s_andn2_saveexec_b64 s[8:9], s[8:9]
	s_cbranch_execz .LBB52_347
; %bb.346:
	v_div_scale_f64 v[102:103], s[20:21], v[110:111], v[110:111], v[112:113]
	v_rcp_f64_e32 v[104:105], v[102:103]
	v_fma_f64 v[114:115], -v[102:103], v[104:105], 1.0
	v_fma_f64 v[104:105], v[104:105], v[114:115], v[104:105]
	v_div_scale_f64 v[114:115], vcc, v[112:113], v[110:111], v[112:113]
	v_fma_f64 v[116:117], -v[102:103], v[104:105], 1.0
	v_fma_f64 v[104:105], v[104:105], v[116:117], v[104:105]
	v_mul_f64 v[116:117], v[114:115], v[104:105]
	v_fma_f64 v[102:103], -v[102:103], v[116:117], v[114:115]
	v_div_fmas_f64 v[102:103], v[102:103], v[104:105], v[116:117]
	v_div_fixup_f64 v[102:103], v[102:103], v[110:111], v[112:113]
	v_fma_f64 v[104:105], v[112:113], v[102:103], v[110:111]
	v_div_scale_f64 v[110:111], s[20:21], v[104:105], v[104:105], 1.0
	v_div_scale_f64 v[116:117], vcc, 1.0, v[104:105], 1.0
	v_rcp_f64_e32 v[112:113], v[110:111]
	v_fma_f64 v[114:115], -v[110:111], v[112:113], 1.0
	v_fma_f64 v[112:113], v[112:113], v[114:115], v[112:113]
	v_fma_f64 v[114:115], -v[110:111], v[112:113], 1.0
	v_fma_f64 v[112:113], v[112:113], v[114:115], v[112:113]
	v_mul_f64 v[114:115], v[116:117], v[112:113]
	v_fma_f64 v[110:111], -v[110:111], v[114:115], v[116:117]
	v_div_fmas_f64 v[110:111], v[110:111], v[112:113], v[114:115]
	v_div_fixup_f64 v[110:111], v[110:111], v[104:105], 1.0
	v_mul_f64 v[112:113], v[102:103], -v[110:111]
.LBB52_347:
	s_or_b64 exec, exec, s[8:9]
.LBB52_348:
	s_or_b64 exec, exec, s[0:1]
	v_cmp_ne_u32_e32 vcc, v120, v118
	s_and_saveexec_b64 s[0:1], vcc
	s_xor_b64 s[0:1], exec, s[0:1]
	s_cbranch_execz .LBB52_354
; %bb.349:
	v_cmp_eq_u32_e32 vcc, 16, v120
	s_and_saveexec_b64 s[8:9], vcc
	s_cbranch_execz .LBB52_353
; %bb.350:
	v_cmp_ne_u32_e32 vcc, 16, v118
	s_xor_b64 s[20:21], s[18:19], -1
	s_and_b64 s[24:25], s[20:21], vcc
	s_and_saveexec_b64 s[20:21], s[24:25]
	s_cbranch_execz .LBB52_352
; %bb.351:
	v_ashrrev_i32_e32 v119, 31, v118
	v_lshlrev_b64 v[102:103], 2, v[118:119]
	v_add_co_u32_e32 v102, vcc, v126, v102
	v_addc_co_u32_e32 v103, vcc, v127, v103, vcc
	global_load_dword v0, v[102:103], off
	global_load_dword v104, v[126:127], off offset:64
	s_waitcnt vmcnt(1)
	global_store_dword v[126:127], v0, off offset:64
	s_waitcnt vmcnt(1)
	global_store_dword v[102:103], v104, off
.LBB52_352:
	s_or_b64 exec, exec, s[20:21]
	v_mov_b32_e32 v120, v118
	v_mov_b32_e32 v0, v118
.LBB52_353:
	s_or_b64 exec, exec, s[8:9]
.LBB52_354:
	s_andn2_saveexec_b64 s[0:1], s[0:1]
	s_cbranch_execz .LBB52_356
; %bb.355:
	v_mov_b32_e32 v120, 16
	ds_write2_b64 v1, v[34:35], v[36:37] offset0:34 offset1:35
	ds_write2_b64 v1, v[30:31], v[32:33] offset0:36 offset1:37
	;; [unrolled: 1-line block ×10, first 2 shown]
.LBB52_356:
	s_or_b64 exec, exec, s[0:1]
	v_cmp_lt_i32_e32 vcc, 16, v120
	s_waitcnt vmcnt(0) lgkmcnt(0)
	s_barrier
	s_and_saveexec_b64 s[0:1], vcc
	s_cbranch_execz .LBB52_358
; %bb.357:
	v_mul_f64 v[102:103], v[110:111], v[40:41]
	v_mul_f64 v[40:41], v[112:113], v[40:41]
	v_fma_f64 v[118:119], v[112:113], v[38:39], v[102:103]
	v_fma_f64 v[38:39], v[110:111], v[38:39], -v[40:41]
	ds_read2_b64 v[110:113], v1 offset0:34 offset1:35
	s_waitcnt lgkmcnt(0)
	v_mul_f64 v[40:41], v[112:113], v[118:119]
	v_mul_f64 v[102:103], v[110:111], v[118:119]
	v_fma_f64 v[40:41], v[110:111], v[38:39], -v[40:41]
	v_fma_f64 v[102:103], v[112:113], v[38:39], v[102:103]
	ds_read2_b64 v[110:113], v1 offset0:36 offset1:37
	v_add_f64 v[34:35], v[34:35], -v[40:41]
	v_add_f64 v[36:37], v[36:37], -v[102:103]
	s_waitcnt lgkmcnt(0)
	v_mul_f64 v[40:41], v[112:113], v[118:119]
	v_mul_f64 v[102:103], v[110:111], v[118:119]
	v_fma_f64 v[40:41], v[110:111], v[38:39], -v[40:41]
	v_fma_f64 v[102:103], v[112:113], v[38:39], v[102:103]
	ds_read2_b64 v[110:113], v1 offset0:38 offset1:39
	v_add_f64 v[30:31], v[30:31], -v[40:41]
	v_add_f64 v[32:33], v[32:33], -v[102:103]
	;; [unrolled: 8-line block ×9, first 2 shown]
	s_waitcnt lgkmcnt(0)
	v_mul_f64 v[40:41], v[112:113], v[118:119]
	v_mul_f64 v[102:103], v[110:111], v[118:119]
	v_fma_f64 v[40:41], v[110:111], v[38:39], -v[40:41]
	v_fma_f64 v[102:103], v[112:113], v[38:39], v[102:103]
	v_add_f64 v[106:107], v[106:107], -v[40:41]
	v_add_f64 v[108:109], v[108:109], -v[102:103]
	v_mov_b32_e32 v40, v118
	v_mov_b32_e32 v41, v119
.LBB52_358:
	s_or_b64 exec, exec, s[0:1]
	v_lshl_add_u32 v102, v120, 4, v1
	s_barrier
	ds_write2_b64 v102, v[34:35], v[36:37] offset1:1
	s_waitcnt lgkmcnt(0)
	s_barrier
	ds_read2_b64 v[110:113], v1 offset0:34 offset1:35
	s_cmp_lt_i32 s22, 19
	v_mov_b32_e32 v118, 17
	s_cbranch_scc1 .LBB52_361
; %bb.359:
	v_add_u32_e32 v119, 0x120, v1
	s_mov_b32 s0, 18
	v_mov_b32_e32 v118, 17
.LBB52_360:                             ; =>This Inner Loop Header: Depth=1
	s_waitcnt lgkmcnt(0)
	v_cmp_gt_f64_e32 vcc, 0, v[110:111]
	v_xor_b32_e32 v102, 0x80000000, v111
	ds_read2_b64 v[114:117], v119 offset1:1
	v_xor_b32_e32 v104, 0x80000000, v113
	v_add_u32_e32 v119, 16, v119
	s_waitcnt lgkmcnt(0)
	v_xor_b32_e32 v124, 0x80000000, v117
	v_cndmask_b32_e32 v103, v111, v102, vcc
	v_cmp_gt_f64_e32 vcc, 0, v[112:113]
	v_mov_b32_e32 v102, v110
	v_cndmask_b32_e32 v105, v113, v104, vcc
	v_cmp_gt_f64_e32 vcc, 0, v[114:115]
	v_mov_b32_e32 v104, v112
	v_add_f64 v[102:103], v[102:103], v[104:105]
	v_xor_b32_e32 v104, 0x80000000, v115
	v_cndmask_b32_e32 v105, v115, v104, vcc
	v_cmp_gt_f64_e32 vcc, 0, v[116:117]
	v_mov_b32_e32 v104, v114
	v_cndmask_b32_e32 v125, v117, v124, vcc
	v_mov_b32_e32 v124, v116
	v_add_f64 v[104:105], v[104:105], v[124:125]
	v_cmp_lt_f64_e32 vcc, v[102:103], v[104:105]
	v_mov_b32_e32 v102, s0
	s_add_i32 s0, s0, 1
	s_cmp_lg_u32 s22, s0
	v_cndmask_b32_e32 v111, v111, v115, vcc
	v_cndmask_b32_e32 v110, v110, v114, vcc
	;; [unrolled: 1-line block ×5, first 2 shown]
	s_cbranch_scc1 .LBB52_360
.LBB52_361:
	s_waitcnt lgkmcnt(0)
	v_cmp_eq_f64_e32 vcc, 0, v[110:111]
	v_cmp_eq_f64_e64 s[0:1], 0, v[112:113]
	s_and_b64 s[0:1], vcc, s[0:1]
	s_and_saveexec_b64 s[8:9], s[0:1]
	s_xor_b64 s[0:1], exec, s[8:9]
; %bb.362:
	v_cmp_ne_u32_e32 vcc, 0, v123
	v_cndmask_b32_e32 v123, 18, v123, vcc
; %bb.363:
	s_andn2_saveexec_b64 s[0:1], s[0:1]
	s_cbranch_execz .LBB52_369
; %bb.364:
	v_cmp_ngt_f64_e64 s[8:9], |v[110:111]|, |v[112:113]|
	s_and_saveexec_b64 s[20:21], s[8:9]
	s_xor_b64 s[8:9], exec, s[20:21]
	s_cbranch_execz .LBB52_366
; %bb.365:
	v_div_scale_f64 v[102:103], s[20:21], v[112:113], v[112:113], v[110:111]
	v_rcp_f64_e32 v[104:105], v[102:103]
	v_fma_f64 v[114:115], -v[102:103], v[104:105], 1.0
	v_fma_f64 v[104:105], v[104:105], v[114:115], v[104:105]
	v_div_scale_f64 v[114:115], vcc, v[110:111], v[112:113], v[110:111]
	v_fma_f64 v[116:117], -v[102:103], v[104:105], 1.0
	v_fma_f64 v[104:105], v[104:105], v[116:117], v[104:105]
	v_mul_f64 v[116:117], v[114:115], v[104:105]
	v_fma_f64 v[102:103], -v[102:103], v[116:117], v[114:115]
	v_div_fmas_f64 v[102:103], v[102:103], v[104:105], v[116:117]
	v_div_fixup_f64 v[102:103], v[102:103], v[112:113], v[110:111]
	v_fma_f64 v[104:105], v[110:111], v[102:103], v[112:113]
	v_div_scale_f64 v[110:111], s[20:21], v[104:105], v[104:105], 1.0
	v_div_scale_f64 v[116:117], vcc, 1.0, v[104:105], 1.0
	v_rcp_f64_e32 v[112:113], v[110:111]
	v_fma_f64 v[114:115], -v[110:111], v[112:113], 1.0
	v_fma_f64 v[112:113], v[112:113], v[114:115], v[112:113]
	v_fma_f64 v[114:115], -v[110:111], v[112:113], 1.0
	v_fma_f64 v[112:113], v[112:113], v[114:115], v[112:113]
	v_mul_f64 v[114:115], v[116:117], v[112:113]
	v_fma_f64 v[110:111], -v[110:111], v[114:115], v[116:117]
	v_div_fmas_f64 v[110:111], v[110:111], v[112:113], v[114:115]
	v_div_fixup_f64 v[112:113], v[110:111], v[104:105], 1.0
	v_mul_f64 v[110:111], v[102:103], v[112:113]
	v_xor_b32_e32 v113, 0x80000000, v113
.LBB52_366:
	s_andn2_saveexec_b64 s[8:9], s[8:9]
	s_cbranch_execz .LBB52_368
; %bb.367:
	v_div_scale_f64 v[102:103], s[20:21], v[110:111], v[110:111], v[112:113]
	v_rcp_f64_e32 v[104:105], v[102:103]
	v_fma_f64 v[114:115], -v[102:103], v[104:105], 1.0
	v_fma_f64 v[104:105], v[104:105], v[114:115], v[104:105]
	v_div_scale_f64 v[114:115], vcc, v[112:113], v[110:111], v[112:113]
	v_fma_f64 v[116:117], -v[102:103], v[104:105], 1.0
	v_fma_f64 v[104:105], v[104:105], v[116:117], v[104:105]
	v_mul_f64 v[116:117], v[114:115], v[104:105]
	v_fma_f64 v[102:103], -v[102:103], v[116:117], v[114:115]
	v_div_fmas_f64 v[102:103], v[102:103], v[104:105], v[116:117]
	v_div_fixup_f64 v[102:103], v[102:103], v[110:111], v[112:113]
	v_fma_f64 v[104:105], v[112:113], v[102:103], v[110:111]
	v_div_scale_f64 v[110:111], s[20:21], v[104:105], v[104:105], 1.0
	v_div_scale_f64 v[116:117], vcc, 1.0, v[104:105], 1.0
	v_rcp_f64_e32 v[112:113], v[110:111]
	v_fma_f64 v[114:115], -v[110:111], v[112:113], 1.0
	v_fma_f64 v[112:113], v[112:113], v[114:115], v[112:113]
	v_fma_f64 v[114:115], -v[110:111], v[112:113], 1.0
	v_fma_f64 v[112:113], v[112:113], v[114:115], v[112:113]
	v_mul_f64 v[114:115], v[116:117], v[112:113]
	v_fma_f64 v[110:111], -v[110:111], v[114:115], v[116:117]
	v_div_fmas_f64 v[110:111], v[110:111], v[112:113], v[114:115]
	v_div_fixup_f64 v[110:111], v[110:111], v[104:105], 1.0
	v_mul_f64 v[112:113], v[102:103], -v[110:111]
.LBB52_368:
	s_or_b64 exec, exec, s[8:9]
.LBB52_369:
	s_or_b64 exec, exec, s[0:1]
	v_cmp_ne_u32_e32 vcc, v120, v118
	s_and_saveexec_b64 s[0:1], vcc
	s_xor_b64 s[0:1], exec, s[0:1]
	s_cbranch_execz .LBB52_375
; %bb.370:
	v_cmp_eq_u32_e32 vcc, 17, v120
	s_and_saveexec_b64 s[8:9], vcc
	s_cbranch_execz .LBB52_374
; %bb.371:
	v_cmp_ne_u32_e32 vcc, 17, v118
	s_xor_b64 s[20:21], s[18:19], -1
	s_and_b64 s[24:25], s[20:21], vcc
	s_and_saveexec_b64 s[20:21], s[24:25]
	s_cbranch_execz .LBB52_373
; %bb.372:
	v_ashrrev_i32_e32 v119, 31, v118
	v_lshlrev_b64 v[102:103], 2, v[118:119]
	v_add_co_u32_e32 v102, vcc, v126, v102
	v_addc_co_u32_e32 v103, vcc, v127, v103, vcc
	global_load_dword v0, v[102:103], off
	global_load_dword v104, v[126:127], off offset:68
	s_waitcnt vmcnt(1)
	global_store_dword v[126:127], v0, off offset:68
	s_waitcnt vmcnt(1)
	global_store_dword v[102:103], v104, off
.LBB52_373:
	s_or_b64 exec, exec, s[20:21]
	v_mov_b32_e32 v120, v118
	v_mov_b32_e32 v0, v118
.LBB52_374:
	s_or_b64 exec, exec, s[8:9]
.LBB52_375:
	s_andn2_saveexec_b64 s[0:1], s[0:1]
	s_cbranch_execz .LBB52_377
; %bb.376:
	v_mov_b32_e32 v120, 17
	ds_write2_b64 v1, v[30:31], v[32:33] offset0:36 offset1:37
	ds_write2_b64 v1, v[26:27], v[28:29] offset0:38 offset1:39
	;; [unrolled: 1-line block ×9, first 2 shown]
.LBB52_377:
	s_or_b64 exec, exec, s[0:1]
	v_cmp_lt_i32_e32 vcc, 17, v120
	s_waitcnt vmcnt(0) lgkmcnt(0)
	s_barrier
	s_and_saveexec_b64 s[0:1], vcc
	s_cbranch_execz .LBB52_379
; %bb.378:
	v_mul_f64 v[102:103], v[110:111], v[36:37]
	v_mul_f64 v[36:37], v[112:113], v[36:37]
	v_fma_f64 v[118:119], v[112:113], v[34:35], v[102:103]
	v_fma_f64 v[34:35], v[110:111], v[34:35], -v[36:37]
	ds_read2_b64 v[110:113], v1 offset0:36 offset1:37
	s_waitcnt lgkmcnt(0)
	v_mul_f64 v[36:37], v[112:113], v[118:119]
	v_mul_f64 v[102:103], v[110:111], v[118:119]
	v_fma_f64 v[36:37], v[110:111], v[34:35], -v[36:37]
	v_fma_f64 v[102:103], v[112:113], v[34:35], v[102:103]
	ds_read2_b64 v[110:113], v1 offset0:38 offset1:39
	v_add_f64 v[30:31], v[30:31], -v[36:37]
	v_add_f64 v[32:33], v[32:33], -v[102:103]
	s_waitcnt lgkmcnt(0)
	v_mul_f64 v[36:37], v[112:113], v[118:119]
	v_mul_f64 v[102:103], v[110:111], v[118:119]
	v_fma_f64 v[36:37], v[110:111], v[34:35], -v[36:37]
	v_fma_f64 v[102:103], v[112:113], v[34:35], v[102:103]
	ds_read2_b64 v[110:113], v1 offset0:40 offset1:41
	v_add_f64 v[26:27], v[26:27], -v[36:37]
	v_add_f64 v[28:29], v[28:29], -v[102:103]
	s_waitcnt lgkmcnt(0)
	v_mul_f64 v[36:37], v[112:113], v[118:119]
	v_mul_f64 v[102:103], v[110:111], v[118:119]
	v_fma_f64 v[36:37], v[110:111], v[34:35], -v[36:37]
	v_fma_f64 v[102:103], v[112:113], v[34:35], v[102:103]
	ds_read2_b64 v[110:113], v1 offset0:42 offset1:43
	v_add_f64 v[22:23], v[22:23], -v[36:37]
	v_add_f64 v[24:25], v[24:25], -v[102:103]
	s_waitcnt lgkmcnt(0)
	v_mul_f64 v[36:37], v[112:113], v[118:119]
	v_mul_f64 v[102:103], v[110:111], v[118:119]
	v_fma_f64 v[36:37], v[110:111], v[34:35], -v[36:37]
	v_fma_f64 v[102:103], v[112:113], v[34:35], v[102:103]
	ds_read2_b64 v[110:113], v1 offset0:44 offset1:45
	v_add_f64 v[18:19], v[18:19], -v[36:37]
	v_add_f64 v[20:21], v[20:21], -v[102:103]
	s_waitcnt lgkmcnt(0)
	v_mul_f64 v[36:37], v[112:113], v[118:119]
	v_mul_f64 v[102:103], v[110:111], v[118:119]
	v_fma_f64 v[36:37], v[110:111], v[34:35], -v[36:37]
	v_fma_f64 v[102:103], v[112:113], v[34:35], v[102:103]
	ds_read2_b64 v[110:113], v1 offset0:46 offset1:47
	v_add_f64 v[14:15], v[14:15], -v[36:37]
	v_add_f64 v[16:17], v[16:17], -v[102:103]
	s_waitcnt lgkmcnt(0)
	v_mul_f64 v[36:37], v[112:113], v[118:119]
	v_mul_f64 v[102:103], v[110:111], v[118:119]
	v_fma_f64 v[36:37], v[110:111], v[34:35], -v[36:37]
	v_fma_f64 v[102:103], v[112:113], v[34:35], v[102:103]
	ds_read2_b64 v[110:113], v1 offset0:48 offset1:49
	v_add_f64 v[10:11], v[10:11], -v[36:37]
	v_add_f64 v[12:13], v[12:13], -v[102:103]
	s_waitcnt lgkmcnt(0)
	v_mul_f64 v[36:37], v[112:113], v[118:119]
	v_mul_f64 v[102:103], v[110:111], v[118:119]
	v_fma_f64 v[36:37], v[110:111], v[34:35], -v[36:37]
	v_fma_f64 v[102:103], v[112:113], v[34:35], v[102:103]
	ds_read2_b64 v[110:113], v1 offset0:50 offset1:51
	v_add_f64 v[6:7], v[6:7], -v[36:37]
	v_add_f64 v[8:9], v[8:9], -v[102:103]
	s_waitcnt lgkmcnt(0)
	v_mul_f64 v[36:37], v[112:113], v[118:119]
	v_mul_f64 v[102:103], v[110:111], v[118:119]
	v_fma_f64 v[36:37], v[110:111], v[34:35], -v[36:37]
	v_fma_f64 v[102:103], v[112:113], v[34:35], v[102:103]
	ds_read2_b64 v[110:113], v1 offset0:52 offset1:53
	v_add_f64 v[2:3], v[2:3], -v[36:37]
	v_add_f64 v[4:5], v[4:5], -v[102:103]
	s_waitcnt lgkmcnt(0)
	v_mul_f64 v[36:37], v[112:113], v[118:119]
	v_mul_f64 v[102:103], v[110:111], v[118:119]
	v_fma_f64 v[36:37], v[110:111], v[34:35], -v[36:37]
	v_fma_f64 v[102:103], v[112:113], v[34:35], v[102:103]
	v_add_f64 v[106:107], v[106:107], -v[36:37]
	v_add_f64 v[108:109], v[108:109], -v[102:103]
	v_mov_b32_e32 v36, v118
	v_mov_b32_e32 v37, v119
.LBB52_379:
	s_or_b64 exec, exec, s[0:1]
	v_lshl_add_u32 v102, v120, 4, v1
	s_barrier
	ds_write2_b64 v102, v[30:31], v[32:33] offset1:1
	s_waitcnt lgkmcnt(0)
	s_barrier
	ds_read2_b64 v[110:113], v1 offset0:36 offset1:37
	s_cmp_lt_i32 s22, 20
	v_mov_b32_e32 v118, 18
	s_cbranch_scc1 .LBB52_382
; %bb.380:
	v_add_u32_e32 v119, 0x130, v1
	s_mov_b32 s0, 19
	v_mov_b32_e32 v118, 18
.LBB52_381:                             ; =>This Inner Loop Header: Depth=1
	s_waitcnt lgkmcnt(0)
	v_cmp_gt_f64_e32 vcc, 0, v[110:111]
	v_xor_b32_e32 v102, 0x80000000, v111
	ds_read2_b64 v[114:117], v119 offset1:1
	v_xor_b32_e32 v104, 0x80000000, v113
	v_add_u32_e32 v119, 16, v119
	s_waitcnt lgkmcnt(0)
	v_xor_b32_e32 v124, 0x80000000, v117
	v_cndmask_b32_e32 v103, v111, v102, vcc
	v_cmp_gt_f64_e32 vcc, 0, v[112:113]
	v_mov_b32_e32 v102, v110
	v_cndmask_b32_e32 v105, v113, v104, vcc
	v_cmp_gt_f64_e32 vcc, 0, v[114:115]
	v_mov_b32_e32 v104, v112
	v_add_f64 v[102:103], v[102:103], v[104:105]
	v_xor_b32_e32 v104, 0x80000000, v115
	v_cndmask_b32_e32 v105, v115, v104, vcc
	v_cmp_gt_f64_e32 vcc, 0, v[116:117]
	v_mov_b32_e32 v104, v114
	v_cndmask_b32_e32 v125, v117, v124, vcc
	v_mov_b32_e32 v124, v116
	v_add_f64 v[104:105], v[104:105], v[124:125]
	v_cmp_lt_f64_e32 vcc, v[102:103], v[104:105]
	v_mov_b32_e32 v102, s0
	s_add_i32 s0, s0, 1
	s_cmp_lg_u32 s22, s0
	v_cndmask_b32_e32 v111, v111, v115, vcc
	v_cndmask_b32_e32 v110, v110, v114, vcc
	;; [unrolled: 1-line block ×5, first 2 shown]
	s_cbranch_scc1 .LBB52_381
.LBB52_382:
	s_waitcnt lgkmcnt(0)
	v_cmp_eq_f64_e32 vcc, 0, v[110:111]
	v_cmp_eq_f64_e64 s[0:1], 0, v[112:113]
	s_and_b64 s[0:1], vcc, s[0:1]
	s_and_saveexec_b64 s[8:9], s[0:1]
	s_xor_b64 s[0:1], exec, s[8:9]
; %bb.383:
	v_cmp_ne_u32_e32 vcc, 0, v123
	v_cndmask_b32_e32 v123, 19, v123, vcc
; %bb.384:
	s_andn2_saveexec_b64 s[0:1], s[0:1]
	s_cbranch_execz .LBB52_390
; %bb.385:
	v_cmp_ngt_f64_e64 s[8:9], |v[110:111]|, |v[112:113]|
	s_and_saveexec_b64 s[20:21], s[8:9]
	s_xor_b64 s[8:9], exec, s[20:21]
	s_cbranch_execz .LBB52_387
; %bb.386:
	v_div_scale_f64 v[102:103], s[20:21], v[112:113], v[112:113], v[110:111]
	v_rcp_f64_e32 v[104:105], v[102:103]
	v_fma_f64 v[114:115], -v[102:103], v[104:105], 1.0
	v_fma_f64 v[104:105], v[104:105], v[114:115], v[104:105]
	v_div_scale_f64 v[114:115], vcc, v[110:111], v[112:113], v[110:111]
	v_fma_f64 v[116:117], -v[102:103], v[104:105], 1.0
	v_fma_f64 v[104:105], v[104:105], v[116:117], v[104:105]
	v_mul_f64 v[116:117], v[114:115], v[104:105]
	v_fma_f64 v[102:103], -v[102:103], v[116:117], v[114:115]
	v_div_fmas_f64 v[102:103], v[102:103], v[104:105], v[116:117]
	v_div_fixup_f64 v[102:103], v[102:103], v[112:113], v[110:111]
	v_fma_f64 v[104:105], v[110:111], v[102:103], v[112:113]
	v_div_scale_f64 v[110:111], s[20:21], v[104:105], v[104:105], 1.0
	v_div_scale_f64 v[116:117], vcc, 1.0, v[104:105], 1.0
	v_rcp_f64_e32 v[112:113], v[110:111]
	v_fma_f64 v[114:115], -v[110:111], v[112:113], 1.0
	v_fma_f64 v[112:113], v[112:113], v[114:115], v[112:113]
	v_fma_f64 v[114:115], -v[110:111], v[112:113], 1.0
	v_fma_f64 v[112:113], v[112:113], v[114:115], v[112:113]
	v_mul_f64 v[114:115], v[116:117], v[112:113]
	v_fma_f64 v[110:111], -v[110:111], v[114:115], v[116:117]
	v_div_fmas_f64 v[110:111], v[110:111], v[112:113], v[114:115]
	v_div_fixup_f64 v[112:113], v[110:111], v[104:105], 1.0
	v_mul_f64 v[110:111], v[102:103], v[112:113]
	v_xor_b32_e32 v113, 0x80000000, v113
.LBB52_387:
	s_andn2_saveexec_b64 s[8:9], s[8:9]
	s_cbranch_execz .LBB52_389
; %bb.388:
	v_div_scale_f64 v[102:103], s[20:21], v[110:111], v[110:111], v[112:113]
	v_rcp_f64_e32 v[104:105], v[102:103]
	v_fma_f64 v[114:115], -v[102:103], v[104:105], 1.0
	v_fma_f64 v[104:105], v[104:105], v[114:115], v[104:105]
	v_div_scale_f64 v[114:115], vcc, v[112:113], v[110:111], v[112:113]
	v_fma_f64 v[116:117], -v[102:103], v[104:105], 1.0
	v_fma_f64 v[104:105], v[104:105], v[116:117], v[104:105]
	v_mul_f64 v[116:117], v[114:115], v[104:105]
	v_fma_f64 v[102:103], -v[102:103], v[116:117], v[114:115]
	v_div_fmas_f64 v[102:103], v[102:103], v[104:105], v[116:117]
	v_div_fixup_f64 v[102:103], v[102:103], v[110:111], v[112:113]
	v_fma_f64 v[104:105], v[112:113], v[102:103], v[110:111]
	v_div_scale_f64 v[110:111], s[20:21], v[104:105], v[104:105], 1.0
	v_div_scale_f64 v[116:117], vcc, 1.0, v[104:105], 1.0
	v_rcp_f64_e32 v[112:113], v[110:111]
	v_fma_f64 v[114:115], -v[110:111], v[112:113], 1.0
	v_fma_f64 v[112:113], v[112:113], v[114:115], v[112:113]
	v_fma_f64 v[114:115], -v[110:111], v[112:113], 1.0
	v_fma_f64 v[112:113], v[112:113], v[114:115], v[112:113]
	v_mul_f64 v[114:115], v[116:117], v[112:113]
	v_fma_f64 v[110:111], -v[110:111], v[114:115], v[116:117]
	v_div_fmas_f64 v[110:111], v[110:111], v[112:113], v[114:115]
	v_div_fixup_f64 v[110:111], v[110:111], v[104:105], 1.0
	v_mul_f64 v[112:113], v[102:103], -v[110:111]
.LBB52_389:
	s_or_b64 exec, exec, s[8:9]
.LBB52_390:
	s_or_b64 exec, exec, s[0:1]
	v_cmp_ne_u32_e32 vcc, v120, v118
	s_and_saveexec_b64 s[0:1], vcc
	s_xor_b64 s[0:1], exec, s[0:1]
	s_cbranch_execz .LBB52_396
; %bb.391:
	v_cmp_eq_u32_e32 vcc, 18, v120
	s_and_saveexec_b64 s[8:9], vcc
	s_cbranch_execz .LBB52_395
; %bb.392:
	v_cmp_ne_u32_e32 vcc, 18, v118
	s_xor_b64 s[20:21], s[18:19], -1
	s_and_b64 s[24:25], s[20:21], vcc
	s_and_saveexec_b64 s[20:21], s[24:25]
	s_cbranch_execz .LBB52_394
; %bb.393:
	v_ashrrev_i32_e32 v119, 31, v118
	v_lshlrev_b64 v[102:103], 2, v[118:119]
	v_add_co_u32_e32 v102, vcc, v126, v102
	v_addc_co_u32_e32 v103, vcc, v127, v103, vcc
	global_load_dword v0, v[102:103], off
	global_load_dword v104, v[126:127], off offset:72
	s_waitcnt vmcnt(1)
	global_store_dword v[126:127], v0, off offset:72
	s_waitcnt vmcnt(1)
	global_store_dword v[102:103], v104, off
.LBB52_394:
	s_or_b64 exec, exec, s[20:21]
	v_mov_b32_e32 v120, v118
	v_mov_b32_e32 v0, v118
.LBB52_395:
	s_or_b64 exec, exec, s[8:9]
.LBB52_396:
	s_andn2_saveexec_b64 s[0:1], s[0:1]
	s_cbranch_execz .LBB52_398
; %bb.397:
	v_mov_b32_e32 v120, 18
	ds_write2_b64 v1, v[26:27], v[28:29] offset0:38 offset1:39
	ds_write2_b64 v1, v[22:23], v[24:25] offset0:40 offset1:41
	;; [unrolled: 1-line block ×8, first 2 shown]
.LBB52_398:
	s_or_b64 exec, exec, s[0:1]
	v_cmp_lt_i32_e32 vcc, 18, v120
	s_waitcnt vmcnt(0) lgkmcnt(0)
	s_barrier
	s_and_saveexec_b64 s[0:1], vcc
	s_cbranch_execz .LBB52_400
; %bb.399:
	v_mul_f64 v[102:103], v[110:111], v[32:33]
	v_mul_f64 v[32:33], v[112:113], v[32:33]
	v_fma_f64 v[118:119], v[112:113], v[30:31], v[102:103]
	v_fma_f64 v[30:31], v[110:111], v[30:31], -v[32:33]
	ds_read2_b64 v[110:113], v1 offset0:38 offset1:39
	s_waitcnt lgkmcnt(0)
	v_mul_f64 v[32:33], v[112:113], v[118:119]
	v_mul_f64 v[102:103], v[110:111], v[118:119]
	v_fma_f64 v[32:33], v[110:111], v[30:31], -v[32:33]
	v_fma_f64 v[102:103], v[112:113], v[30:31], v[102:103]
	ds_read2_b64 v[110:113], v1 offset0:40 offset1:41
	v_add_f64 v[26:27], v[26:27], -v[32:33]
	v_add_f64 v[28:29], v[28:29], -v[102:103]
	s_waitcnt lgkmcnt(0)
	v_mul_f64 v[32:33], v[112:113], v[118:119]
	v_mul_f64 v[102:103], v[110:111], v[118:119]
	v_fma_f64 v[32:33], v[110:111], v[30:31], -v[32:33]
	v_fma_f64 v[102:103], v[112:113], v[30:31], v[102:103]
	ds_read2_b64 v[110:113], v1 offset0:42 offset1:43
	v_add_f64 v[22:23], v[22:23], -v[32:33]
	v_add_f64 v[24:25], v[24:25], -v[102:103]
	;; [unrolled: 8-line block ×7, first 2 shown]
	s_waitcnt lgkmcnt(0)
	v_mul_f64 v[32:33], v[112:113], v[118:119]
	v_mul_f64 v[102:103], v[110:111], v[118:119]
	v_fma_f64 v[32:33], v[110:111], v[30:31], -v[32:33]
	v_fma_f64 v[102:103], v[112:113], v[30:31], v[102:103]
	v_add_f64 v[106:107], v[106:107], -v[32:33]
	v_add_f64 v[108:109], v[108:109], -v[102:103]
	v_mov_b32_e32 v32, v118
	v_mov_b32_e32 v33, v119
.LBB52_400:
	s_or_b64 exec, exec, s[0:1]
	v_lshl_add_u32 v102, v120, 4, v1
	s_barrier
	ds_write2_b64 v102, v[26:27], v[28:29] offset1:1
	s_waitcnt lgkmcnt(0)
	s_barrier
	ds_read2_b64 v[110:113], v1 offset0:38 offset1:39
	s_cmp_lt_i32 s22, 21
	v_mov_b32_e32 v118, 19
	s_cbranch_scc1 .LBB52_403
; %bb.401:
	v_add_u32_e32 v119, 0x140, v1
	s_mov_b32 s0, 20
	v_mov_b32_e32 v118, 19
.LBB52_402:                             ; =>This Inner Loop Header: Depth=1
	s_waitcnt lgkmcnt(0)
	v_cmp_gt_f64_e32 vcc, 0, v[110:111]
	v_xor_b32_e32 v102, 0x80000000, v111
	ds_read2_b64 v[114:117], v119 offset1:1
	v_xor_b32_e32 v104, 0x80000000, v113
	v_add_u32_e32 v119, 16, v119
	s_waitcnt lgkmcnt(0)
	v_xor_b32_e32 v124, 0x80000000, v117
	v_cndmask_b32_e32 v103, v111, v102, vcc
	v_cmp_gt_f64_e32 vcc, 0, v[112:113]
	v_mov_b32_e32 v102, v110
	v_cndmask_b32_e32 v105, v113, v104, vcc
	v_cmp_gt_f64_e32 vcc, 0, v[114:115]
	v_mov_b32_e32 v104, v112
	v_add_f64 v[102:103], v[102:103], v[104:105]
	v_xor_b32_e32 v104, 0x80000000, v115
	v_cndmask_b32_e32 v105, v115, v104, vcc
	v_cmp_gt_f64_e32 vcc, 0, v[116:117]
	v_mov_b32_e32 v104, v114
	v_cndmask_b32_e32 v125, v117, v124, vcc
	v_mov_b32_e32 v124, v116
	v_add_f64 v[104:105], v[104:105], v[124:125]
	v_cmp_lt_f64_e32 vcc, v[102:103], v[104:105]
	v_mov_b32_e32 v102, s0
	s_add_i32 s0, s0, 1
	s_cmp_lg_u32 s22, s0
	v_cndmask_b32_e32 v111, v111, v115, vcc
	v_cndmask_b32_e32 v110, v110, v114, vcc
	;; [unrolled: 1-line block ×5, first 2 shown]
	s_cbranch_scc1 .LBB52_402
.LBB52_403:
	s_waitcnt lgkmcnt(0)
	v_cmp_eq_f64_e32 vcc, 0, v[110:111]
	v_cmp_eq_f64_e64 s[0:1], 0, v[112:113]
	s_and_b64 s[0:1], vcc, s[0:1]
	s_and_saveexec_b64 s[8:9], s[0:1]
	s_xor_b64 s[0:1], exec, s[8:9]
; %bb.404:
	v_cmp_ne_u32_e32 vcc, 0, v123
	v_cndmask_b32_e32 v123, 20, v123, vcc
; %bb.405:
	s_andn2_saveexec_b64 s[0:1], s[0:1]
	s_cbranch_execz .LBB52_411
; %bb.406:
	v_cmp_ngt_f64_e64 s[8:9], |v[110:111]|, |v[112:113]|
	s_and_saveexec_b64 s[20:21], s[8:9]
	s_xor_b64 s[8:9], exec, s[20:21]
	s_cbranch_execz .LBB52_408
; %bb.407:
	v_div_scale_f64 v[102:103], s[20:21], v[112:113], v[112:113], v[110:111]
	v_rcp_f64_e32 v[104:105], v[102:103]
	v_fma_f64 v[114:115], -v[102:103], v[104:105], 1.0
	v_fma_f64 v[104:105], v[104:105], v[114:115], v[104:105]
	v_div_scale_f64 v[114:115], vcc, v[110:111], v[112:113], v[110:111]
	v_fma_f64 v[116:117], -v[102:103], v[104:105], 1.0
	v_fma_f64 v[104:105], v[104:105], v[116:117], v[104:105]
	v_mul_f64 v[116:117], v[114:115], v[104:105]
	v_fma_f64 v[102:103], -v[102:103], v[116:117], v[114:115]
	v_div_fmas_f64 v[102:103], v[102:103], v[104:105], v[116:117]
	v_div_fixup_f64 v[102:103], v[102:103], v[112:113], v[110:111]
	v_fma_f64 v[104:105], v[110:111], v[102:103], v[112:113]
	v_div_scale_f64 v[110:111], s[20:21], v[104:105], v[104:105], 1.0
	v_div_scale_f64 v[116:117], vcc, 1.0, v[104:105], 1.0
	v_rcp_f64_e32 v[112:113], v[110:111]
	v_fma_f64 v[114:115], -v[110:111], v[112:113], 1.0
	v_fma_f64 v[112:113], v[112:113], v[114:115], v[112:113]
	v_fma_f64 v[114:115], -v[110:111], v[112:113], 1.0
	v_fma_f64 v[112:113], v[112:113], v[114:115], v[112:113]
	v_mul_f64 v[114:115], v[116:117], v[112:113]
	v_fma_f64 v[110:111], -v[110:111], v[114:115], v[116:117]
	v_div_fmas_f64 v[110:111], v[110:111], v[112:113], v[114:115]
	v_div_fixup_f64 v[112:113], v[110:111], v[104:105], 1.0
	v_mul_f64 v[110:111], v[102:103], v[112:113]
	v_xor_b32_e32 v113, 0x80000000, v113
.LBB52_408:
	s_andn2_saveexec_b64 s[8:9], s[8:9]
	s_cbranch_execz .LBB52_410
; %bb.409:
	v_div_scale_f64 v[102:103], s[20:21], v[110:111], v[110:111], v[112:113]
	v_rcp_f64_e32 v[104:105], v[102:103]
	v_fma_f64 v[114:115], -v[102:103], v[104:105], 1.0
	v_fma_f64 v[104:105], v[104:105], v[114:115], v[104:105]
	v_div_scale_f64 v[114:115], vcc, v[112:113], v[110:111], v[112:113]
	v_fma_f64 v[116:117], -v[102:103], v[104:105], 1.0
	v_fma_f64 v[104:105], v[104:105], v[116:117], v[104:105]
	v_mul_f64 v[116:117], v[114:115], v[104:105]
	v_fma_f64 v[102:103], -v[102:103], v[116:117], v[114:115]
	v_div_fmas_f64 v[102:103], v[102:103], v[104:105], v[116:117]
	v_div_fixup_f64 v[102:103], v[102:103], v[110:111], v[112:113]
	v_fma_f64 v[104:105], v[112:113], v[102:103], v[110:111]
	v_div_scale_f64 v[110:111], s[20:21], v[104:105], v[104:105], 1.0
	v_div_scale_f64 v[116:117], vcc, 1.0, v[104:105], 1.0
	v_rcp_f64_e32 v[112:113], v[110:111]
	v_fma_f64 v[114:115], -v[110:111], v[112:113], 1.0
	v_fma_f64 v[112:113], v[112:113], v[114:115], v[112:113]
	v_fma_f64 v[114:115], -v[110:111], v[112:113], 1.0
	v_fma_f64 v[112:113], v[112:113], v[114:115], v[112:113]
	v_mul_f64 v[114:115], v[116:117], v[112:113]
	v_fma_f64 v[110:111], -v[110:111], v[114:115], v[116:117]
	v_div_fmas_f64 v[110:111], v[110:111], v[112:113], v[114:115]
	v_div_fixup_f64 v[110:111], v[110:111], v[104:105], 1.0
	v_mul_f64 v[112:113], v[102:103], -v[110:111]
.LBB52_410:
	s_or_b64 exec, exec, s[8:9]
.LBB52_411:
	s_or_b64 exec, exec, s[0:1]
	v_cmp_ne_u32_e32 vcc, v120, v118
	s_and_saveexec_b64 s[0:1], vcc
	s_xor_b64 s[0:1], exec, s[0:1]
	s_cbranch_execz .LBB52_417
; %bb.412:
	v_cmp_eq_u32_e32 vcc, 19, v120
	s_and_saveexec_b64 s[8:9], vcc
	s_cbranch_execz .LBB52_416
; %bb.413:
	v_cmp_ne_u32_e32 vcc, 19, v118
	s_xor_b64 s[20:21], s[18:19], -1
	s_and_b64 s[24:25], s[20:21], vcc
	s_and_saveexec_b64 s[20:21], s[24:25]
	s_cbranch_execz .LBB52_415
; %bb.414:
	v_ashrrev_i32_e32 v119, 31, v118
	v_lshlrev_b64 v[102:103], 2, v[118:119]
	v_add_co_u32_e32 v102, vcc, v126, v102
	v_addc_co_u32_e32 v103, vcc, v127, v103, vcc
	global_load_dword v0, v[102:103], off
	global_load_dword v104, v[126:127], off offset:76
	s_waitcnt vmcnt(1)
	global_store_dword v[126:127], v0, off offset:76
	s_waitcnt vmcnt(1)
	global_store_dword v[102:103], v104, off
.LBB52_415:
	s_or_b64 exec, exec, s[20:21]
	v_mov_b32_e32 v120, v118
	v_mov_b32_e32 v0, v118
.LBB52_416:
	s_or_b64 exec, exec, s[8:9]
.LBB52_417:
	s_andn2_saveexec_b64 s[0:1], s[0:1]
	s_cbranch_execz .LBB52_419
; %bb.418:
	v_mov_b32_e32 v120, 19
	ds_write2_b64 v1, v[22:23], v[24:25] offset0:40 offset1:41
	ds_write2_b64 v1, v[18:19], v[20:21] offset0:42 offset1:43
	;; [unrolled: 1-line block ×7, first 2 shown]
.LBB52_419:
	s_or_b64 exec, exec, s[0:1]
	v_cmp_lt_i32_e32 vcc, 19, v120
	s_waitcnt vmcnt(0) lgkmcnt(0)
	s_barrier
	s_and_saveexec_b64 s[0:1], vcc
	s_cbranch_execz .LBB52_421
; %bb.420:
	v_mul_f64 v[102:103], v[110:111], v[28:29]
	v_mul_f64 v[28:29], v[112:113], v[28:29]
	v_fma_f64 v[118:119], v[112:113], v[26:27], v[102:103]
	v_fma_f64 v[26:27], v[110:111], v[26:27], -v[28:29]
	ds_read2_b64 v[110:113], v1 offset0:40 offset1:41
	s_waitcnt lgkmcnt(0)
	v_mul_f64 v[28:29], v[112:113], v[118:119]
	v_mul_f64 v[102:103], v[110:111], v[118:119]
	v_fma_f64 v[28:29], v[110:111], v[26:27], -v[28:29]
	v_fma_f64 v[102:103], v[112:113], v[26:27], v[102:103]
	ds_read2_b64 v[110:113], v1 offset0:42 offset1:43
	v_add_f64 v[22:23], v[22:23], -v[28:29]
	v_add_f64 v[24:25], v[24:25], -v[102:103]
	s_waitcnt lgkmcnt(0)
	v_mul_f64 v[28:29], v[112:113], v[118:119]
	v_mul_f64 v[102:103], v[110:111], v[118:119]
	v_fma_f64 v[28:29], v[110:111], v[26:27], -v[28:29]
	v_fma_f64 v[102:103], v[112:113], v[26:27], v[102:103]
	ds_read2_b64 v[110:113], v1 offset0:44 offset1:45
	v_add_f64 v[18:19], v[18:19], -v[28:29]
	v_add_f64 v[20:21], v[20:21], -v[102:103]
	;; [unrolled: 8-line block ×6, first 2 shown]
	s_waitcnt lgkmcnt(0)
	v_mul_f64 v[28:29], v[112:113], v[118:119]
	v_mul_f64 v[102:103], v[110:111], v[118:119]
	v_fma_f64 v[28:29], v[110:111], v[26:27], -v[28:29]
	v_fma_f64 v[102:103], v[112:113], v[26:27], v[102:103]
	v_add_f64 v[106:107], v[106:107], -v[28:29]
	v_add_f64 v[108:109], v[108:109], -v[102:103]
	v_mov_b32_e32 v28, v118
	v_mov_b32_e32 v29, v119
.LBB52_421:
	s_or_b64 exec, exec, s[0:1]
	v_lshl_add_u32 v102, v120, 4, v1
	s_barrier
	ds_write2_b64 v102, v[22:23], v[24:25] offset1:1
	s_waitcnt lgkmcnt(0)
	s_barrier
	ds_read2_b64 v[110:113], v1 offset0:40 offset1:41
	s_cmp_lt_i32 s22, 22
	v_mov_b32_e32 v118, 20
	s_cbranch_scc1 .LBB52_424
; %bb.422:
	v_add_u32_e32 v119, 0x150, v1
	s_mov_b32 s0, 21
	v_mov_b32_e32 v118, 20
.LBB52_423:                             ; =>This Inner Loop Header: Depth=1
	s_waitcnt lgkmcnt(0)
	v_cmp_gt_f64_e32 vcc, 0, v[110:111]
	v_xor_b32_e32 v102, 0x80000000, v111
	ds_read2_b64 v[114:117], v119 offset1:1
	v_xor_b32_e32 v104, 0x80000000, v113
	v_add_u32_e32 v119, 16, v119
	s_waitcnt lgkmcnt(0)
	v_xor_b32_e32 v124, 0x80000000, v117
	v_cndmask_b32_e32 v103, v111, v102, vcc
	v_cmp_gt_f64_e32 vcc, 0, v[112:113]
	v_mov_b32_e32 v102, v110
	v_cndmask_b32_e32 v105, v113, v104, vcc
	v_cmp_gt_f64_e32 vcc, 0, v[114:115]
	v_mov_b32_e32 v104, v112
	v_add_f64 v[102:103], v[102:103], v[104:105]
	v_xor_b32_e32 v104, 0x80000000, v115
	v_cndmask_b32_e32 v105, v115, v104, vcc
	v_cmp_gt_f64_e32 vcc, 0, v[116:117]
	v_mov_b32_e32 v104, v114
	v_cndmask_b32_e32 v125, v117, v124, vcc
	v_mov_b32_e32 v124, v116
	v_add_f64 v[104:105], v[104:105], v[124:125]
	v_cmp_lt_f64_e32 vcc, v[102:103], v[104:105]
	v_mov_b32_e32 v102, s0
	s_add_i32 s0, s0, 1
	s_cmp_lg_u32 s22, s0
	v_cndmask_b32_e32 v111, v111, v115, vcc
	v_cndmask_b32_e32 v110, v110, v114, vcc
	;; [unrolled: 1-line block ×5, first 2 shown]
	s_cbranch_scc1 .LBB52_423
.LBB52_424:
	s_waitcnt lgkmcnt(0)
	v_cmp_eq_f64_e32 vcc, 0, v[110:111]
	v_cmp_eq_f64_e64 s[0:1], 0, v[112:113]
	s_and_b64 s[0:1], vcc, s[0:1]
	s_and_saveexec_b64 s[8:9], s[0:1]
	s_xor_b64 s[0:1], exec, s[8:9]
; %bb.425:
	v_cmp_ne_u32_e32 vcc, 0, v123
	v_cndmask_b32_e32 v123, 21, v123, vcc
; %bb.426:
	s_andn2_saveexec_b64 s[0:1], s[0:1]
	s_cbranch_execz .LBB52_432
; %bb.427:
	v_cmp_ngt_f64_e64 s[8:9], |v[110:111]|, |v[112:113]|
	s_and_saveexec_b64 s[20:21], s[8:9]
	s_xor_b64 s[8:9], exec, s[20:21]
	s_cbranch_execz .LBB52_429
; %bb.428:
	v_div_scale_f64 v[102:103], s[20:21], v[112:113], v[112:113], v[110:111]
	v_rcp_f64_e32 v[104:105], v[102:103]
	v_fma_f64 v[114:115], -v[102:103], v[104:105], 1.0
	v_fma_f64 v[104:105], v[104:105], v[114:115], v[104:105]
	v_div_scale_f64 v[114:115], vcc, v[110:111], v[112:113], v[110:111]
	v_fma_f64 v[116:117], -v[102:103], v[104:105], 1.0
	v_fma_f64 v[104:105], v[104:105], v[116:117], v[104:105]
	v_mul_f64 v[116:117], v[114:115], v[104:105]
	v_fma_f64 v[102:103], -v[102:103], v[116:117], v[114:115]
	v_div_fmas_f64 v[102:103], v[102:103], v[104:105], v[116:117]
	v_div_fixup_f64 v[102:103], v[102:103], v[112:113], v[110:111]
	v_fma_f64 v[104:105], v[110:111], v[102:103], v[112:113]
	v_div_scale_f64 v[110:111], s[20:21], v[104:105], v[104:105], 1.0
	v_div_scale_f64 v[116:117], vcc, 1.0, v[104:105], 1.0
	v_rcp_f64_e32 v[112:113], v[110:111]
	v_fma_f64 v[114:115], -v[110:111], v[112:113], 1.0
	v_fma_f64 v[112:113], v[112:113], v[114:115], v[112:113]
	v_fma_f64 v[114:115], -v[110:111], v[112:113], 1.0
	v_fma_f64 v[112:113], v[112:113], v[114:115], v[112:113]
	v_mul_f64 v[114:115], v[116:117], v[112:113]
	v_fma_f64 v[110:111], -v[110:111], v[114:115], v[116:117]
	v_div_fmas_f64 v[110:111], v[110:111], v[112:113], v[114:115]
	v_div_fixup_f64 v[112:113], v[110:111], v[104:105], 1.0
	v_mul_f64 v[110:111], v[102:103], v[112:113]
	v_xor_b32_e32 v113, 0x80000000, v113
.LBB52_429:
	s_andn2_saveexec_b64 s[8:9], s[8:9]
	s_cbranch_execz .LBB52_431
; %bb.430:
	v_div_scale_f64 v[102:103], s[20:21], v[110:111], v[110:111], v[112:113]
	v_rcp_f64_e32 v[104:105], v[102:103]
	v_fma_f64 v[114:115], -v[102:103], v[104:105], 1.0
	v_fma_f64 v[104:105], v[104:105], v[114:115], v[104:105]
	v_div_scale_f64 v[114:115], vcc, v[112:113], v[110:111], v[112:113]
	v_fma_f64 v[116:117], -v[102:103], v[104:105], 1.0
	v_fma_f64 v[104:105], v[104:105], v[116:117], v[104:105]
	v_mul_f64 v[116:117], v[114:115], v[104:105]
	v_fma_f64 v[102:103], -v[102:103], v[116:117], v[114:115]
	v_div_fmas_f64 v[102:103], v[102:103], v[104:105], v[116:117]
	v_div_fixup_f64 v[102:103], v[102:103], v[110:111], v[112:113]
	v_fma_f64 v[104:105], v[112:113], v[102:103], v[110:111]
	v_div_scale_f64 v[110:111], s[20:21], v[104:105], v[104:105], 1.0
	v_div_scale_f64 v[116:117], vcc, 1.0, v[104:105], 1.0
	v_rcp_f64_e32 v[112:113], v[110:111]
	v_fma_f64 v[114:115], -v[110:111], v[112:113], 1.0
	v_fma_f64 v[112:113], v[112:113], v[114:115], v[112:113]
	v_fma_f64 v[114:115], -v[110:111], v[112:113], 1.0
	v_fma_f64 v[112:113], v[112:113], v[114:115], v[112:113]
	v_mul_f64 v[114:115], v[116:117], v[112:113]
	v_fma_f64 v[110:111], -v[110:111], v[114:115], v[116:117]
	v_div_fmas_f64 v[110:111], v[110:111], v[112:113], v[114:115]
	v_div_fixup_f64 v[110:111], v[110:111], v[104:105], 1.0
	v_mul_f64 v[112:113], v[102:103], -v[110:111]
.LBB52_431:
	s_or_b64 exec, exec, s[8:9]
.LBB52_432:
	s_or_b64 exec, exec, s[0:1]
	v_cmp_ne_u32_e32 vcc, v120, v118
	s_and_saveexec_b64 s[0:1], vcc
	s_xor_b64 s[0:1], exec, s[0:1]
	s_cbranch_execz .LBB52_438
; %bb.433:
	v_cmp_eq_u32_e32 vcc, 20, v120
	s_and_saveexec_b64 s[8:9], vcc
	s_cbranch_execz .LBB52_437
; %bb.434:
	v_cmp_ne_u32_e32 vcc, 20, v118
	s_xor_b64 s[20:21], s[18:19], -1
	s_and_b64 s[24:25], s[20:21], vcc
	s_and_saveexec_b64 s[20:21], s[24:25]
	s_cbranch_execz .LBB52_436
; %bb.435:
	v_ashrrev_i32_e32 v119, 31, v118
	v_lshlrev_b64 v[102:103], 2, v[118:119]
	v_add_co_u32_e32 v102, vcc, v126, v102
	v_addc_co_u32_e32 v103, vcc, v127, v103, vcc
	global_load_dword v0, v[102:103], off
	global_load_dword v104, v[126:127], off offset:80
	s_waitcnt vmcnt(1)
	global_store_dword v[126:127], v0, off offset:80
	s_waitcnt vmcnt(1)
	global_store_dword v[102:103], v104, off
.LBB52_436:
	s_or_b64 exec, exec, s[20:21]
	v_mov_b32_e32 v120, v118
	v_mov_b32_e32 v0, v118
.LBB52_437:
	s_or_b64 exec, exec, s[8:9]
.LBB52_438:
	s_andn2_saveexec_b64 s[0:1], s[0:1]
	s_cbranch_execz .LBB52_440
; %bb.439:
	v_mov_b32_e32 v120, 20
	ds_write2_b64 v1, v[18:19], v[20:21] offset0:42 offset1:43
	ds_write2_b64 v1, v[14:15], v[16:17] offset0:44 offset1:45
	;; [unrolled: 1-line block ×6, first 2 shown]
.LBB52_440:
	s_or_b64 exec, exec, s[0:1]
	v_cmp_lt_i32_e32 vcc, 20, v120
	s_waitcnt vmcnt(0) lgkmcnt(0)
	s_barrier
	s_and_saveexec_b64 s[0:1], vcc
	s_cbranch_execz .LBB52_442
; %bb.441:
	v_mul_f64 v[102:103], v[110:111], v[24:25]
	v_mul_f64 v[24:25], v[112:113], v[24:25]
	v_fma_f64 v[118:119], v[112:113], v[22:23], v[102:103]
	v_fma_f64 v[22:23], v[110:111], v[22:23], -v[24:25]
	ds_read2_b64 v[110:113], v1 offset0:42 offset1:43
	s_waitcnt lgkmcnt(0)
	v_mul_f64 v[24:25], v[112:113], v[118:119]
	v_mul_f64 v[102:103], v[110:111], v[118:119]
	v_fma_f64 v[24:25], v[110:111], v[22:23], -v[24:25]
	v_fma_f64 v[102:103], v[112:113], v[22:23], v[102:103]
	ds_read2_b64 v[110:113], v1 offset0:44 offset1:45
	v_add_f64 v[18:19], v[18:19], -v[24:25]
	v_add_f64 v[20:21], v[20:21], -v[102:103]
	s_waitcnt lgkmcnt(0)
	v_mul_f64 v[24:25], v[112:113], v[118:119]
	v_mul_f64 v[102:103], v[110:111], v[118:119]
	v_fma_f64 v[24:25], v[110:111], v[22:23], -v[24:25]
	v_fma_f64 v[102:103], v[112:113], v[22:23], v[102:103]
	ds_read2_b64 v[110:113], v1 offset0:46 offset1:47
	v_add_f64 v[14:15], v[14:15], -v[24:25]
	v_add_f64 v[16:17], v[16:17], -v[102:103]
	s_waitcnt lgkmcnt(0)
	v_mul_f64 v[24:25], v[112:113], v[118:119]
	v_mul_f64 v[102:103], v[110:111], v[118:119]
	v_fma_f64 v[24:25], v[110:111], v[22:23], -v[24:25]
	v_fma_f64 v[102:103], v[112:113], v[22:23], v[102:103]
	ds_read2_b64 v[110:113], v1 offset0:48 offset1:49
	v_add_f64 v[10:11], v[10:11], -v[24:25]
	v_add_f64 v[12:13], v[12:13], -v[102:103]
	s_waitcnt lgkmcnt(0)
	v_mul_f64 v[24:25], v[112:113], v[118:119]
	v_mul_f64 v[102:103], v[110:111], v[118:119]
	v_fma_f64 v[24:25], v[110:111], v[22:23], -v[24:25]
	v_fma_f64 v[102:103], v[112:113], v[22:23], v[102:103]
	ds_read2_b64 v[110:113], v1 offset0:50 offset1:51
	v_add_f64 v[6:7], v[6:7], -v[24:25]
	v_add_f64 v[8:9], v[8:9], -v[102:103]
	s_waitcnt lgkmcnt(0)
	v_mul_f64 v[24:25], v[112:113], v[118:119]
	v_mul_f64 v[102:103], v[110:111], v[118:119]
	v_fma_f64 v[24:25], v[110:111], v[22:23], -v[24:25]
	v_fma_f64 v[102:103], v[112:113], v[22:23], v[102:103]
	ds_read2_b64 v[110:113], v1 offset0:52 offset1:53
	v_add_f64 v[2:3], v[2:3], -v[24:25]
	v_add_f64 v[4:5], v[4:5], -v[102:103]
	s_waitcnt lgkmcnt(0)
	v_mul_f64 v[24:25], v[112:113], v[118:119]
	v_mul_f64 v[102:103], v[110:111], v[118:119]
	v_fma_f64 v[24:25], v[110:111], v[22:23], -v[24:25]
	v_fma_f64 v[102:103], v[112:113], v[22:23], v[102:103]
	v_add_f64 v[106:107], v[106:107], -v[24:25]
	v_add_f64 v[108:109], v[108:109], -v[102:103]
	v_mov_b32_e32 v24, v118
	v_mov_b32_e32 v25, v119
.LBB52_442:
	s_or_b64 exec, exec, s[0:1]
	v_lshl_add_u32 v102, v120, 4, v1
	s_barrier
	ds_write2_b64 v102, v[18:19], v[20:21] offset1:1
	s_waitcnt lgkmcnt(0)
	s_barrier
	ds_read2_b64 v[110:113], v1 offset0:42 offset1:43
	s_cmp_lt_i32 s22, 23
	v_mov_b32_e32 v118, 21
	s_cbranch_scc1 .LBB52_445
; %bb.443:
	v_add_u32_e32 v119, 0x160, v1
	s_mov_b32 s0, 22
	v_mov_b32_e32 v118, 21
.LBB52_444:                             ; =>This Inner Loop Header: Depth=1
	s_waitcnt lgkmcnt(0)
	v_cmp_gt_f64_e32 vcc, 0, v[110:111]
	v_xor_b32_e32 v102, 0x80000000, v111
	ds_read2_b64 v[114:117], v119 offset1:1
	v_xor_b32_e32 v104, 0x80000000, v113
	v_add_u32_e32 v119, 16, v119
	s_waitcnt lgkmcnt(0)
	v_xor_b32_e32 v124, 0x80000000, v117
	v_cndmask_b32_e32 v103, v111, v102, vcc
	v_cmp_gt_f64_e32 vcc, 0, v[112:113]
	v_mov_b32_e32 v102, v110
	v_cndmask_b32_e32 v105, v113, v104, vcc
	v_cmp_gt_f64_e32 vcc, 0, v[114:115]
	v_mov_b32_e32 v104, v112
	v_add_f64 v[102:103], v[102:103], v[104:105]
	v_xor_b32_e32 v104, 0x80000000, v115
	v_cndmask_b32_e32 v105, v115, v104, vcc
	v_cmp_gt_f64_e32 vcc, 0, v[116:117]
	v_mov_b32_e32 v104, v114
	v_cndmask_b32_e32 v125, v117, v124, vcc
	v_mov_b32_e32 v124, v116
	v_add_f64 v[104:105], v[104:105], v[124:125]
	v_cmp_lt_f64_e32 vcc, v[102:103], v[104:105]
	v_mov_b32_e32 v102, s0
	s_add_i32 s0, s0, 1
	s_cmp_lg_u32 s22, s0
	v_cndmask_b32_e32 v111, v111, v115, vcc
	v_cndmask_b32_e32 v110, v110, v114, vcc
	;; [unrolled: 1-line block ×5, first 2 shown]
	s_cbranch_scc1 .LBB52_444
.LBB52_445:
	s_waitcnt lgkmcnt(0)
	v_cmp_eq_f64_e32 vcc, 0, v[110:111]
	v_cmp_eq_f64_e64 s[0:1], 0, v[112:113]
	s_and_b64 s[0:1], vcc, s[0:1]
	s_and_saveexec_b64 s[8:9], s[0:1]
	s_xor_b64 s[0:1], exec, s[8:9]
; %bb.446:
	v_cmp_ne_u32_e32 vcc, 0, v123
	v_cndmask_b32_e32 v123, 22, v123, vcc
; %bb.447:
	s_andn2_saveexec_b64 s[0:1], s[0:1]
	s_cbranch_execz .LBB52_453
; %bb.448:
	v_cmp_ngt_f64_e64 s[8:9], |v[110:111]|, |v[112:113]|
	s_and_saveexec_b64 s[20:21], s[8:9]
	s_xor_b64 s[8:9], exec, s[20:21]
	s_cbranch_execz .LBB52_450
; %bb.449:
	v_div_scale_f64 v[102:103], s[20:21], v[112:113], v[112:113], v[110:111]
	v_rcp_f64_e32 v[104:105], v[102:103]
	v_fma_f64 v[114:115], -v[102:103], v[104:105], 1.0
	v_fma_f64 v[104:105], v[104:105], v[114:115], v[104:105]
	v_div_scale_f64 v[114:115], vcc, v[110:111], v[112:113], v[110:111]
	v_fma_f64 v[116:117], -v[102:103], v[104:105], 1.0
	v_fma_f64 v[104:105], v[104:105], v[116:117], v[104:105]
	v_mul_f64 v[116:117], v[114:115], v[104:105]
	v_fma_f64 v[102:103], -v[102:103], v[116:117], v[114:115]
	v_div_fmas_f64 v[102:103], v[102:103], v[104:105], v[116:117]
	v_div_fixup_f64 v[102:103], v[102:103], v[112:113], v[110:111]
	v_fma_f64 v[104:105], v[110:111], v[102:103], v[112:113]
	v_div_scale_f64 v[110:111], s[20:21], v[104:105], v[104:105], 1.0
	v_div_scale_f64 v[116:117], vcc, 1.0, v[104:105], 1.0
	v_rcp_f64_e32 v[112:113], v[110:111]
	v_fma_f64 v[114:115], -v[110:111], v[112:113], 1.0
	v_fma_f64 v[112:113], v[112:113], v[114:115], v[112:113]
	v_fma_f64 v[114:115], -v[110:111], v[112:113], 1.0
	v_fma_f64 v[112:113], v[112:113], v[114:115], v[112:113]
	v_mul_f64 v[114:115], v[116:117], v[112:113]
	v_fma_f64 v[110:111], -v[110:111], v[114:115], v[116:117]
	v_div_fmas_f64 v[110:111], v[110:111], v[112:113], v[114:115]
	v_div_fixup_f64 v[112:113], v[110:111], v[104:105], 1.0
	v_mul_f64 v[110:111], v[102:103], v[112:113]
	v_xor_b32_e32 v113, 0x80000000, v113
.LBB52_450:
	s_andn2_saveexec_b64 s[8:9], s[8:9]
	s_cbranch_execz .LBB52_452
; %bb.451:
	v_div_scale_f64 v[102:103], s[20:21], v[110:111], v[110:111], v[112:113]
	v_rcp_f64_e32 v[104:105], v[102:103]
	v_fma_f64 v[114:115], -v[102:103], v[104:105], 1.0
	v_fma_f64 v[104:105], v[104:105], v[114:115], v[104:105]
	v_div_scale_f64 v[114:115], vcc, v[112:113], v[110:111], v[112:113]
	v_fma_f64 v[116:117], -v[102:103], v[104:105], 1.0
	v_fma_f64 v[104:105], v[104:105], v[116:117], v[104:105]
	v_mul_f64 v[116:117], v[114:115], v[104:105]
	v_fma_f64 v[102:103], -v[102:103], v[116:117], v[114:115]
	v_div_fmas_f64 v[102:103], v[102:103], v[104:105], v[116:117]
	v_div_fixup_f64 v[102:103], v[102:103], v[110:111], v[112:113]
	v_fma_f64 v[104:105], v[112:113], v[102:103], v[110:111]
	v_div_scale_f64 v[110:111], s[20:21], v[104:105], v[104:105], 1.0
	v_div_scale_f64 v[116:117], vcc, 1.0, v[104:105], 1.0
	v_rcp_f64_e32 v[112:113], v[110:111]
	v_fma_f64 v[114:115], -v[110:111], v[112:113], 1.0
	v_fma_f64 v[112:113], v[112:113], v[114:115], v[112:113]
	v_fma_f64 v[114:115], -v[110:111], v[112:113], 1.0
	v_fma_f64 v[112:113], v[112:113], v[114:115], v[112:113]
	v_mul_f64 v[114:115], v[116:117], v[112:113]
	v_fma_f64 v[110:111], -v[110:111], v[114:115], v[116:117]
	v_div_fmas_f64 v[110:111], v[110:111], v[112:113], v[114:115]
	v_div_fixup_f64 v[110:111], v[110:111], v[104:105], 1.0
	v_mul_f64 v[112:113], v[102:103], -v[110:111]
.LBB52_452:
	s_or_b64 exec, exec, s[8:9]
.LBB52_453:
	s_or_b64 exec, exec, s[0:1]
	v_cmp_ne_u32_e32 vcc, v120, v118
	s_and_saveexec_b64 s[0:1], vcc
	s_xor_b64 s[0:1], exec, s[0:1]
	s_cbranch_execz .LBB52_459
; %bb.454:
	v_cmp_eq_u32_e32 vcc, 21, v120
	s_and_saveexec_b64 s[8:9], vcc
	s_cbranch_execz .LBB52_458
; %bb.455:
	v_cmp_ne_u32_e32 vcc, 21, v118
	s_xor_b64 s[20:21], s[18:19], -1
	s_and_b64 s[24:25], s[20:21], vcc
	s_and_saveexec_b64 s[20:21], s[24:25]
	s_cbranch_execz .LBB52_457
; %bb.456:
	v_ashrrev_i32_e32 v119, 31, v118
	v_lshlrev_b64 v[102:103], 2, v[118:119]
	v_add_co_u32_e32 v102, vcc, v126, v102
	v_addc_co_u32_e32 v103, vcc, v127, v103, vcc
	global_load_dword v0, v[102:103], off
	global_load_dword v104, v[126:127], off offset:84
	s_waitcnt vmcnt(1)
	global_store_dword v[126:127], v0, off offset:84
	s_waitcnt vmcnt(1)
	global_store_dword v[102:103], v104, off
.LBB52_457:
	s_or_b64 exec, exec, s[20:21]
	v_mov_b32_e32 v120, v118
	v_mov_b32_e32 v0, v118
.LBB52_458:
	s_or_b64 exec, exec, s[8:9]
.LBB52_459:
	s_andn2_saveexec_b64 s[0:1], s[0:1]
	s_cbranch_execz .LBB52_461
; %bb.460:
	v_mov_b32_e32 v120, 21
	ds_write2_b64 v1, v[14:15], v[16:17] offset0:44 offset1:45
	ds_write2_b64 v1, v[10:11], v[12:13] offset0:46 offset1:47
	;; [unrolled: 1-line block ×5, first 2 shown]
.LBB52_461:
	s_or_b64 exec, exec, s[0:1]
	v_cmp_lt_i32_e32 vcc, 21, v120
	s_waitcnt vmcnt(0) lgkmcnt(0)
	s_barrier
	s_and_saveexec_b64 s[0:1], vcc
	s_cbranch_execz .LBB52_463
; %bb.462:
	v_mul_f64 v[102:103], v[110:111], v[20:21]
	v_mul_f64 v[20:21], v[112:113], v[20:21]
	v_fma_f64 v[102:103], v[112:113], v[18:19], v[102:103]
	v_fma_f64 v[18:19], v[110:111], v[18:19], -v[20:21]
	ds_read2_b64 v[110:113], v1 offset0:44 offset1:45
	s_waitcnt lgkmcnt(0)
	v_mul_f64 v[20:21], v[112:113], v[102:103]
	v_mul_f64 v[104:105], v[110:111], v[102:103]
	v_fma_f64 v[20:21], v[110:111], v[18:19], -v[20:21]
	v_fma_f64 v[104:105], v[112:113], v[18:19], v[104:105]
	ds_read2_b64 v[110:113], v1 offset0:46 offset1:47
	v_add_f64 v[14:15], v[14:15], -v[20:21]
	v_add_f64 v[16:17], v[16:17], -v[104:105]
	s_waitcnt lgkmcnt(0)
	v_mul_f64 v[20:21], v[112:113], v[102:103]
	v_mul_f64 v[104:105], v[110:111], v[102:103]
	v_fma_f64 v[20:21], v[110:111], v[18:19], -v[20:21]
	v_fma_f64 v[104:105], v[112:113], v[18:19], v[104:105]
	ds_read2_b64 v[110:113], v1 offset0:48 offset1:49
	v_add_f64 v[10:11], v[10:11], -v[20:21]
	v_add_f64 v[12:13], v[12:13], -v[104:105]
	;; [unrolled: 8-line block ×4, first 2 shown]
	s_waitcnt lgkmcnt(0)
	v_mul_f64 v[20:21], v[112:113], v[102:103]
	v_mul_f64 v[104:105], v[110:111], v[102:103]
	v_fma_f64 v[20:21], v[110:111], v[18:19], -v[20:21]
	v_fma_f64 v[104:105], v[112:113], v[18:19], v[104:105]
	v_add_f64 v[106:107], v[106:107], -v[20:21]
	v_add_f64 v[108:109], v[108:109], -v[104:105]
	v_mov_b32_e32 v20, v102
	v_mov_b32_e32 v21, v103
.LBB52_463:
	s_or_b64 exec, exec, s[0:1]
	v_lshl_add_u32 v102, v120, 4, v1
	s_barrier
	ds_write2_b64 v102, v[14:15], v[16:17] offset1:1
	s_waitcnt lgkmcnt(0)
	s_barrier
	ds_read2_b64 v[110:113], v1 offset0:44 offset1:45
	s_cmp_lt_i32 s22, 24
	v_mov_b32_e32 v118, 22
	s_cbranch_scc1 .LBB52_466
; %bb.464:
	v_add_u32_e32 v119, 0x170, v1
	s_mov_b32 s0, 23
	v_mov_b32_e32 v118, 22
.LBB52_465:                             ; =>This Inner Loop Header: Depth=1
	s_waitcnt lgkmcnt(0)
	v_cmp_gt_f64_e32 vcc, 0, v[110:111]
	v_xor_b32_e32 v102, 0x80000000, v111
	ds_read2_b64 v[114:117], v119 offset1:1
	v_xor_b32_e32 v104, 0x80000000, v113
	v_add_u32_e32 v119, 16, v119
	s_waitcnt lgkmcnt(0)
	v_xor_b32_e32 v124, 0x80000000, v117
	v_cndmask_b32_e32 v103, v111, v102, vcc
	v_cmp_gt_f64_e32 vcc, 0, v[112:113]
	v_mov_b32_e32 v102, v110
	v_cndmask_b32_e32 v105, v113, v104, vcc
	v_cmp_gt_f64_e32 vcc, 0, v[114:115]
	v_mov_b32_e32 v104, v112
	v_add_f64 v[102:103], v[102:103], v[104:105]
	v_xor_b32_e32 v104, 0x80000000, v115
	v_cndmask_b32_e32 v105, v115, v104, vcc
	v_cmp_gt_f64_e32 vcc, 0, v[116:117]
	v_mov_b32_e32 v104, v114
	v_cndmask_b32_e32 v125, v117, v124, vcc
	v_mov_b32_e32 v124, v116
	v_add_f64 v[104:105], v[104:105], v[124:125]
	v_cmp_lt_f64_e32 vcc, v[102:103], v[104:105]
	v_mov_b32_e32 v102, s0
	s_add_i32 s0, s0, 1
	s_cmp_lg_u32 s22, s0
	v_cndmask_b32_e32 v111, v111, v115, vcc
	v_cndmask_b32_e32 v110, v110, v114, vcc
	;; [unrolled: 1-line block ×5, first 2 shown]
	s_cbranch_scc1 .LBB52_465
.LBB52_466:
	s_waitcnt lgkmcnt(0)
	v_cmp_eq_f64_e32 vcc, 0, v[110:111]
	v_cmp_eq_f64_e64 s[0:1], 0, v[112:113]
	s_and_b64 s[0:1], vcc, s[0:1]
	s_and_saveexec_b64 s[8:9], s[0:1]
	s_xor_b64 s[0:1], exec, s[8:9]
; %bb.467:
	v_cmp_ne_u32_e32 vcc, 0, v123
	v_cndmask_b32_e32 v123, 23, v123, vcc
; %bb.468:
	s_andn2_saveexec_b64 s[0:1], s[0:1]
	s_cbranch_execz .LBB52_474
; %bb.469:
	v_cmp_ngt_f64_e64 s[8:9], |v[110:111]|, |v[112:113]|
	s_and_saveexec_b64 s[20:21], s[8:9]
	s_xor_b64 s[8:9], exec, s[20:21]
	s_cbranch_execz .LBB52_471
; %bb.470:
	v_div_scale_f64 v[102:103], s[20:21], v[112:113], v[112:113], v[110:111]
	v_rcp_f64_e32 v[104:105], v[102:103]
	v_fma_f64 v[114:115], -v[102:103], v[104:105], 1.0
	v_fma_f64 v[104:105], v[104:105], v[114:115], v[104:105]
	v_div_scale_f64 v[114:115], vcc, v[110:111], v[112:113], v[110:111]
	v_fma_f64 v[116:117], -v[102:103], v[104:105], 1.0
	v_fma_f64 v[104:105], v[104:105], v[116:117], v[104:105]
	v_mul_f64 v[116:117], v[114:115], v[104:105]
	v_fma_f64 v[102:103], -v[102:103], v[116:117], v[114:115]
	v_div_fmas_f64 v[102:103], v[102:103], v[104:105], v[116:117]
	v_div_fixup_f64 v[102:103], v[102:103], v[112:113], v[110:111]
	v_fma_f64 v[104:105], v[110:111], v[102:103], v[112:113]
	v_div_scale_f64 v[110:111], s[20:21], v[104:105], v[104:105], 1.0
	v_div_scale_f64 v[116:117], vcc, 1.0, v[104:105], 1.0
	v_rcp_f64_e32 v[112:113], v[110:111]
	v_fma_f64 v[114:115], -v[110:111], v[112:113], 1.0
	v_fma_f64 v[112:113], v[112:113], v[114:115], v[112:113]
	v_fma_f64 v[114:115], -v[110:111], v[112:113], 1.0
	v_fma_f64 v[112:113], v[112:113], v[114:115], v[112:113]
	v_mul_f64 v[114:115], v[116:117], v[112:113]
	v_fma_f64 v[110:111], -v[110:111], v[114:115], v[116:117]
	v_div_fmas_f64 v[110:111], v[110:111], v[112:113], v[114:115]
	v_div_fixup_f64 v[112:113], v[110:111], v[104:105], 1.0
	v_mul_f64 v[110:111], v[102:103], v[112:113]
	v_xor_b32_e32 v113, 0x80000000, v113
.LBB52_471:
	s_andn2_saveexec_b64 s[8:9], s[8:9]
	s_cbranch_execz .LBB52_473
; %bb.472:
	v_div_scale_f64 v[102:103], s[20:21], v[110:111], v[110:111], v[112:113]
	v_rcp_f64_e32 v[104:105], v[102:103]
	v_fma_f64 v[114:115], -v[102:103], v[104:105], 1.0
	v_fma_f64 v[104:105], v[104:105], v[114:115], v[104:105]
	v_div_scale_f64 v[114:115], vcc, v[112:113], v[110:111], v[112:113]
	v_fma_f64 v[116:117], -v[102:103], v[104:105], 1.0
	v_fma_f64 v[104:105], v[104:105], v[116:117], v[104:105]
	v_mul_f64 v[116:117], v[114:115], v[104:105]
	v_fma_f64 v[102:103], -v[102:103], v[116:117], v[114:115]
	v_div_fmas_f64 v[102:103], v[102:103], v[104:105], v[116:117]
	v_div_fixup_f64 v[102:103], v[102:103], v[110:111], v[112:113]
	v_fma_f64 v[104:105], v[112:113], v[102:103], v[110:111]
	v_div_scale_f64 v[110:111], s[20:21], v[104:105], v[104:105], 1.0
	v_div_scale_f64 v[116:117], vcc, 1.0, v[104:105], 1.0
	v_rcp_f64_e32 v[112:113], v[110:111]
	v_fma_f64 v[114:115], -v[110:111], v[112:113], 1.0
	v_fma_f64 v[112:113], v[112:113], v[114:115], v[112:113]
	v_fma_f64 v[114:115], -v[110:111], v[112:113], 1.0
	v_fma_f64 v[112:113], v[112:113], v[114:115], v[112:113]
	v_mul_f64 v[114:115], v[116:117], v[112:113]
	v_fma_f64 v[110:111], -v[110:111], v[114:115], v[116:117]
	v_div_fmas_f64 v[110:111], v[110:111], v[112:113], v[114:115]
	v_div_fixup_f64 v[110:111], v[110:111], v[104:105], 1.0
	v_mul_f64 v[112:113], v[102:103], -v[110:111]
.LBB52_473:
	s_or_b64 exec, exec, s[8:9]
.LBB52_474:
	s_or_b64 exec, exec, s[0:1]
	v_cmp_ne_u32_e32 vcc, v120, v118
	s_and_saveexec_b64 s[0:1], vcc
	s_xor_b64 s[0:1], exec, s[0:1]
	s_cbranch_execz .LBB52_480
; %bb.475:
	v_cmp_eq_u32_e32 vcc, 22, v120
	s_and_saveexec_b64 s[8:9], vcc
	s_cbranch_execz .LBB52_479
; %bb.476:
	v_cmp_ne_u32_e32 vcc, 22, v118
	s_xor_b64 s[20:21], s[18:19], -1
	s_and_b64 s[24:25], s[20:21], vcc
	s_and_saveexec_b64 s[20:21], s[24:25]
	s_cbranch_execz .LBB52_478
; %bb.477:
	v_ashrrev_i32_e32 v119, 31, v118
	v_lshlrev_b64 v[102:103], 2, v[118:119]
	v_add_co_u32_e32 v102, vcc, v126, v102
	v_addc_co_u32_e32 v103, vcc, v127, v103, vcc
	global_load_dword v0, v[102:103], off
	global_load_dword v104, v[126:127], off offset:88
	s_waitcnt vmcnt(1)
	global_store_dword v[126:127], v0, off offset:88
	s_waitcnt vmcnt(1)
	global_store_dword v[102:103], v104, off
.LBB52_478:
	s_or_b64 exec, exec, s[20:21]
	v_mov_b32_e32 v120, v118
	v_mov_b32_e32 v0, v118
.LBB52_479:
	s_or_b64 exec, exec, s[8:9]
.LBB52_480:
	s_andn2_saveexec_b64 s[0:1], s[0:1]
	s_cbranch_execz .LBB52_482
; %bb.481:
	v_mov_b32_e32 v120, 22
	ds_write2_b64 v1, v[10:11], v[12:13] offset0:46 offset1:47
	ds_write2_b64 v1, v[6:7], v[8:9] offset0:48 offset1:49
	;; [unrolled: 1-line block ×4, first 2 shown]
.LBB52_482:
	s_or_b64 exec, exec, s[0:1]
	v_cmp_lt_i32_e32 vcc, 22, v120
	s_waitcnt vmcnt(0) lgkmcnt(0)
	s_barrier
	s_and_saveexec_b64 s[0:1], vcc
	s_cbranch_execz .LBB52_484
; %bb.483:
	v_mul_f64 v[102:103], v[110:111], v[16:17]
	v_mul_f64 v[16:17], v[112:113], v[16:17]
	v_fma_f64 v[102:103], v[112:113], v[14:15], v[102:103]
	v_fma_f64 v[14:15], v[110:111], v[14:15], -v[16:17]
	ds_read2_b64 v[110:113], v1 offset0:46 offset1:47
	s_waitcnt lgkmcnt(0)
	v_mul_f64 v[16:17], v[112:113], v[102:103]
	v_mul_f64 v[104:105], v[110:111], v[102:103]
	v_fma_f64 v[16:17], v[110:111], v[14:15], -v[16:17]
	v_fma_f64 v[104:105], v[112:113], v[14:15], v[104:105]
	ds_read2_b64 v[110:113], v1 offset0:48 offset1:49
	v_add_f64 v[10:11], v[10:11], -v[16:17]
	v_add_f64 v[12:13], v[12:13], -v[104:105]
	s_waitcnt lgkmcnt(0)
	v_mul_f64 v[16:17], v[112:113], v[102:103]
	v_mul_f64 v[104:105], v[110:111], v[102:103]
	v_fma_f64 v[16:17], v[110:111], v[14:15], -v[16:17]
	v_fma_f64 v[104:105], v[112:113], v[14:15], v[104:105]
	ds_read2_b64 v[110:113], v1 offset0:50 offset1:51
	v_add_f64 v[6:7], v[6:7], -v[16:17]
	v_add_f64 v[8:9], v[8:9], -v[104:105]
	;; [unrolled: 8-line block ×3, first 2 shown]
	s_waitcnt lgkmcnt(0)
	v_mul_f64 v[16:17], v[112:113], v[102:103]
	v_mul_f64 v[104:105], v[110:111], v[102:103]
	v_fma_f64 v[16:17], v[110:111], v[14:15], -v[16:17]
	v_fma_f64 v[104:105], v[112:113], v[14:15], v[104:105]
	v_add_f64 v[106:107], v[106:107], -v[16:17]
	v_add_f64 v[108:109], v[108:109], -v[104:105]
	v_mov_b32_e32 v16, v102
	v_mov_b32_e32 v17, v103
.LBB52_484:
	s_or_b64 exec, exec, s[0:1]
	v_lshl_add_u32 v102, v120, 4, v1
	s_barrier
	ds_write2_b64 v102, v[10:11], v[12:13] offset1:1
	s_waitcnt lgkmcnt(0)
	s_barrier
	ds_read2_b64 v[110:113], v1 offset0:46 offset1:47
	s_cmp_lt_i32 s22, 25
	v_mov_b32_e32 v118, 23
	s_cbranch_scc1 .LBB52_487
; %bb.485:
	v_add_u32_e32 v119, 0x180, v1
	s_mov_b32 s0, 24
	v_mov_b32_e32 v118, 23
.LBB52_486:                             ; =>This Inner Loop Header: Depth=1
	s_waitcnt lgkmcnt(0)
	v_cmp_gt_f64_e32 vcc, 0, v[110:111]
	v_xor_b32_e32 v102, 0x80000000, v111
	ds_read2_b64 v[114:117], v119 offset1:1
	v_xor_b32_e32 v104, 0x80000000, v113
	v_add_u32_e32 v119, 16, v119
	s_waitcnt lgkmcnt(0)
	v_xor_b32_e32 v124, 0x80000000, v117
	v_cndmask_b32_e32 v103, v111, v102, vcc
	v_cmp_gt_f64_e32 vcc, 0, v[112:113]
	v_mov_b32_e32 v102, v110
	v_cndmask_b32_e32 v105, v113, v104, vcc
	v_cmp_gt_f64_e32 vcc, 0, v[114:115]
	v_mov_b32_e32 v104, v112
	v_add_f64 v[102:103], v[102:103], v[104:105]
	v_xor_b32_e32 v104, 0x80000000, v115
	v_cndmask_b32_e32 v105, v115, v104, vcc
	v_cmp_gt_f64_e32 vcc, 0, v[116:117]
	v_mov_b32_e32 v104, v114
	v_cndmask_b32_e32 v125, v117, v124, vcc
	v_mov_b32_e32 v124, v116
	v_add_f64 v[104:105], v[104:105], v[124:125]
	v_cmp_lt_f64_e32 vcc, v[102:103], v[104:105]
	v_mov_b32_e32 v102, s0
	s_add_i32 s0, s0, 1
	s_cmp_lg_u32 s22, s0
	v_cndmask_b32_e32 v111, v111, v115, vcc
	v_cndmask_b32_e32 v110, v110, v114, vcc
	;; [unrolled: 1-line block ×5, first 2 shown]
	s_cbranch_scc1 .LBB52_486
.LBB52_487:
	s_waitcnt lgkmcnt(0)
	v_cmp_eq_f64_e32 vcc, 0, v[110:111]
	v_cmp_eq_f64_e64 s[0:1], 0, v[112:113]
	s_and_b64 s[0:1], vcc, s[0:1]
	s_and_saveexec_b64 s[8:9], s[0:1]
	s_xor_b64 s[0:1], exec, s[8:9]
; %bb.488:
	v_cmp_ne_u32_e32 vcc, 0, v123
	v_cndmask_b32_e32 v123, 24, v123, vcc
; %bb.489:
	s_andn2_saveexec_b64 s[0:1], s[0:1]
	s_cbranch_execz .LBB52_495
; %bb.490:
	v_cmp_ngt_f64_e64 s[8:9], |v[110:111]|, |v[112:113]|
	s_and_saveexec_b64 s[20:21], s[8:9]
	s_xor_b64 s[8:9], exec, s[20:21]
	s_cbranch_execz .LBB52_492
; %bb.491:
	v_div_scale_f64 v[102:103], s[20:21], v[112:113], v[112:113], v[110:111]
	v_rcp_f64_e32 v[104:105], v[102:103]
	v_fma_f64 v[114:115], -v[102:103], v[104:105], 1.0
	v_fma_f64 v[104:105], v[104:105], v[114:115], v[104:105]
	v_div_scale_f64 v[114:115], vcc, v[110:111], v[112:113], v[110:111]
	v_fma_f64 v[116:117], -v[102:103], v[104:105], 1.0
	v_fma_f64 v[104:105], v[104:105], v[116:117], v[104:105]
	v_mul_f64 v[116:117], v[114:115], v[104:105]
	v_fma_f64 v[102:103], -v[102:103], v[116:117], v[114:115]
	v_div_fmas_f64 v[102:103], v[102:103], v[104:105], v[116:117]
	v_div_fixup_f64 v[102:103], v[102:103], v[112:113], v[110:111]
	v_fma_f64 v[104:105], v[110:111], v[102:103], v[112:113]
	v_div_scale_f64 v[110:111], s[20:21], v[104:105], v[104:105], 1.0
	v_div_scale_f64 v[116:117], vcc, 1.0, v[104:105], 1.0
	v_rcp_f64_e32 v[112:113], v[110:111]
	v_fma_f64 v[114:115], -v[110:111], v[112:113], 1.0
	v_fma_f64 v[112:113], v[112:113], v[114:115], v[112:113]
	v_fma_f64 v[114:115], -v[110:111], v[112:113], 1.0
	v_fma_f64 v[112:113], v[112:113], v[114:115], v[112:113]
	v_mul_f64 v[114:115], v[116:117], v[112:113]
	v_fma_f64 v[110:111], -v[110:111], v[114:115], v[116:117]
	v_div_fmas_f64 v[110:111], v[110:111], v[112:113], v[114:115]
	v_div_fixup_f64 v[112:113], v[110:111], v[104:105], 1.0
	v_mul_f64 v[110:111], v[102:103], v[112:113]
	v_xor_b32_e32 v113, 0x80000000, v113
.LBB52_492:
	s_andn2_saveexec_b64 s[8:9], s[8:9]
	s_cbranch_execz .LBB52_494
; %bb.493:
	v_div_scale_f64 v[102:103], s[20:21], v[110:111], v[110:111], v[112:113]
	v_rcp_f64_e32 v[104:105], v[102:103]
	v_fma_f64 v[114:115], -v[102:103], v[104:105], 1.0
	v_fma_f64 v[104:105], v[104:105], v[114:115], v[104:105]
	v_div_scale_f64 v[114:115], vcc, v[112:113], v[110:111], v[112:113]
	v_fma_f64 v[116:117], -v[102:103], v[104:105], 1.0
	v_fma_f64 v[104:105], v[104:105], v[116:117], v[104:105]
	v_mul_f64 v[116:117], v[114:115], v[104:105]
	v_fma_f64 v[102:103], -v[102:103], v[116:117], v[114:115]
	v_div_fmas_f64 v[102:103], v[102:103], v[104:105], v[116:117]
	v_div_fixup_f64 v[102:103], v[102:103], v[110:111], v[112:113]
	v_fma_f64 v[104:105], v[112:113], v[102:103], v[110:111]
	v_div_scale_f64 v[110:111], s[20:21], v[104:105], v[104:105], 1.0
	v_div_scale_f64 v[116:117], vcc, 1.0, v[104:105], 1.0
	v_rcp_f64_e32 v[112:113], v[110:111]
	v_fma_f64 v[114:115], -v[110:111], v[112:113], 1.0
	v_fma_f64 v[112:113], v[112:113], v[114:115], v[112:113]
	v_fma_f64 v[114:115], -v[110:111], v[112:113], 1.0
	v_fma_f64 v[112:113], v[112:113], v[114:115], v[112:113]
	v_mul_f64 v[114:115], v[116:117], v[112:113]
	v_fma_f64 v[110:111], -v[110:111], v[114:115], v[116:117]
	v_div_fmas_f64 v[110:111], v[110:111], v[112:113], v[114:115]
	v_div_fixup_f64 v[110:111], v[110:111], v[104:105], 1.0
	v_mul_f64 v[112:113], v[102:103], -v[110:111]
.LBB52_494:
	s_or_b64 exec, exec, s[8:9]
.LBB52_495:
	s_or_b64 exec, exec, s[0:1]
	v_cmp_ne_u32_e32 vcc, v120, v118
	s_and_saveexec_b64 s[0:1], vcc
	s_xor_b64 s[0:1], exec, s[0:1]
	s_cbranch_execz .LBB52_501
; %bb.496:
	v_cmp_eq_u32_e32 vcc, 23, v120
	s_and_saveexec_b64 s[8:9], vcc
	s_cbranch_execz .LBB52_500
; %bb.497:
	v_cmp_ne_u32_e32 vcc, 23, v118
	s_xor_b64 s[20:21], s[18:19], -1
	s_and_b64 s[24:25], s[20:21], vcc
	s_and_saveexec_b64 s[20:21], s[24:25]
	s_cbranch_execz .LBB52_499
; %bb.498:
	v_ashrrev_i32_e32 v119, 31, v118
	v_lshlrev_b64 v[102:103], 2, v[118:119]
	v_add_co_u32_e32 v102, vcc, v126, v102
	v_addc_co_u32_e32 v103, vcc, v127, v103, vcc
	global_load_dword v0, v[102:103], off
	global_load_dword v104, v[126:127], off offset:92
	s_waitcnt vmcnt(1)
	global_store_dword v[126:127], v0, off offset:92
	s_waitcnt vmcnt(1)
	global_store_dword v[102:103], v104, off
.LBB52_499:
	s_or_b64 exec, exec, s[20:21]
	v_mov_b32_e32 v120, v118
	v_mov_b32_e32 v0, v118
.LBB52_500:
	s_or_b64 exec, exec, s[8:9]
.LBB52_501:
	s_andn2_saveexec_b64 s[0:1], s[0:1]
	s_cbranch_execz .LBB52_503
; %bb.502:
	v_mov_b32_e32 v120, 23
	ds_write2_b64 v1, v[6:7], v[8:9] offset0:48 offset1:49
	ds_write2_b64 v1, v[2:3], v[4:5] offset0:50 offset1:51
	;; [unrolled: 1-line block ×3, first 2 shown]
.LBB52_503:
	s_or_b64 exec, exec, s[0:1]
	v_cmp_lt_i32_e32 vcc, 23, v120
	s_waitcnt vmcnt(0) lgkmcnt(0)
	s_barrier
	s_and_saveexec_b64 s[0:1], vcc
	s_cbranch_execz .LBB52_505
; %bb.504:
	v_mul_f64 v[102:103], v[110:111], v[12:13]
	v_mul_f64 v[12:13], v[112:113], v[12:13]
	v_fma_f64 v[102:103], v[112:113], v[10:11], v[102:103]
	v_fma_f64 v[10:11], v[110:111], v[10:11], -v[12:13]
	ds_read2_b64 v[110:113], v1 offset0:48 offset1:49
	s_waitcnt lgkmcnt(0)
	v_mul_f64 v[12:13], v[112:113], v[102:103]
	v_mul_f64 v[104:105], v[110:111], v[102:103]
	v_fma_f64 v[12:13], v[110:111], v[10:11], -v[12:13]
	v_fma_f64 v[104:105], v[112:113], v[10:11], v[104:105]
	ds_read2_b64 v[110:113], v1 offset0:50 offset1:51
	v_add_f64 v[6:7], v[6:7], -v[12:13]
	v_add_f64 v[8:9], v[8:9], -v[104:105]
	s_waitcnt lgkmcnt(0)
	v_mul_f64 v[12:13], v[112:113], v[102:103]
	v_mul_f64 v[104:105], v[110:111], v[102:103]
	v_fma_f64 v[12:13], v[110:111], v[10:11], -v[12:13]
	v_fma_f64 v[104:105], v[112:113], v[10:11], v[104:105]
	ds_read2_b64 v[110:113], v1 offset0:52 offset1:53
	v_add_f64 v[2:3], v[2:3], -v[12:13]
	v_add_f64 v[4:5], v[4:5], -v[104:105]
	s_waitcnt lgkmcnt(0)
	v_mul_f64 v[12:13], v[112:113], v[102:103]
	v_mul_f64 v[104:105], v[110:111], v[102:103]
	v_fma_f64 v[12:13], v[110:111], v[10:11], -v[12:13]
	v_fma_f64 v[104:105], v[112:113], v[10:11], v[104:105]
	v_add_f64 v[106:107], v[106:107], -v[12:13]
	v_add_f64 v[108:109], v[108:109], -v[104:105]
	v_mov_b32_e32 v12, v102
	v_mov_b32_e32 v13, v103
.LBB52_505:
	s_or_b64 exec, exec, s[0:1]
	v_lshl_add_u32 v102, v120, 4, v1
	s_barrier
	ds_write2_b64 v102, v[6:7], v[8:9] offset1:1
	s_waitcnt lgkmcnt(0)
	s_barrier
	ds_read2_b64 v[110:113], v1 offset0:48 offset1:49
	s_cmp_lt_i32 s22, 26
	v_mov_b32_e32 v118, 24
	s_cbranch_scc1 .LBB52_508
; %bb.506:
	v_add_u32_e32 v119, 0x190, v1
	s_mov_b32 s0, 25
	v_mov_b32_e32 v118, 24
.LBB52_507:                             ; =>This Inner Loop Header: Depth=1
	s_waitcnt lgkmcnt(0)
	v_cmp_gt_f64_e32 vcc, 0, v[110:111]
	v_xor_b32_e32 v102, 0x80000000, v111
	ds_read2_b64 v[114:117], v119 offset1:1
	v_xor_b32_e32 v104, 0x80000000, v113
	v_add_u32_e32 v119, 16, v119
	s_waitcnt lgkmcnt(0)
	v_xor_b32_e32 v124, 0x80000000, v117
	v_cndmask_b32_e32 v103, v111, v102, vcc
	v_cmp_gt_f64_e32 vcc, 0, v[112:113]
	v_mov_b32_e32 v102, v110
	v_cndmask_b32_e32 v105, v113, v104, vcc
	v_cmp_gt_f64_e32 vcc, 0, v[114:115]
	v_mov_b32_e32 v104, v112
	v_add_f64 v[102:103], v[102:103], v[104:105]
	v_xor_b32_e32 v104, 0x80000000, v115
	v_cndmask_b32_e32 v105, v115, v104, vcc
	v_cmp_gt_f64_e32 vcc, 0, v[116:117]
	v_mov_b32_e32 v104, v114
	v_cndmask_b32_e32 v125, v117, v124, vcc
	v_mov_b32_e32 v124, v116
	v_add_f64 v[104:105], v[104:105], v[124:125]
	v_cmp_lt_f64_e32 vcc, v[102:103], v[104:105]
	v_mov_b32_e32 v102, s0
	s_add_i32 s0, s0, 1
	s_cmp_lg_u32 s22, s0
	v_cndmask_b32_e32 v111, v111, v115, vcc
	v_cndmask_b32_e32 v110, v110, v114, vcc
	;; [unrolled: 1-line block ×5, first 2 shown]
	s_cbranch_scc1 .LBB52_507
.LBB52_508:
	s_waitcnt lgkmcnt(0)
	v_cmp_eq_f64_e32 vcc, 0, v[110:111]
	v_cmp_eq_f64_e64 s[0:1], 0, v[112:113]
	s_and_b64 s[0:1], vcc, s[0:1]
	s_and_saveexec_b64 s[8:9], s[0:1]
	s_xor_b64 s[0:1], exec, s[8:9]
; %bb.509:
	v_cmp_ne_u32_e32 vcc, 0, v123
	v_cndmask_b32_e32 v123, 25, v123, vcc
; %bb.510:
	s_andn2_saveexec_b64 s[0:1], s[0:1]
	s_cbranch_execz .LBB52_516
; %bb.511:
	v_cmp_ngt_f64_e64 s[8:9], |v[110:111]|, |v[112:113]|
	s_and_saveexec_b64 s[20:21], s[8:9]
	s_xor_b64 s[8:9], exec, s[20:21]
	s_cbranch_execz .LBB52_513
; %bb.512:
	v_div_scale_f64 v[102:103], s[20:21], v[112:113], v[112:113], v[110:111]
	v_rcp_f64_e32 v[104:105], v[102:103]
	v_fma_f64 v[114:115], -v[102:103], v[104:105], 1.0
	v_fma_f64 v[104:105], v[104:105], v[114:115], v[104:105]
	v_div_scale_f64 v[114:115], vcc, v[110:111], v[112:113], v[110:111]
	v_fma_f64 v[116:117], -v[102:103], v[104:105], 1.0
	v_fma_f64 v[104:105], v[104:105], v[116:117], v[104:105]
	v_mul_f64 v[116:117], v[114:115], v[104:105]
	v_fma_f64 v[102:103], -v[102:103], v[116:117], v[114:115]
	v_div_fmas_f64 v[102:103], v[102:103], v[104:105], v[116:117]
	v_div_fixup_f64 v[102:103], v[102:103], v[112:113], v[110:111]
	v_fma_f64 v[104:105], v[110:111], v[102:103], v[112:113]
	v_div_scale_f64 v[110:111], s[20:21], v[104:105], v[104:105], 1.0
	v_div_scale_f64 v[116:117], vcc, 1.0, v[104:105], 1.0
	v_rcp_f64_e32 v[112:113], v[110:111]
	v_fma_f64 v[114:115], -v[110:111], v[112:113], 1.0
	v_fma_f64 v[112:113], v[112:113], v[114:115], v[112:113]
	v_fma_f64 v[114:115], -v[110:111], v[112:113], 1.0
	v_fma_f64 v[112:113], v[112:113], v[114:115], v[112:113]
	v_mul_f64 v[114:115], v[116:117], v[112:113]
	v_fma_f64 v[110:111], -v[110:111], v[114:115], v[116:117]
	v_div_fmas_f64 v[110:111], v[110:111], v[112:113], v[114:115]
	v_div_fixup_f64 v[112:113], v[110:111], v[104:105], 1.0
	v_mul_f64 v[110:111], v[102:103], v[112:113]
	v_xor_b32_e32 v113, 0x80000000, v113
.LBB52_513:
	s_andn2_saveexec_b64 s[8:9], s[8:9]
	s_cbranch_execz .LBB52_515
; %bb.514:
	v_div_scale_f64 v[102:103], s[20:21], v[110:111], v[110:111], v[112:113]
	v_rcp_f64_e32 v[104:105], v[102:103]
	v_fma_f64 v[114:115], -v[102:103], v[104:105], 1.0
	v_fma_f64 v[104:105], v[104:105], v[114:115], v[104:105]
	v_div_scale_f64 v[114:115], vcc, v[112:113], v[110:111], v[112:113]
	v_fma_f64 v[116:117], -v[102:103], v[104:105], 1.0
	v_fma_f64 v[104:105], v[104:105], v[116:117], v[104:105]
	v_mul_f64 v[116:117], v[114:115], v[104:105]
	v_fma_f64 v[102:103], -v[102:103], v[116:117], v[114:115]
	v_div_fmas_f64 v[102:103], v[102:103], v[104:105], v[116:117]
	v_div_fixup_f64 v[102:103], v[102:103], v[110:111], v[112:113]
	v_fma_f64 v[104:105], v[112:113], v[102:103], v[110:111]
	v_div_scale_f64 v[110:111], s[20:21], v[104:105], v[104:105], 1.0
	v_div_scale_f64 v[116:117], vcc, 1.0, v[104:105], 1.0
	v_rcp_f64_e32 v[112:113], v[110:111]
	v_fma_f64 v[114:115], -v[110:111], v[112:113], 1.0
	v_fma_f64 v[112:113], v[112:113], v[114:115], v[112:113]
	v_fma_f64 v[114:115], -v[110:111], v[112:113], 1.0
	v_fma_f64 v[112:113], v[112:113], v[114:115], v[112:113]
	v_mul_f64 v[114:115], v[116:117], v[112:113]
	v_fma_f64 v[110:111], -v[110:111], v[114:115], v[116:117]
	v_div_fmas_f64 v[110:111], v[110:111], v[112:113], v[114:115]
	v_div_fixup_f64 v[110:111], v[110:111], v[104:105], 1.0
	v_mul_f64 v[112:113], v[102:103], -v[110:111]
.LBB52_515:
	s_or_b64 exec, exec, s[8:9]
.LBB52_516:
	s_or_b64 exec, exec, s[0:1]
	v_cmp_ne_u32_e32 vcc, v120, v118
	s_and_saveexec_b64 s[0:1], vcc
	s_xor_b64 s[0:1], exec, s[0:1]
	s_cbranch_execz .LBB52_522
; %bb.517:
	v_cmp_eq_u32_e32 vcc, 24, v120
	s_and_saveexec_b64 s[8:9], vcc
	s_cbranch_execz .LBB52_521
; %bb.518:
	v_cmp_ne_u32_e32 vcc, 24, v118
	s_xor_b64 s[20:21], s[18:19], -1
	s_and_b64 s[24:25], s[20:21], vcc
	s_and_saveexec_b64 s[20:21], s[24:25]
	s_cbranch_execz .LBB52_520
; %bb.519:
	v_ashrrev_i32_e32 v119, 31, v118
	v_lshlrev_b64 v[102:103], 2, v[118:119]
	v_add_co_u32_e32 v102, vcc, v126, v102
	v_addc_co_u32_e32 v103, vcc, v127, v103, vcc
	global_load_dword v0, v[102:103], off
	global_load_dword v104, v[126:127], off offset:96
	s_waitcnt vmcnt(1)
	global_store_dword v[126:127], v0, off offset:96
	s_waitcnt vmcnt(1)
	global_store_dword v[102:103], v104, off
.LBB52_520:
	s_or_b64 exec, exec, s[20:21]
	v_mov_b32_e32 v120, v118
	v_mov_b32_e32 v0, v118
.LBB52_521:
	s_or_b64 exec, exec, s[8:9]
.LBB52_522:
	s_andn2_saveexec_b64 s[0:1], s[0:1]
	s_cbranch_execz .LBB52_524
; %bb.523:
	v_mov_b32_e32 v120, 24
	ds_write2_b64 v1, v[2:3], v[4:5] offset0:50 offset1:51
	ds_write2_b64 v1, v[106:107], v[108:109] offset0:52 offset1:53
.LBB52_524:
	s_or_b64 exec, exec, s[0:1]
	v_cmp_lt_i32_e32 vcc, 24, v120
	s_waitcnt vmcnt(0) lgkmcnt(0)
	s_barrier
	s_and_saveexec_b64 s[0:1], vcc
	s_cbranch_execz .LBB52_526
; %bb.525:
	v_mul_f64 v[102:103], v[110:111], v[8:9]
	v_mul_f64 v[8:9], v[112:113], v[8:9]
	v_fma_f64 v[102:103], v[112:113], v[6:7], v[102:103]
	v_fma_f64 v[6:7], v[110:111], v[6:7], -v[8:9]
	ds_read2_b64 v[110:113], v1 offset0:50 offset1:51
	s_waitcnt lgkmcnt(0)
	v_mul_f64 v[8:9], v[112:113], v[102:103]
	v_mul_f64 v[104:105], v[110:111], v[102:103]
	v_fma_f64 v[8:9], v[110:111], v[6:7], -v[8:9]
	v_fma_f64 v[104:105], v[112:113], v[6:7], v[104:105]
	ds_read2_b64 v[110:113], v1 offset0:52 offset1:53
	v_add_f64 v[2:3], v[2:3], -v[8:9]
	v_add_f64 v[4:5], v[4:5], -v[104:105]
	s_waitcnt lgkmcnt(0)
	v_mul_f64 v[8:9], v[112:113], v[102:103]
	v_mul_f64 v[104:105], v[110:111], v[102:103]
	v_fma_f64 v[8:9], v[110:111], v[6:7], -v[8:9]
	v_fma_f64 v[104:105], v[112:113], v[6:7], v[104:105]
	v_add_f64 v[106:107], v[106:107], -v[8:9]
	v_add_f64 v[108:109], v[108:109], -v[104:105]
	v_mov_b32_e32 v8, v102
	v_mov_b32_e32 v9, v103
.LBB52_526:
	s_or_b64 exec, exec, s[0:1]
	v_lshl_add_u32 v102, v120, 4, v1
	s_barrier
	ds_write2_b64 v102, v[2:3], v[4:5] offset1:1
	s_waitcnt lgkmcnt(0)
	s_barrier
	ds_read2_b64 v[110:113], v1 offset0:50 offset1:51
	s_cmp_lt_i32 s22, 27
	v_mov_b32_e32 v118, 25
	s_cbranch_scc1 .LBB52_529
; %bb.527:
	v_add_u32_e32 v119, 0x1a0, v1
	s_mov_b32 s0, 26
	v_mov_b32_e32 v118, 25
.LBB52_528:                             ; =>This Inner Loop Header: Depth=1
	s_waitcnt lgkmcnt(0)
	v_cmp_gt_f64_e32 vcc, 0, v[110:111]
	v_xor_b32_e32 v102, 0x80000000, v111
	ds_read2_b64 v[114:117], v119 offset1:1
	v_xor_b32_e32 v104, 0x80000000, v113
	v_add_u32_e32 v119, 16, v119
	s_waitcnt lgkmcnt(0)
	v_xor_b32_e32 v124, 0x80000000, v117
	v_cndmask_b32_e32 v103, v111, v102, vcc
	v_cmp_gt_f64_e32 vcc, 0, v[112:113]
	v_mov_b32_e32 v102, v110
	v_cndmask_b32_e32 v105, v113, v104, vcc
	v_cmp_gt_f64_e32 vcc, 0, v[114:115]
	v_mov_b32_e32 v104, v112
	v_add_f64 v[102:103], v[102:103], v[104:105]
	v_xor_b32_e32 v104, 0x80000000, v115
	v_cndmask_b32_e32 v105, v115, v104, vcc
	v_cmp_gt_f64_e32 vcc, 0, v[116:117]
	v_mov_b32_e32 v104, v114
	v_cndmask_b32_e32 v125, v117, v124, vcc
	v_mov_b32_e32 v124, v116
	v_add_f64 v[104:105], v[104:105], v[124:125]
	v_cmp_lt_f64_e32 vcc, v[102:103], v[104:105]
	v_mov_b32_e32 v102, s0
	s_add_i32 s0, s0, 1
	s_cmp_lg_u32 s22, s0
	v_cndmask_b32_e32 v111, v111, v115, vcc
	v_cndmask_b32_e32 v110, v110, v114, vcc
	;; [unrolled: 1-line block ×5, first 2 shown]
	s_cbranch_scc1 .LBB52_528
.LBB52_529:
	s_waitcnt lgkmcnt(0)
	v_cmp_eq_f64_e32 vcc, 0, v[110:111]
	v_cmp_eq_f64_e64 s[0:1], 0, v[112:113]
	s_and_b64 s[0:1], vcc, s[0:1]
	s_and_saveexec_b64 s[8:9], s[0:1]
	s_xor_b64 s[0:1], exec, s[8:9]
; %bb.530:
	v_cmp_ne_u32_e32 vcc, 0, v123
	v_cndmask_b32_e32 v123, 26, v123, vcc
; %bb.531:
	s_andn2_saveexec_b64 s[0:1], s[0:1]
	s_cbranch_execz .LBB52_537
; %bb.532:
	v_cmp_ngt_f64_e64 s[8:9], |v[110:111]|, |v[112:113]|
	s_and_saveexec_b64 s[20:21], s[8:9]
	s_xor_b64 s[8:9], exec, s[20:21]
	s_cbranch_execz .LBB52_534
; %bb.533:
	v_div_scale_f64 v[102:103], s[20:21], v[112:113], v[112:113], v[110:111]
	v_rcp_f64_e32 v[104:105], v[102:103]
	v_fma_f64 v[114:115], -v[102:103], v[104:105], 1.0
	v_fma_f64 v[104:105], v[104:105], v[114:115], v[104:105]
	v_div_scale_f64 v[114:115], vcc, v[110:111], v[112:113], v[110:111]
	v_fma_f64 v[116:117], -v[102:103], v[104:105], 1.0
	v_fma_f64 v[104:105], v[104:105], v[116:117], v[104:105]
	v_mul_f64 v[116:117], v[114:115], v[104:105]
	v_fma_f64 v[102:103], -v[102:103], v[116:117], v[114:115]
	v_div_fmas_f64 v[102:103], v[102:103], v[104:105], v[116:117]
	v_div_fixup_f64 v[102:103], v[102:103], v[112:113], v[110:111]
	v_fma_f64 v[104:105], v[110:111], v[102:103], v[112:113]
	v_div_scale_f64 v[110:111], s[20:21], v[104:105], v[104:105], 1.0
	v_div_scale_f64 v[116:117], vcc, 1.0, v[104:105], 1.0
	v_rcp_f64_e32 v[112:113], v[110:111]
	v_fma_f64 v[114:115], -v[110:111], v[112:113], 1.0
	v_fma_f64 v[112:113], v[112:113], v[114:115], v[112:113]
	v_fma_f64 v[114:115], -v[110:111], v[112:113], 1.0
	v_fma_f64 v[112:113], v[112:113], v[114:115], v[112:113]
	v_mul_f64 v[114:115], v[116:117], v[112:113]
	v_fma_f64 v[110:111], -v[110:111], v[114:115], v[116:117]
	v_div_fmas_f64 v[110:111], v[110:111], v[112:113], v[114:115]
	v_div_fixup_f64 v[112:113], v[110:111], v[104:105], 1.0
	v_mul_f64 v[110:111], v[102:103], v[112:113]
	v_xor_b32_e32 v113, 0x80000000, v113
.LBB52_534:
	s_andn2_saveexec_b64 s[8:9], s[8:9]
	s_cbranch_execz .LBB52_536
; %bb.535:
	v_div_scale_f64 v[102:103], s[20:21], v[110:111], v[110:111], v[112:113]
	v_rcp_f64_e32 v[104:105], v[102:103]
	v_fma_f64 v[114:115], -v[102:103], v[104:105], 1.0
	v_fma_f64 v[104:105], v[104:105], v[114:115], v[104:105]
	v_div_scale_f64 v[114:115], vcc, v[112:113], v[110:111], v[112:113]
	v_fma_f64 v[116:117], -v[102:103], v[104:105], 1.0
	v_fma_f64 v[104:105], v[104:105], v[116:117], v[104:105]
	v_mul_f64 v[116:117], v[114:115], v[104:105]
	v_fma_f64 v[102:103], -v[102:103], v[116:117], v[114:115]
	v_div_fmas_f64 v[102:103], v[102:103], v[104:105], v[116:117]
	v_div_fixup_f64 v[102:103], v[102:103], v[110:111], v[112:113]
	v_fma_f64 v[104:105], v[112:113], v[102:103], v[110:111]
	v_div_scale_f64 v[110:111], s[20:21], v[104:105], v[104:105], 1.0
	v_div_scale_f64 v[116:117], vcc, 1.0, v[104:105], 1.0
	v_rcp_f64_e32 v[112:113], v[110:111]
	v_fma_f64 v[114:115], -v[110:111], v[112:113], 1.0
	v_fma_f64 v[112:113], v[112:113], v[114:115], v[112:113]
	v_fma_f64 v[114:115], -v[110:111], v[112:113], 1.0
	v_fma_f64 v[112:113], v[112:113], v[114:115], v[112:113]
	v_mul_f64 v[114:115], v[116:117], v[112:113]
	v_fma_f64 v[110:111], -v[110:111], v[114:115], v[116:117]
	v_div_fmas_f64 v[110:111], v[110:111], v[112:113], v[114:115]
	v_div_fixup_f64 v[110:111], v[110:111], v[104:105], 1.0
	v_mul_f64 v[112:113], v[102:103], -v[110:111]
.LBB52_536:
	s_or_b64 exec, exec, s[8:9]
.LBB52_537:
	s_or_b64 exec, exec, s[0:1]
	v_cmp_ne_u32_e32 vcc, v120, v118
	s_and_saveexec_b64 s[0:1], vcc
	s_xor_b64 s[0:1], exec, s[0:1]
	s_cbranch_execz .LBB52_543
; %bb.538:
	v_cmp_eq_u32_e32 vcc, 25, v120
	s_and_saveexec_b64 s[8:9], vcc
	s_cbranch_execz .LBB52_542
; %bb.539:
	v_cmp_ne_u32_e32 vcc, 25, v118
	s_xor_b64 s[20:21], s[18:19], -1
	s_and_b64 s[24:25], s[20:21], vcc
	s_and_saveexec_b64 s[20:21], s[24:25]
	s_cbranch_execz .LBB52_541
; %bb.540:
	v_ashrrev_i32_e32 v119, 31, v118
	v_lshlrev_b64 v[102:103], 2, v[118:119]
	v_add_co_u32_e32 v102, vcc, v126, v102
	v_addc_co_u32_e32 v103, vcc, v127, v103, vcc
	global_load_dword v0, v[102:103], off
	global_load_dword v104, v[126:127], off offset:100
	s_waitcnt vmcnt(1)
	global_store_dword v[126:127], v0, off offset:100
	s_waitcnt vmcnt(1)
	global_store_dword v[102:103], v104, off
.LBB52_541:
	s_or_b64 exec, exec, s[20:21]
	v_mov_b32_e32 v120, v118
	v_mov_b32_e32 v0, v118
.LBB52_542:
	s_or_b64 exec, exec, s[8:9]
.LBB52_543:
	s_andn2_saveexec_b64 s[0:1], s[0:1]
; %bb.544:
	v_mov_b32_e32 v120, 25
	ds_write2_b64 v1, v[106:107], v[108:109] offset0:52 offset1:53
; %bb.545:
	s_or_b64 exec, exec, s[0:1]
	v_cmp_lt_i32_e32 vcc, 25, v120
	s_waitcnt vmcnt(0) lgkmcnt(0)
	s_barrier
	s_and_saveexec_b64 s[0:1], vcc
	s_cbranch_execz .LBB52_547
; %bb.546:
	v_mul_f64 v[102:103], v[110:111], v[4:5]
	v_mul_f64 v[4:5], v[112:113], v[4:5]
	v_fma_f64 v[102:103], v[112:113], v[2:3], v[102:103]
	ds_read2_b64 v[112:115], v1 offset0:52 offset1:53
	v_fma_f64 v[2:3], v[110:111], v[2:3], -v[4:5]
	s_waitcnt lgkmcnt(0)
	v_mul_f64 v[4:5], v[114:115], v[102:103]
	v_mul_f64 v[104:105], v[112:113], v[102:103]
	v_fma_f64 v[4:5], v[112:113], v[2:3], -v[4:5]
	v_fma_f64 v[104:105], v[114:115], v[2:3], v[104:105]
	v_add_f64 v[106:107], v[106:107], -v[4:5]
	v_add_f64 v[108:109], v[108:109], -v[104:105]
	v_mov_b32_e32 v4, v102
	v_mov_b32_e32 v5, v103
.LBB52_547:
	s_or_b64 exec, exec, s[0:1]
	v_lshl_add_u32 v102, v120, 4, v1
	s_barrier
	ds_write2_b64 v102, v[106:107], v[108:109] offset1:1
	s_waitcnt lgkmcnt(0)
	s_barrier
	ds_read2_b64 v[110:113], v1 offset0:52 offset1:53
	s_cmp_lt_i32 s22, 28
	v_mov_b32_e32 v118, 26
	s_cbranch_scc1 .LBB52_550
; %bb.548:
	v_add_u32_e32 v1, 0x1b0, v1
	s_mov_b32 s0, 27
	v_mov_b32_e32 v118, 26
.LBB52_549:                             ; =>This Inner Loop Header: Depth=1
	s_waitcnt lgkmcnt(0)
	v_cmp_gt_f64_e32 vcc, 0, v[110:111]
	v_xor_b32_e32 v102, 0x80000000, v111
	ds_read2_b64 v[114:117], v1 offset1:1
	v_xor_b32_e32 v104, 0x80000000, v113
	v_add_u32_e32 v1, 16, v1
	s_waitcnt lgkmcnt(0)
	v_xor_b32_e32 v119, 0x80000000, v117
	v_cndmask_b32_e32 v103, v111, v102, vcc
	v_cmp_gt_f64_e32 vcc, 0, v[112:113]
	v_mov_b32_e32 v102, v110
	v_mov_b32_e32 v124, v116
	v_cndmask_b32_e32 v105, v113, v104, vcc
	v_cmp_gt_f64_e32 vcc, 0, v[114:115]
	v_mov_b32_e32 v104, v112
	v_add_f64 v[102:103], v[102:103], v[104:105]
	v_xor_b32_e32 v104, 0x80000000, v115
	v_cndmask_b32_e32 v105, v115, v104, vcc
	v_cmp_gt_f64_e32 vcc, 0, v[116:117]
	v_mov_b32_e32 v104, v114
	v_cndmask_b32_e32 v125, v117, v119, vcc
	v_add_f64 v[104:105], v[104:105], v[124:125]
	v_cmp_lt_f64_e32 vcc, v[102:103], v[104:105]
	v_mov_b32_e32 v102, s0
	s_add_i32 s0, s0, 1
	s_cmp_lg_u32 s22, s0
	v_cndmask_b32_e32 v111, v111, v115, vcc
	v_cndmask_b32_e32 v110, v110, v114, vcc
	;; [unrolled: 1-line block ×5, first 2 shown]
	s_cbranch_scc1 .LBB52_549
.LBB52_550:
	s_waitcnt lgkmcnt(0)
	v_cmp_eq_f64_e32 vcc, 0, v[110:111]
	v_cmp_eq_f64_e64 s[0:1], 0, v[112:113]
	s_and_b64 s[0:1], vcc, s[0:1]
	s_and_saveexec_b64 s[8:9], s[0:1]
	s_xor_b64 s[0:1], exec, s[8:9]
; %bb.551:
	v_cmp_ne_u32_e32 vcc, 0, v123
	v_cndmask_b32_e32 v123, 27, v123, vcc
; %bb.552:
	s_andn2_saveexec_b64 s[0:1], s[0:1]
	s_cbranch_execz .LBB52_558
; %bb.553:
	v_cmp_ngt_f64_e64 s[8:9], |v[110:111]|, |v[112:113]|
	s_and_saveexec_b64 s[20:21], s[8:9]
	s_xor_b64 s[8:9], exec, s[20:21]
	s_cbranch_execz .LBB52_555
; %bb.554:
	v_div_scale_f64 v[102:103], s[20:21], v[112:113], v[112:113], v[110:111]
	v_rcp_f64_e32 v[104:105], v[102:103]
	v_fma_f64 v[114:115], -v[102:103], v[104:105], 1.0
	v_fma_f64 v[104:105], v[104:105], v[114:115], v[104:105]
	v_div_scale_f64 v[114:115], vcc, v[110:111], v[112:113], v[110:111]
	v_fma_f64 v[116:117], -v[102:103], v[104:105], 1.0
	v_fma_f64 v[104:105], v[104:105], v[116:117], v[104:105]
	v_mul_f64 v[116:117], v[114:115], v[104:105]
	v_fma_f64 v[102:103], -v[102:103], v[116:117], v[114:115]
	v_div_fmas_f64 v[102:103], v[102:103], v[104:105], v[116:117]
	v_div_fixup_f64 v[102:103], v[102:103], v[112:113], v[110:111]
	v_fma_f64 v[104:105], v[110:111], v[102:103], v[112:113]
	v_div_scale_f64 v[110:111], s[20:21], v[104:105], v[104:105], 1.0
	v_div_scale_f64 v[116:117], vcc, 1.0, v[104:105], 1.0
	v_rcp_f64_e32 v[112:113], v[110:111]
	v_fma_f64 v[114:115], -v[110:111], v[112:113], 1.0
	v_fma_f64 v[112:113], v[112:113], v[114:115], v[112:113]
	v_fma_f64 v[114:115], -v[110:111], v[112:113], 1.0
	v_fma_f64 v[112:113], v[112:113], v[114:115], v[112:113]
	v_mul_f64 v[114:115], v[116:117], v[112:113]
	v_fma_f64 v[110:111], -v[110:111], v[114:115], v[116:117]
	v_div_fmas_f64 v[110:111], v[110:111], v[112:113], v[114:115]
	v_div_fixup_f64 v[112:113], v[110:111], v[104:105], 1.0
	v_mul_f64 v[110:111], v[102:103], v[112:113]
	v_xor_b32_e32 v113, 0x80000000, v113
.LBB52_555:
	s_andn2_saveexec_b64 s[8:9], s[8:9]
	s_cbranch_execz .LBB52_557
; %bb.556:
	v_div_scale_f64 v[102:103], s[20:21], v[110:111], v[110:111], v[112:113]
	v_rcp_f64_e32 v[104:105], v[102:103]
	v_fma_f64 v[114:115], -v[102:103], v[104:105], 1.0
	v_fma_f64 v[104:105], v[104:105], v[114:115], v[104:105]
	v_div_scale_f64 v[114:115], vcc, v[112:113], v[110:111], v[112:113]
	v_fma_f64 v[116:117], -v[102:103], v[104:105], 1.0
	v_fma_f64 v[104:105], v[104:105], v[116:117], v[104:105]
	v_mul_f64 v[116:117], v[114:115], v[104:105]
	v_fma_f64 v[102:103], -v[102:103], v[116:117], v[114:115]
	v_div_fmas_f64 v[102:103], v[102:103], v[104:105], v[116:117]
	v_div_fixup_f64 v[102:103], v[102:103], v[110:111], v[112:113]
	v_fma_f64 v[104:105], v[112:113], v[102:103], v[110:111]
	v_div_scale_f64 v[110:111], s[20:21], v[104:105], v[104:105], 1.0
	v_div_scale_f64 v[116:117], vcc, 1.0, v[104:105], 1.0
	v_rcp_f64_e32 v[112:113], v[110:111]
	v_fma_f64 v[114:115], -v[110:111], v[112:113], 1.0
	v_fma_f64 v[112:113], v[112:113], v[114:115], v[112:113]
	v_fma_f64 v[114:115], -v[110:111], v[112:113], 1.0
	v_fma_f64 v[112:113], v[112:113], v[114:115], v[112:113]
	v_mul_f64 v[114:115], v[116:117], v[112:113]
	v_fma_f64 v[110:111], -v[110:111], v[114:115], v[116:117]
	v_div_fmas_f64 v[110:111], v[110:111], v[112:113], v[114:115]
	v_div_fixup_f64 v[110:111], v[110:111], v[104:105], 1.0
	v_mul_f64 v[112:113], v[102:103], -v[110:111]
.LBB52_557:
	s_or_b64 exec, exec, s[8:9]
.LBB52_558:
	s_or_b64 exec, exec, s[0:1]
	v_cmp_ne_u32_e32 vcc, v120, v118
	v_mov_b32_e32 v119, 26
	s_and_saveexec_b64 s[0:1], vcc
	s_cbranch_execz .LBB52_564
; %bb.559:
	v_cmp_eq_u32_e32 vcc, 26, v120
	s_and_saveexec_b64 s[8:9], vcc
	s_cbranch_execz .LBB52_563
; %bb.560:
	v_cmp_ne_u32_e32 vcc, 26, v118
	s_xor_b64 s[18:19], s[18:19], -1
	s_and_b64 s[20:21], s[18:19], vcc
	s_and_saveexec_b64 s[18:19], s[20:21]
	s_cbranch_execz .LBB52_562
; %bb.561:
	v_ashrrev_i32_e32 v119, 31, v118
	v_lshlrev_b64 v[0:1], 2, v[118:119]
	v_add_co_u32_e32 v0, vcc, v126, v0
	v_addc_co_u32_e32 v1, vcc, v127, v1, vcc
	global_load_dword v102, v[0:1], off
	global_load_dword v103, v[126:127], off offset:104
	s_waitcnt vmcnt(1)
	global_store_dword v[126:127], v102, off offset:104
	s_waitcnt vmcnt(1)
	global_store_dword v[0:1], v103, off
.LBB52_562:
	s_or_b64 exec, exec, s[18:19]
	v_mov_b32_e32 v120, v118
	v_mov_b32_e32 v0, v118
.LBB52_563:
	s_or_b64 exec, exec, s[8:9]
	v_mov_b32_e32 v119, v120
.LBB52_564:
	s_or_b64 exec, exec, s[0:1]
	v_cmp_gt_i32_e32 vcc, 27, v119
	v_ashrrev_i32_e32 v120, 31, v119
	s_waitcnt vmcnt(0)
	s_barrier
	s_barrier
	s_and_saveexec_b64 s[0:1], vcc
	s_cbranch_execz .LBB52_566
; %bb.565:
	buffer_load_dword v102, off, s[28:31], 0 offset:24 ; 4-byte Folded Reload
	buffer_load_dword v103, off, s[28:31], 0 offset:28 ; 4-byte Folded Reload
	v_add3_u32 v0, v0, s17, 1
	s_waitcnt vmcnt(1)
	v_mul_lo_u32 v1, s15, v102
	s_waitcnt vmcnt(0)
	v_mul_lo_u32 v104, s14, v103
	v_mad_u64_u32 v[102:103], s[8:9], s14, v102, 0
	s_lshl_b64 s[8:9], s[12:13], 2
	v_add3_u32 v103, v103, v104, v1
	v_lshlrev_b64 v[102:103], 2, v[102:103]
	v_mov_b32_e32 v1, s11
	v_add_co_u32_e32 v102, vcc, s10, v102
	v_addc_co_u32_e32 v1, vcc, v1, v103, vcc
	v_mov_b32_e32 v103, s9
	v_add_co_u32_e32 v104, vcc, s8, v102
	v_addc_co_u32_e32 v1, vcc, v1, v103, vcc
	v_lshlrev_b64 v[102:103], 2, v[119:120]
	v_add_co_u32_e32 v102, vcc, v104, v102
	v_addc_co_u32_e32 v103, vcc, v1, v103, vcc
	global_store_dword v[102:103], v0, off
.LBB52_566:
	s_or_b64 exec, exec, s[0:1]
	v_cmp_eq_u32_e32 vcc, 0, v119
	s_and_saveexec_b64 s[8:9], vcc
	s_cbranch_execz .LBB52_569
; %bb.567:
	buffer_load_dword v0, off, s[28:31], 0 offset:24 ; 4-byte Folded Reload
	buffer_load_dword v1, off, s[28:31], 0 offset:28 ; 4-byte Folded Reload
	v_mov_b32_e32 v102, s5
	v_cmp_ne_u32_e64 s[0:1], 0, v123
	s_waitcnt vmcnt(0)
	v_lshlrev_b64 v[0:1], 2, v[0:1]
	v_add_co_u32_e32 v0, vcc, s4, v0
	v_addc_co_u32_e32 v1, vcc, v102, v1, vcc
	global_load_dword v102, v[0:1], off
	s_waitcnt vmcnt(0)
	v_cmp_eq_u32_e32 vcc, 0, v102
	s_and_b64 s[0:1], vcc, s[0:1]
	s_and_b64 exec, exec, s[0:1]
	s_cbranch_execz .LBB52_569
; %bb.568:
	v_add_u32_e32 v102, s17, v123
	global_store_dword v[0:1], v102, off
.LBB52_569:
	s_or_b64 exec, exec, s[8:9]
	buffer_load_dword v115, off, s[28:31], 0 offset:8 ; 4-byte Folded Reload
	buffer_load_dword v116, off, s[28:31], 0 offset:12 ; 4-byte Folded Reload
	;; [unrolled: 1-line block ×4, first 2 shown]
	v_mul_f64 v[0:1], v[110:111], v[108:109]
	v_mul_f64 v[102:103], v[112:113], v[108:109]
	v_lshlrev_b64 v[104:105], 4, v[119:120]
	v_mov_b32_e32 v114, s3
	v_fma_f64 v[0:1], v[112:113], v[106:107], v[0:1]
	v_fma_f64 v[102:103], v[110:111], v[106:107], -v[102:103]
	v_add_co_u32_e32 v110, vcc, v121, v104
	v_addc_co_u32_e32 v111, vcc, v122, v105, vcc
	v_cmp_lt_i32_e32 vcc, 26, v119
	v_cndmask_b32_e32 v105, v109, v1, vcc
	v_cndmask_b32_e32 v104, v108, v0, vcc
	;; [unrolled: 1-line block ×4, first 2 shown]
	v_add_co_u32_e32 v0, vcc, s2, v110
	v_addc_co_u32_e32 v1, vcc, v111, v114, vcc
	s_waitcnt vmcnt(0)
	global_store_dwordx4 v[110:111], v[115:118], off
	global_store_dwordx4 v[0:1], v[98:101], off
	v_add_u32_e32 v0, s16, v119
	v_ashrrev_i32_e32 v1, 31, v0
	v_lshlrev_b64 v[98:99], 4, v[0:1]
	v_add_u32_e32 v0, s6, v0
	v_add_co_u32_e32 v98, vcc, v121, v98
	v_addc_co_u32_e32 v99, vcc, v122, v99, vcc
	v_ashrrev_i32_e32 v1, 31, v0
	global_store_dwordx4 v[98:99], v[94:97], off
	s_nop 0
	v_lshlrev_b64 v[94:95], 4, v[0:1]
	v_add_u32_e32 v0, s6, v0
	v_add_co_u32_e32 v94, vcc, v121, v94
	v_addc_co_u32_e32 v95, vcc, v122, v95, vcc
	v_ashrrev_i32_e32 v1, 31, v0
	global_store_dwordx4 v[94:95], v[90:93], off
	s_nop 0
	;; [unrolled: 7-line block ×23, first 2 shown]
	v_lshlrev_b64 v[6:7], 4, v[0:1]
	v_add_u32_e32 v0, s6, v0
	v_ashrrev_i32_e32 v1, 31, v0
	v_add_co_u32_e32 v6, vcc, v121, v6
	v_lshlrev_b64 v[0:1], 4, v[0:1]
	v_addc_co_u32_e32 v7, vcc, v122, v7, vcc
	v_add_co_u32_e32 v0, vcc, v121, v0
	v_addc_co_u32_e32 v1, vcc, v122, v1, vcc
	global_store_dwordx4 v[6:7], v[2:5], off
	global_store_dwordx4 v[0:1], v[102:105], off
.LBB52_570:
	s_endpgm
	.section	.rodata,"a",@progbits
	.p2align	6, 0x0
	.amdhsa_kernel _ZN9rocsolver6v33100L18getf2_small_kernelILi27E19rocblas_complex_numIdEiiPS3_EEvT1_T3_lS5_lPS5_llPT2_S5_S5_S7_l
		.amdhsa_group_segment_fixed_size 0
		.amdhsa_private_segment_fixed_size 52
		.amdhsa_kernarg_size 352
		.amdhsa_user_sgpr_count 6
		.amdhsa_user_sgpr_private_segment_buffer 1
		.amdhsa_user_sgpr_dispatch_ptr 0
		.amdhsa_user_sgpr_queue_ptr 0
		.amdhsa_user_sgpr_kernarg_segment_ptr 1
		.amdhsa_user_sgpr_dispatch_id 0
		.amdhsa_user_sgpr_flat_scratch_init 0
		.amdhsa_user_sgpr_private_segment_size 0
		.amdhsa_uses_dynamic_stack 0
		.amdhsa_system_sgpr_private_segment_wavefront_offset 1
		.amdhsa_system_sgpr_workgroup_id_x 1
		.amdhsa_system_sgpr_workgroup_id_y 1
		.amdhsa_system_sgpr_workgroup_id_z 0
		.amdhsa_system_sgpr_workgroup_info 0
		.amdhsa_system_vgpr_workitem_id 1
		.amdhsa_next_free_vgpr 128
		.amdhsa_next_free_sgpr 32
		.amdhsa_reserve_vcc 1
		.amdhsa_reserve_flat_scratch 0
		.amdhsa_float_round_mode_32 0
		.amdhsa_float_round_mode_16_64 0
		.amdhsa_float_denorm_mode_32 3
		.amdhsa_float_denorm_mode_16_64 3
		.amdhsa_dx10_clamp 1
		.amdhsa_ieee_mode 1
		.amdhsa_fp16_overflow 0
		.amdhsa_exception_fp_ieee_invalid_op 0
		.amdhsa_exception_fp_denorm_src 0
		.amdhsa_exception_fp_ieee_div_zero 0
		.amdhsa_exception_fp_ieee_overflow 0
		.amdhsa_exception_fp_ieee_underflow 0
		.amdhsa_exception_fp_ieee_inexact 0
		.amdhsa_exception_int_div_zero 0
	.end_amdhsa_kernel
	.section	.text._ZN9rocsolver6v33100L18getf2_small_kernelILi27E19rocblas_complex_numIdEiiPS3_EEvT1_T3_lS5_lPS5_llPT2_S5_S5_S7_l,"axG",@progbits,_ZN9rocsolver6v33100L18getf2_small_kernelILi27E19rocblas_complex_numIdEiiPS3_EEvT1_T3_lS5_lPS5_llPT2_S5_S5_S7_l,comdat
.Lfunc_end52:
	.size	_ZN9rocsolver6v33100L18getf2_small_kernelILi27E19rocblas_complex_numIdEiiPS3_EEvT1_T3_lS5_lPS5_llPT2_S5_S5_S7_l, .Lfunc_end52-_ZN9rocsolver6v33100L18getf2_small_kernelILi27E19rocblas_complex_numIdEiiPS3_EEvT1_T3_lS5_lPS5_llPT2_S5_S5_S7_l
                                        ; -- End function
	.set _ZN9rocsolver6v33100L18getf2_small_kernelILi27E19rocblas_complex_numIdEiiPS3_EEvT1_T3_lS5_lPS5_llPT2_S5_S5_S7_l.num_vgpr, 128
	.set _ZN9rocsolver6v33100L18getf2_small_kernelILi27E19rocblas_complex_numIdEiiPS3_EEvT1_T3_lS5_lPS5_llPT2_S5_S5_S7_l.num_agpr, 0
	.set _ZN9rocsolver6v33100L18getf2_small_kernelILi27E19rocblas_complex_numIdEiiPS3_EEvT1_T3_lS5_lPS5_llPT2_S5_S5_S7_l.numbered_sgpr, 32
	.set _ZN9rocsolver6v33100L18getf2_small_kernelILi27E19rocblas_complex_numIdEiiPS3_EEvT1_T3_lS5_lPS5_llPT2_S5_S5_S7_l.num_named_barrier, 0
	.set _ZN9rocsolver6v33100L18getf2_small_kernelILi27E19rocblas_complex_numIdEiiPS3_EEvT1_T3_lS5_lPS5_llPT2_S5_S5_S7_l.private_seg_size, 52
	.set _ZN9rocsolver6v33100L18getf2_small_kernelILi27E19rocblas_complex_numIdEiiPS3_EEvT1_T3_lS5_lPS5_llPT2_S5_S5_S7_l.uses_vcc, 1
	.set _ZN9rocsolver6v33100L18getf2_small_kernelILi27E19rocblas_complex_numIdEiiPS3_EEvT1_T3_lS5_lPS5_llPT2_S5_S5_S7_l.uses_flat_scratch, 0
	.set _ZN9rocsolver6v33100L18getf2_small_kernelILi27E19rocblas_complex_numIdEiiPS3_EEvT1_T3_lS5_lPS5_llPT2_S5_S5_S7_l.has_dyn_sized_stack, 0
	.set _ZN9rocsolver6v33100L18getf2_small_kernelILi27E19rocblas_complex_numIdEiiPS3_EEvT1_T3_lS5_lPS5_llPT2_S5_S5_S7_l.has_recursion, 0
	.set _ZN9rocsolver6v33100L18getf2_small_kernelILi27E19rocblas_complex_numIdEiiPS3_EEvT1_T3_lS5_lPS5_llPT2_S5_S5_S7_l.has_indirect_call, 0
	.section	.AMDGPU.csdata,"",@progbits
; Kernel info:
; codeLenInByte = 50324
; TotalNumSgprs: 36
; NumVgprs: 128
; ScratchSize: 52
; MemoryBound: 0
; FloatMode: 240
; IeeeMode: 1
; LDSByteSize: 0 bytes/workgroup (compile time only)
; SGPRBlocks: 4
; VGPRBlocks: 31
; NumSGPRsForWavesPerEU: 36
; NumVGPRsForWavesPerEU: 128
; Occupancy: 2
; WaveLimiterHint : 0
; COMPUTE_PGM_RSRC2:SCRATCH_EN: 1
; COMPUTE_PGM_RSRC2:USER_SGPR: 6
; COMPUTE_PGM_RSRC2:TRAP_HANDLER: 0
; COMPUTE_PGM_RSRC2:TGID_X_EN: 1
; COMPUTE_PGM_RSRC2:TGID_Y_EN: 1
; COMPUTE_PGM_RSRC2:TGID_Z_EN: 0
; COMPUTE_PGM_RSRC2:TIDIG_COMP_CNT: 1
	.section	.text._ZN9rocsolver6v33100L23getf2_npvt_small_kernelILi27E19rocblas_complex_numIdEiiPS3_EEvT1_T3_lS5_lPT2_S5_S5_,"axG",@progbits,_ZN9rocsolver6v33100L23getf2_npvt_small_kernelILi27E19rocblas_complex_numIdEiiPS3_EEvT1_T3_lS5_lPT2_S5_S5_,comdat
	.globl	_ZN9rocsolver6v33100L23getf2_npvt_small_kernelILi27E19rocblas_complex_numIdEiiPS3_EEvT1_T3_lS5_lPT2_S5_S5_ ; -- Begin function _ZN9rocsolver6v33100L23getf2_npvt_small_kernelILi27E19rocblas_complex_numIdEiiPS3_EEvT1_T3_lS5_lPT2_S5_S5_
	.p2align	8
	.type	_ZN9rocsolver6v33100L23getf2_npvt_small_kernelILi27E19rocblas_complex_numIdEiiPS3_EEvT1_T3_lS5_lPT2_S5_S5_,@function
_ZN9rocsolver6v33100L23getf2_npvt_small_kernelILi27E19rocblas_complex_numIdEiiPS3_EEvT1_T3_lS5_lPT2_S5_S5_: ; @_ZN9rocsolver6v33100L23getf2_npvt_small_kernelILi27E19rocblas_complex_numIdEiiPS3_EEvT1_T3_lS5_lPT2_S5_S5_
; %bb.0:
	s_mov_b64 s[22:23], s[2:3]
	s_mov_b64 s[20:21], s[0:1]
	s_load_dword s0, s[4:5], 0x44
	s_load_dwordx2 s[12:13], s[4:5], 0x30
	s_add_u32 s20, s20, s8
	s_addc_u32 s21, s21, 0
	s_waitcnt lgkmcnt(0)
	s_lshr_b32 s2, s0, 16
	s_mul_i32 s7, s7, s2
	v_add_u32_e32 v2, s7, v1
	v_cmp_gt_i32_e32 vcc, s12, v2
	s_and_saveexec_b64 s[0:1], vcc
	s_cbranch_execz .LBB53_246
; %bb.1:
	s_load_dwordx4 s[8:11], s[4:5], 0x20
	s_load_dwordx4 s[16:19], s[4:5], 0x8
	v_ashrrev_i32_e32 v3, 31, v2
	s_mulk_i32 s2, 0x1b0
	s_waitcnt lgkmcnt(0)
	v_mul_lo_u32 v4, s9, v2
	v_mul_lo_u32 v5, s8, v3
	buffer_store_dword v2, off, s[20:23], 0 offset:608 ; 4-byte Folded Spill
	s_nop 0
	buffer_store_dword v3, off, s[20:23], 0 offset:612 ; 4-byte Folded Spill
	v_mov_b32_e32 v6, s17
	v_mad_u64_u32 v[2:3], s[0:1], s8, v2, 0
	s_load_dword s0, s[4:5], 0x18
	s_lshl_b64 s[4:5], s[18:19], 4
	v_add3_u32 v3, v3, v5, v4
	v_lshlrev_b64 v[2:3], 4, v[2:3]
	v_mov_b32_e32 v4, s5
	v_add_co_u32_e32 v2, vcc, s16, v2
	v_addc_co_u32_e32 v3, vcc, v6, v3, vcc
	v_add_co_u32_e32 v2, vcc, s4, v2
	s_waitcnt lgkmcnt(0)
	s_add_i32 s1, s0, s0
	v_addc_co_u32_e32 v3, vcc, v3, v4, vcc
	v_add_u32_e32 v4, s1, v0
	v_ashrrev_i32_e32 v5, 31, v4
	v_lshlrev_b64 v[5:6], 4, v[4:5]
	v_add_u32_e32 v4, s0, v4
	v_add_co_u32_e32 v33, vcc, v2, v5
	v_ashrrev_i32_e32 v5, 31, v4
	v_addc_co_u32_e32 v34, vcc, v3, v6, vcc
	v_lshlrev_b64 v[5:6], 4, v[4:5]
	v_add_u32_e32 v4, s0, v4
	v_add_co_u32_e32 v35, vcc, v2, v5
	v_ashrrev_i32_e32 v5, 31, v4
	v_addc_co_u32_e32 v36, vcc, v3, v6, vcc
	;; [unrolled: 5-line block ×23, first 2 shown]
	v_lshlrev_b64 v[5:6], 4, v[4:5]
	v_add_u32_e32 v4, s0, v4
	v_add_co_u32_e32 v99, vcc, v2, v5
	v_ashrrev_i32_e32 v5, 31, v4
	v_lshlrev_b64 v[4:5], 4, v[4:5]
	v_addc_co_u32_e32 v100, vcc, v3, v6, vcc
	v_add_co_u32_e32 v101, vcc, v2, v4
	v_addc_co_u32_e32 v102, vcc, v3, v5, vcc
	v_lshlrev_b32_e32 v4, 4, v0
	v_add_co_u32_e32 v4, vcc, v2, v4
	s_ashr_i32 s1, s0, 31
	v_addc_co_u32_e32 v5, vcc, 0, v3, vcc
	s_lshl_b64 s[0:1], s[0:1], 4
	v_mov_b32_e32 v2, s1
	v_add_co_u32_e32 v31, vcc, s0, v4
	v_addc_co_u32_e32 v32, vcc, v5, v2, vcc
	buffer_store_dword v4, off, s[20:23], 0 offset:272 ; 4-byte Folded Spill
	s_nop 0
	buffer_store_dword v5, off, s[20:23], 0 offset:276 ; 4-byte Folded Spill
	s_movk_i32 s0, 0x1b0
	s_add_i32 s1, s2, 0
	v_mad_u32_u24 v125, v1, s0, 0
	v_lshl_add_u32 v127, v1, 4, s1
	v_cmp_ne_u32_e64 s[2:3], 0, v0
	v_cmp_eq_u32_e64 s[0:1], 0, v0
	global_load_dwordx4 v[1:4], v[4:5], off
	s_waitcnt vmcnt(0)
	buffer_store_dword v1, off, s[20:23], 0 offset:80 ; 4-byte Folded Spill
	s_nop 0
	buffer_store_dword v2, off, s[20:23], 0 offset:84 ; 4-byte Folded Spill
	buffer_store_dword v3, off, s[20:23], 0 offset:88 ; 4-byte Folded Spill
	buffer_store_dword v4, off, s[20:23], 0 offset:92 ; 4-byte Folded Spill
	buffer_store_dword v31, off, s[20:23], 0 offset:280 ; 4-byte Folded Spill
	s_nop 0
	buffer_store_dword v32, off, s[20:23], 0 offset:284 ; 4-byte Folded Spill
	global_load_dwordx4 v[1:4], v[31:32], off
	s_waitcnt vmcnt(0)
	buffer_store_dword v1, off, s[20:23], 0 offset:64 ; 4-byte Folded Spill
	s_nop 0
	buffer_store_dword v2, off, s[20:23], 0 offset:68 ; 4-byte Folded Spill
	buffer_store_dword v3, off, s[20:23], 0 offset:72 ; 4-byte Folded Spill
	buffer_store_dword v4, off, s[20:23], 0 offset:76 ; 4-byte Folded Spill
	buffer_store_dword v33, off, s[20:23], 0 offset:328 ; 4-byte Folded Spill
	s_nop 0
	buffer_store_dword v34, off, s[20:23], 0 offset:332 ; 4-byte Folded Spill
	;; [unrolled: 10-line block ×5, first 2 shown]
	global_load_dwordx4 v[1:4], v[39:40], off
	s_nop 0
	buffer_store_dword v7, off, s[20:23], 0 offset:112 ; 4-byte Folded Spill
	s_nop 0
	buffer_store_dword v8, off, s[20:23], 0 offset:116 ; 4-byte Folded Spill
	global_load_dwordx4 v[5:8], v[7:8], off
	s_waitcnt vmcnt(0)
	buffer_store_dword v5, off, s[20:23], 0 ; 4-byte Folded Spill
	s_nop 0
	buffer_store_dword v6, off, s[20:23], 0 offset:4 ; 4-byte Folded Spill
	buffer_store_dword v7, off, s[20:23], 0 offset:8 ; 4-byte Folded Spill
	;; [unrolled: 1-line block ×3, first 2 shown]
	global_load_dwordx4 v[73:76], v[85:86], off
	s_nop 0
	buffer_store_dword v9, off, s[20:23], 0 offset:120 ; 4-byte Folded Spill
	s_nop 0
	buffer_store_dword v10, off, s[20:23], 0 offset:124 ; 4-byte Folded Spill
	global_load_dwordx4 v[69:72], v[9:10], off
	s_nop 0
	buffer_store_dword v11, off, s[20:23], 0 offset:128 ; 4-byte Folded Spill
	s_nop 0
	buffer_store_dword v12, off, s[20:23], 0 offset:132 ; 4-byte Folded Spill
	global_load_dwordx4 v[65:68], v[11:12], off
	s_nop 0
	buffer_store_dword v13, off, s[20:23], 0 offset:136 ; 4-byte Folded Spill
	s_nop 0
	buffer_store_dword v14, off, s[20:23], 0 offset:140 ; 4-byte Folded Spill
	global_load_dwordx4 v[61:64], v[13:14], off
	s_nop 0
	buffer_store_dword v15, off, s[20:23], 0 offset:144 ; 4-byte Folded Spill
	s_nop 0
	buffer_store_dword v16, off, s[20:23], 0 offset:148 ; 4-byte Folded Spill
	global_load_dwordx4 v[57:60], v[15:16], off
	s_nop 0
	buffer_store_dword v17, off, s[20:23], 0 offset:152 ; 4-byte Folded Spill
	s_nop 0
	buffer_store_dword v18, off, s[20:23], 0 offset:156 ; 4-byte Folded Spill
	global_load_dwordx4 v[53:56], v[17:18], off
	s_nop 0
	buffer_store_dword v19, off, s[20:23], 0 offset:160 ; 4-byte Folded Spill
	s_nop 0
	buffer_store_dword v20, off, s[20:23], 0 offset:164 ; 4-byte Folded Spill
	global_load_dwordx4 v[49:52], v[19:20], off
	s_nop 0
	buffer_store_dword v21, off, s[20:23], 0 offset:168 ; 4-byte Folded Spill
	s_nop 0
	buffer_store_dword v22, off, s[20:23], 0 offset:172 ; 4-byte Folded Spill
	global_load_dwordx4 v[45:48], v[21:22], off
	s_nop 0
	buffer_store_dword v23, off, s[20:23], 0 offset:176 ; 4-byte Folded Spill
	s_nop 0
	buffer_store_dword v24, off, s[20:23], 0 offset:180 ; 4-byte Folded Spill
	global_load_dwordx4 v[41:44], v[23:24], off
	s_nop 0
	buffer_store_dword v25, off, s[20:23], 0 offset:184 ; 4-byte Folded Spill
	s_nop 0
	buffer_store_dword v26, off, s[20:23], 0 offset:188 ; 4-byte Folded Spill
	global_load_dwordx4 v[37:40], v[25:26], off
	s_nop 0
	buffer_store_dword v27, off, s[20:23], 0 offset:192 ; 4-byte Folded Spill
	s_nop 0
	buffer_store_dword v28, off, s[20:23], 0 offset:196 ; 4-byte Folded Spill
	global_load_dwordx4 v[33:36], v[27:28], off
	s_nop 0
	buffer_store_dword v29, off, s[20:23], 0 offset:200 ; 4-byte Folded Spill
	s_nop 0
	buffer_store_dword v30, off, s[20:23], 0 offset:204 ; 4-byte Folded Spill
	global_load_dwordx4 v[29:32], v[29:30], off
	s_nop 0
	buffer_store_dword v81, off, s[20:23], 0 offset:208 ; 4-byte Folded Spill
	s_nop 0
	buffer_store_dword v82, off, s[20:23], 0 offset:212 ; 4-byte Folded Spill
	global_load_dwordx4 v[25:28], v[81:82], off
	s_nop 0
	buffer_store_dword v83, off, s[20:23], 0 offset:216 ; 4-byte Folded Spill
	s_nop 0
	buffer_store_dword v84, off, s[20:23], 0 offset:220 ; 4-byte Folded Spill
	global_load_dwordx4 v[21:24], v[83:84], off
	s_nop 0
	buffer_store_dword v87, off, s[20:23], 0 offset:224 ; 4-byte Folded Spill
	s_nop 0
	buffer_store_dword v88, off, s[20:23], 0 offset:228 ; 4-byte Folded Spill
	global_load_dwordx4 v[17:20], v[87:88], off
	s_nop 0
	buffer_store_dword v93, off, s[20:23], 0 offset:232 ; 4-byte Folded Spill
	s_nop 0
	buffer_store_dword v94, off, s[20:23], 0 offset:236 ; 4-byte Folded Spill
	global_load_dwordx4 v[13:16], v[93:94], off
	s_nop 0
	buffer_store_dword v95, off, s[20:23], 0 offset:240 ; 4-byte Folded Spill
	s_nop 0
	buffer_store_dword v96, off, s[20:23], 0 offset:244 ; 4-byte Folded Spill
	global_load_dwordx4 v[9:12], v[95:96], off
	s_nop 0
	buffer_store_dword v97, off, s[20:23], 0 offset:248 ; 4-byte Folded Spill
	s_nop 0
	buffer_store_dword v98, off, s[20:23], 0 offset:252 ; 4-byte Folded Spill
	v_mov_b32_e32 v96, v4
	v_mov_b32_e32 v95, v3
	;; [unrolled: 1-line block ×4, first 2 shown]
	global_load_dwordx4 v[5:8], v[97:98], off
	s_nop 0
	buffer_store_dword v99, off, s[20:23], 0 offset:256 ; 4-byte Folded Spill
	s_nop 0
	buffer_store_dword v100, off, s[20:23], 0 offset:260 ; 4-byte Folded Spill
	global_load_dwordx4 v[1:4], v[99:100], off
	s_nop 0
	buffer_store_dword v101, off, s[20:23], 0 offset:264 ; 4-byte Folded Spill
	s_nop 0
	buffer_store_dword v102, off, s[20:23], 0 offset:268 ; 4-byte Folded Spill
	global_load_dwordx4 v[81:84], v[101:102], off
	s_and_saveexec_b64 s[6:7], s[0:1]
	s_cbranch_execz .LBB53_8
; %bb.2:
	buffer_load_dword v77, off, s[20:23], 0 offset:80 ; 4-byte Folded Reload
	buffer_load_dword v78, off, s[20:23], 0 offset:84 ; 4-byte Folded Reload
	;; [unrolled: 1-line block ×4, first 2 shown]
	s_waitcnt vmcnt(0)
	ds_write2_b64 v127, v[77:78], v[79:80] offset1:1
	buffer_load_dword v77, off, s[20:23], 0 offset:64 ; 4-byte Folded Reload
	buffer_load_dword v78, off, s[20:23], 0 offset:68 ; 4-byte Folded Reload
	buffer_load_dword v79, off, s[20:23], 0 offset:72 ; 4-byte Folded Reload
	buffer_load_dword v80, off, s[20:23], 0 offset:76 ; 4-byte Folded Reload
	s_waitcnt vmcnt(0)
	ds_write2_b64 v125, v[77:78], v[79:80] offset0:2 offset1:3
	buffer_load_dword v77, off, s[20:23], 0 offset:48 ; 4-byte Folded Reload
	buffer_load_dword v78, off, s[20:23], 0 offset:52 ; 4-byte Folded Reload
	buffer_load_dword v79, off, s[20:23], 0 offset:56 ; 4-byte Folded Reload
	buffer_load_dword v80, off, s[20:23], 0 offset:60 ; 4-byte Folded Reload
	s_waitcnt vmcnt(0)
	ds_write2_b64 v125, v[77:78], v[79:80] offset0:4 offset1:5
	;; [unrolled: 6-line block ×4, first 2 shown]
	ds_write2_b64 v125, v[93:94], v[95:96] offset0:10 offset1:11
	buffer_load_dword v77, off, s[20:23], 0 ; 4-byte Folded Reload
	buffer_load_dword v78, off, s[20:23], 0 offset:4 ; 4-byte Folded Reload
	buffer_load_dword v79, off, s[20:23], 0 offset:8 ; 4-byte Folded Reload
	;; [unrolled: 1-line block ×3, first 2 shown]
	s_waitcnt vmcnt(0)
	ds_write2_b64 v125, v[77:78], v[79:80] offset0:12 offset1:13
	ds_write2_b64 v125, v[73:74], v[75:76] offset0:14 offset1:15
	;; [unrolled: 1-line block ×21, first 2 shown]
	ds_read2_b64 v[97:100], v127 offset1:1
	s_waitcnt lgkmcnt(0)
	v_cmp_neq_f64_e32 vcc, 0, v[97:98]
	v_cmp_neq_f64_e64 s[4:5], 0, v[99:100]
	s_or_b64 s[4:5], vcc, s[4:5]
	s_and_b64 exec, exec, s[4:5]
	s_cbranch_execz .LBB53_8
; %bb.3:
	v_cmp_ngt_f64_e64 s[4:5], |v[97:98]|, |v[99:100]|
                                        ; implicit-def: $vgpr101_vgpr102
	s_and_saveexec_b64 s[8:9], s[4:5]
	s_xor_b64 s[4:5], exec, s[8:9]
                                        ; implicit-def: $vgpr103_vgpr104
	s_cbranch_execz .LBB53_5
; %bb.4:
	v_div_scale_f64 v[101:102], s[8:9], v[99:100], v[99:100], v[97:98]
	v_rcp_f64_e32 v[103:104], v[101:102]
	v_fma_f64 v[105:106], -v[101:102], v[103:104], 1.0
	v_fma_f64 v[103:104], v[103:104], v[105:106], v[103:104]
	v_div_scale_f64 v[105:106], vcc, v[97:98], v[99:100], v[97:98]
	v_fma_f64 v[107:108], -v[101:102], v[103:104], 1.0
	v_fma_f64 v[103:104], v[103:104], v[107:108], v[103:104]
	v_mul_f64 v[107:108], v[105:106], v[103:104]
	v_fma_f64 v[101:102], -v[101:102], v[107:108], v[105:106]
	v_div_fmas_f64 v[101:102], v[101:102], v[103:104], v[107:108]
	v_div_fixup_f64 v[101:102], v[101:102], v[99:100], v[97:98]
	v_fma_f64 v[97:98], v[97:98], v[101:102], v[99:100]
	v_div_scale_f64 v[99:100], s[8:9], v[97:98], v[97:98], 1.0
	v_div_scale_f64 v[107:108], vcc, 1.0, v[97:98], 1.0
	v_rcp_f64_e32 v[103:104], v[99:100]
	v_fma_f64 v[105:106], -v[99:100], v[103:104], 1.0
	v_fma_f64 v[103:104], v[103:104], v[105:106], v[103:104]
	v_fma_f64 v[105:106], -v[99:100], v[103:104], 1.0
	v_fma_f64 v[103:104], v[103:104], v[105:106], v[103:104]
	v_mul_f64 v[105:106], v[107:108], v[103:104]
	v_fma_f64 v[99:100], -v[99:100], v[105:106], v[107:108]
	v_div_fmas_f64 v[99:100], v[99:100], v[103:104], v[105:106]
	v_div_fixup_f64 v[103:104], v[99:100], v[97:98], 1.0
                                        ; implicit-def: $vgpr97_vgpr98
	v_mul_f64 v[101:102], v[101:102], v[103:104]
	v_xor_b32_e32 v104, 0x80000000, v104
.LBB53_5:
	s_andn2_saveexec_b64 s[4:5], s[4:5]
	s_cbranch_execz .LBB53_7
; %bb.6:
	v_div_scale_f64 v[101:102], s[8:9], v[97:98], v[97:98], v[99:100]
	v_rcp_f64_e32 v[103:104], v[101:102]
	v_fma_f64 v[105:106], -v[101:102], v[103:104], 1.0
	v_fma_f64 v[103:104], v[103:104], v[105:106], v[103:104]
	v_div_scale_f64 v[105:106], vcc, v[99:100], v[97:98], v[99:100]
	v_fma_f64 v[107:108], -v[101:102], v[103:104], 1.0
	v_fma_f64 v[103:104], v[103:104], v[107:108], v[103:104]
	v_mul_f64 v[107:108], v[105:106], v[103:104]
	v_fma_f64 v[101:102], -v[101:102], v[107:108], v[105:106]
	v_div_fmas_f64 v[101:102], v[101:102], v[103:104], v[107:108]
	v_div_fixup_f64 v[103:104], v[101:102], v[97:98], v[99:100]
	v_fma_f64 v[97:98], v[99:100], v[103:104], v[97:98]
	v_div_scale_f64 v[99:100], s[8:9], v[97:98], v[97:98], 1.0
	v_div_scale_f64 v[107:108], vcc, 1.0, v[97:98], 1.0
	v_rcp_f64_e32 v[101:102], v[99:100]
	v_fma_f64 v[105:106], -v[99:100], v[101:102], 1.0
	v_fma_f64 v[101:102], v[101:102], v[105:106], v[101:102]
	v_fma_f64 v[105:106], -v[99:100], v[101:102], 1.0
	v_fma_f64 v[101:102], v[101:102], v[105:106], v[101:102]
	v_mul_f64 v[105:106], v[107:108], v[101:102]
	v_fma_f64 v[99:100], -v[99:100], v[105:106], v[107:108]
	v_div_fmas_f64 v[99:100], v[99:100], v[101:102], v[105:106]
	v_div_fixup_f64 v[101:102], v[99:100], v[97:98], 1.0
	v_mul_f64 v[103:104], v[103:104], -v[101:102]
.LBB53_7:
	s_or_b64 exec, exec, s[4:5]
	ds_write2_b64 v127, v[101:102], v[103:104] offset1:1
.LBB53_8:
	s_or_b64 exec, exec, s[6:7]
	s_waitcnt vmcnt(0) lgkmcnt(0)
	s_barrier
	ds_read2_b64 v[77:80], v127 offset1:1
	s_waitcnt lgkmcnt(0)
	buffer_store_dword v77, off, s[20:23], 0 offset:288 ; 4-byte Folded Spill
	s_nop 0
	buffer_store_dword v78, off, s[20:23], 0 offset:292 ; 4-byte Folded Spill
	buffer_store_dword v79, off, s[20:23], 0 offset:296 ; 4-byte Folded Spill
	;; [unrolled: 1-line block ×3, first 2 shown]
	s_and_saveexec_b64 s[4:5], s[2:3]
	s_cbranch_execz .LBB53_10
; %bb.9:
	buffer_load_dword v103, off, s[20:23], 0 offset:80 ; 4-byte Folded Reload
	buffer_load_dword v104, off, s[20:23], 0 offset:84 ; 4-byte Folded Reload
	;; [unrolled: 1-line block ×8, first 2 shown]
	s_waitcnt vmcnt(2)
	v_mul_f64 v[99:100], v[77:78], v[105:106]
	s_waitcnt vmcnt(0)
	v_mul_f64 v[97:98], v[79:80], v[105:106]
	v_fma_f64 v[105:106], v[79:80], v[103:104], v[99:100]
	ds_read2_b64 v[99:102], v125 offset0:2 offset1:3
	v_fma_f64 v[97:98], v[77:78], v[103:104], -v[97:98]
	buffer_load_dword v77, off, s[20:23], 0 offset:64 ; 4-byte Folded Reload
	buffer_load_dword v78, off, s[20:23], 0 offset:68 ; 4-byte Folded Reload
	buffer_load_dword v79, off, s[20:23], 0 offset:72 ; 4-byte Folded Reload
	buffer_load_dword v80, off, s[20:23], 0 offset:76 ; 4-byte Folded Reload
	s_waitcnt lgkmcnt(0)
	v_mul_f64 v[103:104], v[101:102], v[105:106]
	v_fma_f64 v[103:104], v[99:100], v[97:98], -v[103:104]
	v_mul_f64 v[99:100], v[99:100], v[105:106]
	v_fma_f64 v[99:100], v[101:102], v[97:98], v[99:100]
	s_waitcnt vmcnt(2)
	v_add_f64 v[77:78], v[77:78], -v[103:104]
	s_waitcnt vmcnt(0)
	v_add_f64 v[79:80], v[79:80], -v[99:100]
	buffer_store_dword v77, off, s[20:23], 0 offset:64 ; 4-byte Folded Spill
	s_nop 0
	buffer_store_dword v78, off, s[20:23], 0 offset:68 ; 4-byte Folded Spill
	buffer_store_dword v79, off, s[20:23], 0 offset:72 ; 4-byte Folded Spill
	buffer_store_dword v80, off, s[20:23], 0 offset:76 ; 4-byte Folded Spill
	ds_read2_b64 v[99:102], v125 offset0:4 offset1:5
	buffer_load_dword v77, off, s[20:23], 0 offset:48 ; 4-byte Folded Reload
	buffer_load_dword v78, off, s[20:23], 0 offset:52 ; 4-byte Folded Reload
	buffer_load_dword v79, off, s[20:23], 0 offset:56 ; 4-byte Folded Reload
	buffer_load_dword v80, off, s[20:23], 0 offset:60 ; 4-byte Folded Reload
	s_waitcnt lgkmcnt(0)
	v_mul_f64 v[103:104], v[101:102], v[105:106]
	v_fma_f64 v[103:104], v[99:100], v[97:98], -v[103:104]
	v_mul_f64 v[99:100], v[99:100], v[105:106]
	v_fma_f64 v[99:100], v[101:102], v[97:98], v[99:100]
	s_waitcnt vmcnt(2)
	v_add_f64 v[77:78], v[77:78], -v[103:104]
	s_waitcnt vmcnt(0)
	v_add_f64 v[79:80], v[79:80], -v[99:100]
	buffer_store_dword v77, off, s[20:23], 0 offset:48 ; 4-byte Folded Spill
	s_nop 0
	buffer_store_dword v78, off, s[20:23], 0 offset:52 ; 4-byte Folded Spill
	buffer_store_dword v79, off, s[20:23], 0 offset:56 ; 4-byte Folded Spill
	buffer_store_dword v80, off, s[20:23], 0 offset:60 ; 4-byte Folded Spill
	ds_read2_b64 v[99:102], v125 offset0:6 offset1:7
	;; [unrolled: 19-line block ×4, first 2 shown]
	s_waitcnt lgkmcnt(0)
	v_mul_f64 v[103:104], v[101:102], v[105:106]
	v_fma_f64 v[103:104], v[99:100], v[97:98], -v[103:104]
	v_mul_f64 v[99:100], v[99:100], v[105:106]
	v_add_f64 v[93:94], v[93:94], -v[103:104]
	v_fma_f64 v[99:100], v[101:102], v[97:98], v[99:100]
	v_add_f64 v[95:96], v[95:96], -v[99:100]
	ds_read2_b64 v[99:102], v125 offset0:12 offset1:13
	buffer_load_dword v77, off, s[20:23], 0 ; 4-byte Folded Reload
	buffer_load_dword v78, off, s[20:23], 0 offset:4 ; 4-byte Folded Reload
	buffer_load_dword v79, off, s[20:23], 0 offset:8 ; 4-byte Folded Reload
	;; [unrolled: 1-line block ×3, first 2 shown]
	s_waitcnt lgkmcnt(0)
	v_mul_f64 v[103:104], v[101:102], v[105:106]
	v_fma_f64 v[103:104], v[99:100], v[97:98], -v[103:104]
	v_mul_f64 v[99:100], v[99:100], v[105:106]
	v_fma_f64 v[99:100], v[101:102], v[97:98], v[99:100]
	s_waitcnt vmcnt(2)
	v_add_f64 v[77:78], v[77:78], -v[103:104]
	s_waitcnt vmcnt(0)
	v_add_f64 v[79:80], v[79:80], -v[99:100]
	buffer_store_dword v77, off, s[20:23], 0 ; 4-byte Folded Spill
	s_nop 0
	buffer_store_dword v78, off, s[20:23], 0 offset:4 ; 4-byte Folded Spill
	buffer_store_dword v79, off, s[20:23], 0 offset:8 ; 4-byte Folded Spill
	;; [unrolled: 1-line block ×3, first 2 shown]
	ds_read2_b64 v[99:102], v125 offset0:14 offset1:15
	s_waitcnt lgkmcnt(0)
	v_mul_f64 v[103:104], v[101:102], v[105:106]
	v_fma_f64 v[103:104], v[99:100], v[97:98], -v[103:104]
	v_mul_f64 v[99:100], v[99:100], v[105:106]
	v_add_f64 v[73:74], v[73:74], -v[103:104]
	v_fma_f64 v[99:100], v[101:102], v[97:98], v[99:100]
	v_add_f64 v[75:76], v[75:76], -v[99:100]
	ds_read2_b64 v[99:102], v125 offset0:16 offset1:17
	s_waitcnt lgkmcnt(0)
	v_mul_f64 v[103:104], v[101:102], v[105:106]
	v_fma_f64 v[103:104], v[99:100], v[97:98], -v[103:104]
	v_mul_f64 v[99:100], v[99:100], v[105:106]
	v_add_f64 v[69:70], v[69:70], -v[103:104]
	v_fma_f64 v[99:100], v[101:102], v[97:98], v[99:100]
	v_add_f64 v[71:72], v[71:72], -v[99:100]
	;; [unrolled: 8-line block ×19, first 2 shown]
	ds_read2_b64 v[99:102], v125 offset0:52 offset1:53
	s_waitcnt lgkmcnt(0)
	v_mul_f64 v[103:104], v[101:102], v[105:106]
	v_fma_f64 v[103:104], v[99:100], v[97:98], -v[103:104]
	v_mul_f64 v[99:100], v[99:100], v[105:106]
	v_add_f64 v[81:82], v[81:82], -v[103:104]
	v_fma_f64 v[99:100], v[101:102], v[97:98], v[99:100]
	v_mov_b32_e32 v104, v98
	v_mov_b32_e32 v103, v97
	buffer_store_dword v103, off, s[20:23], 0 offset:80 ; 4-byte Folded Spill
	s_nop 0
	buffer_store_dword v104, off, s[20:23], 0 offset:84 ; 4-byte Folded Spill
	buffer_store_dword v105, off, s[20:23], 0 offset:88 ; 4-byte Folded Spill
	;; [unrolled: 1-line block ×3, first 2 shown]
	v_add_f64 v[83:84], v[83:84], -v[99:100]
.LBB53_10:
	s_or_b64 exec, exec, s[4:5]
	v_cmp_eq_u32_e32 vcc, 1, v0
	s_waitcnt vmcnt(0)
	s_barrier
	s_and_saveexec_b64 s[4:5], vcc
	s_cbranch_execz .LBB53_17
; %bb.11:
	buffer_load_dword v77, off, s[20:23], 0 offset:64 ; 4-byte Folded Reload
	buffer_load_dword v78, off, s[20:23], 0 offset:68 ; 4-byte Folded Reload
	;; [unrolled: 1-line block ×4, first 2 shown]
	s_waitcnt vmcnt(0)
	ds_write2_b64 v127, v[77:78], v[79:80] offset1:1
	buffer_load_dword v77, off, s[20:23], 0 offset:48 ; 4-byte Folded Reload
	buffer_load_dword v78, off, s[20:23], 0 offset:52 ; 4-byte Folded Reload
	buffer_load_dword v79, off, s[20:23], 0 offset:56 ; 4-byte Folded Reload
	buffer_load_dword v80, off, s[20:23], 0 offset:60 ; 4-byte Folded Reload
	s_waitcnt vmcnt(0)
	ds_write2_b64 v125, v[77:78], v[79:80] offset0:4 offset1:5
	buffer_load_dword v77, off, s[20:23], 0 offset:32 ; 4-byte Folded Reload
	buffer_load_dword v78, off, s[20:23], 0 offset:36 ; 4-byte Folded Reload
	buffer_load_dword v79, off, s[20:23], 0 offset:40 ; 4-byte Folded Reload
	buffer_load_dword v80, off, s[20:23], 0 offset:44 ; 4-byte Folded Reload
	s_waitcnt vmcnt(0)
	ds_write2_b64 v125, v[77:78], v[79:80] offset0:6 offset1:7
	buffer_load_dword v77, off, s[20:23], 0 offset:16 ; 4-byte Folded Reload
	buffer_load_dword v78, off, s[20:23], 0 offset:20 ; 4-byte Folded Reload
	buffer_load_dword v79, off, s[20:23], 0 offset:24 ; 4-byte Folded Reload
	buffer_load_dword v80, off, s[20:23], 0 offset:28 ; 4-byte Folded Reload
	s_waitcnt vmcnt(0)
	ds_write2_b64 v125, v[77:78], v[79:80] offset0:8 offset1:9
	ds_write2_b64 v125, v[93:94], v[95:96] offset0:10 offset1:11
	buffer_load_dword v77, off, s[20:23], 0 ; 4-byte Folded Reload
	buffer_load_dword v78, off, s[20:23], 0 offset:4 ; 4-byte Folded Reload
	buffer_load_dword v79, off, s[20:23], 0 offset:8 ; 4-byte Folded Reload
	;; [unrolled: 1-line block ×3, first 2 shown]
	s_waitcnt vmcnt(0)
	ds_write2_b64 v125, v[77:78], v[79:80] offset0:12 offset1:13
	ds_write2_b64 v125, v[73:74], v[75:76] offset0:14 offset1:15
	;; [unrolled: 1-line block ×21, first 2 shown]
	ds_read2_b64 v[97:100], v127 offset1:1
	s_waitcnt lgkmcnt(0)
	v_cmp_neq_f64_e32 vcc, 0, v[97:98]
	v_cmp_neq_f64_e64 s[2:3], 0, v[99:100]
	s_or_b64 s[2:3], vcc, s[2:3]
	s_and_b64 exec, exec, s[2:3]
	s_cbranch_execz .LBB53_17
; %bb.12:
	v_cmp_ngt_f64_e64 s[2:3], |v[97:98]|, |v[99:100]|
                                        ; implicit-def: $vgpr101_vgpr102
	s_and_saveexec_b64 s[6:7], s[2:3]
	s_xor_b64 s[2:3], exec, s[6:7]
                                        ; implicit-def: $vgpr103_vgpr104
	s_cbranch_execz .LBB53_14
; %bb.13:
	v_div_scale_f64 v[101:102], s[6:7], v[99:100], v[99:100], v[97:98]
	v_rcp_f64_e32 v[103:104], v[101:102]
	v_fma_f64 v[105:106], -v[101:102], v[103:104], 1.0
	v_fma_f64 v[103:104], v[103:104], v[105:106], v[103:104]
	v_div_scale_f64 v[105:106], vcc, v[97:98], v[99:100], v[97:98]
	v_fma_f64 v[107:108], -v[101:102], v[103:104], 1.0
	v_fma_f64 v[103:104], v[103:104], v[107:108], v[103:104]
	v_mul_f64 v[107:108], v[105:106], v[103:104]
	v_fma_f64 v[101:102], -v[101:102], v[107:108], v[105:106]
	v_div_fmas_f64 v[101:102], v[101:102], v[103:104], v[107:108]
	v_div_fixup_f64 v[101:102], v[101:102], v[99:100], v[97:98]
	v_fma_f64 v[97:98], v[97:98], v[101:102], v[99:100]
	v_div_scale_f64 v[99:100], s[6:7], v[97:98], v[97:98], 1.0
	v_div_scale_f64 v[107:108], vcc, 1.0, v[97:98], 1.0
	v_rcp_f64_e32 v[103:104], v[99:100]
	v_fma_f64 v[105:106], -v[99:100], v[103:104], 1.0
	v_fma_f64 v[103:104], v[103:104], v[105:106], v[103:104]
	v_fma_f64 v[105:106], -v[99:100], v[103:104], 1.0
	v_fma_f64 v[103:104], v[103:104], v[105:106], v[103:104]
	v_mul_f64 v[105:106], v[107:108], v[103:104]
	v_fma_f64 v[99:100], -v[99:100], v[105:106], v[107:108]
	v_div_fmas_f64 v[99:100], v[99:100], v[103:104], v[105:106]
	v_div_fixup_f64 v[103:104], v[99:100], v[97:98], 1.0
                                        ; implicit-def: $vgpr97_vgpr98
	v_mul_f64 v[101:102], v[101:102], v[103:104]
	v_xor_b32_e32 v104, 0x80000000, v104
.LBB53_14:
	s_andn2_saveexec_b64 s[2:3], s[2:3]
	s_cbranch_execz .LBB53_16
; %bb.15:
	v_div_scale_f64 v[101:102], s[6:7], v[97:98], v[97:98], v[99:100]
	v_rcp_f64_e32 v[103:104], v[101:102]
	v_fma_f64 v[105:106], -v[101:102], v[103:104], 1.0
	v_fma_f64 v[103:104], v[103:104], v[105:106], v[103:104]
	v_div_scale_f64 v[105:106], vcc, v[99:100], v[97:98], v[99:100]
	v_fma_f64 v[107:108], -v[101:102], v[103:104], 1.0
	v_fma_f64 v[103:104], v[103:104], v[107:108], v[103:104]
	v_mul_f64 v[107:108], v[105:106], v[103:104]
	v_fma_f64 v[101:102], -v[101:102], v[107:108], v[105:106]
	v_div_fmas_f64 v[101:102], v[101:102], v[103:104], v[107:108]
	v_div_fixup_f64 v[103:104], v[101:102], v[97:98], v[99:100]
	v_fma_f64 v[97:98], v[99:100], v[103:104], v[97:98]
	v_div_scale_f64 v[99:100], s[6:7], v[97:98], v[97:98], 1.0
	v_div_scale_f64 v[107:108], vcc, 1.0, v[97:98], 1.0
	v_rcp_f64_e32 v[101:102], v[99:100]
	v_fma_f64 v[105:106], -v[99:100], v[101:102], 1.0
	v_fma_f64 v[101:102], v[101:102], v[105:106], v[101:102]
	v_fma_f64 v[105:106], -v[99:100], v[101:102], 1.0
	v_fma_f64 v[101:102], v[101:102], v[105:106], v[101:102]
	v_mul_f64 v[105:106], v[107:108], v[101:102]
	v_fma_f64 v[99:100], -v[99:100], v[105:106], v[107:108]
	v_div_fmas_f64 v[99:100], v[99:100], v[101:102], v[105:106]
	v_div_fixup_f64 v[101:102], v[99:100], v[97:98], 1.0
	v_mul_f64 v[103:104], v[103:104], -v[101:102]
.LBB53_16:
	s_or_b64 exec, exec, s[2:3]
	ds_write2_b64 v127, v[101:102], v[103:104] offset1:1
.LBB53_17:
	s_or_b64 exec, exec, s[4:5]
	s_waitcnt lgkmcnt(0)
	s_barrier
	ds_read2_b64 v[77:80], v127 offset1:1
	v_cmp_lt_u32_e32 vcc, 1, v0
	s_waitcnt lgkmcnt(0)
	buffer_store_dword v77, off, s[20:23], 0 offset:304 ; 4-byte Folded Spill
	s_nop 0
	buffer_store_dword v78, off, s[20:23], 0 offset:308 ; 4-byte Folded Spill
	buffer_store_dword v79, off, s[20:23], 0 offset:312 ; 4-byte Folded Spill
	;; [unrolled: 1-line block ×3, first 2 shown]
	s_and_saveexec_b64 s[2:3], vcc
	s_cbranch_execz .LBB53_19
; %bb.18:
	buffer_load_dword v103, off, s[20:23], 0 offset:64 ; 4-byte Folded Reload
	buffer_load_dword v104, off, s[20:23], 0 offset:68 ; 4-byte Folded Reload
	;; [unrolled: 1-line block ×8, first 2 shown]
	s_waitcnt vmcnt(2)
	v_mul_f64 v[99:100], v[77:78], v[105:106]
	s_waitcnt vmcnt(0)
	v_mul_f64 v[97:98], v[79:80], v[105:106]
	v_fma_f64 v[105:106], v[79:80], v[103:104], v[99:100]
	ds_read2_b64 v[99:102], v125 offset0:4 offset1:5
	v_fma_f64 v[97:98], v[77:78], v[103:104], -v[97:98]
	buffer_load_dword v77, off, s[20:23], 0 offset:48 ; 4-byte Folded Reload
	buffer_load_dword v78, off, s[20:23], 0 offset:52 ; 4-byte Folded Reload
	buffer_load_dword v79, off, s[20:23], 0 offset:56 ; 4-byte Folded Reload
	buffer_load_dword v80, off, s[20:23], 0 offset:60 ; 4-byte Folded Reload
	s_waitcnt lgkmcnt(0)
	v_mul_f64 v[103:104], v[101:102], v[105:106]
	v_fma_f64 v[103:104], v[99:100], v[97:98], -v[103:104]
	v_mul_f64 v[99:100], v[99:100], v[105:106]
	v_fma_f64 v[99:100], v[101:102], v[97:98], v[99:100]
	s_waitcnt vmcnt(2)
	v_add_f64 v[77:78], v[77:78], -v[103:104]
	s_waitcnt vmcnt(0)
	v_add_f64 v[79:80], v[79:80], -v[99:100]
	buffer_store_dword v77, off, s[20:23], 0 offset:48 ; 4-byte Folded Spill
	s_nop 0
	buffer_store_dword v78, off, s[20:23], 0 offset:52 ; 4-byte Folded Spill
	buffer_store_dword v79, off, s[20:23], 0 offset:56 ; 4-byte Folded Spill
	buffer_store_dword v80, off, s[20:23], 0 offset:60 ; 4-byte Folded Spill
	ds_read2_b64 v[99:102], v125 offset0:6 offset1:7
	buffer_load_dword v77, off, s[20:23], 0 offset:32 ; 4-byte Folded Reload
	buffer_load_dword v78, off, s[20:23], 0 offset:36 ; 4-byte Folded Reload
	buffer_load_dword v79, off, s[20:23], 0 offset:40 ; 4-byte Folded Reload
	buffer_load_dword v80, off, s[20:23], 0 offset:44 ; 4-byte Folded Reload
	s_waitcnt lgkmcnt(0)
	v_mul_f64 v[103:104], v[101:102], v[105:106]
	v_fma_f64 v[103:104], v[99:100], v[97:98], -v[103:104]
	v_mul_f64 v[99:100], v[99:100], v[105:106]
	v_fma_f64 v[99:100], v[101:102], v[97:98], v[99:100]
	s_waitcnt vmcnt(2)
	v_add_f64 v[77:78], v[77:78], -v[103:104]
	s_waitcnt vmcnt(0)
	v_add_f64 v[79:80], v[79:80], -v[99:100]
	buffer_store_dword v77, off, s[20:23], 0 offset:32 ; 4-byte Folded Spill
	s_nop 0
	buffer_store_dword v78, off, s[20:23], 0 offset:36 ; 4-byte Folded Spill
	buffer_store_dword v79, off, s[20:23], 0 offset:40 ; 4-byte Folded Spill
	buffer_store_dword v80, off, s[20:23], 0 offset:44 ; 4-byte Folded Spill
	ds_read2_b64 v[99:102], v125 offset0:8 offset1:9
	;; [unrolled: 19-line block ×3, first 2 shown]
	s_waitcnt lgkmcnt(0)
	v_mul_f64 v[103:104], v[101:102], v[105:106]
	v_fma_f64 v[103:104], v[99:100], v[97:98], -v[103:104]
	v_mul_f64 v[99:100], v[99:100], v[105:106]
	v_add_f64 v[93:94], v[93:94], -v[103:104]
	v_fma_f64 v[99:100], v[101:102], v[97:98], v[99:100]
	v_add_f64 v[95:96], v[95:96], -v[99:100]
	ds_read2_b64 v[99:102], v125 offset0:12 offset1:13
	buffer_load_dword v77, off, s[20:23], 0 ; 4-byte Folded Reload
	buffer_load_dword v78, off, s[20:23], 0 offset:4 ; 4-byte Folded Reload
	buffer_load_dword v79, off, s[20:23], 0 offset:8 ; 4-byte Folded Reload
	;; [unrolled: 1-line block ×3, first 2 shown]
	s_waitcnt lgkmcnt(0)
	v_mul_f64 v[103:104], v[101:102], v[105:106]
	v_fma_f64 v[103:104], v[99:100], v[97:98], -v[103:104]
	v_mul_f64 v[99:100], v[99:100], v[105:106]
	v_fma_f64 v[99:100], v[101:102], v[97:98], v[99:100]
	s_waitcnt vmcnt(2)
	v_add_f64 v[77:78], v[77:78], -v[103:104]
	s_waitcnt vmcnt(0)
	v_add_f64 v[79:80], v[79:80], -v[99:100]
	buffer_store_dword v77, off, s[20:23], 0 ; 4-byte Folded Spill
	s_nop 0
	buffer_store_dword v78, off, s[20:23], 0 offset:4 ; 4-byte Folded Spill
	buffer_store_dword v79, off, s[20:23], 0 offset:8 ; 4-byte Folded Spill
	;; [unrolled: 1-line block ×3, first 2 shown]
	ds_read2_b64 v[99:102], v125 offset0:14 offset1:15
	s_waitcnt lgkmcnt(0)
	v_mul_f64 v[103:104], v[101:102], v[105:106]
	v_fma_f64 v[103:104], v[99:100], v[97:98], -v[103:104]
	v_mul_f64 v[99:100], v[99:100], v[105:106]
	v_add_f64 v[73:74], v[73:74], -v[103:104]
	v_fma_f64 v[99:100], v[101:102], v[97:98], v[99:100]
	v_add_f64 v[75:76], v[75:76], -v[99:100]
	ds_read2_b64 v[99:102], v125 offset0:16 offset1:17
	s_waitcnt lgkmcnt(0)
	v_mul_f64 v[103:104], v[101:102], v[105:106]
	v_fma_f64 v[103:104], v[99:100], v[97:98], -v[103:104]
	v_mul_f64 v[99:100], v[99:100], v[105:106]
	v_add_f64 v[69:70], v[69:70], -v[103:104]
	v_fma_f64 v[99:100], v[101:102], v[97:98], v[99:100]
	v_add_f64 v[71:72], v[71:72], -v[99:100]
	;; [unrolled: 8-line block ×19, first 2 shown]
	ds_read2_b64 v[99:102], v125 offset0:52 offset1:53
	s_waitcnt lgkmcnt(0)
	v_mul_f64 v[103:104], v[101:102], v[105:106]
	v_fma_f64 v[103:104], v[99:100], v[97:98], -v[103:104]
	v_mul_f64 v[99:100], v[99:100], v[105:106]
	v_add_f64 v[81:82], v[81:82], -v[103:104]
	v_fma_f64 v[99:100], v[101:102], v[97:98], v[99:100]
	v_mov_b32_e32 v104, v98
	v_mov_b32_e32 v103, v97
	buffer_store_dword v103, off, s[20:23], 0 offset:64 ; 4-byte Folded Spill
	s_nop 0
	buffer_store_dword v104, off, s[20:23], 0 offset:68 ; 4-byte Folded Spill
	buffer_store_dword v105, off, s[20:23], 0 offset:72 ; 4-byte Folded Spill
	;; [unrolled: 1-line block ×3, first 2 shown]
	v_add_f64 v[83:84], v[83:84], -v[99:100]
.LBB53_19:
	s_or_b64 exec, exec, s[2:3]
	v_cmp_eq_u32_e32 vcc, 2, v0
	s_waitcnt vmcnt(0)
	s_barrier
	s_and_saveexec_b64 s[4:5], vcc
	s_cbranch_execz .LBB53_26
; %bb.20:
	buffer_load_dword v77, off, s[20:23], 0 offset:48 ; 4-byte Folded Reload
	buffer_load_dword v78, off, s[20:23], 0 offset:52 ; 4-byte Folded Reload
	buffer_load_dword v79, off, s[20:23], 0 offset:56 ; 4-byte Folded Reload
	buffer_load_dword v80, off, s[20:23], 0 offset:60 ; 4-byte Folded Reload
	s_waitcnt vmcnt(0)
	ds_write2_b64 v127, v[77:78], v[79:80] offset1:1
	buffer_load_dword v77, off, s[20:23], 0 offset:32 ; 4-byte Folded Reload
	buffer_load_dword v78, off, s[20:23], 0 offset:36 ; 4-byte Folded Reload
	;; [unrolled: 1-line block ×4, first 2 shown]
	s_waitcnt vmcnt(0)
	ds_write2_b64 v125, v[77:78], v[79:80] offset0:6 offset1:7
	buffer_load_dword v77, off, s[20:23], 0 offset:16 ; 4-byte Folded Reload
	buffer_load_dword v78, off, s[20:23], 0 offset:20 ; 4-byte Folded Reload
	buffer_load_dword v79, off, s[20:23], 0 offset:24 ; 4-byte Folded Reload
	buffer_load_dword v80, off, s[20:23], 0 offset:28 ; 4-byte Folded Reload
	s_waitcnt vmcnt(0)
	ds_write2_b64 v125, v[77:78], v[79:80] offset0:8 offset1:9
	ds_write2_b64 v125, v[93:94], v[95:96] offset0:10 offset1:11
	buffer_load_dword v77, off, s[20:23], 0 ; 4-byte Folded Reload
	buffer_load_dword v78, off, s[20:23], 0 offset:4 ; 4-byte Folded Reload
	buffer_load_dword v79, off, s[20:23], 0 offset:8 ; 4-byte Folded Reload
	;; [unrolled: 1-line block ×3, first 2 shown]
	s_waitcnt vmcnt(0)
	ds_write2_b64 v125, v[77:78], v[79:80] offset0:12 offset1:13
	ds_write2_b64 v125, v[73:74], v[75:76] offset0:14 offset1:15
	;; [unrolled: 1-line block ×21, first 2 shown]
	ds_read2_b64 v[97:100], v127 offset1:1
	s_waitcnt lgkmcnt(0)
	v_cmp_neq_f64_e32 vcc, 0, v[97:98]
	v_cmp_neq_f64_e64 s[2:3], 0, v[99:100]
	s_or_b64 s[2:3], vcc, s[2:3]
	s_and_b64 exec, exec, s[2:3]
	s_cbranch_execz .LBB53_26
; %bb.21:
	v_cmp_ngt_f64_e64 s[2:3], |v[97:98]|, |v[99:100]|
                                        ; implicit-def: $vgpr101_vgpr102
	s_and_saveexec_b64 s[6:7], s[2:3]
	s_xor_b64 s[2:3], exec, s[6:7]
                                        ; implicit-def: $vgpr103_vgpr104
	s_cbranch_execz .LBB53_23
; %bb.22:
	v_div_scale_f64 v[101:102], s[6:7], v[99:100], v[99:100], v[97:98]
	v_rcp_f64_e32 v[103:104], v[101:102]
	v_fma_f64 v[105:106], -v[101:102], v[103:104], 1.0
	v_fma_f64 v[103:104], v[103:104], v[105:106], v[103:104]
	v_div_scale_f64 v[105:106], vcc, v[97:98], v[99:100], v[97:98]
	v_fma_f64 v[107:108], -v[101:102], v[103:104], 1.0
	v_fma_f64 v[103:104], v[103:104], v[107:108], v[103:104]
	v_mul_f64 v[107:108], v[105:106], v[103:104]
	v_fma_f64 v[101:102], -v[101:102], v[107:108], v[105:106]
	v_div_fmas_f64 v[101:102], v[101:102], v[103:104], v[107:108]
	v_div_fixup_f64 v[101:102], v[101:102], v[99:100], v[97:98]
	v_fma_f64 v[97:98], v[97:98], v[101:102], v[99:100]
	v_div_scale_f64 v[99:100], s[6:7], v[97:98], v[97:98], 1.0
	v_div_scale_f64 v[107:108], vcc, 1.0, v[97:98], 1.0
	v_rcp_f64_e32 v[103:104], v[99:100]
	v_fma_f64 v[105:106], -v[99:100], v[103:104], 1.0
	v_fma_f64 v[103:104], v[103:104], v[105:106], v[103:104]
	v_fma_f64 v[105:106], -v[99:100], v[103:104], 1.0
	v_fma_f64 v[103:104], v[103:104], v[105:106], v[103:104]
	v_mul_f64 v[105:106], v[107:108], v[103:104]
	v_fma_f64 v[99:100], -v[99:100], v[105:106], v[107:108]
	v_div_fmas_f64 v[99:100], v[99:100], v[103:104], v[105:106]
	v_div_fixup_f64 v[103:104], v[99:100], v[97:98], 1.0
                                        ; implicit-def: $vgpr97_vgpr98
	v_mul_f64 v[101:102], v[101:102], v[103:104]
	v_xor_b32_e32 v104, 0x80000000, v104
.LBB53_23:
	s_andn2_saveexec_b64 s[2:3], s[2:3]
	s_cbranch_execz .LBB53_25
; %bb.24:
	v_div_scale_f64 v[101:102], s[6:7], v[97:98], v[97:98], v[99:100]
	v_rcp_f64_e32 v[103:104], v[101:102]
	v_fma_f64 v[105:106], -v[101:102], v[103:104], 1.0
	v_fma_f64 v[103:104], v[103:104], v[105:106], v[103:104]
	v_div_scale_f64 v[105:106], vcc, v[99:100], v[97:98], v[99:100]
	v_fma_f64 v[107:108], -v[101:102], v[103:104], 1.0
	v_fma_f64 v[103:104], v[103:104], v[107:108], v[103:104]
	v_mul_f64 v[107:108], v[105:106], v[103:104]
	v_fma_f64 v[101:102], -v[101:102], v[107:108], v[105:106]
	v_div_fmas_f64 v[101:102], v[101:102], v[103:104], v[107:108]
	v_div_fixup_f64 v[103:104], v[101:102], v[97:98], v[99:100]
	v_fma_f64 v[97:98], v[99:100], v[103:104], v[97:98]
	v_div_scale_f64 v[99:100], s[6:7], v[97:98], v[97:98], 1.0
	v_div_scale_f64 v[107:108], vcc, 1.0, v[97:98], 1.0
	v_rcp_f64_e32 v[101:102], v[99:100]
	v_fma_f64 v[105:106], -v[99:100], v[101:102], 1.0
	v_fma_f64 v[101:102], v[101:102], v[105:106], v[101:102]
	v_fma_f64 v[105:106], -v[99:100], v[101:102], 1.0
	v_fma_f64 v[101:102], v[101:102], v[105:106], v[101:102]
	v_mul_f64 v[105:106], v[107:108], v[101:102]
	v_fma_f64 v[99:100], -v[99:100], v[105:106], v[107:108]
	v_div_fmas_f64 v[99:100], v[99:100], v[101:102], v[105:106]
	v_div_fixup_f64 v[101:102], v[99:100], v[97:98], 1.0
	v_mul_f64 v[103:104], v[103:104], -v[101:102]
.LBB53_25:
	s_or_b64 exec, exec, s[2:3]
	ds_write2_b64 v127, v[101:102], v[103:104] offset1:1
.LBB53_26:
	s_or_b64 exec, exec, s[4:5]
	s_waitcnt lgkmcnt(0)
	s_barrier
	ds_read2_b64 v[109:112], v127 offset1:1
	v_cmp_lt_u32_e32 vcc, 2, v0
	s_and_saveexec_b64 s[2:3], vcc
	s_cbranch_execz .LBB53_28
; %bb.27:
	buffer_load_dword v103, off, s[20:23], 0 offset:48 ; 4-byte Folded Reload
	buffer_load_dword v104, off, s[20:23], 0 offset:52 ; 4-byte Folded Reload
	;; [unrolled: 1-line block ×4, first 2 shown]
	s_waitcnt vmcnt(0) lgkmcnt(0)
	v_mul_f64 v[99:100], v[109:110], v[105:106]
	v_mul_f64 v[97:98], v[111:112], v[105:106]
	v_fma_f64 v[105:106], v[111:112], v[103:104], v[99:100]
	ds_read2_b64 v[99:102], v125 offset0:6 offset1:7
	buffer_load_dword v77, off, s[20:23], 0 offset:32 ; 4-byte Folded Reload
	buffer_load_dword v78, off, s[20:23], 0 offset:36 ; 4-byte Folded Reload
	;; [unrolled: 1-line block ×4, first 2 shown]
	v_fma_f64 v[97:98], v[109:110], v[103:104], -v[97:98]
	s_waitcnt lgkmcnt(0)
	v_mul_f64 v[103:104], v[101:102], v[105:106]
	v_fma_f64 v[103:104], v[99:100], v[97:98], -v[103:104]
	v_mul_f64 v[99:100], v[99:100], v[105:106]
	v_fma_f64 v[99:100], v[101:102], v[97:98], v[99:100]
	s_waitcnt vmcnt(2)
	v_add_f64 v[77:78], v[77:78], -v[103:104]
	s_waitcnt vmcnt(0)
	v_add_f64 v[79:80], v[79:80], -v[99:100]
	buffer_store_dword v77, off, s[20:23], 0 offset:32 ; 4-byte Folded Spill
	s_nop 0
	buffer_store_dword v78, off, s[20:23], 0 offset:36 ; 4-byte Folded Spill
	buffer_store_dword v79, off, s[20:23], 0 offset:40 ; 4-byte Folded Spill
	;; [unrolled: 1-line block ×3, first 2 shown]
	ds_read2_b64 v[99:102], v125 offset0:8 offset1:9
	buffer_load_dword v77, off, s[20:23], 0 offset:16 ; 4-byte Folded Reload
	buffer_load_dword v78, off, s[20:23], 0 offset:20 ; 4-byte Folded Reload
	;; [unrolled: 1-line block ×4, first 2 shown]
	s_waitcnt lgkmcnt(0)
	v_mul_f64 v[103:104], v[101:102], v[105:106]
	v_fma_f64 v[103:104], v[99:100], v[97:98], -v[103:104]
	v_mul_f64 v[99:100], v[99:100], v[105:106]
	v_fma_f64 v[99:100], v[101:102], v[97:98], v[99:100]
	s_waitcnt vmcnt(2)
	v_add_f64 v[77:78], v[77:78], -v[103:104]
	s_waitcnt vmcnt(0)
	v_add_f64 v[79:80], v[79:80], -v[99:100]
	buffer_store_dword v77, off, s[20:23], 0 offset:16 ; 4-byte Folded Spill
	s_nop 0
	buffer_store_dword v78, off, s[20:23], 0 offset:20 ; 4-byte Folded Spill
	buffer_store_dword v79, off, s[20:23], 0 offset:24 ; 4-byte Folded Spill
	;; [unrolled: 1-line block ×3, first 2 shown]
	ds_read2_b64 v[99:102], v125 offset0:10 offset1:11
	s_waitcnt lgkmcnt(0)
	v_mul_f64 v[103:104], v[101:102], v[105:106]
	v_fma_f64 v[103:104], v[99:100], v[97:98], -v[103:104]
	v_mul_f64 v[99:100], v[99:100], v[105:106]
	v_add_f64 v[93:94], v[93:94], -v[103:104]
	v_fma_f64 v[99:100], v[101:102], v[97:98], v[99:100]
	v_add_f64 v[95:96], v[95:96], -v[99:100]
	ds_read2_b64 v[99:102], v125 offset0:12 offset1:13
	buffer_load_dword v77, off, s[20:23], 0 ; 4-byte Folded Reload
	buffer_load_dword v78, off, s[20:23], 0 offset:4 ; 4-byte Folded Reload
	buffer_load_dword v79, off, s[20:23], 0 offset:8 ; 4-byte Folded Reload
	;; [unrolled: 1-line block ×3, first 2 shown]
	s_waitcnt lgkmcnt(0)
	v_mul_f64 v[103:104], v[101:102], v[105:106]
	v_fma_f64 v[103:104], v[99:100], v[97:98], -v[103:104]
	v_mul_f64 v[99:100], v[99:100], v[105:106]
	v_fma_f64 v[99:100], v[101:102], v[97:98], v[99:100]
	s_waitcnt vmcnt(2)
	v_add_f64 v[77:78], v[77:78], -v[103:104]
	s_waitcnt vmcnt(0)
	v_add_f64 v[79:80], v[79:80], -v[99:100]
	buffer_store_dword v77, off, s[20:23], 0 ; 4-byte Folded Spill
	s_nop 0
	buffer_store_dword v78, off, s[20:23], 0 offset:4 ; 4-byte Folded Spill
	buffer_store_dword v79, off, s[20:23], 0 offset:8 ; 4-byte Folded Spill
	;; [unrolled: 1-line block ×3, first 2 shown]
	ds_read2_b64 v[99:102], v125 offset0:14 offset1:15
	s_waitcnt lgkmcnt(0)
	v_mul_f64 v[103:104], v[101:102], v[105:106]
	v_fma_f64 v[103:104], v[99:100], v[97:98], -v[103:104]
	v_mul_f64 v[99:100], v[99:100], v[105:106]
	v_add_f64 v[73:74], v[73:74], -v[103:104]
	v_fma_f64 v[99:100], v[101:102], v[97:98], v[99:100]
	v_add_f64 v[75:76], v[75:76], -v[99:100]
	ds_read2_b64 v[99:102], v125 offset0:16 offset1:17
	s_waitcnt lgkmcnt(0)
	v_mul_f64 v[103:104], v[101:102], v[105:106]
	v_fma_f64 v[103:104], v[99:100], v[97:98], -v[103:104]
	v_mul_f64 v[99:100], v[99:100], v[105:106]
	v_add_f64 v[69:70], v[69:70], -v[103:104]
	v_fma_f64 v[99:100], v[101:102], v[97:98], v[99:100]
	v_add_f64 v[71:72], v[71:72], -v[99:100]
	;; [unrolled: 8-line block ×19, first 2 shown]
	ds_read2_b64 v[99:102], v125 offset0:52 offset1:53
	s_waitcnt lgkmcnt(0)
	v_mul_f64 v[103:104], v[101:102], v[105:106]
	v_fma_f64 v[103:104], v[99:100], v[97:98], -v[103:104]
	v_mul_f64 v[99:100], v[99:100], v[105:106]
	v_add_f64 v[81:82], v[81:82], -v[103:104]
	v_fma_f64 v[99:100], v[101:102], v[97:98], v[99:100]
	v_mov_b32_e32 v104, v98
	v_mov_b32_e32 v103, v97
	buffer_store_dword v103, off, s[20:23], 0 offset:48 ; 4-byte Folded Spill
	s_nop 0
	buffer_store_dword v104, off, s[20:23], 0 offset:52 ; 4-byte Folded Spill
	buffer_store_dword v105, off, s[20:23], 0 offset:56 ; 4-byte Folded Spill
	;; [unrolled: 1-line block ×3, first 2 shown]
	v_add_f64 v[83:84], v[83:84], -v[99:100]
.LBB53_28:
	s_or_b64 exec, exec, s[2:3]
	v_cmp_eq_u32_e32 vcc, 3, v0
	s_waitcnt vmcnt(0) lgkmcnt(0)
	s_barrier
	s_and_saveexec_b64 s[4:5], vcc
	s_cbranch_execz .LBB53_35
; %bb.29:
	buffer_load_dword v77, off, s[20:23], 0 offset:32 ; 4-byte Folded Reload
	buffer_load_dword v78, off, s[20:23], 0 offset:36 ; 4-byte Folded Reload
	;; [unrolled: 1-line block ×4, first 2 shown]
	s_waitcnt vmcnt(0)
	ds_write2_b64 v127, v[77:78], v[79:80] offset1:1
	buffer_load_dword v77, off, s[20:23], 0 offset:16 ; 4-byte Folded Reload
	buffer_load_dword v78, off, s[20:23], 0 offset:20 ; 4-byte Folded Reload
	;; [unrolled: 1-line block ×4, first 2 shown]
	s_waitcnt vmcnt(0)
	ds_write2_b64 v125, v[77:78], v[79:80] offset0:8 offset1:9
	ds_write2_b64 v125, v[93:94], v[95:96] offset0:10 offset1:11
	buffer_load_dword v77, off, s[20:23], 0 ; 4-byte Folded Reload
	buffer_load_dword v78, off, s[20:23], 0 offset:4 ; 4-byte Folded Reload
	buffer_load_dword v79, off, s[20:23], 0 offset:8 ; 4-byte Folded Reload
	;; [unrolled: 1-line block ×3, first 2 shown]
	s_waitcnt vmcnt(0)
	ds_write2_b64 v125, v[77:78], v[79:80] offset0:12 offset1:13
	ds_write2_b64 v125, v[73:74], v[75:76] offset0:14 offset1:15
	;; [unrolled: 1-line block ×21, first 2 shown]
	ds_read2_b64 v[97:100], v127 offset1:1
	s_waitcnt lgkmcnt(0)
	v_cmp_neq_f64_e32 vcc, 0, v[97:98]
	v_cmp_neq_f64_e64 s[2:3], 0, v[99:100]
	s_or_b64 s[2:3], vcc, s[2:3]
	s_and_b64 exec, exec, s[2:3]
	s_cbranch_execz .LBB53_35
; %bb.30:
	v_cmp_ngt_f64_e64 s[2:3], |v[97:98]|, |v[99:100]|
                                        ; implicit-def: $vgpr101_vgpr102
	s_and_saveexec_b64 s[6:7], s[2:3]
	s_xor_b64 s[2:3], exec, s[6:7]
                                        ; implicit-def: $vgpr103_vgpr104
	s_cbranch_execz .LBB53_32
; %bb.31:
	v_div_scale_f64 v[101:102], s[6:7], v[99:100], v[99:100], v[97:98]
	v_rcp_f64_e32 v[103:104], v[101:102]
	v_fma_f64 v[105:106], -v[101:102], v[103:104], 1.0
	v_fma_f64 v[103:104], v[103:104], v[105:106], v[103:104]
	v_div_scale_f64 v[105:106], vcc, v[97:98], v[99:100], v[97:98]
	v_fma_f64 v[107:108], -v[101:102], v[103:104], 1.0
	v_fma_f64 v[103:104], v[103:104], v[107:108], v[103:104]
	v_mul_f64 v[107:108], v[105:106], v[103:104]
	v_fma_f64 v[101:102], -v[101:102], v[107:108], v[105:106]
	v_div_fmas_f64 v[101:102], v[101:102], v[103:104], v[107:108]
	v_div_fixup_f64 v[101:102], v[101:102], v[99:100], v[97:98]
	v_fma_f64 v[97:98], v[97:98], v[101:102], v[99:100]
	v_div_scale_f64 v[99:100], s[6:7], v[97:98], v[97:98], 1.0
	v_div_scale_f64 v[107:108], vcc, 1.0, v[97:98], 1.0
	v_rcp_f64_e32 v[103:104], v[99:100]
	v_fma_f64 v[105:106], -v[99:100], v[103:104], 1.0
	v_fma_f64 v[103:104], v[103:104], v[105:106], v[103:104]
	v_fma_f64 v[105:106], -v[99:100], v[103:104], 1.0
	v_fma_f64 v[103:104], v[103:104], v[105:106], v[103:104]
	v_mul_f64 v[105:106], v[107:108], v[103:104]
	v_fma_f64 v[99:100], -v[99:100], v[105:106], v[107:108]
	v_div_fmas_f64 v[99:100], v[99:100], v[103:104], v[105:106]
	v_div_fixup_f64 v[103:104], v[99:100], v[97:98], 1.0
                                        ; implicit-def: $vgpr97_vgpr98
	v_mul_f64 v[101:102], v[101:102], v[103:104]
	v_xor_b32_e32 v104, 0x80000000, v104
.LBB53_32:
	s_andn2_saveexec_b64 s[2:3], s[2:3]
	s_cbranch_execz .LBB53_34
; %bb.33:
	v_div_scale_f64 v[101:102], s[6:7], v[97:98], v[97:98], v[99:100]
	v_rcp_f64_e32 v[103:104], v[101:102]
	v_fma_f64 v[105:106], -v[101:102], v[103:104], 1.0
	v_fma_f64 v[103:104], v[103:104], v[105:106], v[103:104]
	v_div_scale_f64 v[105:106], vcc, v[99:100], v[97:98], v[99:100]
	v_fma_f64 v[107:108], -v[101:102], v[103:104], 1.0
	v_fma_f64 v[103:104], v[103:104], v[107:108], v[103:104]
	v_mul_f64 v[107:108], v[105:106], v[103:104]
	v_fma_f64 v[101:102], -v[101:102], v[107:108], v[105:106]
	v_div_fmas_f64 v[101:102], v[101:102], v[103:104], v[107:108]
	v_div_fixup_f64 v[103:104], v[101:102], v[97:98], v[99:100]
	v_fma_f64 v[97:98], v[99:100], v[103:104], v[97:98]
	v_div_scale_f64 v[99:100], s[6:7], v[97:98], v[97:98], 1.0
	v_div_scale_f64 v[107:108], vcc, 1.0, v[97:98], 1.0
	v_rcp_f64_e32 v[101:102], v[99:100]
	v_fma_f64 v[105:106], -v[99:100], v[101:102], 1.0
	v_fma_f64 v[101:102], v[101:102], v[105:106], v[101:102]
	v_fma_f64 v[105:106], -v[99:100], v[101:102], 1.0
	v_fma_f64 v[101:102], v[101:102], v[105:106], v[101:102]
	v_mul_f64 v[105:106], v[107:108], v[101:102]
	v_fma_f64 v[99:100], -v[99:100], v[105:106], v[107:108]
	v_div_fmas_f64 v[99:100], v[99:100], v[101:102], v[105:106]
	v_div_fixup_f64 v[101:102], v[99:100], v[97:98], 1.0
	v_mul_f64 v[103:104], v[103:104], -v[101:102]
.LBB53_34:
	s_or_b64 exec, exec, s[2:3]
	ds_write2_b64 v127, v[101:102], v[103:104] offset1:1
.LBB53_35:
	s_or_b64 exec, exec, s[4:5]
	s_waitcnt lgkmcnt(0)
	s_barrier
	ds_read2_b64 v[77:80], v127 offset1:1
	v_cmp_lt_u32_e32 vcc, 3, v0
	s_waitcnt lgkmcnt(0)
	buffer_store_dword v77, off, s[20:23], 0 offset:352 ; 4-byte Folded Spill
	s_nop 0
	buffer_store_dword v78, off, s[20:23], 0 offset:356 ; 4-byte Folded Spill
	buffer_store_dword v79, off, s[20:23], 0 offset:360 ; 4-byte Folded Spill
	;; [unrolled: 1-line block ×3, first 2 shown]
	s_and_saveexec_b64 s[2:3], vcc
	s_cbranch_execz .LBB53_37
; %bb.36:
	buffer_load_dword v103, off, s[20:23], 0 offset:32 ; 4-byte Folded Reload
	buffer_load_dword v104, off, s[20:23], 0 offset:36 ; 4-byte Folded Reload
	;; [unrolled: 1-line block ×8, first 2 shown]
	v_mov_b32_e32 v77, v93
	v_mov_b32_e32 v78, v94
	;; [unrolled: 1-line block ×4, first 2 shown]
	ds_read2_b64 v[99:102], v125 offset0:8 offset1:9
	s_waitcnt vmcnt(2)
	v_mul_f64 v[95:96], v[87:88], v[105:106]
	s_waitcnt vmcnt(0)
	v_mul_f64 v[97:98], v[89:90], v[105:106]
	v_fma_f64 v[105:106], v[89:90], v[103:104], v[95:96]
	v_fma_f64 v[97:98], v[87:88], v[103:104], -v[97:98]
	s_waitcnt lgkmcnt(0)
	v_mul_f64 v[93:94], v[101:102], v[105:106]
	v_fma_f64 v[93:94], v[99:100], v[97:98], -v[93:94]
	v_mul_f64 v[99:100], v[99:100], v[105:106]
	v_fma_f64 v[99:100], v[101:102], v[97:98], v[99:100]
	buffer_load_dword v101, off, s[20:23], 0 offset:16 ; 4-byte Folded Reload
	buffer_load_dword v102, off, s[20:23], 0 offset:20 ; 4-byte Folded Reload
	;; [unrolled: 1-line block ×4, first 2 shown]
	s_waitcnt vmcnt(2)
	v_add_f64 v[101:102], v[101:102], -v[93:94]
	s_waitcnt vmcnt(0)
	v_add_f64 v[103:104], v[103:104], -v[99:100]
	buffer_store_dword v101, off, s[20:23], 0 offset:16 ; 4-byte Folded Spill
	s_nop 0
	buffer_store_dword v102, off, s[20:23], 0 offset:20 ; 4-byte Folded Spill
	buffer_store_dword v103, off, s[20:23], 0 offset:24 ; 4-byte Folded Spill
	;; [unrolled: 1-line block ×3, first 2 shown]
	ds_read2_b64 v[99:102], v125 offset0:10 offset1:11
	s_waitcnt lgkmcnt(0)
	v_mul_f64 v[93:94], v[101:102], v[105:106]
	v_fma_f64 v[93:94], v[99:100], v[97:98], -v[93:94]
	v_mul_f64 v[99:100], v[99:100], v[105:106]
	v_add_f64 v[77:78], v[77:78], -v[93:94]
	v_fma_f64 v[99:100], v[101:102], v[97:98], v[99:100]
	v_add_f64 v[79:80], v[79:80], -v[99:100]
	ds_read2_b64 v[99:102], v125 offset0:12 offset1:13
	s_waitcnt lgkmcnt(0)
	v_mul_f64 v[93:94], v[101:102], v[105:106]
	v_fma_f64 v[93:94], v[99:100], v[97:98], -v[93:94]
	v_mul_f64 v[99:100], v[99:100], v[105:106]
	v_fma_f64 v[99:100], v[101:102], v[97:98], v[99:100]
	buffer_load_dword v101, off, s[20:23], 0 ; 4-byte Folded Reload
	buffer_load_dword v102, off, s[20:23], 0 offset:4 ; 4-byte Folded Reload
	buffer_load_dword v103, off, s[20:23], 0 offset:8 ; 4-byte Folded Reload
	;; [unrolled: 1-line block ×3, first 2 shown]
	s_waitcnt vmcnt(2)
	v_add_f64 v[101:102], v[101:102], -v[93:94]
	s_waitcnt vmcnt(0)
	v_add_f64 v[103:104], v[103:104], -v[99:100]
	buffer_store_dword v101, off, s[20:23], 0 ; 4-byte Folded Spill
	s_nop 0
	buffer_store_dword v102, off, s[20:23], 0 offset:4 ; 4-byte Folded Spill
	buffer_store_dword v103, off, s[20:23], 0 offset:8 ; 4-byte Folded Spill
	;; [unrolled: 1-line block ×3, first 2 shown]
	ds_read2_b64 v[99:102], v125 offset0:14 offset1:15
	v_mov_b32_e32 v104, v98
	v_mov_b32_e32 v103, v97
	s_waitcnt lgkmcnt(0)
	v_mul_f64 v[93:94], v[101:102], v[105:106]
	v_fma_f64 v[93:94], v[99:100], v[97:98], -v[93:94]
	v_mul_f64 v[99:100], v[99:100], v[105:106]
	v_add_f64 v[73:74], v[73:74], -v[93:94]
	v_fma_f64 v[99:100], v[101:102], v[97:98], v[99:100]
	v_add_f64 v[75:76], v[75:76], -v[99:100]
	ds_read2_b64 v[99:102], v125 offset0:16 offset1:17
	s_waitcnt lgkmcnt(0)
	v_mul_f64 v[93:94], v[101:102], v[105:106]
	v_fma_f64 v[93:94], v[99:100], v[97:98], -v[93:94]
	v_mul_f64 v[99:100], v[99:100], v[105:106]
	v_add_f64 v[69:70], v[69:70], -v[93:94]
	v_fma_f64 v[99:100], v[101:102], v[97:98], v[99:100]
	v_add_f64 v[71:72], v[71:72], -v[99:100]
	ds_read2_b64 v[99:102], v125 offset0:18 offset1:19
	;; [unrolled: 8-line block ×19, first 2 shown]
	s_waitcnt lgkmcnt(0)
	v_mul_f64 v[93:94], v[101:102], v[105:106]
	v_fma_f64 v[93:94], v[99:100], v[97:98], -v[93:94]
	v_mul_f64 v[99:100], v[99:100], v[105:106]
	buffer_store_dword v103, off, s[20:23], 0 offset:32 ; 4-byte Folded Spill
	s_nop 0
	buffer_store_dword v104, off, s[20:23], 0 offset:36 ; 4-byte Folded Spill
	buffer_store_dword v105, off, s[20:23], 0 offset:40 ; 4-byte Folded Spill
	;; [unrolled: 1-line block ×3, first 2 shown]
	v_add_f64 v[81:82], v[81:82], -v[93:94]
	v_fma_f64 v[99:100], v[101:102], v[97:98], v[99:100]
	v_mov_b32_e32 v96, v80
	v_mov_b32_e32 v95, v79
	;; [unrolled: 1-line block ×4, first 2 shown]
	v_add_f64 v[83:84], v[83:84], -v[99:100]
.LBB53_37:
	s_or_b64 exec, exec, s[2:3]
	v_cmp_eq_u32_e32 vcc, 4, v0
	s_waitcnt vmcnt(0)
	s_barrier
	s_and_saveexec_b64 s[4:5], vcc
	s_cbranch_execz .LBB53_44
; %bb.38:
	buffer_load_dword v77, off, s[20:23], 0 offset:16 ; 4-byte Folded Reload
	buffer_load_dword v78, off, s[20:23], 0 offset:20 ; 4-byte Folded Reload
	;; [unrolled: 1-line block ×4, first 2 shown]
	s_waitcnt vmcnt(0)
	ds_write2_b64 v127, v[77:78], v[79:80] offset1:1
	ds_write2_b64 v125, v[93:94], v[95:96] offset0:10 offset1:11
	buffer_load_dword v77, off, s[20:23], 0 ; 4-byte Folded Reload
	buffer_load_dword v78, off, s[20:23], 0 offset:4 ; 4-byte Folded Reload
	buffer_load_dword v79, off, s[20:23], 0 offset:8 ; 4-byte Folded Reload
	buffer_load_dword v80, off, s[20:23], 0 offset:12 ; 4-byte Folded Reload
	s_waitcnt vmcnt(0)
	ds_write2_b64 v125, v[77:78], v[79:80] offset0:12 offset1:13
	ds_write2_b64 v125, v[73:74], v[75:76] offset0:14 offset1:15
	;; [unrolled: 1-line block ×21, first 2 shown]
	ds_read2_b64 v[97:100], v127 offset1:1
	s_waitcnt lgkmcnt(0)
	v_cmp_neq_f64_e32 vcc, 0, v[97:98]
	v_cmp_neq_f64_e64 s[2:3], 0, v[99:100]
	s_or_b64 s[2:3], vcc, s[2:3]
	s_and_b64 exec, exec, s[2:3]
	s_cbranch_execz .LBB53_44
; %bb.39:
	v_cmp_ngt_f64_e64 s[2:3], |v[97:98]|, |v[99:100]|
                                        ; implicit-def: $vgpr101_vgpr102
	s_and_saveexec_b64 s[6:7], s[2:3]
	s_xor_b64 s[2:3], exec, s[6:7]
                                        ; implicit-def: $vgpr103_vgpr104
	s_cbranch_execz .LBB53_41
; %bb.40:
	v_div_scale_f64 v[101:102], s[6:7], v[99:100], v[99:100], v[97:98]
	v_rcp_f64_e32 v[103:104], v[101:102]
	v_fma_f64 v[105:106], -v[101:102], v[103:104], 1.0
	v_fma_f64 v[103:104], v[103:104], v[105:106], v[103:104]
	v_div_scale_f64 v[105:106], vcc, v[97:98], v[99:100], v[97:98]
	v_fma_f64 v[107:108], -v[101:102], v[103:104], 1.0
	v_fma_f64 v[103:104], v[103:104], v[107:108], v[103:104]
	v_mul_f64 v[107:108], v[105:106], v[103:104]
	v_fma_f64 v[101:102], -v[101:102], v[107:108], v[105:106]
	v_div_fmas_f64 v[101:102], v[101:102], v[103:104], v[107:108]
	v_div_fixup_f64 v[101:102], v[101:102], v[99:100], v[97:98]
	v_fma_f64 v[97:98], v[97:98], v[101:102], v[99:100]
	v_div_scale_f64 v[99:100], s[6:7], v[97:98], v[97:98], 1.0
	v_div_scale_f64 v[107:108], vcc, 1.0, v[97:98], 1.0
	v_rcp_f64_e32 v[103:104], v[99:100]
	v_fma_f64 v[105:106], -v[99:100], v[103:104], 1.0
	v_fma_f64 v[103:104], v[103:104], v[105:106], v[103:104]
	v_fma_f64 v[105:106], -v[99:100], v[103:104], 1.0
	v_fma_f64 v[103:104], v[103:104], v[105:106], v[103:104]
	v_mul_f64 v[105:106], v[107:108], v[103:104]
	v_fma_f64 v[99:100], -v[99:100], v[105:106], v[107:108]
	v_div_fmas_f64 v[99:100], v[99:100], v[103:104], v[105:106]
	v_div_fixup_f64 v[103:104], v[99:100], v[97:98], 1.0
                                        ; implicit-def: $vgpr97_vgpr98
	v_mul_f64 v[101:102], v[101:102], v[103:104]
	v_xor_b32_e32 v104, 0x80000000, v104
.LBB53_41:
	s_andn2_saveexec_b64 s[2:3], s[2:3]
	s_cbranch_execz .LBB53_43
; %bb.42:
	v_div_scale_f64 v[101:102], s[6:7], v[97:98], v[97:98], v[99:100]
	v_rcp_f64_e32 v[103:104], v[101:102]
	v_fma_f64 v[105:106], -v[101:102], v[103:104], 1.0
	v_fma_f64 v[103:104], v[103:104], v[105:106], v[103:104]
	v_div_scale_f64 v[105:106], vcc, v[99:100], v[97:98], v[99:100]
	v_fma_f64 v[107:108], -v[101:102], v[103:104], 1.0
	v_fma_f64 v[103:104], v[103:104], v[107:108], v[103:104]
	v_mul_f64 v[107:108], v[105:106], v[103:104]
	v_fma_f64 v[101:102], -v[101:102], v[107:108], v[105:106]
	v_div_fmas_f64 v[101:102], v[101:102], v[103:104], v[107:108]
	v_div_fixup_f64 v[103:104], v[101:102], v[97:98], v[99:100]
	v_fma_f64 v[97:98], v[99:100], v[103:104], v[97:98]
	v_div_scale_f64 v[99:100], s[6:7], v[97:98], v[97:98], 1.0
	v_div_scale_f64 v[107:108], vcc, 1.0, v[97:98], 1.0
	v_rcp_f64_e32 v[101:102], v[99:100]
	v_fma_f64 v[105:106], -v[99:100], v[101:102], 1.0
	v_fma_f64 v[101:102], v[101:102], v[105:106], v[101:102]
	v_fma_f64 v[105:106], -v[99:100], v[101:102], 1.0
	v_fma_f64 v[101:102], v[101:102], v[105:106], v[101:102]
	v_mul_f64 v[105:106], v[107:108], v[101:102]
	v_fma_f64 v[99:100], -v[99:100], v[105:106], v[107:108]
	v_div_fmas_f64 v[99:100], v[99:100], v[101:102], v[105:106]
	v_div_fixup_f64 v[101:102], v[99:100], v[97:98], 1.0
	v_mul_f64 v[103:104], v[103:104], -v[101:102]
.LBB53_43:
	s_or_b64 exec, exec, s[2:3]
	ds_write2_b64 v127, v[101:102], v[103:104] offset1:1
.LBB53_44:
	s_or_b64 exec, exec, s[4:5]
	s_waitcnt lgkmcnt(0)
	s_barrier
	ds_read2_b64 v[77:80], v127 offset1:1
	v_cmp_lt_u32_e32 vcc, 4, v0
	s_waitcnt lgkmcnt(0)
	buffer_store_dword v77, off, s[20:23], 0 offset:368 ; 4-byte Folded Spill
	s_nop 0
	buffer_store_dword v78, off, s[20:23], 0 offset:372 ; 4-byte Folded Spill
	buffer_store_dword v79, off, s[20:23], 0 offset:376 ; 4-byte Folded Spill
	;; [unrolled: 1-line block ×3, first 2 shown]
	s_and_saveexec_b64 s[2:3], vcc
	s_cbranch_execz .LBB53_46
; %bb.45:
	buffer_load_dword v103, off, s[20:23], 0 offset:16 ; 4-byte Folded Reload
	buffer_load_dword v104, off, s[20:23], 0 offset:20 ; 4-byte Folded Reload
	;; [unrolled: 1-line block ×8, first 2 shown]
	ds_read2_b64 v[99:102], v125 offset0:10 offset1:11
	v_mov_b32_e32 v77, v93
	v_mov_b32_e32 v79, v95
	v_mov_b32_e32 v80, v96
	v_mov_b32_e32 v78, v94
	s_waitcnt vmcnt(2)
	v_mul_f64 v[91:92], v[87:88], v[105:106]
	s_waitcnt vmcnt(0)
	v_mul_f64 v[97:98], v[89:90], v[105:106]
	v_fma_f64 v[105:106], v[89:90], v[103:104], v[91:92]
	v_fma_f64 v[97:98], v[87:88], v[103:104], -v[97:98]
	s_waitcnt lgkmcnt(0)
	v_mul_f64 v[89:90], v[101:102], v[105:106]
	v_fma_f64 v[89:90], v[99:100], v[97:98], -v[89:90]
	v_mul_f64 v[99:100], v[99:100], v[105:106]
	v_add_f64 v[77:78], v[77:78], -v[89:90]
	v_fma_f64 v[99:100], v[101:102], v[97:98], v[99:100]
	v_add_f64 v[79:80], v[79:80], -v[99:100]
	ds_read2_b64 v[99:102], v125 offset0:12 offset1:13
	s_waitcnt lgkmcnt(0)
	v_mul_f64 v[89:90], v[101:102], v[105:106]
	v_mov_b32_e32 v96, v80
	v_mov_b32_e32 v95, v79
	v_mov_b32_e32 v94, v78
	v_mov_b32_e32 v93, v77
	v_fma_f64 v[89:90], v[99:100], v[97:98], -v[89:90]
	v_mul_f64 v[99:100], v[99:100], v[105:106]
	v_fma_f64 v[99:100], v[101:102], v[97:98], v[99:100]
	buffer_load_dword v101, off, s[20:23], 0 ; 4-byte Folded Reload
	buffer_load_dword v102, off, s[20:23], 0 offset:4 ; 4-byte Folded Reload
	buffer_load_dword v103, off, s[20:23], 0 offset:8 ; 4-byte Folded Reload
	buffer_load_dword v104, off, s[20:23], 0 offset:12 ; 4-byte Folded Reload
	s_waitcnt vmcnt(2)
	v_add_f64 v[101:102], v[101:102], -v[89:90]
	s_waitcnt vmcnt(0)
	v_add_f64 v[103:104], v[103:104], -v[99:100]
	buffer_store_dword v101, off, s[20:23], 0 ; 4-byte Folded Spill
	s_nop 0
	buffer_store_dword v102, off, s[20:23], 0 offset:4 ; 4-byte Folded Spill
	buffer_store_dword v103, off, s[20:23], 0 offset:8 ; 4-byte Folded Spill
	;; [unrolled: 1-line block ×3, first 2 shown]
	ds_read2_b64 v[99:102], v125 offset0:14 offset1:15
	v_mov_b32_e32 v104, v98
	v_mov_b32_e32 v103, v97
	s_waitcnt lgkmcnt(0)
	v_mul_f64 v[89:90], v[101:102], v[105:106]
	v_fma_f64 v[89:90], v[99:100], v[97:98], -v[89:90]
	v_mul_f64 v[99:100], v[99:100], v[105:106]
	v_add_f64 v[73:74], v[73:74], -v[89:90]
	v_fma_f64 v[99:100], v[101:102], v[97:98], v[99:100]
	v_add_f64 v[75:76], v[75:76], -v[99:100]
	ds_read2_b64 v[99:102], v125 offset0:16 offset1:17
	s_waitcnt lgkmcnt(0)
	v_mul_f64 v[89:90], v[101:102], v[105:106]
	v_fma_f64 v[89:90], v[99:100], v[97:98], -v[89:90]
	v_mul_f64 v[99:100], v[99:100], v[105:106]
	v_add_f64 v[69:70], v[69:70], -v[89:90]
	v_fma_f64 v[99:100], v[101:102], v[97:98], v[99:100]
	v_add_f64 v[71:72], v[71:72], -v[99:100]
	ds_read2_b64 v[99:102], v125 offset0:18 offset1:19
	;; [unrolled: 8-line block ×19, first 2 shown]
	s_waitcnt lgkmcnt(0)
	v_mul_f64 v[89:90], v[101:102], v[105:106]
	v_fma_f64 v[89:90], v[99:100], v[97:98], -v[89:90]
	v_mul_f64 v[99:100], v[99:100], v[105:106]
	buffer_store_dword v103, off, s[20:23], 0 offset:16 ; 4-byte Folded Spill
	s_nop 0
	buffer_store_dword v104, off, s[20:23], 0 offset:20 ; 4-byte Folded Spill
	buffer_store_dword v105, off, s[20:23], 0 offset:24 ; 4-byte Folded Spill
	buffer_store_dword v106, off, s[20:23], 0 offset:28 ; 4-byte Folded Spill
	v_add_f64 v[81:82], v[81:82], -v[89:90]
	v_fma_f64 v[99:100], v[101:102], v[97:98], v[99:100]
	v_add_f64 v[83:84], v[83:84], -v[99:100]
.LBB53_46:
	s_or_b64 exec, exec, s[2:3]
	v_cmp_eq_u32_e32 vcc, 5, v0
	s_waitcnt vmcnt(0)
	s_barrier
	s_and_saveexec_b64 s[4:5], vcc
	s_cbranch_execz .LBB53_53
; %bb.47:
	ds_write2_b64 v127, v[93:94], v[95:96] offset1:1
	buffer_load_dword v77, off, s[20:23], 0 ; 4-byte Folded Reload
	buffer_load_dword v78, off, s[20:23], 0 offset:4 ; 4-byte Folded Reload
	buffer_load_dword v79, off, s[20:23], 0 offset:8 ; 4-byte Folded Reload
	;; [unrolled: 1-line block ×3, first 2 shown]
	s_waitcnt vmcnt(0)
	ds_write2_b64 v125, v[77:78], v[79:80] offset0:12 offset1:13
	ds_write2_b64 v125, v[73:74], v[75:76] offset0:14 offset1:15
	;; [unrolled: 1-line block ×21, first 2 shown]
	ds_read2_b64 v[97:100], v127 offset1:1
	s_waitcnt lgkmcnt(0)
	v_cmp_neq_f64_e32 vcc, 0, v[97:98]
	v_cmp_neq_f64_e64 s[2:3], 0, v[99:100]
	s_or_b64 s[2:3], vcc, s[2:3]
	s_and_b64 exec, exec, s[2:3]
	s_cbranch_execz .LBB53_53
; %bb.48:
	v_cmp_ngt_f64_e64 s[2:3], |v[97:98]|, |v[99:100]|
                                        ; implicit-def: $vgpr101_vgpr102
	s_and_saveexec_b64 s[6:7], s[2:3]
	s_xor_b64 s[2:3], exec, s[6:7]
                                        ; implicit-def: $vgpr103_vgpr104
	s_cbranch_execz .LBB53_50
; %bb.49:
	v_div_scale_f64 v[101:102], s[6:7], v[99:100], v[99:100], v[97:98]
	v_rcp_f64_e32 v[103:104], v[101:102]
	v_fma_f64 v[105:106], -v[101:102], v[103:104], 1.0
	v_fma_f64 v[103:104], v[103:104], v[105:106], v[103:104]
	v_div_scale_f64 v[105:106], vcc, v[97:98], v[99:100], v[97:98]
	v_fma_f64 v[107:108], -v[101:102], v[103:104], 1.0
	v_fma_f64 v[103:104], v[103:104], v[107:108], v[103:104]
	v_mul_f64 v[107:108], v[105:106], v[103:104]
	v_fma_f64 v[101:102], -v[101:102], v[107:108], v[105:106]
	v_div_fmas_f64 v[101:102], v[101:102], v[103:104], v[107:108]
	v_div_fixup_f64 v[101:102], v[101:102], v[99:100], v[97:98]
	v_fma_f64 v[97:98], v[97:98], v[101:102], v[99:100]
	v_div_scale_f64 v[99:100], s[6:7], v[97:98], v[97:98], 1.0
	v_div_scale_f64 v[107:108], vcc, 1.0, v[97:98], 1.0
	v_rcp_f64_e32 v[103:104], v[99:100]
	v_fma_f64 v[105:106], -v[99:100], v[103:104], 1.0
	v_fma_f64 v[103:104], v[103:104], v[105:106], v[103:104]
	v_fma_f64 v[105:106], -v[99:100], v[103:104], 1.0
	v_fma_f64 v[103:104], v[103:104], v[105:106], v[103:104]
	v_mul_f64 v[105:106], v[107:108], v[103:104]
	v_fma_f64 v[99:100], -v[99:100], v[105:106], v[107:108]
	v_div_fmas_f64 v[99:100], v[99:100], v[103:104], v[105:106]
	v_div_fixup_f64 v[103:104], v[99:100], v[97:98], 1.0
                                        ; implicit-def: $vgpr97_vgpr98
	v_mul_f64 v[101:102], v[101:102], v[103:104]
	v_xor_b32_e32 v104, 0x80000000, v104
.LBB53_50:
	s_andn2_saveexec_b64 s[2:3], s[2:3]
	s_cbranch_execz .LBB53_52
; %bb.51:
	v_div_scale_f64 v[101:102], s[6:7], v[97:98], v[97:98], v[99:100]
	v_rcp_f64_e32 v[103:104], v[101:102]
	v_fma_f64 v[105:106], -v[101:102], v[103:104], 1.0
	v_fma_f64 v[103:104], v[103:104], v[105:106], v[103:104]
	v_div_scale_f64 v[105:106], vcc, v[99:100], v[97:98], v[99:100]
	v_fma_f64 v[107:108], -v[101:102], v[103:104], 1.0
	v_fma_f64 v[103:104], v[103:104], v[107:108], v[103:104]
	v_mul_f64 v[107:108], v[105:106], v[103:104]
	v_fma_f64 v[101:102], -v[101:102], v[107:108], v[105:106]
	v_div_fmas_f64 v[101:102], v[101:102], v[103:104], v[107:108]
	v_div_fixup_f64 v[103:104], v[101:102], v[97:98], v[99:100]
	v_fma_f64 v[97:98], v[99:100], v[103:104], v[97:98]
	v_div_scale_f64 v[99:100], s[6:7], v[97:98], v[97:98], 1.0
	v_div_scale_f64 v[107:108], vcc, 1.0, v[97:98], 1.0
	v_rcp_f64_e32 v[101:102], v[99:100]
	v_fma_f64 v[105:106], -v[99:100], v[101:102], 1.0
	v_fma_f64 v[101:102], v[101:102], v[105:106], v[101:102]
	v_fma_f64 v[105:106], -v[99:100], v[101:102], 1.0
	v_fma_f64 v[101:102], v[101:102], v[105:106], v[101:102]
	v_mul_f64 v[105:106], v[107:108], v[101:102]
	v_fma_f64 v[99:100], -v[99:100], v[105:106], v[107:108]
	v_div_fmas_f64 v[99:100], v[99:100], v[101:102], v[105:106]
	v_div_fixup_f64 v[101:102], v[99:100], v[97:98], 1.0
	v_mul_f64 v[103:104], v[103:104], -v[101:102]
.LBB53_52:
	s_or_b64 exec, exec, s[2:3]
	ds_write2_b64 v127, v[101:102], v[103:104] offset1:1
.LBB53_53:
	s_or_b64 exec, exec, s[4:5]
	s_waitcnt lgkmcnt(0)
	s_barrier
	ds_read2_b64 v[89:92], v127 offset1:1
	v_cmp_lt_u32_e32 vcc, 5, v0
	s_and_saveexec_b64 s[2:3], vcc
	s_cbranch_execz .LBB53_55
; %bb.54:
	v_mov_b32_e32 v77, v93
	v_mov_b32_e32 v79, v95
	;; [unrolled: 1-line block ×3, first 2 shown]
	s_waitcnt lgkmcnt(0)
	v_mul_f64 v[87:88], v[89:90], v[79:80]
	v_mul_f64 v[97:98], v[91:92], v[95:96]
	v_mov_b32_e32 v78, v94
	ds_read2_b64 v[99:102], v125 offset0:12 offset1:13
	v_fma_f64 v[79:80], v[91:92], v[77:78], v[87:88]
	v_fma_f64 v[97:98], v[89:90], v[93:94], -v[97:98]
	v_mov_b32_e32 v94, v86
	v_mov_b32_e32 v93, v85
	s_waitcnt lgkmcnt(0)
	v_mul_f64 v[85:86], v[101:102], v[79:80]
	v_mov_b32_e32 v96, v80
	v_mov_b32_e32 v95, v79
	v_fma_f64 v[85:86], v[99:100], v[97:98], -v[85:86]
	v_mul_f64 v[99:100], v[99:100], v[79:80]
	v_fma_f64 v[99:100], v[101:102], v[97:98], v[99:100]
	buffer_load_dword v101, off, s[20:23], 0 ; 4-byte Folded Reload
	buffer_load_dword v102, off, s[20:23], 0 offset:4 ; 4-byte Folded Reload
	buffer_load_dword v103, off, s[20:23], 0 offset:8 ; 4-byte Folded Reload
	;; [unrolled: 1-line block ×3, first 2 shown]
	s_waitcnt vmcnt(2)
	v_add_f64 v[101:102], v[101:102], -v[85:86]
	s_waitcnt vmcnt(0)
	v_add_f64 v[103:104], v[103:104], -v[99:100]
	buffer_store_dword v101, off, s[20:23], 0 ; 4-byte Folded Spill
	s_nop 0
	buffer_store_dword v102, off, s[20:23], 0 offset:4 ; 4-byte Folded Spill
	buffer_store_dword v103, off, s[20:23], 0 offset:8 ; 4-byte Folded Spill
	;; [unrolled: 1-line block ×3, first 2 shown]
	ds_read2_b64 v[99:102], v125 offset0:14 offset1:15
	s_waitcnt lgkmcnt(0)
	v_mul_f64 v[85:86], v[101:102], v[79:80]
	v_fma_f64 v[85:86], v[99:100], v[97:98], -v[85:86]
	v_mul_f64 v[99:100], v[99:100], v[79:80]
	v_add_f64 v[73:74], v[73:74], -v[85:86]
	v_fma_f64 v[99:100], v[101:102], v[97:98], v[99:100]
	v_add_f64 v[75:76], v[75:76], -v[99:100]
	ds_read2_b64 v[99:102], v125 offset0:16 offset1:17
	s_waitcnt lgkmcnt(0)
	v_mul_f64 v[85:86], v[101:102], v[79:80]
	v_fma_f64 v[85:86], v[99:100], v[97:98], -v[85:86]
	v_mul_f64 v[99:100], v[99:100], v[79:80]
	v_add_f64 v[69:70], v[69:70], -v[85:86]
	v_fma_f64 v[99:100], v[101:102], v[97:98], v[99:100]
	v_add_f64 v[71:72], v[71:72], -v[99:100]
	;; [unrolled: 8-line block ×19, first 2 shown]
	ds_read2_b64 v[99:102], v125 offset0:52 offset1:53
	s_waitcnt lgkmcnt(0)
	v_mul_f64 v[85:86], v[101:102], v[79:80]
	v_fma_f64 v[85:86], v[99:100], v[97:98], -v[85:86]
	v_mul_f64 v[99:100], v[99:100], v[79:80]
	v_add_f64 v[81:82], v[81:82], -v[85:86]
	v_fma_f64 v[99:100], v[101:102], v[97:98], v[99:100]
	v_mov_b32_e32 v85, v93
	v_mov_b32_e32 v86, v94
	;; [unrolled: 1-line block ×4, first 2 shown]
	v_add_f64 v[83:84], v[83:84], -v[99:100]
.LBB53_55:
	s_or_b64 exec, exec, s[2:3]
	v_cmp_eq_u32_e32 vcc, 6, v0
	s_waitcnt vmcnt(0) lgkmcnt(0)
	s_barrier
	s_and_saveexec_b64 s[4:5], vcc
	s_cbranch_execz .LBB53_62
; %bb.56:
	buffer_load_dword v77, off, s[20:23], 0 ; 4-byte Folded Reload
	buffer_load_dword v78, off, s[20:23], 0 offset:4 ; 4-byte Folded Reload
	buffer_load_dword v79, off, s[20:23], 0 offset:8 ; 4-byte Folded Reload
	;; [unrolled: 1-line block ×3, first 2 shown]
	s_waitcnt vmcnt(0)
	ds_write2_b64 v127, v[77:78], v[79:80] offset1:1
	ds_write2_b64 v125, v[73:74], v[75:76] offset0:14 offset1:15
	ds_write2_b64 v125, v[69:70], v[71:72] offset0:16 offset1:17
	;; [unrolled: 1-line block ×20, first 2 shown]
	ds_read2_b64 v[97:100], v127 offset1:1
	s_waitcnt lgkmcnt(0)
	v_cmp_neq_f64_e32 vcc, 0, v[97:98]
	v_cmp_neq_f64_e64 s[2:3], 0, v[99:100]
	s_or_b64 s[2:3], vcc, s[2:3]
	s_and_b64 exec, exec, s[2:3]
	s_cbranch_execz .LBB53_62
; %bb.57:
	v_cmp_ngt_f64_e64 s[2:3], |v[97:98]|, |v[99:100]|
                                        ; implicit-def: $vgpr101_vgpr102
	s_and_saveexec_b64 s[6:7], s[2:3]
	s_xor_b64 s[2:3], exec, s[6:7]
                                        ; implicit-def: $vgpr103_vgpr104
	s_cbranch_execz .LBB53_59
; %bb.58:
	v_div_scale_f64 v[101:102], s[6:7], v[99:100], v[99:100], v[97:98]
	v_rcp_f64_e32 v[103:104], v[101:102]
	v_fma_f64 v[105:106], -v[101:102], v[103:104], 1.0
	v_fma_f64 v[103:104], v[103:104], v[105:106], v[103:104]
	v_div_scale_f64 v[105:106], vcc, v[97:98], v[99:100], v[97:98]
	v_fma_f64 v[107:108], -v[101:102], v[103:104], 1.0
	v_fma_f64 v[103:104], v[103:104], v[107:108], v[103:104]
	v_mul_f64 v[107:108], v[105:106], v[103:104]
	v_fma_f64 v[101:102], -v[101:102], v[107:108], v[105:106]
	v_div_fmas_f64 v[101:102], v[101:102], v[103:104], v[107:108]
	v_div_fixup_f64 v[101:102], v[101:102], v[99:100], v[97:98]
	v_fma_f64 v[97:98], v[97:98], v[101:102], v[99:100]
	v_div_scale_f64 v[99:100], s[6:7], v[97:98], v[97:98], 1.0
	v_div_scale_f64 v[107:108], vcc, 1.0, v[97:98], 1.0
	v_rcp_f64_e32 v[103:104], v[99:100]
	v_fma_f64 v[105:106], -v[99:100], v[103:104], 1.0
	v_fma_f64 v[103:104], v[103:104], v[105:106], v[103:104]
	v_fma_f64 v[105:106], -v[99:100], v[103:104], 1.0
	v_fma_f64 v[103:104], v[103:104], v[105:106], v[103:104]
	v_mul_f64 v[105:106], v[107:108], v[103:104]
	v_fma_f64 v[99:100], -v[99:100], v[105:106], v[107:108]
	v_div_fmas_f64 v[99:100], v[99:100], v[103:104], v[105:106]
	v_div_fixup_f64 v[103:104], v[99:100], v[97:98], 1.0
                                        ; implicit-def: $vgpr97_vgpr98
	v_mul_f64 v[101:102], v[101:102], v[103:104]
	v_xor_b32_e32 v104, 0x80000000, v104
.LBB53_59:
	s_andn2_saveexec_b64 s[2:3], s[2:3]
	s_cbranch_execz .LBB53_61
; %bb.60:
	v_div_scale_f64 v[101:102], s[6:7], v[97:98], v[97:98], v[99:100]
	v_rcp_f64_e32 v[103:104], v[101:102]
	v_fma_f64 v[105:106], -v[101:102], v[103:104], 1.0
	v_fma_f64 v[103:104], v[103:104], v[105:106], v[103:104]
	v_div_scale_f64 v[105:106], vcc, v[99:100], v[97:98], v[99:100]
	v_fma_f64 v[107:108], -v[101:102], v[103:104], 1.0
	v_fma_f64 v[103:104], v[103:104], v[107:108], v[103:104]
	v_mul_f64 v[107:108], v[105:106], v[103:104]
	v_fma_f64 v[101:102], -v[101:102], v[107:108], v[105:106]
	v_div_fmas_f64 v[101:102], v[101:102], v[103:104], v[107:108]
	v_div_fixup_f64 v[103:104], v[101:102], v[97:98], v[99:100]
	v_fma_f64 v[97:98], v[99:100], v[103:104], v[97:98]
	v_div_scale_f64 v[99:100], s[6:7], v[97:98], v[97:98], 1.0
	v_div_scale_f64 v[107:108], vcc, 1.0, v[97:98], 1.0
	v_rcp_f64_e32 v[101:102], v[99:100]
	v_fma_f64 v[105:106], -v[99:100], v[101:102], 1.0
	v_fma_f64 v[101:102], v[101:102], v[105:106], v[101:102]
	v_fma_f64 v[105:106], -v[99:100], v[101:102], 1.0
	v_fma_f64 v[101:102], v[101:102], v[105:106], v[101:102]
	v_mul_f64 v[105:106], v[107:108], v[101:102]
	v_fma_f64 v[99:100], -v[99:100], v[105:106], v[107:108]
	v_div_fmas_f64 v[99:100], v[99:100], v[101:102], v[105:106]
	v_div_fixup_f64 v[101:102], v[99:100], v[97:98], 1.0
	v_mul_f64 v[103:104], v[103:104], -v[101:102]
.LBB53_61:
	s_or_b64 exec, exec, s[2:3]
	ds_write2_b64 v127, v[101:102], v[103:104] offset1:1
.LBB53_62:
	s_or_b64 exec, exec, s[4:5]
	s_waitcnt lgkmcnt(0)
	s_barrier
	ds_read2_b64 v[113:116], v127 offset1:1
	v_cmp_lt_u32_e32 vcc, 6, v0
	s_and_saveexec_b64 s[2:3], vcc
	s_cbranch_execz .LBB53_64
; %bb.63:
	buffer_load_dword v77, off, s[20:23], 0 ; 4-byte Folded Reload
	buffer_load_dword v78, off, s[20:23], 0 offset:4 ; 4-byte Folded Reload
	buffer_load_dword v79, off, s[20:23], 0 offset:8 ; 4-byte Folded Reload
	;; [unrolled: 1-line block ×3, first 2 shown]
	ds_read2_b64 v[99:102], v125 offset0:14 offset1:15
	s_waitcnt vmcnt(0) lgkmcnt(1)
	v_mul_f64 v[97:98], v[115:116], v[79:80]
	v_mul_f64 v[79:80], v[113:114], v[79:80]
	v_fma_f64 v[97:98], v[113:114], v[77:78], -v[97:98]
	v_fma_f64 v[79:80], v[115:116], v[77:78], v[79:80]
	s_waitcnt lgkmcnt(0)
	v_mul_f64 v[77:78], v[101:102], v[79:80]
	v_fma_f64 v[77:78], v[99:100], v[97:98], -v[77:78]
	v_mul_f64 v[99:100], v[99:100], v[79:80]
	v_add_f64 v[73:74], v[73:74], -v[77:78]
	v_fma_f64 v[99:100], v[101:102], v[97:98], v[99:100]
	v_add_f64 v[75:76], v[75:76], -v[99:100]
	ds_read2_b64 v[99:102], v125 offset0:16 offset1:17
	s_waitcnt lgkmcnt(0)
	v_mul_f64 v[77:78], v[101:102], v[79:80]
	v_fma_f64 v[77:78], v[99:100], v[97:98], -v[77:78]
	v_mul_f64 v[99:100], v[99:100], v[79:80]
	v_add_f64 v[69:70], v[69:70], -v[77:78]
	v_fma_f64 v[99:100], v[101:102], v[97:98], v[99:100]
	v_add_f64 v[71:72], v[71:72], -v[99:100]
	ds_read2_b64 v[99:102], v125 offset0:18 offset1:19
	;; [unrolled: 8-line block ×19, first 2 shown]
	s_waitcnt lgkmcnt(0)
	v_mul_f64 v[77:78], v[101:102], v[79:80]
	v_fma_f64 v[77:78], v[99:100], v[97:98], -v[77:78]
	v_mul_f64 v[99:100], v[99:100], v[79:80]
	v_add_f64 v[81:82], v[81:82], -v[77:78]
	v_fma_f64 v[99:100], v[101:102], v[97:98], v[99:100]
	v_mov_b32_e32 v77, v97
	v_mov_b32_e32 v78, v98
	buffer_store_dword v77, off, s[20:23], 0 ; 4-byte Folded Spill
	s_nop 0
	buffer_store_dword v78, off, s[20:23], 0 offset:4 ; 4-byte Folded Spill
	buffer_store_dword v79, off, s[20:23], 0 offset:8 ; 4-byte Folded Spill
	;; [unrolled: 1-line block ×3, first 2 shown]
	v_add_f64 v[83:84], v[83:84], -v[99:100]
.LBB53_64:
	s_or_b64 exec, exec, s[2:3]
	v_cmp_eq_u32_e32 vcc, 7, v0
	s_waitcnt vmcnt(0) lgkmcnt(0)
	s_barrier
	s_and_saveexec_b64 s[4:5], vcc
	s_cbranch_execz .LBB53_71
; %bb.65:
	ds_write2_b64 v127, v[73:74], v[75:76] offset1:1
	ds_write2_b64 v125, v[69:70], v[71:72] offset0:16 offset1:17
	ds_write2_b64 v125, v[65:66], v[67:68] offset0:18 offset1:19
	;; [unrolled: 1-line block ×19, first 2 shown]
	ds_read2_b64 v[97:100], v127 offset1:1
	s_waitcnt lgkmcnt(0)
	v_cmp_neq_f64_e32 vcc, 0, v[97:98]
	v_cmp_neq_f64_e64 s[2:3], 0, v[99:100]
	s_or_b64 s[2:3], vcc, s[2:3]
	s_and_b64 exec, exec, s[2:3]
	s_cbranch_execz .LBB53_71
; %bb.66:
	v_cmp_ngt_f64_e64 s[2:3], |v[97:98]|, |v[99:100]|
                                        ; implicit-def: $vgpr101_vgpr102
	s_and_saveexec_b64 s[6:7], s[2:3]
	s_xor_b64 s[2:3], exec, s[6:7]
                                        ; implicit-def: $vgpr103_vgpr104
	s_cbranch_execz .LBB53_68
; %bb.67:
	v_div_scale_f64 v[101:102], s[6:7], v[99:100], v[99:100], v[97:98]
	v_rcp_f64_e32 v[103:104], v[101:102]
	v_fma_f64 v[105:106], -v[101:102], v[103:104], 1.0
	v_fma_f64 v[103:104], v[103:104], v[105:106], v[103:104]
	v_div_scale_f64 v[105:106], vcc, v[97:98], v[99:100], v[97:98]
	v_fma_f64 v[107:108], -v[101:102], v[103:104], 1.0
	v_fma_f64 v[103:104], v[103:104], v[107:108], v[103:104]
	v_mul_f64 v[107:108], v[105:106], v[103:104]
	v_fma_f64 v[101:102], -v[101:102], v[107:108], v[105:106]
	v_div_fmas_f64 v[101:102], v[101:102], v[103:104], v[107:108]
	v_div_fixup_f64 v[101:102], v[101:102], v[99:100], v[97:98]
	v_fma_f64 v[97:98], v[97:98], v[101:102], v[99:100]
	v_div_scale_f64 v[99:100], s[6:7], v[97:98], v[97:98], 1.0
	v_div_scale_f64 v[107:108], vcc, 1.0, v[97:98], 1.0
	v_rcp_f64_e32 v[103:104], v[99:100]
	v_fma_f64 v[105:106], -v[99:100], v[103:104], 1.0
	v_fma_f64 v[103:104], v[103:104], v[105:106], v[103:104]
	v_fma_f64 v[105:106], -v[99:100], v[103:104], 1.0
	v_fma_f64 v[103:104], v[103:104], v[105:106], v[103:104]
	v_mul_f64 v[105:106], v[107:108], v[103:104]
	v_fma_f64 v[99:100], -v[99:100], v[105:106], v[107:108]
	v_div_fmas_f64 v[99:100], v[99:100], v[103:104], v[105:106]
	v_div_fixup_f64 v[103:104], v[99:100], v[97:98], 1.0
                                        ; implicit-def: $vgpr97_vgpr98
	v_mul_f64 v[101:102], v[101:102], v[103:104]
	v_xor_b32_e32 v104, 0x80000000, v104
.LBB53_68:
	s_andn2_saveexec_b64 s[2:3], s[2:3]
	s_cbranch_execz .LBB53_70
; %bb.69:
	v_div_scale_f64 v[101:102], s[6:7], v[97:98], v[97:98], v[99:100]
	v_rcp_f64_e32 v[103:104], v[101:102]
	v_fma_f64 v[105:106], -v[101:102], v[103:104], 1.0
	v_fma_f64 v[103:104], v[103:104], v[105:106], v[103:104]
	v_div_scale_f64 v[105:106], vcc, v[99:100], v[97:98], v[99:100]
	v_fma_f64 v[107:108], -v[101:102], v[103:104], 1.0
	v_fma_f64 v[103:104], v[103:104], v[107:108], v[103:104]
	v_mul_f64 v[107:108], v[105:106], v[103:104]
	v_fma_f64 v[101:102], -v[101:102], v[107:108], v[105:106]
	v_div_fmas_f64 v[101:102], v[101:102], v[103:104], v[107:108]
	v_div_fixup_f64 v[103:104], v[101:102], v[97:98], v[99:100]
	v_fma_f64 v[97:98], v[99:100], v[103:104], v[97:98]
	v_div_scale_f64 v[99:100], s[6:7], v[97:98], v[97:98], 1.0
	v_div_scale_f64 v[107:108], vcc, 1.0, v[97:98], 1.0
	v_rcp_f64_e32 v[101:102], v[99:100]
	v_fma_f64 v[105:106], -v[99:100], v[101:102], 1.0
	v_fma_f64 v[101:102], v[101:102], v[105:106], v[101:102]
	v_fma_f64 v[105:106], -v[99:100], v[101:102], 1.0
	v_fma_f64 v[101:102], v[101:102], v[105:106], v[101:102]
	v_mul_f64 v[105:106], v[107:108], v[101:102]
	v_fma_f64 v[99:100], -v[99:100], v[105:106], v[107:108]
	v_div_fmas_f64 v[99:100], v[99:100], v[101:102], v[105:106]
	v_div_fixup_f64 v[101:102], v[99:100], v[97:98], 1.0
	v_mul_f64 v[103:104], v[103:104], -v[101:102]
.LBB53_70:
	s_or_b64 exec, exec, s[2:3]
	ds_write2_b64 v127, v[101:102], v[103:104] offset1:1
.LBB53_71:
	s_or_b64 exec, exec, s[4:5]
	s_waitcnt lgkmcnt(0)
	s_barrier
	ds_read2_b64 v[77:80], v127 offset1:1
	v_cmp_lt_u32_e32 vcc, 7, v0
	s_and_saveexec_b64 s[2:3], vcc
	s_cbranch_execz .LBB53_73
; %bb.72:
	s_waitcnt lgkmcnt(0)
	v_mul_f64 v[97:98], v[79:80], v[75:76]
	v_mul_f64 v[75:76], v[77:78], v[75:76]
	ds_read2_b64 v[99:102], v125 offset0:16 offset1:17
	v_fma_f64 v[97:98], v[77:78], v[73:74], -v[97:98]
	v_fma_f64 v[75:76], v[79:80], v[73:74], v[75:76]
	s_waitcnt lgkmcnt(0)
	v_mul_f64 v[73:74], v[101:102], v[75:76]
	v_fma_f64 v[73:74], v[99:100], v[97:98], -v[73:74]
	v_mul_f64 v[99:100], v[99:100], v[75:76]
	v_add_f64 v[69:70], v[69:70], -v[73:74]
	v_fma_f64 v[99:100], v[101:102], v[97:98], v[99:100]
	v_add_f64 v[71:72], v[71:72], -v[99:100]
	ds_read2_b64 v[99:102], v125 offset0:18 offset1:19
	s_waitcnt lgkmcnt(0)
	v_mul_f64 v[73:74], v[101:102], v[75:76]
	v_fma_f64 v[73:74], v[99:100], v[97:98], -v[73:74]
	v_mul_f64 v[99:100], v[99:100], v[75:76]
	v_add_f64 v[65:66], v[65:66], -v[73:74]
	v_fma_f64 v[99:100], v[101:102], v[97:98], v[99:100]
	v_add_f64 v[67:68], v[67:68], -v[99:100]
	ds_read2_b64 v[99:102], v125 offset0:20 offset1:21
	s_waitcnt lgkmcnt(0)
	v_mul_f64 v[73:74], v[101:102], v[75:76]
	v_fma_f64 v[73:74], v[99:100], v[97:98], -v[73:74]
	v_mul_f64 v[99:100], v[99:100], v[75:76]
	v_add_f64 v[61:62], v[61:62], -v[73:74]
	v_fma_f64 v[99:100], v[101:102], v[97:98], v[99:100]
	v_add_f64 v[63:64], v[63:64], -v[99:100]
	ds_read2_b64 v[99:102], v125 offset0:22 offset1:23
	s_waitcnt lgkmcnt(0)
	v_mul_f64 v[73:74], v[101:102], v[75:76]
	v_fma_f64 v[73:74], v[99:100], v[97:98], -v[73:74]
	v_mul_f64 v[99:100], v[99:100], v[75:76]
	v_add_f64 v[57:58], v[57:58], -v[73:74]
	v_fma_f64 v[99:100], v[101:102], v[97:98], v[99:100]
	v_add_f64 v[59:60], v[59:60], -v[99:100]
	ds_read2_b64 v[99:102], v125 offset0:24 offset1:25
	s_waitcnt lgkmcnt(0)
	v_mul_f64 v[73:74], v[101:102], v[75:76]
	v_fma_f64 v[73:74], v[99:100], v[97:98], -v[73:74]
	v_mul_f64 v[99:100], v[99:100], v[75:76]
	v_add_f64 v[53:54], v[53:54], -v[73:74]
	v_fma_f64 v[99:100], v[101:102], v[97:98], v[99:100]
	v_add_f64 v[55:56], v[55:56], -v[99:100]
	ds_read2_b64 v[99:102], v125 offset0:26 offset1:27
	s_waitcnt lgkmcnt(0)
	v_mul_f64 v[73:74], v[101:102], v[75:76]
	v_fma_f64 v[73:74], v[99:100], v[97:98], -v[73:74]
	v_mul_f64 v[99:100], v[99:100], v[75:76]
	v_add_f64 v[49:50], v[49:50], -v[73:74]
	v_fma_f64 v[99:100], v[101:102], v[97:98], v[99:100]
	v_add_f64 v[51:52], v[51:52], -v[99:100]
	ds_read2_b64 v[99:102], v125 offset0:28 offset1:29
	s_waitcnt lgkmcnt(0)
	v_mul_f64 v[73:74], v[101:102], v[75:76]
	v_fma_f64 v[73:74], v[99:100], v[97:98], -v[73:74]
	v_mul_f64 v[99:100], v[99:100], v[75:76]
	v_add_f64 v[45:46], v[45:46], -v[73:74]
	v_fma_f64 v[99:100], v[101:102], v[97:98], v[99:100]
	v_add_f64 v[47:48], v[47:48], -v[99:100]
	ds_read2_b64 v[99:102], v125 offset0:30 offset1:31
	s_waitcnt lgkmcnt(0)
	v_mul_f64 v[73:74], v[101:102], v[75:76]
	v_fma_f64 v[73:74], v[99:100], v[97:98], -v[73:74]
	v_mul_f64 v[99:100], v[99:100], v[75:76]
	v_add_f64 v[41:42], v[41:42], -v[73:74]
	v_fma_f64 v[99:100], v[101:102], v[97:98], v[99:100]
	v_add_f64 v[43:44], v[43:44], -v[99:100]
	ds_read2_b64 v[99:102], v125 offset0:32 offset1:33
	s_waitcnt lgkmcnt(0)
	v_mul_f64 v[73:74], v[101:102], v[75:76]
	v_fma_f64 v[73:74], v[99:100], v[97:98], -v[73:74]
	v_mul_f64 v[99:100], v[99:100], v[75:76]
	v_add_f64 v[37:38], v[37:38], -v[73:74]
	v_fma_f64 v[99:100], v[101:102], v[97:98], v[99:100]
	v_add_f64 v[39:40], v[39:40], -v[99:100]
	ds_read2_b64 v[99:102], v125 offset0:34 offset1:35
	s_waitcnt lgkmcnt(0)
	v_mul_f64 v[73:74], v[101:102], v[75:76]
	v_fma_f64 v[73:74], v[99:100], v[97:98], -v[73:74]
	v_mul_f64 v[99:100], v[99:100], v[75:76]
	v_add_f64 v[33:34], v[33:34], -v[73:74]
	v_fma_f64 v[99:100], v[101:102], v[97:98], v[99:100]
	v_add_f64 v[35:36], v[35:36], -v[99:100]
	ds_read2_b64 v[99:102], v125 offset0:36 offset1:37
	s_waitcnt lgkmcnt(0)
	v_mul_f64 v[73:74], v[101:102], v[75:76]
	v_fma_f64 v[73:74], v[99:100], v[97:98], -v[73:74]
	v_mul_f64 v[99:100], v[99:100], v[75:76]
	v_add_f64 v[29:30], v[29:30], -v[73:74]
	v_fma_f64 v[99:100], v[101:102], v[97:98], v[99:100]
	v_add_f64 v[31:32], v[31:32], -v[99:100]
	ds_read2_b64 v[99:102], v125 offset0:38 offset1:39
	s_waitcnt lgkmcnt(0)
	v_mul_f64 v[73:74], v[101:102], v[75:76]
	v_fma_f64 v[73:74], v[99:100], v[97:98], -v[73:74]
	v_mul_f64 v[99:100], v[99:100], v[75:76]
	v_add_f64 v[25:26], v[25:26], -v[73:74]
	v_fma_f64 v[99:100], v[101:102], v[97:98], v[99:100]
	v_add_f64 v[27:28], v[27:28], -v[99:100]
	ds_read2_b64 v[99:102], v125 offset0:40 offset1:41
	s_waitcnt lgkmcnt(0)
	v_mul_f64 v[73:74], v[101:102], v[75:76]
	v_fma_f64 v[73:74], v[99:100], v[97:98], -v[73:74]
	v_mul_f64 v[99:100], v[99:100], v[75:76]
	v_add_f64 v[21:22], v[21:22], -v[73:74]
	v_fma_f64 v[99:100], v[101:102], v[97:98], v[99:100]
	v_add_f64 v[23:24], v[23:24], -v[99:100]
	ds_read2_b64 v[99:102], v125 offset0:42 offset1:43
	s_waitcnt lgkmcnt(0)
	v_mul_f64 v[73:74], v[101:102], v[75:76]
	v_fma_f64 v[73:74], v[99:100], v[97:98], -v[73:74]
	v_mul_f64 v[99:100], v[99:100], v[75:76]
	v_add_f64 v[17:18], v[17:18], -v[73:74]
	v_fma_f64 v[99:100], v[101:102], v[97:98], v[99:100]
	v_add_f64 v[19:20], v[19:20], -v[99:100]
	ds_read2_b64 v[99:102], v125 offset0:44 offset1:45
	s_waitcnt lgkmcnt(0)
	v_mul_f64 v[73:74], v[101:102], v[75:76]
	v_fma_f64 v[73:74], v[99:100], v[97:98], -v[73:74]
	v_mul_f64 v[99:100], v[99:100], v[75:76]
	v_add_f64 v[13:14], v[13:14], -v[73:74]
	v_fma_f64 v[99:100], v[101:102], v[97:98], v[99:100]
	v_add_f64 v[15:16], v[15:16], -v[99:100]
	ds_read2_b64 v[99:102], v125 offset0:46 offset1:47
	s_waitcnt lgkmcnt(0)
	v_mul_f64 v[73:74], v[101:102], v[75:76]
	v_fma_f64 v[73:74], v[99:100], v[97:98], -v[73:74]
	v_mul_f64 v[99:100], v[99:100], v[75:76]
	v_add_f64 v[9:10], v[9:10], -v[73:74]
	v_fma_f64 v[99:100], v[101:102], v[97:98], v[99:100]
	v_add_f64 v[11:12], v[11:12], -v[99:100]
	ds_read2_b64 v[99:102], v125 offset0:48 offset1:49
	s_waitcnt lgkmcnt(0)
	v_mul_f64 v[73:74], v[101:102], v[75:76]
	v_fma_f64 v[73:74], v[99:100], v[97:98], -v[73:74]
	v_mul_f64 v[99:100], v[99:100], v[75:76]
	v_add_f64 v[5:6], v[5:6], -v[73:74]
	v_fma_f64 v[99:100], v[101:102], v[97:98], v[99:100]
	v_add_f64 v[7:8], v[7:8], -v[99:100]
	ds_read2_b64 v[99:102], v125 offset0:50 offset1:51
	s_waitcnt lgkmcnt(0)
	v_mul_f64 v[73:74], v[101:102], v[75:76]
	v_fma_f64 v[73:74], v[99:100], v[97:98], -v[73:74]
	v_mul_f64 v[99:100], v[99:100], v[75:76]
	v_add_f64 v[1:2], v[1:2], -v[73:74]
	v_fma_f64 v[99:100], v[101:102], v[97:98], v[99:100]
	v_add_f64 v[3:4], v[3:4], -v[99:100]
	ds_read2_b64 v[99:102], v125 offset0:52 offset1:53
	s_waitcnt lgkmcnt(0)
	v_mul_f64 v[73:74], v[101:102], v[75:76]
	v_fma_f64 v[73:74], v[99:100], v[97:98], -v[73:74]
	v_mul_f64 v[99:100], v[99:100], v[75:76]
	v_add_f64 v[81:82], v[81:82], -v[73:74]
	v_fma_f64 v[99:100], v[101:102], v[97:98], v[99:100]
	v_mov_b32_e32 v73, v97
	v_mov_b32_e32 v74, v98
	v_add_f64 v[83:84], v[83:84], -v[99:100]
.LBB53_73:
	s_or_b64 exec, exec, s[2:3]
	v_cmp_eq_u32_e32 vcc, 8, v0
	s_waitcnt lgkmcnt(0)
	s_barrier
	s_and_saveexec_b64 s[4:5], vcc
	s_cbranch_execz .LBB53_80
; %bb.74:
	ds_write2_b64 v127, v[69:70], v[71:72] offset1:1
	ds_write2_b64 v125, v[65:66], v[67:68] offset0:18 offset1:19
	ds_write2_b64 v125, v[61:62], v[63:64] offset0:20 offset1:21
	;; [unrolled: 1-line block ×18, first 2 shown]
	ds_read2_b64 v[97:100], v127 offset1:1
	s_waitcnt lgkmcnt(0)
	v_cmp_neq_f64_e32 vcc, 0, v[97:98]
	v_cmp_neq_f64_e64 s[2:3], 0, v[99:100]
	s_or_b64 s[2:3], vcc, s[2:3]
	s_and_b64 exec, exec, s[2:3]
	s_cbranch_execz .LBB53_80
; %bb.75:
	v_cmp_ngt_f64_e64 s[2:3], |v[97:98]|, |v[99:100]|
                                        ; implicit-def: $vgpr101_vgpr102
	s_and_saveexec_b64 s[6:7], s[2:3]
	s_xor_b64 s[2:3], exec, s[6:7]
                                        ; implicit-def: $vgpr103_vgpr104
	s_cbranch_execz .LBB53_77
; %bb.76:
	v_div_scale_f64 v[101:102], s[6:7], v[99:100], v[99:100], v[97:98]
	v_rcp_f64_e32 v[103:104], v[101:102]
	v_fma_f64 v[105:106], -v[101:102], v[103:104], 1.0
	v_fma_f64 v[103:104], v[103:104], v[105:106], v[103:104]
	v_div_scale_f64 v[105:106], vcc, v[97:98], v[99:100], v[97:98]
	v_fma_f64 v[107:108], -v[101:102], v[103:104], 1.0
	v_fma_f64 v[103:104], v[103:104], v[107:108], v[103:104]
	v_mul_f64 v[107:108], v[105:106], v[103:104]
	v_fma_f64 v[101:102], -v[101:102], v[107:108], v[105:106]
	v_div_fmas_f64 v[101:102], v[101:102], v[103:104], v[107:108]
	v_div_fixup_f64 v[101:102], v[101:102], v[99:100], v[97:98]
	v_fma_f64 v[97:98], v[97:98], v[101:102], v[99:100]
	v_div_scale_f64 v[99:100], s[6:7], v[97:98], v[97:98], 1.0
	v_div_scale_f64 v[107:108], vcc, 1.0, v[97:98], 1.0
	v_rcp_f64_e32 v[103:104], v[99:100]
	v_fma_f64 v[105:106], -v[99:100], v[103:104], 1.0
	v_fma_f64 v[103:104], v[103:104], v[105:106], v[103:104]
	v_fma_f64 v[105:106], -v[99:100], v[103:104], 1.0
	v_fma_f64 v[103:104], v[103:104], v[105:106], v[103:104]
	v_mul_f64 v[105:106], v[107:108], v[103:104]
	v_fma_f64 v[99:100], -v[99:100], v[105:106], v[107:108]
	v_div_fmas_f64 v[99:100], v[99:100], v[103:104], v[105:106]
	v_div_fixup_f64 v[103:104], v[99:100], v[97:98], 1.0
                                        ; implicit-def: $vgpr97_vgpr98
	v_mul_f64 v[101:102], v[101:102], v[103:104]
	v_xor_b32_e32 v104, 0x80000000, v104
.LBB53_77:
	s_andn2_saveexec_b64 s[2:3], s[2:3]
	s_cbranch_execz .LBB53_79
; %bb.78:
	v_div_scale_f64 v[101:102], s[6:7], v[97:98], v[97:98], v[99:100]
	v_rcp_f64_e32 v[103:104], v[101:102]
	v_fma_f64 v[105:106], -v[101:102], v[103:104], 1.0
	v_fma_f64 v[103:104], v[103:104], v[105:106], v[103:104]
	v_div_scale_f64 v[105:106], vcc, v[99:100], v[97:98], v[99:100]
	v_fma_f64 v[107:108], -v[101:102], v[103:104], 1.0
	v_fma_f64 v[103:104], v[103:104], v[107:108], v[103:104]
	v_mul_f64 v[107:108], v[105:106], v[103:104]
	v_fma_f64 v[101:102], -v[101:102], v[107:108], v[105:106]
	v_div_fmas_f64 v[101:102], v[101:102], v[103:104], v[107:108]
	v_div_fixup_f64 v[103:104], v[101:102], v[97:98], v[99:100]
	v_fma_f64 v[97:98], v[99:100], v[103:104], v[97:98]
	v_div_scale_f64 v[99:100], s[6:7], v[97:98], v[97:98], 1.0
	v_div_scale_f64 v[107:108], vcc, 1.0, v[97:98], 1.0
	v_rcp_f64_e32 v[101:102], v[99:100]
	v_fma_f64 v[105:106], -v[99:100], v[101:102], 1.0
	v_fma_f64 v[101:102], v[101:102], v[105:106], v[101:102]
	v_fma_f64 v[105:106], -v[99:100], v[101:102], 1.0
	v_fma_f64 v[101:102], v[101:102], v[105:106], v[101:102]
	v_mul_f64 v[105:106], v[107:108], v[101:102]
	v_fma_f64 v[99:100], -v[99:100], v[105:106], v[107:108]
	v_div_fmas_f64 v[99:100], v[99:100], v[101:102], v[105:106]
	v_div_fixup_f64 v[101:102], v[99:100], v[97:98], 1.0
	v_mul_f64 v[103:104], v[103:104], -v[101:102]
.LBB53_79:
	s_or_b64 exec, exec, s[2:3]
	ds_write2_b64 v127, v[101:102], v[103:104] offset1:1
.LBB53_80:
	s_or_b64 exec, exec, s[4:5]
	s_waitcnt lgkmcnt(0)
	s_barrier
	ds_read2_b64 v[117:120], v127 offset1:1
	v_cmp_lt_u32_e32 vcc, 8, v0
	s_and_saveexec_b64 s[2:3], vcc
	s_cbranch_execz .LBB53_82
; %bb.81:
	s_waitcnt lgkmcnt(0)
	v_mul_f64 v[97:98], v[119:120], v[71:72]
	v_mul_f64 v[71:72], v[117:118], v[71:72]
	ds_read2_b64 v[99:102], v125 offset0:18 offset1:19
	v_fma_f64 v[97:98], v[117:118], v[69:70], -v[97:98]
	v_fma_f64 v[71:72], v[119:120], v[69:70], v[71:72]
	s_waitcnt lgkmcnt(0)
	v_mul_f64 v[69:70], v[101:102], v[71:72]
	v_fma_f64 v[69:70], v[99:100], v[97:98], -v[69:70]
	v_mul_f64 v[99:100], v[99:100], v[71:72]
	v_add_f64 v[65:66], v[65:66], -v[69:70]
	v_fma_f64 v[99:100], v[101:102], v[97:98], v[99:100]
	v_add_f64 v[67:68], v[67:68], -v[99:100]
	ds_read2_b64 v[99:102], v125 offset0:20 offset1:21
	s_waitcnt lgkmcnt(0)
	v_mul_f64 v[69:70], v[101:102], v[71:72]
	v_fma_f64 v[69:70], v[99:100], v[97:98], -v[69:70]
	v_mul_f64 v[99:100], v[99:100], v[71:72]
	v_add_f64 v[61:62], v[61:62], -v[69:70]
	v_fma_f64 v[99:100], v[101:102], v[97:98], v[99:100]
	v_add_f64 v[63:64], v[63:64], -v[99:100]
	ds_read2_b64 v[99:102], v125 offset0:22 offset1:23
	;; [unrolled: 8-line block ×17, first 2 shown]
	s_waitcnt lgkmcnt(0)
	v_mul_f64 v[69:70], v[101:102], v[71:72]
	v_fma_f64 v[69:70], v[99:100], v[97:98], -v[69:70]
	v_mul_f64 v[99:100], v[99:100], v[71:72]
	v_add_f64 v[81:82], v[81:82], -v[69:70]
	v_fma_f64 v[99:100], v[101:102], v[97:98], v[99:100]
	v_mov_b32_e32 v69, v97
	v_mov_b32_e32 v70, v98
	v_add_f64 v[83:84], v[83:84], -v[99:100]
.LBB53_82:
	s_or_b64 exec, exec, s[2:3]
	v_cmp_eq_u32_e32 vcc, 9, v0
	s_waitcnt lgkmcnt(0)
	s_barrier
	s_and_saveexec_b64 s[4:5], vcc
	s_cbranch_execz .LBB53_89
; %bb.83:
	ds_write2_b64 v127, v[65:66], v[67:68] offset1:1
	ds_write2_b64 v125, v[61:62], v[63:64] offset0:20 offset1:21
	ds_write2_b64 v125, v[57:58], v[59:60] offset0:22 offset1:23
	ds_write2_b64 v125, v[53:54], v[55:56] offset0:24 offset1:25
	ds_write2_b64 v125, v[49:50], v[51:52] offset0:26 offset1:27
	ds_write2_b64 v125, v[45:46], v[47:48] offset0:28 offset1:29
	ds_write2_b64 v125, v[41:42], v[43:44] offset0:30 offset1:31
	ds_write2_b64 v125, v[37:38], v[39:40] offset0:32 offset1:33
	ds_write2_b64 v125, v[33:34], v[35:36] offset0:34 offset1:35
	ds_write2_b64 v125, v[29:30], v[31:32] offset0:36 offset1:37
	ds_write2_b64 v125, v[25:26], v[27:28] offset0:38 offset1:39
	ds_write2_b64 v125, v[21:22], v[23:24] offset0:40 offset1:41
	ds_write2_b64 v125, v[17:18], v[19:20] offset0:42 offset1:43
	ds_write2_b64 v125, v[13:14], v[15:16] offset0:44 offset1:45
	ds_write2_b64 v125, v[9:10], v[11:12] offset0:46 offset1:47
	ds_write2_b64 v125, v[5:6], v[7:8] offset0:48 offset1:49
	ds_write2_b64 v125, v[1:2], v[3:4] offset0:50 offset1:51
	ds_write2_b64 v125, v[81:82], v[83:84] offset0:52 offset1:53
	ds_read2_b64 v[97:100], v127 offset1:1
	s_waitcnt lgkmcnt(0)
	v_cmp_neq_f64_e32 vcc, 0, v[97:98]
	v_cmp_neq_f64_e64 s[2:3], 0, v[99:100]
	s_or_b64 s[2:3], vcc, s[2:3]
	s_and_b64 exec, exec, s[2:3]
	s_cbranch_execz .LBB53_89
; %bb.84:
	v_cmp_ngt_f64_e64 s[2:3], |v[97:98]|, |v[99:100]|
                                        ; implicit-def: $vgpr101_vgpr102
	s_and_saveexec_b64 s[6:7], s[2:3]
	s_xor_b64 s[2:3], exec, s[6:7]
                                        ; implicit-def: $vgpr103_vgpr104
	s_cbranch_execz .LBB53_86
; %bb.85:
	v_div_scale_f64 v[101:102], s[6:7], v[99:100], v[99:100], v[97:98]
	v_rcp_f64_e32 v[103:104], v[101:102]
	v_fma_f64 v[105:106], -v[101:102], v[103:104], 1.0
	v_fma_f64 v[103:104], v[103:104], v[105:106], v[103:104]
	v_div_scale_f64 v[105:106], vcc, v[97:98], v[99:100], v[97:98]
	v_fma_f64 v[107:108], -v[101:102], v[103:104], 1.0
	v_fma_f64 v[103:104], v[103:104], v[107:108], v[103:104]
	v_mul_f64 v[107:108], v[105:106], v[103:104]
	v_fma_f64 v[101:102], -v[101:102], v[107:108], v[105:106]
	v_div_fmas_f64 v[101:102], v[101:102], v[103:104], v[107:108]
	v_div_fixup_f64 v[101:102], v[101:102], v[99:100], v[97:98]
	v_fma_f64 v[97:98], v[97:98], v[101:102], v[99:100]
	v_div_scale_f64 v[99:100], s[6:7], v[97:98], v[97:98], 1.0
	v_div_scale_f64 v[107:108], vcc, 1.0, v[97:98], 1.0
	v_rcp_f64_e32 v[103:104], v[99:100]
	v_fma_f64 v[105:106], -v[99:100], v[103:104], 1.0
	v_fma_f64 v[103:104], v[103:104], v[105:106], v[103:104]
	v_fma_f64 v[105:106], -v[99:100], v[103:104], 1.0
	v_fma_f64 v[103:104], v[103:104], v[105:106], v[103:104]
	v_mul_f64 v[105:106], v[107:108], v[103:104]
	v_fma_f64 v[99:100], -v[99:100], v[105:106], v[107:108]
	v_div_fmas_f64 v[99:100], v[99:100], v[103:104], v[105:106]
	v_div_fixup_f64 v[103:104], v[99:100], v[97:98], 1.0
                                        ; implicit-def: $vgpr97_vgpr98
	v_mul_f64 v[101:102], v[101:102], v[103:104]
	v_xor_b32_e32 v104, 0x80000000, v104
.LBB53_86:
	s_andn2_saveexec_b64 s[2:3], s[2:3]
	s_cbranch_execz .LBB53_88
; %bb.87:
	v_div_scale_f64 v[101:102], s[6:7], v[97:98], v[97:98], v[99:100]
	v_rcp_f64_e32 v[103:104], v[101:102]
	v_fma_f64 v[105:106], -v[101:102], v[103:104], 1.0
	v_fma_f64 v[103:104], v[103:104], v[105:106], v[103:104]
	v_div_scale_f64 v[105:106], vcc, v[99:100], v[97:98], v[99:100]
	v_fma_f64 v[107:108], -v[101:102], v[103:104], 1.0
	v_fma_f64 v[103:104], v[103:104], v[107:108], v[103:104]
	v_mul_f64 v[107:108], v[105:106], v[103:104]
	v_fma_f64 v[101:102], -v[101:102], v[107:108], v[105:106]
	v_div_fmas_f64 v[101:102], v[101:102], v[103:104], v[107:108]
	v_div_fixup_f64 v[103:104], v[101:102], v[97:98], v[99:100]
	v_fma_f64 v[97:98], v[99:100], v[103:104], v[97:98]
	v_div_scale_f64 v[99:100], s[6:7], v[97:98], v[97:98], 1.0
	v_div_scale_f64 v[107:108], vcc, 1.0, v[97:98], 1.0
	v_rcp_f64_e32 v[101:102], v[99:100]
	v_fma_f64 v[105:106], -v[99:100], v[101:102], 1.0
	v_fma_f64 v[101:102], v[101:102], v[105:106], v[101:102]
	v_fma_f64 v[105:106], -v[99:100], v[101:102], 1.0
	v_fma_f64 v[101:102], v[101:102], v[105:106], v[101:102]
	v_mul_f64 v[105:106], v[107:108], v[101:102]
	v_fma_f64 v[99:100], -v[99:100], v[105:106], v[107:108]
	v_div_fmas_f64 v[99:100], v[99:100], v[101:102], v[105:106]
	v_div_fixup_f64 v[101:102], v[99:100], v[97:98], 1.0
	v_mul_f64 v[103:104], v[103:104], -v[101:102]
.LBB53_88:
	s_or_b64 exec, exec, s[2:3]
	ds_write2_b64 v127, v[101:102], v[103:104] offset1:1
.LBB53_89:
	s_or_b64 exec, exec, s[4:5]
	s_waitcnt lgkmcnt(0)
	s_barrier
	ds_read2_b64 v[121:124], v127 offset1:1
	v_cmp_lt_u32_e32 vcc, 9, v0
	s_and_saveexec_b64 s[2:3], vcc
	s_cbranch_execz .LBB53_91
; %bb.90:
	s_waitcnt lgkmcnt(0)
	v_mul_f64 v[97:98], v[123:124], v[67:68]
	v_mul_f64 v[67:68], v[121:122], v[67:68]
	ds_read2_b64 v[99:102], v125 offset0:20 offset1:21
	v_fma_f64 v[97:98], v[121:122], v[65:66], -v[97:98]
	v_fma_f64 v[67:68], v[123:124], v[65:66], v[67:68]
	s_waitcnt lgkmcnt(0)
	v_mul_f64 v[65:66], v[101:102], v[67:68]
	v_fma_f64 v[65:66], v[99:100], v[97:98], -v[65:66]
	v_mul_f64 v[99:100], v[99:100], v[67:68]
	v_add_f64 v[61:62], v[61:62], -v[65:66]
	v_fma_f64 v[99:100], v[101:102], v[97:98], v[99:100]
	v_add_f64 v[63:64], v[63:64], -v[99:100]
	ds_read2_b64 v[99:102], v125 offset0:22 offset1:23
	s_waitcnt lgkmcnt(0)
	v_mul_f64 v[65:66], v[101:102], v[67:68]
	v_fma_f64 v[65:66], v[99:100], v[97:98], -v[65:66]
	v_mul_f64 v[99:100], v[99:100], v[67:68]
	v_add_f64 v[57:58], v[57:58], -v[65:66]
	v_fma_f64 v[99:100], v[101:102], v[97:98], v[99:100]
	v_add_f64 v[59:60], v[59:60], -v[99:100]
	ds_read2_b64 v[99:102], v125 offset0:24 offset1:25
	;; [unrolled: 8-line block ×16, first 2 shown]
	s_waitcnt lgkmcnt(0)
	v_mul_f64 v[65:66], v[101:102], v[67:68]
	v_fma_f64 v[65:66], v[99:100], v[97:98], -v[65:66]
	v_mul_f64 v[99:100], v[99:100], v[67:68]
	v_add_f64 v[81:82], v[81:82], -v[65:66]
	v_fma_f64 v[99:100], v[101:102], v[97:98], v[99:100]
	v_mov_b32_e32 v65, v97
	v_mov_b32_e32 v66, v98
	v_add_f64 v[83:84], v[83:84], -v[99:100]
.LBB53_91:
	s_or_b64 exec, exec, s[2:3]
	v_cmp_eq_u32_e32 vcc, 10, v0
	s_waitcnt lgkmcnt(0)
	s_barrier
	s_and_saveexec_b64 s[4:5], vcc
	s_cbranch_execz .LBB53_98
; %bb.92:
	ds_write2_b64 v127, v[61:62], v[63:64] offset1:1
	ds_write2_b64 v125, v[57:58], v[59:60] offset0:22 offset1:23
	ds_write2_b64 v125, v[53:54], v[55:56] offset0:24 offset1:25
	;; [unrolled: 1-line block ×16, first 2 shown]
	ds_read2_b64 v[97:100], v127 offset1:1
	s_waitcnt lgkmcnt(0)
	v_cmp_neq_f64_e32 vcc, 0, v[97:98]
	v_cmp_neq_f64_e64 s[2:3], 0, v[99:100]
	s_or_b64 s[2:3], vcc, s[2:3]
	s_and_b64 exec, exec, s[2:3]
	s_cbranch_execz .LBB53_98
; %bb.93:
	v_cmp_ngt_f64_e64 s[2:3], |v[97:98]|, |v[99:100]|
                                        ; implicit-def: $vgpr101_vgpr102
	s_and_saveexec_b64 s[6:7], s[2:3]
	s_xor_b64 s[2:3], exec, s[6:7]
                                        ; implicit-def: $vgpr103_vgpr104
	s_cbranch_execz .LBB53_95
; %bb.94:
	v_div_scale_f64 v[101:102], s[6:7], v[99:100], v[99:100], v[97:98]
	v_rcp_f64_e32 v[103:104], v[101:102]
	v_fma_f64 v[105:106], -v[101:102], v[103:104], 1.0
	v_fma_f64 v[103:104], v[103:104], v[105:106], v[103:104]
	v_div_scale_f64 v[105:106], vcc, v[97:98], v[99:100], v[97:98]
	v_fma_f64 v[107:108], -v[101:102], v[103:104], 1.0
	v_fma_f64 v[103:104], v[103:104], v[107:108], v[103:104]
	v_mul_f64 v[107:108], v[105:106], v[103:104]
	v_fma_f64 v[101:102], -v[101:102], v[107:108], v[105:106]
	v_div_fmas_f64 v[101:102], v[101:102], v[103:104], v[107:108]
	v_div_fixup_f64 v[101:102], v[101:102], v[99:100], v[97:98]
	v_fma_f64 v[97:98], v[97:98], v[101:102], v[99:100]
	v_div_scale_f64 v[99:100], s[6:7], v[97:98], v[97:98], 1.0
	v_div_scale_f64 v[107:108], vcc, 1.0, v[97:98], 1.0
	v_rcp_f64_e32 v[103:104], v[99:100]
	v_fma_f64 v[105:106], -v[99:100], v[103:104], 1.0
	v_fma_f64 v[103:104], v[103:104], v[105:106], v[103:104]
	v_fma_f64 v[105:106], -v[99:100], v[103:104], 1.0
	v_fma_f64 v[103:104], v[103:104], v[105:106], v[103:104]
	v_mul_f64 v[105:106], v[107:108], v[103:104]
	v_fma_f64 v[99:100], -v[99:100], v[105:106], v[107:108]
	v_div_fmas_f64 v[99:100], v[99:100], v[103:104], v[105:106]
	v_div_fixup_f64 v[103:104], v[99:100], v[97:98], 1.0
                                        ; implicit-def: $vgpr97_vgpr98
	v_mul_f64 v[101:102], v[101:102], v[103:104]
	v_xor_b32_e32 v104, 0x80000000, v104
.LBB53_95:
	s_andn2_saveexec_b64 s[2:3], s[2:3]
	s_cbranch_execz .LBB53_97
; %bb.96:
	v_div_scale_f64 v[101:102], s[6:7], v[97:98], v[97:98], v[99:100]
	v_rcp_f64_e32 v[103:104], v[101:102]
	v_fma_f64 v[105:106], -v[101:102], v[103:104], 1.0
	v_fma_f64 v[103:104], v[103:104], v[105:106], v[103:104]
	v_div_scale_f64 v[105:106], vcc, v[99:100], v[97:98], v[99:100]
	v_fma_f64 v[107:108], -v[101:102], v[103:104], 1.0
	v_fma_f64 v[103:104], v[103:104], v[107:108], v[103:104]
	v_mul_f64 v[107:108], v[105:106], v[103:104]
	v_fma_f64 v[101:102], -v[101:102], v[107:108], v[105:106]
	v_div_fmas_f64 v[101:102], v[101:102], v[103:104], v[107:108]
	v_div_fixup_f64 v[103:104], v[101:102], v[97:98], v[99:100]
	v_fma_f64 v[97:98], v[99:100], v[103:104], v[97:98]
	v_div_scale_f64 v[99:100], s[6:7], v[97:98], v[97:98], 1.0
	v_div_scale_f64 v[107:108], vcc, 1.0, v[97:98], 1.0
	v_rcp_f64_e32 v[101:102], v[99:100]
	v_fma_f64 v[105:106], -v[99:100], v[101:102], 1.0
	v_fma_f64 v[101:102], v[101:102], v[105:106], v[101:102]
	v_fma_f64 v[105:106], -v[99:100], v[101:102], 1.0
	v_fma_f64 v[101:102], v[101:102], v[105:106], v[101:102]
	v_mul_f64 v[105:106], v[107:108], v[101:102]
	v_fma_f64 v[99:100], -v[99:100], v[105:106], v[107:108]
	v_div_fmas_f64 v[99:100], v[99:100], v[101:102], v[105:106]
	v_div_fixup_f64 v[101:102], v[99:100], v[97:98], 1.0
	v_mul_f64 v[103:104], v[103:104], -v[101:102]
.LBB53_97:
	s_or_b64 exec, exec, s[2:3]
	ds_write2_b64 v127, v[101:102], v[103:104] offset1:1
.LBB53_98:
	s_or_b64 exec, exec, s[4:5]
	s_waitcnt lgkmcnt(0)
	s_barrier
	ds_read2_b64 v[97:100], v127 offset1:1
	v_cmp_lt_u32_e32 vcc, 10, v0
	s_waitcnt lgkmcnt(0)
	buffer_store_dword v97, off, s[20:23], 0 offset:384 ; 4-byte Folded Spill
	s_nop 0
	buffer_store_dword v98, off, s[20:23], 0 offset:388 ; 4-byte Folded Spill
	buffer_store_dword v99, off, s[20:23], 0 offset:392 ; 4-byte Folded Spill
	;; [unrolled: 1-line block ×3, first 2 shown]
	s_and_saveexec_b64 s[2:3], vcc
	s_cbranch_execz .LBB53_100
; %bb.99:
	buffer_load_dword v99, off, s[20:23], 0 offset:384 ; 4-byte Folded Reload
	buffer_load_dword v100, off, s[20:23], 0 offset:388 ; 4-byte Folded Reload
	buffer_load_dword v101, off, s[20:23], 0 offset:392 ; 4-byte Folded Reload
	buffer_load_dword v102, off, s[20:23], 0 offset:396 ; 4-byte Folded Reload
	s_waitcnt vmcnt(2)
	v_mul_f64 v[97:98], v[99:100], v[63:64]
	s_waitcnt vmcnt(0)
	v_mul_f64 v[63:64], v[101:102], v[63:64]
	v_fma_f64 v[97:98], v[101:102], v[61:62], v[97:98]
	v_fma_f64 v[61:62], v[99:100], v[61:62], -v[63:64]
	ds_read2_b64 v[99:102], v125 offset0:22 offset1:23
	s_waitcnt lgkmcnt(0)
	v_mul_f64 v[63:64], v[101:102], v[97:98]
	v_fma_f64 v[63:64], v[99:100], v[61:62], -v[63:64]
	v_mul_f64 v[99:100], v[99:100], v[97:98]
	v_add_f64 v[57:58], v[57:58], -v[63:64]
	v_fma_f64 v[99:100], v[101:102], v[61:62], v[99:100]
	v_add_f64 v[59:60], v[59:60], -v[99:100]
	ds_read2_b64 v[99:102], v125 offset0:24 offset1:25
	s_waitcnt lgkmcnt(0)
	v_mul_f64 v[63:64], v[101:102], v[97:98]
	v_fma_f64 v[63:64], v[99:100], v[61:62], -v[63:64]
	v_mul_f64 v[99:100], v[99:100], v[97:98]
	v_add_f64 v[53:54], v[53:54], -v[63:64]
	v_fma_f64 v[99:100], v[101:102], v[61:62], v[99:100]
	v_add_f64 v[55:56], v[55:56], -v[99:100]
	;; [unrolled: 8-line block ×15, first 2 shown]
	ds_read2_b64 v[99:102], v125 offset0:52 offset1:53
	s_waitcnt lgkmcnt(0)
	v_mul_f64 v[63:64], v[101:102], v[97:98]
	v_fma_f64 v[63:64], v[99:100], v[61:62], -v[63:64]
	v_mul_f64 v[99:100], v[99:100], v[97:98]
	v_add_f64 v[81:82], v[81:82], -v[63:64]
	v_fma_f64 v[99:100], v[101:102], v[61:62], v[99:100]
	v_mov_b32_e32 v63, v97
	v_mov_b32_e32 v64, v98
	v_add_f64 v[83:84], v[83:84], -v[99:100]
.LBB53_100:
	s_or_b64 exec, exec, s[2:3]
	v_cmp_eq_u32_e32 vcc, 11, v0
	s_waitcnt vmcnt(0)
	s_barrier
	s_and_saveexec_b64 s[4:5], vcc
	s_cbranch_execz .LBB53_107
; %bb.101:
	ds_write2_b64 v127, v[57:58], v[59:60] offset1:1
	ds_write2_b64 v125, v[53:54], v[55:56] offset0:24 offset1:25
	ds_write2_b64 v125, v[49:50], v[51:52] offset0:26 offset1:27
	;; [unrolled: 1-line block ×15, first 2 shown]
	ds_read2_b64 v[97:100], v127 offset1:1
	s_waitcnt lgkmcnt(0)
	v_cmp_neq_f64_e32 vcc, 0, v[97:98]
	v_cmp_neq_f64_e64 s[2:3], 0, v[99:100]
	s_or_b64 s[2:3], vcc, s[2:3]
	s_and_b64 exec, exec, s[2:3]
	s_cbranch_execz .LBB53_107
; %bb.102:
	v_cmp_ngt_f64_e64 s[2:3], |v[97:98]|, |v[99:100]|
                                        ; implicit-def: $vgpr101_vgpr102
	s_and_saveexec_b64 s[6:7], s[2:3]
	s_xor_b64 s[2:3], exec, s[6:7]
                                        ; implicit-def: $vgpr103_vgpr104
	s_cbranch_execz .LBB53_104
; %bb.103:
	v_div_scale_f64 v[101:102], s[6:7], v[99:100], v[99:100], v[97:98]
	v_rcp_f64_e32 v[103:104], v[101:102]
	v_fma_f64 v[105:106], -v[101:102], v[103:104], 1.0
	v_fma_f64 v[103:104], v[103:104], v[105:106], v[103:104]
	v_div_scale_f64 v[105:106], vcc, v[97:98], v[99:100], v[97:98]
	v_fma_f64 v[107:108], -v[101:102], v[103:104], 1.0
	v_fma_f64 v[103:104], v[103:104], v[107:108], v[103:104]
	v_mul_f64 v[107:108], v[105:106], v[103:104]
	v_fma_f64 v[101:102], -v[101:102], v[107:108], v[105:106]
	v_div_fmas_f64 v[101:102], v[101:102], v[103:104], v[107:108]
	v_div_fixup_f64 v[101:102], v[101:102], v[99:100], v[97:98]
	v_fma_f64 v[97:98], v[97:98], v[101:102], v[99:100]
	v_div_scale_f64 v[99:100], s[6:7], v[97:98], v[97:98], 1.0
	v_div_scale_f64 v[107:108], vcc, 1.0, v[97:98], 1.0
	v_rcp_f64_e32 v[103:104], v[99:100]
	v_fma_f64 v[105:106], -v[99:100], v[103:104], 1.0
	v_fma_f64 v[103:104], v[103:104], v[105:106], v[103:104]
	v_fma_f64 v[105:106], -v[99:100], v[103:104], 1.0
	v_fma_f64 v[103:104], v[103:104], v[105:106], v[103:104]
	v_mul_f64 v[105:106], v[107:108], v[103:104]
	v_fma_f64 v[99:100], -v[99:100], v[105:106], v[107:108]
	v_div_fmas_f64 v[99:100], v[99:100], v[103:104], v[105:106]
	v_div_fixup_f64 v[103:104], v[99:100], v[97:98], 1.0
                                        ; implicit-def: $vgpr97_vgpr98
	v_mul_f64 v[101:102], v[101:102], v[103:104]
	v_xor_b32_e32 v104, 0x80000000, v104
.LBB53_104:
	s_andn2_saveexec_b64 s[2:3], s[2:3]
	s_cbranch_execz .LBB53_106
; %bb.105:
	v_div_scale_f64 v[101:102], s[6:7], v[97:98], v[97:98], v[99:100]
	v_rcp_f64_e32 v[103:104], v[101:102]
	v_fma_f64 v[105:106], -v[101:102], v[103:104], 1.0
	v_fma_f64 v[103:104], v[103:104], v[105:106], v[103:104]
	v_div_scale_f64 v[105:106], vcc, v[99:100], v[97:98], v[99:100]
	v_fma_f64 v[107:108], -v[101:102], v[103:104], 1.0
	v_fma_f64 v[103:104], v[103:104], v[107:108], v[103:104]
	v_mul_f64 v[107:108], v[105:106], v[103:104]
	v_fma_f64 v[101:102], -v[101:102], v[107:108], v[105:106]
	v_div_fmas_f64 v[101:102], v[101:102], v[103:104], v[107:108]
	v_div_fixup_f64 v[103:104], v[101:102], v[97:98], v[99:100]
	v_fma_f64 v[97:98], v[99:100], v[103:104], v[97:98]
	v_div_scale_f64 v[99:100], s[6:7], v[97:98], v[97:98], 1.0
	v_div_scale_f64 v[107:108], vcc, 1.0, v[97:98], 1.0
	v_rcp_f64_e32 v[101:102], v[99:100]
	v_fma_f64 v[105:106], -v[99:100], v[101:102], 1.0
	v_fma_f64 v[101:102], v[101:102], v[105:106], v[101:102]
	v_fma_f64 v[105:106], -v[99:100], v[101:102], 1.0
	v_fma_f64 v[101:102], v[101:102], v[105:106], v[101:102]
	v_mul_f64 v[105:106], v[107:108], v[101:102]
	v_fma_f64 v[99:100], -v[99:100], v[105:106], v[107:108]
	v_div_fmas_f64 v[99:100], v[99:100], v[101:102], v[105:106]
	v_div_fixup_f64 v[101:102], v[99:100], v[97:98], 1.0
	v_mul_f64 v[103:104], v[103:104], -v[101:102]
.LBB53_106:
	s_or_b64 exec, exec, s[2:3]
	ds_write2_b64 v127, v[101:102], v[103:104] offset1:1
.LBB53_107:
	s_or_b64 exec, exec, s[4:5]
	s_waitcnt lgkmcnt(0)
	s_barrier
	ds_read2_b64 v[97:100], v127 offset1:1
	v_cmp_lt_u32_e32 vcc, 11, v0
	s_waitcnt lgkmcnt(0)
	buffer_store_dword v97, off, s[20:23], 0 offset:400 ; 4-byte Folded Spill
	s_nop 0
	buffer_store_dword v98, off, s[20:23], 0 offset:404 ; 4-byte Folded Spill
	buffer_store_dword v99, off, s[20:23], 0 offset:408 ; 4-byte Folded Spill
	;; [unrolled: 1-line block ×3, first 2 shown]
	s_and_saveexec_b64 s[2:3], vcc
	s_cbranch_execz .LBB53_109
; %bb.108:
	buffer_load_dword v99, off, s[20:23], 0 offset:400 ; 4-byte Folded Reload
	buffer_load_dword v100, off, s[20:23], 0 offset:404 ; 4-byte Folded Reload
	;; [unrolled: 1-line block ×4, first 2 shown]
	s_waitcnt vmcnt(2)
	v_mul_f64 v[97:98], v[99:100], v[59:60]
	s_waitcnt vmcnt(0)
	v_mul_f64 v[59:60], v[101:102], v[59:60]
	v_fma_f64 v[97:98], v[101:102], v[57:58], v[97:98]
	v_fma_f64 v[57:58], v[99:100], v[57:58], -v[59:60]
	ds_read2_b64 v[99:102], v125 offset0:24 offset1:25
	s_waitcnt lgkmcnt(0)
	v_mul_f64 v[59:60], v[101:102], v[97:98]
	v_fma_f64 v[59:60], v[99:100], v[57:58], -v[59:60]
	v_mul_f64 v[99:100], v[99:100], v[97:98]
	v_add_f64 v[53:54], v[53:54], -v[59:60]
	v_fma_f64 v[99:100], v[101:102], v[57:58], v[99:100]
	v_add_f64 v[55:56], v[55:56], -v[99:100]
	ds_read2_b64 v[99:102], v125 offset0:26 offset1:27
	s_waitcnt lgkmcnt(0)
	v_mul_f64 v[59:60], v[101:102], v[97:98]
	v_fma_f64 v[59:60], v[99:100], v[57:58], -v[59:60]
	v_mul_f64 v[99:100], v[99:100], v[97:98]
	v_add_f64 v[49:50], v[49:50], -v[59:60]
	v_fma_f64 v[99:100], v[101:102], v[57:58], v[99:100]
	v_add_f64 v[51:52], v[51:52], -v[99:100]
	;; [unrolled: 8-line block ×14, first 2 shown]
	ds_read2_b64 v[99:102], v125 offset0:52 offset1:53
	s_waitcnt lgkmcnt(0)
	v_mul_f64 v[59:60], v[101:102], v[97:98]
	v_fma_f64 v[59:60], v[99:100], v[57:58], -v[59:60]
	v_mul_f64 v[99:100], v[99:100], v[97:98]
	v_add_f64 v[81:82], v[81:82], -v[59:60]
	v_fma_f64 v[99:100], v[101:102], v[57:58], v[99:100]
	v_mov_b32_e32 v59, v97
	v_mov_b32_e32 v60, v98
	v_add_f64 v[83:84], v[83:84], -v[99:100]
.LBB53_109:
	s_or_b64 exec, exec, s[2:3]
	v_cmp_eq_u32_e32 vcc, 12, v0
	s_waitcnt vmcnt(0)
	s_barrier
	s_and_saveexec_b64 s[4:5], vcc
	s_cbranch_execz .LBB53_116
; %bb.110:
	ds_write2_b64 v127, v[53:54], v[55:56] offset1:1
	ds_write2_b64 v125, v[49:50], v[51:52] offset0:26 offset1:27
	ds_write2_b64 v125, v[45:46], v[47:48] offset0:28 offset1:29
	;; [unrolled: 1-line block ×14, first 2 shown]
	ds_read2_b64 v[97:100], v127 offset1:1
	s_waitcnt lgkmcnt(0)
	v_cmp_neq_f64_e32 vcc, 0, v[97:98]
	v_cmp_neq_f64_e64 s[2:3], 0, v[99:100]
	s_or_b64 s[2:3], vcc, s[2:3]
	s_and_b64 exec, exec, s[2:3]
	s_cbranch_execz .LBB53_116
; %bb.111:
	v_cmp_ngt_f64_e64 s[2:3], |v[97:98]|, |v[99:100]|
                                        ; implicit-def: $vgpr101_vgpr102
	s_and_saveexec_b64 s[6:7], s[2:3]
	s_xor_b64 s[2:3], exec, s[6:7]
                                        ; implicit-def: $vgpr103_vgpr104
	s_cbranch_execz .LBB53_113
; %bb.112:
	v_div_scale_f64 v[101:102], s[6:7], v[99:100], v[99:100], v[97:98]
	v_rcp_f64_e32 v[103:104], v[101:102]
	v_fma_f64 v[105:106], -v[101:102], v[103:104], 1.0
	v_fma_f64 v[103:104], v[103:104], v[105:106], v[103:104]
	v_div_scale_f64 v[105:106], vcc, v[97:98], v[99:100], v[97:98]
	v_fma_f64 v[107:108], -v[101:102], v[103:104], 1.0
	v_fma_f64 v[103:104], v[103:104], v[107:108], v[103:104]
	v_mul_f64 v[107:108], v[105:106], v[103:104]
	v_fma_f64 v[101:102], -v[101:102], v[107:108], v[105:106]
	v_div_fmas_f64 v[101:102], v[101:102], v[103:104], v[107:108]
	v_div_fixup_f64 v[101:102], v[101:102], v[99:100], v[97:98]
	v_fma_f64 v[97:98], v[97:98], v[101:102], v[99:100]
	v_div_scale_f64 v[99:100], s[6:7], v[97:98], v[97:98], 1.0
	v_div_scale_f64 v[107:108], vcc, 1.0, v[97:98], 1.0
	v_rcp_f64_e32 v[103:104], v[99:100]
	v_fma_f64 v[105:106], -v[99:100], v[103:104], 1.0
	v_fma_f64 v[103:104], v[103:104], v[105:106], v[103:104]
	v_fma_f64 v[105:106], -v[99:100], v[103:104], 1.0
	v_fma_f64 v[103:104], v[103:104], v[105:106], v[103:104]
	v_mul_f64 v[105:106], v[107:108], v[103:104]
	v_fma_f64 v[99:100], -v[99:100], v[105:106], v[107:108]
	v_div_fmas_f64 v[99:100], v[99:100], v[103:104], v[105:106]
	v_div_fixup_f64 v[103:104], v[99:100], v[97:98], 1.0
                                        ; implicit-def: $vgpr97_vgpr98
	v_mul_f64 v[101:102], v[101:102], v[103:104]
	v_xor_b32_e32 v104, 0x80000000, v104
.LBB53_113:
	s_andn2_saveexec_b64 s[2:3], s[2:3]
	s_cbranch_execz .LBB53_115
; %bb.114:
	v_div_scale_f64 v[101:102], s[6:7], v[97:98], v[97:98], v[99:100]
	v_rcp_f64_e32 v[103:104], v[101:102]
	v_fma_f64 v[105:106], -v[101:102], v[103:104], 1.0
	v_fma_f64 v[103:104], v[103:104], v[105:106], v[103:104]
	v_div_scale_f64 v[105:106], vcc, v[99:100], v[97:98], v[99:100]
	v_fma_f64 v[107:108], -v[101:102], v[103:104], 1.0
	v_fma_f64 v[103:104], v[103:104], v[107:108], v[103:104]
	v_mul_f64 v[107:108], v[105:106], v[103:104]
	v_fma_f64 v[101:102], -v[101:102], v[107:108], v[105:106]
	v_div_fmas_f64 v[101:102], v[101:102], v[103:104], v[107:108]
	v_div_fixup_f64 v[103:104], v[101:102], v[97:98], v[99:100]
	v_fma_f64 v[97:98], v[99:100], v[103:104], v[97:98]
	v_div_scale_f64 v[99:100], s[6:7], v[97:98], v[97:98], 1.0
	v_div_scale_f64 v[107:108], vcc, 1.0, v[97:98], 1.0
	v_rcp_f64_e32 v[101:102], v[99:100]
	v_fma_f64 v[105:106], -v[99:100], v[101:102], 1.0
	v_fma_f64 v[101:102], v[101:102], v[105:106], v[101:102]
	v_fma_f64 v[105:106], -v[99:100], v[101:102], 1.0
	v_fma_f64 v[101:102], v[101:102], v[105:106], v[101:102]
	v_mul_f64 v[105:106], v[107:108], v[101:102]
	v_fma_f64 v[99:100], -v[99:100], v[105:106], v[107:108]
	v_div_fmas_f64 v[99:100], v[99:100], v[101:102], v[105:106]
	v_div_fixup_f64 v[101:102], v[99:100], v[97:98], 1.0
	v_mul_f64 v[103:104], v[103:104], -v[101:102]
.LBB53_115:
	s_or_b64 exec, exec, s[2:3]
	ds_write2_b64 v127, v[101:102], v[103:104] offset1:1
.LBB53_116:
	s_or_b64 exec, exec, s[4:5]
	s_waitcnt lgkmcnt(0)
	s_barrier
	ds_read2_b64 v[97:100], v127 offset1:1
	v_cmp_lt_u32_e32 vcc, 12, v0
	s_waitcnt lgkmcnt(0)
	buffer_store_dword v97, off, s[20:23], 0 offset:416 ; 4-byte Folded Spill
	s_nop 0
	buffer_store_dword v98, off, s[20:23], 0 offset:420 ; 4-byte Folded Spill
	buffer_store_dword v99, off, s[20:23], 0 offset:424 ; 4-byte Folded Spill
	;; [unrolled: 1-line block ×3, first 2 shown]
	s_and_saveexec_b64 s[2:3], vcc
	s_cbranch_execz .LBB53_118
; %bb.117:
	buffer_load_dword v99, off, s[20:23], 0 offset:416 ; 4-byte Folded Reload
	buffer_load_dword v100, off, s[20:23], 0 offset:420 ; 4-byte Folded Reload
	;; [unrolled: 1-line block ×4, first 2 shown]
	s_waitcnt vmcnt(2)
	v_mul_f64 v[97:98], v[99:100], v[55:56]
	s_waitcnt vmcnt(0)
	v_mul_f64 v[55:56], v[101:102], v[55:56]
	v_fma_f64 v[97:98], v[101:102], v[53:54], v[97:98]
	v_fma_f64 v[53:54], v[99:100], v[53:54], -v[55:56]
	ds_read2_b64 v[99:102], v125 offset0:26 offset1:27
	s_waitcnt lgkmcnt(0)
	v_mul_f64 v[55:56], v[101:102], v[97:98]
	v_fma_f64 v[55:56], v[99:100], v[53:54], -v[55:56]
	v_mul_f64 v[99:100], v[99:100], v[97:98]
	v_add_f64 v[49:50], v[49:50], -v[55:56]
	v_fma_f64 v[99:100], v[101:102], v[53:54], v[99:100]
	v_add_f64 v[51:52], v[51:52], -v[99:100]
	ds_read2_b64 v[99:102], v125 offset0:28 offset1:29
	s_waitcnt lgkmcnt(0)
	v_mul_f64 v[55:56], v[101:102], v[97:98]
	v_fma_f64 v[55:56], v[99:100], v[53:54], -v[55:56]
	v_mul_f64 v[99:100], v[99:100], v[97:98]
	v_add_f64 v[45:46], v[45:46], -v[55:56]
	v_fma_f64 v[99:100], v[101:102], v[53:54], v[99:100]
	v_add_f64 v[47:48], v[47:48], -v[99:100]
	;; [unrolled: 8-line block ×13, first 2 shown]
	ds_read2_b64 v[99:102], v125 offset0:52 offset1:53
	s_waitcnt lgkmcnt(0)
	v_mul_f64 v[55:56], v[101:102], v[97:98]
	v_fma_f64 v[55:56], v[99:100], v[53:54], -v[55:56]
	v_mul_f64 v[99:100], v[99:100], v[97:98]
	v_add_f64 v[81:82], v[81:82], -v[55:56]
	v_fma_f64 v[99:100], v[101:102], v[53:54], v[99:100]
	v_mov_b32_e32 v55, v97
	v_mov_b32_e32 v56, v98
	v_add_f64 v[83:84], v[83:84], -v[99:100]
.LBB53_118:
	s_or_b64 exec, exec, s[2:3]
	v_cmp_eq_u32_e32 vcc, 13, v0
	s_waitcnt vmcnt(0)
	s_barrier
	s_and_saveexec_b64 s[4:5], vcc
	s_cbranch_execz .LBB53_125
; %bb.119:
	ds_write2_b64 v127, v[49:50], v[51:52] offset1:1
	ds_write2_b64 v125, v[45:46], v[47:48] offset0:28 offset1:29
	ds_write2_b64 v125, v[41:42], v[43:44] offset0:30 offset1:31
	;; [unrolled: 1-line block ×13, first 2 shown]
	ds_read2_b64 v[97:100], v127 offset1:1
	s_waitcnt lgkmcnt(0)
	v_cmp_neq_f64_e32 vcc, 0, v[97:98]
	v_cmp_neq_f64_e64 s[2:3], 0, v[99:100]
	s_or_b64 s[2:3], vcc, s[2:3]
	s_and_b64 exec, exec, s[2:3]
	s_cbranch_execz .LBB53_125
; %bb.120:
	v_cmp_ngt_f64_e64 s[2:3], |v[97:98]|, |v[99:100]|
                                        ; implicit-def: $vgpr101_vgpr102
	s_and_saveexec_b64 s[6:7], s[2:3]
	s_xor_b64 s[2:3], exec, s[6:7]
                                        ; implicit-def: $vgpr103_vgpr104
	s_cbranch_execz .LBB53_122
; %bb.121:
	v_div_scale_f64 v[101:102], s[6:7], v[99:100], v[99:100], v[97:98]
	v_rcp_f64_e32 v[103:104], v[101:102]
	v_fma_f64 v[105:106], -v[101:102], v[103:104], 1.0
	v_fma_f64 v[103:104], v[103:104], v[105:106], v[103:104]
	v_div_scale_f64 v[105:106], vcc, v[97:98], v[99:100], v[97:98]
	v_fma_f64 v[107:108], -v[101:102], v[103:104], 1.0
	v_fma_f64 v[103:104], v[103:104], v[107:108], v[103:104]
	v_mul_f64 v[107:108], v[105:106], v[103:104]
	v_fma_f64 v[101:102], -v[101:102], v[107:108], v[105:106]
	v_div_fmas_f64 v[101:102], v[101:102], v[103:104], v[107:108]
	v_div_fixup_f64 v[101:102], v[101:102], v[99:100], v[97:98]
	v_fma_f64 v[97:98], v[97:98], v[101:102], v[99:100]
	v_div_scale_f64 v[99:100], s[6:7], v[97:98], v[97:98], 1.0
	v_div_scale_f64 v[107:108], vcc, 1.0, v[97:98], 1.0
	v_rcp_f64_e32 v[103:104], v[99:100]
	v_fma_f64 v[105:106], -v[99:100], v[103:104], 1.0
	v_fma_f64 v[103:104], v[103:104], v[105:106], v[103:104]
	v_fma_f64 v[105:106], -v[99:100], v[103:104], 1.0
	v_fma_f64 v[103:104], v[103:104], v[105:106], v[103:104]
	v_mul_f64 v[105:106], v[107:108], v[103:104]
	v_fma_f64 v[99:100], -v[99:100], v[105:106], v[107:108]
	v_div_fmas_f64 v[99:100], v[99:100], v[103:104], v[105:106]
	v_div_fixup_f64 v[103:104], v[99:100], v[97:98], 1.0
                                        ; implicit-def: $vgpr97_vgpr98
	v_mul_f64 v[101:102], v[101:102], v[103:104]
	v_xor_b32_e32 v104, 0x80000000, v104
.LBB53_122:
	s_andn2_saveexec_b64 s[2:3], s[2:3]
	s_cbranch_execz .LBB53_124
; %bb.123:
	v_div_scale_f64 v[101:102], s[6:7], v[97:98], v[97:98], v[99:100]
	v_rcp_f64_e32 v[103:104], v[101:102]
	v_fma_f64 v[105:106], -v[101:102], v[103:104], 1.0
	v_fma_f64 v[103:104], v[103:104], v[105:106], v[103:104]
	v_div_scale_f64 v[105:106], vcc, v[99:100], v[97:98], v[99:100]
	v_fma_f64 v[107:108], -v[101:102], v[103:104], 1.0
	v_fma_f64 v[103:104], v[103:104], v[107:108], v[103:104]
	v_mul_f64 v[107:108], v[105:106], v[103:104]
	v_fma_f64 v[101:102], -v[101:102], v[107:108], v[105:106]
	v_div_fmas_f64 v[101:102], v[101:102], v[103:104], v[107:108]
	v_div_fixup_f64 v[103:104], v[101:102], v[97:98], v[99:100]
	v_fma_f64 v[97:98], v[99:100], v[103:104], v[97:98]
	v_div_scale_f64 v[99:100], s[6:7], v[97:98], v[97:98], 1.0
	v_div_scale_f64 v[107:108], vcc, 1.0, v[97:98], 1.0
	v_rcp_f64_e32 v[101:102], v[99:100]
	v_fma_f64 v[105:106], -v[99:100], v[101:102], 1.0
	v_fma_f64 v[101:102], v[101:102], v[105:106], v[101:102]
	v_fma_f64 v[105:106], -v[99:100], v[101:102], 1.0
	v_fma_f64 v[101:102], v[101:102], v[105:106], v[101:102]
	v_mul_f64 v[105:106], v[107:108], v[101:102]
	v_fma_f64 v[99:100], -v[99:100], v[105:106], v[107:108]
	v_div_fmas_f64 v[99:100], v[99:100], v[101:102], v[105:106]
	v_div_fixup_f64 v[101:102], v[99:100], v[97:98], 1.0
	v_mul_f64 v[103:104], v[103:104], -v[101:102]
.LBB53_124:
	s_or_b64 exec, exec, s[2:3]
	ds_write2_b64 v127, v[101:102], v[103:104] offset1:1
.LBB53_125:
	s_or_b64 exec, exec, s[4:5]
	s_waitcnt lgkmcnt(0)
	s_barrier
	ds_read2_b64 v[97:100], v127 offset1:1
	v_cmp_lt_u32_e32 vcc, 13, v0
	s_waitcnt lgkmcnt(0)
	buffer_store_dword v97, off, s[20:23], 0 offset:432 ; 4-byte Folded Spill
	s_nop 0
	buffer_store_dword v98, off, s[20:23], 0 offset:436 ; 4-byte Folded Spill
	buffer_store_dword v99, off, s[20:23], 0 offset:440 ; 4-byte Folded Spill
	;; [unrolled: 1-line block ×3, first 2 shown]
	s_and_saveexec_b64 s[2:3], vcc
	s_cbranch_execz .LBB53_127
; %bb.126:
	buffer_load_dword v99, off, s[20:23], 0 offset:432 ; 4-byte Folded Reload
	buffer_load_dword v100, off, s[20:23], 0 offset:436 ; 4-byte Folded Reload
	;; [unrolled: 1-line block ×4, first 2 shown]
	s_waitcnt vmcnt(2)
	v_mul_f64 v[97:98], v[99:100], v[51:52]
	s_waitcnt vmcnt(0)
	v_mul_f64 v[51:52], v[101:102], v[51:52]
	v_fma_f64 v[97:98], v[101:102], v[49:50], v[97:98]
	v_fma_f64 v[49:50], v[99:100], v[49:50], -v[51:52]
	ds_read2_b64 v[99:102], v125 offset0:28 offset1:29
	s_waitcnt lgkmcnt(0)
	v_mul_f64 v[51:52], v[101:102], v[97:98]
	v_fma_f64 v[51:52], v[99:100], v[49:50], -v[51:52]
	v_mul_f64 v[99:100], v[99:100], v[97:98]
	v_add_f64 v[45:46], v[45:46], -v[51:52]
	v_fma_f64 v[99:100], v[101:102], v[49:50], v[99:100]
	v_add_f64 v[47:48], v[47:48], -v[99:100]
	ds_read2_b64 v[99:102], v125 offset0:30 offset1:31
	s_waitcnt lgkmcnt(0)
	v_mul_f64 v[51:52], v[101:102], v[97:98]
	v_fma_f64 v[51:52], v[99:100], v[49:50], -v[51:52]
	v_mul_f64 v[99:100], v[99:100], v[97:98]
	v_add_f64 v[41:42], v[41:42], -v[51:52]
	v_fma_f64 v[99:100], v[101:102], v[49:50], v[99:100]
	v_add_f64 v[43:44], v[43:44], -v[99:100]
	;; [unrolled: 8-line block ×12, first 2 shown]
	ds_read2_b64 v[99:102], v125 offset0:52 offset1:53
	s_waitcnt lgkmcnt(0)
	v_mul_f64 v[51:52], v[101:102], v[97:98]
	v_fma_f64 v[51:52], v[99:100], v[49:50], -v[51:52]
	v_mul_f64 v[99:100], v[99:100], v[97:98]
	v_add_f64 v[81:82], v[81:82], -v[51:52]
	v_fma_f64 v[99:100], v[101:102], v[49:50], v[99:100]
	v_mov_b32_e32 v51, v97
	v_mov_b32_e32 v52, v98
	v_add_f64 v[83:84], v[83:84], -v[99:100]
.LBB53_127:
	s_or_b64 exec, exec, s[2:3]
	v_cmp_eq_u32_e32 vcc, 14, v0
	s_waitcnt vmcnt(0)
	s_barrier
	s_and_saveexec_b64 s[4:5], vcc
	s_cbranch_execz .LBB53_134
; %bb.128:
	ds_write2_b64 v127, v[45:46], v[47:48] offset1:1
	ds_write2_b64 v125, v[41:42], v[43:44] offset0:30 offset1:31
	ds_write2_b64 v125, v[37:38], v[39:40] offset0:32 offset1:33
	ds_write2_b64 v125, v[33:34], v[35:36] offset0:34 offset1:35
	ds_write2_b64 v125, v[29:30], v[31:32] offset0:36 offset1:37
	ds_write2_b64 v125, v[25:26], v[27:28] offset0:38 offset1:39
	ds_write2_b64 v125, v[21:22], v[23:24] offset0:40 offset1:41
	ds_write2_b64 v125, v[17:18], v[19:20] offset0:42 offset1:43
	ds_write2_b64 v125, v[13:14], v[15:16] offset0:44 offset1:45
	ds_write2_b64 v125, v[9:10], v[11:12] offset0:46 offset1:47
	ds_write2_b64 v125, v[5:6], v[7:8] offset0:48 offset1:49
	ds_write2_b64 v125, v[1:2], v[3:4] offset0:50 offset1:51
	ds_write2_b64 v125, v[81:82], v[83:84] offset0:52 offset1:53
	ds_read2_b64 v[97:100], v127 offset1:1
	s_waitcnt lgkmcnt(0)
	v_cmp_neq_f64_e32 vcc, 0, v[97:98]
	v_cmp_neq_f64_e64 s[2:3], 0, v[99:100]
	s_or_b64 s[2:3], vcc, s[2:3]
	s_and_b64 exec, exec, s[2:3]
	s_cbranch_execz .LBB53_134
; %bb.129:
	v_cmp_ngt_f64_e64 s[2:3], |v[97:98]|, |v[99:100]|
                                        ; implicit-def: $vgpr101_vgpr102
	s_and_saveexec_b64 s[6:7], s[2:3]
	s_xor_b64 s[2:3], exec, s[6:7]
                                        ; implicit-def: $vgpr103_vgpr104
	s_cbranch_execz .LBB53_131
; %bb.130:
	v_div_scale_f64 v[101:102], s[6:7], v[99:100], v[99:100], v[97:98]
	v_rcp_f64_e32 v[103:104], v[101:102]
	v_fma_f64 v[105:106], -v[101:102], v[103:104], 1.0
	v_fma_f64 v[103:104], v[103:104], v[105:106], v[103:104]
	v_div_scale_f64 v[105:106], vcc, v[97:98], v[99:100], v[97:98]
	v_fma_f64 v[107:108], -v[101:102], v[103:104], 1.0
	v_fma_f64 v[103:104], v[103:104], v[107:108], v[103:104]
	v_mul_f64 v[107:108], v[105:106], v[103:104]
	v_fma_f64 v[101:102], -v[101:102], v[107:108], v[105:106]
	v_div_fmas_f64 v[101:102], v[101:102], v[103:104], v[107:108]
	v_div_fixup_f64 v[101:102], v[101:102], v[99:100], v[97:98]
	v_fma_f64 v[97:98], v[97:98], v[101:102], v[99:100]
	v_div_scale_f64 v[99:100], s[6:7], v[97:98], v[97:98], 1.0
	v_div_scale_f64 v[107:108], vcc, 1.0, v[97:98], 1.0
	v_rcp_f64_e32 v[103:104], v[99:100]
	v_fma_f64 v[105:106], -v[99:100], v[103:104], 1.0
	v_fma_f64 v[103:104], v[103:104], v[105:106], v[103:104]
	v_fma_f64 v[105:106], -v[99:100], v[103:104], 1.0
	v_fma_f64 v[103:104], v[103:104], v[105:106], v[103:104]
	v_mul_f64 v[105:106], v[107:108], v[103:104]
	v_fma_f64 v[99:100], -v[99:100], v[105:106], v[107:108]
	v_div_fmas_f64 v[99:100], v[99:100], v[103:104], v[105:106]
	v_div_fixup_f64 v[103:104], v[99:100], v[97:98], 1.0
                                        ; implicit-def: $vgpr97_vgpr98
	v_mul_f64 v[101:102], v[101:102], v[103:104]
	v_xor_b32_e32 v104, 0x80000000, v104
.LBB53_131:
	s_andn2_saveexec_b64 s[2:3], s[2:3]
	s_cbranch_execz .LBB53_133
; %bb.132:
	v_div_scale_f64 v[101:102], s[6:7], v[97:98], v[97:98], v[99:100]
	v_rcp_f64_e32 v[103:104], v[101:102]
	v_fma_f64 v[105:106], -v[101:102], v[103:104], 1.0
	v_fma_f64 v[103:104], v[103:104], v[105:106], v[103:104]
	v_div_scale_f64 v[105:106], vcc, v[99:100], v[97:98], v[99:100]
	v_fma_f64 v[107:108], -v[101:102], v[103:104], 1.0
	v_fma_f64 v[103:104], v[103:104], v[107:108], v[103:104]
	v_mul_f64 v[107:108], v[105:106], v[103:104]
	v_fma_f64 v[101:102], -v[101:102], v[107:108], v[105:106]
	v_div_fmas_f64 v[101:102], v[101:102], v[103:104], v[107:108]
	v_div_fixup_f64 v[103:104], v[101:102], v[97:98], v[99:100]
	v_fma_f64 v[97:98], v[99:100], v[103:104], v[97:98]
	v_div_scale_f64 v[99:100], s[6:7], v[97:98], v[97:98], 1.0
	v_div_scale_f64 v[107:108], vcc, 1.0, v[97:98], 1.0
	v_rcp_f64_e32 v[101:102], v[99:100]
	v_fma_f64 v[105:106], -v[99:100], v[101:102], 1.0
	v_fma_f64 v[101:102], v[101:102], v[105:106], v[101:102]
	v_fma_f64 v[105:106], -v[99:100], v[101:102], 1.0
	v_fma_f64 v[101:102], v[101:102], v[105:106], v[101:102]
	v_mul_f64 v[105:106], v[107:108], v[101:102]
	v_fma_f64 v[99:100], -v[99:100], v[105:106], v[107:108]
	v_div_fmas_f64 v[99:100], v[99:100], v[101:102], v[105:106]
	v_div_fixup_f64 v[101:102], v[99:100], v[97:98], 1.0
	v_mul_f64 v[103:104], v[103:104], -v[101:102]
.LBB53_133:
	s_or_b64 exec, exec, s[2:3]
	ds_write2_b64 v127, v[101:102], v[103:104] offset1:1
.LBB53_134:
	s_or_b64 exec, exec, s[4:5]
	s_waitcnt lgkmcnt(0)
	s_barrier
	ds_read2_b64 v[97:100], v127 offset1:1
	v_cmp_lt_u32_e32 vcc, 14, v0
	s_waitcnt lgkmcnt(0)
	buffer_store_dword v97, off, s[20:23], 0 offset:448 ; 4-byte Folded Spill
	s_nop 0
	buffer_store_dword v98, off, s[20:23], 0 offset:452 ; 4-byte Folded Spill
	buffer_store_dword v99, off, s[20:23], 0 offset:456 ; 4-byte Folded Spill
	;; [unrolled: 1-line block ×3, first 2 shown]
	s_and_saveexec_b64 s[2:3], vcc
	s_cbranch_execz .LBB53_136
; %bb.135:
	buffer_load_dword v99, off, s[20:23], 0 offset:448 ; 4-byte Folded Reload
	buffer_load_dword v100, off, s[20:23], 0 offset:452 ; 4-byte Folded Reload
	;; [unrolled: 1-line block ×4, first 2 shown]
	s_waitcnt vmcnt(2)
	v_mul_f64 v[97:98], v[99:100], v[47:48]
	s_waitcnt vmcnt(0)
	v_mul_f64 v[47:48], v[101:102], v[47:48]
	v_fma_f64 v[97:98], v[101:102], v[45:46], v[97:98]
	v_fma_f64 v[45:46], v[99:100], v[45:46], -v[47:48]
	ds_read2_b64 v[99:102], v125 offset0:30 offset1:31
	s_waitcnt lgkmcnt(0)
	v_mul_f64 v[47:48], v[101:102], v[97:98]
	v_fma_f64 v[47:48], v[99:100], v[45:46], -v[47:48]
	v_mul_f64 v[99:100], v[99:100], v[97:98]
	v_add_f64 v[41:42], v[41:42], -v[47:48]
	v_fma_f64 v[99:100], v[101:102], v[45:46], v[99:100]
	v_add_f64 v[43:44], v[43:44], -v[99:100]
	ds_read2_b64 v[99:102], v125 offset0:32 offset1:33
	s_waitcnt lgkmcnt(0)
	v_mul_f64 v[47:48], v[101:102], v[97:98]
	v_fma_f64 v[47:48], v[99:100], v[45:46], -v[47:48]
	v_mul_f64 v[99:100], v[99:100], v[97:98]
	v_add_f64 v[37:38], v[37:38], -v[47:48]
	v_fma_f64 v[99:100], v[101:102], v[45:46], v[99:100]
	v_add_f64 v[39:40], v[39:40], -v[99:100]
	;; [unrolled: 8-line block ×11, first 2 shown]
	ds_read2_b64 v[99:102], v125 offset0:52 offset1:53
	s_waitcnt lgkmcnt(0)
	v_mul_f64 v[47:48], v[101:102], v[97:98]
	v_fma_f64 v[47:48], v[99:100], v[45:46], -v[47:48]
	v_mul_f64 v[99:100], v[99:100], v[97:98]
	v_add_f64 v[81:82], v[81:82], -v[47:48]
	v_fma_f64 v[99:100], v[101:102], v[45:46], v[99:100]
	v_mov_b32_e32 v47, v97
	v_mov_b32_e32 v48, v98
	v_add_f64 v[83:84], v[83:84], -v[99:100]
.LBB53_136:
	s_or_b64 exec, exec, s[2:3]
	v_cmp_eq_u32_e32 vcc, 15, v0
	s_waitcnt vmcnt(0)
	s_barrier
	s_and_saveexec_b64 s[4:5], vcc
	s_cbranch_execz .LBB53_143
; %bb.137:
	ds_write2_b64 v127, v[41:42], v[43:44] offset1:1
	ds_write2_b64 v125, v[37:38], v[39:40] offset0:32 offset1:33
	ds_write2_b64 v125, v[33:34], v[35:36] offset0:34 offset1:35
	;; [unrolled: 1-line block ×11, first 2 shown]
	ds_read2_b64 v[97:100], v127 offset1:1
	s_waitcnt lgkmcnt(0)
	v_cmp_neq_f64_e32 vcc, 0, v[97:98]
	v_cmp_neq_f64_e64 s[2:3], 0, v[99:100]
	s_or_b64 s[2:3], vcc, s[2:3]
	s_and_b64 exec, exec, s[2:3]
	s_cbranch_execz .LBB53_143
; %bb.138:
	v_cmp_ngt_f64_e64 s[2:3], |v[97:98]|, |v[99:100]|
                                        ; implicit-def: $vgpr101_vgpr102
	s_and_saveexec_b64 s[6:7], s[2:3]
	s_xor_b64 s[2:3], exec, s[6:7]
                                        ; implicit-def: $vgpr103_vgpr104
	s_cbranch_execz .LBB53_140
; %bb.139:
	v_div_scale_f64 v[101:102], s[6:7], v[99:100], v[99:100], v[97:98]
	v_rcp_f64_e32 v[103:104], v[101:102]
	v_fma_f64 v[105:106], -v[101:102], v[103:104], 1.0
	v_fma_f64 v[103:104], v[103:104], v[105:106], v[103:104]
	v_div_scale_f64 v[105:106], vcc, v[97:98], v[99:100], v[97:98]
	v_fma_f64 v[107:108], -v[101:102], v[103:104], 1.0
	v_fma_f64 v[103:104], v[103:104], v[107:108], v[103:104]
	v_mul_f64 v[107:108], v[105:106], v[103:104]
	v_fma_f64 v[101:102], -v[101:102], v[107:108], v[105:106]
	v_div_fmas_f64 v[101:102], v[101:102], v[103:104], v[107:108]
	v_div_fixup_f64 v[101:102], v[101:102], v[99:100], v[97:98]
	v_fma_f64 v[97:98], v[97:98], v[101:102], v[99:100]
	v_div_scale_f64 v[99:100], s[6:7], v[97:98], v[97:98], 1.0
	v_div_scale_f64 v[107:108], vcc, 1.0, v[97:98], 1.0
	v_rcp_f64_e32 v[103:104], v[99:100]
	v_fma_f64 v[105:106], -v[99:100], v[103:104], 1.0
	v_fma_f64 v[103:104], v[103:104], v[105:106], v[103:104]
	v_fma_f64 v[105:106], -v[99:100], v[103:104], 1.0
	v_fma_f64 v[103:104], v[103:104], v[105:106], v[103:104]
	v_mul_f64 v[105:106], v[107:108], v[103:104]
	v_fma_f64 v[99:100], -v[99:100], v[105:106], v[107:108]
	v_div_fmas_f64 v[99:100], v[99:100], v[103:104], v[105:106]
	v_div_fixup_f64 v[103:104], v[99:100], v[97:98], 1.0
                                        ; implicit-def: $vgpr97_vgpr98
	v_mul_f64 v[101:102], v[101:102], v[103:104]
	v_xor_b32_e32 v104, 0x80000000, v104
.LBB53_140:
	s_andn2_saveexec_b64 s[2:3], s[2:3]
	s_cbranch_execz .LBB53_142
; %bb.141:
	v_div_scale_f64 v[101:102], s[6:7], v[97:98], v[97:98], v[99:100]
	v_rcp_f64_e32 v[103:104], v[101:102]
	v_fma_f64 v[105:106], -v[101:102], v[103:104], 1.0
	v_fma_f64 v[103:104], v[103:104], v[105:106], v[103:104]
	v_div_scale_f64 v[105:106], vcc, v[99:100], v[97:98], v[99:100]
	v_fma_f64 v[107:108], -v[101:102], v[103:104], 1.0
	v_fma_f64 v[103:104], v[103:104], v[107:108], v[103:104]
	v_mul_f64 v[107:108], v[105:106], v[103:104]
	v_fma_f64 v[101:102], -v[101:102], v[107:108], v[105:106]
	v_div_fmas_f64 v[101:102], v[101:102], v[103:104], v[107:108]
	v_div_fixup_f64 v[103:104], v[101:102], v[97:98], v[99:100]
	v_fma_f64 v[97:98], v[99:100], v[103:104], v[97:98]
	v_div_scale_f64 v[99:100], s[6:7], v[97:98], v[97:98], 1.0
	v_div_scale_f64 v[107:108], vcc, 1.0, v[97:98], 1.0
	v_rcp_f64_e32 v[101:102], v[99:100]
	v_fma_f64 v[105:106], -v[99:100], v[101:102], 1.0
	v_fma_f64 v[101:102], v[101:102], v[105:106], v[101:102]
	v_fma_f64 v[105:106], -v[99:100], v[101:102], 1.0
	v_fma_f64 v[101:102], v[101:102], v[105:106], v[101:102]
	v_mul_f64 v[105:106], v[107:108], v[101:102]
	v_fma_f64 v[99:100], -v[99:100], v[105:106], v[107:108]
	v_div_fmas_f64 v[99:100], v[99:100], v[101:102], v[105:106]
	v_div_fixup_f64 v[101:102], v[99:100], v[97:98], 1.0
	v_mul_f64 v[103:104], v[103:104], -v[101:102]
.LBB53_142:
	s_or_b64 exec, exec, s[2:3]
	ds_write2_b64 v127, v[101:102], v[103:104] offset1:1
.LBB53_143:
	s_or_b64 exec, exec, s[4:5]
	s_waitcnt lgkmcnt(0)
	s_barrier
	ds_read2_b64 v[97:100], v127 offset1:1
	v_cmp_lt_u32_e32 vcc, 15, v0
	s_waitcnt lgkmcnt(0)
	buffer_store_dword v97, off, s[20:23], 0 offset:464 ; 4-byte Folded Spill
	s_nop 0
	buffer_store_dword v98, off, s[20:23], 0 offset:468 ; 4-byte Folded Spill
	buffer_store_dword v99, off, s[20:23], 0 offset:472 ; 4-byte Folded Spill
	;; [unrolled: 1-line block ×3, first 2 shown]
	s_and_saveexec_b64 s[2:3], vcc
	s_cbranch_execz .LBB53_145
; %bb.144:
	buffer_load_dword v99, off, s[20:23], 0 offset:464 ; 4-byte Folded Reload
	buffer_load_dword v100, off, s[20:23], 0 offset:468 ; 4-byte Folded Reload
	;; [unrolled: 1-line block ×4, first 2 shown]
	s_waitcnt vmcnt(2)
	v_mul_f64 v[97:98], v[99:100], v[43:44]
	s_waitcnt vmcnt(0)
	v_mul_f64 v[43:44], v[101:102], v[43:44]
	v_fma_f64 v[97:98], v[101:102], v[41:42], v[97:98]
	v_fma_f64 v[41:42], v[99:100], v[41:42], -v[43:44]
	ds_read2_b64 v[99:102], v125 offset0:32 offset1:33
	s_waitcnt lgkmcnt(0)
	v_mul_f64 v[43:44], v[101:102], v[97:98]
	v_fma_f64 v[43:44], v[99:100], v[41:42], -v[43:44]
	v_mul_f64 v[99:100], v[99:100], v[97:98]
	v_add_f64 v[37:38], v[37:38], -v[43:44]
	v_fma_f64 v[99:100], v[101:102], v[41:42], v[99:100]
	v_add_f64 v[39:40], v[39:40], -v[99:100]
	ds_read2_b64 v[99:102], v125 offset0:34 offset1:35
	s_waitcnt lgkmcnt(0)
	v_mul_f64 v[43:44], v[101:102], v[97:98]
	v_fma_f64 v[43:44], v[99:100], v[41:42], -v[43:44]
	v_mul_f64 v[99:100], v[99:100], v[97:98]
	v_add_f64 v[33:34], v[33:34], -v[43:44]
	v_fma_f64 v[99:100], v[101:102], v[41:42], v[99:100]
	v_add_f64 v[35:36], v[35:36], -v[99:100]
	;; [unrolled: 8-line block ×10, first 2 shown]
	ds_read2_b64 v[99:102], v125 offset0:52 offset1:53
	s_waitcnt lgkmcnt(0)
	v_mul_f64 v[43:44], v[101:102], v[97:98]
	v_fma_f64 v[43:44], v[99:100], v[41:42], -v[43:44]
	v_mul_f64 v[99:100], v[99:100], v[97:98]
	v_add_f64 v[81:82], v[81:82], -v[43:44]
	v_fma_f64 v[99:100], v[101:102], v[41:42], v[99:100]
	v_mov_b32_e32 v43, v97
	v_mov_b32_e32 v44, v98
	v_add_f64 v[83:84], v[83:84], -v[99:100]
.LBB53_145:
	s_or_b64 exec, exec, s[2:3]
	v_cmp_eq_u32_e32 vcc, 16, v0
	s_waitcnt vmcnt(0)
	s_barrier
	s_and_saveexec_b64 s[4:5], vcc
	s_cbranch_execz .LBB53_152
; %bb.146:
	ds_write2_b64 v127, v[37:38], v[39:40] offset1:1
	ds_write2_b64 v125, v[33:34], v[35:36] offset0:34 offset1:35
	ds_write2_b64 v125, v[29:30], v[31:32] offset0:36 offset1:37
	;; [unrolled: 1-line block ×10, first 2 shown]
	ds_read2_b64 v[97:100], v127 offset1:1
	s_waitcnt lgkmcnt(0)
	v_cmp_neq_f64_e32 vcc, 0, v[97:98]
	v_cmp_neq_f64_e64 s[2:3], 0, v[99:100]
	s_or_b64 s[2:3], vcc, s[2:3]
	s_and_b64 exec, exec, s[2:3]
	s_cbranch_execz .LBB53_152
; %bb.147:
	v_cmp_ngt_f64_e64 s[2:3], |v[97:98]|, |v[99:100]|
                                        ; implicit-def: $vgpr101_vgpr102
	s_and_saveexec_b64 s[6:7], s[2:3]
	s_xor_b64 s[2:3], exec, s[6:7]
                                        ; implicit-def: $vgpr103_vgpr104
	s_cbranch_execz .LBB53_149
; %bb.148:
	v_div_scale_f64 v[101:102], s[6:7], v[99:100], v[99:100], v[97:98]
	v_rcp_f64_e32 v[103:104], v[101:102]
	v_fma_f64 v[105:106], -v[101:102], v[103:104], 1.0
	v_fma_f64 v[103:104], v[103:104], v[105:106], v[103:104]
	v_div_scale_f64 v[105:106], vcc, v[97:98], v[99:100], v[97:98]
	v_fma_f64 v[107:108], -v[101:102], v[103:104], 1.0
	v_fma_f64 v[103:104], v[103:104], v[107:108], v[103:104]
	v_mul_f64 v[107:108], v[105:106], v[103:104]
	v_fma_f64 v[101:102], -v[101:102], v[107:108], v[105:106]
	v_div_fmas_f64 v[101:102], v[101:102], v[103:104], v[107:108]
	v_div_fixup_f64 v[101:102], v[101:102], v[99:100], v[97:98]
	v_fma_f64 v[97:98], v[97:98], v[101:102], v[99:100]
	v_div_scale_f64 v[99:100], s[6:7], v[97:98], v[97:98], 1.0
	v_div_scale_f64 v[107:108], vcc, 1.0, v[97:98], 1.0
	v_rcp_f64_e32 v[103:104], v[99:100]
	v_fma_f64 v[105:106], -v[99:100], v[103:104], 1.0
	v_fma_f64 v[103:104], v[103:104], v[105:106], v[103:104]
	v_fma_f64 v[105:106], -v[99:100], v[103:104], 1.0
	v_fma_f64 v[103:104], v[103:104], v[105:106], v[103:104]
	v_mul_f64 v[105:106], v[107:108], v[103:104]
	v_fma_f64 v[99:100], -v[99:100], v[105:106], v[107:108]
	v_div_fmas_f64 v[99:100], v[99:100], v[103:104], v[105:106]
	v_div_fixup_f64 v[103:104], v[99:100], v[97:98], 1.0
                                        ; implicit-def: $vgpr97_vgpr98
	v_mul_f64 v[101:102], v[101:102], v[103:104]
	v_xor_b32_e32 v104, 0x80000000, v104
.LBB53_149:
	s_andn2_saveexec_b64 s[2:3], s[2:3]
	s_cbranch_execz .LBB53_151
; %bb.150:
	v_div_scale_f64 v[101:102], s[6:7], v[97:98], v[97:98], v[99:100]
	v_rcp_f64_e32 v[103:104], v[101:102]
	v_fma_f64 v[105:106], -v[101:102], v[103:104], 1.0
	v_fma_f64 v[103:104], v[103:104], v[105:106], v[103:104]
	v_div_scale_f64 v[105:106], vcc, v[99:100], v[97:98], v[99:100]
	v_fma_f64 v[107:108], -v[101:102], v[103:104], 1.0
	v_fma_f64 v[103:104], v[103:104], v[107:108], v[103:104]
	v_mul_f64 v[107:108], v[105:106], v[103:104]
	v_fma_f64 v[101:102], -v[101:102], v[107:108], v[105:106]
	v_div_fmas_f64 v[101:102], v[101:102], v[103:104], v[107:108]
	v_div_fixup_f64 v[103:104], v[101:102], v[97:98], v[99:100]
	v_fma_f64 v[97:98], v[99:100], v[103:104], v[97:98]
	v_div_scale_f64 v[99:100], s[6:7], v[97:98], v[97:98], 1.0
	v_div_scale_f64 v[107:108], vcc, 1.0, v[97:98], 1.0
	v_rcp_f64_e32 v[101:102], v[99:100]
	v_fma_f64 v[105:106], -v[99:100], v[101:102], 1.0
	v_fma_f64 v[101:102], v[101:102], v[105:106], v[101:102]
	v_fma_f64 v[105:106], -v[99:100], v[101:102], 1.0
	v_fma_f64 v[101:102], v[101:102], v[105:106], v[101:102]
	v_mul_f64 v[105:106], v[107:108], v[101:102]
	v_fma_f64 v[99:100], -v[99:100], v[105:106], v[107:108]
	v_div_fmas_f64 v[99:100], v[99:100], v[101:102], v[105:106]
	v_div_fixup_f64 v[101:102], v[99:100], v[97:98], 1.0
	v_mul_f64 v[103:104], v[103:104], -v[101:102]
.LBB53_151:
	s_or_b64 exec, exec, s[2:3]
	ds_write2_b64 v127, v[101:102], v[103:104] offset1:1
.LBB53_152:
	s_or_b64 exec, exec, s[4:5]
	s_waitcnt lgkmcnt(0)
	s_barrier
	ds_read2_b64 v[97:100], v127 offset1:1
	v_cmp_lt_u32_e32 vcc, 16, v0
	s_waitcnt lgkmcnt(0)
	buffer_store_dword v97, off, s[20:23], 0 offset:480 ; 4-byte Folded Spill
	s_nop 0
	buffer_store_dword v98, off, s[20:23], 0 offset:484 ; 4-byte Folded Spill
	buffer_store_dword v99, off, s[20:23], 0 offset:488 ; 4-byte Folded Spill
	;; [unrolled: 1-line block ×3, first 2 shown]
	s_and_saveexec_b64 s[2:3], vcc
	s_cbranch_execz .LBB53_154
; %bb.153:
	buffer_load_dword v99, off, s[20:23], 0 offset:480 ; 4-byte Folded Reload
	buffer_load_dword v100, off, s[20:23], 0 offset:484 ; 4-byte Folded Reload
	;; [unrolled: 1-line block ×4, first 2 shown]
	s_waitcnt vmcnt(2)
	v_mul_f64 v[97:98], v[99:100], v[39:40]
	s_waitcnt vmcnt(0)
	v_mul_f64 v[39:40], v[101:102], v[39:40]
	v_fma_f64 v[97:98], v[101:102], v[37:38], v[97:98]
	v_fma_f64 v[37:38], v[99:100], v[37:38], -v[39:40]
	ds_read2_b64 v[99:102], v125 offset0:34 offset1:35
	s_waitcnt lgkmcnt(0)
	v_mul_f64 v[39:40], v[101:102], v[97:98]
	v_fma_f64 v[39:40], v[99:100], v[37:38], -v[39:40]
	v_mul_f64 v[99:100], v[99:100], v[97:98]
	v_add_f64 v[33:34], v[33:34], -v[39:40]
	v_fma_f64 v[99:100], v[101:102], v[37:38], v[99:100]
	v_add_f64 v[35:36], v[35:36], -v[99:100]
	ds_read2_b64 v[99:102], v125 offset0:36 offset1:37
	s_waitcnt lgkmcnt(0)
	v_mul_f64 v[39:40], v[101:102], v[97:98]
	v_fma_f64 v[39:40], v[99:100], v[37:38], -v[39:40]
	v_mul_f64 v[99:100], v[99:100], v[97:98]
	v_add_f64 v[29:30], v[29:30], -v[39:40]
	v_fma_f64 v[99:100], v[101:102], v[37:38], v[99:100]
	v_add_f64 v[31:32], v[31:32], -v[99:100]
	;; [unrolled: 8-line block ×9, first 2 shown]
	ds_read2_b64 v[99:102], v125 offset0:52 offset1:53
	s_waitcnt lgkmcnt(0)
	v_mul_f64 v[39:40], v[101:102], v[97:98]
	v_fma_f64 v[39:40], v[99:100], v[37:38], -v[39:40]
	v_mul_f64 v[99:100], v[99:100], v[97:98]
	v_add_f64 v[81:82], v[81:82], -v[39:40]
	v_fma_f64 v[99:100], v[101:102], v[37:38], v[99:100]
	v_mov_b32_e32 v39, v97
	v_mov_b32_e32 v40, v98
	v_add_f64 v[83:84], v[83:84], -v[99:100]
.LBB53_154:
	s_or_b64 exec, exec, s[2:3]
	v_cmp_eq_u32_e32 vcc, 17, v0
	s_waitcnt vmcnt(0)
	s_barrier
	s_and_saveexec_b64 s[4:5], vcc
	s_cbranch_execz .LBB53_161
; %bb.155:
	ds_write2_b64 v127, v[33:34], v[35:36] offset1:1
	ds_write2_b64 v125, v[29:30], v[31:32] offset0:36 offset1:37
	ds_write2_b64 v125, v[25:26], v[27:28] offset0:38 offset1:39
	;; [unrolled: 1-line block ×9, first 2 shown]
	ds_read2_b64 v[97:100], v127 offset1:1
	s_waitcnt lgkmcnt(0)
	v_cmp_neq_f64_e32 vcc, 0, v[97:98]
	v_cmp_neq_f64_e64 s[2:3], 0, v[99:100]
	s_or_b64 s[2:3], vcc, s[2:3]
	s_and_b64 exec, exec, s[2:3]
	s_cbranch_execz .LBB53_161
; %bb.156:
	v_cmp_ngt_f64_e64 s[2:3], |v[97:98]|, |v[99:100]|
                                        ; implicit-def: $vgpr101_vgpr102
	s_and_saveexec_b64 s[6:7], s[2:3]
	s_xor_b64 s[2:3], exec, s[6:7]
                                        ; implicit-def: $vgpr103_vgpr104
	s_cbranch_execz .LBB53_158
; %bb.157:
	v_div_scale_f64 v[101:102], s[6:7], v[99:100], v[99:100], v[97:98]
	v_rcp_f64_e32 v[103:104], v[101:102]
	v_fma_f64 v[105:106], -v[101:102], v[103:104], 1.0
	v_fma_f64 v[103:104], v[103:104], v[105:106], v[103:104]
	v_div_scale_f64 v[105:106], vcc, v[97:98], v[99:100], v[97:98]
	v_fma_f64 v[107:108], -v[101:102], v[103:104], 1.0
	v_fma_f64 v[103:104], v[103:104], v[107:108], v[103:104]
	v_mul_f64 v[107:108], v[105:106], v[103:104]
	v_fma_f64 v[101:102], -v[101:102], v[107:108], v[105:106]
	v_div_fmas_f64 v[101:102], v[101:102], v[103:104], v[107:108]
	v_div_fixup_f64 v[101:102], v[101:102], v[99:100], v[97:98]
	v_fma_f64 v[97:98], v[97:98], v[101:102], v[99:100]
	v_div_scale_f64 v[99:100], s[6:7], v[97:98], v[97:98], 1.0
	v_div_scale_f64 v[107:108], vcc, 1.0, v[97:98], 1.0
	v_rcp_f64_e32 v[103:104], v[99:100]
	v_fma_f64 v[105:106], -v[99:100], v[103:104], 1.0
	v_fma_f64 v[103:104], v[103:104], v[105:106], v[103:104]
	v_fma_f64 v[105:106], -v[99:100], v[103:104], 1.0
	v_fma_f64 v[103:104], v[103:104], v[105:106], v[103:104]
	v_mul_f64 v[105:106], v[107:108], v[103:104]
	v_fma_f64 v[99:100], -v[99:100], v[105:106], v[107:108]
	v_div_fmas_f64 v[99:100], v[99:100], v[103:104], v[105:106]
	v_div_fixup_f64 v[103:104], v[99:100], v[97:98], 1.0
                                        ; implicit-def: $vgpr97_vgpr98
	v_mul_f64 v[101:102], v[101:102], v[103:104]
	v_xor_b32_e32 v104, 0x80000000, v104
.LBB53_158:
	s_andn2_saveexec_b64 s[2:3], s[2:3]
	s_cbranch_execz .LBB53_160
; %bb.159:
	v_div_scale_f64 v[101:102], s[6:7], v[97:98], v[97:98], v[99:100]
	v_rcp_f64_e32 v[103:104], v[101:102]
	v_fma_f64 v[105:106], -v[101:102], v[103:104], 1.0
	v_fma_f64 v[103:104], v[103:104], v[105:106], v[103:104]
	v_div_scale_f64 v[105:106], vcc, v[99:100], v[97:98], v[99:100]
	v_fma_f64 v[107:108], -v[101:102], v[103:104], 1.0
	v_fma_f64 v[103:104], v[103:104], v[107:108], v[103:104]
	v_mul_f64 v[107:108], v[105:106], v[103:104]
	v_fma_f64 v[101:102], -v[101:102], v[107:108], v[105:106]
	v_div_fmas_f64 v[101:102], v[101:102], v[103:104], v[107:108]
	v_div_fixup_f64 v[103:104], v[101:102], v[97:98], v[99:100]
	v_fma_f64 v[97:98], v[99:100], v[103:104], v[97:98]
	v_div_scale_f64 v[99:100], s[6:7], v[97:98], v[97:98], 1.0
	v_div_scale_f64 v[107:108], vcc, 1.0, v[97:98], 1.0
	v_rcp_f64_e32 v[101:102], v[99:100]
	v_fma_f64 v[105:106], -v[99:100], v[101:102], 1.0
	v_fma_f64 v[101:102], v[101:102], v[105:106], v[101:102]
	v_fma_f64 v[105:106], -v[99:100], v[101:102], 1.0
	v_fma_f64 v[101:102], v[101:102], v[105:106], v[101:102]
	v_mul_f64 v[105:106], v[107:108], v[101:102]
	v_fma_f64 v[99:100], -v[99:100], v[105:106], v[107:108]
	v_div_fmas_f64 v[99:100], v[99:100], v[101:102], v[105:106]
	v_div_fixup_f64 v[101:102], v[99:100], v[97:98], 1.0
	v_mul_f64 v[103:104], v[103:104], -v[101:102]
.LBB53_160:
	s_or_b64 exec, exec, s[2:3]
	ds_write2_b64 v127, v[101:102], v[103:104] offset1:1
.LBB53_161:
	s_or_b64 exec, exec, s[4:5]
	s_waitcnt lgkmcnt(0)
	s_barrier
	ds_read2_b64 v[97:100], v127 offset1:1
	v_cmp_lt_u32_e32 vcc, 17, v0
	s_waitcnt lgkmcnt(0)
	buffer_store_dword v97, off, s[20:23], 0 offset:496 ; 4-byte Folded Spill
	s_nop 0
	buffer_store_dword v98, off, s[20:23], 0 offset:500 ; 4-byte Folded Spill
	buffer_store_dword v99, off, s[20:23], 0 offset:504 ; 4-byte Folded Spill
	;; [unrolled: 1-line block ×3, first 2 shown]
	s_and_saveexec_b64 s[2:3], vcc
	s_cbranch_execz .LBB53_163
; %bb.162:
	buffer_load_dword v99, off, s[20:23], 0 offset:496 ; 4-byte Folded Reload
	buffer_load_dword v100, off, s[20:23], 0 offset:500 ; 4-byte Folded Reload
	;; [unrolled: 1-line block ×4, first 2 shown]
	s_waitcnt vmcnt(2)
	v_mul_f64 v[97:98], v[99:100], v[35:36]
	s_waitcnt vmcnt(0)
	v_mul_f64 v[35:36], v[101:102], v[35:36]
	v_fma_f64 v[97:98], v[101:102], v[33:34], v[97:98]
	v_fma_f64 v[33:34], v[99:100], v[33:34], -v[35:36]
	ds_read2_b64 v[99:102], v125 offset0:36 offset1:37
	s_waitcnt lgkmcnt(0)
	v_mul_f64 v[35:36], v[101:102], v[97:98]
	v_fma_f64 v[35:36], v[99:100], v[33:34], -v[35:36]
	v_mul_f64 v[99:100], v[99:100], v[97:98]
	v_add_f64 v[29:30], v[29:30], -v[35:36]
	v_fma_f64 v[99:100], v[101:102], v[33:34], v[99:100]
	v_add_f64 v[31:32], v[31:32], -v[99:100]
	ds_read2_b64 v[99:102], v125 offset0:38 offset1:39
	s_waitcnt lgkmcnt(0)
	v_mul_f64 v[35:36], v[101:102], v[97:98]
	v_fma_f64 v[35:36], v[99:100], v[33:34], -v[35:36]
	v_mul_f64 v[99:100], v[99:100], v[97:98]
	v_add_f64 v[25:26], v[25:26], -v[35:36]
	v_fma_f64 v[99:100], v[101:102], v[33:34], v[99:100]
	v_add_f64 v[27:28], v[27:28], -v[99:100]
	;; [unrolled: 8-line block ×8, first 2 shown]
	ds_read2_b64 v[99:102], v125 offset0:52 offset1:53
	s_waitcnt lgkmcnt(0)
	v_mul_f64 v[35:36], v[101:102], v[97:98]
	v_fma_f64 v[35:36], v[99:100], v[33:34], -v[35:36]
	v_mul_f64 v[99:100], v[99:100], v[97:98]
	v_add_f64 v[81:82], v[81:82], -v[35:36]
	v_fma_f64 v[99:100], v[101:102], v[33:34], v[99:100]
	v_mov_b32_e32 v35, v97
	v_mov_b32_e32 v36, v98
	v_add_f64 v[83:84], v[83:84], -v[99:100]
.LBB53_163:
	s_or_b64 exec, exec, s[2:3]
	v_cmp_eq_u32_e32 vcc, 18, v0
	s_waitcnt vmcnt(0)
	s_barrier
	s_and_saveexec_b64 s[4:5], vcc
	s_cbranch_execz .LBB53_170
; %bb.164:
	ds_write2_b64 v127, v[29:30], v[31:32] offset1:1
	ds_write2_b64 v125, v[25:26], v[27:28] offset0:38 offset1:39
	ds_write2_b64 v125, v[21:22], v[23:24] offset0:40 offset1:41
	;; [unrolled: 1-line block ×8, first 2 shown]
	ds_read2_b64 v[97:100], v127 offset1:1
	s_waitcnt lgkmcnt(0)
	v_cmp_neq_f64_e32 vcc, 0, v[97:98]
	v_cmp_neq_f64_e64 s[2:3], 0, v[99:100]
	s_or_b64 s[2:3], vcc, s[2:3]
	s_and_b64 exec, exec, s[2:3]
	s_cbranch_execz .LBB53_170
; %bb.165:
	v_cmp_ngt_f64_e64 s[2:3], |v[97:98]|, |v[99:100]|
                                        ; implicit-def: $vgpr101_vgpr102
	s_and_saveexec_b64 s[6:7], s[2:3]
	s_xor_b64 s[2:3], exec, s[6:7]
                                        ; implicit-def: $vgpr103_vgpr104
	s_cbranch_execz .LBB53_167
; %bb.166:
	v_div_scale_f64 v[101:102], s[6:7], v[99:100], v[99:100], v[97:98]
	v_rcp_f64_e32 v[103:104], v[101:102]
	v_fma_f64 v[105:106], -v[101:102], v[103:104], 1.0
	v_fma_f64 v[103:104], v[103:104], v[105:106], v[103:104]
	v_div_scale_f64 v[105:106], vcc, v[97:98], v[99:100], v[97:98]
	v_fma_f64 v[107:108], -v[101:102], v[103:104], 1.0
	v_fma_f64 v[103:104], v[103:104], v[107:108], v[103:104]
	v_mul_f64 v[107:108], v[105:106], v[103:104]
	v_fma_f64 v[101:102], -v[101:102], v[107:108], v[105:106]
	v_div_fmas_f64 v[101:102], v[101:102], v[103:104], v[107:108]
	v_div_fixup_f64 v[101:102], v[101:102], v[99:100], v[97:98]
	v_fma_f64 v[97:98], v[97:98], v[101:102], v[99:100]
	v_div_scale_f64 v[99:100], s[6:7], v[97:98], v[97:98], 1.0
	v_div_scale_f64 v[107:108], vcc, 1.0, v[97:98], 1.0
	v_rcp_f64_e32 v[103:104], v[99:100]
	v_fma_f64 v[105:106], -v[99:100], v[103:104], 1.0
	v_fma_f64 v[103:104], v[103:104], v[105:106], v[103:104]
	v_fma_f64 v[105:106], -v[99:100], v[103:104], 1.0
	v_fma_f64 v[103:104], v[103:104], v[105:106], v[103:104]
	v_mul_f64 v[105:106], v[107:108], v[103:104]
	v_fma_f64 v[99:100], -v[99:100], v[105:106], v[107:108]
	v_div_fmas_f64 v[99:100], v[99:100], v[103:104], v[105:106]
	v_div_fixup_f64 v[103:104], v[99:100], v[97:98], 1.0
                                        ; implicit-def: $vgpr97_vgpr98
	v_mul_f64 v[101:102], v[101:102], v[103:104]
	v_xor_b32_e32 v104, 0x80000000, v104
.LBB53_167:
	s_andn2_saveexec_b64 s[2:3], s[2:3]
	s_cbranch_execz .LBB53_169
; %bb.168:
	v_div_scale_f64 v[101:102], s[6:7], v[97:98], v[97:98], v[99:100]
	v_rcp_f64_e32 v[103:104], v[101:102]
	v_fma_f64 v[105:106], -v[101:102], v[103:104], 1.0
	v_fma_f64 v[103:104], v[103:104], v[105:106], v[103:104]
	v_div_scale_f64 v[105:106], vcc, v[99:100], v[97:98], v[99:100]
	v_fma_f64 v[107:108], -v[101:102], v[103:104], 1.0
	v_fma_f64 v[103:104], v[103:104], v[107:108], v[103:104]
	v_mul_f64 v[107:108], v[105:106], v[103:104]
	v_fma_f64 v[101:102], -v[101:102], v[107:108], v[105:106]
	v_div_fmas_f64 v[101:102], v[101:102], v[103:104], v[107:108]
	v_div_fixup_f64 v[103:104], v[101:102], v[97:98], v[99:100]
	v_fma_f64 v[97:98], v[99:100], v[103:104], v[97:98]
	v_div_scale_f64 v[99:100], s[6:7], v[97:98], v[97:98], 1.0
	v_div_scale_f64 v[107:108], vcc, 1.0, v[97:98], 1.0
	v_rcp_f64_e32 v[101:102], v[99:100]
	v_fma_f64 v[105:106], -v[99:100], v[101:102], 1.0
	v_fma_f64 v[101:102], v[101:102], v[105:106], v[101:102]
	v_fma_f64 v[105:106], -v[99:100], v[101:102], 1.0
	v_fma_f64 v[101:102], v[101:102], v[105:106], v[101:102]
	v_mul_f64 v[105:106], v[107:108], v[101:102]
	v_fma_f64 v[99:100], -v[99:100], v[105:106], v[107:108]
	v_div_fmas_f64 v[99:100], v[99:100], v[101:102], v[105:106]
	v_div_fixup_f64 v[101:102], v[99:100], v[97:98], 1.0
	v_mul_f64 v[103:104], v[103:104], -v[101:102]
.LBB53_169:
	s_or_b64 exec, exec, s[2:3]
	ds_write2_b64 v127, v[101:102], v[103:104] offset1:1
.LBB53_170:
	s_or_b64 exec, exec, s[4:5]
	s_waitcnt lgkmcnt(0)
	s_barrier
	ds_read2_b64 v[97:100], v127 offset1:1
	v_cmp_lt_u32_e32 vcc, 18, v0
	s_waitcnt lgkmcnt(0)
	buffer_store_dword v97, off, s[20:23], 0 offset:512 ; 4-byte Folded Spill
	s_nop 0
	buffer_store_dword v98, off, s[20:23], 0 offset:516 ; 4-byte Folded Spill
	buffer_store_dword v99, off, s[20:23], 0 offset:520 ; 4-byte Folded Spill
	;; [unrolled: 1-line block ×3, first 2 shown]
	s_and_saveexec_b64 s[2:3], vcc
	s_cbranch_execz .LBB53_172
; %bb.171:
	buffer_load_dword v99, off, s[20:23], 0 offset:512 ; 4-byte Folded Reload
	buffer_load_dword v100, off, s[20:23], 0 offset:516 ; 4-byte Folded Reload
	;; [unrolled: 1-line block ×4, first 2 shown]
	s_waitcnt vmcnt(2)
	v_mul_f64 v[97:98], v[99:100], v[31:32]
	s_waitcnt vmcnt(0)
	v_mul_f64 v[31:32], v[101:102], v[31:32]
	v_fma_f64 v[97:98], v[101:102], v[29:30], v[97:98]
	v_fma_f64 v[29:30], v[99:100], v[29:30], -v[31:32]
	ds_read2_b64 v[99:102], v125 offset0:38 offset1:39
	s_waitcnt lgkmcnt(0)
	v_mul_f64 v[31:32], v[101:102], v[97:98]
	v_fma_f64 v[31:32], v[99:100], v[29:30], -v[31:32]
	v_mul_f64 v[99:100], v[99:100], v[97:98]
	v_add_f64 v[25:26], v[25:26], -v[31:32]
	v_fma_f64 v[99:100], v[101:102], v[29:30], v[99:100]
	v_add_f64 v[27:28], v[27:28], -v[99:100]
	ds_read2_b64 v[99:102], v125 offset0:40 offset1:41
	s_waitcnt lgkmcnt(0)
	v_mul_f64 v[31:32], v[101:102], v[97:98]
	v_fma_f64 v[31:32], v[99:100], v[29:30], -v[31:32]
	v_mul_f64 v[99:100], v[99:100], v[97:98]
	v_add_f64 v[21:22], v[21:22], -v[31:32]
	v_fma_f64 v[99:100], v[101:102], v[29:30], v[99:100]
	v_add_f64 v[23:24], v[23:24], -v[99:100]
	;; [unrolled: 8-line block ×7, first 2 shown]
	ds_read2_b64 v[99:102], v125 offset0:52 offset1:53
	s_waitcnt lgkmcnt(0)
	v_mul_f64 v[31:32], v[101:102], v[97:98]
	v_fma_f64 v[31:32], v[99:100], v[29:30], -v[31:32]
	v_mul_f64 v[99:100], v[99:100], v[97:98]
	v_add_f64 v[81:82], v[81:82], -v[31:32]
	v_fma_f64 v[99:100], v[101:102], v[29:30], v[99:100]
	v_mov_b32_e32 v31, v97
	v_mov_b32_e32 v32, v98
	v_add_f64 v[83:84], v[83:84], -v[99:100]
.LBB53_172:
	s_or_b64 exec, exec, s[2:3]
	v_cmp_eq_u32_e32 vcc, 19, v0
	s_waitcnt vmcnt(0)
	s_barrier
	s_and_saveexec_b64 s[4:5], vcc
	s_cbranch_execz .LBB53_179
; %bb.173:
	ds_write2_b64 v127, v[25:26], v[27:28] offset1:1
	ds_write2_b64 v125, v[21:22], v[23:24] offset0:40 offset1:41
	ds_write2_b64 v125, v[17:18], v[19:20] offset0:42 offset1:43
	;; [unrolled: 1-line block ×7, first 2 shown]
	ds_read2_b64 v[97:100], v127 offset1:1
	s_waitcnt lgkmcnt(0)
	v_cmp_neq_f64_e32 vcc, 0, v[97:98]
	v_cmp_neq_f64_e64 s[2:3], 0, v[99:100]
	s_or_b64 s[2:3], vcc, s[2:3]
	s_and_b64 exec, exec, s[2:3]
	s_cbranch_execz .LBB53_179
; %bb.174:
	v_cmp_ngt_f64_e64 s[2:3], |v[97:98]|, |v[99:100]|
                                        ; implicit-def: $vgpr101_vgpr102
	s_and_saveexec_b64 s[6:7], s[2:3]
	s_xor_b64 s[2:3], exec, s[6:7]
                                        ; implicit-def: $vgpr103_vgpr104
	s_cbranch_execz .LBB53_176
; %bb.175:
	v_div_scale_f64 v[101:102], s[6:7], v[99:100], v[99:100], v[97:98]
	v_rcp_f64_e32 v[103:104], v[101:102]
	v_fma_f64 v[105:106], -v[101:102], v[103:104], 1.0
	v_fma_f64 v[103:104], v[103:104], v[105:106], v[103:104]
	v_div_scale_f64 v[105:106], vcc, v[97:98], v[99:100], v[97:98]
	v_fma_f64 v[107:108], -v[101:102], v[103:104], 1.0
	v_fma_f64 v[103:104], v[103:104], v[107:108], v[103:104]
	v_mul_f64 v[107:108], v[105:106], v[103:104]
	v_fma_f64 v[101:102], -v[101:102], v[107:108], v[105:106]
	v_div_fmas_f64 v[101:102], v[101:102], v[103:104], v[107:108]
	v_div_fixup_f64 v[101:102], v[101:102], v[99:100], v[97:98]
	v_fma_f64 v[97:98], v[97:98], v[101:102], v[99:100]
	v_div_scale_f64 v[99:100], s[6:7], v[97:98], v[97:98], 1.0
	v_div_scale_f64 v[107:108], vcc, 1.0, v[97:98], 1.0
	v_rcp_f64_e32 v[103:104], v[99:100]
	v_fma_f64 v[105:106], -v[99:100], v[103:104], 1.0
	v_fma_f64 v[103:104], v[103:104], v[105:106], v[103:104]
	v_fma_f64 v[105:106], -v[99:100], v[103:104], 1.0
	v_fma_f64 v[103:104], v[103:104], v[105:106], v[103:104]
	v_mul_f64 v[105:106], v[107:108], v[103:104]
	v_fma_f64 v[99:100], -v[99:100], v[105:106], v[107:108]
	v_div_fmas_f64 v[99:100], v[99:100], v[103:104], v[105:106]
	v_div_fixup_f64 v[103:104], v[99:100], v[97:98], 1.0
                                        ; implicit-def: $vgpr97_vgpr98
	v_mul_f64 v[101:102], v[101:102], v[103:104]
	v_xor_b32_e32 v104, 0x80000000, v104
.LBB53_176:
	s_andn2_saveexec_b64 s[2:3], s[2:3]
	s_cbranch_execz .LBB53_178
; %bb.177:
	v_div_scale_f64 v[101:102], s[6:7], v[97:98], v[97:98], v[99:100]
	v_rcp_f64_e32 v[103:104], v[101:102]
	v_fma_f64 v[105:106], -v[101:102], v[103:104], 1.0
	v_fma_f64 v[103:104], v[103:104], v[105:106], v[103:104]
	v_div_scale_f64 v[105:106], vcc, v[99:100], v[97:98], v[99:100]
	v_fma_f64 v[107:108], -v[101:102], v[103:104], 1.0
	v_fma_f64 v[103:104], v[103:104], v[107:108], v[103:104]
	v_mul_f64 v[107:108], v[105:106], v[103:104]
	v_fma_f64 v[101:102], -v[101:102], v[107:108], v[105:106]
	v_div_fmas_f64 v[101:102], v[101:102], v[103:104], v[107:108]
	v_div_fixup_f64 v[103:104], v[101:102], v[97:98], v[99:100]
	v_fma_f64 v[97:98], v[99:100], v[103:104], v[97:98]
	v_div_scale_f64 v[99:100], s[6:7], v[97:98], v[97:98], 1.0
	v_div_scale_f64 v[107:108], vcc, 1.0, v[97:98], 1.0
	v_rcp_f64_e32 v[101:102], v[99:100]
	v_fma_f64 v[105:106], -v[99:100], v[101:102], 1.0
	v_fma_f64 v[101:102], v[101:102], v[105:106], v[101:102]
	v_fma_f64 v[105:106], -v[99:100], v[101:102], 1.0
	v_fma_f64 v[101:102], v[101:102], v[105:106], v[101:102]
	v_mul_f64 v[105:106], v[107:108], v[101:102]
	v_fma_f64 v[99:100], -v[99:100], v[105:106], v[107:108]
	v_div_fmas_f64 v[99:100], v[99:100], v[101:102], v[105:106]
	v_div_fixup_f64 v[101:102], v[99:100], v[97:98], 1.0
	v_mul_f64 v[103:104], v[103:104], -v[101:102]
.LBB53_178:
	s_or_b64 exec, exec, s[2:3]
	ds_write2_b64 v127, v[101:102], v[103:104] offset1:1
.LBB53_179:
	s_or_b64 exec, exec, s[4:5]
	s_waitcnt lgkmcnt(0)
	s_barrier
	ds_read2_b64 v[97:100], v127 offset1:1
	v_cmp_lt_u32_e32 vcc, 19, v0
	s_waitcnt lgkmcnt(0)
	buffer_store_dword v97, off, s[20:23], 0 offset:528 ; 4-byte Folded Spill
	s_nop 0
	buffer_store_dword v98, off, s[20:23], 0 offset:532 ; 4-byte Folded Spill
	buffer_store_dword v99, off, s[20:23], 0 offset:536 ; 4-byte Folded Spill
	;; [unrolled: 1-line block ×3, first 2 shown]
	s_and_saveexec_b64 s[2:3], vcc
	s_cbranch_execz .LBB53_181
; %bb.180:
	buffer_load_dword v99, off, s[20:23], 0 offset:528 ; 4-byte Folded Reload
	buffer_load_dword v100, off, s[20:23], 0 offset:532 ; 4-byte Folded Reload
	;; [unrolled: 1-line block ×4, first 2 shown]
	s_waitcnt vmcnt(2)
	v_mul_f64 v[97:98], v[99:100], v[27:28]
	s_waitcnt vmcnt(0)
	v_mul_f64 v[27:28], v[101:102], v[27:28]
	v_fma_f64 v[97:98], v[101:102], v[25:26], v[97:98]
	v_fma_f64 v[25:26], v[99:100], v[25:26], -v[27:28]
	ds_read2_b64 v[99:102], v125 offset0:40 offset1:41
	s_waitcnt lgkmcnt(0)
	v_mul_f64 v[27:28], v[101:102], v[97:98]
	v_fma_f64 v[27:28], v[99:100], v[25:26], -v[27:28]
	v_mul_f64 v[99:100], v[99:100], v[97:98]
	v_add_f64 v[21:22], v[21:22], -v[27:28]
	v_fma_f64 v[99:100], v[101:102], v[25:26], v[99:100]
	v_add_f64 v[23:24], v[23:24], -v[99:100]
	ds_read2_b64 v[99:102], v125 offset0:42 offset1:43
	s_waitcnt lgkmcnt(0)
	v_mul_f64 v[27:28], v[101:102], v[97:98]
	v_fma_f64 v[27:28], v[99:100], v[25:26], -v[27:28]
	v_mul_f64 v[99:100], v[99:100], v[97:98]
	v_add_f64 v[17:18], v[17:18], -v[27:28]
	v_fma_f64 v[99:100], v[101:102], v[25:26], v[99:100]
	v_add_f64 v[19:20], v[19:20], -v[99:100]
	;; [unrolled: 8-line block ×6, first 2 shown]
	ds_read2_b64 v[99:102], v125 offset0:52 offset1:53
	s_waitcnt lgkmcnt(0)
	v_mul_f64 v[27:28], v[101:102], v[97:98]
	v_fma_f64 v[27:28], v[99:100], v[25:26], -v[27:28]
	v_mul_f64 v[99:100], v[99:100], v[97:98]
	v_add_f64 v[81:82], v[81:82], -v[27:28]
	v_fma_f64 v[99:100], v[101:102], v[25:26], v[99:100]
	v_mov_b32_e32 v27, v97
	v_mov_b32_e32 v28, v98
	v_add_f64 v[83:84], v[83:84], -v[99:100]
.LBB53_181:
	s_or_b64 exec, exec, s[2:3]
	v_cmp_eq_u32_e32 vcc, 20, v0
	s_waitcnt vmcnt(0)
	s_barrier
	s_and_saveexec_b64 s[4:5], vcc
	s_cbranch_execz .LBB53_188
; %bb.182:
	ds_write2_b64 v127, v[21:22], v[23:24] offset1:1
	ds_write2_b64 v125, v[17:18], v[19:20] offset0:42 offset1:43
	ds_write2_b64 v125, v[13:14], v[15:16] offset0:44 offset1:45
	;; [unrolled: 1-line block ×6, first 2 shown]
	ds_read2_b64 v[97:100], v127 offset1:1
	s_waitcnt lgkmcnt(0)
	v_cmp_neq_f64_e32 vcc, 0, v[97:98]
	v_cmp_neq_f64_e64 s[2:3], 0, v[99:100]
	s_or_b64 s[2:3], vcc, s[2:3]
	s_and_b64 exec, exec, s[2:3]
	s_cbranch_execz .LBB53_188
; %bb.183:
	v_cmp_ngt_f64_e64 s[2:3], |v[97:98]|, |v[99:100]|
                                        ; implicit-def: $vgpr101_vgpr102
	s_and_saveexec_b64 s[6:7], s[2:3]
	s_xor_b64 s[2:3], exec, s[6:7]
                                        ; implicit-def: $vgpr103_vgpr104
	s_cbranch_execz .LBB53_185
; %bb.184:
	v_div_scale_f64 v[101:102], s[6:7], v[99:100], v[99:100], v[97:98]
	v_rcp_f64_e32 v[103:104], v[101:102]
	v_fma_f64 v[105:106], -v[101:102], v[103:104], 1.0
	v_fma_f64 v[103:104], v[103:104], v[105:106], v[103:104]
	v_div_scale_f64 v[105:106], vcc, v[97:98], v[99:100], v[97:98]
	v_fma_f64 v[107:108], -v[101:102], v[103:104], 1.0
	v_fma_f64 v[103:104], v[103:104], v[107:108], v[103:104]
	v_mul_f64 v[107:108], v[105:106], v[103:104]
	v_fma_f64 v[101:102], -v[101:102], v[107:108], v[105:106]
	v_div_fmas_f64 v[101:102], v[101:102], v[103:104], v[107:108]
	v_div_fixup_f64 v[101:102], v[101:102], v[99:100], v[97:98]
	v_fma_f64 v[97:98], v[97:98], v[101:102], v[99:100]
	v_div_scale_f64 v[99:100], s[6:7], v[97:98], v[97:98], 1.0
	v_div_scale_f64 v[107:108], vcc, 1.0, v[97:98], 1.0
	v_rcp_f64_e32 v[103:104], v[99:100]
	v_fma_f64 v[105:106], -v[99:100], v[103:104], 1.0
	v_fma_f64 v[103:104], v[103:104], v[105:106], v[103:104]
	v_fma_f64 v[105:106], -v[99:100], v[103:104], 1.0
	v_fma_f64 v[103:104], v[103:104], v[105:106], v[103:104]
	v_mul_f64 v[105:106], v[107:108], v[103:104]
	v_fma_f64 v[99:100], -v[99:100], v[105:106], v[107:108]
	v_div_fmas_f64 v[99:100], v[99:100], v[103:104], v[105:106]
	v_div_fixup_f64 v[103:104], v[99:100], v[97:98], 1.0
                                        ; implicit-def: $vgpr97_vgpr98
	v_mul_f64 v[101:102], v[101:102], v[103:104]
	v_xor_b32_e32 v104, 0x80000000, v104
.LBB53_185:
	s_andn2_saveexec_b64 s[2:3], s[2:3]
	s_cbranch_execz .LBB53_187
; %bb.186:
	v_div_scale_f64 v[101:102], s[6:7], v[97:98], v[97:98], v[99:100]
	v_rcp_f64_e32 v[103:104], v[101:102]
	v_fma_f64 v[105:106], -v[101:102], v[103:104], 1.0
	v_fma_f64 v[103:104], v[103:104], v[105:106], v[103:104]
	v_div_scale_f64 v[105:106], vcc, v[99:100], v[97:98], v[99:100]
	v_fma_f64 v[107:108], -v[101:102], v[103:104], 1.0
	v_fma_f64 v[103:104], v[103:104], v[107:108], v[103:104]
	v_mul_f64 v[107:108], v[105:106], v[103:104]
	v_fma_f64 v[101:102], -v[101:102], v[107:108], v[105:106]
	v_div_fmas_f64 v[101:102], v[101:102], v[103:104], v[107:108]
	v_div_fixup_f64 v[103:104], v[101:102], v[97:98], v[99:100]
	v_fma_f64 v[97:98], v[99:100], v[103:104], v[97:98]
	v_div_scale_f64 v[99:100], s[6:7], v[97:98], v[97:98], 1.0
	v_div_scale_f64 v[107:108], vcc, 1.0, v[97:98], 1.0
	v_rcp_f64_e32 v[101:102], v[99:100]
	v_fma_f64 v[105:106], -v[99:100], v[101:102], 1.0
	v_fma_f64 v[101:102], v[101:102], v[105:106], v[101:102]
	v_fma_f64 v[105:106], -v[99:100], v[101:102], 1.0
	v_fma_f64 v[101:102], v[101:102], v[105:106], v[101:102]
	v_mul_f64 v[105:106], v[107:108], v[101:102]
	v_fma_f64 v[99:100], -v[99:100], v[105:106], v[107:108]
	v_div_fmas_f64 v[99:100], v[99:100], v[101:102], v[105:106]
	v_div_fixup_f64 v[101:102], v[99:100], v[97:98], 1.0
	v_mul_f64 v[103:104], v[103:104], -v[101:102]
.LBB53_187:
	s_or_b64 exec, exec, s[2:3]
	ds_write2_b64 v127, v[101:102], v[103:104] offset1:1
.LBB53_188:
	s_or_b64 exec, exec, s[4:5]
	s_waitcnt lgkmcnt(0)
	s_barrier
	ds_read2_b64 v[97:100], v127 offset1:1
	v_cmp_lt_u32_e32 vcc, 20, v0
	s_waitcnt lgkmcnt(0)
	buffer_store_dword v97, off, s[20:23], 0 offset:544 ; 4-byte Folded Spill
	s_nop 0
	buffer_store_dword v98, off, s[20:23], 0 offset:548 ; 4-byte Folded Spill
	buffer_store_dword v99, off, s[20:23], 0 offset:552 ; 4-byte Folded Spill
	;; [unrolled: 1-line block ×3, first 2 shown]
	s_and_saveexec_b64 s[2:3], vcc
	s_cbranch_execz .LBB53_190
; %bb.189:
	buffer_load_dword v99, off, s[20:23], 0 offset:544 ; 4-byte Folded Reload
	buffer_load_dword v100, off, s[20:23], 0 offset:548 ; 4-byte Folded Reload
	;; [unrolled: 1-line block ×4, first 2 shown]
	s_waitcnt vmcnt(2)
	v_mul_f64 v[97:98], v[99:100], v[23:24]
	s_waitcnt vmcnt(0)
	v_mul_f64 v[23:24], v[101:102], v[23:24]
	v_fma_f64 v[97:98], v[101:102], v[21:22], v[97:98]
	v_fma_f64 v[21:22], v[99:100], v[21:22], -v[23:24]
	ds_read2_b64 v[99:102], v125 offset0:42 offset1:43
	s_waitcnt lgkmcnt(0)
	v_mul_f64 v[23:24], v[101:102], v[97:98]
	v_fma_f64 v[23:24], v[99:100], v[21:22], -v[23:24]
	v_mul_f64 v[99:100], v[99:100], v[97:98]
	v_add_f64 v[17:18], v[17:18], -v[23:24]
	v_fma_f64 v[99:100], v[101:102], v[21:22], v[99:100]
	v_add_f64 v[19:20], v[19:20], -v[99:100]
	ds_read2_b64 v[99:102], v125 offset0:44 offset1:45
	s_waitcnt lgkmcnt(0)
	v_mul_f64 v[23:24], v[101:102], v[97:98]
	v_fma_f64 v[23:24], v[99:100], v[21:22], -v[23:24]
	v_mul_f64 v[99:100], v[99:100], v[97:98]
	v_add_f64 v[13:14], v[13:14], -v[23:24]
	v_fma_f64 v[99:100], v[101:102], v[21:22], v[99:100]
	v_add_f64 v[15:16], v[15:16], -v[99:100]
	;; [unrolled: 8-line block ×5, first 2 shown]
	ds_read2_b64 v[99:102], v125 offset0:52 offset1:53
	s_waitcnt lgkmcnt(0)
	v_mul_f64 v[23:24], v[101:102], v[97:98]
	v_fma_f64 v[23:24], v[99:100], v[21:22], -v[23:24]
	v_mul_f64 v[99:100], v[99:100], v[97:98]
	v_add_f64 v[81:82], v[81:82], -v[23:24]
	v_fma_f64 v[99:100], v[101:102], v[21:22], v[99:100]
	v_mov_b32_e32 v23, v97
	v_mov_b32_e32 v24, v98
	v_add_f64 v[83:84], v[83:84], -v[99:100]
.LBB53_190:
	s_or_b64 exec, exec, s[2:3]
	v_cmp_eq_u32_e32 vcc, 21, v0
	s_waitcnt vmcnt(0)
	s_barrier
	s_and_saveexec_b64 s[4:5], vcc
	s_cbranch_execz .LBB53_197
; %bb.191:
	ds_write2_b64 v127, v[17:18], v[19:20] offset1:1
	ds_write2_b64 v125, v[13:14], v[15:16] offset0:44 offset1:45
	ds_write2_b64 v125, v[9:10], v[11:12] offset0:46 offset1:47
	;; [unrolled: 1-line block ×5, first 2 shown]
	ds_read2_b64 v[97:100], v127 offset1:1
	s_waitcnt lgkmcnt(0)
	v_cmp_neq_f64_e32 vcc, 0, v[97:98]
	v_cmp_neq_f64_e64 s[2:3], 0, v[99:100]
	s_or_b64 s[2:3], vcc, s[2:3]
	s_and_b64 exec, exec, s[2:3]
	s_cbranch_execz .LBB53_197
; %bb.192:
	v_cmp_ngt_f64_e64 s[2:3], |v[97:98]|, |v[99:100]|
                                        ; implicit-def: $vgpr101_vgpr102
	s_and_saveexec_b64 s[6:7], s[2:3]
	s_xor_b64 s[2:3], exec, s[6:7]
                                        ; implicit-def: $vgpr103_vgpr104
	s_cbranch_execz .LBB53_194
; %bb.193:
	v_div_scale_f64 v[101:102], s[6:7], v[99:100], v[99:100], v[97:98]
	v_rcp_f64_e32 v[103:104], v[101:102]
	v_fma_f64 v[105:106], -v[101:102], v[103:104], 1.0
	v_fma_f64 v[103:104], v[103:104], v[105:106], v[103:104]
	v_div_scale_f64 v[105:106], vcc, v[97:98], v[99:100], v[97:98]
	v_fma_f64 v[107:108], -v[101:102], v[103:104], 1.0
	v_fma_f64 v[103:104], v[103:104], v[107:108], v[103:104]
	v_mul_f64 v[107:108], v[105:106], v[103:104]
	v_fma_f64 v[101:102], -v[101:102], v[107:108], v[105:106]
	v_div_fmas_f64 v[101:102], v[101:102], v[103:104], v[107:108]
	v_div_fixup_f64 v[101:102], v[101:102], v[99:100], v[97:98]
	v_fma_f64 v[97:98], v[97:98], v[101:102], v[99:100]
	v_div_scale_f64 v[99:100], s[6:7], v[97:98], v[97:98], 1.0
	v_div_scale_f64 v[107:108], vcc, 1.0, v[97:98], 1.0
	v_rcp_f64_e32 v[103:104], v[99:100]
	v_fma_f64 v[105:106], -v[99:100], v[103:104], 1.0
	v_fma_f64 v[103:104], v[103:104], v[105:106], v[103:104]
	v_fma_f64 v[105:106], -v[99:100], v[103:104], 1.0
	v_fma_f64 v[103:104], v[103:104], v[105:106], v[103:104]
	v_mul_f64 v[105:106], v[107:108], v[103:104]
	v_fma_f64 v[99:100], -v[99:100], v[105:106], v[107:108]
	v_div_fmas_f64 v[99:100], v[99:100], v[103:104], v[105:106]
	v_div_fixup_f64 v[103:104], v[99:100], v[97:98], 1.0
                                        ; implicit-def: $vgpr97_vgpr98
	v_mul_f64 v[101:102], v[101:102], v[103:104]
	v_xor_b32_e32 v104, 0x80000000, v104
.LBB53_194:
	s_andn2_saveexec_b64 s[2:3], s[2:3]
	s_cbranch_execz .LBB53_196
; %bb.195:
	v_div_scale_f64 v[101:102], s[6:7], v[97:98], v[97:98], v[99:100]
	v_rcp_f64_e32 v[103:104], v[101:102]
	v_fma_f64 v[105:106], -v[101:102], v[103:104], 1.0
	v_fma_f64 v[103:104], v[103:104], v[105:106], v[103:104]
	v_div_scale_f64 v[105:106], vcc, v[99:100], v[97:98], v[99:100]
	v_fma_f64 v[107:108], -v[101:102], v[103:104], 1.0
	v_fma_f64 v[103:104], v[103:104], v[107:108], v[103:104]
	v_mul_f64 v[107:108], v[105:106], v[103:104]
	v_fma_f64 v[101:102], -v[101:102], v[107:108], v[105:106]
	v_div_fmas_f64 v[101:102], v[101:102], v[103:104], v[107:108]
	v_div_fixup_f64 v[103:104], v[101:102], v[97:98], v[99:100]
	v_fma_f64 v[97:98], v[99:100], v[103:104], v[97:98]
	v_div_scale_f64 v[99:100], s[6:7], v[97:98], v[97:98], 1.0
	v_div_scale_f64 v[107:108], vcc, 1.0, v[97:98], 1.0
	v_rcp_f64_e32 v[101:102], v[99:100]
	v_fma_f64 v[105:106], -v[99:100], v[101:102], 1.0
	v_fma_f64 v[101:102], v[101:102], v[105:106], v[101:102]
	v_fma_f64 v[105:106], -v[99:100], v[101:102], 1.0
	v_fma_f64 v[101:102], v[101:102], v[105:106], v[101:102]
	v_mul_f64 v[105:106], v[107:108], v[101:102]
	v_fma_f64 v[99:100], -v[99:100], v[105:106], v[107:108]
	v_div_fmas_f64 v[99:100], v[99:100], v[101:102], v[105:106]
	v_div_fixup_f64 v[101:102], v[99:100], v[97:98], 1.0
	v_mul_f64 v[103:104], v[103:104], -v[101:102]
.LBB53_196:
	s_or_b64 exec, exec, s[2:3]
	ds_write2_b64 v127, v[101:102], v[103:104] offset1:1
.LBB53_197:
	s_or_b64 exec, exec, s[4:5]
	s_waitcnt lgkmcnt(0)
	s_barrier
	ds_read2_b64 v[97:100], v127 offset1:1
	v_cmp_lt_u32_e32 vcc, 21, v0
	s_waitcnt lgkmcnt(0)
	buffer_store_dword v97, off, s[20:23], 0 offset:560 ; 4-byte Folded Spill
	s_nop 0
	buffer_store_dword v98, off, s[20:23], 0 offset:564 ; 4-byte Folded Spill
	buffer_store_dword v99, off, s[20:23], 0 offset:568 ; 4-byte Folded Spill
	;; [unrolled: 1-line block ×3, first 2 shown]
	s_and_saveexec_b64 s[2:3], vcc
	s_cbranch_execz .LBB53_199
; %bb.198:
	buffer_load_dword v103, off, s[20:23], 0 offset:560 ; 4-byte Folded Reload
	buffer_load_dword v104, off, s[20:23], 0 offset:564 ; 4-byte Folded Reload
	;; [unrolled: 1-line block ×4, first 2 shown]
	s_waitcnt vmcnt(2)
	v_mul_f64 v[97:98], v[103:104], v[19:20]
	s_waitcnt vmcnt(0)
	v_mul_f64 v[19:20], v[105:106], v[19:20]
	v_fma_f64 v[101:102], v[105:106], v[17:18], v[97:98]
	ds_read2_b64 v[97:100], v125 offset0:44 offset1:45
	v_fma_f64 v[17:18], v[103:104], v[17:18], -v[19:20]
	s_waitcnt lgkmcnt(0)
	v_mul_f64 v[19:20], v[99:100], v[101:102]
	v_fma_f64 v[19:20], v[97:98], v[17:18], -v[19:20]
	v_mul_f64 v[97:98], v[97:98], v[101:102]
	v_add_f64 v[13:14], v[13:14], -v[19:20]
	v_fma_f64 v[97:98], v[99:100], v[17:18], v[97:98]
	v_add_f64 v[15:16], v[15:16], -v[97:98]
	ds_read2_b64 v[97:100], v125 offset0:46 offset1:47
	s_waitcnt lgkmcnt(0)
	v_mul_f64 v[19:20], v[99:100], v[101:102]
	v_fma_f64 v[19:20], v[97:98], v[17:18], -v[19:20]
	v_mul_f64 v[97:98], v[97:98], v[101:102]
	v_add_f64 v[9:10], v[9:10], -v[19:20]
	v_fma_f64 v[97:98], v[99:100], v[17:18], v[97:98]
	v_add_f64 v[11:12], v[11:12], -v[97:98]
	ds_read2_b64 v[97:100], v125 offset0:48 offset1:49
	;; [unrolled: 8-line block ×4, first 2 shown]
	s_waitcnt lgkmcnt(0)
	v_mul_f64 v[19:20], v[99:100], v[101:102]
	v_fma_f64 v[19:20], v[97:98], v[17:18], -v[19:20]
	v_mul_f64 v[97:98], v[97:98], v[101:102]
	v_add_f64 v[81:82], v[81:82], -v[19:20]
	v_fma_f64 v[97:98], v[99:100], v[17:18], v[97:98]
	v_mov_b32_e32 v19, v101
	v_mov_b32_e32 v20, v102
	v_add_f64 v[83:84], v[83:84], -v[97:98]
.LBB53_199:
	s_or_b64 exec, exec, s[2:3]
	v_cmp_eq_u32_e32 vcc, 22, v0
	s_waitcnt vmcnt(0)
	s_barrier
	s_and_saveexec_b64 s[4:5], vcc
	s_cbranch_execz .LBB53_206
; %bb.200:
	ds_write2_b64 v127, v[13:14], v[15:16] offset1:1
	ds_write2_b64 v125, v[9:10], v[11:12] offset0:46 offset1:47
	ds_write2_b64 v125, v[5:6], v[7:8] offset0:48 offset1:49
	;; [unrolled: 1-line block ×4, first 2 shown]
	ds_read2_b64 v[97:100], v127 offset1:1
	s_waitcnt lgkmcnt(0)
	v_cmp_neq_f64_e32 vcc, 0, v[97:98]
	v_cmp_neq_f64_e64 s[2:3], 0, v[99:100]
	s_or_b64 s[2:3], vcc, s[2:3]
	s_and_b64 exec, exec, s[2:3]
	s_cbranch_execz .LBB53_206
; %bb.201:
	v_cmp_ngt_f64_e64 s[2:3], |v[97:98]|, |v[99:100]|
                                        ; implicit-def: $vgpr101_vgpr102
	s_and_saveexec_b64 s[6:7], s[2:3]
	s_xor_b64 s[2:3], exec, s[6:7]
                                        ; implicit-def: $vgpr103_vgpr104
	s_cbranch_execz .LBB53_203
; %bb.202:
	v_div_scale_f64 v[101:102], s[6:7], v[99:100], v[99:100], v[97:98]
	v_rcp_f64_e32 v[103:104], v[101:102]
	v_fma_f64 v[105:106], -v[101:102], v[103:104], 1.0
	v_fma_f64 v[103:104], v[103:104], v[105:106], v[103:104]
	v_div_scale_f64 v[105:106], vcc, v[97:98], v[99:100], v[97:98]
	v_fma_f64 v[107:108], -v[101:102], v[103:104], 1.0
	v_fma_f64 v[103:104], v[103:104], v[107:108], v[103:104]
	v_mul_f64 v[107:108], v[105:106], v[103:104]
	v_fma_f64 v[101:102], -v[101:102], v[107:108], v[105:106]
	v_div_fmas_f64 v[101:102], v[101:102], v[103:104], v[107:108]
	v_div_fixup_f64 v[101:102], v[101:102], v[99:100], v[97:98]
	v_fma_f64 v[97:98], v[97:98], v[101:102], v[99:100]
	v_div_scale_f64 v[99:100], s[6:7], v[97:98], v[97:98], 1.0
	v_div_scale_f64 v[107:108], vcc, 1.0, v[97:98], 1.0
	v_rcp_f64_e32 v[103:104], v[99:100]
	v_fma_f64 v[105:106], -v[99:100], v[103:104], 1.0
	v_fma_f64 v[103:104], v[103:104], v[105:106], v[103:104]
	v_fma_f64 v[105:106], -v[99:100], v[103:104], 1.0
	v_fma_f64 v[103:104], v[103:104], v[105:106], v[103:104]
	v_mul_f64 v[105:106], v[107:108], v[103:104]
	v_fma_f64 v[99:100], -v[99:100], v[105:106], v[107:108]
	v_div_fmas_f64 v[99:100], v[99:100], v[103:104], v[105:106]
	v_div_fixup_f64 v[103:104], v[99:100], v[97:98], 1.0
                                        ; implicit-def: $vgpr97_vgpr98
	v_mul_f64 v[101:102], v[101:102], v[103:104]
	v_xor_b32_e32 v104, 0x80000000, v104
.LBB53_203:
	s_andn2_saveexec_b64 s[2:3], s[2:3]
	s_cbranch_execz .LBB53_205
; %bb.204:
	v_div_scale_f64 v[101:102], s[6:7], v[97:98], v[97:98], v[99:100]
	v_rcp_f64_e32 v[103:104], v[101:102]
	v_fma_f64 v[105:106], -v[101:102], v[103:104], 1.0
	v_fma_f64 v[103:104], v[103:104], v[105:106], v[103:104]
	v_div_scale_f64 v[105:106], vcc, v[99:100], v[97:98], v[99:100]
	v_fma_f64 v[107:108], -v[101:102], v[103:104], 1.0
	v_fma_f64 v[103:104], v[103:104], v[107:108], v[103:104]
	v_mul_f64 v[107:108], v[105:106], v[103:104]
	v_fma_f64 v[101:102], -v[101:102], v[107:108], v[105:106]
	v_div_fmas_f64 v[101:102], v[101:102], v[103:104], v[107:108]
	v_div_fixup_f64 v[103:104], v[101:102], v[97:98], v[99:100]
	v_fma_f64 v[97:98], v[99:100], v[103:104], v[97:98]
	v_div_scale_f64 v[99:100], s[6:7], v[97:98], v[97:98], 1.0
	v_div_scale_f64 v[107:108], vcc, 1.0, v[97:98], 1.0
	v_rcp_f64_e32 v[101:102], v[99:100]
	v_fma_f64 v[105:106], -v[99:100], v[101:102], 1.0
	v_fma_f64 v[101:102], v[101:102], v[105:106], v[101:102]
	v_fma_f64 v[105:106], -v[99:100], v[101:102], 1.0
	v_fma_f64 v[101:102], v[101:102], v[105:106], v[101:102]
	v_mul_f64 v[105:106], v[107:108], v[101:102]
	v_fma_f64 v[99:100], -v[99:100], v[105:106], v[107:108]
	v_div_fmas_f64 v[99:100], v[99:100], v[101:102], v[105:106]
	v_div_fixup_f64 v[101:102], v[99:100], v[97:98], 1.0
	v_mul_f64 v[103:104], v[103:104], -v[101:102]
.LBB53_205:
	s_or_b64 exec, exec, s[2:3]
	ds_write2_b64 v127, v[101:102], v[103:104] offset1:1
.LBB53_206:
	s_or_b64 exec, exec, s[4:5]
	s_waitcnt lgkmcnt(0)
	s_barrier
	ds_read2_b64 v[97:100], v127 offset1:1
	v_cmp_lt_u32_e32 vcc, 22, v0
	s_waitcnt lgkmcnt(0)
	buffer_store_dword v97, off, s[20:23], 0 offset:576 ; 4-byte Folded Spill
	s_nop 0
	buffer_store_dword v98, off, s[20:23], 0 offset:580 ; 4-byte Folded Spill
	buffer_store_dword v99, off, s[20:23], 0 offset:584 ; 4-byte Folded Spill
	buffer_store_dword v100, off, s[20:23], 0 offset:588 ; 4-byte Folded Spill
	s_and_saveexec_b64 s[2:3], vcc
	s_cbranch_execz .LBB53_208
; %bb.207:
	buffer_load_dword v103, off, s[20:23], 0 offset:576 ; 4-byte Folded Reload
	buffer_load_dword v104, off, s[20:23], 0 offset:580 ; 4-byte Folded Reload
	;; [unrolled: 1-line block ×4, first 2 shown]
	s_waitcnt vmcnt(2)
	v_mul_f64 v[97:98], v[103:104], v[15:16]
	s_waitcnt vmcnt(0)
	v_mul_f64 v[15:16], v[105:106], v[15:16]
	v_fma_f64 v[101:102], v[105:106], v[13:14], v[97:98]
	ds_read2_b64 v[97:100], v125 offset0:46 offset1:47
	v_fma_f64 v[13:14], v[103:104], v[13:14], -v[15:16]
	s_waitcnt lgkmcnt(0)
	v_mul_f64 v[15:16], v[99:100], v[101:102]
	v_fma_f64 v[15:16], v[97:98], v[13:14], -v[15:16]
	v_mul_f64 v[97:98], v[97:98], v[101:102]
	v_add_f64 v[9:10], v[9:10], -v[15:16]
	v_fma_f64 v[97:98], v[99:100], v[13:14], v[97:98]
	v_add_f64 v[11:12], v[11:12], -v[97:98]
	ds_read2_b64 v[97:100], v125 offset0:48 offset1:49
	s_waitcnt lgkmcnt(0)
	v_mul_f64 v[15:16], v[99:100], v[101:102]
	v_fma_f64 v[15:16], v[97:98], v[13:14], -v[15:16]
	v_mul_f64 v[97:98], v[97:98], v[101:102]
	v_add_f64 v[5:6], v[5:6], -v[15:16]
	v_fma_f64 v[97:98], v[99:100], v[13:14], v[97:98]
	v_add_f64 v[7:8], v[7:8], -v[97:98]
	ds_read2_b64 v[97:100], v125 offset0:50 offset1:51
	;; [unrolled: 8-line block ×3, first 2 shown]
	s_waitcnt lgkmcnt(0)
	v_mul_f64 v[15:16], v[99:100], v[101:102]
	v_fma_f64 v[15:16], v[97:98], v[13:14], -v[15:16]
	v_mul_f64 v[97:98], v[97:98], v[101:102]
	v_add_f64 v[81:82], v[81:82], -v[15:16]
	v_fma_f64 v[97:98], v[99:100], v[13:14], v[97:98]
	v_mov_b32_e32 v15, v101
	v_mov_b32_e32 v16, v102
	v_add_f64 v[83:84], v[83:84], -v[97:98]
.LBB53_208:
	s_or_b64 exec, exec, s[2:3]
	v_cmp_eq_u32_e32 vcc, 23, v0
	s_waitcnt vmcnt(0)
	s_barrier
	s_and_saveexec_b64 s[4:5], vcc
	s_cbranch_execz .LBB53_215
; %bb.209:
	ds_write2_b64 v127, v[9:10], v[11:12] offset1:1
	ds_write2_b64 v125, v[5:6], v[7:8] offset0:48 offset1:49
	ds_write2_b64 v125, v[1:2], v[3:4] offset0:50 offset1:51
	;; [unrolled: 1-line block ×3, first 2 shown]
	ds_read2_b64 v[97:100], v127 offset1:1
	s_waitcnt lgkmcnt(0)
	v_cmp_neq_f64_e32 vcc, 0, v[97:98]
	v_cmp_neq_f64_e64 s[2:3], 0, v[99:100]
	s_or_b64 s[2:3], vcc, s[2:3]
	s_and_b64 exec, exec, s[2:3]
	s_cbranch_execz .LBB53_215
; %bb.210:
	v_cmp_ngt_f64_e64 s[2:3], |v[97:98]|, |v[99:100]|
                                        ; implicit-def: $vgpr101_vgpr102
	s_and_saveexec_b64 s[6:7], s[2:3]
	s_xor_b64 s[2:3], exec, s[6:7]
                                        ; implicit-def: $vgpr103_vgpr104
	s_cbranch_execz .LBB53_212
; %bb.211:
	v_div_scale_f64 v[101:102], s[6:7], v[99:100], v[99:100], v[97:98]
	v_rcp_f64_e32 v[103:104], v[101:102]
	v_fma_f64 v[105:106], -v[101:102], v[103:104], 1.0
	v_fma_f64 v[103:104], v[103:104], v[105:106], v[103:104]
	v_div_scale_f64 v[105:106], vcc, v[97:98], v[99:100], v[97:98]
	v_fma_f64 v[107:108], -v[101:102], v[103:104], 1.0
	v_fma_f64 v[103:104], v[103:104], v[107:108], v[103:104]
	v_mul_f64 v[107:108], v[105:106], v[103:104]
	v_fma_f64 v[101:102], -v[101:102], v[107:108], v[105:106]
	v_div_fmas_f64 v[101:102], v[101:102], v[103:104], v[107:108]
	v_div_fixup_f64 v[101:102], v[101:102], v[99:100], v[97:98]
	v_fma_f64 v[97:98], v[97:98], v[101:102], v[99:100]
	v_div_scale_f64 v[99:100], s[6:7], v[97:98], v[97:98], 1.0
	v_div_scale_f64 v[107:108], vcc, 1.0, v[97:98], 1.0
	v_rcp_f64_e32 v[103:104], v[99:100]
	v_fma_f64 v[105:106], -v[99:100], v[103:104], 1.0
	v_fma_f64 v[103:104], v[103:104], v[105:106], v[103:104]
	v_fma_f64 v[105:106], -v[99:100], v[103:104], 1.0
	v_fma_f64 v[103:104], v[103:104], v[105:106], v[103:104]
	v_mul_f64 v[105:106], v[107:108], v[103:104]
	v_fma_f64 v[99:100], -v[99:100], v[105:106], v[107:108]
	v_div_fmas_f64 v[99:100], v[99:100], v[103:104], v[105:106]
	v_div_fixup_f64 v[103:104], v[99:100], v[97:98], 1.0
                                        ; implicit-def: $vgpr97_vgpr98
	v_mul_f64 v[101:102], v[101:102], v[103:104]
	v_xor_b32_e32 v104, 0x80000000, v104
.LBB53_212:
	s_andn2_saveexec_b64 s[2:3], s[2:3]
	s_cbranch_execz .LBB53_214
; %bb.213:
	v_div_scale_f64 v[101:102], s[6:7], v[97:98], v[97:98], v[99:100]
	v_rcp_f64_e32 v[103:104], v[101:102]
	v_fma_f64 v[105:106], -v[101:102], v[103:104], 1.0
	v_fma_f64 v[103:104], v[103:104], v[105:106], v[103:104]
	v_div_scale_f64 v[105:106], vcc, v[99:100], v[97:98], v[99:100]
	v_fma_f64 v[107:108], -v[101:102], v[103:104], 1.0
	v_fma_f64 v[103:104], v[103:104], v[107:108], v[103:104]
	v_mul_f64 v[107:108], v[105:106], v[103:104]
	v_fma_f64 v[101:102], -v[101:102], v[107:108], v[105:106]
	v_div_fmas_f64 v[101:102], v[101:102], v[103:104], v[107:108]
	v_div_fixup_f64 v[103:104], v[101:102], v[97:98], v[99:100]
	v_fma_f64 v[97:98], v[99:100], v[103:104], v[97:98]
	v_div_scale_f64 v[99:100], s[6:7], v[97:98], v[97:98], 1.0
	v_div_scale_f64 v[107:108], vcc, 1.0, v[97:98], 1.0
	v_rcp_f64_e32 v[101:102], v[99:100]
	v_fma_f64 v[105:106], -v[99:100], v[101:102], 1.0
	v_fma_f64 v[101:102], v[101:102], v[105:106], v[101:102]
	v_fma_f64 v[105:106], -v[99:100], v[101:102], 1.0
	v_fma_f64 v[101:102], v[101:102], v[105:106], v[101:102]
	v_mul_f64 v[105:106], v[107:108], v[101:102]
	v_fma_f64 v[99:100], -v[99:100], v[105:106], v[107:108]
	v_div_fmas_f64 v[99:100], v[99:100], v[101:102], v[105:106]
	v_div_fixup_f64 v[101:102], v[99:100], v[97:98], 1.0
	v_mul_f64 v[103:104], v[103:104], -v[101:102]
.LBB53_214:
	s_or_b64 exec, exec, s[2:3]
	ds_write2_b64 v127, v[101:102], v[103:104] offset1:1
.LBB53_215:
	s_or_b64 exec, exec, s[4:5]
	s_waitcnt lgkmcnt(0)
	s_barrier
	ds_read2_b64 v[97:100], v127 offset1:1
	v_cmp_lt_u32_e32 vcc, 23, v0
	s_waitcnt lgkmcnt(0)
	buffer_store_dword v97, off, s[20:23], 0 offset:592 ; 4-byte Folded Spill
	s_nop 0
	buffer_store_dword v98, off, s[20:23], 0 offset:596 ; 4-byte Folded Spill
	buffer_store_dword v99, off, s[20:23], 0 offset:600 ; 4-byte Folded Spill
	;; [unrolled: 1-line block ×3, first 2 shown]
	s_and_saveexec_b64 s[2:3], vcc
	s_cbranch_execz .LBB53_217
; %bb.216:
	buffer_load_dword v103, off, s[20:23], 0 offset:592 ; 4-byte Folded Reload
	buffer_load_dword v104, off, s[20:23], 0 offset:596 ; 4-byte Folded Reload
	;; [unrolled: 1-line block ×4, first 2 shown]
	s_waitcnt vmcnt(2)
	v_mul_f64 v[97:98], v[103:104], v[11:12]
	s_waitcnt vmcnt(0)
	v_mul_f64 v[11:12], v[105:106], v[11:12]
	v_fma_f64 v[101:102], v[105:106], v[9:10], v[97:98]
	ds_read2_b64 v[97:100], v125 offset0:48 offset1:49
	v_fma_f64 v[9:10], v[103:104], v[9:10], -v[11:12]
	s_waitcnt lgkmcnt(0)
	v_mul_f64 v[11:12], v[99:100], v[101:102]
	v_fma_f64 v[11:12], v[97:98], v[9:10], -v[11:12]
	v_mul_f64 v[97:98], v[97:98], v[101:102]
	v_add_f64 v[5:6], v[5:6], -v[11:12]
	v_fma_f64 v[97:98], v[99:100], v[9:10], v[97:98]
	v_add_f64 v[7:8], v[7:8], -v[97:98]
	ds_read2_b64 v[97:100], v125 offset0:50 offset1:51
	s_waitcnt lgkmcnt(0)
	v_mul_f64 v[11:12], v[99:100], v[101:102]
	v_fma_f64 v[11:12], v[97:98], v[9:10], -v[11:12]
	v_mul_f64 v[97:98], v[97:98], v[101:102]
	v_add_f64 v[1:2], v[1:2], -v[11:12]
	v_fma_f64 v[97:98], v[99:100], v[9:10], v[97:98]
	v_add_f64 v[3:4], v[3:4], -v[97:98]
	ds_read2_b64 v[97:100], v125 offset0:52 offset1:53
	s_waitcnt lgkmcnt(0)
	v_mul_f64 v[11:12], v[99:100], v[101:102]
	v_fma_f64 v[11:12], v[97:98], v[9:10], -v[11:12]
	v_mul_f64 v[97:98], v[97:98], v[101:102]
	v_add_f64 v[81:82], v[81:82], -v[11:12]
	v_fma_f64 v[97:98], v[99:100], v[9:10], v[97:98]
	v_mov_b32_e32 v11, v101
	v_mov_b32_e32 v12, v102
	v_add_f64 v[83:84], v[83:84], -v[97:98]
.LBB53_217:
	s_or_b64 exec, exec, s[2:3]
	v_cmp_eq_u32_e32 vcc, 24, v0
	s_waitcnt vmcnt(0)
	s_barrier
	s_and_saveexec_b64 s[4:5], vcc
	s_cbranch_execz .LBB53_224
; %bb.218:
	ds_write2_b64 v127, v[5:6], v[7:8] offset1:1
	ds_write2_b64 v125, v[1:2], v[3:4] offset0:50 offset1:51
	ds_write2_b64 v125, v[81:82], v[83:84] offset0:52 offset1:53
	ds_read2_b64 v[97:100], v127 offset1:1
	s_waitcnt lgkmcnt(0)
	v_cmp_neq_f64_e32 vcc, 0, v[97:98]
	v_cmp_neq_f64_e64 s[2:3], 0, v[99:100]
	s_or_b64 s[2:3], vcc, s[2:3]
	s_and_b64 exec, exec, s[2:3]
	s_cbranch_execz .LBB53_224
; %bb.219:
	v_cmp_ngt_f64_e64 s[2:3], |v[97:98]|, |v[99:100]|
                                        ; implicit-def: $vgpr101_vgpr102
	s_and_saveexec_b64 s[6:7], s[2:3]
	s_xor_b64 s[2:3], exec, s[6:7]
                                        ; implicit-def: $vgpr103_vgpr104
	s_cbranch_execz .LBB53_221
; %bb.220:
	v_div_scale_f64 v[101:102], s[6:7], v[99:100], v[99:100], v[97:98]
	v_rcp_f64_e32 v[103:104], v[101:102]
	v_fma_f64 v[105:106], -v[101:102], v[103:104], 1.0
	v_fma_f64 v[103:104], v[103:104], v[105:106], v[103:104]
	v_div_scale_f64 v[105:106], vcc, v[97:98], v[99:100], v[97:98]
	v_fma_f64 v[107:108], -v[101:102], v[103:104], 1.0
	v_fma_f64 v[103:104], v[103:104], v[107:108], v[103:104]
	v_mul_f64 v[107:108], v[105:106], v[103:104]
	v_fma_f64 v[101:102], -v[101:102], v[107:108], v[105:106]
	v_div_fmas_f64 v[101:102], v[101:102], v[103:104], v[107:108]
	v_div_fixup_f64 v[101:102], v[101:102], v[99:100], v[97:98]
	v_fma_f64 v[97:98], v[97:98], v[101:102], v[99:100]
	v_div_scale_f64 v[99:100], s[6:7], v[97:98], v[97:98], 1.0
	v_div_scale_f64 v[107:108], vcc, 1.0, v[97:98], 1.0
	v_rcp_f64_e32 v[103:104], v[99:100]
	v_fma_f64 v[105:106], -v[99:100], v[103:104], 1.0
	v_fma_f64 v[103:104], v[103:104], v[105:106], v[103:104]
	v_fma_f64 v[105:106], -v[99:100], v[103:104], 1.0
	v_fma_f64 v[103:104], v[103:104], v[105:106], v[103:104]
	v_mul_f64 v[105:106], v[107:108], v[103:104]
	v_fma_f64 v[99:100], -v[99:100], v[105:106], v[107:108]
	v_div_fmas_f64 v[99:100], v[99:100], v[103:104], v[105:106]
	v_div_fixup_f64 v[103:104], v[99:100], v[97:98], 1.0
                                        ; implicit-def: $vgpr97_vgpr98
	v_mul_f64 v[101:102], v[101:102], v[103:104]
	v_xor_b32_e32 v104, 0x80000000, v104
.LBB53_221:
	s_andn2_saveexec_b64 s[2:3], s[2:3]
	s_cbranch_execz .LBB53_223
; %bb.222:
	v_div_scale_f64 v[101:102], s[6:7], v[97:98], v[97:98], v[99:100]
	v_rcp_f64_e32 v[103:104], v[101:102]
	v_fma_f64 v[105:106], -v[101:102], v[103:104], 1.0
	v_fma_f64 v[103:104], v[103:104], v[105:106], v[103:104]
	v_div_scale_f64 v[105:106], vcc, v[99:100], v[97:98], v[99:100]
	v_fma_f64 v[107:108], -v[101:102], v[103:104], 1.0
	v_fma_f64 v[103:104], v[103:104], v[107:108], v[103:104]
	v_mul_f64 v[107:108], v[105:106], v[103:104]
	v_fma_f64 v[101:102], -v[101:102], v[107:108], v[105:106]
	v_div_fmas_f64 v[101:102], v[101:102], v[103:104], v[107:108]
	v_div_fixup_f64 v[103:104], v[101:102], v[97:98], v[99:100]
	v_fma_f64 v[97:98], v[99:100], v[103:104], v[97:98]
	v_div_scale_f64 v[99:100], s[6:7], v[97:98], v[97:98], 1.0
	v_div_scale_f64 v[107:108], vcc, 1.0, v[97:98], 1.0
	v_rcp_f64_e32 v[101:102], v[99:100]
	v_fma_f64 v[105:106], -v[99:100], v[101:102], 1.0
	v_fma_f64 v[101:102], v[101:102], v[105:106], v[101:102]
	v_fma_f64 v[105:106], -v[99:100], v[101:102], 1.0
	v_fma_f64 v[101:102], v[101:102], v[105:106], v[101:102]
	v_mul_f64 v[105:106], v[107:108], v[101:102]
	v_fma_f64 v[99:100], -v[99:100], v[105:106], v[107:108]
	v_div_fmas_f64 v[99:100], v[99:100], v[101:102], v[105:106]
	v_div_fixup_f64 v[101:102], v[99:100], v[97:98], 1.0
	v_mul_f64 v[103:104], v[103:104], -v[101:102]
.LBB53_223:
	s_or_b64 exec, exec, s[2:3]
	ds_write2_b64 v127, v[101:102], v[103:104] offset1:1
.LBB53_224:
	s_or_b64 exec, exec, s[4:5]
	s_waitcnt lgkmcnt(0)
	s_barrier
	ds_read2_b64 v[101:104], v127 offset1:1
	v_cmp_lt_u32_e32 vcc, 24, v0
	s_and_saveexec_b64 s[2:3], vcc
	s_cbranch_execz .LBB53_226
; %bb.225:
	s_waitcnt lgkmcnt(0)
	v_mul_f64 v[97:98], v[101:102], v[7:8]
	v_mul_f64 v[7:8], v[103:104], v[7:8]
	v_fma_f64 v[105:106], v[103:104], v[5:6], v[97:98]
	ds_read2_b64 v[97:100], v125 offset0:50 offset1:51
	v_fma_f64 v[5:6], v[101:102], v[5:6], -v[7:8]
	s_waitcnt lgkmcnt(0)
	v_mul_f64 v[7:8], v[99:100], v[105:106]
	v_fma_f64 v[7:8], v[97:98], v[5:6], -v[7:8]
	v_mul_f64 v[97:98], v[97:98], v[105:106]
	v_add_f64 v[1:2], v[1:2], -v[7:8]
	v_fma_f64 v[97:98], v[99:100], v[5:6], v[97:98]
	v_add_f64 v[3:4], v[3:4], -v[97:98]
	ds_read2_b64 v[97:100], v125 offset0:52 offset1:53
	s_waitcnt lgkmcnt(0)
	v_mul_f64 v[7:8], v[99:100], v[105:106]
	v_fma_f64 v[7:8], v[97:98], v[5:6], -v[7:8]
	v_mul_f64 v[97:98], v[97:98], v[105:106]
	v_add_f64 v[81:82], v[81:82], -v[7:8]
	v_fma_f64 v[97:98], v[99:100], v[5:6], v[97:98]
	v_mov_b32_e32 v7, v105
	v_mov_b32_e32 v8, v106
	v_add_f64 v[83:84], v[83:84], -v[97:98]
.LBB53_226:
	s_or_b64 exec, exec, s[2:3]
	s_waitcnt lgkmcnt(0)
	s_barrier
	v_cmp_eq_u32_e32 vcc, 25, v0
	s_mov_b64 s[4:5], exec
	s_and_b64 s[2:3], s[4:5], vcc
	buffer_store_dword v93, off, s[20:23], 0 offset:96 ; 4-byte Folded Spill
	s_nop 0
	buffer_store_dword v94, off, s[20:23], 0 offset:100 ; 4-byte Folded Spill
	buffer_store_dword v95, off, s[20:23], 0 offset:104 ; 4-byte Folded Spill
	;; [unrolled: 1-line block ×3, first 2 shown]
	s_mov_b64 exec, s[2:3]
	s_cbranch_execz .LBB53_233
; %bb.227:
	ds_write2_b64 v127, v[1:2], v[3:4] offset1:1
	ds_write2_b64 v125, v[81:82], v[83:84] offset0:52 offset1:53
	ds_read2_b64 v[97:100], v127 offset1:1
	s_waitcnt lgkmcnt(0)
	v_cmp_neq_f64_e32 vcc, 0, v[97:98]
	v_cmp_neq_f64_e64 s[2:3], 0, v[99:100]
	s_or_b64 s[2:3], vcc, s[2:3]
	s_and_b64 exec, exec, s[2:3]
	s_cbranch_execz .LBB53_233
; %bb.228:
	v_cmp_ngt_f64_e64 s[2:3], |v[97:98]|, |v[99:100]|
                                        ; implicit-def: $vgpr105_vgpr106
	s_and_saveexec_b64 s[6:7], s[2:3]
	s_xor_b64 s[2:3], exec, s[6:7]
                                        ; implicit-def: $vgpr107_vgpr108
	s_cbranch_execz .LBB53_230
; %bb.229:
	v_div_scale_f64 v[105:106], s[6:7], v[99:100], v[99:100], v[97:98]
	v_div_scale_f64 v[95:96], vcc, v[97:98], v[99:100], v[97:98]
	v_rcp_f64_e32 v[107:108], v[105:106]
	v_fma_f64 v[93:94], -v[105:106], v[107:108], 1.0
	v_fma_f64 v[93:94], v[107:108], v[93:94], v[107:108]
	v_fma_f64 v[107:108], -v[105:106], v[93:94], 1.0
	v_fma_f64 v[93:94], v[93:94], v[107:108], v[93:94]
	v_mul_f64 v[107:108], v[95:96], v[93:94]
	v_fma_f64 v[95:96], -v[105:106], v[107:108], v[95:96]
	v_div_fmas_f64 v[93:94], v[95:96], v[93:94], v[107:108]
	v_div_fixup_f64 v[93:94], v[93:94], v[99:100], v[97:98]
	v_fma_f64 v[95:96], v[97:98], v[93:94], v[99:100]
	v_div_scale_f64 v[97:98], s[6:7], v[95:96], v[95:96], 1.0
	v_div_scale_f64 v[107:108], vcc, 1.0, v[95:96], 1.0
	v_rcp_f64_e32 v[99:100], v[97:98]
	v_fma_f64 v[105:106], -v[97:98], v[99:100], 1.0
	v_fma_f64 v[99:100], v[99:100], v[105:106], v[99:100]
	v_fma_f64 v[105:106], -v[97:98], v[99:100], 1.0
	v_fma_f64 v[99:100], v[99:100], v[105:106], v[99:100]
	v_mul_f64 v[105:106], v[107:108], v[99:100]
	v_fma_f64 v[97:98], -v[97:98], v[105:106], v[107:108]
	v_div_fmas_f64 v[97:98], v[97:98], v[99:100], v[105:106]
	v_div_fixup_f64 v[107:108], v[97:98], v[95:96], 1.0
                                        ; implicit-def: $vgpr97_vgpr98
	v_mul_f64 v[105:106], v[93:94], v[107:108]
	buffer_load_dword v93, off, s[20:23], 0 offset:96 ; 4-byte Folded Reload
	buffer_load_dword v94, off, s[20:23], 0 offset:100 ; 4-byte Folded Reload
	;; [unrolled: 1-line block ×4, first 2 shown]
	v_xor_b32_e32 v108, 0x80000000, v108
.LBB53_230:
	s_andn2_saveexec_b64 s[2:3], s[2:3]
	s_cbranch_execz .LBB53_232
; %bb.231:
	s_waitcnt vmcnt(2)
	v_div_scale_f64 v[93:94], s[6:7], v[97:98], v[97:98], v[99:100]
	s_waitcnt vmcnt(0)
	v_rcp_f64_e32 v[95:96], v[93:94]
	v_fma_f64 v[105:106], -v[93:94], v[95:96], 1.0
	v_fma_f64 v[95:96], v[95:96], v[105:106], v[95:96]
	v_div_scale_f64 v[105:106], vcc, v[99:100], v[97:98], v[99:100]
	v_fma_f64 v[107:108], -v[93:94], v[95:96], 1.0
	v_fma_f64 v[95:96], v[95:96], v[107:108], v[95:96]
	v_mul_f64 v[107:108], v[105:106], v[95:96]
	v_fma_f64 v[93:94], -v[93:94], v[107:108], v[105:106]
	v_div_fmas_f64 v[93:94], v[93:94], v[95:96], v[107:108]
	v_div_fixup_f64 v[93:94], v[93:94], v[97:98], v[99:100]
	v_fma_f64 v[95:96], v[99:100], v[93:94], v[97:98]
	v_div_scale_f64 v[97:98], s[6:7], v[95:96], v[95:96], 1.0
	v_div_scale_f64 v[107:108], vcc, 1.0, v[95:96], 1.0
	v_rcp_f64_e32 v[99:100], v[97:98]
	v_fma_f64 v[105:106], -v[97:98], v[99:100], 1.0
	v_fma_f64 v[99:100], v[99:100], v[105:106], v[99:100]
	v_fma_f64 v[105:106], -v[97:98], v[99:100], 1.0
	v_fma_f64 v[99:100], v[99:100], v[105:106], v[99:100]
	v_mul_f64 v[105:106], v[107:108], v[99:100]
	v_fma_f64 v[97:98], -v[97:98], v[105:106], v[107:108]
	v_div_fmas_f64 v[97:98], v[97:98], v[99:100], v[105:106]
	v_div_fixup_f64 v[105:106], v[97:98], v[95:96], 1.0
	v_mul_f64 v[107:108], v[93:94], -v[105:106]
	buffer_load_dword v93, off, s[20:23], 0 offset:96 ; 4-byte Folded Reload
	buffer_load_dword v94, off, s[20:23], 0 offset:100 ; 4-byte Folded Reload
	;; [unrolled: 1-line block ×4, first 2 shown]
.LBB53_232:
	s_or_b64 exec, exec, s[2:3]
	ds_write2_b64 v127, v[105:106], v[107:108] offset1:1
.LBB53_233:
	s_or_b64 exec, exec, s[4:5]
	s_waitcnt vmcnt(0) lgkmcnt(0)
	s_barrier
	ds_read2_b64 v[97:100], v127 offset1:1
	v_cmp_lt_u32_e32 vcc, 25, v0
	s_and_saveexec_b64 s[2:3], vcc
	s_cbranch_execz .LBB53_235
; %bb.234:
	s_waitcnt lgkmcnt(0)
	v_mul_f64 v[93:94], v[97:98], v[3:4]
	v_mul_f64 v[3:4], v[99:100], v[3:4]
	ds_read2_b64 v[105:108], v125 offset0:52 offset1:53
	v_fma_f64 v[93:94], v[99:100], v[1:2], v[93:94]
	v_fma_f64 v[1:2], v[97:98], v[1:2], -v[3:4]
	s_waitcnt lgkmcnt(0)
	v_mul_f64 v[3:4], v[107:108], v[93:94]
	v_mul_f64 v[95:96], v[105:106], v[93:94]
	v_fma_f64 v[3:4], v[105:106], v[1:2], -v[3:4]
	v_fma_f64 v[95:96], v[107:108], v[1:2], v[95:96]
	v_add_f64 v[81:82], v[81:82], -v[3:4]
	v_mov_b32_e32 v3, v93
	v_add_f64 v[83:84], v[83:84], -v[95:96]
	v_mov_b32_e32 v4, v94
	buffer_load_dword v93, off, s[20:23], 0 offset:96 ; 4-byte Folded Reload
	buffer_load_dword v94, off, s[20:23], 0 offset:100 ; 4-byte Folded Reload
	;; [unrolled: 1-line block ×4, first 2 shown]
.LBB53_235:
	s_or_b64 exec, exec, s[2:3]
	v_cmp_eq_u32_e32 vcc, 26, v0
	s_waitcnt vmcnt(0) lgkmcnt(0)
	s_barrier
	s_and_saveexec_b64 s[4:5], vcc
	s_cbranch_execz .LBB53_242
; %bb.236:
	v_cmp_neq_f64_e32 vcc, 0, v[81:82]
	v_cmp_neq_f64_e64 s[2:3], 0, v[83:84]
	ds_write2_b64 v127, v[81:82], v[83:84] offset1:1
	s_or_b64 s[2:3], vcc, s[2:3]
	s_and_b64 exec, exec, s[2:3]
	s_cbranch_execz .LBB53_242
; %bb.237:
	v_cmp_ngt_f64_e64 s[2:3], |v[81:82]|, |v[83:84]|
                                        ; implicit-def: $vgpr105_vgpr106
	s_and_saveexec_b64 s[6:7], s[2:3]
	s_xor_b64 s[2:3], exec, s[6:7]
                                        ; implicit-def: $vgpr107_vgpr108
	s_cbranch_execz .LBB53_239
; %bb.238:
	v_div_scale_f64 v[93:94], s[6:7], v[83:84], v[83:84], v[81:82]
	buffer_store_dword v101, off, s[20:23], 0 offset:616 ; 4-byte Folded Spill
	s_nop 0
	buffer_store_dword v102, off, s[20:23], 0 offset:620 ; 4-byte Folded Spill
	buffer_store_dword v103, off, s[20:23], 0 offset:624 ; 4-byte Folded Spill
	;; [unrolled: 1-line block ×3, first 2 shown]
	v_mov_b32_e32 v104, v84
	v_mov_b32_e32 v103, v83
	;; [unrolled: 1-line block ×4, first 2 shown]
	v_rcp_f64_e32 v[95:96], v[93:94]
	v_fma_f64 v[105:106], -v[93:94], v[95:96], 1.0
	v_fma_f64 v[95:96], v[95:96], v[105:106], v[95:96]
	v_div_scale_f64 v[105:106], vcc, v[81:82], v[83:84], v[81:82]
	v_fma_f64 v[107:108], -v[93:94], v[95:96], 1.0
	v_fma_f64 v[95:96], v[95:96], v[107:108], v[95:96]
	v_mul_f64 v[107:108], v[105:106], v[95:96]
	v_fma_f64 v[93:94], -v[93:94], v[107:108], v[105:106]
	v_div_fmas_f64 v[93:94], v[93:94], v[95:96], v[107:108]
	v_div_fixup_f64 v[93:94], v[93:94], v[83:84], v[81:82]
	v_fma_f64 v[95:96], v[81:82], v[93:94], v[83:84]
	v_mov_b32_e32 v81, v121
	v_mov_b32_e32 v82, v122
	;; [unrolled: 1-line block ×7, first 2 shown]
	v_div_scale_f64 v[105:106], s[6:7], v[95:96], v[95:96], 1.0
	v_mov_b32_e32 v121, v1
	v_mov_b32_e32 v1, v5
	;; [unrolled: 1-line block ×14, first 2 shown]
	v_rcp_f64_e32 v[107:108], v[105:106]
	v_mov_b32_e32 v14, v18
	v_mov_b32_e32 v15, v19
	;; [unrolled: 1-line block ×15, first 2 shown]
	v_fma_f64 v[125:126], -v[105:106], v[107:108], 1.0
	v_mov_b32_e32 v29, v117
	v_mov_b32_e32 v30, v118
	;; [unrolled: 1-line block ×29, first 2 shown]
	v_fma_f64 v[107:108], v[107:108], v[125:126], v[107:108]
	v_mov_b32_e32 v54, v78
	v_mov_b32_e32 v55, v79
	;; [unrolled: 1-line block ×32, first 2 shown]
	v_fma_f64 v[125:126], -v[105:106], v[107:108], 1.0
	v_mov_b32_e32 v90, v110
	v_mov_b32_e32 v91, v111
	;; [unrolled: 1-line block ×3, first 2 shown]
	v_div_scale_f64 v[109:110], vcc, 1.0, v[95:96], 1.0
	v_fma_f64 v[107:108], v[107:108], v[125:126], v[107:108]
	v_mul_f64 v[111:112], v[109:110], v[107:108]
	v_fma_f64 v[105:106], -v[105:106], v[111:112], v[109:110]
	s_nop 0
	v_div_fmas_f64 v[105:106], v[105:106], v[107:108], v[111:112]
	v_mov_b32_e32 v112, v92
	v_mov_b32_e32 v111, v91
	;; [unrolled: 1-line block ×73, first 2 shown]
	v_div_fixup_f64 v[107:108], v[105:106], v[95:96], 1.0
	v_mov_b32_e32 v23, v19
	v_mov_b32_e32 v22, v18
	v_mov_b32_e32 v21, v17
	v_mov_b32_e32 v20, v16
	v_mov_b32_e32 v19, v15
	v_mov_b32_e32 v18, v14
	v_mov_b32_e32 v17, v13
	v_mov_b32_e32 v16, v12
	v_mov_b32_e32 v15, v11
	v_mov_b32_e32 v14, v10
	v_mov_b32_e32 v13, v9
	v_mov_b32_e32 v12, v8
	v_mov_b32_e32 v11, v7
	v_mov_b32_e32 v10, v6
	v_mov_b32_e32 v9, v5
	v_mov_b32_e32 v8, v4
	v_mov_b32_e32 v7, v3
	v_mov_b32_e32 v6, v2
	v_mov_b32_e32 v5, v1
	v_mov_b32_e32 v1, v121
	v_mov_b32_e32 v2, v122
	v_mov_b32_e32 v3, v123
	v_mov_b32_e32 v4, v124
	v_mov_b32_e32 v124, v84
	v_mov_b32_e32 v123, v83
	v_mov_b32_e32 v122, v82
	v_mov_b32_e32 v121, v81
	v_mov_b32_e32 v81, v101
	v_mov_b32_e32 v82, v102
	v_mov_b32_e32 v83, v103
	v_mov_b32_e32 v84, v104
	buffer_load_dword v101, off, s[20:23], 0 offset:616 ; 4-byte Folded Reload
	buffer_load_dword v102, off, s[20:23], 0 offset:620 ; 4-byte Folded Reload
	buffer_load_dword v103, off, s[20:23], 0 offset:624 ; 4-byte Folded Reload
	buffer_load_dword v104, off, s[20:23], 0 offset:628 ; 4-byte Folded Reload
	v_mul_f64 v[105:106], v[93:94], v[107:108]
	buffer_load_dword v93, off, s[20:23], 0 offset:96 ; 4-byte Folded Reload
	buffer_load_dword v94, off, s[20:23], 0 offset:100 ; 4-byte Folded Reload
	;; [unrolled: 1-line block ×4, first 2 shown]
	v_xor_b32_e32 v108, 0x80000000, v108
.LBB53_239:
	s_andn2_saveexec_b64 s[2:3], s[2:3]
	s_cbranch_execz .LBB53_241
; %bb.240:
	s_waitcnt vmcnt(2)
	v_div_scale_f64 v[93:94], s[6:7], v[81:82], v[81:82], v[83:84]
	s_waitcnt vmcnt(0)
	v_rcp_f64_e32 v[95:96], v[93:94]
	v_fma_f64 v[105:106], -v[93:94], v[95:96], 1.0
	v_fma_f64 v[95:96], v[95:96], v[105:106], v[95:96]
	v_div_scale_f64 v[105:106], vcc, v[83:84], v[81:82], v[83:84]
	v_fma_f64 v[107:108], -v[93:94], v[95:96], 1.0
	v_fma_f64 v[95:96], v[95:96], v[107:108], v[95:96]
	v_mul_f64 v[107:108], v[105:106], v[95:96]
	v_fma_f64 v[93:94], -v[93:94], v[107:108], v[105:106]
	v_div_fmas_f64 v[93:94], v[93:94], v[95:96], v[107:108]
	v_div_fixup_f64 v[93:94], v[93:94], v[81:82], v[83:84]
	v_fma_f64 v[95:96], v[83:84], v[93:94], v[81:82]
	buffer_store_dword v81, off, s[20:23], 0 offset:616 ; 4-byte Folded Spill
	s_nop 0
	buffer_store_dword v82, off, s[20:23], 0 offset:620 ; 4-byte Folded Spill
	buffer_store_dword v83, off, s[20:23], 0 offset:624 ; 4-byte Folded Spill
	;; [unrolled: 1-line block ×3, first 2 shown]
	v_mov_b32_e32 v81, v121
	v_mov_b32_e32 v82, v122
	;; [unrolled: 1-line block ×6, first 2 shown]
	v_div_scale_f64 v[105:106], s[6:7], v[95:96], v[95:96], 1.0
	v_mov_b32_e32 v122, v2
	v_mov_b32_e32 v121, v1
	;; [unrolled: 1-line block ×27, first 2 shown]
	v_rcp_f64_e32 v[107:108], v[105:106]
	v_mov_b32_e32 v26, v30
	v_mov_b32_e32 v27, v31
	;; [unrolled: 1-line block ×67, first 2 shown]
	v_fma_f64 v[109:110], -v[105:106], v[107:108], 1.0
	v_div_scale_f64 v[111:112], vcc, 1.0, v[95:96], 1.0
	v_fma_f64 v[107:108], v[107:108], v[109:110], v[107:108]
	v_fma_f64 v[109:110], -v[105:106], v[107:108], 1.0
	v_fma_f64 v[107:108], v[107:108], v[109:110], v[107:108]
	v_mul_f64 v[109:110], v[111:112], v[107:108]
	v_fma_f64 v[105:106], -v[105:106], v[109:110], v[111:112]
	v_div_fmas_f64 v[105:106], v[105:106], v[107:108], v[109:110]
	v_mov_b32_e32 v112, v92
	v_mov_b32_e32 v111, v91
	v_mov_b32_e32 v110, v90
	v_mov_b32_e32 v109, v89
	v_mov_b32_e32 v92, v76
	v_mov_b32_e32 v91, v75
	v_mov_b32_e32 v90, v74
	v_mov_b32_e32 v89, v73
	v_mov_b32_e32 v76, v72
	v_mov_b32_e32 v75, v71
	v_mov_b32_e32 v74, v70
	v_mov_b32_e32 v73, v69
	v_mov_b32_e32 v72, v68
	v_mov_b32_e32 v71, v67
	v_mov_b32_e32 v70, v66
	v_mov_b32_e32 v69, v65
	v_mov_b32_e32 v65, v113
	v_mov_b32_e32 v66, v114
	v_mov_b32_e32 v67, v115
	v_mov_b32_e32 v68, v116
	v_mov_b32_e32 v116, v64
	v_mov_b32_e32 v115, v63
	v_mov_b32_e32 v114, v62
	v_mov_b32_e32 v113, v61
	v_mov_b32_e32 v64, v60
	v_mov_b32_e32 v63, v59
	v_mov_b32_e32 v62, v58
	v_mov_b32_e32 v61, v57
	v_mov_b32_e32 v57, v77
	v_mov_b32_e32 v58, v78
	v_mov_b32_e32 v59, v79
	v_mov_b32_e32 v60, v80
	v_mov_b32_e32 v80, v56
	v_mov_b32_e32 v79, v55
	v_mov_b32_e32 v78, v54
	v_mov_b32_e32 v77, v53
	v_mov_b32_e32 v56, v52
	v_mov_b32_e32 v55, v51
	v_mov_b32_e32 v54, v50
	v_mov_b32_e32 v53, v49
	v_mov_b32_e32 v52, v48
	v_mov_b32_e32 v51, v47
	v_mov_b32_e32 v50, v46
	v_mov_b32_e32 v49, v45
	v_mov_b32_e32 v48, v44
	v_mov_b32_e32 v47, v43
	v_mov_b32_e32 v46, v42
	v_mov_b32_e32 v45, v41
	v_mov_b32_e32 v44, v40
	v_mov_b32_e32 v43, v39
	v_mov_b32_e32 v42, v38
	v_mov_b32_e32 v41, v37
	v_mov_b32_e32 v40, v36
	v_mov_b32_e32 v39, v35
	v_mov_b32_e32 v38, v34
	v_mov_b32_e32 v37, v33
	v_mov_b32_e32 v33, v117
	v_mov_b32_e32 v34, v118
	v_mov_b32_e32 v35, v119
	v_mov_b32_e32 v36, v120
	v_mov_b32_e32 v120, v32
	v_mov_b32_e32 v119, v31
	v_mov_b32_e32 v118, v30
	v_mov_b32_e32 v117, v29
	v_mov_b32_e32 v32, v28
	v_mov_b32_e32 v31, v27
	v_mov_b32_e32 v30, v26
	v_mov_b32_e32 v29, v25
	v_mov_b32_e32 v28, v24
	v_div_fixup_f64 v[105:106], v[105:106], v[95:96], 1.0
	v_mov_b32_e32 v27, v23
	v_mov_b32_e32 v26, v22
	;; [unrolled: 1-line block ×31, first 2 shown]
	buffer_load_dword v81, off, s[20:23], 0 offset:616 ; 4-byte Folded Reload
	buffer_load_dword v82, off, s[20:23], 0 offset:620 ; 4-byte Folded Reload
	;; [unrolled: 1-line block ×4, first 2 shown]
	v_mul_f64 v[107:108], v[93:94], -v[105:106]
	buffer_load_dword v93, off, s[20:23], 0 offset:96 ; 4-byte Folded Reload
	buffer_load_dword v94, off, s[20:23], 0 offset:100 ; 4-byte Folded Reload
	;; [unrolled: 1-line block ×4, first 2 shown]
.LBB53_241:
	s_or_b64 exec, exec, s[2:3]
	ds_write2_b64 v127, v[105:106], v[107:108] offset1:1
.LBB53_242:
	s_or_b64 exec, exec, s[4:5]
	s_waitcnt vmcnt(0) lgkmcnt(0)
	s_barrier
	ds_read2_b64 v[105:108], v127 offset1:1
	s_waitcnt lgkmcnt(0)
	s_barrier
	s_and_saveexec_b64 s[2:3], s[0:1]
	s_cbranch_execz .LBB53_245
; %bb.243:
	buffer_load_dword v93, off, s[20:23], 0 offset:288 ; 4-byte Folded Reload
	buffer_load_dword v94, off, s[20:23], 0 offset:292 ; 4-byte Folded Reload
	;; [unrolled: 1-line block ×4, first 2 shown]
	s_nop 0
	buffer_store_dword v81, off, s[20:23], 0 offset:616 ; 4-byte Folded Spill
	s_nop 0
	buffer_store_dword v82, off, s[20:23], 0 offset:620 ; 4-byte Folded Spill
	buffer_store_dword v83, off, s[20:23], 0 offset:624 ; 4-byte Folded Spill
	;; [unrolled: 1-line block ×3, first 2 shown]
	v_mov_b32_e32 v81, v121
	v_mov_b32_e32 v82, v122
	;; [unrolled: 1-line block ×76, first 2 shown]
	buffer_load_dword v109, off, s[20:23], 0 offset:304 ; 4-byte Folded Reload
	buffer_load_dword v110, off, s[20:23], 0 offset:308 ; 4-byte Folded Reload
	;; [unrolled: 1-line block ×4, first 2 shown]
	s_waitcnt vmcnt(10)
	v_cmp_eq_f64_e32 vcc, 0, v[93:94]
	s_waitcnt vmcnt(8)
	v_cmp_eq_f64_e64 s[0:1], 0, v[95:96]
	s_and_b64 s[4:5], vcc, s[0:1]
	v_cndmask_b32_e64 v93, 0, 1, s[4:5]
	s_waitcnt vmcnt(2)
	v_cmp_neq_f64_e32 vcc, 0, v[109:110]
	s_waitcnt vmcnt(0)
	v_cmp_neq_f64_e64 s[0:1], 0, v[111:112]
	s_or_b64 s[0:1], vcc, s[0:1]
	s_or_b64 vcc, s[0:1], s[4:5]
	v_cndmask_b32_e32 v93, 2, v93, vcc
	v_cmp_eq_f64_e32 vcc, 0, v[87:88]
	v_cmp_eq_f64_e64 s[0:1], 0, v[89:90]
	buffer_load_dword v87, off, s[20:23], 0 offset:352 ; 4-byte Folded Reload
	buffer_load_dword v88, off, s[20:23], 0 offset:356 ; 4-byte Folded Reload
	;; [unrolled: 1-line block ×4, first 2 shown]
	s_and_b64 s[0:1], vcc, s[0:1]
	v_cmp_eq_u32_e32 vcc, 0, v93
	s_and_b64 s[0:1], s[0:1], vcc
	v_cndmask_b32_e64 v93, v93, 3, s[0:1]
	s_waitcnt vmcnt(2)
	v_cmp_eq_f64_e32 vcc, 0, v[87:88]
	s_waitcnt vmcnt(0)
	v_cmp_eq_f64_e64 s[0:1], 0, v[89:90]
	buffer_load_dword v87, off, s[20:23], 0 offset:368 ; 4-byte Folded Reload
	buffer_load_dword v88, off, s[20:23], 0 offset:372 ; 4-byte Folded Reload
	;; [unrolled: 1-line block ×4, first 2 shown]
	s_and_b64 s[0:1], vcc, s[0:1]
	v_cmp_eq_u32_e32 vcc, 0, v93
	s_and_b64 s[0:1], s[0:1], vcc
	v_cndmask_b32_e64 v93, v93, 4, s[0:1]
	s_waitcnt vmcnt(2)
	v_cmp_eq_f64_e32 vcc, 0, v[87:88]
	s_waitcnt vmcnt(0)
	v_cmp_eq_f64_e64 s[0:1], 0, v[89:90]
	s_and_b64 s[0:1], vcc, s[0:1]
	v_cmp_eq_u32_e32 vcc, 0, v93
	s_and_b64 s[0:1], s[0:1], vcc
	v_cndmask_b32_e64 v93, v93, 5, s[0:1]
	v_cmp_eq_f64_e32 vcc, 0, v[73:74]
	v_cmp_eq_f64_e64 s[0:1], 0, v[75:76]
	v_mov_b32_e32 v76, v72
	v_mov_b32_e32 v75, v71
	v_mov_b32_e32 v74, v70
	v_mov_b32_e32 v73, v69
	v_mov_b32_e32 v72, v68
	v_mov_b32_e32 v71, v67
	v_mov_b32_e32 v70, v66
	s_and_b64 s[0:1], vcc, s[0:1]
	v_cmp_eq_u32_e32 vcc, 0, v93
	s_and_b64 s[0:1], s[0:1], vcc
	v_cndmask_b32_e64 v93, v93, 6, s[0:1]
	v_cmp_eq_f64_e32 vcc, 0, v[61:62]
	v_cmp_eq_f64_e64 s[0:1], 0, v[63:64]
	v_mov_b32_e32 v64, v60
	v_mov_b32_e32 v63, v59
	v_mov_b32_e32 v62, v58
	v_mov_b32_e32 v61, v57
	v_mov_b32_e32 v57, v77
	v_mov_b32_e32 v58, v78
	v_mov_b32_e32 v59, v79
	;; [unrolled: 13-line block ×4, first 2 shown]
	s_and_b64 s[0:1], vcc, s[0:1]
	v_cmp_eq_u32_e32 vcc, 0, v93
	s_and_b64 s[0:1], s[0:1], vcc
	v_cndmask_b32_e64 v93, v93, 9, s[0:1]
	v_cmp_eq_f64_e32 vcc, 0, v[81:82]
	v_cmp_eq_f64_e64 s[0:1], 0, v[83:84]
	buffer_load_dword v81, off, s[20:23], 0 offset:616 ; 4-byte Folded Reload
	buffer_load_dword v82, off, s[20:23], 0 offset:620 ; 4-byte Folded Reload
	;; [unrolled: 1-line block ×8, first 2 shown]
	v_mov_b32_e32 v43, v39
	v_mov_b32_e32 v42, v38
	;; [unrolled: 1-line block ×5, first 2 shown]
	s_and_b64 s[0:1], vcc, s[0:1]
	v_cmp_eq_u32_e32 vcc, 0, v93
	s_and_b64 s[0:1], s[0:1], vcc
	v_cndmask_b32_e64 v93, v93, 10, s[0:1]
	v_mov_b32_e32 v69, v65
	v_mov_b32_e32 v65, v113
	;; [unrolled: 1-line block ×19, first 2 shown]
	s_waitcnt vmcnt(2)
	v_cmp_eq_f64_e32 vcc, 0, v[77:78]
	s_waitcnt vmcnt(0)
	v_cmp_eq_f64_e64 s[0:1], 0, v[79:80]
	buffer_load_dword v77, off, s[20:23], 0 offset:400 ; 4-byte Folded Reload
	buffer_load_dword v78, off, s[20:23], 0 offset:404 ; 4-byte Folded Reload
	buffer_load_dword v79, off, s[20:23], 0 offset:408 ; 4-byte Folded Reload
	buffer_load_dword v80, off, s[20:23], 0 offset:412 ; 4-byte Folded Reload
	s_and_b64 s[0:1], vcc, s[0:1]
	v_cmp_eq_u32_e32 vcc, 0, v93
	s_and_b64 s[0:1], s[0:1], vcc
	v_cndmask_b32_e64 v93, v93, 11, s[0:1]
	s_waitcnt vmcnt(2)
	v_cmp_eq_f64_e32 vcc, 0, v[77:78]
	s_waitcnt vmcnt(0)
	v_cmp_eq_f64_e64 s[0:1], 0, v[79:80]
	buffer_load_dword v77, off, s[20:23], 0 offset:416 ; 4-byte Folded Reload
	buffer_load_dword v78, off, s[20:23], 0 offset:420 ; 4-byte Folded Reload
	buffer_load_dword v79, off, s[20:23], 0 offset:424 ; 4-byte Folded Reload
	buffer_load_dword v80, off, s[20:23], 0 offset:428 ; 4-byte Folded Reload
	s_and_b64 s[0:1], vcc, s[0:1]
	v_cmp_eq_u32_e32 vcc, 0, v93
	s_and_b64 s[0:1], s[0:1], vcc
	v_cndmask_b32_e64 v93, v93, 12, s[0:1]
	;; [unrolled: 12-line block ×12, first 2 shown]
	s_waitcnt vmcnt(2)
	v_cmp_eq_f64_e32 vcc, 0, v[77:78]
	s_waitcnt vmcnt(0)
	v_cmp_eq_f64_e64 s[0:1], 0, v[79:80]
	buffer_load_dword v77, off, s[20:23], 0 offset:592 ; 4-byte Folded Reload
	buffer_load_dword v78, off, s[20:23], 0 offset:596 ; 4-byte Folded Reload
	;; [unrolled: 1-line block ×6, first 2 shown]
	s_and_b64 s[0:1], vcc, s[0:1]
	v_cmp_eq_u32_e32 vcc, 0, v93
	s_and_b64 s[0:1], s[0:1], vcc
	v_cndmask_b32_e64 v93, v93, 23, s[0:1]
	s_waitcnt vmcnt(4)
	v_cmp_eq_f64_e32 vcc, 0, v[77:78]
	s_waitcnt vmcnt(2)
	v_cmp_eq_f64_e64 s[0:1], 0, v[79:80]
	s_and_b64 s[0:1], vcc, s[0:1]
	v_cmp_eq_u32_e32 vcc, 0, v93
	s_and_b64 s[0:1], s[0:1], vcc
	v_cndmask_b32_e64 v93, v93, 24, s[0:1]
	v_cmp_eq_f64_e32 vcc, 0, v[101:102]
	v_cmp_eq_f64_e64 s[0:1], 0, v[103:104]
	s_and_b64 s[0:1], vcc, s[0:1]
	v_cmp_eq_u32_e32 vcc, 0, v93
	s_and_b64 s[0:1], s[0:1], vcc
	v_cndmask_b32_e64 v93, v93, 25, s[0:1]
	v_cmp_eq_f64_e32 vcc, 0, v[97:98]
	;; [unrolled: 6-line block ×3, first 2 shown]
	v_cmp_eq_f64_e64 s[0:1], 0, v[107:108]
	s_and_b64 s[0:1], vcc, s[0:1]
	v_cmp_eq_u32_e32 vcc, 0, v93
	s_and_b64 s[0:1], s[0:1], vcc
	v_cndmask_b32_e64 v99, v93, 27, s[0:1]
	s_waitcnt vmcnt(0)
	v_lshlrev_b64 v[93:94], 2, v[87:88]
	v_cmp_ne_u32_e64 s[0:1], 0, v99
	v_add_co_u32_e32 v97, vcc, s10, v93
	v_mov_b32_e32 v93, s11
	v_addc_co_u32_e32 v98, vcc, v93, v94, vcc
	global_load_dword v93, v[97:98], off
	s_waitcnt vmcnt(0)
	v_cmp_eq_u32_e32 vcc, 0, v93
	buffer_load_dword v93, off, s[20:23], 0 offset:96 ; 4-byte Folded Reload
	buffer_load_dword v94, off, s[20:23], 0 offset:100 ; 4-byte Folded Reload
	;; [unrolled: 1-line block ×4, first 2 shown]
	s_and_b64 s[0:1], vcc, s[0:1]
	s_and_b64 exec, exec, s[0:1]
	s_cbranch_execz .LBB53_245
; %bb.244:
	s_waitcnt vmcnt(3)
	v_add_u32_e32 v93, s13, v99
	global_store_dword v[97:98], v93, off
	buffer_load_dword v93, off, s[20:23], 0 offset:96 ; 4-byte Folded Reload
	s_nop 0
	buffer_load_dword v94, off, s[20:23], 0 offset:100 ; 4-byte Folded Reload
	buffer_load_dword v95, off, s[20:23], 0 offset:104 ; 4-byte Folded Reload
	;; [unrolled: 1-line block ×3, first 2 shown]
.LBB53_245:
	s_or_b64 exec, exec, s[2:3]
	buffer_load_dword v87, off, s[20:23], 0 offset:272 ; 4-byte Folded Reload
	buffer_load_dword v88, off, s[20:23], 0 offset:276 ; 4-byte Folded Reload
	;; [unrolled: 1-line block ×6, first 2 shown]
	v_cmp_lt_u32_e32 vcc, 26, v0
	s_waitcnt vmcnt(0)
	global_store_dwordx4 v[87:88], v[77:80], off
	buffer_load_dword v87, off, s[20:23], 0 offset:280 ; 4-byte Folded Reload
	s_nop 0
	buffer_load_dword v88, off, s[20:23], 0 offset:284 ; 4-byte Folded Reload
	buffer_load_dword v77, off, s[20:23], 0 offset:64 ; 4-byte Folded Reload
	buffer_load_dword v78, off, s[20:23], 0 offset:68 ; 4-byte Folded Reload
	buffer_load_dword v79, off, s[20:23], 0 offset:72 ; 4-byte Folded Reload
	buffer_load_dword v80, off, s[20:23], 0 offset:76 ; 4-byte Folded Reload
	s_waitcnt vmcnt(0)
	global_store_dwordx4 v[87:88], v[77:80], off
	buffer_load_dword v77, off, s[20:23], 0 offset:48 ; 4-byte Folded Reload
	s_nop 0
	buffer_load_dword v78, off, s[20:23], 0 offset:52 ; 4-byte Folded Reload
	buffer_load_dword v79, off, s[20:23], 0 offset:56 ; 4-byte Folded Reload
	buffer_load_dword v80, off, s[20:23], 0 offset:60 ; 4-byte Folded Reload
	buffer_load_dword v87, off, s[20:23], 0 offset:328 ; 4-byte Folded Reload
	buffer_load_dword v88, off, s[20:23], 0 offset:332 ; 4-byte Folded Reload
	;; [unrolled: 9-line block ×4, first 2 shown]
	s_waitcnt vmcnt(0)
	global_store_dwordx4 v[87:88], v[77:80], off
	buffer_load_dword v77, off, s[20:23], 0 offset:344 ; 4-byte Folded Reload
	s_nop 0
	buffer_load_dword v78, off, s[20:23], 0 offset:348 ; 4-byte Folded Reload
	s_waitcnt vmcnt(0)
	global_store_dwordx4 v[77:78], v[93:96], off
	buffer_load_dword v87, off, s[20:23], 0 offset:112 ; 4-byte Folded Reload
	buffer_load_dword v88, off, s[20:23], 0 offset:116 ; 4-byte Folded Reload
	s_nop 0
	buffer_load_dword v77, off, s[20:23], 0 ; 4-byte Folded Reload
	buffer_load_dword v78, off, s[20:23], 0 offset:4 ; 4-byte Folded Reload
	buffer_load_dword v79, off, s[20:23], 0 offset:8 ; 4-byte Folded Reload
	;; [unrolled: 1-line block ×3, first 2 shown]
	s_waitcnt vmcnt(0)
	global_store_dwordx4 v[87:88], v[77:80], off
	global_store_dwordx4 v[85:86], v[73:76], off
	s_nop 0
	v_mul_f64 v[73:74], v[105:106], v[83:84]
	v_mul_f64 v[75:76], v[107:108], v[83:84]
	v_fma_f64 v[73:74], v[107:108], v[81:82], v[73:74]
	v_fma_f64 v[77:78], v[105:106], v[81:82], -v[75:76]
	v_cndmask_b32_e32 v76, v84, v74, vcc
	v_cndmask_b32_e32 v75, v83, v73, vcc
	;; [unrolled: 1-line block ×4, first 2 shown]
	buffer_load_dword v77, off, s[20:23], 0 offset:120 ; 4-byte Folded Reload
	buffer_load_dword v78, off, s[20:23], 0 offset:124 ; 4-byte Folded Reload
	s_waitcnt vmcnt(0)
	global_store_dwordx4 v[77:78], v[69:72], off
	buffer_load_dword v69, off, s[20:23], 0 offset:128 ; 4-byte Folded Reload
	s_nop 0
	buffer_load_dword v70, off, s[20:23], 0 offset:132 ; 4-byte Folded Reload
	s_waitcnt vmcnt(0)
	global_store_dwordx4 v[69:70], v[65:68], off
	buffer_load_dword v65, off, s[20:23], 0 offset:136 ; 4-byte Folded Reload
	s_nop 0
	;; [unrolled: 5-line block ×18, first 2 shown]
	buffer_load_dword v1, off, s[20:23], 0 offset:268 ; 4-byte Folded Reload
	s_waitcnt vmcnt(0)
	global_store_dwordx4 v[0:1], v[73:76], off
.LBB53_246:
	s_endpgm
	.section	.rodata,"a",@progbits
	.p2align	6, 0x0
	.amdhsa_kernel _ZN9rocsolver6v33100L23getf2_npvt_small_kernelILi27E19rocblas_complex_numIdEiiPS3_EEvT1_T3_lS5_lPT2_S5_S5_
		.amdhsa_group_segment_fixed_size 0
		.amdhsa_private_segment_fixed_size 636
		.amdhsa_kernarg_size 312
		.amdhsa_user_sgpr_count 6
		.amdhsa_user_sgpr_private_segment_buffer 1
		.amdhsa_user_sgpr_dispatch_ptr 0
		.amdhsa_user_sgpr_queue_ptr 0
		.amdhsa_user_sgpr_kernarg_segment_ptr 1
		.amdhsa_user_sgpr_dispatch_id 0
		.amdhsa_user_sgpr_flat_scratch_init 0
		.amdhsa_user_sgpr_private_segment_size 0
		.amdhsa_uses_dynamic_stack 0
		.amdhsa_system_sgpr_private_segment_wavefront_offset 1
		.amdhsa_system_sgpr_workgroup_id_x 1
		.amdhsa_system_sgpr_workgroup_id_y 1
		.amdhsa_system_sgpr_workgroup_id_z 0
		.amdhsa_system_sgpr_workgroup_info 0
		.amdhsa_system_vgpr_workitem_id 1
		.amdhsa_next_free_vgpr 128
		.amdhsa_next_free_sgpr 24
		.amdhsa_reserve_vcc 1
		.amdhsa_reserve_flat_scratch 0
		.amdhsa_float_round_mode_32 0
		.amdhsa_float_round_mode_16_64 0
		.amdhsa_float_denorm_mode_32 3
		.amdhsa_float_denorm_mode_16_64 3
		.amdhsa_dx10_clamp 1
		.amdhsa_ieee_mode 1
		.amdhsa_fp16_overflow 0
		.amdhsa_exception_fp_ieee_invalid_op 0
		.amdhsa_exception_fp_denorm_src 0
		.amdhsa_exception_fp_ieee_div_zero 0
		.amdhsa_exception_fp_ieee_overflow 0
		.amdhsa_exception_fp_ieee_underflow 0
		.amdhsa_exception_fp_ieee_inexact 0
		.amdhsa_exception_int_div_zero 0
	.end_amdhsa_kernel
	.section	.text._ZN9rocsolver6v33100L23getf2_npvt_small_kernelILi27E19rocblas_complex_numIdEiiPS3_EEvT1_T3_lS5_lPT2_S5_S5_,"axG",@progbits,_ZN9rocsolver6v33100L23getf2_npvt_small_kernelILi27E19rocblas_complex_numIdEiiPS3_EEvT1_T3_lS5_lPT2_S5_S5_,comdat
.Lfunc_end53:
	.size	_ZN9rocsolver6v33100L23getf2_npvt_small_kernelILi27E19rocblas_complex_numIdEiiPS3_EEvT1_T3_lS5_lPT2_S5_S5_, .Lfunc_end53-_ZN9rocsolver6v33100L23getf2_npvt_small_kernelILi27E19rocblas_complex_numIdEiiPS3_EEvT1_T3_lS5_lPT2_S5_S5_
                                        ; -- End function
	.set _ZN9rocsolver6v33100L23getf2_npvt_small_kernelILi27E19rocblas_complex_numIdEiiPS3_EEvT1_T3_lS5_lPT2_S5_S5_.num_vgpr, 128
	.set _ZN9rocsolver6v33100L23getf2_npvt_small_kernelILi27E19rocblas_complex_numIdEiiPS3_EEvT1_T3_lS5_lPT2_S5_S5_.num_agpr, 0
	.set _ZN9rocsolver6v33100L23getf2_npvt_small_kernelILi27E19rocblas_complex_numIdEiiPS3_EEvT1_T3_lS5_lPT2_S5_S5_.numbered_sgpr, 24
	.set _ZN9rocsolver6v33100L23getf2_npvt_small_kernelILi27E19rocblas_complex_numIdEiiPS3_EEvT1_T3_lS5_lPT2_S5_S5_.num_named_barrier, 0
	.set _ZN9rocsolver6v33100L23getf2_npvt_small_kernelILi27E19rocblas_complex_numIdEiiPS3_EEvT1_T3_lS5_lPT2_S5_S5_.private_seg_size, 636
	.set _ZN9rocsolver6v33100L23getf2_npvt_small_kernelILi27E19rocblas_complex_numIdEiiPS3_EEvT1_T3_lS5_lPT2_S5_S5_.uses_vcc, 1
	.set _ZN9rocsolver6v33100L23getf2_npvt_small_kernelILi27E19rocblas_complex_numIdEiiPS3_EEvT1_T3_lS5_lPT2_S5_S5_.uses_flat_scratch, 0
	.set _ZN9rocsolver6v33100L23getf2_npvt_small_kernelILi27E19rocblas_complex_numIdEiiPS3_EEvT1_T3_lS5_lPT2_S5_S5_.has_dyn_sized_stack, 0
	.set _ZN9rocsolver6v33100L23getf2_npvt_small_kernelILi27E19rocblas_complex_numIdEiiPS3_EEvT1_T3_lS5_lPT2_S5_S5_.has_recursion, 0
	.set _ZN9rocsolver6v33100L23getf2_npvt_small_kernelILi27E19rocblas_complex_numIdEiiPS3_EEvT1_T3_lS5_lPT2_S5_S5_.has_indirect_call, 0
	.section	.AMDGPU.csdata,"",@progbits
; Kernel info:
; codeLenInByte = 50132
; TotalNumSgprs: 28
; NumVgprs: 128
; ScratchSize: 636
; MemoryBound: 1
; FloatMode: 240
; IeeeMode: 1
; LDSByteSize: 0 bytes/workgroup (compile time only)
; SGPRBlocks: 3
; VGPRBlocks: 31
; NumSGPRsForWavesPerEU: 28
; NumVGPRsForWavesPerEU: 128
; Occupancy: 2
; WaveLimiterHint : 0
; COMPUTE_PGM_RSRC2:SCRATCH_EN: 1
; COMPUTE_PGM_RSRC2:USER_SGPR: 6
; COMPUTE_PGM_RSRC2:TRAP_HANDLER: 0
; COMPUTE_PGM_RSRC2:TGID_X_EN: 1
; COMPUTE_PGM_RSRC2:TGID_Y_EN: 1
; COMPUTE_PGM_RSRC2:TGID_Z_EN: 0
; COMPUTE_PGM_RSRC2:TIDIG_COMP_CNT: 1
	.section	.text._ZN9rocsolver6v33100L18getf2_small_kernelILi28E19rocblas_complex_numIdEiiPS3_EEvT1_T3_lS5_lPS5_llPT2_S5_S5_S7_l,"axG",@progbits,_ZN9rocsolver6v33100L18getf2_small_kernelILi28E19rocblas_complex_numIdEiiPS3_EEvT1_T3_lS5_lPS5_llPT2_S5_S5_S7_l,comdat
	.globl	_ZN9rocsolver6v33100L18getf2_small_kernelILi28E19rocblas_complex_numIdEiiPS3_EEvT1_T3_lS5_lPS5_llPT2_S5_S5_S7_l ; -- Begin function _ZN9rocsolver6v33100L18getf2_small_kernelILi28E19rocblas_complex_numIdEiiPS3_EEvT1_T3_lS5_lPS5_llPT2_S5_S5_S7_l
	.p2align	8
	.type	_ZN9rocsolver6v33100L18getf2_small_kernelILi28E19rocblas_complex_numIdEiiPS3_EEvT1_T3_lS5_lPS5_llPT2_S5_S5_S7_l,@function
_ZN9rocsolver6v33100L18getf2_small_kernelILi28E19rocblas_complex_numIdEiiPS3_EEvT1_T3_lS5_lPS5_llPT2_S5_S5_S7_l: ; @_ZN9rocsolver6v33100L18getf2_small_kernelILi28E19rocblas_complex_numIdEiiPS3_EEvT1_T3_lS5_lPS5_llPT2_S5_S5_S7_l
; %bb.0:
	s_mov_b64 s[30:31], s[2:3]
	s_mov_b64 s[28:29], s[0:1]
	s_load_dword s0, s[4:5], 0x6c
	s_load_dwordx2 s[16:17], s[4:5], 0x48
	s_add_u32 s28, s28, s8
	s_addc_u32 s29, s29, 0
	s_waitcnt lgkmcnt(0)
	s_lshr_b32 s0, s0, 16
	s_mul_i32 s7, s7, s0
	v_add_u32_e32 v6, s7, v1
	v_cmp_gt_i32_e32 vcc, s16, v6
	s_and_saveexec_b64 s[0:1], vcc
	s_cbranch_execz .LBB54_589
; %bb.1:
	s_load_dwordx4 s[0:3], s[4:5], 0x50
	v_mov_b32_e32 v2, 0
	v_ashrrev_i32_e32 v7, 31, v6
	v_mov_b32_e32 v3, 0
	buffer_store_dword v2, off, s[28:31], 0 offset:48 ; 4-byte Folded Spill
	s_nop 0
	buffer_store_dword v3, off, s[28:31], 0 offset:52 ; 4-byte Folded Spill
	s_waitcnt lgkmcnt(0)
	s_cmp_eq_u64 s[0:1], 0
	s_cselect_b64 s[18:19], -1, 0
	s_and_b64 vcc, exec, s[18:19]
	s_cbranch_vccnz .LBB54_3
; %bb.2:
	v_mul_lo_u32 v4, s3, v6
	v_mul_lo_u32 v5, s2, v7
	v_mad_u64_u32 v[2:3], s[2:3], s2, v6, 0
	v_add3_u32 v3, v3, v5, v4
	v_lshlrev_b64 v[2:3], 2, v[2:3]
	v_mov_b32_e32 v4, s1
	v_add_co_u32_e32 v2, vcc, s0, v2
	v_addc_co_u32_e32 v3, vcc, v4, v3, vcc
	buffer_store_dword v2, off, s[28:31], 0 offset:48 ; 4-byte Folded Spill
	s_nop 0
	buffer_store_dword v3, off, s[28:31], 0 offset:52 ; 4-byte Folded Spill
.LBB54_3:
	s_load_dwordx8 s[8:15], s[4:5], 0x20
	s_load_dwordx4 s[0:3], s[4:5], 0x8
	v_mov_b32_e32 v95, v7
	v_mov_b32_e32 v94, v6
	v_lshlrev_b32_e32 v100, 4, v0
	s_waitcnt lgkmcnt(0)
	v_mul_lo_u32 v4, s9, v6
	v_mul_lo_u32 v5, s8, v7
	v_mad_u64_u32 v[2:3], s[6:7], s8, v6, 0
	s_load_dword s6, s[4:5], 0x18
	s_load_dword s22, s[4:5], 0x0
	v_mov_b32_e32 v6, s1
	v_add3_u32 v3, v3, v5, v4
	v_lshlrev_b64 v[2:3], 4, v[2:3]
	s_waitcnt lgkmcnt(0)
	s_add_i32 s16, s6, s6
	v_add_co_u32_e32 v2, vcc, s0, v2
	v_addc_co_u32_e32 v3, vcc, v6, v3, vcc
	s_lshl_b64 s[0:1], s[2:3], 4
	v_mov_b32_e32 v4, s1
	v_add_co_u32_e32 v47, vcc, s0, v2
	v_add_u32_e32 v2, s16, v0
	v_addc_co_u32_e32 v48, vcc, v3, v4, vcc
	v_ashrrev_i32_e32 v3, 31, v2
	v_lshlrev_b64 v[3:4], 4, v[2:3]
	v_add_u32_e32 v5, s6, v2
	v_ashrrev_i32_e32 v6, 31, v5
	v_add_co_u32_e32 v3, vcc, v47, v3
	v_lshlrev_b64 v[6:7], 4, v[5:6]
	v_add_u32_e32 v8, s6, v5
	v_addc_co_u32_e32 v4, vcc, v48, v4, vcc
	v_ashrrev_i32_e32 v9, 31, v8
	v_add_co_u32_e32 v6, vcc, v47, v6
	v_lshlrev_b64 v[9:10], 4, v[8:9]
	v_add_u32_e32 v11, s6, v8
	v_addc_co_u32_e32 v7, vcc, v48, v7, vcc
	;; [unrolled: 5-line block ×13, first 2 shown]
	v_ashrrev_i32_e32 v45, 31, v44
	v_add_co_u32_e32 v42, vcc, v47, v42
	v_lshlrev_b64 v[45:46], 4, v[44:45]
	v_addc_co_u32_e32 v43, vcc, v48, v43, vcc
	v_add_u32_e32 v44, s6, v44
	v_add_co_u32_e32 v106, vcc, v47, v45
	v_ashrrev_i32_e32 v45, 31, v44
	v_addc_co_u32_e32 v107, vcc, v48, v46, vcc
	v_lshlrev_b64 v[45:46], 4, v[44:45]
	v_add_u32_e32 v44, s6, v44
	v_add_co_u32_e32 v108, vcc, v47, v45
	v_ashrrev_i32_e32 v45, 31, v44
	v_addc_co_u32_e32 v109, vcc, v48, v46, vcc
	v_lshlrev_b64 v[45:46], 4, v[44:45]
	;; [unrolled: 5-line block ×10, first 2 shown]
	v_add_u32_e32 v44, s6, v44
	v_add_co_u32_e32 v104, vcc, v47, v45
	v_ashrrev_i32_e32 v45, 31, v44
	v_lshlrev_b64 v[44:45], 4, v[44:45]
	v_addc_co_u32_e32 v105, vcc, v48, v46, vcc
	v_add_co_u32_e32 v98, vcc, v47, v44
	v_addc_co_u32_e32 v99, vcc, v48, v45, vcc
	v_add_co_u32_e32 v44, vcc, v47, v100
	s_ashr_i32 s7, s6, 31
	v_addc_co_u32_e32 v45, vcc, 0, v48, vcc
	s_lshl_b64 s[2:3], s[6:7], 4
	v_mov_b32_e32 v2, s3
	v_add_co_u32_e32 v46, vcc, s2, v44
	buffer_store_dword v47, off, s[28:31], 0 offset:72 ; 4-byte Folded Spill
	buffer_store_dword v48, off, s[28:31], 0 offset:76 ; 4-byte Folded Spill
	v_addc_co_u32_e32 v47, vcc, v45, v2, vcc
	global_load_dwordx4 v[90:93], v[44:45], off
	s_nop 0
	global_load_dwordx4 v[44:47], v[46:47], off
	s_waitcnt vmcnt(0)
	buffer_store_dword v44, off, s[28:31], 0 offset:32 ; 4-byte Folded Spill
	s_nop 0
	buffer_store_dword v45, off, s[28:31], 0 offset:36 ; 4-byte Folded Spill
	buffer_store_dword v46, off, s[28:31], 0 offset:40 ; 4-byte Folded Spill
	buffer_store_dword v47, off, s[28:31], 0 offset:44 ; 4-byte Folded Spill
	global_load_dwordx4 v[2:5], v[3:4], off
	s_waitcnt vmcnt(0)
	buffer_store_dword v2, off, s[28:31], 0 offset:16 ; 4-byte Folded Spill
	s_nop 0
	buffer_store_dword v3, off, s[28:31], 0 offset:20 ; 4-byte Folded Spill
	buffer_store_dword v4, off, s[28:31], 0 offset:24 ; 4-byte Folded Spill
	;; [unrolled: 1-line block ×3, first 2 shown]
	global_load_dwordx4 v[2:5], v[6:7], off
	s_waitcnt vmcnt(0)
	buffer_store_dword v2, off, s[28:31], 0 ; 4-byte Folded Spill
	s_nop 0
	buffer_store_dword v3, off, s[28:31], 0 offset:4 ; 4-byte Folded Spill
	buffer_store_dword v4, off, s[28:31], 0 offset:8 ; 4-byte Folded Spill
	;; [unrolled: 1-line block ×3, first 2 shown]
	global_load_dwordx4 v[86:89], v[9:10], off
	global_load_dwordx4 v[82:85], v[12:13], off
	;; [unrolled: 1-line block ×12, first 2 shown]
	s_nop 0
	global_load_dwordx4 v[42:45], v[106:107], off
	global_load_dwordx4 v[38:41], v[108:109], off
	global_load_dwordx4 v[34:37], v[110:111], off
	global_load_dwordx4 v[30:33], v[112:113], off
	global_load_dwordx4 v[26:29], v[114:115], off
	global_load_dwordx4 v[22:25], v[116:117], off
	global_load_dwordx4 v[18:21], v[118:119], off
	global_load_dwordx4 v[14:17], v[122:123], off
	global_load_dwordx4 v[10:13], v[120:121], off
	global_load_dwordx4 v[6:9], v[102:103], off
	global_load_dwordx4 v[2:5], v[104:105], off
	global_load_dwordx4 v[110:113], v[98:99], off
	s_nop 0
	buffer_store_dword v90, off, s[28:31], 0 offset:56 ; 4-byte Folded Spill
	s_nop 0
	buffer_store_dword v91, off, s[28:31], 0 offset:60 ; 4-byte Folded Spill
	buffer_store_dword v92, off, s[28:31], 0 offset:64 ; 4-byte Folded Spill
	;; [unrolled: 1-line block ×3, first 2 shown]
	s_max_i32 s0, s22, 28
	v_mul_lo_u32 v98, s0, v1
	s_load_dwordx2 s[4:5], s[4:5], 0x40
	s_cmp_lt_i32 s22, 2
	v_mov_b32_e32 v122, 0
	v_lshl_add_u32 v1, v98, 4, 0
	v_add_u32_e32 v99, v1, v100
	v_lshlrev_b32_e32 v118, 4, v98
	ds_write2_b64 v99, v[90:91], v[92:93] offset1:1
	s_waitcnt vmcnt(0) lgkmcnt(0)
	s_barrier
	ds_read2_b64 v[114:117], v1 offset1:1
	buffer_store_dword v94, off, s[28:31], 0 offset:80 ; 4-byte Folded Spill
	s_nop 0
	buffer_store_dword v95, off, s[28:31], 0 offset:84 ; 4-byte Folded Spill
	s_cbranch_scc1 .LBB54_6
; %bb.4:
	v_add3_u32 v119, v118, 0, 16
	s_mov_b32 s0, 1
	v_mov_b32_e32 v122, 0
.LBB54_5:                               ; =>This Inner Loop Header: Depth=1
	s_waitcnt lgkmcnt(0)
	v_cmp_gt_f64_e32 vcc, 0, v[114:115]
	v_xor_b32_e32 v98, 0x80000000, v115
	ds_read2_b64 v[106:109], v119 offset1:1
	v_xor_b32_e32 v100, 0x80000000, v117
	v_add_u32_e32 v119, 16, v119
	s_waitcnt lgkmcnt(0)
	v_xor_b32_e32 v102, 0x80000000, v109
	v_cndmask_b32_e32 v99, v115, v98, vcc
	v_cmp_gt_f64_e32 vcc, 0, v[116:117]
	v_mov_b32_e32 v98, v114
	v_cndmask_b32_e32 v101, v117, v100, vcc
	v_cmp_gt_f64_e32 vcc, 0, v[106:107]
	v_mov_b32_e32 v100, v116
	v_add_f64 v[98:99], v[98:99], v[100:101]
	v_xor_b32_e32 v100, 0x80000000, v107
	v_cndmask_b32_e32 v101, v107, v100, vcc
	v_cmp_gt_f64_e32 vcc, 0, v[108:109]
	v_mov_b32_e32 v100, v106
	v_cndmask_b32_e32 v103, v109, v102, vcc
	v_mov_b32_e32 v102, v108
	v_add_f64 v[100:101], v[100:101], v[102:103]
	v_cmp_lt_f64_e32 vcc, v[98:99], v[100:101]
	v_mov_b32_e32 v98, s0
	s_add_i32 s0, s0, 1
	s_cmp_eq_u32 s22, s0
	v_cndmask_b32_e32 v115, v115, v107, vcc
	v_cndmask_b32_e32 v114, v114, v106, vcc
	;; [unrolled: 1-line block ×5, first 2 shown]
	s_cbranch_scc0 .LBB54_5
.LBB54_6:
	s_waitcnt lgkmcnt(0)
	v_cmp_neq_f64_e32 vcc, 0, v[114:115]
	v_cmp_neq_f64_e64 s[0:1], 0, v[116:117]
	v_mov_b32_e32 v93, v89
	v_mov_b32_e32 v92, v88
	;; [unrolled: 1-line block ×10, first 2 shown]
	s_or_b64 s[8:9], vcc, s[0:1]
	s_mov_b64 s[0:1], exec
	v_mov_b32_e32 v82, v124
	s_and_b64 s[8:9], s[0:1], s[8:9]
	v_mov_b32_e32 v83, v125
	v_mov_b32_e32 v84, v126
	;; [unrolled: 1-line block ×3, first 2 shown]
	s_mov_b64 exec, s[8:9]
	s_cbranch_execz .LBB54_12
; %bb.7:
	v_cmp_ngt_f64_e64 s[8:9], |v[114:115]|, |v[116:117]|
	s_and_saveexec_b64 s[20:21], s[8:9]
	s_xor_b64 s[8:9], exec, s[20:21]
	s_cbranch_execz .LBB54_9
; %bb.8:
	v_div_scale_f64 v[98:99], s[20:21], v[116:117], v[116:117], v[114:115]
	v_rcp_f64_e32 v[100:101], v[98:99]
	v_fma_f64 v[102:103], -v[98:99], v[100:101], 1.0
	v_fma_f64 v[100:101], v[100:101], v[102:103], v[100:101]
	v_div_scale_f64 v[102:103], vcc, v[114:115], v[116:117], v[114:115]
	v_fma_f64 v[104:105], -v[98:99], v[100:101], 1.0
	v_fma_f64 v[100:101], v[100:101], v[104:105], v[100:101]
	v_mul_f64 v[104:105], v[102:103], v[100:101]
	v_fma_f64 v[98:99], -v[98:99], v[104:105], v[102:103]
	v_div_fmas_f64 v[98:99], v[98:99], v[100:101], v[104:105]
	v_div_fixup_f64 v[98:99], v[98:99], v[116:117], v[114:115]
	v_fma_f64 v[100:101], v[114:115], v[98:99], v[116:117]
	v_div_scale_f64 v[102:103], s[20:21], v[100:101], v[100:101], 1.0
	v_div_scale_f64 v[108:109], vcc, 1.0, v[100:101], 1.0
	v_rcp_f64_e32 v[104:105], v[102:103]
	v_fma_f64 v[106:107], -v[102:103], v[104:105], 1.0
	v_fma_f64 v[104:105], v[104:105], v[106:107], v[104:105]
	v_fma_f64 v[106:107], -v[102:103], v[104:105], 1.0
	v_fma_f64 v[104:105], v[104:105], v[106:107], v[104:105]
	v_mul_f64 v[106:107], v[108:109], v[104:105]
	v_fma_f64 v[102:103], -v[102:103], v[106:107], v[108:109]
	v_div_fmas_f64 v[102:103], v[102:103], v[104:105], v[106:107]
	v_div_fixup_f64 v[116:117], v[102:103], v[100:101], 1.0
	v_mul_f64 v[114:115], v[98:99], v[116:117]
	v_xor_b32_e32 v117, 0x80000000, v117
.LBB54_9:
	s_andn2_saveexec_b64 s[8:9], s[8:9]
	s_cbranch_execz .LBB54_11
; %bb.10:
	v_div_scale_f64 v[98:99], s[20:21], v[114:115], v[114:115], v[116:117]
	v_rcp_f64_e32 v[100:101], v[98:99]
	v_fma_f64 v[102:103], -v[98:99], v[100:101], 1.0
	v_fma_f64 v[100:101], v[100:101], v[102:103], v[100:101]
	v_div_scale_f64 v[102:103], vcc, v[116:117], v[114:115], v[116:117]
	v_fma_f64 v[104:105], -v[98:99], v[100:101], 1.0
	v_fma_f64 v[100:101], v[100:101], v[104:105], v[100:101]
	v_mul_f64 v[104:105], v[102:103], v[100:101]
	v_fma_f64 v[98:99], -v[98:99], v[104:105], v[102:103]
	v_div_fmas_f64 v[98:99], v[98:99], v[100:101], v[104:105]
	v_div_fixup_f64 v[98:99], v[98:99], v[114:115], v[116:117]
	v_fma_f64 v[100:101], v[116:117], v[98:99], v[114:115]
	v_div_scale_f64 v[102:103], s[20:21], v[100:101], v[100:101], 1.0
	v_div_scale_f64 v[108:109], vcc, 1.0, v[100:101], 1.0
	v_rcp_f64_e32 v[104:105], v[102:103]
	v_fma_f64 v[106:107], -v[102:103], v[104:105], 1.0
	v_fma_f64 v[104:105], v[104:105], v[106:107], v[104:105]
	v_fma_f64 v[106:107], -v[102:103], v[104:105], 1.0
	v_fma_f64 v[104:105], v[104:105], v[106:107], v[104:105]
	v_mul_f64 v[106:107], v[108:109], v[104:105]
	v_fma_f64 v[102:103], -v[102:103], v[106:107], v[108:109]
	v_div_fmas_f64 v[102:103], v[102:103], v[104:105], v[106:107]
	v_div_fixup_f64 v[114:115], v[102:103], v[100:101], 1.0
	v_mul_f64 v[116:117], v[98:99], -v[114:115]
.LBB54_11:
	s_or_b64 exec, exec, s[8:9]
	v_mov_b32_e32 v119, 0
	v_mov_b32_e32 v120, 2
.LBB54_12:
	s_or_b64 exec, exec, s[0:1]
	v_cmp_ne_u32_e32 vcc, v0, v122
	s_and_saveexec_b64 s[0:1], vcc
	s_xor_b64 s[0:1], exec, s[0:1]
	s_cbranch_execz .LBB54_18
; %bb.13:
	v_cmp_eq_u32_e32 vcc, 0, v0
	s_and_saveexec_b64 s[8:9], vcc
	s_cbranch_execz .LBB54_17
; %bb.14:
	v_cmp_ne_u32_e32 vcc, 0, v122
	s_xor_b64 s[20:21], s[18:19], -1
	s_and_b64 s[24:25], s[20:21], vcc
	s_and_saveexec_b64 s[20:21], s[24:25]
	s_cbranch_execz .LBB54_16
; %bb.15:
	buffer_load_dword v94, off, s[28:31], 0 offset:48 ; 4-byte Folded Reload
	buffer_load_dword v95, off, s[28:31], 0 offset:52 ; 4-byte Folded Reload
	v_ashrrev_i32_e32 v123, 31, v122
	v_lshlrev_b64 v[98:99], 2, v[122:123]
	s_waitcnt vmcnt(1)
	v_add_co_u32_e32 v98, vcc, v94, v98
	s_waitcnt vmcnt(0)
	v_addc_co_u32_e32 v99, vcc, v95, v99, vcc
	global_load_dword v0, v[98:99], off
	global_load_dword v100, v[94:95], off
	s_waitcnt vmcnt(1)
	global_store_dword v[94:95], v0, off
	s_waitcnt vmcnt(1)
	global_store_dword v[98:99], v100, off
.LBB54_16:
	s_or_b64 exec, exec, s[20:21]
	v_mov_b32_e32 v0, v122
.LBB54_17:
	s_or_b64 exec, exec, s[8:9]
.LBB54_18:
	s_or_saveexec_b64 s[0:1], s[0:1]
	v_mov_b32_e32 v124, v0
	s_xor_b64 exec, exec, s[0:1]
	s_cbranch_execz .LBB54_20
; %bb.19:
	buffer_load_dword v94, off, s[28:31], 0 offset:32 ; 4-byte Folded Reload
	buffer_load_dword v95, off, s[28:31], 0 offset:36 ; 4-byte Folded Reload
	;; [unrolled: 1-line block ×4, first 2 shown]
	v_mov_b32_e32 v124, 0
	s_waitcnt vmcnt(0)
	ds_write2_b64 v1, v[94:95], v[96:97] offset0:2 offset1:3
	buffer_load_dword v94, off, s[28:31], 0 offset:16 ; 4-byte Folded Reload
	buffer_load_dword v95, off, s[28:31], 0 offset:20 ; 4-byte Folded Reload
	;; [unrolled: 1-line block ×4, first 2 shown]
	s_waitcnt vmcnt(0)
	ds_write2_b64 v1, v[94:95], v[96:97] offset0:4 offset1:5
	buffer_load_dword v98, off, s[28:31], 0 ; 4-byte Folded Reload
	buffer_load_dword v99, off, s[28:31], 0 offset:4 ; 4-byte Folded Reload
	buffer_load_dword v100, off, s[28:31], 0 offset:8 ; 4-byte Folded Reload
	;; [unrolled: 1-line block ×3, first 2 shown]
	s_waitcnt vmcnt(0)
	ds_write2_b64 v1, v[98:99], v[100:101] offset0:6 offset1:7
	ds_write2_b64 v1, v[90:91], v[92:93] offset0:8 offset1:9
	;; [unrolled: 1-line block ×25, first 2 shown]
.LBB54_20:
	s_or_b64 exec, exec, s[0:1]
	v_cmp_lt_i32_e32 vcc, 0, v124
	s_waitcnt vmcnt(0) lgkmcnt(0)
	s_barrier
	s_and_saveexec_b64 s[0:1], vcc
	s_cbranch_execz .LBB54_22
; %bb.21:
	v_mov_b32_e32 v125, v120
	v_mov_b32_e32 v126, v118
	;; [unrolled: 1-line block ×3, first 2 shown]
	buffer_load_dword v118, off, s[28:31], 0 offset:56 ; 4-byte Folded Reload
	buffer_load_dword v119, off, s[28:31], 0 offset:60 ; 4-byte Folded Reload
	;; [unrolled: 1-line block ×4, first 2 shown]
	ds_read2_b64 v[106:109], v1 offset0:2 offset1:3
	buffer_load_dword v94, off, s[28:31], 0 offset:32 ; 4-byte Folded Reload
	buffer_load_dword v95, off, s[28:31], 0 offset:36 ; 4-byte Folded Reload
	;; [unrolled: 1-line block ×4, first 2 shown]
	s_waitcnt vmcnt(4)
	v_mul_f64 v[98:99], v[116:117], v[120:121]
	v_fma_f64 v[122:123], v[114:115], v[118:119], -v[98:99]
	v_mul_f64 v[98:99], v[114:115], v[120:121]
	v_fma_f64 v[120:121], v[116:117], v[118:119], v[98:99]
	v_mov_b32_e32 v118, v122
	v_mov_b32_e32 v119, v123
	s_waitcnt lgkmcnt(0)
	v_mul_f64 v[98:99], v[108:109], v[120:121]
	v_mul_f64 v[100:101], v[106:107], v[120:121]
	v_fma_f64 v[98:99], v[106:107], v[122:123], -v[98:99]
	v_fma_f64 v[100:101], v[108:109], v[122:123], v[100:101]
	s_waitcnt vmcnt(2)
	v_add_f64 v[94:95], v[94:95], -v[98:99]
	s_waitcnt vmcnt(0)
	v_add_f64 v[96:97], v[96:97], -v[100:101]
	buffer_store_dword v94, off, s[28:31], 0 offset:32 ; 4-byte Folded Spill
	s_nop 0
	buffer_store_dword v95, off, s[28:31], 0 offset:36 ; 4-byte Folded Spill
	buffer_store_dword v96, off, s[28:31], 0 offset:40 ; 4-byte Folded Spill
	;; [unrolled: 1-line block ×3, first 2 shown]
	ds_read2_b64 v[106:109], v1 offset0:4 offset1:5
	buffer_load_dword v94, off, s[28:31], 0 offset:16 ; 4-byte Folded Reload
	buffer_load_dword v95, off, s[28:31], 0 offset:20 ; 4-byte Folded Reload
	;; [unrolled: 1-line block ×4, first 2 shown]
	s_waitcnt lgkmcnt(0)
	v_mul_f64 v[98:99], v[108:109], v[120:121]
	v_mul_f64 v[100:101], v[106:107], v[120:121]
	v_fma_f64 v[98:99], v[106:107], v[122:123], -v[98:99]
	v_fma_f64 v[100:101], v[108:109], v[122:123], v[100:101]
	s_waitcnt vmcnt(2)
	v_add_f64 v[94:95], v[94:95], -v[98:99]
	s_waitcnt vmcnt(0)
	v_add_f64 v[96:97], v[96:97], -v[100:101]
	buffer_store_dword v94, off, s[28:31], 0 offset:16 ; 4-byte Folded Spill
	s_nop 0
	buffer_store_dword v95, off, s[28:31], 0 offset:20 ; 4-byte Folded Spill
	buffer_store_dword v96, off, s[28:31], 0 offset:24 ; 4-byte Folded Spill
	buffer_store_dword v97, off, s[28:31], 0 offset:28 ; 4-byte Folded Spill
	ds_read2_b64 v[106:109], v1 offset0:6 offset1:7
	buffer_load_dword v102, off, s[28:31], 0 ; 4-byte Folded Reload
	buffer_load_dword v103, off, s[28:31], 0 offset:4 ; 4-byte Folded Reload
	buffer_load_dword v104, off, s[28:31], 0 offset:8 ; 4-byte Folded Reload
	;; [unrolled: 1-line block ×3, first 2 shown]
	s_waitcnt lgkmcnt(0)
	v_mul_f64 v[98:99], v[108:109], v[120:121]
	v_mul_f64 v[100:101], v[106:107], v[120:121]
	v_fma_f64 v[98:99], v[106:107], v[122:123], -v[98:99]
	v_fma_f64 v[100:101], v[108:109], v[122:123], v[100:101]
	s_waitcnt vmcnt(2)
	v_add_f64 v[102:103], v[102:103], -v[98:99]
	s_waitcnt vmcnt(0)
	v_add_f64 v[104:105], v[104:105], -v[100:101]
	buffer_store_dword v102, off, s[28:31], 0 ; 4-byte Folded Spill
	s_nop 0
	buffer_store_dword v103, off, s[28:31], 0 offset:4 ; 4-byte Folded Spill
	buffer_store_dword v104, off, s[28:31], 0 offset:8 ; 4-byte Folded Spill
	;; [unrolled: 1-line block ×3, first 2 shown]
	ds_read2_b64 v[106:109], v1 offset0:8 offset1:9
	s_waitcnt lgkmcnt(0)
	v_mul_f64 v[98:99], v[108:109], v[120:121]
	v_mul_f64 v[100:101], v[106:107], v[120:121]
	v_fma_f64 v[98:99], v[106:107], v[122:123], -v[98:99]
	v_fma_f64 v[100:101], v[108:109], v[122:123], v[100:101]
	ds_read2_b64 v[106:109], v1 offset0:10 offset1:11
	v_add_f64 v[90:91], v[90:91], -v[98:99]
	v_add_f64 v[92:93], v[92:93], -v[100:101]
	s_waitcnt lgkmcnt(0)
	v_mul_f64 v[98:99], v[108:109], v[120:121]
	v_mul_f64 v[100:101], v[106:107], v[120:121]
	v_fma_f64 v[98:99], v[106:107], v[122:123], -v[98:99]
	v_fma_f64 v[100:101], v[108:109], v[122:123], v[100:101]
	ds_read2_b64 v[106:109], v1 offset0:12 offset1:13
	v_add_f64 v[86:87], v[86:87], -v[98:99]
	v_add_f64 v[88:89], v[88:89], -v[100:101]
	;; [unrolled: 8-line block ×23, first 2 shown]
	s_waitcnt lgkmcnt(0)
	v_mul_f64 v[98:99], v[108:109], v[120:121]
	v_mul_f64 v[100:101], v[106:107], v[120:121]
	buffer_store_dword v118, off, s[28:31], 0 offset:56 ; 4-byte Folded Spill
	s_nop 0
	buffer_store_dword v119, off, s[28:31], 0 offset:60 ; 4-byte Folded Spill
	buffer_store_dword v120, off, s[28:31], 0 offset:64 ; 4-byte Folded Spill
	;; [unrolled: 1-line block ×3, first 2 shown]
	v_mov_b32_e32 v119, v127
	v_mov_b32_e32 v118, v126
	;; [unrolled: 1-line block ×3, first 2 shown]
	v_fma_f64 v[98:99], v[106:107], v[122:123], -v[98:99]
	v_fma_f64 v[100:101], v[108:109], v[122:123], v[100:101]
	v_add_f64 v[110:111], v[110:111], -v[98:99]
	v_add_f64 v[112:113], v[112:113], -v[100:101]
.LBB54_22:
	s_or_b64 exec, exec, s[0:1]
	s_waitcnt vmcnt(0)
	s_barrier
	buffer_load_dword v94, off, s[28:31], 0 offset:32 ; 4-byte Folded Reload
	buffer_load_dword v95, off, s[28:31], 0 offset:36 ; 4-byte Folded Reload
	;; [unrolled: 1-line block ×4, first 2 shown]
	v_lshl_add_u32 v98, v124, 4, v1
	s_cmp_lt_i32 s22, 3
	v_mov_b32_e32 v122, 1
	s_waitcnt vmcnt(0)
	ds_write2_b64 v98, v[94:95], v[96:97] offset1:1
	s_waitcnt lgkmcnt(0)
	s_barrier
	ds_read2_b64 v[114:117], v1 offset0:2 offset1:3
	s_cbranch_scc1 .LBB54_25
; %bb.23:
	v_add3_u32 v123, v118, 0, 32
	s_mov_b32 s0, 2
	v_mov_b32_e32 v122, 1
.LBB54_24:                              ; =>This Inner Loop Header: Depth=1
	s_waitcnt lgkmcnt(0)
	v_cmp_gt_f64_e32 vcc, 0, v[114:115]
	v_xor_b32_e32 v98, 0x80000000, v115
	ds_read2_b64 v[106:109], v123 offset1:1
	v_xor_b32_e32 v100, 0x80000000, v117
	v_add_u32_e32 v123, 16, v123
	s_waitcnt lgkmcnt(0)
	v_xor_b32_e32 v102, 0x80000000, v109
	v_cndmask_b32_e32 v99, v115, v98, vcc
	v_cmp_gt_f64_e32 vcc, 0, v[116:117]
	v_mov_b32_e32 v98, v114
	v_cndmask_b32_e32 v101, v117, v100, vcc
	v_cmp_gt_f64_e32 vcc, 0, v[106:107]
	v_mov_b32_e32 v100, v116
	v_add_f64 v[98:99], v[98:99], v[100:101]
	v_xor_b32_e32 v100, 0x80000000, v107
	v_cndmask_b32_e32 v101, v107, v100, vcc
	v_cmp_gt_f64_e32 vcc, 0, v[108:109]
	v_mov_b32_e32 v100, v106
	v_cndmask_b32_e32 v103, v109, v102, vcc
	v_mov_b32_e32 v102, v108
	v_add_f64 v[100:101], v[100:101], v[102:103]
	v_cmp_lt_f64_e32 vcc, v[98:99], v[100:101]
	v_mov_b32_e32 v98, s0
	s_add_i32 s0, s0, 1
	s_cmp_lg_u32 s22, s0
	v_cndmask_b32_e32 v115, v115, v107, vcc
	v_cndmask_b32_e32 v114, v114, v106, vcc
	;; [unrolled: 1-line block ×5, first 2 shown]
	s_cbranch_scc1 .LBB54_24
.LBB54_25:
	s_waitcnt lgkmcnt(0)
	v_cmp_neq_f64_e32 vcc, 0, v[114:115]
	v_cmp_neq_f64_e64 s[0:1], 0, v[116:117]
	s_or_b64 s[8:9], vcc, s[0:1]
	s_and_saveexec_b64 s[0:1], s[8:9]
	s_cbranch_execz .LBB54_31
; %bb.26:
	v_cmp_ngt_f64_e64 s[8:9], |v[114:115]|, |v[116:117]|
	s_and_saveexec_b64 s[20:21], s[8:9]
	s_xor_b64 s[8:9], exec, s[20:21]
	s_cbranch_execz .LBB54_28
; %bb.27:
	v_div_scale_f64 v[98:99], s[20:21], v[116:117], v[116:117], v[114:115]
	v_rcp_f64_e32 v[100:101], v[98:99]
	v_fma_f64 v[102:103], -v[98:99], v[100:101], 1.0
	v_fma_f64 v[100:101], v[100:101], v[102:103], v[100:101]
	v_div_scale_f64 v[102:103], vcc, v[114:115], v[116:117], v[114:115]
	v_fma_f64 v[104:105], -v[98:99], v[100:101], 1.0
	v_fma_f64 v[100:101], v[100:101], v[104:105], v[100:101]
	v_mul_f64 v[104:105], v[102:103], v[100:101]
	v_fma_f64 v[98:99], -v[98:99], v[104:105], v[102:103]
	v_div_fmas_f64 v[98:99], v[98:99], v[100:101], v[104:105]
	v_div_fixup_f64 v[98:99], v[98:99], v[116:117], v[114:115]
	v_fma_f64 v[100:101], v[114:115], v[98:99], v[116:117]
	v_div_scale_f64 v[102:103], s[20:21], v[100:101], v[100:101], 1.0
	v_div_scale_f64 v[108:109], vcc, 1.0, v[100:101], 1.0
	v_rcp_f64_e32 v[104:105], v[102:103]
	v_fma_f64 v[106:107], -v[102:103], v[104:105], 1.0
	v_fma_f64 v[104:105], v[104:105], v[106:107], v[104:105]
	v_fma_f64 v[106:107], -v[102:103], v[104:105], 1.0
	v_fma_f64 v[104:105], v[104:105], v[106:107], v[104:105]
	v_mul_f64 v[106:107], v[108:109], v[104:105]
	v_fma_f64 v[102:103], -v[102:103], v[106:107], v[108:109]
	v_div_fmas_f64 v[102:103], v[102:103], v[104:105], v[106:107]
	v_div_fixup_f64 v[116:117], v[102:103], v[100:101], 1.0
	v_mul_f64 v[114:115], v[98:99], v[116:117]
	v_xor_b32_e32 v117, 0x80000000, v117
.LBB54_28:
	s_andn2_saveexec_b64 s[8:9], s[8:9]
	s_cbranch_execz .LBB54_30
; %bb.29:
	v_div_scale_f64 v[98:99], s[20:21], v[114:115], v[114:115], v[116:117]
	v_rcp_f64_e32 v[100:101], v[98:99]
	v_fma_f64 v[102:103], -v[98:99], v[100:101], 1.0
	v_fma_f64 v[100:101], v[100:101], v[102:103], v[100:101]
	v_div_scale_f64 v[102:103], vcc, v[116:117], v[114:115], v[116:117]
	v_fma_f64 v[104:105], -v[98:99], v[100:101], 1.0
	v_fma_f64 v[100:101], v[100:101], v[104:105], v[100:101]
	v_mul_f64 v[104:105], v[102:103], v[100:101]
	v_fma_f64 v[98:99], -v[98:99], v[104:105], v[102:103]
	v_div_fmas_f64 v[98:99], v[98:99], v[100:101], v[104:105]
	v_div_fixup_f64 v[98:99], v[98:99], v[114:115], v[116:117]
	v_fma_f64 v[100:101], v[116:117], v[98:99], v[114:115]
	v_div_scale_f64 v[102:103], s[20:21], v[100:101], v[100:101], 1.0
	v_div_scale_f64 v[108:109], vcc, 1.0, v[100:101], 1.0
	v_rcp_f64_e32 v[104:105], v[102:103]
	v_fma_f64 v[106:107], -v[102:103], v[104:105], 1.0
	v_fma_f64 v[104:105], v[104:105], v[106:107], v[104:105]
	v_fma_f64 v[106:107], -v[102:103], v[104:105], 1.0
	v_fma_f64 v[104:105], v[104:105], v[106:107], v[104:105]
	v_mul_f64 v[106:107], v[108:109], v[104:105]
	v_fma_f64 v[102:103], -v[102:103], v[106:107], v[108:109]
	v_div_fmas_f64 v[102:103], v[102:103], v[104:105], v[106:107]
	v_div_fixup_f64 v[114:115], v[102:103], v[100:101], 1.0
	v_mul_f64 v[116:117], v[98:99], -v[114:115]
.LBB54_30:
	s_or_b64 exec, exec, s[8:9]
	v_mov_b32_e32 v120, v119
.LBB54_31:
	s_or_b64 exec, exec, s[0:1]
	v_cmp_ne_u32_e32 vcc, v124, v122
	s_and_saveexec_b64 s[0:1], vcc
	s_xor_b64 s[0:1], exec, s[0:1]
	s_cbranch_execz .LBB54_37
; %bb.32:
	v_cmp_eq_u32_e32 vcc, 1, v124
	s_and_saveexec_b64 s[8:9], vcc
	s_cbranch_execz .LBB54_36
; %bb.33:
	v_cmp_ne_u32_e32 vcc, 1, v122
	s_xor_b64 s[20:21], s[18:19], -1
	s_and_b64 s[24:25], s[20:21], vcc
	s_and_saveexec_b64 s[20:21], s[24:25]
	s_cbranch_execz .LBB54_35
; %bb.34:
	buffer_load_dword v94, off, s[28:31], 0 offset:48 ; 4-byte Folded Reload
	buffer_load_dword v95, off, s[28:31], 0 offset:52 ; 4-byte Folded Reload
	v_ashrrev_i32_e32 v123, 31, v122
	v_lshlrev_b64 v[98:99], 2, v[122:123]
	s_waitcnt vmcnt(1)
	v_add_co_u32_e32 v98, vcc, v94, v98
	s_waitcnt vmcnt(0)
	v_addc_co_u32_e32 v99, vcc, v95, v99, vcc
	global_load_dword v0, v[98:99], off
	global_load_dword v100, v[94:95], off offset:4
	s_waitcnt vmcnt(1)
	global_store_dword v[94:95], v0, off offset:4
	s_waitcnt vmcnt(1)
	global_store_dword v[98:99], v100, off
.LBB54_35:
	s_or_b64 exec, exec, s[20:21]
	v_mov_b32_e32 v124, v122
	v_mov_b32_e32 v0, v122
.LBB54_36:
	s_or_b64 exec, exec, s[8:9]
.LBB54_37:
	s_andn2_saveexec_b64 s[0:1], s[0:1]
	s_cbranch_execz .LBB54_39
; %bb.38:
	buffer_load_dword v94, off, s[28:31], 0 offset:16 ; 4-byte Folded Reload
	buffer_load_dword v95, off, s[28:31], 0 offset:20 ; 4-byte Folded Reload
	;; [unrolled: 1-line block ×4, first 2 shown]
	v_mov_b32_e32 v124, 1
	s_waitcnt vmcnt(0)
	ds_write2_b64 v1, v[94:95], v[96:97] offset0:4 offset1:5
	buffer_load_dword v98, off, s[28:31], 0 ; 4-byte Folded Reload
	buffer_load_dword v99, off, s[28:31], 0 offset:4 ; 4-byte Folded Reload
	buffer_load_dword v100, off, s[28:31], 0 offset:8 ; 4-byte Folded Reload
	;; [unrolled: 1-line block ×3, first 2 shown]
	s_waitcnt vmcnt(0)
	ds_write2_b64 v1, v[98:99], v[100:101] offset0:6 offset1:7
	ds_write2_b64 v1, v[90:91], v[92:93] offset0:8 offset1:9
	;; [unrolled: 1-line block ×25, first 2 shown]
.LBB54_39:
	s_or_b64 exec, exec, s[0:1]
	v_cmp_lt_i32_e32 vcc, 1, v124
	s_waitcnt vmcnt(0) lgkmcnt(0)
	s_barrier
	s_and_saveexec_b64 s[0:1], vcc
	s_cbranch_execz .LBB54_41
; %bb.40:
	v_mov_b32_e32 v125, v120
	v_mov_b32_e32 v126, v118
	buffer_load_dword v118, off, s[28:31], 0 offset:32 ; 4-byte Folded Reload
	buffer_load_dword v119, off, s[28:31], 0 offset:36 ; 4-byte Folded Reload
	;; [unrolled: 1-line block ×4, first 2 shown]
	ds_read2_b64 v[106:109], v1 offset0:4 offset1:5
	buffer_load_dword v94, off, s[28:31], 0 offset:16 ; 4-byte Folded Reload
	buffer_load_dword v95, off, s[28:31], 0 offset:20 ; 4-byte Folded Reload
	;; [unrolled: 1-line block ×4, first 2 shown]
	s_waitcnt vmcnt(4)
	v_mul_f64 v[98:99], v[116:117], v[120:121]
	v_fma_f64 v[122:123], v[114:115], v[118:119], -v[98:99]
	v_mul_f64 v[98:99], v[114:115], v[120:121]
	v_fma_f64 v[120:121], v[116:117], v[118:119], v[98:99]
	v_mov_b32_e32 v118, v122
	v_mov_b32_e32 v119, v123
	s_waitcnt lgkmcnt(0)
	v_mul_f64 v[98:99], v[108:109], v[120:121]
	v_mul_f64 v[100:101], v[106:107], v[120:121]
	v_fma_f64 v[98:99], v[106:107], v[122:123], -v[98:99]
	v_fma_f64 v[100:101], v[108:109], v[122:123], v[100:101]
	s_waitcnt vmcnt(2)
	v_add_f64 v[94:95], v[94:95], -v[98:99]
	s_waitcnt vmcnt(0)
	v_add_f64 v[96:97], v[96:97], -v[100:101]
	buffer_store_dword v94, off, s[28:31], 0 offset:16 ; 4-byte Folded Spill
	s_nop 0
	buffer_store_dword v95, off, s[28:31], 0 offset:20 ; 4-byte Folded Spill
	buffer_store_dword v96, off, s[28:31], 0 offset:24 ; 4-byte Folded Spill
	;; [unrolled: 1-line block ×3, first 2 shown]
	ds_read2_b64 v[106:109], v1 offset0:6 offset1:7
	buffer_load_dword v102, off, s[28:31], 0 ; 4-byte Folded Reload
	buffer_load_dword v103, off, s[28:31], 0 offset:4 ; 4-byte Folded Reload
	buffer_load_dword v104, off, s[28:31], 0 offset:8 ; 4-byte Folded Reload
	;; [unrolled: 1-line block ×3, first 2 shown]
	s_waitcnt lgkmcnt(0)
	v_mul_f64 v[98:99], v[108:109], v[120:121]
	v_mul_f64 v[100:101], v[106:107], v[120:121]
	v_fma_f64 v[98:99], v[106:107], v[122:123], -v[98:99]
	v_fma_f64 v[100:101], v[108:109], v[122:123], v[100:101]
	s_waitcnt vmcnt(2)
	v_add_f64 v[102:103], v[102:103], -v[98:99]
	s_waitcnt vmcnt(0)
	v_add_f64 v[104:105], v[104:105], -v[100:101]
	buffer_store_dword v102, off, s[28:31], 0 ; 4-byte Folded Spill
	s_nop 0
	buffer_store_dword v103, off, s[28:31], 0 offset:4 ; 4-byte Folded Spill
	buffer_store_dword v104, off, s[28:31], 0 offset:8 ; 4-byte Folded Spill
	buffer_store_dword v105, off, s[28:31], 0 offset:12 ; 4-byte Folded Spill
	ds_read2_b64 v[106:109], v1 offset0:8 offset1:9
	s_waitcnt lgkmcnt(0)
	v_mul_f64 v[98:99], v[108:109], v[120:121]
	v_mul_f64 v[100:101], v[106:107], v[120:121]
	v_fma_f64 v[98:99], v[106:107], v[122:123], -v[98:99]
	v_fma_f64 v[100:101], v[108:109], v[122:123], v[100:101]
	ds_read2_b64 v[106:109], v1 offset0:10 offset1:11
	v_add_f64 v[90:91], v[90:91], -v[98:99]
	v_add_f64 v[92:93], v[92:93], -v[100:101]
	s_waitcnt lgkmcnt(0)
	v_mul_f64 v[98:99], v[108:109], v[120:121]
	v_mul_f64 v[100:101], v[106:107], v[120:121]
	v_fma_f64 v[98:99], v[106:107], v[122:123], -v[98:99]
	v_fma_f64 v[100:101], v[108:109], v[122:123], v[100:101]
	ds_read2_b64 v[106:109], v1 offset0:12 offset1:13
	v_add_f64 v[86:87], v[86:87], -v[98:99]
	v_add_f64 v[88:89], v[88:89], -v[100:101]
	;; [unrolled: 8-line block ×23, first 2 shown]
	s_waitcnt lgkmcnt(0)
	v_mul_f64 v[98:99], v[108:109], v[120:121]
	v_mul_f64 v[100:101], v[106:107], v[120:121]
	buffer_store_dword v118, off, s[28:31], 0 offset:32 ; 4-byte Folded Spill
	s_nop 0
	buffer_store_dword v119, off, s[28:31], 0 offset:36 ; 4-byte Folded Spill
	buffer_store_dword v120, off, s[28:31], 0 offset:40 ; 4-byte Folded Spill
	;; [unrolled: 1-line block ×3, first 2 shown]
	v_mov_b32_e32 v118, v126
	v_mov_b32_e32 v120, v125
	v_fma_f64 v[98:99], v[106:107], v[122:123], -v[98:99]
	v_fma_f64 v[100:101], v[108:109], v[122:123], v[100:101]
	v_add_f64 v[110:111], v[110:111], -v[98:99]
	v_add_f64 v[112:113], v[112:113], -v[100:101]
.LBB54_41:
	s_or_b64 exec, exec, s[0:1]
	s_waitcnt vmcnt(0)
	s_barrier
	buffer_load_dword v94, off, s[28:31], 0 offset:16 ; 4-byte Folded Reload
	buffer_load_dword v95, off, s[28:31], 0 offset:20 ; 4-byte Folded Reload
	;; [unrolled: 1-line block ×4, first 2 shown]
	v_lshl_add_u32 v98, v124, 4, v1
	s_cmp_lt_i32 s22, 4
	v_mov_b32_e32 v122, 2
	s_waitcnt vmcnt(0)
	ds_write2_b64 v98, v[94:95], v[96:97] offset1:1
	s_waitcnt lgkmcnt(0)
	s_barrier
	ds_read2_b64 v[114:117], v1 offset0:4 offset1:5
	s_cbranch_scc1 .LBB54_44
; %bb.42:
	v_add3_u32 v119, v118, 0, 48
	s_mov_b32 s0, 3
	v_mov_b32_e32 v122, 2
.LBB54_43:                              ; =>This Inner Loop Header: Depth=1
	s_waitcnt lgkmcnt(0)
	v_cmp_gt_f64_e32 vcc, 0, v[114:115]
	v_xor_b32_e32 v98, 0x80000000, v115
	ds_read2_b64 v[106:109], v119 offset1:1
	v_xor_b32_e32 v100, 0x80000000, v117
	v_add_u32_e32 v119, 16, v119
	s_waitcnt lgkmcnt(0)
	v_xor_b32_e32 v102, 0x80000000, v109
	v_cndmask_b32_e32 v99, v115, v98, vcc
	v_cmp_gt_f64_e32 vcc, 0, v[116:117]
	v_mov_b32_e32 v98, v114
	v_cndmask_b32_e32 v101, v117, v100, vcc
	v_cmp_gt_f64_e32 vcc, 0, v[106:107]
	v_mov_b32_e32 v100, v116
	v_add_f64 v[98:99], v[98:99], v[100:101]
	v_xor_b32_e32 v100, 0x80000000, v107
	v_cndmask_b32_e32 v101, v107, v100, vcc
	v_cmp_gt_f64_e32 vcc, 0, v[108:109]
	v_mov_b32_e32 v100, v106
	v_cndmask_b32_e32 v103, v109, v102, vcc
	v_mov_b32_e32 v102, v108
	v_add_f64 v[100:101], v[100:101], v[102:103]
	v_cmp_lt_f64_e32 vcc, v[98:99], v[100:101]
	v_mov_b32_e32 v98, s0
	s_add_i32 s0, s0, 1
	s_cmp_lg_u32 s22, s0
	v_cndmask_b32_e32 v115, v115, v107, vcc
	v_cndmask_b32_e32 v114, v114, v106, vcc
	;; [unrolled: 1-line block ×5, first 2 shown]
	s_cbranch_scc1 .LBB54_43
.LBB54_44:
	s_waitcnt lgkmcnt(0)
	v_cmp_eq_f64_e32 vcc, 0, v[114:115]
	v_cmp_eq_f64_e64 s[0:1], 0, v[116:117]
	s_and_b64 s[0:1], vcc, s[0:1]
	s_and_saveexec_b64 s[8:9], s[0:1]
	s_xor_b64 s[0:1], exec, s[8:9]
; %bb.45:
	v_cmp_ne_u32_e32 vcc, 0, v120
	v_cndmask_b32_e32 v120, 3, v120, vcc
; %bb.46:
	s_andn2_saveexec_b64 s[0:1], s[0:1]
	s_cbranch_execz .LBB54_52
; %bb.47:
	v_cmp_ngt_f64_e64 s[8:9], |v[114:115]|, |v[116:117]|
	s_and_saveexec_b64 s[20:21], s[8:9]
	s_xor_b64 s[8:9], exec, s[20:21]
	s_cbranch_execz .LBB54_49
; %bb.48:
	v_div_scale_f64 v[98:99], s[20:21], v[116:117], v[116:117], v[114:115]
	v_rcp_f64_e32 v[100:101], v[98:99]
	v_fma_f64 v[102:103], -v[98:99], v[100:101], 1.0
	v_fma_f64 v[100:101], v[100:101], v[102:103], v[100:101]
	v_div_scale_f64 v[102:103], vcc, v[114:115], v[116:117], v[114:115]
	v_fma_f64 v[104:105], -v[98:99], v[100:101], 1.0
	v_fma_f64 v[100:101], v[100:101], v[104:105], v[100:101]
	v_mul_f64 v[104:105], v[102:103], v[100:101]
	v_fma_f64 v[98:99], -v[98:99], v[104:105], v[102:103]
	v_div_fmas_f64 v[98:99], v[98:99], v[100:101], v[104:105]
	v_div_fixup_f64 v[98:99], v[98:99], v[116:117], v[114:115]
	v_fma_f64 v[100:101], v[114:115], v[98:99], v[116:117]
	v_div_scale_f64 v[102:103], s[20:21], v[100:101], v[100:101], 1.0
	v_div_scale_f64 v[108:109], vcc, 1.0, v[100:101], 1.0
	v_rcp_f64_e32 v[104:105], v[102:103]
	v_fma_f64 v[106:107], -v[102:103], v[104:105], 1.0
	v_fma_f64 v[104:105], v[104:105], v[106:107], v[104:105]
	v_fma_f64 v[106:107], -v[102:103], v[104:105], 1.0
	v_fma_f64 v[104:105], v[104:105], v[106:107], v[104:105]
	v_mul_f64 v[106:107], v[108:109], v[104:105]
	v_fma_f64 v[102:103], -v[102:103], v[106:107], v[108:109]
	v_div_fmas_f64 v[102:103], v[102:103], v[104:105], v[106:107]
	v_div_fixup_f64 v[116:117], v[102:103], v[100:101], 1.0
	v_mul_f64 v[114:115], v[98:99], v[116:117]
	v_xor_b32_e32 v117, 0x80000000, v117
.LBB54_49:
	s_andn2_saveexec_b64 s[8:9], s[8:9]
	s_cbranch_execz .LBB54_51
; %bb.50:
	v_div_scale_f64 v[98:99], s[20:21], v[114:115], v[114:115], v[116:117]
	v_rcp_f64_e32 v[100:101], v[98:99]
	v_fma_f64 v[102:103], -v[98:99], v[100:101], 1.0
	v_fma_f64 v[100:101], v[100:101], v[102:103], v[100:101]
	v_div_scale_f64 v[102:103], vcc, v[116:117], v[114:115], v[116:117]
	v_fma_f64 v[104:105], -v[98:99], v[100:101], 1.0
	v_fma_f64 v[100:101], v[100:101], v[104:105], v[100:101]
	v_mul_f64 v[104:105], v[102:103], v[100:101]
	v_fma_f64 v[98:99], -v[98:99], v[104:105], v[102:103]
	v_div_fmas_f64 v[98:99], v[98:99], v[100:101], v[104:105]
	v_div_fixup_f64 v[98:99], v[98:99], v[114:115], v[116:117]
	v_fma_f64 v[100:101], v[116:117], v[98:99], v[114:115]
	v_div_scale_f64 v[102:103], s[20:21], v[100:101], v[100:101], 1.0
	v_div_scale_f64 v[108:109], vcc, 1.0, v[100:101], 1.0
	v_rcp_f64_e32 v[104:105], v[102:103]
	v_fma_f64 v[106:107], -v[102:103], v[104:105], 1.0
	v_fma_f64 v[104:105], v[104:105], v[106:107], v[104:105]
	v_fma_f64 v[106:107], -v[102:103], v[104:105], 1.0
	v_fma_f64 v[104:105], v[104:105], v[106:107], v[104:105]
	v_mul_f64 v[106:107], v[108:109], v[104:105]
	v_fma_f64 v[102:103], -v[102:103], v[106:107], v[108:109]
	v_div_fmas_f64 v[102:103], v[102:103], v[104:105], v[106:107]
	v_div_fixup_f64 v[114:115], v[102:103], v[100:101], 1.0
	v_mul_f64 v[116:117], v[98:99], -v[114:115]
.LBB54_51:
	s_or_b64 exec, exec, s[8:9]
.LBB54_52:
	s_or_b64 exec, exec, s[0:1]
	v_cmp_ne_u32_e32 vcc, v124, v122
	s_and_saveexec_b64 s[0:1], vcc
	s_xor_b64 s[0:1], exec, s[0:1]
	s_cbranch_execz .LBB54_58
; %bb.53:
	v_cmp_eq_u32_e32 vcc, 2, v124
	s_and_saveexec_b64 s[8:9], vcc
	s_cbranch_execz .LBB54_57
; %bb.54:
	v_cmp_ne_u32_e32 vcc, 2, v122
	s_xor_b64 s[20:21], s[18:19], -1
	s_and_b64 s[24:25], s[20:21], vcc
	s_and_saveexec_b64 s[20:21], s[24:25]
	s_cbranch_execz .LBB54_56
; %bb.55:
	buffer_load_dword v94, off, s[28:31], 0 offset:48 ; 4-byte Folded Reload
	buffer_load_dword v95, off, s[28:31], 0 offset:52 ; 4-byte Folded Reload
	v_ashrrev_i32_e32 v123, 31, v122
	v_lshlrev_b64 v[98:99], 2, v[122:123]
	s_waitcnt vmcnt(1)
	v_add_co_u32_e32 v98, vcc, v94, v98
	s_waitcnt vmcnt(0)
	v_addc_co_u32_e32 v99, vcc, v95, v99, vcc
	global_load_dword v0, v[98:99], off
	global_load_dword v100, v[94:95], off offset:8
	s_waitcnt vmcnt(1)
	global_store_dword v[94:95], v0, off offset:8
	s_waitcnt vmcnt(1)
	global_store_dword v[98:99], v100, off
.LBB54_56:
	s_or_b64 exec, exec, s[20:21]
	v_mov_b32_e32 v124, v122
	v_mov_b32_e32 v0, v122
.LBB54_57:
	s_or_b64 exec, exec, s[8:9]
.LBB54_58:
	s_andn2_saveexec_b64 s[0:1], s[0:1]
	s_cbranch_execz .LBB54_60
; %bb.59:
	buffer_load_dword v98, off, s[28:31], 0 ; 4-byte Folded Reload
	buffer_load_dword v99, off, s[28:31], 0 offset:4 ; 4-byte Folded Reload
	buffer_load_dword v100, off, s[28:31], 0 offset:8 ; 4-byte Folded Reload
	;; [unrolled: 1-line block ×3, first 2 shown]
	v_mov_b32_e32 v124, 2
	s_waitcnt vmcnt(0)
	ds_write2_b64 v1, v[98:99], v[100:101] offset0:6 offset1:7
	ds_write2_b64 v1, v[90:91], v[92:93] offset0:8 offset1:9
	;; [unrolled: 1-line block ×25, first 2 shown]
.LBB54_60:
	s_or_b64 exec, exec, s[0:1]
	v_cmp_lt_i32_e32 vcc, 2, v124
	s_waitcnt vmcnt(0) lgkmcnt(0)
	s_barrier
	s_and_saveexec_b64 s[0:1], vcc
	s_cbranch_execz .LBB54_62
; %bb.61:
	buffer_load_dword v94, off, s[28:31], 0 offset:16 ; 4-byte Folded Reload
	buffer_load_dword v95, off, s[28:31], 0 offset:20 ; 4-byte Folded Reload
	;; [unrolled: 1-line block ×4, first 2 shown]
	ds_read2_b64 v[106:109], v1 offset0:6 offset1:7
	buffer_load_dword v102, off, s[28:31], 0 ; 4-byte Folded Reload
	buffer_load_dword v103, off, s[28:31], 0 offset:4 ; 4-byte Folded Reload
	buffer_load_dword v104, off, s[28:31], 0 offset:8 ; 4-byte Folded Reload
	;; [unrolled: 1-line block ×3, first 2 shown]
	s_waitcnt vmcnt(4)
	v_mul_f64 v[98:99], v[116:117], v[96:97]
	v_fma_f64 v[122:123], v[114:115], v[94:95], -v[98:99]
	v_mul_f64 v[98:99], v[114:115], v[96:97]
	v_fma_f64 v[96:97], v[116:117], v[94:95], v[98:99]
	v_mov_b32_e32 v94, v122
	v_mov_b32_e32 v95, v123
	s_waitcnt lgkmcnt(0)
	v_mul_f64 v[98:99], v[108:109], v[96:97]
	v_mul_f64 v[100:101], v[106:107], v[96:97]
	v_fma_f64 v[98:99], v[106:107], v[122:123], -v[98:99]
	v_fma_f64 v[100:101], v[108:109], v[122:123], v[100:101]
	s_waitcnt vmcnt(2)
	v_add_f64 v[102:103], v[102:103], -v[98:99]
	s_waitcnt vmcnt(0)
	v_add_f64 v[104:105], v[104:105], -v[100:101]
	buffer_store_dword v102, off, s[28:31], 0 ; 4-byte Folded Spill
	s_nop 0
	buffer_store_dword v103, off, s[28:31], 0 offset:4 ; 4-byte Folded Spill
	buffer_store_dword v104, off, s[28:31], 0 offset:8 ; 4-byte Folded Spill
	;; [unrolled: 1-line block ×3, first 2 shown]
	ds_read2_b64 v[106:109], v1 offset0:8 offset1:9
	s_waitcnt lgkmcnt(0)
	v_mul_f64 v[98:99], v[108:109], v[96:97]
	v_mul_f64 v[100:101], v[106:107], v[96:97]
	v_fma_f64 v[98:99], v[106:107], v[122:123], -v[98:99]
	v_fma_f64 v[100:101], v[108:109], v[122:123], v[100:101]
	ds_read2_b64 v[106:109], v1 offset0:10 offset1:11
	v_add_f64 v[90:91], v[90:91], -v[98:99]
	v_add_f64 v[92:93], v[92:93], -v[100:101]
	s_waitcnt lgkmcnt(0)
	v_mul_f64 v[98:99], v[108:109], v[96:97]
	v_mul_f64 v[100:101], v[106:107], v[96:97]
	v_fma_f64 v[98:99], v[106:107], v[122:123], -v[98:99]
	v_fma_f64 v[100:101], v[108:109], v[122:123], v[100:101]
	ds_read2_b64 v[106:109], v1 offset0:12 offset1:13
	v_add_f64 v[86:87], v[86:87], -v[98:99]
	v_add_f64 v[88:89], v[88:89], -v[100:101]
	;; [unrolled: 8-line block ×23, first 2 shown]
	s_waitcnt lgkmcnt(0)
	v_mul_f64 v[98:99], v[108:109], v[96:97]
	v_mul_f64 v[100:101], v[106:107], v[96:97]
	buffer_store_dword v94, off, s[28:31], 0 offset:16 ; 4-byte Folded Spill
	s_nop 0
	buffer_store_dword v95, off, s[28:31], 0 offset:20 ; 4-byte Folded Spill
	buffer_store_dword v96, off, s[28:31], 0 offset:24 ; 4-byte Folded Spill
	;; [unrolled: 1-line block ×3, first 2 shown]
	v_fma_f64 v[98:99], v[106:107], v[122:123], -v[98:99]
	v_fma_f64 v[100:101], v[108:109], v[122:123], v[100:101]
	v_add_f64 v[110:111], v[110:111], -v[98:99]
	v_add_f64 v[112:113], v[112:113], -v[100:101]
.LBB54_62:
	s_or_b64 exec, exec, s[0:1]
	s_waitcnt vmcnt(0)
	s_barrier
	buffer_load_dword v99, off, s[28:31], 0 ; 4-byte Folded Reload
	buffer_load_dword v100, off, s[28:31], 0 offset:4 ; 4-byte Folded Reload
	buffer_load_dword v101, off, s[28:31], 0 offset:8 ; 4-byte Folded Reload
	;; [unrolled: 1-line block ×3, first 2 shown]
	v_lshl_add_u32 v98, v124, 4, v1
	s_mov_b32 s0, 4
	s_cmp_lt_i32 s22, 5
	v_mov_b32_e32 v122, 3
	s_waitcnt vmcnt(0)
	ds_write2_b64 v98, v[99:100], v[101:102] offset1:1
	s_waitcnt lgkmcnt(0)
	s_barrier
	ds_read2_b64 v[114:117], v1 offset0:6 offset1:7
	s_cbranch_scc1 .LBB54_65
; %bb.63:
	v_add3_u32 v118, v118, 0, 64
	v_mov_b32_e32 v122, 3
.LBB54_64:                              ; =>This Inner Loop Header: Depth=1
	s_waitcnt lgkmcnt(0)
	v_cmp_gt_f64_e32 vcc, 0, v[114:115]
	v_xor_b32_e32 v98, 0x80000000, v115
	ds_read2_b64 v[106:109], v118 offset1:1
	v_xor_b32_e32 v100, 0x80000000, v117
	v_add_u32_e32 v118, 16, v118
	s_waitcnt lgkmcnt(0)
	v_xor_b32_e32 v102, 0x80000000, v109
	v_cndmask_b32_e32 v99, v115, v98, vcc
	v_cmp_gt_f64_e32 vcc, 0, v[116:117]
	v_mov_b32_e32 v98, v114
	v_cndmask_b32_e32 v101, v117, v100, vcc
	v_cmp_gt_f64_e32 vcc, 0, v[106:107]
	v_mov_b32_e32 v100, v116
	v_add_f64 v[98:99], v[98:99], v[100:101]
	v_xor_b32_e32 v100, 0x80000000, v107
	v_cndmask_b32_e32 v101, v107, v100, vcc
	v_cmp_gt_f64_e32 vcc, 0, v[108:109]
	v_mov_b32_e32 v100, v106
	v_cndmask_b32_e32 v103, v109, v102, vcc
	v_mov_b32_e32 v102, v108
	v_add_f64 v[100:101], v[100:101], v[102:103]
	v_cmp_lt_f64_e32 vcc, v[98:99], v[100:101]
	v_mov_b32_e32 v98, s0
	s_add_i32 s0, s0, 1
	s_cmp_lg_u32 s22, s0
	v_cndmask_b32_e32 v115, v115, v107, vcc
	v_cndmask_b32_e32 v114, v114, v106, vcc
	v_cndmask_b32_e32 v117, v117, v109, vcc
	v_cndmask_b32_e32 v116, v116, v108, vcc
	v_cndmask_b32_e32 v122, v122, v98, vcc
	s_cbranch_scc1 .LBB54_64
.LBB54_65:
	s_waitcnt lgkmcnt(0)
	v_cmp_eq_f64_e32 vcc, 0, v[114:115]
	v_cmp_eq_f64_e64 s[0:1], 0, v[116:117]
	s_and_b64 s[0:1], vcc, s[0:1]
	s_and_saveexec_b64 s[8:9], s[0:1]
	s_xor_b64 s[0:1], exec, s[8:9]
; %bb.66:
	v_cmp_ne_u32_e32 vcc, 0, v120
	v_cndmask_b32_e32 v120, 4, v120, vcc
; %bb.67:
	s_andn2_saveexec_b64 s[0:1], s[0:1]
	s_cbranch_execz .LBB54_73
; %bb.68:
	v_cmp_ngt_f64_e64 s[8:9], |v[114:115]|, |v[116:117]|
	s_and_saveexec_b64 s[20:21], s[8:9]
	s_xor_b64 s[8:9], exec, s[20:21]
	s_cbranch_execz .LBB54_70
; %bb.69:
	v_div_scale_f64 v[98:99], s[20:21], v[116:117], v[116:117], v[114:115]
	v_rcp_f64_e32 v[100:101], v[98:99]
	v_fma_f64 v[102:103], -v[98:99], v[100:101], 1.0
	v_fma_f64 v[100:101], v[100:101], v[102:103], v[100:101]
	v_div_scale_f64 v[102:103], vcc, v[114:115], v[116:117], v[114:115]
	v_fma_f64 v[104:105], -v[98:99], v[100:101], 1.0
	v_fma_f64 v[100:101], v[100:101], v[104:105], v[100:101]
	v_mul_f64 v[104:105], v[102:103], v[100:101]
	v_fma_f64 v[98:99], -v[98:99], v[104:105], v[102:103]
	v_div_fmas_f64 v[98:99], v[98:99], v[100:101], v[104:105]
	v_div_fixup_f64 v[98:99], v[98:99], v[116:117], v[114:115]
	v_fma_f64 v[100:101], v[114:115], v[98:99], v[116:117]
	v_div_scale_f64 v[102:103], s[20:21], v[100:101], v[100:101], 1.0
	v_div_scale_f64 v[108:109], vcc, 1.0, v[100:101], 1.0
	v_rcp_f64_e32 v[104:105], v[102:103]
	v_fma_f64 v[106:107], -v[102:103], v[104:105], 1.0
	v_fma_f64 v[104:105], v[104:105], v[106:107], v[104:105]
	v_fma_f64 v[106:107], -v[102:103], v[104:105], 1.0
	v_fma_f64 v[104:105], v[104:105], v[106:107], v[104:105]
	v_mul_f64 v[106:107], v[108:109], v[104:105]
	v_fma_f64 v[102:103], -v[102:103], v[106:107], v[108:109]
	v_div_fmas_f64 v[102:103], v[102:103], v[104:105], v[106:107]
	v_div_fixup_f64 v[116:117], v[102:103], v[100:101], 1.0
	v_mul_f64 v[114:115], v[98:99], v[116:117]
	v_xor_b32_e32 v117, 0x80000000, v117
.LBB54_70:
	s_andn2_saveexec_b64 s[8:9], s[8:9]
	s_cbranch_execz .LBB54_72
; %bb.71:
	v_div_scale_f64 v[98:99], s[20:21], v[114:115], v[114:115], v[116:117]
	v_rcp_f64_e32 v[100:101], v[98:99]
	v_fma_f64 v[102:103], -v[98:99], v[100:101], 1.0
	v_fma_f64 v[100:101], v[100:101], v[102:103], v[100:101]
	v_div_scale_f64 v[102:103], vcc, v[116:117], v[114:115], v[116:117]
	v_fma_f64 v[104:105], -v[98:99], v[100:101], 1.0
	v_fma_f64 v[100:101], v[100:101], v[104:105], v[100:101]
	v_mul_f64 v[104:105], v[102:103], v[100:101]
	v_fma_f64 v[98:99], -v[98:99], v[104:105], v[102:103]
	v_div_fmas_f64 v[98:99], v[98:99], v[100:101], v[104:105]
	v_div_fixup_f64 v[98:99], v[98:99], v[114:115], v[116:117]
	v_fma_f64 v[100:101], v[116:117], v[98:99], v[114:115]
	v_div_scale_f64 v[102:103], s[20:21], v[100:101], v[100:101], 1.0
	v_div_scale_f64 v[108:109], vcc, 1.0, v[100:101], 1.0
	v_rcp_f64_e32 v[104:105], v[102:103]
	v_fma_f64 v[106:107], -v[102:103], v[104:105], 1.0
	v_fma_f64 v[104:105], v[104:105], v[106:107], v[104:105]
	v_fma_f64 v[106:107], -v[102:103], v[104:105], 1.0
	v_fma_f64 v[104:105], v[104:105], v[106:107], v[104:105]
	v_mul_f64 v[106:107], v[108:109], v[104:105]
	v_fma_f64 v[102:103], -v[102:103], v[106:107], v[108:109]
	v_div_fmas_f64 v[102:103], v[102:103], v[104:105], v[106:107]
	v_div_fixup_f64 v[114:115], v[102:103], v[100:101], 1.0
	v_mul_f64 v[116:117], v[98:99], -v[114:115]
.LBB54_72:
	s_or_b64 exec, exec, s[8:9]
.LBB54_73:
	s_or_b64 exec, exec, s[0:1]
	v_cmp_ne_u32_e32 vcc, v124, v122
	s_and_saveexec_b64 s[0:1], vcc
	s_xor_b64 s[0:1], exec, s[0:1]
	s_cbranch_execz .LBB54_79
; %bb.74:
	v_cmp_eq_u32_e32 vcc, 3, v124
	s_and_saveexec_b64 s[8:9], vcc
	s_cbranch_execz .LBB54_78
; %bb.75:
	v_cmp_ne_u32_e32 vcc, 3, v122
	s_xor_b64 s[20:21], s[18:19], -1
	s_and_b64 s[24:25], s[20:21], vcc
	s_and_saveexec_b64 s[20:21], s[24:25]
	s_cbranch_execz .LBB54_77
; %bb.76:
	buffer_load_dword v94, off, s[28:31], 0 offset:48 ; 4-byte Folded Reload
	buffer_load_dword v95, off, s[28:31], 0 offset:52 ; 4-byte Folded Reload
	v_ashrrev_i32_e32 v123, 31, v122
	v_lshlrev_b64 v[98:99], 2, v[122:123]
	s_waitcnt vmcnt(1)
	v_add_co_u32_e32 v98, vcc, v94, v98
	s_waitcnt vmcnt(0)
	v_addc_co_u32_e32 v99, vcc, v95, v99, vcc
	global_load_dword v0, v[98:99], off
	global_load_dword v100, v[94:95], off offset:12
	s_waitcnt vmcnt(1)
	global_store_dword v[94:95], v0, off offset:12
	s_waitcnt vmcnt(1)
	global_store_dword v[98:99], v100, off
.LBB54_77:
	s_or_b64 exec, exec, s[20:21]
	v_mov_b32_e32 v124, v122
	v_mov_b32_e32 v0, v122
.LBB54_78:
	s_or_b64 exec, exec, s[8:9]
.LBB54_79:
	s_andn2_saveexec_b64 s[0:1], s[0:1]
	s_cbranch_execz .LBB54_81
; %bb.80:
	v_mov_b32_e32 v124, 3
	ds_write2_b64 v1, v[90:91], v[92:93] offset0:8 offset1:9
	ds_write2_b64 v1, v[86:87], v[88:89] offset0:10 offset1:11
	;; [unrolled: 1-line block ×24, first 2 shown]
.LBB54_81:
	s_or_b64 exec, exec, s[0:1]
	v_cmp_lt_i32_e32 vcc, 3, v124
	s_waitcnt vmcnt(0) lgkmcnt(0)
	s_barrier
	s_and_saveexec_b64 s[0:1], vcc
	s_cbranch_execz .LBB54_83
; %bb.82:
	buffer_load_dword v100, off, s[28:31], 0 ; 4-byte Folded Reload
	buffer_load_dword v101, off, s[28:31], 0 offset:4 ; 4-byte Folded Reload
	buffer_load_dword v102, off, s[28:31], 0 offset:8 ; 4-byte Folded Reload
	;; [unrolled: 1-line block ×3, first 2 shown]
	ds_read2_b64 v[106:109], v1 offset0:8 offset1:9
	s_waitcnt vmcnt(0)
	v_mul_f64 v[96:97], v[114:115], v[102:103]
	v_mul_f64 v[98:99], v[116:117], v[102:103]
	v_fma_f64 v[102:103], v[116:117], v[100:101], v[96:97]
	v_fma_f64 v[122:123], v[114:115], v[100:101], -v[98:99]
	s_waitcnt lgkmcnt(0)
	v_mul_f64 v[94:95], v[108:109], v[102:103]
	v_mul_f64 v[98:99], v[106:107], v[102:103]
	v_mov_b32_e32 v100, v122
	v_mov_b32_e32 v101, v123
	v_fma_f64 v[94:95], v[106:107], v[122:123], -v[94:95]
	v_fma_f64 v[98:99], v[108:109], v[122:123], v[98:99]
	ds_read2_b64 v[106:109], v1 offset0:10 offset1:11
	v_add_f64 v[90:91], v[90:91], -v[94:95]
	v_add_f64 v[92:93], v[92:93], -v[98:99]
	s_waitcnt lgkmcnt(0)
	v_mul_f64 v[94:95], v[108:109], v[102:103]
	v_mul_f64 v[98:99], v[106:107], v[102:103]
	v_fma_f64 v[94:95], v[106:107], v[122:123], -v[94:95]
	v_fma_f64 v[98:99], v[108:109], v[122:123], v[98:99]
	ds_read2_b64 v[106:109], v1 offset0:12 offset1:13
	v_add_f64 v[86:87], v[86:87], -v[94:95]
	v_add_f64 v[88:89], v[88:89], -v[98:99]
	s_waitcnt lgkmcnt(0)
	v_mul_f64 v[94:95], v[108:109], v[102:103]
	v_mul_f64 v[98:99], v[106:107], v[102:103]
	v_fma_f64 v[94:95], v[106:107], v[122:123], -v[94:95]
	v_fma_f64 v[98:99], v[108:109], v[122:123], v[98:99]
	ds_read2_b64 v[106:109], v1 offset0:14 offset1:15
	v_add_f64 v[82:83], v[82:83], -v[94:95]
	v_add_f64 v[84:85], v[84:85], -v[98:99]
	s_waitcnt lgkmcnt(0)
	v_mul_f64 v[94:95], v[108:109], v[102:103]
	v_mul_f64 v[98:99], v[106:107], v[102:103]
	v_fma_f64 v[94:95], v[106:107], v[122:123], -v[94:95]
	v_fma_f64 v[98:99], v[108:109], v[122:123], v[98:99]
	ds_read2_b64 v[106:109], v1 offset0:16 offset1:17
	v_add_f64 v[78:79], v[78:79], -v[94:95]
	v_add_f64 v[80:81], v[80:81], -v[98:99]
	s_waitcnt lgkmcnt(0)
	v_mul_f64 v[94:95], v[108:109], v[102:103]
	v_mul_f64 v[98:99], v[106:107], v[102:103]
	v_fma_f64 v[94:95], v[106:107], v[122:123], -v[94:95]
	v_fma_f64 v[98:99], v[108:109], v[122:123], v[98:99]
	ds_read2_b64 v[106:109], v1 offset0:18 offset1:19
	v_add_f64 v[74:75], v[74:75], -v[94:95]
	v_add_f64 v[76:77], v[76:77], -v[98:99]
	s_waitcnt lgkmcnt(0)
	v_mul_f64 v[94:95], v[108:109], v[102:103]
	v_mul_f64 v[98:99], v[106:107], v[102:103]
	v_fma_f64 v[94:95], v[106:107], v[122:123], -v[94:95]
	v_fma_f64 v[98:99], v[108:109], v[122:123], v[98:99]
	ds_read2_b64 v[106:109], v1 offset0:20 offset1:21
	v_add_f64 v[70:71], v[70:71], -v[94:95]
	v_add_f64 v[72:73], v[72:73], -v[98:99]
	s_waitcnt lgkmcnt(0)
	v_mul_f64 v[94:95], v[108:109], v[102:103]
	v_mul_f64 v[98:99], v[106:107], v[102:103]
	v_fma_f64 v[94:95], v[106:107], v[122:123], -v[94:95]
	v_fma_f64 v[98:99], v[108:109], v[122:123], v[98:99]
	ds_read2_b64 v[106:109], v1 offset0:22 offset1:23
	v_add_f64 v[66:67], v[66:67], -v[94:95]
	v_add_f64 v[68:69], v[68:69], -v[98:99]
	s_waitcnt lgkmcnt(0)
	v_mul_f64 v[94:95], v[108:109], v[102:103]
	v_mul_f64 v[98:99], v[106:107], v[102:103]
	v_fma_f64 v[94:95], v[106:107], v[122:123], -v[94:95]
	v_fma_f64 v[98:99], v[108:109], v[122:123], v[98:99]
	ds_read2_b64 v[106:109], v1 offset0:24 offset1:25
	v_add_f64 v[62:63], v[62:63], -v[94:95]
	v_add_f64 v[64:65], v[64:65], -v[98:99]
	s_waitcnt lgkmcnt(0)
	v_mul_f64 v[94:95], v[108:109], v[102:103]
	v_mul_f64 v[98:99], v[106:107], v[102:103]
	v_fma_f64 v[94:95], v[106:107], v[122:123], -v[94:95]
	v_fma_f64 v[98:99], v[108:109], v[122:123], v[98:99]
	ds_read2_b64 v[106:109], v1 offset0:26 offset1:27
	v_add_f64 v[58:59], v[58:59], -v[94:95]
	v_add_f64 v[60:61], v[60:61], -v[98:99]
	s_waitcnt lgkmcnt(0)
	v_mul_f64 v[94:95], v[108:109], v[102:103]
	v_mul_f64 v[98:99], v[106:107], v[102:103]
	v_fma_f64 v[94:95], v[106:107], v[122:123], -v[94:95]
	v_fma_f64 v[98:99], v[108:109], v[122:123], v[98:99]
	ds_read2_b64 v[106:109], v1 offset0:28 offset1:29
	v_add_f64 v[54:55], v[54:55], -v[94:95]
	v_add_f64 v[56:57], v[56:57], -v[98:99]
	s_waitcnt lgkmcnt(0)
	v_mul_f64 v[94:95], v[108:109], v[102:103]
	v_mul_f64 v[98:99], v[106:107], v[102:103]
	v_fma_f64 v[94:95], v[106:107], v[122:123], -v[94:95]
	v_fma_f64 v[98:99], v[108:109], v[122:123], v[98:99]
	ds_read2_b64 v[106:109], v1 offset0:30 offset1:31
	v_add_f64 v[50:51], v[50:51], -v[94:95]
	v_add_f64 v[52:53], v[52:53], -v[98:99]
	s_waitcnt lgkmcnt(0)
	v_mul_f64 v[94:95], v[108:109], v[102:103]
	v_mul_f64 v[98:99], v[106:107], v[102:103]
	v_fma_f64 v[94:95], v[106:107], v[122:123], -v[94:95]
	v_fma_f64 v[98:99], v[108:109], v[122:123], v[98:99]
	ds_read2_b64 v[106:109], v1 offset0:32 offset1:33
	v_add_f64 v[46:47], v[46:47], -v[94:95]
	v_add_f64 v[48:49], v[48:49], -v[98:99]
	s_waitcnt lgkmcnt(0)
	v_mul_f64 v[94:95], v[108:109], v[102:103]
	v_mul_f64 v[98:99], v[106:107], v[102:103]
	v_fma_f64 v[94:95], v[106:107], v[122:123], -v[94:95]
	v_fma_f64 v[98:99], v[108:109], v[122:123], v[98:99]
	ds_read2_b64 v[106:109], v1 offset0:34 offset1:35
	v_add_f64 v[42:43], v[42:43], -v[94:95]
	v_add_f64 v[44:45], v[44:45], -v[98:99]
	s_waitcnt lgkmcnt(0)
	v_mul_f64 v[94:95], v[108:109], v[102:103]
	v_mul_f64 v[98:99], v[106:107], v[102:103]
	v_fma_f64 v[94:95], v[106:107], v[122:123], -v[94:95]
	v_fma_f64 v[98:99], v[108:109], v[122:123], v[98:99]
	ds_read2_b64 v[106:109], v1 offset0:36 offset1:37
	v_add_f64 v[38:39], v[38:39], -v[94:95]
	v_add_f64 v[40:41], v[40:41], -v[98:99]
	s_waitcnt lgkmcnt(0)
	v_mul_f64 v[94:95], v[108:109], v[102:103]
	v_mul_f64 v[98:99], v[106:107], v[102:103]
	v_fma_f64 v[94:95], v[106:107], v[122:123], -v[94:95]
	v_fma_f64 v[98:99], v[108:109], v[122:123], v[98:99]
	ds_read2_b64 v[106:109], v1 offset0:38 offset1:39
	v_add_f64 v[34:35], v[34:35], -v[94:95]
	v_add_f64 v[36:37], v[36:37], -v[98:99]
	s_waitcnt lgkmcnt(0)
	v_mul_f64 v[94:95], v[108:109], v[102:103]
	v_mul_f64 v[98:99], v[106:107], v[102:103]
	v_fma_f64 v[94:95], v[106:107], v[122:123], -v[94:95]
	v_fma_f64 v[98:99], v[108:109], v[122:123], v[98:99]
	ds_read2_b64 v[106:109], v1 offset0:40 offset1:41
	v_add_f64 v[30:31], v[30:31], -v[94:95]
	v_add_f64 v[32:33], v[32:33], -v[98:99]
	s_waitcnt lgkmcnt(0)
	v_mul_f64 v[94:95], v[108:109], v[102:103]
	v_mul_f64 v[98:99], v[106:107], v[102:103]
	v_fma_f64 v[94:95], v[106:107], v[122:123], -v[94:95]
	v_fma_f64 v[98:99], v[108:109], v[122:123], v[98:99]
	ds_read2_b64 v[106:109], v1 offset0:42 offset1:43
	v_add_f64 v[26:27], v[26:27], -v[94:95]
	v_add_f64 v[28:29], v[28:29], -v[98:99]
	s_waitcnt lgkmcnt(0)
	v_mul_f64 v[94:95], v[108:109], v[102:103]
	v_mul_f64 v[98:99], v[106:107], v[102:103]
	v_fma_f64 v[94:95], v[106:107], v[122:123], -v[94:95]
	v_fma_f64 v[98:99], v[108:109], v[122:123], v[98:99]
	ds_read2_b64 v[106:109], v1 offset0:44 offset1:45
	v_add_f64 v[22:23], v[22:23], -v[94:95]
	v_add_f64 v[24:25], v[24:25], -v[98:99]
	s_waitcnt lgkmcnt(0)
	v_mul_f64 v[94:95], v[108:109], v[102:103]
	v_mul_f64 v[98:99], v[106:107], v[102:103]
	v_fma_f64 v[94:95], v[106:107], v[122:123], -v[94:95]
	v_fma_f64 v[98:99], v[108:109], v[122:123], v[98:99]
	ds_read2_b64 v[106:109], v1 offset0:46 offset1:47
	v_add_f64 v[18:19], v[18:19], -v[94:95]
	v_add_f64 v[20:21], v[20:21], -v[98:99]
	s_waitcnt lgkmcnt(0)
	v_mul_f64 v[94:95], v[108:109], v[102:103]
	v_mul_f64 v[98:99], v[106:107], v[102:103]
	v_fma_f64 v[94:95], v[106:107], v[122:123], -v[94:95]
	v_fma_f64 v[98:99], v[108:109], v[122:123], v[98:99]
	ds_read2_b64 v[106:109], v1 offset0:48 offset1:49
	v_add_f64 v[14:15], v[14:15], -v[94:95]
	v_add_f64 v[16:17], v[16:17], -v[98:99]
	s_waitcnt lgkmcnt(0)
	v_mul_f64 v[94:95], v[108:109], v[102:103]
	v_mul_f64 v[98:99], v[106:107], v[102:103]
	v_fma_f64 v[94:95], v[106:107], v[122:123], -v[94:95]
	v_fma_f64 v[98:99], v[108:109], v[122:123], v[98:99]
	ds_read2_b64 v[106:109], v1 offset0:50 offset1:51
	v_add_f64 v[10:11], v[10:11], -v[94:95]
	v_add_f64 v[12:13], v[12:13], -v[98:99]
	s_waitcnt lgkmcnt(0)
	v_mul_f64 v[94:95], v[108:109], v[102:103]
	v_mul_f64 v[98:99], v[106:107], v[102:103]
	v_fma_f64 v[94:95], v[106:107], v[122:123], -v[94:95]
	v_fma_f64 v[98:99], v[108:109], v[122:123], v[98:99]
	ds_read2_b64 v[106:109], v1 offset0:52 offset1:53
	v_add_f64 v[6:7], v[6:7], -v[94:95]
	v_add_f64 v[8:9], v[8:9], -v[98:99]
	s_waitcnt lgkmcnt(0)
	v_mul_f64 v[94:95], v[108:109], v[102:103]
	v_mul_f64 v[98:99], v[106:107], v[102:103]
	v_fma_f64 v[94:95], v[106:107], v[122:123], -v[94:95]
	v_fma_f64 v[98:99], v[108:109], v[122:123], v[98:99]
	ds_read2_b64 v[106:109], v1 offset0:54 offset1:55
	v_add_f64 v[2:3], v[2:3], -v[94:95]
	v_add_f64 v[4:5], v[4:5], -v[98:99]
	s_waitcnt lgkmcnt(0)
	v_mul_f64 v[94:95], v[108:109], v[102:103]
	v_mul_f64 v[98:99], v[106:107], v[102:103]
	buffer_store_dword v100, off, s[28:31], 0 ; 4-byte Folded Spill
	s_nop 0
	buffer_store_dword v101, off, s[28:31], 0 offset:4 ; 4-byte Folded Spill
	buffer_store_dword v102, off, s[28:31], 0 offset:8 ; 4-byte Folded Spill
	buffer_store_dword v103, off, s[28:31], 0 offset:12 ; 4-byte Folded Spill
	v_fma_f64 v[94:95], v[106:107], v[122:123], -v[94:95]
	v_fma_f64 v[98:99], v[108:109], v[122:123], v[98:99]
	v_add_f64 v[110:111], v[110:111], -v[94:95]
	v_add_f64 v[112:113], v[112:113], -v[98:99]
.LBB54_83:
	s_or_b64 exec, exec, s[0:1]
	v_lshl_add_u32 v98, v124, 4, v1
	s_waitcnt vmcnt(0)
	s_barrier
	ds_write2_b64 v98, v[90:91], v[92:93] offset1:1
	s_waitcnt lgkmcnt(0)
	s_barrier
	ds_read2_b64 v[114:117], v1 offset0:8 offset1:9
	s_cmp_lt_i32 s22, 6
	v_mov_b32_e32 v122, 4
	s_cbranch_scc1 .LBB54_86
; %bb.84:
	v_mov_b32_e32 v122, 4
	v_add_u32_e32 v118, 0x50, v1
	s_mov_b32 s0, 5
.LBB54_85:                              ; =>This Inner Loop Header: Depth=1
	s_waitcnt lgkmcnt(0)
	v_cmp_gt_f64_e32 vcc, 0, v[114:115]
	v_xor_b32_e32 v98, 0x80000000, v115
	ds_read2_b64 v[106:109], v118 offset1:1
	v_xor_b32_e32 v100, 0x80000000, v117
	v_add_u32_e32 v118, 16, v118
	s_waitcnt lgkmcnt(0)
	v_xor_b32_e32 v102, 0x80000000, v109
	v_cndmask_b32_e32 v99, v115, v98, vcc
	v_cmp_gt_f64_e32 vcc, 0, v[116:117]
	v_mov_b32_e32 v98, v114
	v_cndmask_b32_e32 v101, v117, v100, vcc
	v_cmp_gt_f64_e32 vcc, 0, v[106:107]
	v_mov_b32_e32 v100, v116
	v_add_f64 v[98:99], v[98:99], v[100:101]
	v_xor_b32_e32 v100, 0x80000000, v107
	v_cndmask_b32_e32 v101, v107, v100, vcc
	v_cmp_gt_f64_e32 vcc, 0, v[108:109]
	v_mov_b32_e32 v100, v106
	v_cndmask_b32_e32 v103, v109, v102, vcc
	v_mov_b32_e32 v102, v108
	v_add_f64 v[100:101], v[100:101], v[102:103]
	v_cmp_lt_f64_e32 vcc, v[98:99], v[100:101]
	v_mov_b32_e32 v98, s0
	s_add_i32 s0, s0, 1
	s_cmp_lg_u32 s22, s0
	v_cndmask_b32_e32 v115, v115, v107, vcc
	v_cndmask_b32_e32 v114, v114, v106, vcc
	;; [unrolled: 1-line block ×5, first 2 shown]
	s_cbranch_scc1 .LBB54_85
.LBB54_86:
	s_waitcnt lgkmcnt(0)
	v_cmp_eq_f64_e32 vcc, 0, v[114:115]
	v_cmp_eq_f64_e64 s[0:1], 0, v[116:117]
	s_and_b64 s[0:1], vcc, s[0:1]
	s_and_saveexec_b64 s[8:9], s[0:1]
	s_xor_b64 s[0:1], exec, s[8:9]
; %bb.87:
	v_cmp_ne_u32_e32 vcc, 0, v120
	v_cndmask_b32_e32 v120, 5, v120, vcc
; %bb.88:
	s_andn2_saveexec_b64 s[0:1], s[0:1]
	s_cbranch_execz .LBB54_94
; %bb.89:
	v_cmp_ngt_f64_e64 s[8:9], |v[114:115]|, |v[116:117]|
	s_and_saveexec_b64 s[20:21], s[8:9]
	s_xor_b64 s[8:9], exec, s[20:21]
	s_cbranch_execz .LBB54_91
; %bb.90:
	v_div_scale_f64 v[98:99], s[20:21], v[116:117], v[116:117], v[114:115]
	v_rcp_f64_e32 v[100:101], v[98:99]
	v_fma_f64 v[102:103], -v[98:99], v[100:101], 1.0
	v_fma_f64 v[100:101], v[100:101], v[102:103], v[100:101]
	v_div_scale_f64 v[102:103], vcc, v[114:115], v[116:117], v[114:115]
	v_fma_f64 v[104:105], -v[98:99], v[100:101], 1.0
	v_fma_f64 v[100:101], v[100:101], v[104:105], v[100:101]
	v_mul_f64 v[104:105], v[102:103], v[100:101]
	v_fma_f64 v[98:99], -v[98:99], v[104:105], v[102:103]
	v_div_fmas_f64 v[98:99], v[98:99], v[100:101], v[104:105]
	v_div_fixup_f64 v[98:99], v[98:99], v[116:117], v[114:115]
	v_fma_f64 v[100:101], v[114:115], v[98:99], v[116:117]
	v_div_scale_f64 v[102:103], s[20:21], v[100:101], v[100:101], 1.0
	v_div_scale_f64 v[108:109], vcc, 1.0, v[100:101], 1.0
	v_rcp_f64_e32 v[104:105], v[102:103]
	v_fma_f64 v[106:107], -v[102:103], v[104:105], 1.0
	v_fma_f64 v[104:105], v[104:105], v[106:107], v[104:105]
	v_fma_f64 v[106:107], -v[102:103], v[104:105], 1.0
	v_fma_f64 v[104:105], v[104:105], v[106:107], v[104:105]
	v_mul_f64 v[106:107], v[108:109], v[104:105]
	v_fma_f64 v[102:103], -v[102:103], v[106:107], v[108:109]
	v_div_fmas_f64 v[102:103], v[102:103], v[104:105], v[106:107]
	v_div_fixup_f64 v[116:117], v[102:103], v[100:101], 1.0
	v_mul_f64 v[114:115], v[98:99], v[116:117]
	v_xor_b32_e32 v117, 0x80000000, v117
.LBB54_91:
	s_andn2_saveexec_b64 s[8:9], s[8:9]
	s_cbranch_execz .LBB54_93
; %bb.92:
	v_div_scale_f64 v[98:99], s[20:21], v[114:115], v[114:115], v[116:117]
	v_rcp_f64_e32 v[100:101], v[98:99]
	v_fma_f64 v[102:103], -v[98:99], v[100:101], 1.0
	v_fma_f64 v[100:101], v[100:101], v[102:103], v[100:101]
	v_div_scale_f64 v[102:103], vcc, v[116:117], v[114:115], v[116:117]
	v_fma_f64 v[104:105], -v[98:99], v[100:101], 1.0
	v_fma_f64 v[100:101], v[100:101], v[104:105], v[100:101]
	v_mul_f64 v[104:105], v[102:103], v[100:101]
	v_fma_f64 v[98:99], -v[98:99], v[104:105], v[102:103]
	v_div_fmas_f64 v[98:99], v[98:99], v[100:101], v[104:105]
	v_div_fixup_f64 v[98:99], v[98:99], v[114:115], v[116:117]
	v_fma_f64 v[100:101], v[116:117], v[98:99], v[114:115]
	v_div_scale_f64 v[102:103], s[20:21], v[100:101], v[100:101], 1.0
	v_div_scale_f64 v[108:109], vcc, 1.0, v[100:101], 1.0
	v_rcp_f64_e32 v[104:105], v[102:103]
	v_fma_f64 v[106:107], -v[102:103], v[104:105], 1.0
	v_fma_f64 v[104:105], v[104:105], v[106:107], v[104:105]
	v_fma_f64 v[106:107], -v[102:103], v[104:105], 1.0
	v_fma_f64 v[104:105], v[104:105], v[106:107], v[104:105]
	v_mul_f64 v[106:107], v[108:109], v[104:105]
	v_fma_f64 v[102:103], -v[102:103], v[106:107], v[108:109]
	v_div_fmas_f64 v[102:103], v[102:103], v[104:105], v[106:107]
	v_div_fixup_f64 v[114:115], v[102:103], v[100:101], 1.0
	v_mul_f64 v[116:117], v[98:99], -v[114:115]
.LBB54_93:
	s_or_b64 exec, exec, s[8:9]
.LBB54_94:
	s_or_b64 exec, exec, s[0:1]
	v_cmp_ne_u32_e32 vcc, v124, v122
	s_and_saveexec_b64 s[0:1], vcc
	s_xor_b64 s[0:1], exec, s[0:1]
	s_cbranch_execz .LBB54_100
; %bb.95:
	v_cmp_eq_u32_e32 vcc, 4, v124
	s_and_saveexec_b64 s[8:9], vcc
	s_cbranch_execz .LBB54_99
; %bb.96:
	v_cmp_ne_u32_e32 vcc, 4, v122
	s_xor_b64 s[20:21], s[18:19], -1
	s_and_b64 s[24:25], s[20:21], vcc
	s_and_saveexec_b64 s[20:21], s[24:25]
	s_cbranch_execz .LBB54_98
; %bb.97:
	buffer_load_dword v94, off, s[28:31], 0 offset:48 ; 4-byte Folded Reload
	buffer_load_dword v95, off, s[28:31], 0 offset:52 ; 4-byte Folded Reload
	v_ashrrev_i32_e32 v123, 31, v122
	v_lshlrev_b64 v[98:99], 2, v[122:123]
	s_waitcnt vmcnt(1)
	v_add_co_u32_e32 v98, vcc, v94, v98
	s_waitcnt vmcnt(0)
	v_addc_co_u32_e32 v99, vcc, v95, v99, vcc
	global_load_dword v0, v[98:99], off
	global_load_dword v100, v[94:95], off offset:16
	s_waitcnt vmcnt(1)
	global_store_dword v[94:95], v0, off offset:16
	s_waitcnt vmcnt(1)
	global_store_dword v[98:99], v100, off
.LBB54_98:
	s_or_b64 exec, exec, s[20:21]
	v_mov_b32_e32 v124, v122
	v_mov_b32_e32 v0, v122
.LBB54_99:
	s_or_b64 exec, exec, s[8:9]
.LBB54_100:
	s_andn2_saveexec_b64 s[0:1], s[0:1]
	s_cbranch_execz .LBB54_102
; %bb.101:
	v_mov_b32_e32 v124, 4
	ds_write2_b64 v1, v[86:87], v[88:89] offset0:10 offset1:11
	ds_write2_b64 v1, v[82:83], v[84:85] offset0:12 offset1:13
	;; [unrolled: 1-line block ×23, first 2 shown]
.LBB54_102:
	s_or_b64 exec, exec, s[0:1]
	v_cmp_lt_i32_e32 vcc, 4, v124
	s_waitcnt vmcnt(0) lgkmcnt(0)
	s_barrier
	s_and_saveexec_b64 s[0:1], vcc
	s_cbranch_execz .LBB54_104
; %bb.103:
	v_mul_f64 v[98:99], v[116:117], v[92:93]
	v_mul_f64 v[92:93], v[114:115], v[92:93]
	ds_read2_b64 v[106:109], v1 offset0:10 offset1:11
	v_fma_f64 v[122:123], v[114:115], v[90:91], -v[98:99]
	v_fma_f64 v[92:93], v[116:117], v[90:91], v[92:93]
	s_waitcnt lgkmcnt(0)
	v_mul_f64 v[90:91], v[108:109], v[92:93]
	v_mul_f64 v[98:99], v[106:107], v[92:93]
	v_fma_f64 v[90:91], v[106:107], v[122:123], -v[90:91]
	v_fma_f64 v[98:99], v[108:109], v[122:123], v[98:99]
	ds_read2_b64 v[106:109], v1 offset0:12 offset1:13
	v_add_f64 v[86:87], v[86:87], -v[90:91]
	v_add_f64 v[88:89], v[88:89], -v[98:99]
	s_waitcnt lgkmcnt(0)
	v_mul_f64 v[90:91], v[108:109], v[92:93]
	v_mul_f64 v[98:99], v[106:107], v[92:93]
	v_fma_f64 v[90:91], v[106:107], v[122:123], -v[90:91]
	v_fma_f64 v[98:99], v[108:109], v[122:123], v[98:99]
	ds_read2_b64 v[106:109], v1 offset0:14 offset1:15
	v_add_f64 v[82:83], v[82:83], -v[90:91]
	v_add_f64 v[84:85], v[84:85], -v[98:99]
	;; [unrolled: 8-line block ×22, first 2 shown]
	s_waitcnt lgkmcnt(0)
	v_mul_f64 v[90:91], v[108:109], v[92:93]
	v_mul_f64 v[98:99], v[106:107], v[92:93]
	v_fma_f64 v[90:91], v[106:107], v[122:123], -v[90:91]
	v_fma_f64 v[98:99], v[108:109], v[122:123], v[98:99]
	v_add_f64 v[110:111], v[110:111], -v[90:91]
	v_add_f64 v[112:113], v[112:113], -v[98:99]
	v_mov_b32_e32 v90, v122
	v_mov_b32_e32 v91, v123
.LBB54_104:
	s_or_b64 exec, exec, s[0:1]
	v_lshl_add_u32 v98, v124, 4, v1
	s_barrier
	ds_write2_b64 v98, v[86:87], v[88:89] offset1:1
	s_waitcnt lgkmcnt(0)
	s_barrier
	ds_read2_b64 v[114:117], v1 offset0:10 offset1:11
	s_cmp_lt_i32 s22, 7
	v_mov_b32_e32 v122, 5
	s_cbranch_scc1 .LBB54_107
; %bb.105:
	v_add_u32_e32 v118, 0x60, v1
	s_mov_b32 s0, 6
	v_mov_b32_e32 v122, 5
.LBB54_106:                             ; =>This Inner Loop Header: Depth=1
	s_waitcnt lgkmcnt(0)
	v_cmp_gt_f64_e32 vcc, 0, v[114:115]
	v_xor_b32_e32 v98, 0x80000000, v115
	ds_read2_b64 v[106:109], v118 offset1:1
	v_xor_b32_e32 v100, 0x80000000, v117
	v_add_u32_e32 v118, 16, v118
	s_waitcnt lgkmcnt(0)
	v_xor_b32_e32 v102, 0x80000000, v109
	v_cndmask_b32_e32 v99, v115, v98, vcc
	v_cmp_gt_f64_e32 vcc, 0, v[116:117]
	v_mov_b32_e32 v98, v114
	v_cndmask_b32_e32 v101, v117, v100, vcc
	v_cmp_gt_f64_e32 vcc, 0, v[106:107]
	v_mov_b32_e32 v100, v116
	v_add_f64 v[98:99], v[98:99], v[100:101]
	v_xor_b32_e32 v100, 0x80000000, v107
	v_cndmask_b32_e32 v101, v107, v100, vcc
	v_cmp_gt_f64_e32 vcc, 0, v[108:109]
	v_mov_b32_e32 v100, v106
	v_cndmask_b32_e32 v103, v109, v102, vcc
	v_mov_b32_e32 v102, v108
	v_add_f64 v[100:101], v[100:101], v[102:103]
	v_cmp_lt_f64_e32 vcc, v[98:99], v[100:101]
	v_mov_b32_e32 v98, s0
	s_add_i32 s0, s0, 1
	s_cmp_lg_u32 s22, s0
	v_cndmask_b32_e32 v115, v115, v107, vcc
	v_cndmask_b32_e32 v114, v114, v106, vcc
	;; [unrolled: 1-line block ×5, first 2 shown]
	s_cbranch_scc1 .LBB54_106
.LBB54_107:
	s_waitcnt lgkmcnt(0)
	v_cmp_eq_f64_e32 vcc, 0, v[114:115]
	v_cmp_eq_f64_e64 s[0:1], 0, v[116:117]
	s_and_b64 s[0:1], vcc, s[0:1]
	s_and_saveexec_b64 s[8:9], s[0:1]
	s_xor_b64 s[0:1], exec, s[8:9]
; %bb.108:
	v_cmp_ne_u32_e32 vcc, 0, v120
	v_cndmask_b32_e32 v120, 6, v120, vcc
; %bb.109:
	s_andn2_saveexec_b64 s[0:1], s[0:1]
	s_cbranch_execz .LBB54_115
; %bb.110:
	v_cmp_ngt_f64_e64 s[8:9], |v[114:115]|, |v[116:117]|
	s_and_saveexec_b64 s[20:21], s[8:9]
	s_xor_b64 s[8:9], exec, s[20:21]
	s_cbranch_execz .LBB54_112
; %bb.111:
	v_div_scale_f64 v[98:99], s[20:21], v[116:117], v[116:117], v[114:115]
	v_rcp_f64_e32 v[100:101], v[98:99]
	v_fma_f64 v[102:103], -v[98:99], v[100:101], 1.0
	v_fma_f64 v[100:101], v[100:101], v[102:103], v[100:101]
	v_div_scale_f64 v[102:103], vcc, v[114:115], v[116:117], v[114:115]
	v_fma_f64 v[104:105], -v[98:99], v[100:101], 1.0
	v_fma_f64 v[100:101], v[100:101], v[104:105], v[100:101]
	v_mul_f64 v[104:105], v[102:103], v[100:101]
	v_fma_f64 v[98:99], -v[98:99], v[104:105], v[102:103]
	v_div_fmas_f64 v[98:99], v[98:99], v[100:101], v[104:105]
	v_div_fixup_f64 v[98:99], v[98:99], v[116:117], v[114:115]
	v_fma_f64 v[100:101], v[114:115], v[98:99], v[116:117]
	v_div_scale_f64 v[102:103], s[20:21], v[100:101], v[100:101], 1.0
	v_div_scale_f64 v[108:109], vcc, 1.0, v[100:101], 1.0
	v_rcp_f64_e32 v[104:105], v[102:103]
	v_fma_f64 v[106:107], -v[102:103], v[104:105], 1.0
	v_fma_f64 v[104:105], v[104:105], v[106:107], v[104:105]
	v_fma_f64 v[106:107], -v[102:103], v[104:105], 1.0
	v_fma_f64 v[104:105], v[104:105], v[106:107], v[104:105]
	v_mul_f64 v[106:107], v[108:109], v[104:105]
	v_fma_f64 v[102:103], -v[102:103], v[106:107], v[108:109]
	v_div_fmas_f64 v[102:103], v[102:103], v[104:105], v[106:107]
	v_div_fixup_f64 v[116:117], v[102:103], v[100:101], 1.0
	v_mul_f64 v[114:115], v[98:99], v[116:117]
	v_xor_b32_e32 v117, 0x80000000, v117
.LBB54_112:
	s_andn2_saveexec_b64 s[8:9], s[8:9]
	s_cbranch_execz .LBB54_114
; %bb.113:
	v_div_scale_f64 v[98:99], s[20:21], v[114:115], v[114:115], v[116:117]
	v_rcp_f64_e32 v[100:101], v[98:99]
	v_fma_f64 v[102:103], -v[98:99], v[100:101], 1.0
	v_fma_f64 v[100:101], v[100:101], v[102:103], v[100:101]
	v_div_scale_f64 v[102:103], vcc, v[116:117], v[114:115], v[116:117]
	v_fma_f64 v[104:105], -v[98:99], v[100:101], 1.0
	v_fma_f64 v[100:101], v[100:101], v[104:105], v[100:101]
	v_mul_f64 v[104:105], v[102:103], v[100:101]
	v_fma_f64 v[98:99], -v[98:99], v[104:105], v[102:103]
	v_div_fmas_f64 v[98:99], v[98:99], v[100:101], v[104:105]
	v_div_fixup_f64 v[98:99], v[98:99], v[114:115], v[116:117]
	v_fma_f64 v[100:101], v[116:117], v[98:99], v[114:115]
	v_div_scale_f64 v[102:103], s[20:21], v[100:101], v[100:101], 1.0
	v_div_scale_f64 v[108:109], vcc, 1.0, v[100:101], 1.0
	v_rcp_f64_e32 v[104:105], v[102:103]
	v_fma_f64 v[106:107], -v[102:103], v[104:105], 1.0
	v_fma_f64 v[104:105], v[104:105], v[106:107], v[104:105]
	v_fma_f64 v[106:107], -v[102:103], v[104:105], 1.0
	v_fma_f64 v[104:105], v[104:105], v[106:107], v[104:105]
	v_mul_f64 v[106:107], v[108:109], v[104:105]
	v_fma_f64 v[102:103], -v[102:103], v[106:107], v[108:109]
	v_div_fmas_f64 v[102:103], v[102:103], v[104:105], v[106:107]
	v_div_fixup_f64 v[114:115], v[102:103], v[100:101], 1.0
	v_mul_f64 v[116:117], v[98:99], -v[114:115]
.LBB54_114:
	s_or_b64 exec, exec, s[8:9]
.LBB54_115:
	s_or_b64 exec, exec, s[0:1]
	v_cmp_ne_u32_e32 vcc, v124, v122
	s_and_saveexec_b64 s[0:1], vcc
	s_xor_b64 s[0:1], exec, s[0:1]
	s_cbranch_execz .LBB54_121
; %bb.116:
	v_cmp_eq_u32_e32 vcc, 5, v124
	s_and_saveexec_b64 s[8:9], vcc
	s_cbranch_execz .LBB54_120
; %bb.117:
	v_cmp_ne_u32_e32 vcc, 5, v122
	s_xor_b64 s[20:21], s[18:19], -1
	s_and_b64 s[24:25], s[20:21], vcc
	s_and_saveexec_b64 s[20:21], s[24:25]
	s_cbranch_execz .LBB54_119
; %bb.118:
	buffer_load_dword v94, off, s[28:31], 0 offset:48 ; 4-byte Folded Reload
	buffer_load_dword v95, off, s[28:31], 0 offset:52 ; 4-byte Folded Reload
	v_ashrrev_i32_e32 v123, 31, v122
	v_lshlrev_b64 v[98:99], 2, v[122:123]
	s_waitcnt vmcnt(1)
	v_add_co_u32_e32 v98, vcc, v94, v98
	s_waitcnt vmcnt(0)
	v_addc_co_u32_e32 v99, vcc, v95, v99, vcc
	global_load_dword v0, v[98:99], off
	global_load_dword v100, v[94:95], off offset:20
	s_waitcnt vmcnt(1)
	global_store_dword v[94:95], v0, off offset:20
	s_waitcnt vmcnt(1)
	global_store_dword v[98:99], v100, off
.LBB54_119:
	s_or_b64 exec, exec, s[20:21]
	v_mov_b32_e32 v124, v122
	v_mov_b32_e32 v0, v122
.LBB54_120:
	s_or_b64 exec, exec, s[8:9]
.LBB54_121:
	s_andn2_saveexec_b64 s[0:1], s[0:1]
	s_cbranch_execz .LBB54_123
; %bb.122:
	v_mov_b32_e32 v124, 5
	ds_write2_b64 v1, v[82:83], v[84:85] offset0:12 offset1:13
	ds_write2_b64 v1, v[78:79], v[80:81] offset0:14 offset1:15
	;; [unrolled: 1-line block ×22, first 2 shown]
.LBB54_123:
	s_or_b64 exec, exec, s[0:1]
	v_cmp_lt_i32_e32 vcc, 5, v124
	s_waitcnt vmcnt(0) lgkmcnt(0)
	s_barrier
	s_and_saveexec_b64 s[0:1], vcc
	s_cbranch_execz .LBB54_125
; %bb.124:
	v_mul_f64 v[98:99], v[116:117], v[88:89]
	v_mul_f64 v[88:89], v[114:115], v[88:89]
	ds_read2_b64 v[106:109], v1 offset0:12 offset1:13
	v_fma_f64 v[122:123], v[114:115], v[86:87], -v[98:99]
	v_fma_f64 v[88:89], v[116:117], v[86:87], v[88:89]
	s_waitcnt lgkmcnt(0)
	v_mul_f64 v[86:87], v[108:109], v[88:89]
	v_mul_f64 v[98:99], v[106:107], v[88:89]
	v_fma_f64 v[86:87], v[106:107], v[122:123], -v[86:87]
	v_fma_f64 v[98:99], v[108:109], v[122:123], v[98:99]
	ds_read2_b64 v[106:109], v1 offset0:14 offset1:15
	v_add_f64 v[82:83], v[82:83], -v[86:87]
	v_add_f64 v[84:85], v[84:85], -v[98:99]
	s_waitcnt lgkmcnt(0)
	v_mul_f64 v[86:87], v[108:109], v[88:89]
	v_mul_f64 v[98:99], v[106:107], v[88:89]
	v_fma_f64 v[86:87], v[106:107], v[122:123], -v[86:87]
	v_fma_f64 v[98:99], v[108:109], v[122:123], v[98:99]
	ds_read2_b64 v[106:109], v1 offset0:16 offset1:17
	v_add_f64 v[78:79], v[78:79], -v[86:87]
	v_add_f64 v[80:81], v[80:81], -v[98:99]
	s_waitcnt lgkmcnt(0)
	v_mul_f64 v[86:87], v[108:109], v[88:89]
	v_mul_f64 v[98:99], v[106:107], v[88:89]
	v_fma_f64 v[86:87], v[106:107], v[122:123], -v[86:87]
	v_fma_f64 v[98:99], v[108:109], v[122:123], v[98:99]
	ds_read2_b64 v[106:109], v1 offset0:18 offset1:19
	v_add_f64 v[74:75], v[74:75], -v[86:87]
	v_add_f64 v[76:77], v[76:77], -v[98:99]
	s_waitcnt lgkmcnt(0)
	v_mul_f64 v[86:87], v[108:109], v[88:89]
	v_mul_f64 v[98:99], v[106:107], v[88:89]
	v_fma_f64 v[86:87], v[106:107], v[122:123], -v[86:87]
	v_fma_f64 v[98:99], v[108:109], v[122:123], v[98:99]
	ds_read2_b64 v[106:109], v1 offset0:20 offset1:21
	v_add_f64 v[70:71], v[70:71], -v[86:87]
	v_add_f64 v[72:73], v[72:73], -v[98:99]
	s_waitcnt lgkmcnt(0)
	v_mul_f64 v[86:87], v[108:109], v[88:89]
	v_mul_f64 v[98:99], v[106:107], v[88:89]
	v_fma_f64 v[86:87], v[106:107], v[122:123], -v[86:87]
	v_fma_f64 v[98:99], v[108:109], v[122:123], v[98:99]
	ds_read2_b64 v[106:109], v1 offset0:22 offset1:23
	v_add_f64 v[66:67], v[66:67], -v[86:87]
	v_add_f64 v[68:69], v[68:69], -v[98:99]
	s_waitcnt lgkmcnt(0)
	v_mul_f64 v[86:87], v[108:109], v[88:89]
	v_mul_f64 v[98:99], v[106:107], v[88:89]
	v_fma_f64 v[86:87], v[106:107], v[122:123], -v[86:87]
	v_fma_f64 v[98:99], v[108:109], v[122:123], v[98:99]
	ds_read2_b64 v[106:109], v1 offset0:24 offset1:25
	v_add_f64 v[62:63], v[62:63], -v[86:87]
	v_add_f64 v[64:65], v[64:65], -v[98:99]
	s_waitcnt lgkmcnt(0)
	v_mul_f64 v[86:87], v[108:109], v[88:89]
	v_mul_f64 v[98:99], v[106:107], v[88:89]
	v_fma_f64 v[86:87], v[106:107], v[122:123], -v[86:87]
	v_fma_f64 v[98:99], v[108:109], v[122:123], v[98:99]
	ds_read2_b64 v[106:109], v1 offset0:26 offset1:27
	v_add_f64 v[58:59], v[58:59], -v[86:87]
	v_add_f64 v[60:61], v[60:61], -v[98:99]
	s_waitcnt lgkmcnt(0)
	v_mul_f64 v[86:87], v[108:109], v[88:89]
	v_mul_f64 v[98:99], v[106:107], v[88:89]
	v_fma_f64 v[86:87], v[106:107], v[122:123], -v[86:87]
	v_fma_f64 v[98:99], v[108:109], v[122:123], v[98:99]
	ds_read2_b64 v[106:109], v1 offset0:28 offset1:29
	v_add_f64 v[54:55], v[54:55], -v[86:87]
	v_add_f64 v[56:57], v[56:57], -v[98:99]
	s_waitcnt lgkmcnt(0)
	v_mul_f64 v[86:87], v[108:109], v[88:89]
	v_mul_f64 v[98:99], v[106:107], v[88:89]
	v_fma_f64 v[86:87], v[106:107], v[122:123], -v[86:87]
	v_fma_f64 v[98:99], v[108:109], v[122:123], v[98:99]
	ds_read2_b64 v[106:109], v1 offset0:30 offset1:31
	v_add_f64 v[50:51], v[50:51], -v[86:87]
	v_add_f64 v[52:53], v[52:53], -v[98:99]
	s_waitcnt lgkmcnt(0)
	v_mul_f64 v[86:87], v[108:109], v[88:89]
	v_mul_f64 v[98:99], v[106:107], v[88:89]
	v_fma_f64 v[86:87], v[106:107], v[122:123], -v[86:87]
	v_fma_f64 v[98:99], v[108:109], v[122:123], v[98:99]
	ds_read2_b64 v[106:109], v1 offset0:32 offset1:33
	v_add_f64 v[46:47], v[46:47], -v[86:87]
	v_add_f64 v[48:49], v[48:49], -v[98:99]
	s_waitcnt lgkmcnt(0)
	v_mul_f64 v[86:87], v[108:109], v[88:89]
	v_mul_f64 v[98:99], v[106:107], v[88:89]
	v_fma_f64 v[86:87], v[106:107], v[122:123], -v[86:87]
	v_fma_f64 v[98:99], v[108:109], v[122:123], v[98:99]
	ds_read2_b64 v[106:109], v1 offset0:34 offset1:35
	v_add_f64 v[42:43], v[42:43], -v[86:87]
	v_add_f64 v[44:45], v[44:45], -v[98:99]
	s_waitcnt lgkmcnt(0)
	v_mul_f64 v[86:87], v[108:109], v[88:89]
	v_mul_f64 v[98:99], v[106:107], v[88:89]
	v_fma_f64 v[86:87], v[106:107], v[122:123], -v[86:87]
	v_fma_f64 v[98:99], v[108:109], v[122:123], v[98:99]
	ds_read2_b64 v[106:109], v1 offset0:36 offset1:37
	v_add_f64 v[38:39], v[38:39], -v[86:87]
	v_add_f64 v[40:41], v[40:41], -v[98:99]
	s_waitcnt lgkmcnt(0)
	v_mul_f64 v[86:87], v[108:109], v[88:89]
	v_mul_f64 v[98:99], v[106:107], v[88:89]
	v_fma_f64 v[86:87], v[106:107], v[122:123], -v[86:87]
	v_fma_f64 v[98:99], v[108:109], v[122:123], v[98:99]
	ds_read2_b64 v[106:109], v1 offset0:38 offset1:39
	v_add_f64 v[34:35], v[34:35], -v[86:87]
	v_add_f64 v[36:37], v[36:37], -v[98:99]
	s_waitcnt lgkmcnt(0)
	v_mul_f64 v[86:87], v[108:109], v[88:89]
	v_mul_f64 v[98:99], v[106:107], v[88:89]
	v_fma_f64 v[86:87], v[106:107], v[122:123], -v[86:87]
	v_fma_f64 v[98:99], v[108:109], v[122:123], v[98:99]
	ds_read2_b64 v[106:109], v1 offset0:40 offset1:41
	v_add_f64 v[30:31], v[30:31], -v[86:87]
	v_add_f64 v[32:33], v[32:33], -v[98:99]
	s_waitcnt lgkmcnt(0)
	v_mul_f64 v[86:87], v[108:109], v[88:89]
	v_mul_f64 v[98:99], v[106:107], v[88:89]
	v_fma_f64 v[86:87], v[106:107], v[122:123], -v[86:87]
	v_fma_f64 v[98:99], v[108:109], v[122:123], v[98:99]
	ds_read2_b64 v[106:109], v1 offset0:42 offset1:43
	v_add_f64 v[26:27], v[26:27], -v[86:87]
	v_add_f64 v[28:29], v[28:29], -v[98:99]
	s_waitcnt lgkmcnt(0)
	v_mul_f64 v[86:87], v[108:109], v[88:89]
	v_mul_f64 v[98:99], v[106:107], v[88:89]
	v_fma_f64 v[86:87], v[106:107], v[122:123], -v[86:87]
	v_fma_f64 v[98:99], v[108:109], v[122:123], v[98:99]
	ds_read2_b64 v[106:109], v1 offset0:44 offset1:45
	v_add_f64 v[22:23], v[22:23], -v[86:87]
	v_add_f64 v[24:25], v[24:25], -v[98:99]
	s_waitcnt lgkmcnt(0)
	v_mul_f64 v[86:87], v[108:109], v[88:89]
	v_mul_f64 v[98:99], v[106:107], v[88:89]
	v_fma_f64 v[86:87], v[106:107], v[122:123], -v[86:87]
	v_fma_f64 v[98:99], v[108:109], v[122:123], v[98:99]
	ds_read2_b64 v[106:109], v1 offset0:46 offset1:47
	v_add_f64 v[18:19], v[18:19], -v[86:87]
	v_add_f64 v[20:21], v[20:21], -v[98:99]
	s_waitcnt lgkmcnt(0)
	v_mul_f64 v[86:87], v[108:109], v[88:89]
	v_mul_f64 v[98:99], v[106:107], v[88:89]
	v_fma_f64 v[86:87], v[106:107], v[122:123], -v[86:87]
	v_fma_f64 v[98:99], v[108:109], v[122:123], v[98:99]
	ds_read2_b64 v[106:109], v1 offset0:48 offset1:49
	v_add_f64 v[14:15], v[14:15], -v[86:87]
	v_add_f64 v[16:17], v[16:17], -v[98:99]
	s_waitcnt lgkmcnt(0)
	v_mul_f64 v[86:87], v[108:109], v[88:89]
	v_mul_f64 v[98:99], v[106:107], v[88:89]
	v_fma_f64 v[86:87], v[106:107], v[122:123], -v[86:87]
	v_fma_f64 v[98:99], v[108:109], v[122:123], v[98:99]
	ds_read2_b64 v[106:109], v1 offset0:50 offset1:51
	v_add_f64 v[10:11], v[10:11], -v[86:87]
	v_add_f64 v[12:13], v[12:13], -v[98:99]
	s_waitcnt lgkmcnt(0)
	v_mul_f64 v[86:87], v[108:109], v[88:89]
	v_mul_f64 v[98:99], v[106:107], v[88:89]
	v_fma_f64 v[86:87], v[106:107], v[122:123], -v[86:87]
	v_fma_f64 v[98:99], v[108:109], v[122:123], v[98:99]
	ds_read2_b64 v[106:109], v1 offset0:52 offset1:53
	v_add_f64 v[6:7], v[6:7], -v[86:87]
	v_add_f64 v[8:9], v[8:9], -v[98:99]
	s_waitcnt lgkmcnt(0)
	v_mul_f64 v[86:87], v[108:109], v[88:89]
	v_mul_f64 v[98:99], v[106:107], v[88:89]
	v_fma_f64 v[86:87], v[106:107], v[122:123], -v[86:87]
	v_fma_f64 v[98:99], v[108:109], v[122:123], v[98:99]
	ds_read2_b64 v[106:109], v1 offset0:54 offset1:55
	v_add_f64 v[2:3], v[2:3], -v[86:87]
	v_add_f64 v[4:5], v[4:5], -v[98:99]
	s_waitcnt lgkmcnt(0)
	v_mul_f64 v[86:87], v[108:109], v[88:89]
	v_mul_f64 v[98:99], v[106:107], v[88:89]
	v_fma_f64 v[86:87], v[106:107], v[122:123], -v[86:87]
	v_fma_f64 v[98:99], v[108:109], v[122:123], v[98:99]
	v_add_f64 v[110:111], v[110:111], -v[86:87]
	v_add_f64 v[112:113], v[112:113], -v[98:99]
	v_mov_b32_e32 v86, v122
	v_mov_b32_e32 v87, v123
.LBB54_125:
	s_or_b64 exec, exec, s[0:1]
	v_lshl_add_u32 v98, v124, 4, v1
	s_barrier
	ds_write2_b64 v98, v[82:83], v[84:85] offset1:1
	s_waitcnt lgkmcnt(0)
	s_barrier
	ds_read2_b64 v[114:117], v1 offset0:12 offset1:13
	s_cmp_lt_i32 s22, 8
	v_mov_b32_e32 v122, 6
	s_cbranch_scc1 .LBB54_128
; %bb.126:
	v_add_u32_e32 v118, 0x70, v1
	s_mov_b32 s0, 7
	v_mov_b32_e32 v122, 6
.LBB54_127:                             ; =>This Inner Loop Header: Depth=1
	s_waitcnt lgkmcnt(0)
	v_cmp_gt_f64_e32 vcc, 0, v[114:115]
	v_xor_b32_e32 v98, 0x80000000, v115
	ds_read2_b64 v[106:109], v118 offset1:1
	v_xor_b32_e32 v100, 0x80000000, v117
	v_add_u32_e32 v118, 16, v118
	s_waitcnt lgkmcnt(0)
	v_xor_b32_e32 v102, 0x80000000, v109
	v_cndmask_b32_e32 v99, v115, v98, vcc
	v_cmp_gt_f64_e32 vcc, 0, v[116:117]
	v_mov_b32_e32 v98, v114
	v_cndmask_b32_e32 v101, v117, v100, vcc
	v_cmp_gt_f64_e32 vcc, 0, v[106:107]
	v_mov_b32_e32 v100, v116
	v_add_f64 v[98:99], v[98:99], v[100:101]
	v_xor_b32_e32 v100, 0x80000000, v107
	v_cndmask_b32_e32 v101, v107, v100, vcc
	v_cmp_gt_f64_e32 vcc, 0, v[108:109]
	v_mov_b32_e32 v100, v106
	v_cndmask_b32_e32 v103, v109, v102, vcc
	v_mov_b32_e32 v102, v108
	v_add_f64 v[100:101], v[100:101], v[102:103]
	v_cmp_lt_f64_e32 vcc, v[98:99], v[100:101]
	v_mov_b32_e32 v98, s0
	s_add_i32 s0, s0, 1
	s_cmp_lg_u32 s22, s0
	v_cndmask_b32_e32 v115, v115, v107, vcc
	v_cndmask_b32_e32 v114, v114, v106, vcc
	;; [unrolled: 1-line block ×5, first 2 shown]
	s_cbranch_scc1 .LBB54_127
.LBB54_128:
	s_waitcnt lgkmcnt(0)
	v_cmp_eq_f64_e32 vcc, 0, v[114:115]
	v_cmp_eq_f64_e64 s[0:1], 0, v[116:117]
	s_and_b64 s[0:1], vcc, s[0:1]
	s_and_saveexec_b64 s[8:9], s[0:1]
	s_xor_b64 s[0:1], exec, s[8:9]
; %bb.129:
	v_cmp_ne_u32_e32 vcc, 0, v120
	v_cndmask_b32_e32 v120, 7, v120, vcc
; %bb.130:
	s_andn2_saveexec_b64 s[0:1], s[0:1]
	s_cbranch_execz .LBB54_136
; %bb.131:
	v_cmp_ngt_f64_e64 s[8:9], |v[114:115]|, |v[116:117]|
	s_and_saveexec_b64 s[20:21], s[8:9]
	s_xor_b64 s[8:9], exec, s[20:21]
	s_cbranch_execz .LBB54_133
; %bb.132:
	v_div_scale_f64 v[98:99], s[20:21], v[116:117], v[116:117], v[114:115]
	v_rcp_f64_e32 v[100:101], v[98:99]
	v_fma_f64 v[102:103], -v[98:99], v[100:101], 1.0
	v_fma_f64 v[100:101], v[100:101], v[102:103], v[100:101]
	v_div_scale_f64 v[102:103], vcc, v[114:115], v[116:117], v[114:115]
	v_fma_f64 v[104:105], -v[98:99], v[100:101], 1.0
	v_fma_f64 v[100:101], v[100:101], v[104:105], v[100:101]
	v_mul_f64 v[104:105], v[102:103], v[100:101]
	v_fma_f64 v[98:99], -v[98:99], v[104:105], v[102:103]
	v_div_fmas_f64 v[98:99], v[98:99], v[100:101], v[104:105]
	v_div_fixup_f64 v[98:99], v[98:99], v[116:117], v[114:115]
	v_fma_f64 v[100:101], v[114:115], v[98:99], v[116:117]
	v_div_scale_f64 v[102:103], s[20:21], v[100:101], v[100:101], 1.0
	v_div_scale_f64 v[108:109], vcc, 1.0, v[100:101], 1.0
	v_rcp_f64_e32 v[104:105], v[102:103]
	v_fma_f64 v[106:107], -v[102:103], v[104:105], 1.0
	v_fma_f64 v[104:105], v[104:105], v[106:107], v[104:105]
	v_fma_f64 v[106:107], -v[102:103], v[104:105], 1.0
	v_fma_f64 v[104:105], v[104:105], v[106:107], v[104:105]
	v_mul_f64 v[106:107], v[108:109], v[104:105]
	v_fma_f64 v[102:103], -v[102:103], v[106:107], v[108:109]
	v_div_fmas_f64 v[102:103], v[102:103], v[104:105], v[106:107]
	v_div_fixup_f64 v[116:117], v[102:103], v[100:101], 1.0
	v_mul_f64 v[114:115], v[98:99], v[116:117]
	v_xor_b32_e32 v117, 0x80000000, v117
.LBB54_133:
	s_andn2_saveexec_b64 s[8:9], s[8:9]
	s_cbranch_execz .LBB54_135
; %bb.134:
	v_div_scale_f64 v[98:99], s[20:21], v[114:115], v[114:115], v[116:117]
	v_rcp_f64_e32 v[100:101], v[98:99]
	v_fma_f64 v[102:103], -v[98:99], v[100:101], 1.0
	v_fma_f64 v[100:101], v[100:101], v[102:103], v[100:101]
	v_div_scale_f64 v[102:103], vcc, v[116:117], v[114:115], v[116:117]
	v_fma_f64 v[104:105], -v[98:99], v[100:101], 1.0
	v_fma_f64 v[100:101], v[100:101], v[104:105], v[100:101]
	v_mul_f64 v[104:105], v[102:103], v[100:101]
	v_fma_f64 v[98:99], -v[98:99], v[104:105], v[102:103]
	v_div_fmas_f64 v[98:99], v[98:99], v[100:101], v[104:105]
	v_div_fixup_f64 v[98:99], v[98:99], v[114:115], v[116:117]
	v_fma_f64 v[100:101], v[116:117], v[98:99], v[114:115]
	v_div_scale_f64 v[102:103], s[20:21], v[100:101], v[100:101], 1.0
	v_div_scale_f64 v[108:109], vcc, 1.0, v[100:101], 1.0
	v_rcp_f64_e32 v[104:105], v[102:103]
	v_fma_f64 v[106:107], -v[102:103], v[104:105], 1.0
	v_fma_f64 v[104:105], v[104:105], v[106:107], v[104:105]
	v_fma_f64 v[106:107], -v[102:103], v[104:105], 1.0
	v_fma_f64 v[104:105], v[104:105], v[106:107], v[104:105]
	v_mul_f64 v[106:107], v[108:109], v[104:105]
	v_fma_f64 v[102:103], -v[102:103], v[106:107], v[108:109]
	v_div_fmas_f64 v[102:103], v[102:103], v[104:105], v[106:107]
	v_div_fixup_f64 v[114:115], v[102:103], v[100:101], 1.0
	v_mul_f64 v[116:117], v[98:99], -v[114:115]
.LBB54_135:
	s_or_b64 exec, exec, s[8:9]
.LBB54_136:
	s_or_b64 exec, exec, s[0:1]
	v_cmp_ne_u32_e32 vcc, v124, v122
	s_and_saveexec_b64 s[0:1], vcc
	s_xor_b64 s[0:1], exec, s[0:1]
	s_cbranch_execz .LBB54_142
; %bb.137:
	v_cmp_eq_u32_e32 vcc, 6, v124
	s_and_saveexec_b64 s[8:9], vcc
	s_cbranch_execz .LBB54_141
; %bb.138:
	v_cmp_ne_u32_e32 vcc, 6, v122
	s_xor_b64 s[20:21], s[18:19], -1
	s_and_b64 s[24:25], s[20:21], vcc
	s_and_saveexec_b64 s[20:21], s[24:25]
	s_cbranch_execz .LBB54_140
; %bb.139:
	buffer_load_dword v94, off, s[28:31], 0 offset:48 ; 4-byte Folded Reload
	buffer_load_dword v95, off, s[28:31], 0 offset:52 ; 4-byte Folded Reload
	v_ashrrev_i32_e32 v123, 31, v122
	v_lshlrev_b64 v[98:99], 2, v[122:123]
	s_waitcnt vmcnt(1)
	v_add_co_u32_e32 v98, vcc, v94, v98
	s_waitcnt vmcnt(0)
	v_addc_co_u32_e32 v99, vcc, v95, v99, vcc
	global_load_dword v0, v[98:99], off
	global_load_dword v100, v[94:95], off offset:24
	s_waitcnt vmcnt(1)
	global_store_dword v[94:95], v0, off offset:24
	s_waitcnt vmcnt(1)
	global_store_dword v[98:99], v100, off
.LBB54_140:
	s_or_b64 exec, exec, s[20:21]
	v_mov_b32_e32 v124, v122
	v_mov_b32_e32 v0, v122
.LBB54_141:
	s_or_b64 exec, exec, s[8:9]
.LBB54_142:
	s_andn2_saveexec_b64 s[0:1], s[0:1]
	s_cbranch_execz .LBB54_144
; %bb.143:
	v_mov_b32_e32 v124, 6
	ds_write2_b64 v1, v[78:79], v[80:81] offset0:14 offset1:15
	ds_write2_b64 v1, v[74:75], v[76:77] offset0:16 offset1:17
	;; [unrolled: 1-line block ×21, first 2 shown]
.LBB54_144:
	s_or_b64 exec, exec, s[0:1]
	v_cmp_lt_i32_e32 vcc, 6, v124
	s_waitcnt vmcnt(0) lgkmcnt(0)
	s_barrier
	s_and_saveexec_b64 s[0:1], vcc
	s_cbranch_execz .LBB54_146
; %bb.145:
	v_mul_f64 v[98:99], v[116:117], v[84:85]
	v_mul_f64 v[84:85], v[114:115], v[84:85]
	ds_read2_b64 v[106:109], v1 offset0:14 offset1:15
	v_fma_f64 v[122:123], v[114:115], v[82:83], -v[98:99]
	v_fma_f64 v[84:85], v[116:117], v[82:83], v[84:85]
	s_waitcnt lgkmcnt(0)
	v_mul_f64 v[82:83], v[108:109], v[84:85]
	v_mul_f64 v[98:99], v[106:107], v[84:85]
	v_fma_f64 v[82:83], v[106:107], v[122:123], -v[82:83]
	v_fma_f64 v[98:99], v[108:109], v[122:123], v[98:99]
	ds_read2_b64 v[106:109], v1 offset0:16 offset1:17
	v_add_f64 v[78:79], v[78:79], -v[82:83]
	v_add_f64 v[80:81], v[80:81], -v[98:99]
	s_waitcnt lgkmcnt(0)
	v_mul_f64 v[82:83], v[108:109], v[84:85]
	v_mul_f64 v[98:99], v[106:107], v[84:85]
	v_fma_f64 v[82:83], v[106:107], v[122:123], -v[82:83]
	v_fma_f64 v[98:99], v[108:109], v[122:123], v[98:99]
	ds_read2_b64 v[106:109], v1 offset0:18 offset1:19
	v_add_f64 v[74:75], v[74:75], -v[82:83]
	v_add_f64 v[76:77], v[76:77], -v[98:99]
	;; [unrolled: 8-line block ×20, first 2 shown]
	s_waitcnt lgkmcnt(0)
	v_mul_f64 v[82:83], v[108:109], v[84:85]
	v_mul_f64 v[98:99], v[106:107], v[84:85]
	v_fma_f64 v[82:83], v[106:107], v[122:123], -v[82:83]
	v_fma_f64 v[98:99], v[108:109], v[122:123], v[98:99]
	v_add_f64 v[110:111], v[110:111], -v[82:83]
	v_add_f64 v[112:113], v[112:113], -v[98:99]
	v_mov_b32_e32 v82, v122
	v_mov_b32_e32 v83, v123
.LBB54_146:
	s_or_b64 exec, exec, s[0:1]
	v_lshl_add_u32 v98, v124, 4, v1
	s_barrier
	ds_write2_b64 v98, v[78:79], v[80:81] offset1:1
	s_waitcnt lgkmcnt(0)
	s_barrier
	ds_read2_b64 v[114:117], v1 offset0:14 offset1:15
	s_cmp_lt_i32 s22, 9
	v_mov_b32_e32 v122, 7
	s_cbranch_scc1 .LBB54_149
; %bb.147:
	v_add_u32_e32 v118, 0x80, v1
	s_mov_b32 s0, 8
	v_mov_b32_e32 v122, 7
.LBB54_148:                             ; =>This Inner Loop Header: Depth=1
	s_waitcnt lgkmcnt(0)
	v_cmp_gt_f64_e32 vcc, 0, v[114:115]
	v_xor_b32_e32 v98, 0x80000000, v115
	ds_read2_b64 v[106:109], v118 offset1:1
	v_xor_b32_e32 v100, 0x80000000, v117
	v_add_u32_e32 v118, 16, v118
	s_waitcnt lgkmcnt(0)
	v_xor_b32_e32 v102, 0x80000000, v109
	v_cndmask_b32_e32 v99, v115, v98, vcc
	v_cmp_gt_f64_e32 vcc, 0, v[116:117]
	v_mov_b32_e32 v98, v114
	v_cndmask_b32_e32 v101, v117, v100, vcc
	v_cmp_gt_f64_e32 vcc, 0, v[106:107]
	v_mov_b32_e32 v100, v116
	v_add_f64 v[98:99], v[98:99], v[100:101]
	v_xor_b32_e32 v100, 0x80000000, v107
	v_cndmask_b32_e32 v101, v107, v100, vcc
	v_cmp_gt_f64_e32 vcc, 0, v[108:109]
	v_mov_b32_e32 v100, v106
	v_cndmask_b32_e32 v103, v109, v102, vcc
	v_mov_b32_e32 v102, v108
	v_add_f64 v[100:101], v[100:101], v[102:103]
	v_cmp_lt_f64_e32 vcc, v[98:99], v[100:101]
	v_mov_b32_e32 v98, s0
	s_add_i32 s0, s0, 1
	s_cmp_lg_u32 s22, s0
	v_cndmask_b32_e32 v115, v115, v107, vcc
	v_cndmask_b32_e32 v114, v114, v106, vcc
	;; [unrolled: 1-line block ×5, first 2 shown]
	s_cbranch_scc1 .LBB54_148
.LBB54_149:
	s_waitcnt lgkmcnt(0)
	v_cmp_eq_f64_e32 vcc, 0, v[114:115]
	v_cmp_eq_f64_e64 s[0:1], 0, v[116:117]
	s_and_b64 s[0:1], vcc, s[0:1]
	s_and_saveexec_b64 s[8:9], s[0:1]
	s_xor_b64 s[0:1], exec, s[8:9]
; %bb.150:
	v_cmp_ne_u32_e32 vcc, 0, v120
	v_cndmask_b32_e32 v120, 8, v120, vcc
; %bb.151:
	s_andn2_saveexec_b64 s[0:1], s[0:1]
	s_cbranch_execz .LBB54_157
; %bb.152:
	v_cmp_ngt_f64_e64 s[8:9], |v[114:115]|, |v[116:117]|
	s_and_saveexec_b64 s[20:21], s[8:9]
	s_xor_b64 s[8:9], exec, s[20:21]
	s_cbranch_execz .LBB54_154
; %bb.153:
	v_div_scale_f64 v[98:99], s[20:21], v[116:117], v[116:117], v[114:115]
	v_rcp_f64_e32 v[100:101], v[98:99]
	v_fma_f64 v[102:103], -v[98:99], v[100:101], 1.0
	v_fma_f64 v[100:101], v[100:101], v[102:103], v[100:101]
	v_div_scale_f64 v[102:103], vcc, v[114:115], v[116:117], v[114:115]
	v_fma_f64 v[104:105], -v[98:99], v[100:101], 1.0
	v_fma_f64 v[100:101], v[100:101], v[104:105], v[100:101]
	v_mul_f64 v[104:105], v[102:103], v[100:101]
	v_fma_f64 v[98:99], -v[98:99], v[104:105], v[102:103]
	v_div_fmas_f64 v[98:99], v[98:99], v[100:101], v[104:105]
	v_div_fixup_f64 v[98:99], v[98:99], v[116:117], v[114:115]
	v_fma_f64 v[100:101], v[114:115], v[98:99], v[116:117]
	v_div_scale_f64 v[102:103], s[20:21], v[100:101], v[100:101], 1.0
	v_div_scale_f64 v[108:109], vcc, 1.0, v[100:101], 1.0
	v_rcp_f64_e32 v[104:105], v[102:103]
	v_fma_f64 v[106:107], -v[102:103], v[104:105], 1.0
	v_fma_f64 v[104:105], v[104:105], v[106:107], v[104:105]
	v_fma_f64 v[106:107], -v[102:103], v[104:105], 1.0
	v_fma_f64 v[104:105], v[104:105], v[106:107], v[104:105]
	v_mul_f64 v[106:107], v[108:109], v[104:105]
	v_fma_f64 v[102:103], -v[102:103], v[106:107], v[108:109]
	v_div_fmas_f64 v[102:103], v[102:103], v[104:105], v[106:107]
	v_div_fixup_f64 v[116:117], v[102:103], v[100:101], 1.0
	v_mul_f64 v[114:115], v[98:99], v[116:117]
	v_xor_b32_e32 v117, 0x80000000, v117
.LBB54_154:
	s_andn2_saveexec_b64 s[8:9], s[8:9]
	s_cbranch_execz .LBB54_156
; %bb.155:
	v_div_scale_f64 v[98:99], s[20:21], v[114:115], v[114:115], v[116:117]
	v_rcp_f64_e32 v[100:101], v[98:99]
	v_fma_f64 v[102:103], -v[98:99], v[100:101], 1.0
	v_fma_f64 v[100:101], v[100:101], v[102:103], v[100:101]
	v_div_scale_f64 v[102:103], vcc, v[116:117], v[114:115], v[116:117]
	v_fma_f64 v[104:105], -v[98:99], v[100:101], 1.0
	v_fma_f64 v[100:101], v[100:101], v[104:105], v[100:101]
	v_mul_f64 v[104:105], v[102:103], v[100:101]
	v_fma_f64 v[98:99], -v[98:99], v[104:105], v[102:103]
	v_div_fmas_f64 v[98:99], v[98:99], v[100:101], v[104:105]
	v_div_fixup_f64 v[98:99], v[98:99], v[114:115], v[116:117]
	v_fma_f64 v[100:101], v[116:117], v[98:99], v[114:115]
	v_div_scale_f64 v[102:103], s[20:21], v[100:101], v[100:101], 1.0
	v_div_scale_f64 v[108:109], vcc, 1.0, v[100:101], 1.0
	v_rcp_f64_e32 v[104:105], v[102:103]
	v_fma_f64 v[106:107], -v[102:103], v[104:105], 1.0
	v_fma_f64 v[104:105], v[104:105], v[106:107], v[104:105]
	v_fma_f64 v[106:107], -v[102:103], v[104:105], 1.0
	v_fma_f64 v[104:105], v[104:105], v[106:107], v[104:105]
	v_mul_f64 v[106:107], v[108:109], v[104:105]
	v_fma_f64 v[102:103], -v[102:103], v[106:107], v[108:109]
	v_div_fmas_f64 v[102:103], v[102:103], v[104:105], v[106:107]
	v_div_fixup_f64 v[114:115], v[102:103], v[100:101], 1.0
	v_mul_f64 v[116:117], v[98:99], -v[114:115]
.LBB54_156:
	s_or_b64 exec, exec, s[8:9]
.LBB54_157:
	s_or_b64 exec, exec, s[0:1]
	v_cmp_ne_u32_e32 vcc, v124, v122
	s_and_saveexec_b64 s[0:1], vcc
	s_xor_b64 s[0:1], exec, s[0:1]
	s_cbranch_execz .LBB54_163
; %bb.158:
	v_cmp_eq_u32_e32 vcc, 7, v124
	s_and_saveexec_b64 s[8:9], vcc
	s_cbranch_execz .LBB54_162
; %bb.159:
	v_cmp_ne_u32_e32 vcc, 7, v122
	s_xor_b64 s[20:21], s[18:19], -1
	s_and_b64 s[24:25], s[20:21], vcc
	s_and_saveexec_b64 s[20:21], s[24:25]
	s_cbranch_execz .LBB54_161
; %bb.160:
	buffer_load_dword v94, off, s[28:31], 0 offset:48 ; 4-byte Folded Reload
	buffer_load_dword v95, off, s[28:31], 0 offset:52 ; 4-byte Folded Reload
	v_ashrrev_i32_e32 v123, 31, v122
	v_lshlrev_b64 v[98:99], 2, v[122:123]
	s_waitcnt vmcnt(1)
	v_add_co_u32_e32 v98, vcc, v94, v98
	s_waitcnt vmcnt(0)
	v_addc_co_u32_e32 v99, vcc, v95, v99, vcc
	global_load_dword v0, v[98:99], off
	global_load_dword v100, v[94:95], off offset:28
	s_waitcnt vmcnt(1)
	global_store_dword v[94:95], v0, off offset:28
	s_waitcnt vmcnt(1)
	global_store_dword v[98:99], v100, off
.LBB54_161:
	s_or_b64 exec, exec, s[20:21]
	v_mov_b32_e32 v124, v122
	v_mov_b32_e32 v0, v122
.LBB54_162:
	s_or_b64 exec, exec, s[8:9]
.LBB54_163:
	s_andn2_saveexec_b64 s[0:1], s[0:1]
	s_cbranch_execz .LBB54_165
; %bb.164:
	v_mov_b32_e32 v124, 7
	ds_write2_b64 v1, v[74:75], v[76:77] offset0:16 offset1:17
	ds_write2_b64 v1, v[70:71], v[72:73] offset0:18 offset1:19
	;; [unrolled: 1-line block ×20, first 2 shown]
.LBB54_165:
	s_or_b64 exec, exec, s[0:1]
	v_cmp_lt_i32_e32 vcc, 7, v124
	s_waitcnt vmcnt(0) lgkmcnt(0)
	s_barrier
	s_and_saveexec_b64 s[0:1], vcc
	s_cbranch_execz .LBB54_167
; %bb.166:
	v_mul_f64 v[98:99], v[116:117], v[80:81]
	v_mul_f64 v[80:81], v[114:115], v[80:81]
	ds_read2_b64 v[106:109], v1 offset0:16 offset1:17
	v_fma_f64 v[122:123], v[114:115], v[78:79], -v[98:99]
	v_fma_f64 v[80:81], v[116:117], v[78:79], v[80:81]
	s_waitcnt lgkmcnt(0)
	v_mul_f64 v[78:79], v[108:109], v[80:81]
	v_mul_f64 v[98:99], v[106:107], v[80:81]
	v_fma_f64 v[78:79], v[106:107], v[122:123], -v[78:79]
	v_fma_f64 v[98:99], v[108:109], v[122:123], v[98:99]
	ds_read2_b64 v[106:109], v1 offset0:18 offset1:19
	v_add_f64 v[74:75], v[74:75], -v[78:79]
	v_add_f64 v[76:77], v[76:77], -v[98:99]
	s_waitcnt lgkmcnt(0)
	v_mul_f64 v[78:79], v[108:109], v[80:81]
	v_mul_f64 v[98:99], v[106:107], v[80:81]
	v_fma_f64 v[78:79], v[106:107], v[122:123], -v[78:79]
	v_fma_f64 v[98:99], v[108:109], v[122:123], v[98:99]
	ds_read2_b64 v[106:109], v1 offset0:20 offset1:21
	v_add_f64 v[70:71], v[70:71], -v[78:79]
	v_add_f64 v[72:73], v[72:73], -v[98:99]
	;; [unrolled: 8-line block ×19, first 2 shown]
	s_waitcnt lgkmcnt(0)
	v_mul_f64 v[78:79], v[108:109], v[80:81]
	v_mul_f64 v[98:99], v[106:107], v[80:81]
	v_fma_f64 v[78:79], v[106:107], v[122:123], -v[78:79]
	v_fma_f64 v[98:99], v[108:109], v[122:123], v[98:99]
	v_add_f64 v[110:111], v[110:111], -v[78:79]
	v_add_f64 v[112:113], v[112:113], -v[98:99]
	v_mov_b32_e32 v78, v122
	v_mov_b32_e32 v79, v123
.LBB54_167:
	s_or_b64 exec, exec, s[0:1]
	v_lshl_add_u32 v98, v124, 4, v1
	s_barrier
	ds_write2_b64 v98, v[74:75], v[76:77] offset1:1
	s_waitcnt lgkmcnt(0)
	s_barrier
	ds_read2_b64 v[114:117], v1 offset0:16 offset1:17
	s_cmp_lt_i32 s22, 10
	v_mov_b32_e32 v122, 8
	s_cbranch_scc1 .LBB54_170
; %bb.168:
	v_add_u32_e32 v118, 0x90, v1
	s_mov_b32 s0, 9
	v_mov_b32_e32 v122, 8
.LBB54_169:                             ; =>This Inner Loop Header: Depth=1
	s_waitcnt lgkmcnt(0)
	v_cmp_gt_f64_e32 vcc, 0, v[114:115]
	v_xor_b32_e32 v98, 0x80000000, v115
	ds_read2_b64 v[106:109], v118 offset1:1
	v_xor_b32_e32 v100, 0x80000000, v117
	v_add_u32_e32 v118, 16, v118
	s_waitcnt lgkmcnt(0)
	v_xor_b32_e32 v102, 0x80000000, v109
	v_cndmask_b32_e32 v99, v115, v98, vcc
	v_cmp_gt_f64_e32 vcc, 0, v[116:117]
	v_mov_b32_e32 v98, v114
	v_cndmask_b32_e32 v101, v117, v100, vcc
	v_cmp_gt_f64_e32 vcc, 0, v[106:107]
	v_mov_b32_e32 v100, v116
	v_add_f64 v[98:99], v[98:99], v[100:101]
	v_xor_b32_e32 v100, 0x80000000, v107
	v_cndmask_b32_e32 v101, v107, v100, vcc
	v_cmp_gt_f64_e32 vcc, 0, v[108:109]
	v_mov_b32_e32 v100, v106
	v_cndmask_b32_e32 v103, v109, v102, vcc
	v_mov_b32_e32 v102, v108
	v_add_f64 v[100:101], v[100:101], v[102:103]
	v_cmp_lt_f64_e32 vcc, v[98:99], v[100:101]
	v_mov_b32_e32 v98, s0
	s_add_i32 s0, s0, 1
	s_cmp_lg_u32 s22, s0
	v_cndmask_b32_e32 v115, v115, v107, vcc
	v_cndmask_b32_e32 v114, v114, v106, vcc
	;; [unrolled: 1-line block ×5, first 2 shown]
	s_cbranch_scc1 .LBB54_169
.LBB54_170:
	s_waitcnt lgkmcnt(0)
	v_cmp_eq_f64_e32 vcc, 0, v[114:115]
	v_cmp_eq_f64_e64 s[0:1], 0, v[116:117]
	s_and_b64 s[0:1], vcc, s[0:1]
	s_and_saveexec_b64 s[8:9], s[0:1]
	s_xor_b64 s[0:1], exec, s[8:9]
; %bb.171:
	v_cmp_ne_u32_e32 vcc, 0, v120
	v_cndmask_b32_e32 v120, 9, v120, vcc
; %bb.172:
	s_andn2_saveexec_b64 s[0:1], s[0:1]
	s_cbranch_execz .LBB54_178
; %bb.173:
	v_cmp_ngt_f64_e64 s[8:9], |v[114:115]|, |v[116:117]|
	s_and_saveexec_b64 s[20:21], s[8:9]
	s_xor_b64 s[8:9], exec, s[20:21]
	s_cbranch_execz .LBB54_175
; %bb.174:
	v_div_scale_f64 v[98:99], s[20:21], v[116:117], v[116:117], v[114:115]
	v_rcp_f64_e32 v[100:101], v[98:99]
	v_fma_f64 v[102:103], -v[98:99], v[100:101], 1.0
	v_fma_f64 v[100:101], v[100:101], v[102:103], v[100:101]
	v_div_scale_f64 v[102:103], vcc, v[114:115], v[116:117], v[114:115]
	v_fma_f64 v[104:105], -v[98:99], v[100:101], 1.0
	v_fma_f64 v[100:101], v[100:101], v[104:105], v[100:101]
	v_mul_f64 v[104:105], v[102:103], v[100:101]
	v_fma_f64 v[98:99], -v[98:99], v[104:105], v[102:103]
	v_div_fmas_f64 v[98:99], v[98:99], v[100:101], v[104:105]
	v_div_fixup_f64 v[98:99], v[98:99], v[116:117], v[114:115]
	v_fma_f64 v[100:101], v[114:115], v[98:99], v[116:117]
	v_div_scale_f64 v[102:103], s[20:21], v[100:101], v[100:101], 1.0
	v_div_scale_f64 v[108:109], vcc, 1.0, v[100:101], 1.0
	v_rcp_f64_e32 v[104:105], v[102:103]
	v_fma_f64 v[106:107], -v[102:103], v[104:105], 1.0
	v_fma_f64 v[104:105], v[104:105], v[106:107], v[104:105]
	v_fma_f64 v[106:107], -v[102:103], v[104:105], 1.0
	v_fma_f64 v[104:105], v[104:105], v[106:107], v[104:105]
	v_mul_f64 v[106:107], v[108:109], v[104:105]
	v_fma_f64 v[102:103], -v[102:103], v[106:107], v[108:109]
	v_div_fmas_f64 v[102:103], v[102:103], v[104:105], v[106:107]
	v_div_fixup_f64 v[116:117], v[102:103], v[100:101], 1.0
	v_mul_f64 v[114:115], v[98:99], v[116:117]
	v_xor_b32_e32 v117, 0x80000000, v117
.LBB54_175:
	s_andn2_saveexec_b64 s[8:9], s[8:9]
	s_cbranch_execz .LBB54_177
; %bb.176:
	v_div_scale_f64 v[98:99], s[20:21], v[114:115], v[114:115], v[116:117]
	v_rcp_f64_e32 v[100:101], v[98:99]
	v_fma_f64 v[102:103], -v[98:99], v[100:101], 1.0
	v_fma_f64 v[100:101], v[100:101], v[102:103], v[100:101]
	v_div_scale_f64 v[102:103], vcc, v[116:117], v[114:115], v[116:117]
	v_fma_f64 v[104:105], -v[98:99], v[100:101], 1.0
	v_fma_f64 v[100:101], v[100:101], v[104:105], v[100:101]
	v_mul_f64 v[104:105], v[102:103], v[100:101]
	v_fma_f64 v[98:99], -v[98:99], v[104:105], v[102:103]
	v_div_fmas_f64 v[98:99], v[98:99], v[100:101], v[104:105]
	v_div_fixup_f64 v[98:99], v[98:99], v[114:115], v[116:117]
	v_fma_f64 v[100:101], v[116:117], v[98:99], v[114:115]
	v_div_scale_f64 v[102:103], s[20:21], v[100:101], v[100:101], 1.0
	v_div_scale_f64 v[108:109], vcc, 1.0, v[100:101], 1.0
	v_rcp_f64_e32 v[104:105], v[102:103]
	v_fma_f64 v[106:107], -v[102:103], v[104:105], 1.0
	v_fma_f64 v[104:105], v[104:105], v[106:107], v[104:105]
	v_fma_f64 v[106:107], -v[102:103], v[104:105], 1.0
	v_fma_f64 v[104:105], v[104:105], v[106:107], v[104:105]
	v_mul_f64 v[106:107], v[108:109], v[104:105]
	v_fma_f64 v[102:103], -v[102:103], v[106:107], v[108:109]
	v_div_fmas_f64 v[102:103], v[102:103], v[104:105], v[106:107]
	v_div_fixup_f64 v[114:115], v[102:103], v[100:101], 1.0
	v_mul_f64 v[116:117], v[98:99], -v[114:115]
.LBB54_177:
	s_or_b64 exec, exec, s[8:9]
.LBB54_178:
	s_or_b64 exec, exec, s[0:1]
	v_cmp_ne_u32_e32 vcc, v124, v122
	s_and_saveexec_b64 s[0:1], vcc
	s_xor_b64 s[0:1], exec, s[0:1]
	s_cbranch_execz .LBB54_184
; %bb.179:
	v_cmp_eq_u32_e32 vcc, 8, v124
	s_and_saveexec_b64 s[8:9], vcc
	s_cbranch_execz .LBB54_183
; %bb.180:
	v_cmp_ne_u32_e32 vcc, 8, v122
	s_xor_b64 s[20:21], s[18:19], -1
	s_and_b64 s[24:25], s[20:21], vcc
	s_and_saveexec_b64 s[20:21], s[24:25]
	s_cbranch_execz .LBB54_182
; %bb.181:
	buffer_load_dword v94, off, s[28:31], 0 offset:48 ; 4-byte Folded Reload
	buffer_load_dword v95, off, s[28:31], 0 offset:52 ; 4-byte Folded Reload
	v_ashrrev_i32_e32 v123, 31, v122
	v_lshlrev_b64 v[98:99], 2, v[122:123]
	s_waitcnt vmcnt(1)
	v_add_co_u32_e32 v98, vcc, v94, v98
	s_waitcnt vmcnt(0)
	v_addc_co_u32_e32 v99, vcc, v95, v99, vcc
	global_load_dword v0, v[98:99], off
	global_load_dword v100, v[94:95], off offset:32
	s_waitcnt vmcnt(1)
	global_store_dword v[94:95], v0, off offset:32
	s_waitcnt vmcnt(1)
	global_store_dword v[98:99], v100, off
.LBB54_182:
	s_or_b64 exec, exec, s[20:21]
	v_mov_b32_e32 v124, v122
	v_mov_b32_e32 v0, v122
.LBB54_183:
	s_or_b64 exec, exec, s[8:9]
.LBB54_184:
	s_andn2_saveexec_b64 s[0:1], s[0:1]
	s_cbranch_execz .LBB54_186
; %bb.185:
	v_mov_b32_e32 v124, 8
	ds_write2_b64 v1, v[70:71], v[72:73] offset0:18 offset1:19
	ds_write2_b64 v1, v[66:67], v[68:69] offset0:20 offset1:21
	;; [unrolled: 1-line block ×19, first 2 shown]
.LBB54_186:
	s_or_b64 exec, exec, s[0:1]
	v_cmp_lt_i32_e32 vcc, 8, v124
	s_waitcnt vmcnt(0) lgkmcnt(0)
	s_barrier
	s_and_saveexec_b64 s[0:1], vcc
	s_cbranch_execz .LBB54_188
; %bb.187:
	v_mul_f64 v[98:99], v[116:117], v[76:77]
	v_mul_f64 v[76:77], v[114:115], v[76:77]
	ds_read2_b64 v[106:109], v1 offset0:18 offset1:19
	v_fma_f64 v[122:123], v[114:115], v[74:75], -v[98:99]
	v_fma_f64 v[76:77], v[116:117], v[74:75], v[76:77]
	s_waitcnt lgkmcnt(0)
	v_mul_f64 v[74:75], v[108:109], v[76:77]
	v_mul_f64 v[98:99], v[106:107], v[76:77]
	v_fma_f64 v[74:75], v[106:107], v[122:123], -v[74:75]
	v_fma_f64 v[98:99], v[108:109], v[122:123], v[98:99]
	ds_read2_b64 v[106:109], v1 offset0:20 offset1:21
	v_add_f64 v[70:71], v[70:71], -v[74:75]
	v_add_f64 v[72:73], v[72:73], -v[98:99]
	s_waitcnt lgkmcnt(0)
	v_mul_f64 v[74:75], v[108:109], v[76:77]
	v_mul_f64 v[98:99], v[106:107], v[76:77]
	v_fma_f64 v[74:75], v[106:107], v[122:123], -v[74:75]
	v_fma_f64 v[98:99], v[108:109], v[122:123], v[98:99]
	ds_read2_b64 v[106:109], v1 offset0:22 offset1:23
	v_add_f64 v[66:67], v[66:67], -v[74:75]
	v_add_f64 v[68:69], v[68:69], -v[98:99]
	;; [unrolled: 8-line block ×18, first 2 shown]
	s_waitcnt lgkmcnt(0)
	v_mul_f64 v[74:75], v[108:109], v[76:77]
	v_mul_f64 v[98:99], v[106:107], v[76:77]
	v_fma_f64 v[74:75], v[106:107], v[122:123], -v[74:75]
	v_fma_f64 v[98:99], v[108:109], v[122:123], v[98:99]
	v_add_f64 v[110:111], v[110:111], -v[74:75]
	v_add_f64 v[112:113], v[112:113], -v[98:99]
	v_mov_b32_e32 v74, v122
	v_mov_b32_e32 v75, v123
.LBB54_188:
	s_or_b64 exec, exec, s[0:1]
	v_lshl_add_u32 v98, v124, 4, v1
	s_barrier
	ds_write2_b64 v98, v[70:71], v[72:73] offset1:1
	s_waitcnt lgkmcnt(0)
	s_barrier
	ds_read2_b64 v[114:117], v1 offset0:18 offset1:19
	s_cmp_lt_i32 s22, 11
	v_mov_b32_e32 v122, 9
	s_cbranch_scc1 .LBB54_191
; %bb.189:
	v_add_u32_e32 v118, 0xa0, v1
	s_mov_b32 s0, 10
	v_mov_b32_e32 v122, 9
.LBB54_190:                             ; =>This Inner Loop Header: Depth=1
	s_waitcnt lgkmcnt(0)
	v_cmp_gt_f64_e32 vcc, 0, v[114:115]
	v_xor_b32_e32 v98, 0x80000000, v115
	ds_read2_b64 v[106:109], v118 offset1:1
	v_xor_b32_e32 v100, 0x80000000, v117
	v_add_u32_e32 v118, 16, v118
	s_waitcnt lgkmcnt(0)
	v_xor_b32_e32 v102, 0x80000000, v109
	v_cndmask_b32_e32 v99, v115, v98, vcc
	v_cmp_gt_f64_e32 vcc, 0, v[116:117]
	v_mov_b32_e32 v98, v114
	v_cndmask_b32_e32 v101, v117, v100, vcc
	v_cmp_gt_f64_e32 vcc, 0, v[106:107]
	v_mov_b32_e32 v100, v116
	v_add_f64 v[98:99], v[98:99], v[100:101]
	v_xor_b32_e32 v100, 0x80000000, v107
	v_cndmask_b32_e32 v101, v107, v100, vcc
	v_cmp_gt_f64_e32 vcc, 0, v[108:109]
	v_mov_b32_e32 v100, v106
	v_cndmask_b32_e32 v103, v109, v102, vcc
	v_mov_b32_e32 v102, v108
	v_add_f64 v[100:101], v[100:101], v[102:103]
	v_cmp_lt_f64_e32 vcc, v[98:99], v[100:101]
	v_mov_b32_e32 v98, s0
	s_add_i32 s0, s0, 1
	s_cmp_lg_u32 s22, s0
	v_cndmask_b32_e32 v115, v115, v107, vcc
	v_cndmask_b32_e32 v114, v114, v106, vcc
	;; [unrolled: 1-line block ×5, first 2 shown]
	s_cbranch_scc1 .LBB54_190
.LBB54_191:
	s_waitcnt lgkmcnt(0)
	v_cmp_eq_f64_e32 vcc, 0, v[114:115]
	v_cmp_eq_f64_e64 s[0:1], 0, v[116:117]
	s_and_b64 s[0:1], vcc, s[0:1]
	s_and_saveexec_b64 s[8:9], s[0:1]
	s_xor_b64 s[0:1], exec, s[8:9]
; %bb.192:
	v_cmp_ne_u32_e32 vcc, 0, v120
	v_cndmask_b32_e32 v120, 10, v120, vcc
; %bb.193:
	s_andn2_saveexec_b64 s[0:1], s[0:1]
	s_cbranch_execz .LBB54_199
; %bb.194:
	v_cmp_ngt_f64_e64 s[8:9], |v[114:115]|, |v[116:117]|
	s_and_saveexec_b64 s[20:21], s[8:9]
	s_xor_b64 s[8:9], exec, s[20:21]
	s_cbranch_execz .LBB54_196
; %bb.195:
	v_div_scale_f64 v[98:99], s[20:21], v[116:117], v[116:117], v[114:115]
	v_rcp_f64_e32 v[100:101], v[98:99]
	v_fma_f64 v[102:103], -v[98:99], v[100:101], 1.0
	v_fma_f64 v[100:101], v[100:101], v[102:103], v[100:101]
	v_div_scale_f64 v[102:103], vcc, v[114:115], v[116:117], v[114:115]
	v_fma_f64 v[104:105], -v[98:99], v[100:101], 1.0
	v_fma_f64 v[100:101], v[100:101], v[104:105], v[100:101]
	v_mul_f64 v[104:105], v[102:103], v[100:101]
	v_fma_f64 v[98:99], -v[98:99], v[104:105], v[102:103]
	v_div_fmas_f64 v[98:99], v[98:99], v[100:101], v[104:105]
	v_div_fixup_f64 v[98:99], v[98:99], v[116:117], v[114:115]
	v_fma_f64 v[100:101], v[114:115], v[98:99], v[116:117]
	v_div_scale_f64 v[102:103], s[20:21], v[100:101], v[100:101], 1.0
	v_div_scale_f64 v[108:109], vcc, 1.0, v[100:101], 1.0
	v_rcp_f64_e32 v[104:105], v[102:103]
	v_fma_f64 v[106:107], -v[102:103], v[104:105], 1.0
	v_fma_f64 v[104:105], v[104:105], v[106:107], v[104:105]
	v_fma_f64 v[106:107], -v[102:103], v[104:105], 1.0
	v_fma_f64 v[104:105], v[104:105], v[106:107], v[104:105]
	v_mul_f64 v[106:107], v[108:109], v[104:105]
	v_fma_f64 v[102:103], -v[102:103], v[106:107], v[108:109]
	v_div_fmas_f64 v[102:103], v[102:103], v[104:105], v[106:107]
	v_div_fixup_f64 v[116:117], v[102:103], v[100:101], 1.0
	v_mul_f64 v[114:115], v[98:99], v[116:117]
	v_xor_b32_e32 v117, 0x80000000, v117
.LBB54_196:
	s_andn2_saveexec_b64 s[8:9], s[8:9]
	s_cbranch_execz .LBB54_198
; %bb.197:
	v_div_scale_f64 v[98:99], s[20:21], v[114:115], v[114:115], v[116:117]
	v_rcp_f64_e32 v[100:101], v[98:99]
	v_fma_f64 v[102:103], -v[98:99], v[100:101], 1.0
	v_fma_f64 v[100:101], v[100:101], v[102:103], v[100:101]
	v_div_scale_f64 v[102:103], vcc, v[116:117], v[114:115], v[116:117]
	v_fma_f64 v[104:105], -v[98:99], v[100:101], 1.0
	v_fma_f64 v[100:101], v[100:101], v[104:105], v[100:101]
	v_mul_f64 v[104:105], v[102:103], v[100:101]
	v_fma_f64 v[98:99], -v[98:99], v[104:105], v[102:103]
	v_div_fmas_f64 v[98:99], v[98:99], v[100:101], v[104:105]
	v_div_fixup_f64 v[98:99], v[98:99], v[114:115], v[116:117]
	v_fma_f64 v[100:101], v[116:117], v[98:99], v[114:115]
	v_div_scale_f64 v[102:103], s[20:21], v[100:101], v[100:101], 1.0
	v_div_scale_f64 v[108:109], vcc, 1.0, v[100:101], 1.0
	v_rcp_f64_e32 v[104:105], v[102:103]
	v_fma_f64 v[106:107], -v[102:103], v[104:105], 1.0
	v_fma_f64 v[104:105], v[104:105], v[106:107], v[104:105]
	v_fma_f64 v[106:107], -v[102:103], v[104:105], 1.0
	v_fma_f64 v[104:105], v[104:105], v[106:107], v[104:105]
	v_mul_f64 v[106:107], v[108:109], v[104:105]
	v_fma_f64 v[102:103], -v[102:103], v[106:107], v[108:109]
	v_div_fmas_f64 v[102:103], v[102:103], v[104:105], v[106:107]
	v_div_fixup_f64 v[114:115], v[102:103], v[100:101], 1.0
	v_mul_f64 v[116:117], v[98:99], -v[114:115]
.LBB54_198:
	s_or_b64 exec, exec, s[8:9]
.LBB54_199:
	s_or_b64 exec, exec, s[0:1]
	v_cmp_ne_u32_e32 vcc, v124, v122
	s_and_saveexec_b64 s[0:1], vcc
	s_xor_b64 s[0:1], exec, s[0:1]
	s_cbranch_execz .LBB54_205
; %bb.200:
	v_cmp_eq_u32_e32 vcc, 9, v124
	s_and_saveexec_b64 s[8:9], vcc
	s_cbranch_execz .LBB54_204
; %bb.201:
	v_cmp_ne_u32_e32 vcc, 9, v122
	s_xor_b64 s[20:21], s[18:19], -1
	s_and_b64 s[24:25], s[20:21], vcc
	s_and_saveexec_b64 s[20:21], s[24:25]
	s_cbranch_execz .LBB54_203
; %bb.202:
	buffer_load_dword v94, off, s[28:31], 0 offset:48 ; 4-byte Folded Reload
	buffer_load_dword v95, off, s[28:31], 0 offset:52 ; 4-byte Folded Reload
	v_ashrrev_i32_e32 v123, 31, v122
	v_lshlrev_b64 v[98:99], 2, v[122:123]
	s_waitcnt vmcnt(1)
	v_add_co_u32_e32 v98, vcc, v94, v98
	s_waitcnt vmcnt(0)
	v_addc_co_u32_e32 v99, vcc, v95, v99, vcc
	global_load_dword v0, v[98:99], off
	global_load_dword v100, v[94:95], off offset:36
	s_waitcnt vmcnt(1)
	global_store_dword v[94:95], v0, off offset:36
	s_waitcnt vmcnt(1)
	global_store_dword v[98:99], v100, off
.LBB54_203:
	s_or_b64 exec, exec, s[20:21]
	v_mov_b32_e32 v124, v122
	v_mov_b32_e32 v0, v122
.LBB54_204:
	s_or_b64 exec, exec, s[8:9]
.LBB54_205:
	s_andn2_saveexec_b64 s[0:1], s[0:1]
	s_cbranch_execz .LBB54_207
; %bb.206:
	v_mov_b32_e32 v124, 9
	ds_write2_b64 v1, v[66:67], v[68:69] offset0:20 offset1:21
	ds_write2_b64 v1, v[62:63], v[64:65] offset0:22 offset1:23
	ds_write2_b64 v1, v[58:59], v[60:61] offset0:24 offset1:25
	ds_write2_b64 v1, v[54:55], v[56:57] offset0:26 offset1:27
	ds_write2_b64 v1, v[50:51], v[52:53] offset0:28 offset1:29
	ds_write2_b64 v1, v[46:47], v[48:49] offset0:30 offset1:31
	ds_write2_b64 v1, v[42:43], v[44:45] offset0:32 offset1:33
	ds_write2_b64 v1, v[38:39], v[40:41] offset0:34 offset1:35
	ds_write2_b64 v1, v[34:35], v[36:37] offset0:36 offset1:37
	ds_write2_b64 v1, v[30:31], v[32:33] offset0:38 offset1:39
	ds_write2_b64 v1, v[26:27], v[28:29] offset0:40 offset1:41
	ds_write2_b64 v1, v[22:23], v[24:25] offset0:42 offset1:43
	ds_write2_b64 v1, v[18:19], v[20:21] offset0:44 offset1:45
	ds_write2_b64 v1, v[14:15], v[16:17] offset0:46 offset1:47
	ds_write2_b64 v1, v[10:11], v[12:13] offset0:48 offset1:49
	ds_write2_b64 v1, v[6:7], v[8:9] offset0:50 offset1:51
	ds_write2_b64 v1, v[2:3], v[4:5] offset0:52 offset1:53
	ds_write2_b64 v1, v[110:111], v[112:113] offset0:54 offset1:55
.LBB54_207:
	s_or_b64 exec, exec, s[0:1]
	v_cmp_lt_i32_e32 vcc, 9, v124
	s_waitcnt vmcnt(0) lgkmcnt(0)
	s_barrier
	s_and_saveexec_b64 s[0:1], vcc
	s_cbranch_execz .LBB54_209
; %bb.208:
	v_mul_f64 v[98:99], v[116:117], v[72:73]
	v_mul_f64 v[72:73], v[114:115], v[72:73]
	ds_read2_b64 v[106:109], v1 offset0:20 offset1:21
	v_fma_f64 v[122:123], v[114:115], v[70:71], -v[98:99]
	v_fma_f64 v[72:73], v[116:117], v[70:71], v[72:73]
	s_waitcnt lgkmcnt(0)
	v_mul_f64 v[70:71], v[108:109], v[72:73]
	v_mul_f64 v[98:99], v[106:107], v[72:73]
	v_fma_f64 v[70:71], v[106:107], v[122:123], -v[70:71]
	v_fma_f64 v[98:99], v[108:109], v[122:123], v[98:99]
	ds_read2_b64 v[106:109], v1 offset0:22 offset1:23
	v_add_f64 v[66:67], v[66:67], -v[70:71]
	v_add_f64 v[68:69], v[68:69], -v[98:99]
	s_waitcnt lgkmcnt(0)
	v_mul_f64 v[70:71], v[108:109], v[72:73]
	v_mul_f64 v[98:99], v[106:107], v[72:73]
	v_fma_f64 v[70:71], v[106:107], v[122:123], -v[70:71]
	v_fma_f64 v[98:99], v[108:109], v[122:123], v[98:99]
	ds_read2_b64 v[106:109], v1 offset0:24 offset1:25
	v_add_f64 v[62:63], v[62:63], -v[70:71]
	v_add_f64 v[64:65], v[64:65], -v[98:99]
	;; [unrolled: 8-line block ×17, first 2 shown]
	s_waitcnt lgkmcnt(0)
	v_mul_f64 v[70:71], v[108:109], v[72:73]
	v_mul_f64 v[98:99], v[106:107], v[72:73]
	v_fma_f64 v[70:71], v[106:107], v[122:123], -v[70:71]
	v_fma_f64 v[98:99], v[108:109], v[122:123], v[98:99]
	v_add_f64 v[110:111], v[110:111], -v[70:71]
	v_add_f64 v[112:113], v[112:113], -v[98:99]
	v_mov_b32_e32 v70, v122
	v_mov_b32_e32 v71, v123
.LBB54_209:
	s_or_b64 exec, exec, s[0:1]
	v_lshl_add_u32 v98, v124, 4, v1
	s_barrier
	ds_write2_b64 v98, v[66:67], v[68:69] offset1:1
	s_waitcnt lgkmcnt(0)
	s_barrier
	ds_read2_b64 v[114:117], v1 offset0:20 offset1:21
	s_cmp_lt_i32 s22, 12
	v_mov_b32_e32 v122, 10
	s_cbranch_scc1 .LBB54_212
; %bb.210:
	v_add_u32_e32 v118, 0xb0, v1
	s_mov_b32 s0, 11
	v_mov_b32_e32 v122, 10
.LBB54_211:                             ; =>This Inner Loop Header: Depth=1
	s_waitcnt lgkmcnt(0)
	v_cmp_gt_f64_e32 vcc, 0, v[114:115]
	v_xor_b32_e32 v98, 0x80000000, v115
	ds_read2_b64 v[106:109], v118 offset1:1
	v_xor_b32_e32 v100, 0x80000000, v117
	v_add_u32_e32 v118, 16, v118
	s_waitcnt lgkmcnt(0)
	v_xor_b32_e32 v102, 0x80000000, v109
	v_cndmask_b32_e32 v99, v115, v98, vcc
	v_cmp_gt_f64_e32 vcc, 0, v[116:117]
	v_mov_b32_e32 v98, v114
	v_cndmask_b32_e32 v101, v117, v100, vcc
	v_cmp_gt_f64_e32 vcc, 0, v[106:107]
	v_mov_b32_e32 v100, v116
	v_add_f64 v[98:99], v[98:99], v[100:101]
	v_xor_b32_e32 v100, 0x80000000, v107
	v_cndmask_b32_e32 v101, v107, v100, vcc
	v_cmp_gt_f64_e32 vcc, 0, v[108:109]
	v_mov_b32_e32 v100, v106
	v_cndmask_b32_e32 v103, v109, v102, vcc
	v_mov_b32_e32 v102, v108
	v_add_f64 v[100:101], v[100:101], v[102:103]
	v_cmp_lt_f64_e32 vcc, v[98:99], v[100:101]
	v_mov_b32_e32 v98, s0
	s_add_i32 s0, s0, 1
	s_cmp_lg_u32 s22, s0
	v_cndmask_b32_e32 v115, v115, v107, vcc
	v_cndmask_b32_e32 v114, v114, v106, vcc
	;; [unrolled: 1-line block ×5, first 2 shown]
	s_cbranch_scc1 .LBB54_211
.LBB54_212:
	s_waitcnt lgkmcnt(0)
	v_cmp_eq_f64_e32 vcc, 0, v[114:115]
	v_cmp_eq_f64_e64 s[0:1], 0, v[116:117]
	s_and_b64 s[0:1], vcc, s[0:1]
	s_and_saveexec_b64 s[8:9], s[0:1]
	s_xor_b64 s[0:1], exec, s[8:9]
; %bb.213:
	v_cmp_ne_u32_e32 vcc, 0, v120
	v_cndmask_b32_e32 v120, 11, v120, vcc
; %bb.214:
	s_andn2_saveexec_b64 s[0:1], s[0:1]
	s_cbranch_execz .LBB54_220
; %bb.215:
	v_cmp_ngt_f64_e64 s[8:9], |v[114:115]|, |v[116:117]|
	s_and_saveexec_b64 s[20:21], s[8:9]
	s_xor_b64 s[8:9], exec, s[20:21]
	s_cbranch_execz .LBB54_217
; %bb.216:
	v_div_scale_f64 v[98:99], s[20:21], v[116:117], v[116:117], v[114:115]
	v_rcp_f64_e32 v[100:101], v[98:99]
	v_fma_f64 v[102:103], -v[98:99], v[100:101], 1.0
	v_fma_f64 v[100:101], v[100:101], v[102:103], v[100:101]
	v_div_scale_f64 v[102:103], vcc, v[114:115], v[116:117], v[114:115]
	v_fma_f64 v[104:105], -v[98:99], v[100:101], 1.0
	v_fma_f64 v[100:101], v[100:101], v[104:105], v[100:101]
	v_mul_f64 v[104:105], v[102:103], v[100:101]
	v_fma_f64 v[98:99], -v[98:99], v[104:105], v[102:103]
	v_div_fmas_f64 v[98:99], v[98:99], v[100:101], v[104:105]
	v_div_fixup_f64 v[98:99], v[98:99], v[116:117], v[114:115]
	v_fma_f64 v[100:101], v[114:115], v[98:99], v[116:117]
	v_div_scale_f64 v[102:103], s[20:21], v[100:101], v[100:101], 1.0
	v_div_scale_f64 v[108:109], vcc, 1.0, v[100:101], 1.0
	v_rcp_f64_e32 v[104:105], v[102:103]
	v_fma_f64 v[106:107], -v[102:103], v[104:105], 1.0
	v_fma_f64 v[104:105], v[104:105], v[106:107], v[104:105]
	v_fma_f64 v[106:107], -v[102:103], v[104:105], 1.0
	v_fma_f64 v[104:105], v[104:105], v[106:107], v[104:105]
	v_mul_f64 v[106:107], v[108:109], v[104:105]
	v_fma_f64 v[102:103], -v[102:103], v[106:107], v[108:109]
	v_div_fmas_f64 v[102:103], v[102:103], v[104:105], v[106:107]
	v_div_fixup_f64 v[116:117], v[102:103], v[100:101], 1.0
	v_mul_f64 v[114:115], v[98:99], v[116:117]
	v_xor_b32_e32 v117, 0x80000000, v117
.LBB54_217:
	s_andn2_saveexec_b64 s[8:9], s[8:9]
	s_cbranch_execz .LBB54_219
; %bb.218:
	v_div_scale_f64 v[98:99], s[20:21], v[114:115], v[114:115], v[116:117]
	v_rcp_f64_e32 v[100:101], v[98:99]
	v_fma_f64 v[102:103], -v[98:99], v[100:101], 1.0
	v_fma_f64 v[100:101], v[100:101], v[102:103], v[100:101]
	v_div_scale_f64 v[102:103], vcc, v[116:117], v[114:115], v[116:117]
	v_fma_f64 v[104:105], -v[98:99], v[100:101], 1.0
	v_fma_f64 v[100:101], v[100:101], v[104:105], v[100:101]
	v_mul_f64 v[104:105], v[102:103], v[100:101]
	v_fma_f64 v[98:99], -v[98:99], v[104:105], v[102:103]
	v_div_fmas_f64 v[98:99], v[98:99], v[100:101], v[104:105]
	v_div_fixup_f64 v[98:99], v[98:99], v[114:115], v[116:117]
	v_fma_f64 v[100:101], v[116:117], v[98:99], v[114:115]
	v_div_scale_f64 v[102:103], s[20:21], v[100:101], v[100:101], 1.0
	v_div_scale_f64 v[108:109], vcc, 1.0, v[100:101], 1.0
	v_rcp_f64_e32 v[104:105], v[102:103]
	v_fma_f64 v[106:107], -v[102:103], v[104:105], 1.0
	v_fma_f64 v[104:105], v[104:105], v[106:107], v[104:105]
	v_fma_f64 v[106:107], -v[102:103], v[104:105], 1.0
	v_fma_f64 v[104:105], v[104:105], v[106:107], v[104:105]
	v_mul_f64 v[106:107], v[108:109], v[104:105]
	v_fma_f64 v[102:103], -v[102:103], v[106:107], v[108:109]
	v_div_fmas_f64 v[102:103], v[102:103], v[104:105], v[106:107]
	v_div_fixup_f64 v[114:115], v[102:103], v[100:101], 1.0
	v_mul_f64 v[116:117], v[98:99], -v[114:115]
.LBB54_219:
	s_or_b64 exec, exec, s[8:9]
.LBB54_220:
	s_or_b64 exec, exec, s[0:1]
	v_cmp_ne_u32_e32 vcc, v124, v122
	s_and_saveexec_b64 s[0:1], vcc
	s_xor_b64 s[0:1], exec, s[0:1]
	s_cbranch_execz .LBB54_226
; %bb.221:
	v_cmp_eq_u32_e32 vcc, 10, v124
	s_and_saveexec_b64 s[8:9], vcc
	s_cbranch_execz .LBB54_225
; %bb.222:
	v_cmp_ne_u32_e32 vcc, 10, v122
	s_xor_b64 s[20:21], s[18:19], -1
	s_and_b64 s[24:25], s[20:21], vcc
	s_and_saveexec_b64 s[20:21], s[24:25]
	s_cbranch_execz .LBB54_224
; %bb.223:
	buffer_load_dword v94, off, s[28:31], 0 offset:48 ; 4-byte Folded Reload
	buffer_load_dword v95, off, s[28:31], 0 offset:52 ; 4-byte Folded Reload
	v_ashrrev_i32_e32 v123, 31, v122
	v_lshlrev_b64 v[98:99], 2, v[122:123]
	s_waitcnt vmcnt(1)
	v_add_co_u32_e32 v98, vcc, v94, v98
	s_waitcnt vmcnt(0)
	v_addc_co_u32_e32 v99, vcc, v95, v99, vcc
	global_load_dword v0, v[98:99], off
	global_load_dword v100, v[94:95], off offset:40
	s_waitcnt vmcnt(1)
	global_store_dword v[94:95], v0, off offset:40
	s_waitcnt vmcnt(1)
	global_store_dword v[98:99], v100, off
.LBB54_224:
	s_or_b64 exec, exec, s[20:21]
	v_mov_b32_e32 v124, v122
	v_mov_b32_e32 v0, v122
.LBB54_225:
	s_or_b64 exec, exec, s[8:9]
.LBB54_226:
	s_andn2_saveexec_b64 s[0:1], s[0:1]
	s_cbranch_execz .LBB54_228
; %bb.227:
	v_mov_b32_e32 v124, 10
	ds_write2_b64 v1, v[62:63], v[64:65] offset0:22 offset1:23
	ds_write2_b64 v1, v[58:59], v[60:61] offset0:24 offset1:25
	;; [unrolled: 1-line block ×17, first 2 shown]
.LBB54_228:
	s_or_b64 exec, exec, s[0:1]
	v_cmp_lt_i32_e32 vcc, 10, v124
	s_waitcnt vmcnt(0) lgkmcnt(0)
	s_barrier
	s_and_saveexec_b64 s[0:1], vcc
	s_cbranch_execz .LBB54_230
; %bb.229:
	v_mul_f64 v[98:99], v[116:117], v[68:69]
	v_mul_f64 v[68:69], v[114:115], v[68:69]
	ds_read2_b64 v[106:109], v1 offset0:22 offset1:23
	v_fma_f64 v[122:123], v[114:115], v[66:67], -v[98:99]
	v_fma_f64 v[68:69], v[116:117], v[66:67], v[68:69]
	s_waitcnt lgkmcnt(0)
	v_mul_f64 v[66:67], v[108:109], v[68:69]
	v_mul_f64 v[98:99], v[106:107], v[68:69]
	v_fma_f64 v[66:67], v[106:107], v[122:123], -v[66:67]
	v_fma_f64 v[98:99], v[108:109], v[122:123], v[98:99]
	ds_read2_b64 v[106:109], v1 offset0:24 offset1:25
	v_add_f64 v[62:63], v[62:63], -v[66:67]
	v_add_f64 v[64:65], v[64:65], -v[98:99]
	s_waitcnt lgkmcnt(0)
	v_mul_f64 v[66:67], v[108:109], v[68:69]
	v_mul_f64 v[98:99], v[106:107], v[68:69]
	v_fma_f64 v[66:67], v[106:107], v[122:123], -v[66:67]
	v_fma_f64 v[98:99], v[108:109], v[122:123], v[98:99]
	ds_read2_b64 v[106:109], v1 offset0:26 offset1:27
	v_add_f64 v[58:59], v[58:59], -v[66:67]
	v_add_f64 v[60:61], v[60:61], -v[98:99]
	;; [unrolled: 8-line block ×16, first 2 shown]
	s_waitcnt lgkmcnt(0)
	v_mul_f64 v[66:67], v[108:109], v[68:69]
	v_mul_f64 v[98:99], v[106:107], v[68:69]
	v_fma_f64 v[66:67], v[106:107], v[122:123], -v[66:67]
	v_fma_f64 v[98:99], v[108:109], v[122:123], v[98:99]
	v_add_f64 v[110:111], v[110:111], -v[66:67]
	v_add_f64 v[112:113], v[112:113], -v[98:99]
	v_mov_b32_e32 v66, v122
	v_mov_b32_e32 v67, v123
.LBB54_230:
	s_or_b64 exec, exec, s[0:1]
	v_lshl_add_u32 v98, v124, 4, v1
	s_barrier
	ds_write2_b64 v98, v[62:63], v[64:65] offset1:1
	s_waitcnt lgkmcnt(0)
	s_barrier
	ds_read2_b64 v[114:117], v1 offset0:22 offset1:23
	s_cmp_lt_i32 s22, 13
	v_mov_b32_e32 v122, 11
	s_cbranch_scc1 .LBB54_233
; %bb.231:
	v_add_u32_e32 v118, 0xc0, v1
	s_mov_b32 s0, 12
	v_mov_b32_e32 v122, 11
.LBB54_232:                             ; =>This Inner Loop Header: Depth=1
	s_waitcnt lgkmcnt(0)
	v_cmp_gt_f64_e32 vcc, 0, v[114:115]
	v_xor_b32_e32 v98, 0x80000000, v115
	ds_read2_b64 v[106:109], v118 offset1:1
	v_xor_b32_e32 v100, 0x80000000, v117
	v_add_u32_e32 v118, 16, v118
	s_waitcnt lgkmcnt(0)
	v_xor_b32_e32 v102, 0x80000000, v109
	v_cndmask_b32_e32 v99, v115, v98, vcc
	v_cmp_gt_f64_e32 vcc, 0, v[116:117]
	v_mov_b32_e32 v98, v114
	v_cndmask_b32_e32 v101, v117, v100, vcc
	v_cmp_gt_f64_e32 vcc, 0, v[106:107]
	v_mov_b32_e32 v100, v116
	v_add_f64 v[98:99], v[98:99], v[100:101]
	v_xor_b32_e32 v100, 0x80000000, v107
	v_cndmask_b32_e32 v101, v107, v100, vcc
	v_cmp_gt_f64_e32 vcc, 0, v[108:109]
	v_mov_b32_e32 v100, v106
	v_cndmask_b32_e32 v103, v109, v102, vcc
	v_mov_b32_e32 v102, v108
	v_add_f64 v[100:101], v[100:101], v[102:103]
	v_cmp_lt_f64_e32 vcc, v[98:99], v[100:101]
	v_mov_b32_e32 v98, s0
	s_add_i32 s0, s0, 1
	s_cmp_lg_u32 s22, s0
	v_cndmask_b32_e32 v115, v115, v107, vcc
	v_cndmask_b32_e32 v114, v114, v106, vcc
	;; [unrolled: 1-line block ×5, first 2 shown]
	s_cbranch_scc1 .LBB54_232
.LBB54_233:
	s_waitcnt lgkmcnt(0)
	v_cmp_eq_f64_e32 vcc, 0, v[114:115]
	v_cmp_eq_f64_e64 s[0:1], 0, v[116:117]
	s_and_b64 s[0:1], vcc, s[0:1]
	s_and_saveexec_b64 s[8:9], s[0:1]
	s_xor_b64 s[0:1], exec, s[8:9]
; %bb.234:
	v_cmp_ne_u32_e32 vcc, 0, v120
	v_cndmask_b32_e32 v120, 12, v120, vcc
; %bb.235:
	s_andn2_saveexec_b64 s[0:1], s[0:1]
	s_cbranch_execz .LBB54_241
; %bb.236:
	v_cmp_ngt_f64_e64 s[8:9], |v[114:115]|, |v[116:117]|
	s_and_saveexec_b64 s[20:21], s[8:9]
	s_xor_b64 s[8:9], exec, s[20:21]
	s_cbranch_execz .LBB54_238
; %bb.237:
	v_div_scale_f64 v[98:99], s[20:21], v[116:117], v[116:117], v[114:115]
	v_rcp_f64_e32 v[100:101], v[98:99]
	v_fma_f64 v[102:103], -v[98:99], v[100:101], 1.0
	v_fma_f64 v[100:101], v[100:101], v[102:103], v[100:101]
	v_div_scale_f64 v[102:103], vcc, v[114:115], v[116:117], v[114:115]
	v_fma_f64 v[104:105], -v[98:99], v[100:101], 1.0
	v_fma_f64 v[100:101], v[100:101], v[104:105], v[100:101]
	v_mul_f64 v[104:105], v[102:103], v[100:101]
	v_fma_f64 v[98:99], -v[98:99], v[104:105], v[102:103]
	v_div_fmas_f64 v[98:99], v[98:99], v[100:101], v[104:105]
	v_div_fixup_f64 v[98:99], v[98:99], v[116:117], v[114:115]
	v_fma_f64 v[100:101], v[114:115], v[98:99], v[116:117]
	v_div_scale_f64 v[102:103], s[20:21], v[100:101], v[100:101], 1.0
	v_div_scale_f64 v[108:109], vcc, 1.0, v[100:101], 1.0
	v_rcp_f64_e32 v[104:105], v[102:103]
	v_fma_f64 v[106:107], -v[102:103], v[104:105], 1.0
	v_fma_f64 v[104:105], v[104:105], v[106:107], v[104:105]
	v_fma_f64 v[106:107], -v[102:103], v[104:105], 1.0
	v_fma_f64 v[104:105], v[104:105], v[106:107], v[104:105]
	v_mul_f64 v[106:107], v[108:109], v[104:105]
	v_fma_f64 v[102:103], -v[102:103], v[106:107], v[108:109]
	v_div_fmas_f64 v[102:103], v[102:103], v[104:105], v[106:107]
	v_div_fixup_f64 v[116:117], v[102:103], v[100:101], 1.0
	v_mul_f64 v[114:115], v[98:99], v[116:117]
	v_xor_b32_e32 v117, 0x80000000, v117
.LBB54_238:
	s_andn2_saveexec_b64 s[8:9], s[8:9]
	s_cbranch_execz .LBB54_240
; %bb.239:
	v_div_scale_f64 v[98:99], s[20:21], v[114:115], v[114:115], v[116:117]
	v_rcp_f64_e32 v[100:101], v[98:99]
	v_fma_f64 v[102:103], -v[98:99], v[100:101], 1.0
	v_fma_f64 v[100:101], v[100:101], v[102:103], v[100:101]
	v_div_scale_f64 v[102:103], vcc, v[116:117], v[114:115], v[116:117]
	v_fma_f64 v[104:105], -v[98:99], v[100:101], 1.0
	v_fma_f64 v[100:101], v[100:101], v[104:105], v[100:101]
	v_mul_f64 v[104:105], v[102:103], v[100:101]
	v_fma_f64 v[98:99], -v[98:99], v[104:105], v[102:103]
	v_div_fmas_f64 v[98:99], v[98:99], v[100:101], v[104:105]
	v_div_fixup_f64 v[98:99], v[98:99], v[114:115], v[116:117]
	v_fma_f64 v[100:101], v[116:117], v[98:99], v[114:115]
	v_div_scale_f64 v[102:103], s[20:21], v[100:101], v[100:101], 1.0
	v_div_scale_f64 v[108:109], vcc, 1.0, v[100:101], 1.0
	v_rcp_f64_e32 v[104:105], v[102:103]
	v_fma_f64 v[106:107], -v[102:103], v[104:105], 1.0
	v_fma_f64 v[104:105], v[104:105], v[106:107], v[104:105]
	v_fma_f64 v[106:107], -v[102:103], v[104:105], 1.0
	v_fma_f64 v[104:105], v[104:105], v[106:107], v[104:105]
	v_mul_f64 v[106:107], v[108:109], v[104:105]
	v_fma_f64 v[102:103], -v[102:103], v[106:107], v[108:109]
	v_div_fmas_f64 v[102:103], v[102:103], v[104:105], v[106:107]
	v_div_fixup_f64 v[114:115], v[102:103], v[100:101], 1.0
	v_mul_f64 v[116:117], v[98:99], -v[114:115]
.LBB54_240:
	s_or_b64 exec, exec, s[8:9]
.LBB54_241:
	s_or_b64 exec, exec, s[0:1]
	v_cmp_ne_u32_e32 vcc, v124, v122
	s_and_saveexec_b64 s[0:1], vcc
	s_xor_b64 s[0:1], exec, s[0:1]
	s_cbranch_execz .LBB54_247
; %bb.242:
	v_cmp_eq_u32_e32 vcc, 11, v124
	s_and_saveexec_b64 s[8:9], vcc
	s_cbranch_execz .LBB54_246
; %bb.243:
	v_cmp_ne_u32_e32 vcc, 11, v122
	s_xor_b64 s[20:21], s[18:19], -1
	s_and_b64 s[24:25], s[20:21], vcc
	s_and_saveexec_b64 s[20:21], s[24:25]
	s_cbranch_execz .LBB54_245
; %bb.244:
	buffer_load_dword v94, off, s[28:31], 0 offset:48 ; 4-byte Folded Reload
	buffer_load_dword v95, off, s[28:31], 0 offset:52 ; 4-byte Folded Reload
	v_ashrrev_i32_e32 v123, 31, v122
	v_lshlrev_b64 v[98:99], 2, v[122:123]
	s_waitcnt vmcnt(1)
	v_add_co_u32_e32 v98, vcc, v94, v98
	s_waitcnt vmcnt(0)
	v_addc_co_u32_e32 v99, vcc, v95, v99, vcc
	global_load_dword v0, v[98:99], off
	global_load_dword v100, v[94:95], off offset:44
	s_waitcnt vmcnt(1)
	global_store_dword v[94:95], v0, off offset:44
	s_waitcnt vmcnt(1)
	global_store_dword v[98:99], v100, off
.LBB54_245:
	s_or_b64 exec, exec, s[20:21]
	v_mov_b32_e32 v124, v122
	v_mov_b32_e32 v0, v122
.LBB54_246:
	s_or_b64 exec, exec, s[8:9]
.LBB54_247:
	s_andn2_saveexec_b64 s[0:1], s[0:1]
	s_cbranch_execz .LBB54_249
; %bb.248:
	v_mov_b32_e32 v124, 11
	ds_write2_b64 v1, v[58:59], v[60:61] offset0:24 offset1:25
	ds_write2_b64 v1, v[54:55], v[56:57] offset0:26 offset1:27
	;; [unrolled: 1-line block ×16, first 2 shown]
.LBB54_249:
	s_or_b64 exec, exec, s[0:1]
	v_cmp_lt_i32_e32 vcc, 11, v124
	s_waitcnt vmcnt(0) lgkmcnt(0)
	s_barrier
	s_and_saveexec_b64 s[0:1], vcc
	s_cbranch_execz .LBB54_251
; %bb.250:
	v_mul_f64 v[98:99], v[114:115], v[64:65]
	v_mul_f64 v[64:65], v[116:117], v[64:65]
	ds_read2_b64 v[106:109], v1 offset0:24 offset1:25
	v_fma_f64 v[122:123], v[116:117], v[62:63], v[98:99]
	v_fma_f64 v[62:63], v[114:115], v[62:63], -v[64:65]
	s_waitcnt lgkmcnt(0)
	v_mul_f64 v[64:65], v[108:109], v[122:123]
	v_mul_f64 v[98:99], v[106:107], v[122:123]
	v_fma_f64 v[64:65], v[106:107], v[62:63], -v[64:65]
	v_fma_f64 v[98:99], v[108:109], v[62:63], v[98:99]
	ds_read2_b64 v[106:109], v1 offset0:26 offset1:27
	v_add_f64 v[58:59], v[58:59], -v[64:65]
	v_add_f64 v[60:61], v[60:61], -v[98:99]
	s_waitcnt lgkmcnt(0)
	v_mul_f64 v[64:65], v[108:109], v[122:123]
	v_mul_f64 v[98:99], v[106:107], v[122:123]
	v_fma_f64 v[64:65], v[106:107], v[62:63], -v[64:65]
	v_fma_f64 v[98:99], v[108:109], v[62:63], v[98:99]
	ds_read2_b64 v[106:109], v1 offset0:28 offset1:29
	v_add_f64 v[54:55], v[54:55], -v[64:65]
	v_add_f64 v[56:57], v[56:57], -v[98:99]
	;; [unrolled: 8-line block ×15, first 2 shown]
	s_waitcnt lgkmcnt(0)
	v_mul_f64 v[64:65], v[108:109], v[122:123]
	v_mul_f64 v[98:99], v[106:107], v[122:123]
	v_fma_f64 v[64:65], v[106:107], v[62:63], -v[64:65]
	v_fma_f64 v[98:99], v[108:109], v[62:63], v[98:99]
	v_add_f64 v[110:111], v[110:111], -v[64:65]
	v_add_f64 v[112:113], v[112:113], -v[98:99]
	v_mov_b32_e32 v64, v122
	v_mov_b32_e32 v65, v123
.LBB54_251:
	s_or_b64 exec, exec, s[0:1]
	v_lshl_add_u32 v98, v124, 4, v1
	s_barrier
	ds_write2_b64 v98, v[58:59], v[60:61] offset1:1
	s_waitcnt lgkmcnt(0)
	s_barrier
	ds_read2_b64 v[114:117], v1 offset0:24 offset1:25
	s_cmp_lt_i32 s22, 14
	v_mov_b32_e32 v122, 12
	s_cbranch_scc1 .LBB54_254
; %bb.252:
	v_add_u32_e32 v118, 0xd0, v1
	s_mov_b32 s0, 13
	v_mov_b32_e32 v122, 12
.LBB54_253:                             ; =>This Inner Loop Header: Depth=1
	s_waitcnt lgkmcnt(0)
	v_cmp_gt_f64_e32 vcc, 0, v[114:115]
	v_xor_b32_e32 v98, 0x80000000, v115
	ds_read2_b64 v[106:109], v118 offset1:1
	v_xor_b32_e32 v100, 0x80000000, v117
	v_add_u32_e32 v118, 16, v118
	s_waitcnt lgkmcnt(0)
	v_xor_b32_e32 v102, 0x80000000, v109
	v_cndmask_b32_e32 v99, v115, v98, vcc
	v_cmp_gt_f64_e32 vcc, 0, v[116:117]
	v_mov_b32_e32 v98, v114
	v_cndmask_b32_e32 v101, v117, v100, vcc
	v_cmp_gt_f64_e32 vcc, 0, v[106:107]
	v_mov_b32_e32 v100, v116
	v_add_f64 v[98:99], v[98:99], v[100:101]
	v_xor_b32_e32 v100, 0x80000000, v107
	v_cndmask_b32_e32 v101, v107, v100, vcc
	v_cmp_gt_f64_e32 vcc, 0, v[108:109]
	v_mov_b32_e32 v100, v106
	v_cndmask_b32_e32 v103, v109, v102, vcc
	v_mov_b32_e32 v102, v108
	v_add_f64 v[100:101], v[100:101], v[102:103]
	v_cmp_lt_f64_e32 vcc, v[98:99], v[100:101]
	v_mov_b32_e32 v98, s0
	s_add_i32 s0, s0, 1
	s_cmp_lg_u32 s22, s0
	v_cndmask_b32_e32 v115, v115, v107, vcc
	v_cndmask_b32_e32 v114, v114, v106, vcc
	;; [unrolled: 1-line block ×5, first 2 shown]
	s_cbranch_scc1 .LBB54_253
.LBB54_254:
	s_waitcnt lgkmcnt(0)
	v_cmp_eq_f64_e32 vcc, 0, v[114:115]
	v_cmp_eq_f64_e64 s[0:1], 0, v[116:117]
	s_and_b64 s[0:1], vcc, s[0:1]
	s_and_saveexec_b64 s[8:9], s[0:1]
	s_xor_b64 s[0:1], exec, s[8:9]
; %bb.255:
	v_cmp_ne_u32_e32 vcc, 0, v120
	v_cndmask_b32_e32 v120, 13, v120, vcc
; %bb.256:
	s_andn2_saveexec_b64 s[0:1], s[0:1]
	s_cbranch_execz .LBB54_262
; %bb.257:
	v_cmp_ngt_f64_e64 s[8:9], |v[114:115]|, |v[116:117]|
	s_and_saveexec_b64 s[20:21], s[8:9]
	s_xor_b64 s[8:9], exec, s[20:21]
	s_cbranch_execz .LBB54_259
; %bb.258:
	v_div_scale_f64 v[98:99], s[20:21], v[116:117], v[116:117], v[114:115]
	v_rcp_f64_e32 v[100:101], v[98:99]
	v_fma_f64 v[102:103], -v[98:99], v[100:101], 1.0
	v_fma_f64 v[100:101], v[100:101], v[102:103], v[100:101]
	v_div_scale_f64 v[102:103], vcc, v[114:115], v[116:117], v[114:115]
	v_fma_f64 v[104:105], -v[98:99], v[100:101], 1.0
	v_fma_f64 v[100:101], v[100:101], v[104:105], v[100:101]
	v_mul_f64 v[104:105], v[102:103], v[100:101]
	v_fma_f64 v[98:99], -v[98:99], v[104:105], v[102:103]
	v_div_fmas_f64 v[98:99], v[98:99], v[100:101], v[104:105]
	v_div_fixup_f64 v[98:99], v[98:99], v[116:117], v[114:115]
	v_fma_f64 v[100:101], v[114:115], v[98:99], v[116:117]
	v_div_scale_f64 v[102:103], s[20:21], v[100:101], v[100:101], 1.0
	v_div_scale_f64 v[108:109], vcc, 1.0, v[100:101], 1.0
	v_rcp_f64_e32 v[104:105], v[102:103]
	v_fma_f64 v[106:107], -v[102:103], v[104:105], 1.0
	v_fma_f64 v[104:105], v[104:105], v[106:107], v[104:105]
	v_fma_f64 v[106:107], -v[102:103], v[104:105], 1.0
	v_fma_f64 v[104:105], v[104:105], v[106:107], v[104:105]
	v_mul_f64 v[106:107], v[108:109], v[104:105]
	v_fma_f64 v[102:103], -v[102:103], v[106:107], v[108:109]
	v_div_fmas_f64 v[102:103], v[102:103], v[104:105], v[106:107]
	v_div_fixup_f64 v[116:117], v[102:103], v[100:101], 1.0
	v_mul_f64 v[114:115], v[98:99], v[116:117]
	v_xor_b32_e32 v117, 0x80000000, v117
.LBB54_259:
	s_andn2_saveexec_b64 s[8:9], s[8:9]
	s_cbranch_execz .LBB54_261
; %bb.260:
	v_div_scale_f64 v[98:99], s[20:21], v[114:115], v[114:115], v[116:117]
	v_rcp_f64_e32 v[100:101], v[98:99]
	v_fma_f64 v[102:103], -v[98:99], v[100:101], 1.0
	v_fma_f64 v[100:101], v[100:101], v[102:103], v[100:101]
	v_div_scale_f64 v[102:103], vcc, v[116:117], v[114:115], v[116:117]
	v_fma_f64 v[104:105], -v[98:99], v[100:101], 1.0
	v_fma_f64 v[100:101], v[100:101], v[104:105], v[100:101]
	v_mul_f64 v[104:105], v[102:103], v[100:101]
	v_fma_f64 v[98:99], -v[98:99], v[104:105], v[102:103]
	v_div_fmas_f64 v[98:99], v[98:99], v[100:101], v[104:105]
	v_div_fixup_f64 v[98:99], v[98:99], v[114:115], v[116:117]
	v_fma_f64 v[100:101], v[116:117], v[98:99], v[114:115]
	v_div_scale_f64 v[102:103], s[20:21], v[100:101], v[100:101], 1.0
	v_div_scale_f64 v[108:109], vcc, 1.0, v[100:101], 1.0
	v_rcp_f64_e32 v[104:105], v[102:103]
	v_fma_f64 v[106:107], -v[102:103], v[104:105], 1.0
	v_fma_f64 v[104:105], v[104:105], v[106:107], v[104:105]
	v_fma_f64 v[106:107], -v[102:103], v[104:105], 1.0
	v_fma_f64 v[104:105], v[104:105], v[106:107], v[104:105]
	v_mul_f64 v[106:107], v[108:109], v[104:105]
	v_fma_f64 v[102:103], -v[102:103], v[106:107], v[108:109]
	v_div_fmas_f64 v[102:103], v[102:103], v[104:105], v[106:107]
	v_div_fixup_f64 v[114:115], v[102:103], v[100:101], 1.0
	v_mul_f64 v[116:117], v[98:99], -v[114:115]
.LBB54_261:
	s_or_b64 exec, exec, s[8:9]
.LBB54_262:
	s_or_b64 exec, exec, s[0:1]
	v_cmp_ne_u32_e32 vcc, v124, v122
	s_and_saveexec_b64 s[0:1], vcc
	s_xor_b64 s[0:1], exec, s[0:1]
	s_cbranch_execz .LBB54_268
; %bb.263:
	v_cmp_eq_u32_e32 vcc, 12, v124
	s_and_saveexec_b64 s[8:9], vcc
	s_cbranch_execz .LBB54_267
; %bb.264:
	v_cmp_ne_u32_e32 vcc, 12, v122
	s_xor_b64 s[20:21], s[18:19], -1
	s_and_b64 s[24:25], s[20:21], vcc
	s_and_saveexec_b64 s[20:21], s[24:25]
	s_cbranch_execz .LBB54_266
; %bb.265:
	buffer_load_dword v94, off, s[28:31], 0 offset:48 ; 4-byte Folded Reload
	buffer_load_dword v95, off, s[28:31], 0 offset:52 ; 4-byte Folded Reload
	v_ashrrev_i32_e32 v123, 31, v122
	v_lshlrev_b64 v[98:99], 2, v[122:123]
	s_waitcnt vmcnt(1)
	v_add_co_u32_e32 v98, vcc, v94, v98
	s_waitcnt vmcnt(0)
	v_addc_co_u32_e32 v99, vcc, v95, v99, vcc
	global_load_dword v0, v[98:99], off
	global_load_dword v100, v[94:95], off offset:48
	s_waitcnt vmcnt(1)
	global_store_dword v[94:95], v0, off offset:48
	s_waitcnt vmcnt(1)
	global_store_dword v[98:99], v100, off
.LBB54_266:
	s_or_b64 exec, exec, s[20:21]
	v_mov_b32_e32 v124, v122
	v_mov_b32_e32 v0, v122
.LBB54_267:
	s_or_b64 exec, exec, s[8:9]
.LBB54_268:
	s_andn2_saveexec_b64 s[0:1], s[0:1]
	s_cbranch_execz .LBB54_270
; %bb.269:
	v_mov_b32_e32 v124, 12
	ds_write2_b64 v1, v[54:55], v[56:57] offset0:26 offset1:27
	ds_write2_b64 v1, v[50:51], v[52:53] offset0:28 offset1:29
	ds_write2_b64 v1, v[46:47], v[48:49] offset0:30 offset1:31
	ds_write2_b64 v1, v[42:43], v[44:45] offset0:32 offset1:33
	ds_write2_b64 v1, v[38:39], v[40:41] offset0:34 offset1:35
	ds_write2_b64 v1, v[34:35], v[36:37] offset0:36 offset1:37
	ds_write2_b64 v1, v[30:31], v[32:33] offset0:38 offset1:39
	ds_write2_b64 v1, v[26:27], v[28:29] offset0:40 offset1:41
	ds_write2_b64 v1, v[22:23], v[24:25] offset0:42 offset1:43
	ds_write2_b64 v1, v[18:19], v[20:21] offset0:44 offset1:45
	ds_write2_b64 v1, v[14:15], v[16:17] offset0:46 offset1:47
	ds_write2_b64 v1, v[10:11], v[12:13] offset0:48 offset1:49
	ds_write2_b64 v1, v[6:7], v[8:9] offset0:50 offset1:51
	ds_write2_b64 v1, v[2:3], v[4:5] offset0:52 offset1:53
	ds_write2_b64 v1, v[110:111], v[112:113] offset0:54 offset1:55
.LBB54_270:
	s_or_b64 exec, exec, s[0:1]
	v_cmp_lt_i32_e32 vcc, 12, v124
	s_waitcnt vmcnt(0) lgkmcnt(0)
	s_barrier
	s_and_saveexec_b64 s[0:1], vcc
	s_cbranch_execz .LBB54_272
; %bb.271:
	v_mul_f64 v[98:99], v[114:115], v[60:61]
	v_mul_f64 v[60:61], v[116:117], v[60:61]
	ds_read2_b64 v[106:109], v1 offset0:26 offset1:27
	v_fma_f64 v[122:123], v[116:117], v[58:59], v[98:99]
	v_fma_f64 v[58:59], v[114:115], v[58:59], -v[60:61]
	s_waitcnt lgkmcnt(0)
	v_mul_f64 v[60:61], v[108:109], v[122:123]
	v_mul_f64 v[98:99], v[106:107], v[122:123]
	v_fma_f64 v[60:61], v[106:107], v[58:59], -v[60:61]
	v_fma_f64 v[98:99], v[108:109], v[58:59], v[98:99]
	ds_read2_b64 v[106:109], v1 offset0:28 offset1:29
	v_add_f64 v[54:55], v[54:55], -v[60:61]
	v_add_f64 v[56:57], v[56:57], -v[98:99]
	s_waitcnt lgkmcnt(0)
	v_mul_f64 v[60:61], v[108:109], v[122:123]
	v_mul_f64 v[98:99], v[106:107], v[122:123]
	v_fma_f64 v[60:61], v[106:107], v[58:59], -v[60:61]
	v_fma_f64 v[98:99], v[108:109], v[58:59], v[98:99]
	ds_read2_b64 v[106:109], v1 offset0:30 offset1:31
	v_add_f64 v[50:51], v[50:51], -v[60:61]
	v_add_f64 v[52:53], v[52:53], -v[98:99]
	;; [unrolled: 8-line block ×14, first 2 shown]
	s_waitcnt lgkmcnt(0)
	v_mul_f64 v[60:61], v[108:109], v[122:123]
	v_mul_f64 v[98:99], v[106:107], v[122:123]
	v_fma_f64 v[60:61], v[106:107], v[58:59], -v[60:61]
	v_fma_f64 v[98:99], v[108:109], v[58:59], v[98:99]
	v_add_f64 v[110:111], v[110:111], -v[60:61]
	v_add_f64 v[112:113], v[112:113], -v[98:99]
	v_mov_b32_e32 v60, v122
	v_mov_b32_e32 v61, v123
.LBB54_272:
	s_or_b64 exec, exec, s[0:1]
	v_lshl_add_u32 v98, v124, 4, v1
	s_barrier
	ds_write2_b64 v98, v[54:55], v[56:57] offset1:1
	s_waitcnt lgkmcnt(0)
	s_barrier
	ds_read2_b64 v[114:117], v1 offset0:26 offset1:27
	s_cmp_lt_i32 s22, 15
	v_mov_b32_e32 v122, 13
	s_cbranch_scc1 .LBB54_275
; %bb.273:
	v_add_u32_e32 v118, 0xe0, v1
	s_mov_b32 s0, 14
	v_mov_b32_e32 v122, 13
.LBB54_274:                             ; =>This Inner Loop Header: Depth=1
	s_waitcnt lgkmcnt(0)
	v_cmp_gt_f64_e32 vcc, 0, v[114:115]
	v_xor_b32_e32 v98, 0x80000000, v115
	ds_read2_b64 v[106:109], v118 offset1:1
	v_xor_b32_e32 v100, 0x80000000, v117
	v_add_u32_e32 v118, 16, v118
	s_waitcnt lgkmcnt(0)
	v_xor_b32_e32 v102, 0x80000000, v109
	v_cndmask_b32_e32 v99, v115, v98, vcc
	v_cmp_gt_f64_e32 vcc, 0, v[116:117]
	v_mov_b32_e32 v98, v114
	v_cndmask_b32_e32 v101, v117, v100, vcc
	v_cmp_gt_f64_e32 vcc, 0, v[106:107]
	v_mov_b32_e32 v100, v116
	v_add_f64 v[98:99], v[98:99], v[100:101]
	v_xor_b32_e32 v100, 0x80000000, v107
	v_cndmask_b32_e32 v101, v107, v100, vcc
	v_cmp_gt_f64_e32 vcc, 0, v[108:109]
	v_mov_b32_e32 v100, v106
	v_cndmask_b32_e32 v103, v109, v102, vcc
	v_mov_b32_e32 v102, v108
	v_add_f64 v[100:101], v[100:101], v[102:103]
	v_cmp_lt_f64_e32 vcc, v[98:99], v[100:101]
	v_mov_b32_e32 v98, s0
	s_add_i32 s0, s0, 1
	s_cmp_lg_u32 s22, s0
	v_cndmask_b32_e32 v115, v115, v107, vcc
	v_cndmask_b32_e32 v114, v114, v106, vcc
	;; [unrolled: 1-line block ×5, first 2 shown]
	s_cbranch_scc1 .LBB54_274
.LBB54_275:
	s_waitcnt lgkmcnt(0)
	v_cmp_eq_f64_e32 vcc, 0, v[114:115]
	v_cmp_eq_f64_e64 s[0:1], 0, v[116:117]
	s_and_b64 s[0:1], vcc, s[0:1]
	s_and_saveexec_b64 s[8:9], s[0:1]
	s_xor_b64 s[0:1], exec, s[8:9]
; %bb.276:
	v_cmp_ne_u32_e32 vcc, 0, v120
	v_cndmask_b32_e32 v120, 14, v120, vcc
; %bb.277:
	s_andn2_saveexec_b64 s[0:1], s[0:1]
	s_cbranch_execz .LBB54_283
; %bb.278:
	v_cmp_ngt_f64_e64 s[8:9], |v[114:115]|, |v[116:117]|
	s_and_saveexec_b64 s[20:21], s[8:9]
	s_xor_b64 s[8:9], exec, s[20:21]
	s_cbranch_execz .LBB54_280
; %bb.279:
	v_div_scale_f64 v[98:99], s[20:21], v[116:117], v[116:117], v[114:115]
	v_rcp_f64_e32 v[100:101], v[98:99]
	v_fma_f64 v[102:103], -v[98:99], v[100:101], 1.0
	v_fma_f64 v[100:101], v[100:101], v[102:103], v[100:101]
	v_div_scale_f64 v[102:103], vcc, v[114:115], v[116:117], v[114:115]
	v_fma_f64 v[104:105], -v[98:99], v[100:101], 1.0
	v_fma_f64 v[100:101], v[100:101], v[104:105], v[100:101]
	v_mul_f64 v[104:105], v[102:103], v[100:101]
	v_fma_f64 v[98:99], -v[98:99], v[104:105], v[102:103]
	v_div_fmas_f64 v[98:99], v[98:99], v[100:101], v[104:105]
	v_div_fixup_f64 v[98:99], v[98:99], v[116:117], v[114:115]
	v_fma_f64 v[100:101], v[114:115], v[98:99], v[116:117]
	v_div_scale_f64 v[102:103], s[20:21], v[100:101], v[100:101], 1.0
	v_div_scale_f64 v[108:109], vcc, 1.0, v[100:101], 1.0
	v_rcp_f64_e32 v[104:105], v[102:103]
	v_fma_f64 v[106:107], -v[102:103], v[104:105], 1.0
	v_fma_f64 v[104:105], v[104:105], v[106:107], v[104:105]
	v_fma_f64 v[106:107], -v[102:103], v[104:105], 1.0
	v_fma_f64 v[104:105], v[104:105], v[106:107], v[104:105]
	v_mul_f64 v[106:107], v[108:109], v[104:105]
	v_fma_f64 v[102:103], -v[102:103], v[106:107], v[108:109]
	v_div_fmas_f64 v[102:103], v[102:103], v[104:105], v[106:107]
	v_div_fixup_f64 v[116:117], v[102:103], v[100:101], 1.0
	v_mul_f64 v[114:115], v[98:99], v[116:117]
	v_xor_b32_e32 v117, 0x80000000, v117
.LBB54_280:
	s_andn2_saveexec_b64 s[8:9], s[8:9]
	s_cbranch_execz .LBB54_282
; %bb.281:
	v_div_scale_f64 v[98:99], s[20:21], v[114:115], v[114:115], v[116:117]
	v_rcp_f64_e32 v[100:101], v[98:99]
	v_fma_f64 v[102:103], -v[98:99], v[100:101], 1.0
	v_fma_f64 v[100:101], v[100:101], v[102:103], v[100:101]
	v_div_scale_f64 v[102:103], vcc, v[116:117], v[114:115], v[116:117]
	v_fma_f64 v[104:105], -v[98:99], v[100:101], 1.0
	v_fma_f64 v[100:101], v[100:101], v[104:105], v[100:101]
	v_mul_f64 v[104:105], v[102:103], v[100:101]
	v_fma_f64 v[98:99], -v[98:99], v[104:105], v[102:103]
	v_div_fmas_f64 v[98:99], v[98:99], v[100:101], v[104:105]
	v_div_fixup_f64 v[98:99], v[98:99], v[114:115], v[116:117]
	v_fma_f64 v[100:101], v[116:117], v[98:99], v[114:115]
	v_div_scale_f64 v[102:103], s[20:21], v[100:101], v[100:101], 1.0
	v_div_scale_f64 v[108:109], vcc, 1.0, v[100:101], 1.0
	v_rcp_f64_e32 v[104:105], v[102:103]
	v_fma_f64 v[106:107], -v[102:103], v[104:105], 1.0
	v_fma_f64 v[104:105], v[104:105], v[106:107], v[104:105]
	v_fma_f64 v[106:107], -v[102:103], v[104:105], 1.0
	v_fma_f64 v[104:105], v[104:105], v[106:107], v[104:105]
	v_mul_f64 v[106:107], v[108:109], v[104:105]
	v_fma_f64 v[102:103], -v[102:103], v[106:107], v[108:109]
	v_div_fmas_f64 v[102:103], v[102:103], v[104:105], v[106:107]
	v_div_fixup_f64 v[114:115], v[102:103], v[100:101], 1.0
	v_mul_f64 v[116:117], v[98:99], -v[114:115]
.LBB54_282:
	s_or_b64 exec, exec, s[8:9]
.LBB54_283:
	s_or_b64 exec, exec, s[0:1]
	v_cmp_ne_u32_e32 vcc, v124, v122
	s_and_saveexec_b64 s[0:1], vcc
	s_xor_b64 s[0:1], exec, s[0:1]
	s_cbranch_execz .LBB54_289
; %bb.284:
	v_cmp_eq_u32_e32 vcc, 13, v124
	s_and_saveexec_b64 s[8:9], vcc
	s_cbranch_execz .LBB54_288
; %bb.285:
	v_cmp_ne_u32_e32 vcc, 13, v122
	s_xor_b64 s[20:21], s[18:19], -1
	s_and_b64 s[24:25], s[20:21], vcc
	s_and_saveexec_b64 s[20:21], s[24:25]
	s_cbranch_execz .LBB54_287
; %bb.286:
	buffer_load_dword v94, off, s[28:31], 0 offset:48 ; 4-byte Folded Reload
	buffer_load_dword v95, off, s[28:31], 0 offset:52 ; 4-byte Folded Reload
	v_ashrrev_i32_e32 v123, 31, v122
	v_lshlrev_b64 v[98:99], 2, v[122:123]
	s_waitcnt vmcnt(1)
	v_add_co_u32_e32 v98, vcc, v94, v98
	s_waitcnt vmcnt(0)
	v_addc_co_u32_e32 v99, vcc, v95, v99, vcc
	global_load_dword v0, v[98:99], off
	global_load_dword v100, v[94:95], off offset:52
	s_waitcnt vmcnt(1)
	global_store_dword v[94:95], v0, off offset:52
	s_waitcnt vmcnt(1)
	global_store_dword v[98:99], v100, off
.LBB54_287:
	s_or_b64 exec, exec, s[20:21]
	v_mov_b32_e32 v124, v122
	v_mov_b32_e32 v0, v122
.LBB54_288:
	s_or_b64 exec, exec, s[8:9]
.LBB54_289:
	s_andn2_saveexec_b64 s[0:1], s[0:1]
	s_cbranch_execz .LBB54_291
; %bb.290:
	v_mov_b32_e32 v124, 13
	ds_write2_b64 v1, v[50:51], v[52:53] offset0:28 offset1:29
	ds_write2_b64 v1, v[46:47], v[48:49] offset0:30 offset1:31
	;; [unrolled: 1-line block ×14, first 2 shown]
.LBB54_291:
	s_or_b64 exec, exec, s[0:1]
	v_cmp_lt_i32_e32 vcc, 13, v124
	s_waitcnt vmcnt(0) lgkmcnt(0)
	s_barrier
	s_and_saveexec_b64 s[0:1], vcc
	s_cbranch_execz .LBB54_293
; %bb.292:
	v_mul_f64 v[98:99], v[114:115], v[56:57]
	v_mul_f64 v[56:57], v[116:117], v[56:57]
	ds_read2_b64 v[106:109], v1 offset0:28 offset1:29
	v_fma_f64 v[122:123], v[116:117], v[54:55], v[98:99]
	v_fma_f64 v[54:55], v[114:115], v[54:55], -v[56:57]
	s_waitcnt lgkmcnt(0)
	v_mul_f64 v[56:57], v[108:109], v[122:123]
	v_mul_f64 v[98:99], v[106:107], v[122:123]
	v_fma_f64 v[56:57], v[106:107], v[54:55], -v[56:57]
	v_fma_f64 v[98:99], v[108:109], v[54:55], v[98:99]
	ds_read2_b64 v[106:109], v1 offset0:30 offset1:31
	v_add_f64 v[50:51], v[50:51], -v[56:57]
	v_add_f64 v[52:53], v[52:53], -v[98:99]
	s_waitcnt lgkmcnt(0)
	v_mul_f64 v[56:57], v[108:109], v[122:123]
	v_mul_f64 v[98:99], v[106:107], v[122:123]
	v_fma_f64 v[56:57], v[106:107], v[54:55], -v[56:57]
	v_fma_f64 v[98:99], v[108:109], v[54:55], v[98:99]
	ds_read2_b64 v[106:109], v1 offset0:32 offset1:33
	v_add_f64 v[46:47], v[46:47], -v[56:57]
	v_add_f64 v[48:49], v[48:49], -v[98:99]
	;; [unrolled: 8-line block ×13, first 2 shown]
	s_waitcnt lgkmcnt(0)
	v_mul_f64 v[56:57], v[108:109], v[122:123]
	v_mul_f64 v[98:99], v[106:107], v[122:123]
	v_fma_f64 v[56:57], v[106:107], v[54:55], -v[56:57]
	v_fma_f64 v[98:99], v[108:109], v[54:55], v[98:99]
	v_add_f64 v[110:111], v[110:111], -v[56:57]
	v_add_f64 v[112:113], v[112:113], -v[98:99]
	v_mov_b32_e32 v56, v122
	v_mov_b32_e32 v57, v123
.LBB54_293:
	s_or_b64 exec, exec, s[0:1]
	v_lshl_add_u32 v98, v124, 4, v1
	s_barrier
	ds_write2_b64 v98, v[50:51], v[52:53] offset1:1
	s_waitcnt lgkmcnt(0)
	s_barrier
	ds_read2_b64 v[114:117], v1 offset0:28 offset1:29
	s_cmp_lt_i32 s22, 16
	v_mov_b32_e32 v122, 14
	s_cbranch_scc1 .LBB54_296
; %bb.294:
	v_add_u32_e32 v118, 0xf0, v1
	s_mov_b32 s0, 15
	v_mov_b32_e32 v122, 14
.LBB54_295:                             ; =>This Inner Loop Header: Depth=1
	s_waitcnt lgkmcnt(0)
	v_cmp_gt_f64_e32 vcc, 0, v[114:115]
	v_xor_b32_e32 v98, 0x80000000, v115
	ds_read2_b64 v[106:109], v118 offset1:1
	v_xor_b32_e32 v100, 0x80000000, v117
	v_add_u32_e32 v118, 16, v118
	s_waitcnt lgkmcnt(0)
	v_xor_b32_e32 v102, 0x80000000, v109
	v_cndmask_b32_e32 v99, v115, v98, vcc
	v_cmp_gt_f64_e32 vcc, 0, v[116:117]
	v_mov_b32_e32 v98, v114
	v_cndmask_b32_e32 v101, v117, v100, vcc
	v_cmp_gt_f64_e32 vcc, 0, v[106:107]
	v_mov_b32_e32 v100, v116
	v_add_f64 v[98:99], v[98:99], v[100:101]
	v_xor_b32_e32 v100, 0x80000000, v107
	v_cndmask_b32_e32 v101, v107, v100, vcc
	v_cmp_gt_f64_e32 vcc, 0, v[108:109]
	v_mov_b32_e32 v100, v106
	v_cndmask_b32_e32 v103, v109, v102, vcc
	v_mov_b32_e32 v102, v108
	v_add_f64 v[100:101], v[100:101], v[102:103]
	v_cmp_lt_f64_e32 vcc, v[98:99], v[100:101]
	v_mov_b32_e32 v98, s0
	s_add_i32 s0, s0, 1
	s_cmp_lg_u32 s22, s0
	v_cndmask_b32_e32 v115, v115, v107, vcc
	v_cndmask_b32_e32 v114, v114, v106, vcc
	v_cndmask_b32_e32 v117, v117, v109, vcc
	v_cndmask_b32_e32 v116, v116, v108, vcc
	v_cndmask_b32_e32 v122, v122, v98, vcc
	s_cbranch_scc1 .LBB54_295
.LBB54_296:
	s_waitcnt lgkmcnt(0)
	v_cmp_eq_f64_e32 vcc, 0, v[114:115]
	v_cmp_eq_f64_e64 s[0:1], 0, v[116:117]
	s_and_b64 s[0:1], vcc, s[0:1]
	s_and_saveexec_b64 s[8:9], s[0:1]
	s_xor_b64 s[0:1], exec, s[8:9]
; %bb.297:
	v_cmp_ne_u32_e32 vcc, 0, v120
	v_cndmask_b32_e32 v120, 15, v120, vcc
; %bb.298:
	s_andn2_saveexec_b64 s[0:1], s[0:1]
	s_cbranch_execz .LBB54_304
; %bb.299:
	v_cmp_ngt_f64_e64 s[8:9], |v[114:115]|, |v[116:117]|
	s_and_saveexec_b64 s[20:21], s[8:9]
	s_xor_b64 s[8:9], exec, s[20:21]
	s_cbranch_execz .LBB54_301
; %bb.300:
	v_div_scale_f64 v[98:99], s[20:21], v[116:117], v[116:117], v[114:115]
	v_rcp_f64_e32 v[100:101], v[98:99]
	v_fma_f64 v[102:103], -v[98:99], v[100:101], 1.0
	v_fma_f64 v[100:101], v[100:101], v[102:103], v[100:101]
	v_div_scale_f64 v[102:103], vcc, v[114:115], v[116:117], v[114:115]
	v_fma_f64 v[104:105], -v[98:99], v[100:101], 1.0
	v_fma_f64 v[100:101], v[100:101], v[104:105], v[100:101]
	v_mul_f64 v[104:105], v[102:103], v[100:101]
	v_fma_f64 v[98:99], -v[98:99], v[104:105], v[102:103]
	v_div_fmas_f64 v[98:99], v[98:99], v[100:101], v[104:105]
	v_div_fixup_f64 v[98:99], v[98:99], v[116:117], v[114:115]
	v_fma_f64 v[100:101], v[114:115], v[98:99], v[116:117]
	v_div_scale_f64 v[102:103], s[20:21], v[100:101], v[100:101], 1.0
	v_div_scale_f64 v[108:109], vcc, 1.0, v[100:101], 1.0
	v_rcp_f64_e32 v[104:105], v[102:103]
	v_fma_f64 v[106:107], -v[102:103], v[104:105], 1.0
	v_fma_f64 v[104:105], v[104:105], v[106:107], v[104:105]
	v_fma_f64 v[106:107], -v[102:103], v[104:105], 1.0
	v_fma_f64 v[104:105], v[104:105], v[106:107], v[104:105]
	v_mul_f64 v[106:107], v[108:109], v[104:105]
	v_fma_f64 v[102:103], -v[102:103], v[106:107], v[108:109]
	v_div_fmas_f64 v[102:103], v[102:103], v[104:105], v[106:107]
	v_div_fixup_f64 v[116:117], v[102:103], v[100:101], 1.0
	v_mul_f64 v[114:115], v[98:99], v[116:117]
	v_xor_b32_e32 v117, 0x80000000, v117
.LBB54_301:
	s_andn2_saveexec_b64 s[8:9], s[8:9]
	s_cbranch_execz .LBB54_303
; %bb.302:
	v_div_scale_f64 v[98:99], s[20:21], v[114:115], v[114:115], v[116:117]
	v_rcp_f64_e32 v[100:101], v[98:99]
	v_fma_f64 v[102:103], -v[98:99], v[100:101], 1.0
	v_fma_f64 v[100:101], v[100:101], v[102:103], v[100:101]
	v_div_scale_f64 v[102:103], vcc, v[116:117], v[114:115], v[116:117]
	v_fma_f64 v[104:105], -v[98:99], v[100:101], 1.0
	v_fma_f64 v[100:101], v[100:101], v[104:105], v[100:101]
	v_mul_f64 v[104:105], v[102:103], v[100:101]
	v_fma_f64 v[98:99], -v[98:99], v[104:105], v[102:103]
	v_div_fmas_f64 v[98:99], v[98:99], v[100:101], v[104:105]
	v_div_fixup_f64 v[98:99], v[98:99], v[114:115], v[116:117]
	v_fma_f64 v[100:101], v[116:117], v[98:99], v[114:115]
	v_div_scale_f64 v[102:103], s[20:21], v[100:101], v[100:101], 1.0
	v_div_scale_f64 v[108:109], vcc, 1.0, v[100:101], 1.0
	v_rcp_f64_e32 v[104:105], v[102:103]
	v_fma_f64 v[106:107], -v[102:103], v[104:105], 1.0
	v_fma_f64 v[104:105], v[104:105], v[106:107], v[104:105]
	v_fma_f64 v[106:107], -v[102:103], v[104:105], 1.0
	v_fma_f64 v[104:105], v[104:105], v[106:107], v[104:105]
	v_mul_f64 v[106:107], v[108:109], v[104:105]
	v_fma_f64 v[102:103], -v[102:103], v[106:107], v[108:109]
	v_div_fmas_f64 v[102:103], v[102:103], v[104:105], v[106:107]
	v_div_fixup_f64 v[114:115], v[102:103], v[100:101], 1.0
	v_mul_f64 v[116:117], v[98:99], -v[114:115]
.LBB54_303:
	s_or_b64 exec, exec, s[8:9]
.LBB54_304:
	s_or_b64 exec, exec, s[0:1]
	v_cmp_ne_u32_e32 vcc, v124, v122
	s_and_saveexec_b64 s[0:1], vcc
	s_xor_b64 s[0:1], exec, s[0:1]
	s_cbranch_execz .LBB54_310
; %bb.305:
	v_cmp_eq_u32_e32 vcc, 14, v124
	s_and_saveexec_b64 s[8:9], vcc
	s_cbranch_execz .LBB54_309
; %bb.306:
	v_cmp_ne_u32_e32 vcc, 14, v122
	s_xor_b64 s[20:21], s[18:19], -1
	s_and_b64 s[24:25], s[20:21], vcc
	s_and_saveexec_b64 s[20:21], s[24:25]
	s_cbranch_execz .LBB54_308
; %bb.307:
	buffer_load_dword v94, off, s[28:31], 0 offset:48 ; 4-byte Folded Reload
	buffer_load_dword v95, off, s[28:31], 0 offset:52 ; 4-byte Folded Reload
	v_ashrrev_i32_e32 v123, 31, v122
	v_lshlrev_b64 v[98:99], 2, v[122:123]
	s_waitcnt vmcnt(1)
	v_add_co_u32_e32 v98, vcc, v94, v98
	s_waitcnt vmcnt(0)
	v_addc_co_u32_e32 v99, vcc, v95, v99, vcc
	global_load_dword v0, v[98:99], off
	global_load_dword v100, v[94:95], off offset:56
	s_waitcnt vmcnt(1)
	global_store_dword v[94:95], v0, off offset:56
	s_waitcnt vmcnt(1)
	global_store_dword v[98:99], v100, off
.LBB54_308:
	s_or_b64 exec, exec, s[20:21]
	v_mov_b32_e32 v124, v122
	v_mov_b32_e32 v0, v122
.LBB54_309:
	s_or_b64 exec, exec, s[8:9]
.LBB54_310:
	s_andn2_saveexec_b64 s[0:1], s[0:1]
	s_cbranch_execz .LBB54_312
; %bb.311:
	v_mov_b32_e32 v124, 14
	ds_write2_b64 v1, v[46:47], v[48:49] offset0:30 offset1:31
	ds_write2_b64 v1, v[42:43], v[44:45] offset0:32 offset1:33
	;; [unrolled: 1-line block ×13, first 2 shown]
.LBB54_312:
	s_or_b64 exec, exec, s[0:1]
	v_cmp_lt_i32_e32 vcc, 14, v124
	s_waitcnt vmcnt(0) lgkmcnt(0)
	s_barrier
	s_and_saveexec_b64 s[0:1], vcc
	s_cbranch_execz .LBB54_314
; %bb.313:
	v_mul_f64 v[98:99], v[114:115], v[52:53]
	v_mul_f64 v[52:53], v[116:117], v[52:53]
	ds_read2_b64 v[106:109], v1 offset0:30 offset1:31
	v_fma_f64 v[122:123], v[116:117], v[50:51], v[98:99]
	v_fma_f64 v[50:51], v[114:115], v[50:51], -v[52:53]
	s_waitcnt lgkmcnt(0)
	v_mul_f64 v[52:53], v[108:109], v[122:123]
	v_mul_f64 v[98:99], v[106:107], v[122:123]
	v_fma_f64 v[52:53], v[106:107], v[50:51], -v[52:53]
	v_fma_f64 v[98:99], v[108:109], v[50:51], v[98:99]
	ds_read2_b64 v[106:109], v1 offset0:32 offset1:33
	v_add_f64 v[46:47], v[46:47], -v[52:53]
	v_add_f64 v[48:49], v[48:49], -v[98:99]
	s_waitcnt lgkmcnt(0)
	v_mul_f64 v[52:53], v[108:109], v[122:123]
	v_mul_f64 v[98:99], v[106:107], v[122:123]
	v_fma_f64 v[52:53], v[106:107], v[50:51], -v[52:53]
	v_fma_f64 v[98:99], v[108:109], v[50:51], v[98:99]
	ds_read2_b64 v[106:109], v1 offset0:34 offset1:35
	v_add_f64 v[42:43], v[42:43], -v[52:53]
	v_add_f64 v[44:45], v[44:45], -v[98:99]
	;; [unrolled: 8-line block ×12, first 2 shown]
	s_waitcnt lgkmcnt(0)
	v_mul_f64 v[52:53], v[108:109], v[122:123]
	v_mul_f64 v[98:99], v[106:107], v[122:123]
	v_fma_f64 v[52:53], v[106:107], v[50:51], -v[52:53]
	v_fma_f64 v[98:99], v[108:109], v[50:51], v[98:99]
	v_add_f64 v[110:111], v[110:111], -v[52:53]
	v_add_f64 v[112:113], v[112:113], -v[98:99]
	v_mov_b32_e32 v52, v122
	v_mov_b32_e32 v53, v123
.LBB54_314:
	s_or_b64 exec, exec, s[0:1]
	v_lshl_add_u32 v98, v124, 4, v1
	s_barrier
	ds_write2_b64 v98, v[46:47], v[48:49] offset1:1
	s_waitcnt lgkmcnt(0)
	s_barrier
	ds_read2_b64 v[114:117], v1 offset0:30 offset1:31
	s_cmp_lt_i32 s22, 17
	v_mov_b32_e32 v122, 15
	s_cbranch_scc1 .LBB54_317
; %bb.315:
	v_add_u32_e32 v118, 0x100, v1
	s_mov_b32 s0, 16
	v_mov_b32_e32 v122, 15
.LBB54_316:                             ; =>This Inner Loop Header: Depth=1
	s_waitcnt lgkmcnt(0)
	v_cmp_gt_f64_e32 vcc, 0, v[114:115]
	v_xor_b32_e32 v98, 0x80000000, v115
	ds_read2_b64 v[106:109], v118 offset1:1
	v_xor_b32_e32 v100, 0x80000000, v117
	v_add_u32_e32 v118, 16, v118
	s_waitcnt lgkmcnt(0)
	v_xor_b32_e32 v102, 0x80000000, v109
	v_cndmask_b32_e32 v99, v115, v98, vcc
	v_cmp_gt_f64_e32 vcc, 0, v[116:117]
	v_mov_b32_e32 v98, v114
	v_cndmask_b32_e32 v101, v117, v100, vcc
	v_cmp_gt_f64_e32 vcc, 0, v[106:107]
	v_mov_b32_e32 v100, v116
	v_add_f64 v[98:99], v[98:99], v[100:101]
	v_xor_b32_e32 v100, 0x80000000, v107
	v_cndmask_b32_e32 v101, v107, v100, vcc
	v_cmp_gt_f64_e32 vcc, 0, v[108:109]
	v_mov_b32_e32 v100, v106
	v_cndmask_b32_e32 v103, v109, v102, vcc
	v_mov_b32_e32 v102, v108
	v_add_f64 v[100:101], v[100:101], v[102:103]
	v_cmp_lt_f64_e32 vcc, v[98:99], v[100:101]
	v_mov_b32_e32 v98, s0
	s_add_i32 s0, s0, 1
	s_cmp_lg_u32 s22, s0
	v_cndmask_b32_e32 v115, v115, v107, vcc
	v_cndmask_b32_e32 v114, v114, v106, vcc
	;; [unrolled: 1-line block ×5, first 2 shown]
	s_cbranch_scc1 .LBB54_316
.LBB54_317:
	s_waitcnt lgkmcnt(0)
	v_cmp_eq_f64_e32 vcc, 0, v[114:115]
	v_cmp_eq_f64_e64 s[0:1], 0, v[116:117]
	s_and_b64 s[0:1], vcc, s[0:1]
	s_and_saveexec_b64 s[8:9], s[0:1]
	s_xor_b64 s[0:1], exec, s[8:9]
; %bb.318:
	v_cmp_ne_u32_e32 vcc, 0, v120
	v_cndmask_b32_e32 v120, 16, v120, vcc
; %bb.319:
	s_andn2_saveexec_b64 s[0:1], s[0:1]
	s_cbranch_execz .LBB54_325
; %bb.320:
	v_cmp_ngt_f64_e64 s[8:9], |v[114:115]|, |v[116:117]|
	s_and_saveexec_b64 s[20:21], s[8:9]
	s_xor_b64 s[8:9], exec, s[20:21]
	s_cbranch_execz .LBB54_322
; %bb.321:
	v_div_scale_f64 v[98:99], s[20:21], v[116:117], v[116:117], v[114:115]
	v_rcp_f64_e32 v[100:101], v[98:99]
	v_fma_f64 v[102:103], -v[98:99], v[100:101], 1.0
	v_fma_f64 v[100:101], v[100:101], v[102:103], v[100:101]
	v_div_scale_f64 v[102:103], vcc, v[114:115], v[116:117], v[114:115]
	v_fma_f64 v[104:105], -v[98:99], v[100:101], 1.0
	v_fma_f64 v[100:101], v[100:101], v[104:105], v[100:101]
	v_mul_f64 v[104:105], v[102:103], v[100:101]
	v_fma_f64 v[98:99], -v[98:99], v[104:105], v[102:103]
	v_div_fmas_f64 v[98:99], v[98:99], v[100:101], v[104:105]
	v_div_fixup_f64 v[98:99], v[98:99], v[116:117], v[114:115]
	v_fma_f64 v[100:101], v[114:115], v[98:99], v[116:117]
	v_div_scale_f64 v[102:103], s[20:21], v[100:101], v[100:101], 1.0
	v_div_scale_f64 v[108:109], vcc, 1.0, v[100:101], 1.0
	v_rcp_f64_e32 v[104:105], v[102:103]
	v_fma_f64 v[106:107], -v[102:103], v[104:105], 1.0
	v_fma_f64 v[104:105], v[104:105], v[106:107], v[104:105]
	v_fma_f64 v[106:107], -v[102:103], v[104:105], 1.0
	v_fma_f64 v[104:105], v[104:105], v[106:107], v[104:105]
	v_mul_f64 v[106:107], v[108:109], v[104:105]
	v_fma_f64 v[102:103], -v[102:103], v[106:107], v[108:109]
	v_div_fmas_f64 v[102:103], v[102:103], v[104:105], v[106:107]
	v_div_fixup_f64 v[116:117], v[102:103], v[100:101], 1.0
	v_mul_f64 v[114:115], v[98:99], v[116:117]
	v_xor_b32_e32 v117, 0x80000000, v117
.LBB54_322:
	s_andn2_saveexec_b64 s[8:9], s[8:9]
	s_cbranch_execz .LBB54_324
; %bb.323:
	v_div_scale_f64 v[98:99], s[20:21], v[114:115], v[114:115], v[116:117]
	v_rcp_f64_e32 v[100:101], v[98:99]
	v_fma_f64 v[102:103], -v[98:99], v[100:101], 1.0
	v_fma_f64 v[100:101], v[100:101], v[102:103], v[100:101]
	v_div_scale_f64 v[102:103], vcc, v[116:117], v[114:115], v[116:117]
	v_fma_f64 v[104:105], -v[98:99], v[100:101], 1.0
	v_fma_f64 v[100:101], v[100:101], v[104:105], v[100:101]
	v_mul_f64 v[104:105], v[102:103], v[100:101]
	v_fma_f64 v[98:99], -v[98:99], v[104:105], v[102:103]
	v_div_fmas_f64 v[98:99], v[98:99], v[100:101], v[104:105]
	v_div_fixup_f64 v[98:99], v[98:99], v[114:115], v[116:117]
	v_fma_f64 v[100:101], v[116:117], v[98:99], v[114:115]
	v_div_scale_f64 v[102:103], s[20:21], v[100:101], v[100:101], 1.0
	v_div_scale_f64 v[108:109], vcc, 1.0, v[100:101], 1.0
	v_rcp_f64_e32 v[104:105], v[102:103]
	v_fma_f64 v[106:107], -v[102:103], v[104:105], 1.0
	v_fma_f64 v[104:105], v[104:105], v[106:107], v[104:105]
	v_fma_f64 v[106:107], -v[102:103], v[104:105], 1.0
	v_fma_f64 v[104:105], v[104:105], v[106:107], v[104:105]
	v_mul_f64 v[106:107], v[108:109], v[104:105]
	v_fma_f64 v[102:103], -v[102:103], v[106:107], v[108:109]
	v_div_fmas_f64 v[102:103], v[102:103], v[104:105], v[106:107]
	v_div_fixup_f64 v[114:115], v[102:103], v[100:101], 1.0
	v_mul_f64 v[116:117], v[98:99], -v[114:115]
.LBB54_324:
	s_or_b64 exec, exec, s[8:9]
.LBB54_325:
	s_or_b64 exec, exec, s[0:1]
	v_cmp_ne_u32_e32 vcc, v124, v122
	s_and_saveexec_b64 s[0:1], vcc
	s_xor_b64 s[0:1], exec, s[0:1]
	s_cbranch_execz .LBB54_331
; %bb.326:
	v_cmp_eq_u32_e32 vcc, 15, v124
	s_and_saveexec_b64 s[8:9], vcc
	s_cbranch_execz .LBB54_330
; %bb.327:
	v_cmp_ne_u32_e32 vcc, 15, v122
	s_xor_b64 s[20:21], s[18:19], -1
	s_and_b64 s[24:25], s[20:21], vcc
	s_and_saveexec_b64 s[20:21], s[24:25]
	s_cbranch_execz .LBB54_329
; %bb.328:
	buffer_load_dword v94, off, s[28:31], 0 offset:48 ; 4-byte Folded Reload
	buffer_load_dword v95, off, s[28:31], 0 offset:52 ; 4-byte Folded Reload
	v_ashrrev_i32_e32 v123, 31, v122
	v_lshlrev_b64 v[98:99], 2, v[122:123]
	s_waitcnt vmcnt(1)
	v_add_co_u32_e32 v98, vcc, v94, v98
	s_waitcnt vmcnt(0)
	v_addc_co_u32_e32 v99, vcc, v95, v99, vcc
	global_load_dword v0, v[98:99], off
	global_load_dword v100, v[94:95], off offset:60
	s_waitcnt vmcnt(1)
	global_store_dword v[94:95], v0, off offset:60
	s_waitcnt vmcnt(1)
	global_store_dword v[98:99], v100, off
.LBB54_329:
	s_or_b64 exec, exec, s[20:21]
	v_mov_b32_e32 v124, v122
	v_mov_b32_e32 v0, v122
.LBB54_330:
	s_or_b64 exec, exec, s[8:9]
.LBB54_331:
	s_andn2_saveexec_b64 s[0:1], s[0:1]
	s_cbranch_execz .LBB54_333
; %bb.332:
	v_mov_b32_e32 v124, 15
	ds_write2_b64 v1, v[42:43], v[44:45] offset0:32 offset1:33
	ds_write2_b64 v1, v[38:39], v[40:41] offset0:34 offset1:35
	;; [unrolled: 1-line block ×12, first 2 shown]
.LBB54_333:
	s_or_b64 exec, exec, s[0:1]
	v_cmp_lt_i32_e32 vcc, 15, v124
	s_waitcnt vmcnt(0) lgkmcnt(0)
	s_barrier
	s_and_saveexec_b64 s[0:1], vcc
	s_cbranch_execz .LBB54_335
; %bb.334:
	v_mul_f64 v[98:99], v[114:115], v[48:49]
	v_mul_f64 v[48:49], v[116:117], v[48:49]
	ds_read2_b64 v[106:109], v1 offset0:32 offset1:33
	v_fma_f64 v[122:123], v[116:117], v[46:47], v[98:99]
	v_fma_f64 v[46:47], v[114:115], v[46:47], -v[48:49]
	s_waitcnt lgkmcnt(0)
	v_mul_f64 v[48:49], v[108:109], v[122:123]
	v_mul_f64 v[98:99], v[106:107], v[122:123]
	v_fma_f64 v[48:49], v[106:107], v[46:47], -v[48:49]
	v_fma_f64 v[98:99], v[108:109], v[46:47], v[98:99]
	ds_read2_b64 v[106:109], v1 offset0:34 offset1:35
	v_add_f64 v[42:43], v[42:43], -v[48:49]
	v_add_f64 v[44:45], v[44:45], -v[98:99]
	s_waitcnt lgkmcnt(0)
	v_mul_f64 v[48:49], v[108:109], v[122:123]
	v_mul_f64 v[98:99], v[106:107], v[122:123]
	v_fma_f64 v[48:49], v[106:107], v[46:47], -v[48:49]
	v_fma_f64 v[98:99], v[108:109], v[46:47], v[98:99]
	ds_read2_b64 v[106:109], v1 offset0:36 offset1:37
	v_add_f64 v[38:39], v[38:39], -v[48:49]
	v_add_f64 v[40:41], v[40:41], -v[98:99]
	;; [unrolled: 8-line block ×11, first 2 shown]
	s_waitcnt lgkmcnt(0)
	v_mul_f64 v[48:49], v[108:109], v[122:123]
	v_mul_f64 v[98:99], v[106:107], v[122:123]
	v_fma_f64 v[48:49], v[106:107], v[46:47], -v[48:49]
	v_fma_f64 v[98:99], v[108:109], v[46:47], v[98:99]
	v_add_f64 v[110:111], v[110:111], -v[48:49]
	v_add_f64 v[112:113], v[112:113], -v[98:99]
	v_mov_b32_e32 v48, v122
	v_mov_b32_e32 v49, v123
.LBB54_335:
	s_or_b64 exec, exec, s[0:1]
	v_lshl_add_u32 v98, v124, 4, v1
	s_barrier
	ds_write2_b64 v98, v[42:43], v[44:45] offset1:1
	s_waitcnt lgkmcnt(0)
	s_barrier
	ds_read2_b64 v[114:117], v1 offset0:32 offset1:33
	s_cmp_lt_i32 s22, 18
	v_mov_b32_e32 v122, 16
	s_cbranch_scc1 .LBB54_338
; %bb.336:
	v_add_u32_e32 v118, 0x110, v1
	s_mov_b32 s0, 17
	v_mov_b32_e32 v122, 16
.LBB54_337:                             ; =>This Inner Loop Header: Depth=1
	s_waitcnt lgkmcnt(0)
	v_cmp_gt_f64_e32 vcc, 0, v[114:115]
	v_xor_b32_e32 v98, 0x80000000, v115
	ds_read2_b64 v[106:109], v118 offset1:1
	v_xor_b32_e32 v100, 0x80000000, v117
	v_add_u32_e32 v118, 16, v118
	s_waitcnt lgkmcnt(0)
	v_xor_b32_e32 v102, 0x80000000, v109
	v_cndmask_b32_e32 v99, v115, v98, vcc
	v_cmp_gt_f64_e32 vcc, 0, v[116:117]
	v_mov_b32_e32 v98, v114
	v_cndmask_b32_e32 v101, v117, v100, vcc
	v_cmp_gt_f64_e32 vcc, 0, v[106:107]
	v_mov_b32_e32 v100, v116
	v_add_f64 v[98:99], v[98:99], v[100:101]
	v_xor_b32_e32 v100, 0x80000000, v107
	v_cndmask_b32_e32 v101, v107, v100, vcc
	v_cmp_gt_f64_e32 vcc, 0, v[108:109]
	v_mov_b32_e32 v100, v106
	v_cndmask_b32_e32 v103, v109, v102, vcc
	v_mov_b32_e32 v102, v108
	v_add_f64 v[100:101], v[100:101], v[102:103]
	v_cmp_lt_f64_e32 vcc, v[98:99], v[100:101]
	v_mov_b32_e32 v98, s0
	s_add_i32 s0, s0, 1
	s_cmp_lg_u32 s22, s0
	v_cndmask_b32_e32 v115, v115, v107, vcc
	v_cndmask_b32_e32 v114, v114, v106, vcc
	;; [unrolled: 1-line block ×5, first 2 shown]
	s_cbranch_scc1 .LBB54_337
.LBB54_338:
	s_waitcnt lgkmcnt(0)
	v_cmp_eq_f64_e32 vcc, 0, v[114:115]
	v_cmp_eq_f64_e64 s[0:1], 0, v[116:117]
	s_and_b64 s[0:1], vcc, s[0:1]
	s_and_saveexec_b64 s[8:9], s[0:1]
	s_xor_b64 s[0:1], exec, s[8:9]
; %bb.339:
	v_cmp_ne_u32_e32 vcc, 0, v120
	v_cndmask_b32_e32 v120, 17, v120, vcc
; %bb.340:
	s_andn2_saveexec_b64 s[0:1], s[0:1]
	s_cbranch_execz .LBB54_346
; %bb.341:
	v_cmp_ngt_f64_e64 s[8:9], |v[114:115]|, |v[116:117]|
	s_and_saveexec_b64 s[20:21], s[8:9]
	s_xor_b64 s[8:9], exec, s[20:21]
	s_cbranch_execz .LBB54_343
; %bb.342:
	v_div_scale_f64 v[98:99], s[20:21], v[116:117], v[116:117], v[114:115]
	v_rcp_f64_e32 v[100:101], v[98:99]
	v_fma_f64 v[102:103], -v[98:99], v[100:101], 1.0
	v_fma_f64 v[100:101], v[100:101], v[102:103], v[100:101]
	v_div_scale_f64 v[102:103], vcc, v[114:115], v[116:117], v[114:115]
	v_fma_f64 v[104:105], -v[98:99], v[100:101], 1.0
	v_fma_f64 v[100:101], v[100:101], v[104:105], v[100:101]
	v_mul_f64 v[104:105], v[102:103], v[100:101]
	v_fma_f64 v[98:99], -v[98:99], v[104:105], v[102:103]
	v_div_fmas_f64 v[98:99], v[98:99], v[100:101], v[104:105]
	v_div_fixup_f64 v[98:99], v[98:99], v[116:117], v[114:115]
	v_fma_f64 v[100:101], v[114:115], v[98:99], v[116:117]
	v_div_scale_f64 v[102:103], s[20:21], v[100:101], v[100:101], 1.0
	v_div_scale_f64 v[108:109], vcc, 1.0, v[100:101], 1.0
	v_rcp_f64_e32 v[104:105], v[102:103]
	v_fma_f64 v[106:107], -v[102:103], v[104:105], 1.0
	v_fma_f64 v[104:105], v[104:105], v[106:107], v[104:105]
	v_fma_f64 v[106:107], -v[102:103], v[104:105], 1.0
	v_fma_f64 v[104:105], v[104:105], v[106:107], v[104:105]
	v_mul_f64 v[106:107], v[108:109], v[104:105]
	v_fma_f64 v[102:103], -v[102:103], v[106:107], v[108:109]
	v_div_fmas_f64 v[102:103], v[102:103], v[104:105], v[106:107]
	v_div_fixup_f64 v[116:117], v[102:103], v[100:101], 1.0
	v_mul_f64 v[114:115], v[98:99], v[116:117]
	v_xor_b32_e32 v117, 0x80000000, v117
.LBB54_343:
	s_andn2_saveexec_b64 s[8:9], s[8:9]
	s_cbranch_execz .LBB54_345
; %bb.344:
	v_div_scale_f64 v[98:99], s[20:21], v[114:115], v[114:115], v[116:117]
	v_rcp_f64_e32 v[100:101], v[98:99]
	v_fma_f64 v[102:103], -v[98:99], v[100:101], 1.0
	v_fma_f64 v[100:101], v[100:101], v[102:103], v[100:101]
	v_div_scale_f64 v[102:103], vcc, v[116:117], v[114:115], v[116:117]
	v_fma_f64 v[104:105], -v[98:99], v[100:101], 1.0
	v_fma_f64 v[100:101], v[100:101], v[104:105], v[100:101]
	v_mul_f64 v[104:105], v[102:103], v[100:101]
	v_fma_f64 v[98:99], -v[98:99], v[104:105], v[102:103]
	v_div_fmas_f64 v[98:99], v[98:99], v[100:101], v[104:105]
	v_div_fixup_f64 v[98:99], v[98:99], v[114:115], v[116:117]
	v_fma_f64 v[100:101], v[116:117], v[98:99], v[114:115]
	v_div_scale_f64 v[102:103], s[20:21], v[100:101], v[100:101], 1.0
	v_div_scale_f64 v[108:109], vcc, 1.0, v[100:101], 1.0
	v_rcp_f64_e32 v[104:105], v[102:103]
	v_fma_f64 v[106:107], -v[102:103], v[104:105], 1.0
	v_fma_f64 v[104:105], v[104:105], v[106:107], v[104:105]
	v_fma_f64 v[106:107], -v[102:103], v[104:105], 1.0
	v_fma_f64 v[104:105], v[104:105], v[106:107], v[104:105]
	v_mul_f64 v[106:107], v[108:109], v[104:105]
	v_fma_f64 v[102:103], -v[102:103], v[106:107], v[108:109]
	v_div_fmas_f64 v[102:103], v[102:103], v[104:105], v[106:107]
	v_div_fixup_f64 v[114:115], v[102:103], v[100:101], 1.0
	v_mul_f64 v[116:117], v[98:99], -v[114:115]
.LBB54_345:
	s_or_b64 exec, exec, s[8:9]
.LBB54_346:
	s_or_b64 exec, exec, s[0:1]
	v_cmp_ne_u32_e32 vcc, v124, v122
	s_and_saveexec_b64 s[0:1], vcc
	s_xor_b64 s[0:1], exec, s[0:1]
	s_cbranch_execz .LBB54_352
; %bb.347:
	v_cmp_eq_u32_e32 vcc, 16, v124
	s_and_saveexec_b64 s[8:9], vcc
	s_cbranch_execz .LBB54_351
; %bb.348:
	v_cmp_ne_u32_e32 vcc, 16, v122
	s_xor_b64 s[20:21], s[18:19], -1
	s_and_b64 s[24:25], s[20:21], vcc
	s_and_saveexec_b64 s[20:21], s[24:25]
	s_cbranch_execz .LBB54_350
; %bb.349:
	buffer_load_dword v94, off, s[28:31], 0 offset:48 ; 4-byte Folded Reload
	buffer_load_dword v95, off, s[28:31], 0 offset:52 ; 4-byte Folded Reload
	v_ashrrev_i32_e32 v123, 31, v122
	v_lshlrev_b64 v[98:99], 2, v[122:123]
	s_waitcnt vmcnt(1)
	v_add_co_u32_e32 v98, vcc, v94, v98
	s_waitcnt vmcnt(0)
	v_addc_co_u32_e32 v99, vcc, v95, v99, vcc
	global_load_dword v0, v[98:99], off
	global_load_dword v100, v[94:95], off offset:64
	s_waitcnt vmcnt(1)
	global_store_dword v[94:95], v0, off offset:64
	s_waitcnt vmcnt(1)
	global_store_dword v[98:99], v100, off
.LBB54_350:
	s_or_b64 exec, exec, s[20:21]
	v_mov_b32_e32 v124, v122
	v_mov_b32_e32 v0, v122
.LBB54_351:
	s_or_b64 exec, exec, s[8:9]
.LBB54_352:
	s_andn2_saveexec_b64 s[0:1], s[0:1]
	s_cbranch_execz .LBB54_354
; %bb.353:
	v_mov_b32_e32 v124, 16
	ds_write2_b64 v1, v[38:39], v[40:41] offset0:34 offset1:35
	ds_write2_b64 v1, v[34:35], v[36:37] offset0:36 offset1:37
	;; [unrolled: 1-line block ×11, first 2 shown]
.LBB54_354:
	s_or_b64 exec, exec, s[0:1]
	v_cmp_lt_i32_e32 vcc, 16, v124
	s_waitcnt vmcnt(0) lgkmcnt(0)
	s_barrier
	s_and_saveexec_b64 s[0:1], vcc
	s_cbranch_execz .LBB54_356
; %bb.355:
	v_mul_f64 v[98:99], v[114:115], v[44:45]
	v_mul_f64 v[44:45], v[116:117], v[44:45]
	ds_read2_b64 v[106:109], v1 offset0:34 offset1:35
	v_fma_f64 v[122:123], v[116:117], v[42:43], v[98:99]
	v_fma_f64 v[42:43], v[114:115], v[42:43], -v[44:45]
	s_waitcnt lgkmcnt(0)
	v_mul_f64 v[44:45], v[108:109], v[122:123]
	v_mul_f64 v[98:99], v[106:107], v[122:123]
	v_fma_f64 v[44:45], v[106:107], v[42:43], -v[44:45]
	v_fma_f64 v[98:99], v[108:109], v[42:43], v[98:99]
	ds_read2_b64 v[106:109], v1 offset0:36 offset1:37
	v_add_f64 v[38:39], v[38:39], -v[44:45]
	v_add_f64 v[40:41], v[40:41], -v[98:99]
	s_waitcnt lgkmcnt(0)
	v_mul_f64 v[44:45], v[108:109], v[122:123]
	v_mul_f64 v[98:99], v[106:107], v[122:123]
	v_fma_f64 v[44:45], v[106:107], v[42:43], -v[44:45]
	v_fma_f64 v[98:99], v[108:109], v[42:43], v[98:99]
	ds_read2_b64 v[106:109], v1 offset0:38 offset1:39
	v_add_f64 v[34:35], v[34:35], -v[44:45]
	v_add_f64 v[36:37], v[36:37], -v[98:99]
	;; [unrolled: 8-line block ×10, first 2 shown]
	s_waitcnt lgkmcnt(0)
	v_mul_f64 v[44:45], v[108:109], v[122:123]
	v_mul_f64 v[98:99], v[106:107], v[122:123]
	v_fma_f64 v[44:45], v[106:107], v[42:43], -v[44:45]
	v_fma_f64 v[98:99], v[108:109], v[42:43], v[98:99]
	v_add_f64 v[110:111], v[110:111], -v[44:45]
	v_add_f64 v[112:113], v[112:113], -v[98:99]
	v_mov_b32_e32 v44, v122
	v_mov_b32_e32 v45, v123
.LBB54_356:
	s_or_b64 exec, exec, s[0:1]
	v_lshl_add_u32 v98, v124, 4, v1
	s_barrier
	ds_write2_b64 v98, v[38:39], v[40:41] offset1:1
	s_waitcnt lgkmcnt(0)
	s_barrier
	ds_read2_b64 v[114:117], v1 offset0:34 offset1:35
	s_cmp_lt_i32 s22, 19
	v_mov_b32_e32 v122, 17
	s_cbranch_scc1 .LBB54_359
; %bb.357:
	v_add_u32_e32 v118, 0x120, v1
	s_mov_b32 s0, 18
	v_mov_b32_e32 v122, 17
.LBB54_358:                             ; =>This Inner Loop Header: Depth=1
	s_waitcnt lgkmcnt(0)
	v_cmp_gt_f64_e32 vcc, 0, v[114:115]
	v_xor_b32_e32 v98, 0x80000000, v115
	ds_read2_b64 v[106:109], v118 offset1:1
	v_xor_b32_e32 v100, 0x80000000, v117
	v_add_u32_e32 v118, 16, v118
	s_waitcnt lgkmcnt(0)
	v_xor_b32_e32 v102, 0x80000000, v109
	v_cndmask_b32_e32 v99, v115, v98, vcc
	v_cmp_gt_f64_e32 vcc, 0, v[116:117]
	v_mov_b32_e32 v98, v114
	v_cndmask_b32_e32 v101, v117, v100, vcc
	v_cmp_gt_f64_e32 vcc, 0, v[106:107]
	v_mov_b32_e32 v100, v116
	v_add_f64 v[98:99], v[98:99], v[100:101]
	v_xor_b32_e32 v100, 0x80000000, v107
	v_cndmask_b32_e32 v101, v107, v100, vcc
	v_cmp_gt_f64_e32 vcc, 0, v[108:109]
	v_mov_b32_e32 v100, v106
	v_cndmask_b32_e32 v103, v109, v102, vcc
	v_mov_b32_e32 v102, v108
	v_add_f64 v[100:101], v[100:101], v[102:103]
	v_cmp_lt_f64_e32 vcc, v[98:99], v[100:101]
	v_mov_b32_e32 v98, s0
	s_add_i32 s0, s0, 1
	s_cmp_lg_u32 s22, s0
	v_cndmask_b32_e32 v115, v115, v107, vcc
	v_cndmask_b32_e32 v114, v114, v106, vcc
	;; [unrolled: 1-line block ×5, first 2 shown]
	s_cbranch_scc1 .LBB54_358
.LBB54_359:
	s_waitcnt lgkmcnt(0)
	v_cmp_eq_f64_e32 vcc, 0, v[114:115]
	v_cmp_eq_f64_e64 s[0:1], 0, v[116:117]
	s_and_b64 s[0:1], vcc, s[0:1]
	s_and_saveexec_b64 s[8:9], s[0:1]
	s_xor_b64 s[0:1], exec, s[8:9]
; %bb.360:
	v_cmp_ne_u32_e32 vcc, 0, v120
	v_cndmask_b32_e32 v120, 18, v120, vcc
; %bb.361:
	s_andn2_saveexec_b64 s[0:1], s[0:1]
	s_cbranch_execz .LBB54_367
; %bb.362:
	v_cmp_ngt_f64_e64 s[8:9], |v[114:115]|, |v[116:117]|
	s_and_saveexec_b64 s[20:21], s[8:9]
	s_xor_b64 s[8:9], exec, s[20:21]
	s_cbranch_execz .LBB54_364
; %bb.363:
	v_div_scale_f64 v[98:99], s[20:21], v[116:117], v[116:117], v[114:115]
	v_rcp_f64_e32 v[100:101], v[98:99]
	v_fma_f64 v[102:103], -v[98:99], v[100:101], 1.0
	v_fma_f64 v[100:101], v[100:101], v[102:103], v[100:101]
	v_div_scale_f64 v[102:103], vcc, v[114:115], v[116:117], v[114:115]
	v_fma_f64 v[104:105], -v[98:99], v[100:101], 1.0
	v_fma_f64 v[100:101], v[100:101], v[104:105], v[100:101]
	v_mul_f64 v[104:105], v[102:103], v[100:101]
	v_fma_f64 v[98:99], -v[98:99], v[104:105], v[102:103]
	v_div_fmas_f64 v[98:99], v[98:99], v[100:101], v[104:105]
	v_div_fixup_f64 v[98:99], v[98:99], v[116:117], v[114:115]
	v_fma_f64 v[100:101], v[114:115], v[98:99], v[116:117]
	v_div_scale_f64 v[102:103], s[20:21], v[100:101], v[100:101], 1.0
	v_div_scale_f64 v[108:109], vcc, 1.0, v[100:101], 1.0
	v_rcp_f64_e32 v[104:105], v[102:103]
	v_fma_f64 v[106:107], -v[102:103], v[104:105], 1.0
	v_fma_f64 v[104:105], v[104:105], v[106:107], v[104:105]
	v_fma_f64 v[106:107], -v[102:103], v[104:105], 1.0
	v_fma_f64 v[104:105], v[104:105], v[106:107], v[104:105]
	v_mul_f64 v[106:107], v[108:109], v[104:105]
	v_fma_f64 v[102:103], -v[102:103], v[106:107], v[108:109]
	v_div_fmas_f64 v[102:103], v[102:103], v[104:105], v[106:107]
	v_div_fixup_f64 v[116:117], v[102:103], v[100:101], 1.0
	v_mul_f64 v[114:115], v[98:99], v[116:117]
	v_xor_b32_e32 v117, 0x80000000, v117
.LBB54_364:
	s_andn2_saveexec_b64 s[8:9], s[8:9]
	s_cbranch_execz .LBB54_366
; %bb.365:
	v_div_scale_f64 v[98:99], s[20:21], v[114:115], v[114:115], v[116:117]
	v_rcp_f64_e32 v[100:101], v[98:99]
	v_fma_f64 v[102:103], -v[98:99], v[100:101], 1.0
	v_fma_f64 v[100:101], v[100:101], v[102:103], v[100:101]
	v_div_scale_f64 v[102:103], vcc, v[116:117], v[114:115], v[116:117]
	v_fma_f64 v[104:105], -v[98:99], v[100:101], 1.0
	v_fma_f64 v[100:101], v[100:101], v[104:105], v[100:101]
	v_mul_f64 v[104:105], v[102:103], v[100:101]
	v_fma_f64 v[98:99], -v[98:99], v[104:105], v[102:103]
	v_div_fmas_f64 v[98:99], v[98:99], v[100:101], v[104:105]
	v_div_fixup_f64 v[98:99], v[98:99], v[114:115], v[116:117]
	v_fma_f64 v[100:101], v[116:117], v[98:99], v[114:115]
	v_div_scale_f64 v[102:103], s[20:21], v[100:101], v[100:101], 1.0
	v_div_scale_f64 v[108:109], vcc, 1.0, v[100:101], 1.0
	v_rcp_f64_e32 v[104:105], v[102:103]
	v_fma_f64 v[106:107], -v[102:103], v[104:105], 1.0
	v_fma_f64 v[104:105], v[104:105], v[106:107], v[104:105]
	v_fma_f64 v[106:107], -v[102:103], v[104:105], 1.0
	v_fma_f64 v[104:105], v[104:105], v[106:107], v[104:105]
	v_mul_f64 v[106:107], v[108:109], v[104:105]
	v_fma_f64 v[102:103], -v[102:103], v[106:107], v[108:109]
	v_div_fmas_f64 v[102:103], v[102:103], v[104:105], v[106:107]
	v_div_fixup_f64 v[114:115], v[102:103], v[100:101], 1.0
	v_mul_f64 v[116:117], v[98:99], -v[114:115]
.LBB54_366:
	s_or_b64 exec, exec, s[8:9]
.LBB54_367:
	s_or_b64 exec, exec, s[0:1]
	v_cmp_ne_u32_e32 vcc, v124, v122
	s_and_saveexec_b64 s[0:1], vcc
	s_xor_b64 s[0:1], exec, s[0:1]
	s_cbranch_execz .LBB54_373
; %bb.368:
	v_cmp_eq_u32_e32 vcc, 17, v124
	s_and_saveexec_b64 s[8:9], vcc
	s_cbranch_execz .LBB54_372
; %bb.369:
	v_cmp_ne_u32_e32 vcc, 17, v122
	s_xor_b64 s[20:21], s[18:19], -1
	s_and_b64 s[24:25], s[20:21], vcc
	s_and_saveexec_b64 s[20:21], s[24:25]
	s_cbranch_execz .LBB54_371
; %bb.370:
	buffer_load_dword v94, off, s[28:31], 0 offset:48 ; 4-byte Folded Reload
	buffer_load_dword v95, off, s[28:31], 0 offset:52 ; 4-byte Folded Reload
	v_ashrrev_i32_e32 v123, 31, v122
	v_lshlrev_b64 v[98:99], 2, v[122:123]
	s_waitcnt vmcnt(1)
	v_add_co_u32_e32 v98, vcc, v94, v98
	s_waitcnt vmcnt(0)
	v_addc_co_u32_e32 v99, vcc, v95, v99, vcc
	global_load_dword v0, v[98:99], off
	global_load_dword v100, v[94:95], off offset:68
	s_waitcnt vmcnt(1)
	global_store_dword v[94:95], v0, off offset:68
	s_waitcnt vmcnt(1)
	global_store_dword v[98:99], v100, off
.LBB54_371:
	s_or_b64 exec, exec, s[20:21]
	v_mov_b32_e32 v124, v122
	v_mov_b32_e32 v0, v122
.LBB54_372:
	s_or_b64 exec, exec, s[8:9]
.LBB54_373:
	s_andn2_saveexec_b64 s[0:1], s[0:1]
	s_cbranch_execz .LBB54_375
; %bb.374:
	v_mov_b32_e32 v124, 17
	ds_write2_b64 v1, v[34:35], v[36:37] offset0:36 offset1:37
	ds_write2_b64 v1, v[30:31], v[32:33] offset0:38 offset1:39
	;; [unrolled: 1-line block ×10, first 2 shown]
.LBB54_375:
	s_or_b64 exec, exec, s[0:1]
	v_cmp_lt_i32_e32 vcc, 17, v124
	s_waitcnt vmcnt(0) lgkmcnt(0)
	s_barrier
	s_and_saveexec_b64 s[0:1], vcc
	s_cbranch_execz .LBB54_377
; %bb.376:
	v_mul_f64 v[98:99], v[114:115], v[40:41]
	v_mul_f64 v[40:41], v[116:117], v[40:41]
	ds_read2_b64 v[106:109], v1 offset0:36 offset1:37
	v_fma_f64 v[122:123], v[116:117], v[38:39], v[98:99]
	v_fma_f64 v[38:39], v[114:115], v[38:39], -v[40:41]
	s_waitcnt lgkmcnt(0)
	v_mul_f64 v[40:41], v[108:109], v[122:123]
	v_mul_f64 v[98:99], v[106:107], v[122:123]
	v_fma_f64 v[40:41], v[106:107], v[38:39], -v[40:41]
	v_fma_f64 v[98:99], v[108:109], v[38:39], v[98:99]
	ds_read2_b64 v[106:109], v1 offset0:38 offset1:39
	v_add_f64 v[34:35], v[34:35], -v[40:41]
	v_add_f64 v[36:37], v[36:37], -v[98:99]
	s_waitcnt lgkmcnt(0)
	v_mul_f64 v[40:41], v[108:109], v[122:123]
	v_mul_f64 v[98:99], v[106:107], v[122:123]
	v_fma_f64 v[40:41], v[106:107], v[38:39], -v[40:41]
	v_fma_f64 v[98:99], v[108:109], v[38:39], v[98:99]
	ds_read2_b64 v[106:109], v1 offset0:40 offset1:41
	v_add_f64 v[30:31], v[30:31], -v[40:41]
	v_add_f64 v[32:33], v[32:33], -v[98:99]
	;; [unrolled: 8-line block ×9, first 2 shown]
	s_waitcnt lgkmcnt(0)
	v_mul_f64 v[40:41], v[108:109], v[122:123]
	v_mul_f64 v[98:99], v[106:107], v[122:123]
	v_fma_f64 v[40:41], v[106:107], v[38:39], -v[40:41]
	v_fma_f64 v[98:99], v[108:109], v[38:39], v[98:99]
	v_add_f64 v[110:111], v[110:111], -v[40:41]
	v_add_f64 v[112:113], v[112:113], -v[98:99]
	v_mov_b32_e32 v40, v122
	v_mov_b32_e32 v41, v123
.LBB54_377:
	s_or_b64 exec, exec, s[0:1]
	v_lshl_add_u32 v98, v124, 4, v1
	s_barrier
	ds_write2_b64 v98, v[34:35], v[36:37] offset1:1
	s_waitcnt lgkmcnt(0)
	s_barrier
	ds_read2_b64 v[114:117], v1 offset0:36 offset1:37
	s_cmp_lt_i32 s22, 20
	v_mov_b32_e32 v122, 18
	s_cbranch_scc1 .LBB54_380
; %bb.378:
	v_add_u32_e32 v118, 0x130, v1
	s_mov_b32 s0, 19
	v_mov_b32_e32 v122, 18
.LBB54_379:                             ; =>This Inner Loop Header: Depth=1
	s_waitcnt lgkmcnt(0)
	v_cmp_gt_f64_e32 vcc, 0, v[114:115]
	v_xor_b32_e32 v98, 0x80000000, v115
	ds_read2_b64 v[106:109], v118 offset1:1
	v_xor_b32_e32 v100, 0x80000000, v117
	v_add_u32_e32 v118, 16, v118
	s_waitcnt lgkmcnt(0)
	v_xor_b32_e32 v102, 0x80000000, v109
	v_cndmask_b32_e32 v99, v115, v98, vcc
	v_cmp_gt_f64_e32 vcc, 0, v[116:117]
	v_mov_b32_e32 v98, v114
	v_cndmask_b32_e32 v101, v117, v100, vcc
	v_cmp_gt_f64_e32 vcc, 0, v[106:107]
	v_mov_b32_e32 v100, v116
	v_add_f64 v[98:99], v[98:99], v[100:101]
	v_xor_b32_e32 v100, 0x80000000, v107
	v_cndmask_b32_e32 v101, v107, v100, vcc
	v_cmp_gt_f64_e32 vcc, 0, v[108:109]
	v_mov_b32_e32 v100, v106
	v_cndmask_b32_e32 v103, v109, v102, vcc
	v_mov_b32_e32 v102, v108
	v_add_f64 v[100:101], v[100:101], v[102:103]
	v_cmp_lt_f64_e32 vcc, v[98:99], v[100:101]
	v_mov_b32_e32 v98, s0
	s_add_i32 s0, s0, 1
	s_cmp_lg_u32 s22, s0
	v_cndmask_b32_e32 v115, v115, v107, vcc
	v_cndmask_b32_e32 v114, v114, v106, vcc
	;; [unrolled: 1-line block ×5, first 2 shown]
	s_cbranch_scc1 .LBB54_379
.LBB54_380:
	s_waitcnt lgkmcnt(0)
	v_cmp_eq_f64_e32 vcc, 0, v[114:115]
	v_cmp_eq_f64_e64 s[0:1], 0, v[116:117]
	s_and_b64 s[0:1], vcc, s[0:1]
	s_and_saveexec_b64 s[8:9], s[0:1]
	s_xor_b64 s[0:1], exec, s[8:9]
; %bb.381:
	v_cmp_ne_u32_e32 vcc, 0, v120
	v_cndmask_b32_e32 v120, 19, v120, vcc
; %bb.382:
	s_andn2_saveexec_b64 s[0:1], s[0:1]
	s_cbranch_execz .LBB54_388
; %bb.383:
	v_cmp_ngt_f64_e64 s[8:9], |v[114:115]|, |v[116:117]|
	s_and_saveexec_b64 s[20:21], s[8:9]
	s_xor_b64 s[8:9], exec, s[20:21]
	s_cbranch_execz .LBB54_385
; %bb.384:
	v_div_scale_f64 v[98:99], s[20:21], v[116:117], v[116:117], v[114:115]
	v_rcp_f64_e32 v[100:101], v[98:99]
	v_fma_f64 v[102:103], -v[98:99], v[100:101], 1.0
	v_fma_f64 v[100:101], v[100:101], v[102:103], v[100:101]
	v_div_scale_f64 v[102:103], vcc, v[114:115], v[116:117], v[114:115]
	v_fma_f64 v[104:105], -v[98:99], v[100:101], 1.0
	v_fma_f64 v[100:101], v[100:101], v[104:105], v[100:101]
	v_mul_f64 v[104:105], v[102:103], v[100:101]
	v_fma_f64 v[98:99], -v[98:99], v[104:105], v[102:103]
	v_div_fmas_f64 v[98:99], v[98:99], v[100:101], v[104:105]
	v_div_fixup_f64 v[98:99], v[98:99], v[116:117], v[114:115]
	v_fma_f64 v[100:101], v[114:115], v[98:99], v[116:117]
	v_div_scale_f64 v[102:103], s[20:21], v[100:101], v[100:101], 1.0
	v_div_scale_f64 v[108:109], vcc, 1.0, v[100:101], 1.0
	v_rcp_f64_e32 v[104:105], v[102:103]
	v_fma_f64 v[106:107], -v[102:103], v[104:105], 1.0
	v_fma_f64 v[104:105], v[104:105], v[106:107], v[104:105]
	v_fma_f64 v[106:107], -v[102:103], v[104:105], 1.0
	v_fma_f64 v[104:105], v[104:105], v[106:107], v[104:105]
	v_mul_f64 v[106:107], v[108:109], v[104:105]
	v_fma_f64 v[102:103], -v[102:103], v[106:107], v[108:109]
	v_div_fmas_f64 v[102:103], v[102:103], v[104:105], v[106:107]
	v_div_fixup_f64 v[116:117], v[102:103], v[100:101], 1.0
	v_mul_f64 v[114:115], v[98:99], v[116:117]
	v_xor_b32_e32 v117, 0x80000000, v117
.LBB54_385:
	s_andn2_saveexec_b64 s[8:9], s[8:9]
	s_cbranch_execz .LBB54_387
; %bb.386:
	v_div_scale_f64 v[98:99], s[20:21], v[114:115], v[114:115], v[116:117]
	v_rcp_f64_e32 v[100:101], v[98:99]
	v_fma_f64 v[102:103], -v[98:99], v[100:101], 1.0
	v_fma_f64 v[100:101], v[100:101], v[102:103], v[100:101]
	v_div_scale_f64 v[102:103], vcc, v[116:117], v[114:115], v[116:117]
	v_fma_f64 v[104:105], -v[98:99], v[100:101], 1.0
	v_fma_f64 v[100:101], v[100:101], v[104:105], v[100:101]
	v_mul_f64 v[104:105], v[102:103], v[100:101]
	v_fma_f64 v[98:99], -v[98:99], v[104:105], v[102:103]
	v_div_fmas_f64 v[98:99], v[98:99], v[100:101], v[104:105]
	v_div_fixup_f64 v[98:99], v[98:99], v[114:115], v[116:117]
	v_fma_f64 v[100:101], v[116:117], v[98:99], v[114:115]
	v_div_scale_f64 v[102:103], s[20:21], v[100:101], v[100:101], 1.0
	v_div_scale_f64 v[108:109], vcc, 1.0, v[100:101], 1.0
	v_rcp_f64_e32 v[104:105], v[102:103]
	v_fma_f64 v[106:107], -v[102:103], v[104:105], 1.0
	v_fma_f64 v[104:105], v[104:105], v[106:107], v[104:105]
	v_fma_f64 v[106:107], -v[102:103], v[104:105], 1.0
	v_fma_f64 v[104:105], v[104:105], v[106:107], v[104:105]
	v_mul_f64 v[106:107], v[108:109], v[104:105]
	v_fma_f64 v[102:103], -v[102:103], v[106:107], v[108:109]
	v_div_fmas_f64 v[102:103], v[102:103], v[104:105], v[106:107]
	v_div_fixup_f64 v[114:115], v[102:103], v[100:101], 1.0
	v_mul_f64 v[116:117], v[98:99], -v[114:115]
.LBB54_387:
	s_or_b64 exec, exec, s[8:9]
.LBB54_388:
	s_or_b64 exec, exec, s[0:1]
	v_cmp_ne_u32_e32 vcc, v124, v122
	s_and_saveexec_b64 s[0:1], vcc
	s_xor_b64 s[0:1], exec, s[0:1]
	s_cbranch_execz .LBB54_394
; %bb.389:
	v_cmp_eq_u32_e32 vcc, 18, v124
	s_and_saveexec_b64 s[8:9], vcc
	s_cbranch_execz .LBB54_393
; %bb.390:
	v_cmp_ne_u32_e32 vcc, 18, v122
	s_xor_b64 s[20:21], s[18:19], -1
	s_and_b64 s[24:25], s[20:21], vcc
	s_and_saveexec_b64 s[20:21], s[24:25]
	s_cbranch_execz .LBB54_392
; %bb.391:
	buffer_load_dword v94, off, s[28:31], 0 offset:48 ; 4-byte Folded Reload
	buffer_load_dword v95, off, s[28:31], 0 offset:52 ; 4-byte Folded Reload
	v_ashrrev_i32_e32 v123, 31, v122
	v_lshlrev_b64 v[98:99], 2, v[122:123]
	s_waitcnt vmcnt(1)
	v_add_co_u32_e32 v98, vcc, v94, v98
	s_waitcnt vmcnt(0)
	v_addc_co_u32_e32 v99, vcc, v95, v99, vcc
	global_load_dword v0, v[98:99], off
	global_load_dword v100, v[94:95], off offset:72
	s_waitcnt vmcnt(1)
	global_store_dword v[94:95], v0, off offset:72
	s_waitcnt vmcnt(1)
	global_store_dword v[98:99], v100, off
.LBB54_392:
	s_or_b64 exec, exec, s[20:21]
	v_mov_b32_e32 v124, v122
	v_mov_b32_e32 v0, v122
.LBB54_393:
	s_or_b64 exec, exec, s[8:9]
.LBB54_394:
	s_andn2_saveexec_b64 s[0:1], s[0:1]
	s_cbranch_execz .LBB54_396
; %bb.395:
	v_mov_b32_e32 v124, 18
	ds_write2_b64 v1, v[30:31], v[32:33] offset0:38 offset1:39
	ds_write2_b64 v1, v[26:27], v[28:29] offset0:40 offset1:41
	;; [unrolled: 1-line block ×9, first 2 shown]
.LBB54_396:
	s_or_b64 exec, exec, s[0:1]
	v_cmp_lt_i32_e32 vcc, 18, v124
	s_waitcnt vmcnt(0) lgkmcnt(0)
	s_barrier
	s_and_saveexec_b64 s[0:1], vcc
	s_cbranch_execz .LBB54_398
; %bb.397:
	v_mul_f64 v[98:99], v[114:115], v[36:37]
	v_mul_f64 v[36:37], v[116:117], v[36:37]
	ds_read2_b64 v[106:109], v1 offset0:38 offset1:39
	v_fma_f64 v[122:123], v[116:117], v[34:35], v[98:99]
	v_fma_f64 v[34:35], v[114:115], v[34:35], -v[36:37]
	s_waitcnt lgkmcnt(0)
	v_mul_f64 v[36:37], v[108:109], v[122:123]
	v_mul_f64 v[98:99], v[106:107], v[122:123]
	v_fma_f64 v[36:37], v[106:107], v[34:35], -v[36:37]
	v_fma_f64 v[98:99], v[108:109], v[34:35], v[98:99]
	ds_read2_b64 v[106:109], v1 offset0:40 offset1:41
	v_add_f64 v[30:31], v[30:31], -v[36:37]
	v_add_f64 v[32:33], v[32:33], -v[98:99]
	s_waitcnt lgkmcnt(0)
	v_mul_f64 v[36:37], v[108:109], v[122:123]
	v_mul_f64 v[98:99], v[106:107], v[122:123]
	v_fma_f64 v[36:37], v[106:107], v[34:35], -v[36:37]
	v_fma_f64 v[98:99], v[108:109], v[34:35], v[98:99]
	ds_read2_b64 v[106:109], v1 offset0:42 offset1:43
	v_add_f64 v[26:27], v[26:27], -v[36:37]
	v_add_f64 v[28:29], v[28:29], -v[98:99]
	;; [unrolled: 8-line block ×8, first 2 shown]
	s_waitcnt lgkmcnt(0)
	v_mul_f64 v[36:37], v[108:109], v[122:123]
	v_mul_f64 v[98:99], v[106:107], v[122:123]
	v_fma_f64 v[36:37], v[106:107], v[34:35], -v[36:37]
	v_fma_f64 v[98:99], v[108:109], v[34:35], v[98:99]
	v_add_f64 v[110:111], v[110:111], -v[36:37]
	v_add_f64 v[112:113], v[112:113], -v[98:99]
	v_mov_b32_e32 v36, v122
	v_mov_b32_e32 v37, v123
.LBB54_398:
	s_or_b64 exec, exec, s[0:1]
	v_lshl_add_u32 v98, v124, 4, v1
	s_barrier
	ds_write2_b64 v98, v[30:31], v[32:33] offset1:1
	s_waitcnt lgkmcnt(0)
	s_barrier
	ds_read2_b64 v[114:117], v1 offset0:38 offset1:39
	s_cmp_lt_i32 s22, 21
	v_mov_b32_e32 v122, 19
	s_cbranch_scc1 .LBB54_401
; %bb.399:
	v_add_u32_e32 v118, 0x140, v1
	s_mov_b32 s0, 20
	v_mov_b32_e32 v122, 19
.LBB54_400:                             ; =>This Inner Loop Header: Depth=1
	s_waitcnt lgkmcnt(0)
	v_cmp_gt_f64_e32 vcc, 0, v[114:115]
	v_xor_b32_e32 v98, 0x80000000, v115
	ds_read2_b64 v[106:109], v118 offset1:1
	v_xor_b32_e32 v100, 0x80000000, v117
	v_add_u32_e32 v118, 16, v118
	s_waitcnt lgkmcnt(0)
	v_xor_b32_e32 v102, 0x80000000, v109
	v_cndmask_b32_e32 v99, v115, v98, vcc
	v_cmp_gt_f64_e32 vcc, 0, v[116:117]
	v_mov_b32_e32 v98, v114
	v_cndmask_b32_e32 v101, v117, v100, vcc
	v_cmp_gt_f64_e32 vcc, 0, v[106:107]
	v_mov_b32_e32 v100, v116
	v_add_f64 v[98:99], v[98:99], v[100:101]
	v_xor_b32_e32 v100, 0x80000000, v107
	v_cndmask_b32_e32 v101, v107, v100, vcc
	v_cmp_gt_f64_e32 vcc, 0, v[108:109]
	v_mov_b32_e32 v100, v106
	v_cndmask_b32_e32 v103, v109, v102, vcc
	v_mov_b32_e32 v102, v108
	v_add_f64 v[100:101], v[100:101], v[102:103]
	v_cmp_lt_f64_e32 vcc, v[98:99], v[100:101]
	v_mov_b32_e32 v98, s0
	s_add_i32 s0, s0, 1
	s_cmp_lg_u32 s22, s0
	v_cndmask_b32_e32 v115, v115, v107, vcc
	v_cndmask_b32_e32 v114, v114, v106, vcc
	;; [unrolled: 1-line block ×5, first 2 shown]
	s_cbranch_scc1 .LBB54_400
.LBB54_401:
	s_waitcnt lgkmcnt(0)
	v_cmp_eq_f64_e32 vcc, 0, v[114:115]
	v_cmp_eq_f64_e64 s[0:1], 0, v[116:117]
	s_and_b64 s[0:1], vcc, s[0:1]
	s_and_saveexec_b64 s[8:9], s[0:1]
	s_xor_b64 s[0:1], exec, s[8:9]
; %bb.402:
	v_cmp_ne_u32_e32 vcc, 0, v120
	v_cndmask_b32_e32 v120, 20, v120, vcc
; %bb.403:
	s_andn2_saveexec_b64 s[0:1], s[0:1]
	s_cbranch_execz .LBB54_409
; %bb.404:
	v_cmp_ngt_f64_e64 s[8:9], |v[114:115]|, |v[116:117]|
	s_and_saveexec_b64 s[20:21], s[8:9]
	s_xor_b64 s[8:9], exec, s[20:21]
	s_cbranch_execz .LBB54_406
; %bb.405:
	v_div_scale_f64 v[98:99], s[20:21], v[116:117], v[116:117], v[114:115]
	v_rcp_f64_e32 v[100:101], v[98:99]
	v_fma_f64 v[102:103], -v[98:99], v[100:101], 1.0
	v_fma_f64 v[100:101], v[100:101], v[102:103], v[100:101]
	v_div_scale_f64 v[102:103], vcc, v[114:115], v[116:117], v[114:115]
	v_fma_f64 v[104:105], -v[98:99], v[100:101], 1.0
	v_fma_f64 v[100:101], v[100:101], v[104:105], v[100:101]
	v_mul_f64 v[104:105], v[102:103], v[100:101]
	v_fma_f64 v[98:99], -v[98:99], v[104:105], v[102:103]
	v_div_fmas_f64 v[98:99], v[98:99], v[100:101], v[104:105]
	v_div_fixup_f64 v[98:99], v[98:99], v[116:117], v[114:115]
	v_fma_f64 v[100:101], v[114:115], v[98:99], v[116:117]
	v_div_scale_f64 v[102:103], s[20:21], v[100:101], v[100:101], 1.0
	v_div_scale_f64 v[108:109], vcc, 1.0, v[100:101], 1.0
	v_rcp_f64_e32 v[104:105], v[102:103]
	v_fma_f64 v[106:107], -v[102:103], v[104:105], 1.0
	v_fma_f64 v[104:105], v[104:105], v[106:107], v[104:105]
	v_fma_f64 v[106:107], -v[102:103], v[104:105], 1.0
	v_fma_f64 v[104:105], v[104:105], v[106:107], v[104:105]
	v_mul_f64 v[106:107], v[108:109], v[104:105]
	v_fma_f64 v[102:103], -v[102:103], v[106:107], v[108:109]
	v_div_fmas_f64 v[102:103], v[102:103], v[104:105], v[106:107]
	v_div_fixup_f64 v[116:117], v[102:103], v[100:101], 1.0
	v_mul_f64 v[114:115], v[98:99], v[116:117]
	v_xor_b32_e32 v117, 0x80000000, v117
.LBB54_406:
	s_andn2_saveexec_b64 s[8:9], s[8:9]
	s_cbranch_execz .LBB54_408
; %bb.407:
	v_div_scale_f64 v[98:99], s[20:21], v[114:115], v[114:115], v[116:117]
	v_rcp_f64_e32 v[100:101], v[98:99]
	v_fma_f64 v[102:103], -v[98:99], v[100:101], 1.0
	v_fma_f64 v[100:101], v[100:101], v[102:103], v[100:101]
	v_div_scale_f64 v[102:103], vcc, v[116:117], v[114:115], v[116:117]
	v_fma_f64 v[104:105], -v[98:99], v[100:101], 1.0
	v_fma_f64 v[100:101], v[100:101], v[104:105], v[100:101]
	v_mul_f64 v[104:105], v[102:103], v[100:101]
	v_fma_f64 v[98:99], -v[98:99], v[104:105], v[102:103]
	v_div_fmas_f64 v[98:99], v[98:99], v[100:101], v[104:105]
	v_div_fixup_f64 v[98:99], v[98:99], v[114:115], v[116:117]
	v_fma_f64 v[100:101], v[116:117], v[98:99], v[114:115]
	v_div_scale_f64 v[102:103], s[20:21], v[100:101], v[100:101], 1.0
	v_div_scale_f64 v[108:109], vcc, 1.0, v[100:101], 1.0
	v_rcp_f64_e32 v[104:105], v[102:103]
	v_fma_f64 v[106:107], -v[102:103], v[104:105], 1.0
	v_fma_f64 v[104:105], v[104:105], v[106:107], v[104:105]
	v_fma_f64 v[106:107], -v[102:103], v[104:105], 1.0
	v_fma_f64 v[104:105], v[104:105], v[106:107], v[104:105]
	v_mul_f64 v[106:107], v[108:109], v[104:105]
	v_fma_f64 v[102:103], -v[102:103], v[106:107], v[108:109]
	v_div_fmas_f64 v[102:103], v[102:103], v[104:105], v[106:107]
	v_div_fixup_f64 v[114:115], v[102:103], v[100:101], 1.0
	v_mul_f64 v[116:117], v[98:99], -v[114:115]
.LBB54_408:
	s_or_b64 exec, exec, s[8:9]
.LBB54_409:
	s_or_b64 exec, exec, s[0:1]
	v_cmp_ne_u32_e32 vcc, v124, v122
	s_and_saveexec_b64 s[0:1], vcc
	s_xor_b64 s[0:1], exec, s[0:1]
	s_cbranch_execz .LBB54_415
; %bb.410:
	v_cmp_eq_u32_e32 vcc, 19, v124
	s_and_saveexec_b64 s[8:9], vcc
	s_cbranch_execz .LBB54_414
; %bb.411:
	v_cmp_ne_u32_e32 vcc, 19, v122
	s_xor_b64 s[20:21], s[18:19], -1
	s_and_b64 s[24:25], s[20:21], vcc
	s_and_saveexec_b64 s[20:21], s[24:25]
	s_cbranch_execz .LBB54_413
; %bb.412:
	buffer_load_dword v94, off, s[28:31], 0 offset:48 ; 4-byte Folded Reload
	buffer_load_dword v95, off, s[28:31], 0 offset:52 ; 4-byte Folded Reload
	v_ashrrev_i32_e32 v123, 31, v122
	v_lshlrev_b64 v[98:99], 2, v[122:123]
	s_waitcnt vmcnt(1)
	v_add_co_u32_e32 v98, vcc, v94, v98
	s_waitcnt vmcnt(0)
	v_addc_co_u32_e32 v99, vcc, v95, v99, vcc
	global_load_dword v0, v[98:99], off
	global_load_dword v100, v[94:95], off offset:76
	s_waitcnt vmcnt(1)
	global_store_dword v[94:95], v0, off offset:76
	s_waitcnt vmcnt(1)
	global_store_dword v[98:99], v100, off
.LBB54_413:
	s_or_b64 exec, exec, s[20:21]
	v_mov_b32_e32 v124, v122
	v_mov_b32_e32 v0, v122
.LBB54_414:
	s_or_b64 exec, exec, s[8:9]
.LBB54_415:
	s_andn2_saveexec_b64 s[0:1], s[0:1]
	s_cbranch_execz .LBB54_417
; %bb.416:
	v_mov_b32_e32 v124, 19
	ds_write2_b64 v1, v[26:27], v[28:29] offset0:40 offset1:41
	ds_write2_b64 v1, v[22:23], v[24:25] offset0:42 offset1:43
	;; [unrolled: 1-line block ×8, first 2 shown]
.LBB54_417:
	s_or_b64 exec, exec, s[0:1]
	v_cmp_lt_i32_e32 vcc, 19, v124
	s_waitcnt vmcnt(0) lgkmcnt(0)
	s_barrier
	s_and_saveexec_b64 s[0:1], vcc
	s_cbranch_execz .LBB54_419
; %bb.418:
	v_mul_f64 v[98:99], v[114:115], v[32:33]
	v_mul_f64 v[32:33], v[116:117], v[32:33]
	ds_read2_b64 v[106:109], v1 offset0:40 offset1:41
	v_fma_f64 v[122:123], v[116:117], v[30:31], v[98:99]
	v_fma_f64 v[30:31], v[114:115], v[30:31], -v[32:33]
	s_waitcnt lgkmcnt(0)
	v_mul_f64 v[32:33], v[108:109], v[122:123]
	v_mul_f64 v[98:99], v[106:107], v[122:123]
	v_fma_f64 v[32:33], v[106:107], v[30:31], -v[32:33]
	v_fma_f64 v[98:99], v[108:109], v[30:31], v[98:99]
	ds_read2_b64 v[106:109], v1 offset0:42 offset1:43
	v_add_f64 v[26:27], v[26:27], -v[32:33]
	v_add_f64 v[28:29], v[28:29], -v[98:99]
	s_waitcnt lgkmcnt(0)
	v_mul_f64 v[32:33], v[108:109], v[122:123]
	v_mul_f64 v[98:99], v[106:107], v[122:123]
	v_fma_f64 v[32:33], v[106:107], v[30:31], -v[32:33]
	v_fma_f64 v[98:99], v[108:109], v[30:31], v[98:99]
	ds_read2_b64 v[106:109], v1 offset0:44 offset1:45
	v_add_f64 v[22:23], v[22:23], -v[32:33]
	v_add_f64 v[24:25], v[24:25], -v[98:99]
	s_waitcnt lgkmcnt(0)
	v_mul_f64 v[32:33], v[108:109], v[122:123]
	v_mul_f64 v[98:99], v[106:107], v[122:123]
	v_fma_f64 v[32:33], v[106:107], v[30:31], -v[32:33]
	v_fma_f64 v[98:99], v[108:109], v[30:31], v[98:99]
	ds_read2_b64 v[106:109], v1 offset0:46 offset1:47
	v_add_f64 v[18:19], v[18:19], -v[32:33]
	v_add_f64 v[20:21], v[20:21], -v[98:99]
	s_waitcnt lgkmcnt(0)
	v_mul_f64 v[32:33], v[108:109], v[122:123]
	v_mul_f64 v[98:99], v[106:107], v[122:123]
	v_fma_f64 v[32:33], v[106:107], v[30:31], -v[32:33]
	v_fma_f64 v[98:99], v[108:109], v[30:31], v[98:99]
	ds_read2_b64 v[106:109], v1 offset0:48 offset1:49
	v_add_f64 v[14:15], v[14:15], -v[32:33]
	v_add_f64 v[16:17], v[16:17], -v[98:99]
	s_waitcnt lgkmcnt(0)
	v_mul_f64 v[32:33], v[108:109], v[122:123]
	v_mul_f64 v[98:99], v[106:107], v[122:123]
	v_fma_f64 v[32:33], v[106:107], v[30:31], -v[32:33]
	v_fma_f64 v[98:99], v[108:109], v[30:31], v[98:99]
	ds_read2_b64 v[106:109], v1 offset0:50 offset1:51
	v_add_f64 v[10:11], v[10:11], -v[32:33]
	v_add_f64 v[12:13], v[12:13], -v[98:99]
	s_waitcnt lgkmcnt(0)
	v_mul_f64 v[32:33], v[108:109], v[122:123]
	v_mul_f64 v[98:99], v[106:107], v[122:123]
	v_fma_f64 v[32:33], v[106:107], v[30:31], -v[32:33]
	v_fma_f64 v[98:99], v[108:109], v[30:31], v[98:99]
	ds_read2_b64 v[106:109], v1 offset0:52 offset1:53
	v_add_f64 v[6:7], v[6:7], -v[32:33]
	v_add_f64 v[8:9], v[8:9], -v[98:99]
	s_waitcnt lgkmcnt(0)
	v_mul_f64 v[32:33], v[108:109], v[122:123]
	v_mul_f64 v[98:99], v[106:107], v[122:123]
	v_fma_f64 v[32:33], v[106:107], v[30:31], -v[32:33]
	v_fma_f64 v[98:99], v[108:109], v[30:31], v[98:99]
	ds_read2_b64 v[106:109], v1 offset0:54 offset1:55
	v_add_f64 v[2:3], v[2:3], -v[32:33]
	v_add_f64 v[4:5], v[4:5], -v[98:99]
	s_waitcnt lgkmcnt(0)
	v_mul_f64 v[32:33], v[108:109], v[122:123]
	v_mul_f64 v[98:99], v[106:107], v[122:123]
	v_fma_f64 v[32:33], v[106:107], v[30:31], -v[32:33]
	v_fma_f64 v[98:99], v[108:109], v[30:31], v[98:99]
	v_add_f64 v[110:111], v[110:111], -v[32:33]
	v_add_f64 v[112:113], v[112:113], -v[98:99]
	v_mov_b32_e32 v32, v122
	v_mov_b32_e32 v33, v123
.LBB54_419:
	s_or_b64 exec, exec, s[0:1]
	v_lshl_add_u32 v98, v124, 4, v1
	s_barrier
	ds_write2_b64 v98, v[26:27], v[28:29] offset1:1
	s_waitcnt lgkmcnt(0)
	s_barrier
	ds_read2_b64 v[114:117], v1 offset0:40 offset1:41
	s_cmp_lt_i32 s22, 22
	v_mov_b32_e32 v122, 20
	s_cbranch_scc1 .LBB54_422
; %bb.420:
	v_add_u32_e32 v118, 0x150, v1
	s_mov_b32 s0, 21
	v_mov_b32_e32 v122, 20
.LBB54_421:                             ; =>This Inner Loop Header: Depth=1
	s_waitcnt lgkmcnt(0)
	v_cmp_gt_f64_e32 vcc, 0, v[114:115]
	v_xor_b32_e32 v98, 0x80000000, v115
	ds_read2_b64 v[106:109], v118 offset1:1
	v_xor_b32_e32 v100, 0x80000000, v117
	v_add_u32_e32 v118, 16, v118
	s_waitcnt lgkmcnt(0)
	v_xor_b32_e32 v102, 0x80000000, v109
	v_cndmask_b32_e32 v99, v115, v98, vcc
	v_cmp_gt_f64_e32 vcc, 0, v[116:117]
	v_mov_b32_e32 v98, v114
	v_cndmask_b32_e32 v101, v117, v100, vcc
	v_cmp_gt_f64_e32 vcc, 0, v[106:107]
	v_mov_b32_e32 v100, v116
	v_add_f64 v[98:99], v[98:99], v[100:101]
	v_xor_b32_e32 v100, 0x80000000, v107
	v_cndmask_b32_e32 v101, v107, v100, vcc
	v_cmp_gt_f64_e32 vcc, 0, v[108:109]
	v_mov_b32_e32 v100, v106
	v_cndmask_b32_e32 v103, v109, v102, vcc
	v_mov_b32_e32 v102, v108
	v_add_f64 v[100:101], v[100:101], v[102:103]
	v_cmp_lt_f64_e32 vcc, v[98:99], v[100:101]
	v_mov_b32_e32 v98, s0
	s_add_i32 s0, s0, 1
	s_cmp_lg_u32 s22, s0
	v_cndmask_b32_e32 v115, v115, v107, vcc
	v_cndmask_b32_e32 v114, v114, v106, vcc
	;; [unrolled: 1-line block ×5, first 2 shown]
	s_cbranch_scc1 .LBB54_421
.LBB54_422:
	s_waitcnt lgkmcnt(0)
	v_cmp_eq_f64_e32 vcc, 0, v[114:115]
	v_cmp_eq_f64_e64 s[0:1], 0, v[116:117]
	s_and_b64 s[0:1], vcc, s[0:1]
	s_and_saveexec_b64 s[8:9], s[0:1]
	s_xor_b64 s[0:1], exec, s[8:9]
; %bb.423:
	v_cmp_ne_u32_e32 vcc, 0, v120
	v_cndmask_b32_e32 v120, 21, v120, vcc
; %bb.424:
	s_andn2_saveexec_b64 s[0:1], s[0:1]
	s_cbranch_execz .LBB54_430
; %bb.425:
	v_cmp_ngt_f64_e64 s[8:9], |v[114:115]|, |v[116:117]|
	s_and_saveexec_b64 s[20:21], s[8:9]
	s_xor_b64 s[8:9], exec, s[20:21]
	s_cbranch_execz .LBB54_427
; %bb.426:
	v_div_scale_f64 v[98:99], s[20:21], v[116:117], v[116:117], v[114:115]
	v_rcp_f64_e32 v[100:101], v[98:99]
	v_fma_f64 v[102:103], -v[98:99], v[100:101], 1.0
	v_fma_f64 v[100:101], v[100:101], v[102:103], v[100:101]
	v_div_scale_f64 v[102:103], vcc, v[114:115], v[116:117], v[114:115]
	v_fma_f64 v[104:105], -v[98:99], v[100:101], 1.0
	v_fma_f64 v[100:101], v[100:101], v[104:105], v[100:101]
	v_mul_f64 v[104:105], v[102:103], v[100:101]
	v_fma_f64 v[98:99], -v[98:99], v[104:105], v[102:103]
	v_div_fmas_f64 v[98:99], v[98:99], v[100:101], v[104:105]
	v_div_fixup_f64 v[98:99], v[98:99], v[116:117], v[114:115]
	v_fma_f64 v[100:101], v[114:115], v[98:99], v[116:117]
	v_div_scale_f64 v[102:103], s[20:21], v[100:101], v[100:101], 1.0
	v_div_scale_f64 v[108:109], vcc, 1.0, v[100:101], 1.0
	v_rcp_f64_e32 v[104:105], v[102:103]
	v_fma_f64 v[106:107], -v[102:103], v[104:105], 1.0
	v_fma_f64 v[104:105], v[104:105], v[106:107], v[104:105]
	v_fma_f64 v[106:107], -v[102:103], v[104:105], 1.0
	v_fma_f64 v[104:105], v[104:105], v[106:107], v[104:105]
	v_mul_f64 v[106:107], v[108:109], v[104:105]
	v_fma_f64 v[102:103], -v[102:103], v[106:107], v[108:109]
	v_div_fmas_f64 v[102:103], v[102:103], v[104:105], v[106:107]
	v_div_fixup_f64 v[116:117], v[102:103], v[100:101], 1.0
	v_mul_f64 v[114:115], v[98:99], v[116:117]
	v_xor_b32_e32 v117, 0x80000000, v117
.LBB54_427:
	s_andn2_saveexec_b64 s[8:9], s[8:9]
	s_cbranch_execz .LBB54_429
; %bb.428:
	v_div_scale_f64 v[98:99], s[20:21], v[114:115], v[114:115], v[116:117]
	v_rcp_f64_e32 v[100:101], v[98:99]
	v_fma_f64 v[102:103], -v[98:99], v[100:101], 1.0
	v_fma_f64 v[100:101], v[100:101], v[102:103], v[100:101]
	v_div_scale_f64 v[102:103], vcc, v[116:117], v[114:115], v[116:117]
	v_fma_f64 v[104:105], -v[98:99], v[100:101], 1.0
	v_fma_f64 v[100:101], v[100:101], v[104:105], v[100:101]
	v_mul_f64 v[104:105], v[102:103], v[100:101]
	v_fma_f64 v[98:99], -v[98:99], v[104:105], v[102:103]
	v_div_fmas_f64 v[98:99], v[98:99], v[100:101], v[104:105]
	v_div_fixup_f64 v[98:99], v[98:99], v[114:115], v[116:117]
	v_fma_f64 v[100:101], v[116:117], v[98:99], v[114:115]
	v_div_scale_f64 v[102:103], s[20:21], v[100:101], v[100:101], 1.0
	v_div_scale_f64 v[108:109], vcc, 1.0, v[100:101], 1.0
	v_rcp_f64_e32 v[104:105], v[102:103]
	v_fma_f64 v[106:107], -v[102:103], v[104:105], 1.0
	v_fma_f64 v[104:105], v[104:105], v[106:107], v[104:105]
	v_fma_f64 v[106:107], -v[102:103], v[104:105], 1.0
	v_fma_f64 v[104:105], v[104:105], v[106:107], v[104:105]
	v_mul_f64 v[106:107], v[108:109], v[104:105]
	v_fma_f64 v[102:103], -v[102:103], v[106:107], v[108:109]
	v_div_fmas_f64 v[102:103], v[102:103], v[104:105], v[106:107]
	v_div_fixup_f64 v[114:115], v[102:103], v[100:101], 1.0
	v_mul_f64 v[116:117], v[98:99], -v[114:115]
.LBB54_429:
	s_or_b64 exec, exec, s[8:9]
.LBB54_430:
	s_or_b64 exec, exec, s[0:1]
	v_cmp_ne_u32_e32 vcc, v124, v122
	s_and_saveexec_b64 s[0:1], vcc
	s_xor_b64 s[0:1], exec, s[0:1]
	s_cbranch_execz .LBB54_436
; %bb.431:
	v_cmp_eq_u32_e32 vcc, 20, v124
	s_and_saveexec_b64 s[8:9], vcc
	s_cbranch_execz .LBB54_435
; %bb.432:
	v_cmp_ne_u32_e32 vcc, 20, v122
	s_xor_b64 s[20:21], s[18:19], -1
	s_and_b64 s[24:25], s[20:21], vcc
	s_and_saveexec_b64 s[20:21], s[24:25]
	s_cbranch_execz .LBB54_434
; %bb.433:
	buffer_load_dword v94, off, s[28:31], 0 offset:48 ; 4-byte Folded Reload
	buffer_load_dword v95, off, s[28:31], 0 offset:52 ; 4-byte Folded Reload
	v_ashrrev_i32_e32 v123, 31, v122
	v_lshlrev_b64 v[98:99], 2, v[122:123]
	s_waitcnt vmcnt(1)
	v_add_co_u32_e32 v98, vcc, v94, v98
	s_waitcnt vmcnt(0)
	v_addc_co_u32_e32 v99, vcc, v95, v99, vcc
	global_load_dword v0, v[98:99], off
	global_load_dword v100, v[94:95], off offset:80
	s_waitcnt vmcnt(1)
	global_store_dword v[94:95], v0, off offset:80
	s_waitcnt vmcnt(1)
	global_store_dword v[98:99], v100, off
.LBB54_434:
	s_or_b64 exec, exec, s[20:21]
	v_mov_b32_e32 v124, v122
	v_mov_b32_e32 v0, v122
.LBB54_435:
	s_or_b64 exec, exec, s[8:9]
.LBB54_436:
	s_andn2_saveexec_b64 s[0:1], s[0:1]
	s_cbranch_execz .LBB54_438
; %bb.437:
	v_mov_b32_e32 v124, 20
	ds_write2_b64 v1, v[22:23], v[24:25] offset0:42 offset1:43
	ds_write2_b64 v1, v[18:19], v[20:21] offset0:44 offset1:45
	;; [unrolled: 1-line block ×7, first 2 shown]
.LBB54_438:
	s_or_b64 exec, exec, s[0:1]
	v_cmp_lt_i32_e32 vcc, 20, v124
	s_waitcnt vmcnt(0) lgkmcnt(0)
	s_barrier
	s_and_saveexec_b64 s[0:1], vcc
	s_cbranch_execz .LBB54_440
; %bb.439:
	v_mul_f64 v[98:99], v[114:115], v[28:29]
	v_mul_f64 v[28:29], v[116:117], v[28:29]
	ds_read2_b64 v[106:109], v1 offset0:42 offset1:43
	v_fma_f64 v[122:123], v[116:117], v[26:27], v[98:99]
	v_fma_f64 v[26:27], v[114:115], v[26:27], -v[28:29]
	s_waitcnt lgkmcnt(0)
	v_mul_f64 v[28:29], v[108:109], v[122:123]
	v_mul_f64 v[98:99], v[106:107], v[122:123]
	v_fma_f64 v[28:29], v[106:107], v[26:27], -v[28:29]
	v_fma_f64 v[98:99], v[108:109], v[26:27], v[98:99]
	ds_read2_b64 v[106:109], v1 offset0:44 offset1:45
	v_add_f64 v[22:23], v[22:23], -v[28:29]
	v_add_f64 v[24:25], v[24:25], -v[98:99]
	s_waitcnt lgkmcnt(0)
	v_mul_f64 v[28:29], v[108:109], v[122:123]
	v_mul_f64 v[98:99], v[106:107], v[122:123]
	v_fma_f64 v[28:29], v[106:107], v[26:27], -v[28:29]
	v_fma_f64 v[98:99], v[108:109], v[26:27], v[98:99]
	ds_read2_b64 v[106:109], v1 offset0:46 offset1:47
	v_add_f64 v[18:19], v[18:19], -v[28:29]
	v_add_f64 v[20:21], v[20:21], -v[98:99]
	;; [unrolled: 8-line block ×6, first 2 shown]
	s_waitcnt lgkmcnt(0)
	v_mul_f64 v[28:29], v[108:109], v[122:123]
	v_mul_f64 v[98:99], v[106:107], v[122:123]
	v_fma_f64 v[28:29], v[106:107], v[26:27], -v[28:29]
	v_fma_f64 v[98:99], v[108:109], v[26:27], v[98:99]
	v_add_f64 v[110:111], v[110:111], -v[28:29]
	v_add_f64 v[112:113], v[112:113], -v[98:99]
	v_mov_b32_e32 v28, v122
	v_mov_b32_e32 v29, v123
.LBB54_440:
	s_or_b64 exec, exec, s[0:1]
	v_lshl_add_u32 v98, v124, 4, v1
	s_barrier
	ds_write2_b64 v98, v[22:23], v[24:25] offset1:1
	s_waitcnt lgkmcnt(0)
	s_barrier
	ds_read2_b64 v[114:117], v1 offset0:42 offset1:43
	s_cmp_lt_i32 s22, 23
	v_mov_b32_e32 v122, 21
	s_cbranch_scc1 .LBB54_443
; %bb.441:
	v_add_u32_e32 v118, 0x160, v1
	s_mov_b32 s0, 22
	v_mov_b32_e32 v122, 21
.LBB54_442:                             ; =>This Inner Loop Header: Depth=1
	s_waitcnt lgkmcnt(0)
	v_cmp_gt_f64_e32 vcc, 0, v[114:115]
	v_xor_b32_e32 v98, 0x80000000, v115
	ds_read2_b64 v[106:109], v118 offset1:1
	v_xor_b32_e32 v100, 0x80000000, v117
	v_add_u32_e32 v118, 16, v118
	s_waitcnt lgkmcnt(0)
	v_xor_b32_e32 v102, 0x80000000, v109
	v_cndmask_b32_e32 v99, v115, v98, vcc
	v_cmp_gt_f64_e32 vcc, 0, v[116:117]
	v_mov_b32_e32 v98, v114
	v_cndmask_b32_e32 v101, v117, v100, vcc
	v_cmp_gt_f64_e32 vcc, 0, v[106:107]
	v_mov_b32_e32 v100, v116
	v_add_f64 v[98:99], v[98:99], v[100:101]
	v_xor_b32_e32 v100, 0x80000000, v107
	v_cndmask_b32_e32 v101, v107, v100, vcc
	v_cmp_gt_f64_e32 vcc, 0, v[108:109]
	v_mov_b32_e32 v100, v106
	v_cndmask_b32_e32 v103, v109, v102, vcc
	v_mov_b32_e32 v102, v108
	v_add_f64 v[100:101], v[100:101], v[102:103]
	v_cmp_lt_f64_e32 vcc, v[98:99], v[100:101]
	v_mov_b32_e32 v98, s0
	s_add_i32 s0, s0, 1
	s_cmp_lg_u32 s22, s0
	v_cndmask_b32_e32 v115, v115, v107, vcc
	v_cndmask_b32_e32 v114, v114, v106, vcc
	;; [unrolled: 1-line block ×5, first 2 shown]
	s_cbranch_scc1 .LBB54_442
.LBB54_443:
	s_waitcnt lgkmcnt(0)
	v_cmp_eq_f64_e32 vcc, 0, v[114:115]
	v_cmp_eq_f64_e64 s[0:1], 0, v[116:117]
	s_and_b64 s[0:1], vcc, s[0:1]
	s_and_saveexec_b64 s[8:9], s[0:1]
	s_xor_b64 s[0:1], exec, s[8:9]
; %bb.444:
	v_cmp_ne_u32_e32 vcc, 0, v120
	v_cndmask_b32_e32 v120, 22, v120, vcc
; %bb.445:
	s_andn2_saveexec_b64 s[0:1], s[0:1]
	s_cbranch_execz .LBB54_451
; %bb.446:
	v_cmp_ngt_f64_e64 s[8:9], |v[114:115]|, |v[116:117]|
	s_and_saveexec_b64 s[20:21], s[8:9]
	s_xor_b64 s[8:9], exec, s[20:21]
	s_cbranch_execz .LBB54_448
; %bb.447:
	v_div_scale_f64 v[98:99], s[20:21], v[116:117], v[116:117], v[114:115]
	v_rcp_f64_e32 v[100:101], v[98:99]
	v_fma_f64 v[102:103], -v[98:99], v[100:101], 1.0
	v_fma_f64 v[100:101], v[100:101], v[102:103], v[100:101]
	v_div_scale_f64 v[102:103], vcc, v[114:115], v[116:117], v[114:115]
	v_fma_f64 v[104:105], -v[98:99], v[100:101], 1.0
	v_fma_f64 v[100:101], v[100:101], v[104:105], v[100:101]
	v_mul_f64 v[104:105], v[102:103], v[100:101]
	v_fma_f64 v[98:99], -v[98:99], v[104:105], v[102:103]
	v_div_fmas_f64 v[98:99], v[98:99], v[100:101], v[104:105]
	v_div_fixup_f64 v[98:99], v[98:99], v[116:117], v[114:115]
	v_fma_f64 v[100:101], v[114:115], v[98:99], v[116:117]
	v_div_scale_f64 v[102:103], s[20:21], v[100:101], v[100:101], 1.0
	v_div_scale_f64 v[108:109], vcc, 1.0, v[100:101], 1.0
	v_rcp_f64_e32 v[104:105], v[102:103]
	v_fma_f64 v[106:107], -v[102:103], v[104:105], 1.0
	v_fma_f64 v[104:105], v[104:105], v[106:107], v[104:105]
	v_fma_f64 v[106:107], -v[102:103], v[104:105], 1.0
	v_fma_f64 v[104:105], v[104:105], v[106:107], v[104:105]
	v_mul_f64 v[106:107], v[108:109], v[104:105]
	v_fma_f64 v[102:103], -v[102:103], v[106:107], v[108:109]
	v_div_fmas_f64 v[102:103], v[102:103], v[104:105], v[106:107]
	v_div_fixup_f64 v[116:117], v[102:103], v[100:101], 1.0
	v_mul_f64 v[114:115], v[98:99], v[116:117]
	v_xor_b32_e32 v117, 0x80000000, v117
.LBB54_448:
	s_andn2_saveexec_b64 s[8:9], s[8:9]
	s_cbranch_execz .LBB54_450
; %bb.449:
	v_div_scale_f64 v[98:99], s[20:21], v[114:115], v[114:115], v[116:117]
	v_rcp_f64_e32 v[100:101], v[98:99]
	v_fma_f64 v[102:103], -v[98:99], v[100:101], 1.0
	v_fma_f64 v[100:101], v[100:101], v[102:103], v[100:101]
	v_div_scale_f64 v[102:103], vcc, v[116:117], v[114:115], v[116:117]
	v_fma_f64 v[104:105], -v[98:99], v[100:101], 1.0
	v_fma_f64 v[100:101], v[100:101], v[104:105], v[100:101]
	v_mul_f64 v[104:105], v[102:103], v[100:101]
	v_fma_f64 v[98:99], -v[98:99], v[104:105], v[102:103]
	v_div_fmas_f64 v[98:99], v[98:99], v[100:101], v[104:105]
	v_div_fixup_f64 v[98:99], v[98:99], v[114:115], v[116:117]
	v_fma_f64 v[100:101], v[116:117], v[98:99], v[114:115]
	v_div_scale_f64 v[102:103], s[20:21], v[100:101], v[100:101], 1.0
	v_div_scale_f64 v[108:109], vcc, 1.0, v[100:101], 1.0
	v_rcp_f64_e32 v[104:105], v[102:103]
	v_fma_f64 v[106:107], -v[102:103], v[104:105], 1.0
	v_fma_f64 v[104:105], v[104:105], v[106:107], v[104:105]
	v_fma_f64 v[106:107], -v[102:103], v[104:105], 1.0
	v_fma_f64 v[104:105], v[104:105], v[106:107], v[104:105]
	v_mul_f64 v[106:107], v[108:109], v[104:105]
	v_fma_f64 v[102:103], -v[102:103], v[106:107], v[108:109]
	v_div_fmas_f64 v[102:103], v[102:103], v[104:105], v[106:107]
	v_div_fixup_f64 v[114:115], v[102:103], v[100:101], 1.0
	v_mul_f64 v[116:117], v[98:99], -v[114:115]
.LBB54_450:
	s_or_b64 exec, exec, s[8:9]
.LBB54_451:
	s_or_b64 exec, exec, s[0:1]
	v_cmp_ne_u32_e32 vcc, v124, v122
	s_and_saveexec_b64 s[0:1], vcc
	s_xor_b64 s[0:1], exec, s[0:1]
	s_cbranch_execz .LBB54_457
; %bb.452:
	v_cmp_eq_u32_e32 vcc, 21, v124
	s_and_saveexec_b64 s[8:9], vcc
	s_cbranch_execz .LBB54_456
; %bb.453:
	v_cmp_ne_u32_e32 vcc, 21, v122
	s_xor_b64 s[20:21], s[18:19], -1
	s_and_b64 s[24:25], s[20:21], vcc
	s_and_saveexec_b64 s[20:21], s[24:25]
	s_cbranch_execz .LBB54_455
; %bb.454:
	buffer_load_dword v94, off, s[28:31], 0 offset:48 ; 4-byte Folded Reload
	buffer_load_dword v95, off, s[28:31], 0 offset:52 ; 4-byte Folded Reload
	v_ashrrev_i32_e32 v123, 31, v122
	v_lshlrev_b64 v[98:99], 2, v[122:123]
	s_waitcnt vmcnt(1)
	v_add_co_u32_e32 v98, vcc, v94, v98
	s_waitcnt vmcnt(0)
	v_addc_co_u32_e32 v99, vcc, v95, v99, vcc
	global_load_dword v0, v[98:99], off
	global_load_dword v100, v[94:95], off offset:84
	s_waitcnt vmcnt(1)
	global_store_dword v[94:95], v0, off offset:84
	s_waitcnt vmcnt(1)
	global_store_dword v[98:99], v100, off
.LBB54_455:
	s_or_b64 exec, exec, s[20:21]
	v_mov_b32_e32 v124, v122
	v_mov_b32_e32 v0, v122
.LBB54_456:
	s_or_b64 exec, exec, s[8:9]
.LBB54_457:
	s_andn2_saveexec_b64 s[0:1], s[0:1]
	s_cbranch_execz .LBB54_459
; %bb.458:
	v_mov_b32_e32 v124, 21
	ds_write2_b64 v1, v[18:19], v[20:21] offset0:44 offset1:45
	ds_write2_b64 v1, v[14:15], v[16:17] offset0:46 offset1:47
	;; [unrolled: 1-line block ×6, first 2 shown]
.LBB54_459:
	s_or_b64 exec, exec, s[0:1]
	v_cmp_lt_i32_e32 vcc, 21, v124
	s_waitcnt vmcnt(0) lgkmcnt(0)
	s_barrier
	s_and_saveexec_b64 s[0:1], vcc
	s_cbranch_execz .LBB54_461
; %bb.460:
	v_mul_f64 v[98:99], v[114:115], v[24:25]
	v_mul_f64 v[24:25], v[116:117], v[24:25]
	ds_read2_b64 v[106:109], v1 offset0:44 offset1:45
	v_fma_f64 v[122:123], v[116:117], v[22:23], v[98:99]
	v_fma_f64 v[22:23], v[114:115], v[22:23], -v[24:25]
	s_waitcnt lgkmcnt(0)
	v_mul_f64 v[24:25], v[108:109], v[122:123]
	v_mul_f64 v[98:99], v[106:107], v[122:123]
	v_fma_f64 v[24:25], v[106:107], v[22:23], -v[24:25]
	v_fma_f64 v[98:99], v[108:109], v[22:23], v[98:99]
	ds_read2_b64 v[106:109], v1 offset0:46 offset1:47
	v_add_f64 v[18:19], v[18:19], -v[24:25]
	v_add_f64 v[20:21], v[20:21], -v[98:99]
	s_waitcnt lgkmcnt(0)
	v_mul_f64 v[24:25], v[108:109], v[122:123]
	v_mul_f64 v[98:99], v[106:107], v[122:123]
	v_fma_f64 v[24:25], v[106:107], v[22:23], -v[24:25]
	v_fma_f64 v[98:99], v[108:109], v[22:23], v[98:99]
	ds_read2_b64 v[106:109], v1 offset0:48 offset1:49
	v_add_f64 v[14:15], v[14:15], -v[24:25]
	v_add_f64 v[16:17], v[16:17], -v[98:99]
	;; [unrolled: 8-line block ×5, first 2 shown]
	s_waitcnt lgkmcnt(0)
	v_mul_f64 v[24:25], v[108:109], v[122:123]
	v_mul_f64 v[98:99], v[106:107], v[122:123]
	v_fma_f64 v[24:25], v[106:107], v[22:23], -v[24:25]
	v_fma_f64 v[98:99], v[108:109], v[22:23], v[98:99]
	v_add_f64 v[110:111], v[110:111], -v[24:25]
	v_add_f64 v[112:113], v[112:113], -v[98:99]
	v_mov_b32_e32 v24, v122
	v_mov_b32_e32 v25, v123
.LBB54_461:
	s_or_b64 exec, exec, s[0:1]
	v_lshl_add_u32 v98, v124, 4, v1
	s_barrier
	ds_write2_b64 v98, v[18:19], v[20:21] offset1:1
	s_waitcnt lgkmcnt(0)
	s_barrier
	ds_read2_b64 v[114:117], v1 offset0:44 offset1:45
	s_cmp_lt_i32 s22, 24
	v_mov_b32_e32 v122, 22
	s_cbranch_scc1 .LBB54_464
; %bb.462:
	v_add_u32_e32 v118, 0x170, v1
	s_mov_b32 s0, 23
	v_mov_b32_e32 v122, 22
.LBB54_463:                             ; =>This Inner Loop Header: Depth=1
	s_waitcnt lgkmcnt(0)
	v_cmp_gt_f64_e32 vcc, 0, v[114:115]
	v_xor_b32_e32 v98, 0x80000000, v115
	ds_read2_b64 v[106:109], v118 offset1:1
	v_xor_b32_e32 v100, 0x80000000, v117
	v_add_u32_e32 v118, 16, v118
	s_waitcnt lgkmcnt(0)
	v_xor_b32_e32 v102, 0x80000000, v109
	v_cndmask_b32_e32 v99, v115, v98, vcc
	v_cmp_gt_f64_e32 vcc, 0, v[116:117]
	v_mov_b32_e32 v98, v114
	v_cndmask_b32_e32 v101, v117, v100, vcc
	v_cmp_gt_f64_e32 vcc, 0, v[106:107]
	v_mov_b32_e32 v100, v116
	v_add_f64 v[98:99], v[98:99], v[100:101]
	v_xor_b32_e32 v100, 0x80000000, v107
	v_cndmask_b32_e32 v101, v107, v100, vcc
	v_cmp_gt_f64_e32 vcc, 0, v[108:109]
	v_mov_b32_e32 v100, v106
	v_cndmask_b32_e32 v103, v109, v102, vcc
	v_mov_b32_e32 v102, v108
	v_add_f64 v[100:101], v[100:101], v[102:103]
	v_cmp_lt_f64_e32 vcc, v[98:99], v[100:101]
	v_mov_b32_e32 v98, s0
	s_add_i32 s0, s0, 1
	s_cmp_lg_u32 s22, s0
	v_cndmask_b32_e32 v115, v115, v107, vcc
	v_cndmask_b32_e32 v114, v114, v106, vcc
	;; [unrolled: 1-line block ×5, first 2 shown]
	s_cbranch_scc1 .LBB54_463
.LBB54_464:
	s_waitcnt lgkmcnt(0)
	v_cmp_eq_f64_e32 vcc, 0, v[114:115]
	v_cmp_eq_f64_e64 s[0:1], 0, v[116:117]
	s_and_b64 s[0:1], vcc, s[0:1]
	s_and_saveexec_b64 s[8:9], s[0:1]
	s_xor_b64 s[0:1], exec, s[8:9]
; %bb.465:
	v_cmp_ne_u32_e32 vcc, 0, v120
	v_cndmask_b32_e32 v120, 23, v120, vcc
; %bb.466:
	s_andn2_saveexec_b64 s[0:1], s[0:1]
	s_cbranch_execz .LBB54_472
; %bb.467:
	v_cmp_ngt_f64_e64 s[8:9], |v[114:115]|, |v[116:117]|
	s_and_saveexec_b64 s[20:21], s[8:9]
	s_xor_b64 s[8:9], exec, s[20:21]
	s_cbranch_execz .LBB54_469
; %bb.468:
	v_div_scale_f64 v[98:99], s[20:21], v[116:117], v[116:117], v[114:115]
	v_rcp_f64_e32 v[100:101], v[98:99]
	v_fma_f64 v[102:103], -v[98:99], v[100:101], 1.0
	v_fma_f64 v[100:101], v[100:101], v[102:103], v[100:101]
	v_div_scale_f64 v[102:103], vcc, v[114:115], v[116:117], v[114:115]
	v_fma_f64 v[104:105], -v[98:99], v[100:101], 1.0
	v_fma_f64 v[100:101], v[100:101], v[104:105], v[100:101]
	v_mul_f64 v[104:105], v[102:103], v[100:101]
	v_fma_f64 v[98:99], -v[98:99], v[104:105], v[102:103]
	v_div_fmas_f64 v[98:99], v[98:99], v[100:101], v[104:105]
	v_div_fixup_f64 v[98:99], v[98:99], v[116:117], v[114:115]
	v_fma_f64 v[100:101], v[114:115], v[98:99], v[116:117]
	v_div_scale_f64 v[102:103], s[20:21], v[100:101], v[100:101], 1.0
	v_div_scale_f64 v[108:109], vcc, 1.0, v[100:101], 1.0
	v_rcp_f64_e32 v[104:105], v[102:103]
	v_fma_f64 v[106:107], -v[102:103], v[104:105], 1.0
	v_fma_f64 v[104:105], v[104:105], v[106:107], v[104:105]
	v_fma_f64 v[106:107], -v[102:103], v[104:105], 1.0
	v_fma_f64 v[104:105], v[104:105], v[106:107], v[104:105]
	v_mul_f64 v[106:107], v[108:109], v[104:105]
	v_fma_f64 v[102:103], -v[102:103], v[106:107], v[108:109]
	v_div_fmas_f64 v[102:103], v[102:103], v[104:105], v[106:107]
	v_div_fixup_f64 v[116:117], v[102:103], v[100:101], 1.0
	v_mul_f64 v[114:115], v[98:99], v[116:117]
	v_xor_b32_e32 v117, 0x80000000, v117
.LBB54_469:
	s_andn2_saveexec_b64 s[8:9], s[8:9]
	s_cbranch_execz .LBB54_471
; %bb.470:
	v_div_scale_f64 v[98:99], s[20:21], v[114:115], v[114:115], v[116:117]
	v_rcp_f64_e32 v[100:101], v[98:99]
	v_fma_f64 v[102:103], -v[98:99], v[100:101], 1.0
	v_fma_f64 v[100:101], v[100:101], v[102:103], v[100:101]
	v_div_scale_f64 v[102:103], vcc, v[116:117], v[114:115], v[116:117]
	v_fma_f64 v[104:105], -v[98:99], v[100:101], 1.0
	v_fma_f64 v[100:101], v[100:101], v[104:105], v[100:101]
	v_mul_f64 v[104:105], v[102:103], v[100:101]
	v_fma_f64 v[98:99], -v[98:99], v[104:105], v[102:103]
	v_div_fmas_f64 v[98:99], v[98:99], v[100:101], v[104:105]
	v_div_fixup_f64 v[98:99], v[98:99], v[114:115], v[116:117]
	v_fma_f64 v[100:101], v[116:117], v[98:99], v[114:115]
	v_div_scale_f64 v[102:103], s[20:21], v[100:101], v[100:101], 1.0
	v_div_scale_f64 v[108:109], vcc, 1.0, v[100:101], 1.0
	v_rcp_f64_e32 v[104:105], v[102:103]
	v_fma_f64 v[106:107], -v[102:103], v[104:105], 1.0
	v_fma_f64 v[104:105], v[104:105], v[106:107], v[104:105]
	v_fma_f64 v[106:107], -v[102:103], v[104:105], 1.0
	v_fma_f64 v[104:105], v[104:105], v[106:107], v[104:105]
	v_mul_f64 v[106:107], v[108:109], v[104:105]
	v_fma_f64 v[102:103], -v[102:103], v[106:107], v[108:109]
	v_div_fmas_f64 v[102:103], v[102:103], v[104:105], v[106:107]
	v_div_fixup_f64 v[114:115], v[102:103], v[100:101], 1.0
	v_mul_f64 v[116:117], v[98:99], -v[114:115]
.LBB54_471:
	s_or_b64 exec, exec, s[8:9]
.LBB54_472:
	s_or_b64 exec, exec, s[0:1]
	v_cmp_ne_u32_e32 vcc, v124, v122
	s_and_saveexec_b64 s[0:1], vcc
	s_xor_b64 s[0:1], exec, s[0:1]
	s_cbranch_execz .LBB54_478
; %bb.473:
	v_cmp_eq_u32_e32 vcc, 22, v124
	s_and_saveexec_b64 s[8:9], vcc
	s_cbranch_execz .LBB54_477
; %bb.474:
	v_cmp_ne_u32_e32 vcc, 22, v122
	s_xor_b64 s[20:21], s[18:19], -1
	s_and_b64 s[24:25], s[20:21], vcc
	s_and_saveexec_b64 s[20:21], s[24:25]
	s_cbranch_execz .LBB54_476
; %bb.475:
	buffer_load_dword v94, off, s[28:31], 0 offset:48 ; 4-byte Folded Reload
	buffer_load_dword v95, off, s[28:31], 0 offset:52 ; 4-byte Folded Reload
	v_ashrrev_i32_e32 v123, 31, v122
	v_lshlrev_b64 v[98:99], 2, v[122:123]
	s_waitcnt vmcnt(1)
	v_add_co_u32_e32 v98, vcc, v94, v98
	s_waitcnt vmcnt(0)
	v_addc_co_u32_e32 v99, vcc, v95, v99, vcc
	global_load_dword v0, v[98:99], off
	global_load_dword v100, v[94:95], off offset:88
	s_waitcnt vmcnt(1)
	global_store_dword v[94:95], v0, off offset:88
	s_waitcnt vmcnt(1)
	global_store_dword v[98:99], v100, off
.LBB54_476:
	s_or_b64 exec, exec, s[20:21]
	v_mov_b32_e32 v124, v122
	v_mov_b32_e32 v0, v122
.LBB54_477:
	s_or_b64 exec, exec, s[8:9]
.LBB54_478:
	s_andn2_saveexec_b64 s[0:1], s[0:1]
	s_cbranch_execz .LBB54_480
; %bb.479:
	v_mov_b32_e32 v124, 22
	ds_write2_b64 v1, v[14:15], v[16:17] offset0:46 offset1:47
	ds_write2_b64 v1, v[10:11], v[12:13] offset0:48 offset1:49
	;; [unrolled: 1-line block ×5, first 2 shown]
.LBB54_480:
	s_or_b64 exec, exec, s[0:1]
	v_cmp_lt_i32_e32 vcc, 22, v124
	s_waitcnt vmcnt(0) lgkmcnt(0)
	s_barrier
	s_and_saveexec_b64 s[0:1], vcc
	s_cbranch_execz .LBB54_482
; %bb.481:
	v_mul_f64 v[98:99], v[114:115], v[20:21]
	v_mul_f64 v[20:21], v[116:117], v[20:21]
	ds_read2_b64 v[106:109], v1 offset0:46 offset1:47
	v_fma_f64 v[98:99], v[116:117], v[18:19], v[98:99]
	v_fma_f64 v[18:19], v[114:115], v[18:19], -v[20:21]
	s_waitcnt lgkmcnt(0)
	v_mul_f64 v[20:21], v[108:109], v[98:99]
	v_mul_f64 v[100:101], v[106:107], v[98:99]
	v_fma_f64 v[20:21], v[106:107], v[18:19], -v[20:21]
	v_fma_f64 v[100:101], v[108:109], v[18:19], v[100:101]
	ds_read2_b64 v[106:109], v1 offset0:48 offset1:49
	v_add_f64 v[14:15], v[14:15], -v[20:21]
	v_add_f64 v[16:17], v[16:17], -v[100:101]
	s_waitcnt lgkmcnt(0)
	v_mul_f64 v[20:21], v[108:109], v[98:99]
	v_mul_f64 v[100:101], v[106:107], v[98:99]
	v_fma_f64 v[20:21], v[106:107], v[18:19], -v[20:21]
	v_fma_f64 v[100:101], v[108:109], v[18:19], v[100:101]
	ds_read2_b64 v[106:109], v1 offset0:50 offset1:51
	v_add_f64 v[10:11], v[10:11], -v[20:21]
	v_add_f64 v[12:13], v[12:13], -v[100:101]
	;; [unrolled: 8-line block ×4, first 2 shown]
	s_waitcnt lgkmcnt(0)
	v_mul_f64 v[20:21], v[108:109], v[98:99]
	v_mul_f64 v[100:101], v[106:107], v[98:99]
	v_fma_f64 v[20:21], v[106:107], v[18:19], -v[20:21]
	v_fma_f64 v[100:101], v[108:109], v[18:19], v[100:101]
	v_add_f64 v[110:111], v[110:111], -v[20:21]
	v_add_f64 v[112:113], v[112:113], -v[100:101]
	v_mov_b32_e32 v20, v98
	v_mov_b32_e32 v21, v99
.LBB54_482:
	s_or_b64 exec, exec, s[0:1]
	v_lshl_add_u32 v98, v124, 4, v1
	s_barrier
	ds_write2_b64 v98, v[14:15], v[16:17] offset1:1
	s_waitcnt lgkmcnt(0)
	s_barrier
	ds_read2_b64 v[114:117], v1 offset0:46 offset1:47
	s_cmp_lt_i32 s22, 25
	v_mov_b32_e32 v122, 23
	s_cbranch_scc1 .LBB54_485
; %bb.483:
	v_add_u32_e32 v118, 0x180, v1
	s_mov_b32 s0, 24
	v_mov_b32_e32 v122, 23
.LBB54_484:                             ; =>This Inner Loop Header: Depth=1
	s_waitcnt lgkmcnt(0)
	v_cmp_gt_f64_e32 vcc, 0, v[114:115]
	v_xor_b32_e32 v98, 0x80000000, v115
	ds_read2_b64 v[106:109], v118 offset1:1
	v_xor_b32_e32 v100, 0x80000000, v117
	v_add_u32_e32 v118, 16, v118
	s_waitcnt lgkmcnt(0)
	v_xor_b32_e32 v102, 0x80000000, v109
	v_cndmask_b32_e32 v99, v115, v98, vcc
	v_cmp_gt_f64_e32 vcc, 0, v[116:117]
	v_mov_b32_e32 v98, v114
	v_cndmask_b32_e32 v101, v117, v100, vcc
	v_cmp_gt_f64_e32 vcc, 0, v[106:107]
	v_mov_b32_e32 v100, v116
	v_add_f64 v[98:99], v[98:99], v[100:101]
	v_xor_b32_e32 v100, 0x80000000, v107
	v_cndmask_b32_e32 v101, v107, v100, vcc
	v_cmp_gt_f64_e32 vcc, 0, v[108:109]
	v_mov_b32_e32 v100, v106
	v_cndmask_b32_e32 v103, v109, v102, vcc
	v_mov_b32_e32 v102, v108
	v_add_f64 v[100:101], v[100:101], v[102:103]
	v_cmp_lt_f64_e32 vcc, v[98:99], v[100:101]
	v_mov_b32_e32 v98, s0
	s_add_i32 s0, s0, 1
	s_cmp_lg_u32 s22, s0
	v_cndmask_b32_e32 v115, v115, v107, vcc
	v_cndmask_b32_e32 v114, v114, v106, vcc
	;; [unrolled: 1-line block ×5, first 2 shown]
	s_cbranch_scc1 .LBB54_484
.LBB54_485:
	s_waitcnt lgkmcnt(0)
	v_cmp_eq_f64_e32 vcc, 0, v[114:115]
	v_cmp_eq_f64_e64 s[0:1], 0, v[116:117]
	s_and_b64 s[0:1], vcc, s[0:1]
	s_and_saveexec_b64 s[8:9], s[0:1]
	s_xor_b64 s[0:1], exec, s[8:9]
; %bb.486:
	v_cmp_ne_u32_e32 vcc, 0, v120
	v_cndmask_b32_e32 v120, 24, v120, vcc
; %bb.487:
	s_andn2_saveexec_b64 s[0:1], s[0:1]
	s_cbranch_execz .LBB54_493
; %bb.488:
	v_cmp_ngt_f64_e64 s[8:9], |v[114:115]|, |v[116:117]|
	s_and_saveexec_b64 s[20:21], s[8:9]
	s_xor_b64 s[8:9], exec, s[20:21]
	s_cbranch_execz .LBB54_490
; %bb.489:
	v_div_scale_f64 v[98:99], s[20:21], v[116:117], v[116:117], v[114:115]
	v_rcp_f64_e32 v[100:101], v[98:99]
	v_fma_f64 v[102:103], -v[98:99], v[100:101], 1.0
	v_fma_f64 v[100:101], v[100:101], v[102:103], v[100:101]
	v_div_scale_f64 v[102:103], vcc, v[114:115], v[116:117], v[114:115]
	v_fma_f64 v[104:105], -v[98:99], v[100:101], 1.0
	v_fma_f64 v[100:101], v[100:101], v[104:105], v[100:101]
	v_mul_f64 v[104:105], v[102:103], v[100:101]
	v_fma_f64 v[98:99], -v[98:99], v[104:105], v[102:103]
	v_div_fmas_f64 v[98:99], v[98:99], v[100:101], v[104:105]
	v_div_fixup_f64 v[98:99], v[98:99], v[116:117], v[114:115]
	v_fma_f64 v[100:101], v[114:115], v[98:99], v[116:117]
	v_div_scale_f64 v[102:103], s[20:21], v[100:101], v[100:101], 1.0
	v_div_scale_f64 v[108:109], vcc, 1.0, v[100:101], 1.0
	v_rcp_f64_e32 v[104:105], v[102:103]
	v_fma_f64 v[106:107], -v[102:103], v[104:105], 1.0
	v_fma_f64 v[104:105], v[104:105], v[106:107], v[104:105]
	v_fma_f64 v[106:107], -v[102:103], v[104:105], 1.0
	v_fma_f64 v[104:105], v[104:105], v[106:107], v[104:105]
	v_mul_f64 v[106:107], v[108:109], v[104:105]
	v_fma_f64 v[102:103], -v[102:103], v[106:107], v[108:109]
	v_div_fmas_f64 v[102:103], v[102:103], v[104:105], v[106:107]
	v_div_fixup_f64 v[116:117], v[102:103], v[100:101], 1.0
	v_mul_f64 v[114:115], v[98:99], v[116:117]
	v_xor_b32_e32 v117, 0x80000000, v117
.LBB54_490:
	s_andn2_saveexec_b64 s[8:9], s[8:9]
	s_cbranch_execz .LBB54_492
; %bb.491:
	v_div_scale_f64 v[98:99], s[20:21], v[114:115], v[114:115], v[116:117]
	v_rcp_f64_e32 v[100:101], v[98:99]
	v_fma_f64 v[102:103], -v[98:99], v[100:101], 1.0
	v_fma_f64 v[100:101], v[100:101], v[102:103], v[100:101]
	v_div_scale_f64 v[102:103], vcc, v[116:117], v[114:115], v[116:117]
	v_fma_f64 v[104:105], -v[98:99], v[100:101], 1.0
	v_fma_f64 v[100:101], v[100:101], v[104:105], v[100:101]
	v_mul_f64 v[104:105], v[102:103], v[100:101]
	v_fma_f64 v[98:99], -v[98:99], v[104:105], v[102:103]
	v_div_fmas_f64 v[98:99], v[98:99], v[100:101], v[104:105]
	v_div_fixup_f64 v[98:99], v[98:99], v[114:115], v[116:117]
	v_fma_f64 v[100:101], v[116:117], v[98:99], v[114:115]
	v_div_scale_f64 v[102:103], s[20:21], v[100:101], v[100:101], 1.0
	v_div_scale_f64 v[108:109], vcc, 1.0, v[100:101], 1.0
	v_rcp_f64_e32 v[104:105], v[102:103]
	v_fma_f64 v[106:107], -v[102:103], v[104:105], 1.0
	v_fma_f64 v[104:105], v[104:105], v[106:107], v[104:105]
	v_fma_f64 v[106:107], -v[102:103], v[104:105], 1.0
	v_fma_f64 v[104:105], v[104:105], v[106:107], v[104:105]
	v_mul_f64 v[106:107], v[108:109], v[104:105]
	v_fma_f64 v[102:103], -v[102:103], v[106:107], v[108:109]
	v_div_fmas_f64 v[102:103], v[102:103], v[104:105], v[106:107]
	v_div_fixup_f64 v[114:115], v[102:103], v[100:101], 1.0
	v_mul_f64 v[116:117], v[98:99], -v[114:115]
.LBB54_492:
	s_or_b64 exec, exec, s[8:9]
.LBB54_493:
	s_or_b64 exec, exec, s[0:1]
	v_cmp_ne_u32_e32 vcc, v124, v122
	s_and_saveexec_b64 s[0:1], vcc
	s_xor_b64 s[0:1], exec, s[0:1]
	s_cbranch_execz .LBB54_499
; %bb.494:
	v_cmp_eq_u32_e32 vcc, 23, v124
	s_and_saveexec_b64 s[8:9], vcc
	s_cbranch_execz .LBB54_498
; %bb.495:
	v_cmp_ne_u32_e32 vcc, 23, v122
	s_xor_b64 s[20:21], s[18:19], -1
	s_and_b64 s[24:25], s[20:21], vcc
	s_and_saveexec_b64 s[20:21], s[24:25]
	s_cbranch_execz .LBB54_497
; %bb.496:
	buffer_load_dword v94, off, s[28:31], 0 offset:48 ; 4-byte Folded Reload
	buffer_load_dword v95, off, s[28:31], 0 offset:52 ; 4-byte Folded Reload
	v_ashrrev_i32_e32 v123, 31, v122
	v_lshlrev_b64 v[98:99], 2, v[122:123]
	s_waitcnt vmcnt(1)
	v_add_co_u32_e32 v98, vcc, v94, v98
	s_waitcnt vmcnt(0)
	v_addc_co_u32_e32 v99, vcc, v95, v99, vcc
	global_load_dword v0, v[98:99], off
	global_load_dword v100, v[94:95], off offset:92
	s_waitcnt vmcnt(1)
	global_store_dword v[94:95], v0, off offset:92
	s_waitcnt vmcnt(1)
	global_store_dword v[98:99], v100, off
.LBB54_497:
	s_or_b64 exec, exec, s[20:21]
	v_mov_b32_e32 v124, v122
	v_mov_b32_e32 v0, v122
.LBB54_498:
	s_or_b64 exec, exec, s[8:9]
.LBB54_499:
	s_andn2_saveexec_b64 s[0:1], s[0:1]
	s_cbranch_execz .LBB54_501
; %bb.500:
	v_mov_b32_e32 v124, 23
	ds_write2_b64 v1, v[10:11], v[12:13] offset0:48 offset1:49
	ds_write2_b64 v1, v[6:7], v[8:9] offset0:50 offset1:51
	;; [unrolled: 1-line block ×4, first 2 shown]
.LBB54_501:
	s_or_b64 exec, exec, s[0:1]
	v_cmp_lt_i32_e32 vcc, 23, v124
	s_waitcnt vmcnt(0) lgkmcnt(0)
	s_barrier
	s_and_saveexec_b64 s[0:1], vcc
	s_cbranch_execz .LBB54_503
; %bb.502:
	v_mul_f64 v[98:99], v[114:115], v[16:17]
	v_mul_f64 v[16:17], v[116:117], v[16:17]
	ds_read2_b64 v[106:109], v1 offset0:48 offset1:49
	v_fma_f64 v[98:99], v[116:117], v[14:15], v[98:99]
	v_fma_f64 v[14:15], v[114:115], v[14:15], -v[16:17]
	s_waitcnt lgkmcnt(0)
	v_mul_f64 v[16:17], v[108:109], v[98:99]
	v_mul_f64 v[100:101], v[106:107], v[98:99]
	v_fma_f64 v[16:17], v[106:107], v[14:15], -v[16:17]
	v_fma_f64 v[100:101], v[108:109], v[14:15], v[100:101]
	ds_read2_b64 v[106:109], v1 offset0:50 offset1:51
	v_add_f64 v[10:11], v[10:11], -v[16:17]
	v_add_f64 v[12:13], v[12:13], -v[100:101]
	s_waitcnt lgkmcnt(0)
	v_mul_f64 v[16:17], v[108:109], v[98:99]
	v_mul_f64 v[100:101], v[106:107], v[98:99]
	v_fma_f64 v[16:17], v[106:107], v[14:15], -v[16:17]
	v_fma_f64 v[100:101], v[108:109], v[14:15], v[100:101]
	ds_read2_b64 v[106:109], v1 offset0:52 offset1:53
	v_add_f64 v[6:7], v[6:7], -v[16:17]
	v_add_f64 v[8:9], v[8:9], -v[100:101]
	;; [unrolled: 8-line block ×3, first 2 shown]
	s_waitcnt lgkmcnt(0)
	v_mul_f64 v[16:17], v[108:109], v[98:99]
	v_mul_f64 v[100:101], v[106:107], v[98:99]
	v_fma_f64 v[16:17], v[106:107], v[14:15], -v[16:17]
	v_fma_f64 v[100:101], v[108:109], v[14:15], v[100:101]
	v_add_f64 v[110:111], v[110:111], -v[16:17]
	v_add_f64 v[112:113], v[112:113], -v[100:101]
	v_mov_b32_e32 v16, v98
	v_mov_b32_e32 v17, v99
.LBB54_503:
	s_or_b64 exec, exec, s[0:1]
	v_lshl_add_u32 v98, v124, 4, v1
	s_barrier
	ds_write2_b64 v98, v[10:11], v[12:13] offset1:1
	s_waitcnt lgkmcnt(0)
	s_barrier
	ds_read2_b64 v[114:117], v1 offset0:48 offset1:49
	s_cmp_lt_i32 s22, 26
	v_mov_b32_e32 v122, 24
	s_cbranch_scc1 .LBB54_506
; %bb.504:
	v_add_u32_e32 v118, 0x190, v1
	s_mov_b32 s0, 25
	v_mov_b32_e32 v122, 24
.LBB54_505:                             ; =>This Inner Loop Header: Depth=1
	s_waitcnt lgkmcnt(0)
	v_cmp_gt_f64_e32 vcc, 0, v[114:115]
	v_xor_b32_e32 v98, 0x80000000, v115
	ds_read2_b64 v[106:109], v118 offset1:1
	v_xor_b32_e32 v100, 0x80000000, v117
	v_add_u32_e32 v118, 16, v118
	s_waitcnt lgkmcnt(0)
	v_xor_b32_e32 v102, 0x80000000, v109
	v_cndmask_b32_e32 v99, v115, v98, vcc
	v_cmp_gt_f64_e32 vcc, 0, v[116:117]
	v_mov_b32_e32 v98, v114
	v_cndmask_b32_e32 v101, v117, v100, vcc
	v_cmp_gt_f64_e32 vcc, 0, v[106:107]
	v_mov_b32_e32 v100, v116
	v_add_f64 v[98:99], v[98:99], v[100:101]
	v_xor_b32_e32 v100, 0x80000000, v107
	v_cndmask_b32_e32 v101, v107, v100, vcc
	v_cmp_gt_f64_e32 vcc, 0, v[108:109]
	v_mov_b32_e32 v100, v106
	v_cndmask_b32_e32 v103, v109, v102, vcc
	v_mov_b32_e32 v102, v108
	v_add_f64 v[100:101], v[100:101], v[102:103]
	v_cmp_lt_f64_e32 vcc, v[98:99], v[100:101]
	v_mov_b32_e32 v98, s0
	s_add_i32 s0, s0, 1
	s_cmp_lg_u32 s22, s0
	v_cndmask_b32_e32 v115, v115, v107, vcc
	v_cndmask_b32_e32 v114, v114, v106, vcc
	;; [unrolled: 1-line block ×5, first 2 shown]
	s_cbranch_scc1 .LBB54_505
.LBB54_506:
	s_waitcnt lgkmcnt(0)
	v_cmp_eq_f64_e32 vcc, 0, v[114:115]
	v_cmp_eq_f64_e64 s[0:1], 0, v[116:117]
	s_and_b64 s[0:1], vcc, s[0:1]
	s_and_saveexec_b64 s[8:9], s[0:1]
	s_xor_b64 s[0:1], exec, s[8:9]
; %bb.507:
	v_cmp_ne_u32_e32 vcc, 0, v120
	v_cndmask_b32_e32 v120, 25, v120, vcc
; %bb.508:
	s_andn2_saveexec_b64 s[0:1], s[0:1]
	s_cbranch_execz .LBB54_514
; %bb.509:
	v_cmp_ngt_f64_e64 s[8:9], |v[114:115]|, |v[116:117]|
	s_and_saveexec_b64 s[20:21], s[8:9]
	s_xor_b64 s[8:9], exec, s[20:21]
	s_cbranch_execz .LBB54_511
; %bb.510:
	v_div_scale_f64 v[98:99], s[20:21], v[116:117], v[116:117], v[114:115]
	v_rcp_f64_e32 v[100:101], v[98:99]
	v_fma_f64 v[102:103], -v[98:99], v[100:101], 1.0
	v_fma_f64 v[100:101], v[100:101], v[102:103], v[100:101]
	v_div_scale_f64 v[102:103], vcc, v[114:115], v[116:117], v[114:115]
	v_fma_f64 v[104:105], -v[98:99], v[100:101], 1.0
	v_fma_f64 v[100:101], v[100:101], v[104:105], v[100:101]
	v_mul_f64 v[104:105], v[102:103], v[100:101]
	v_fma_f64 v[98:99], -v[98:99], v[104:105], v[102:103]
	v_div_fmas_f64 v[98:99], v[98:99], v[100:101], v[104:105]
	v_div_fixup_f64 v[98:99], v[98:99], v[116:117], v[114:115]
	v_fma_f64 v[100:101], v[114:115], v[98:99], v[116:117]
	v_div_scale_f64 v[102:103], s[20:21], v[100:101], v[100:101], 1.0
	v_div_scale_f64 v[108:109], vcc, 1.0, v[100:101], 1.0
	v_rcp_f64_e32 v[104:105], v[102:103]
	v_fma_f64 v[106:107], -v[102:103], v[104:105], 1.0
	v_fma_f64 v[104:105], v[104:105], v[106:107], v[104:105]
	v_fma_f64 v[106:107], -v[102:103], v[104:105], 1.0
	v_fma_f64 v[104:105], v[104:105], v[106:107], v[104:105]
	v_mul_f64 v[106:107], v[108:109], v[104:105]
	v_fma_f64 v[102:103], -v[102:103], v[106:107], v[108:109]
	v_div_fmas_f64 v[102:103], v[102:103], v[104:105], v[106:107]
	v_div_fixup_f64 v[116:117], v[102:103], v[100:101], 1.0
	v_mul_f64 v[114:115], v[98:99], v[116:117]
	v_xor_b32_e32 v117, 0x80000000, v117
.LBB54_511:
	s_andn2_saveexec_b64 s[8:9], s[8:9]
	s_cbranch_execz .LBB54_513
; %bb.512:
	v_div_scale_f64 v[98:99], s[20:21], v[114:115], v[114:115], v[116:117]
	v_rcp_f64_e32 v[100:101], v[98:99]
	v_fma_f64 v[102:103], -v[98:99], v[100:101], 1.0
	v_fma_f64 v[100:101], v[100:101], v[102:103], v[100:101]
	v_div_scale_f64 v[102:103], vcc, v[116:117], v[114:115], v[116:117]
	v_fma_f64 v[104:105], -v[98:99], v[100:101], 1.0
	v_fma_f64 v[100:101], v[100:101], v[104:105], v[100:101]
	v_mul_f64 v[104:105], v[102:103], v[100:101]
	v_fma_f64 v[98:99], -v[98:99], v[104:105], v[102:103]
	v_div_fmas_f64 v[98:99], v[98:99], v[100:101], v[104:105]
	v_div_fixup_f64 v[98:99], v[98:99], v[114:115], v[116:117]
	v_fma_f64 v[100:101], v[116:117], v[98:99], v[114:115]
	v_div_scale_f64 v[102:103], s[20:21], v[100:101], v[100:101], 1.0
	v_div_scale_f64 v[108:109], vcc, 1.0, v[100:101], 1.0
	v_rcp_f64_e32 v[104:105], v[102:103]
	v_fma_f64 v[106:107], -v[102:103], v[104:105], 1.0
	v_fma_f64 v[104:105], v[104:105], v[106:107], v[104:105]
	v_fma_f64 v[106:107], -v[102:103], v[104:105], 1.0
	v_fma_f64 v[104:105], v[104:105], v[106:107], v[104:105]
	v_mul_f64 v[106:107], v[108:109], v[104:105]
	v_fma_f64 v[102:103], -v[102:103], v[106:107], v[108:109]
	v_div_fmas_f64 v[102:103], v[102:103], v[104:105], v[106:107]
	v_div_fixup_f64 v[114:115], v[102:103], v[100:101], 1.0
	v_mul_f64 v[116:117], v[98:99], -v[114:115]
.LBB54_513:
	s_or_b64 exec, exec, s[8:9]
.LBB54_514:
	s_or_b64 exec, exec, s[0:1]
	v_cmp_ne_u32_e32 vcc, v124, v122
	s_and_saveexec_b64 s[0:1], vcc
	s_xor_b64 s[0:1], exec, s[0:1]
	s_cbranch_execz .LBB54_520
; %bb.515:
	v_cmp_eq_u32_e32 vcc, 24, v124
	s_and_saveexec_b64 s[8:9], vcc
	s_cbranch_execz .LBB54_519
; %bb.516:
	v_cmp_ne_u32_e32 vcc, 24, v122
	s_xor_b64 s[20:21], s[18:19], -1
	s_and_b64 s[24:25], s[20:21], vcc
	s_and_saveexec_b64 s[20:21], s[24:25]
	s_cbranch_execz .LBB54_518
; %bb.517:
	buffer_load_dword v94, off, s[28:31], 0 offset:48 ; 4-byte Folded Reload
	buffer_load_dword v95, off, s[28:31], 0 offset:52 ; 4-byte Folded Reload
	v_ashrrev_i32_e32 v123, 31, v122
	v_lshlrev_b64 v[98:99], 2, v[122:123]
	s_waitcnt vmcnt(1)
	v_add_co_u32_e32 v98, vcc, v94, v98
	s_waitcnt vmcnt(0)
	v_addc_co_u32_e32 v99, vcc, v95, v99, vcc
	global_load_dword v0, v[98:99], off
	global_load_dword v100, v[94:95], off offset:96
	s_waitcnt vmcnt(1)
	global_store_dword v[94:95], v0, off offset:96
	s_waitcnt vmcnt(1)
	global_store_dword v[98:99], v100, off
.LBB54_518:
	s_or_b64 exec, exec, s[20:21]
	v_mov_b32_e32 v124, v122
	v_mov_b32_e32 v0, v122
.LBB54_519:
	s_or_b64 exec, exec, s[8:9]
.LBB54_520:
	s_andn2_saveexec_b64 s[0:1], s[0:1]
	s_cbranch_execz .LBB54_522
; %bb.521:
	v_mov_b32_e32 v124, 24
	ds_write2_b64 v1, v[6:7], v[8:9] offset0:50 offset1:51
	ds_write2_b64 v1, v[2:3], v[4:5] offset0:52 offset1:53
	;; [unrolled: 1-line block ×3, first 2 shown]
.LBB54_522:
	s_or_b64 exec, exec, s[0:1]
	v_cmp_lt_i32_e32 vcc, 24, v124
	s_waitcnt vmcnt(0) lgkmcnt(0)
	s_barrier
	s_and_saveexec_b64 s[0:1], vcc
	s_cbranch_execz .LBB54_524
; %bb.523:
	v_mul_f64 v[98:99], v[114:115], v[12:13]
	v_mul_f64 v[12:13], v[116:117], v[12:13]
	ds_read2_b64 v[106:109], v1 offset0:50 offset1:51
	v_fma_f64 v[98:99], v[116:117], v[10:11], v[98:99]
	v_fma_f64 v[10:11], v[114:115], v[10:11], -v[12:13]
	s_waitcnt lgkmcnt(0)
	v_mul_f64 v[12:13], v[108:109], v[98:99]
	v_mul_f64 v[100:101], v[106:107], v[98:99]
	v_fma_f64 v[12:13], v[106:107], v[10:11], -v[12:13]
	v_fma_f64 v[100:101], v[108:109], v[10:11], v[100:101]
	ds_read2_b64 v[106:109], v1 offset0:52 offset1:53
	v_add_f64 v[6:7], v[6:7], -v[12:13]
	v_add_f64 v[8:9], v[8:9], -v[100:101]
	s_waitcnt lgkmcnt(0)
	v_mul_f64 v[12:13], v[108:109], v[98:99]
	v_mul_f64 v[100:101], v[106:107], v[98:99]
	v_fma_f64 v[12:13], v[106:107], v[10:11], -v[12:13]
	v_fma_f64 v[100:101], v[108:109], v[10:11], v[100:101]
	ds_read2_b64 v[106:109], v1 offset0:54 offset1:55
	v_add_f64 v[2:3], v[2:3], -v[12:13]
	v_add_f64 v[4:5], v[4:5], -v[100:101]
	s_waitcnt lgkmcnt(0)
	v_mul_f64 v[12:13], v[108:109], v[98:99]
	v_mul_f64 v[100:101], v[106:107], v[98:99]
	v_fma_f64 v[12:13], v[106:107], v[10:11], -v[12:13]
	v_fma_f64 v[100:101], v[108:109], v[10:11], v[100:101]
	v_add_f64 v[110:111], v[110:111], -v[12:13]
	v_add_f64 v[112:113], v[112:113], -v[100:101]
	v_mov_b32_e32 v12, v98
	v_mov_b32_e32 v13, v99
.LBB54_524:
	s_or_b64 exec, exec, s[0:1]
	v_lshl_add_u32 v98, v124, 4, v1
	s_barrier
	ds_write2_b64 v98, v[6:7], v[8:9] offset1:1
	s_waitcnt lgkmcnt(0)
	s_barrier
	ds_read2_b64 v[114:117], v1 offset0:50 offset1:51
	s_cmp_lt_i32 s22, 27
	v_mov_b32_e32 v122, 25
	s_cbranch_scc1 .LBB54_527
; %bb.525:
	v_add_u32_e32 v118, 0x1a0, v1
	s_mov_b32 s0, 26
	v_mov_b32_e32 v122, 25
.LBB54_526:                             ; =>This Inner Loop Header: Depth=1
	s_waitcnt lgkmcnt(0)
	v_cmp_gt_f64_e32 vcc, 0, v[114:115]
	v_xor_b32_e32 v98, 0x80000000, v115
	ds_read2_b64 v[106:109], v118 offset1:1
	v_xor_b32_e32 v100, 0x80000000, v117
	v_add_u32_e32 v118, 16, v118
	s_waitcnt lgkmcnt(0)
	v_xor_b32_e32 v102, 0x80000000, v109
	v_cndmask_b32_e32 v99, v115, v98, vcc
	v_cmp_gt_f64_e32 vcc, 0, v[116:117]
	v_mov_b32_e32 v98, v114
	v_cndmask_b32_e32 v101, v117, v100, vcc
	v_cmp_gt_f64_e32 vcc, 0, v[106:107]
	v_mov_b32_e32 v100, v116
	v_add_f64 v[98:99], v[98:99], v[100:101]
	v_xor_b32_e32 v100, 0x80000000, v107
	v_cndmask_b32_e32 v101, v107, v100, vcc
	v_cmp_gt_f64_e32 vcc, 0, v[108:109]
	v_mov_b32_e32 v100, v106
	v_cndmask_b32_e32 v103, v109, v102, vcc
	v_mov_b32_e32 v102, v108
	v_add_f64 v[100:101], v[100:101], v[102:103]
	v_cmp_lt_f64_e32 vcc, v[98:99], v[100:101]
	v_mov_b32_e32 v98, s0
	s_add_i32 s0, s0, 1
	s_cmp_lg_u32 s22, s0
	v_cndmask_b32_e32 v115, v115, v107, vcc
	v_cndmask_b32_e32 v114, v114, v106, vcc
	;; [unrolled: 1-line block ×5, first 2 shown]
	s_cbranch_scc1 .LBB54_526
.LBB54_527:
	s_waitcnt lgkmcnt(0)
	v_cmp_eq_f64_e32 vcc, 0, v[114:115]
	v_cmp_eq_f64_e64 s[0:1], 0, v[116:117]
	s_and_b64 s[0:1], vcc, s[0:1]
	s_and_saveexec_b64 s[8:9], s[0:1]
	s_xor_b64 s[0:1], exec, s[8:9]
; %bb.528:
	v_cmp_ne_u32_e32 vcc, 0, v120
	v_cndmask_b32_e32 v120, 26, v120, vcc
; %bb.529:
	s_andn2_saveexec_b64 s[0:1], s[0:1]
	s_cbranch_execz .LBB54_535
; %bb.530:
	v_cmp_ngt_f64_e64 s[8:9], |v[114:115]|, |v[116:117]|
	s_and_saveexec_b64 s[20:21], s[8:9]
	s_xor_b64 s[8:9], exec, s[20:21]
	s_cbranch_execz .LBB54_532
; %bb.531:
	v_div_scale_f64 v[98:99], s[20:21], v[116:117], v[116:117], v[114:115]
	v_rcp_f64_e32 v[100:101], v[98:99]
	v_fma_f64 v[102:103], -v[98:99], v[100:101], 1.0
	v_fma_f64 v[100:101], v[100:101], v[102:103], v[100:101]
	v_div_scale_f64 v[102:103], vcc, v[114:115], v[116:117], v[114:115]
	v_fma_f64 v[104:105], -v[98:99], v[100:101], 1.0
	v_fma_f64 v[100:101], v[100:101], v[104:105], v[100:101]
	v_mul_f64 v[104:105], v[102:103], v[100:101]
	v_fma_f64 v[98:99], -v[98:99], v[104:105], v[102:103]
	v_div_fmas_f64 v[98:99], v[98:99], v[100:101], v[104:105]
	v_div_fixup_f64 v[98:99], v[98:99], v[116:117], v[114:115]
	v_fma_f64 v[100:101], v[114:115], v[98:99], v[116:117]
	v_div_scale_f64 v[102:103], s[20:21], v[100:101], v[100:101], 1.0
	v_div_scale_f64 v[108:109], vcc, 1.0, v[100:101], 1.0
	v_rcp_f64_e32 v[104:105], v[102:103]
	v_fma_f64 v[106:107], -v[102:103], v[104:105], 1.0
	v_fma_f64 v[104:105], v[104:105], v[106:107], v[104:105]
	v_fma_f64 v[106:107], -v[102:103], v[104:105], 1.0
	v_fma_f64 v[104:105], v[104:105], v[106:107], v[104:105]
	v_mul_f64 v[106:107], v[108:109], v[104:105]
	v_fma_f64 v[102:103], -v[102:103], v[106:107], v[108:109]
	v_div_fmas_f64 v[102:103], v[102:103], v[104:105], v[106:107]
	v_div_fixup_f64 v[116:117], v[102:103], v[100:101], 1.0
	v_mul_f64 v[114:115], v[98:99], v[116:117]
	v_xor_b32_e32 v117, 0x80000000, v117
.LBB54_532:
	s_andn2_saveexec_b64 s[8:9], s[8:9]
	s_cbranch_execz .LBB54_534
; %bb.533:
	v_div_scale_f64 v[98:99], s[20:21], v[114:115], v[114:115], v[116:117]
	v_rcp_f64_e32 v[100:101], v[98:99]
	v_fma_f64 v[102:103], -v[98:99], v[100:101], 1.0
	v_fma_f64 v[100:101], v[100:101], v[102:103], v[100:101]
	v_div_scale_f64 v[102:103], vcc, v[116:117], v[114:115], v[116:117]
	v_fma_f64 v[104:105], -v[98:99], v[100:101], 1.0
	v_fma_f64 v[100:101], v[100:101], v[104:105], v[100:101]
	v_mul_f64 v[104:105], v[102:103], v[100:101]
	v_fma_f64 v[98:99], -v[98:99], v[104:105], v[102:103]
	v_div_fmas_f64 v[98:99], v[98:99], v[100:101], v[104:105]
	v_div_fixup_f64 v[98:99], v[98:99], v[114:115], v[116:117]
	v_fma_f64 v[100:101], v[116:117], v[98:99], v[114:115]
	v_div_scale_f64 v[102:103], s[20:21], v[100:101], v[100:101], 1.0
	v_div_scale_f64 v[108:109], vcc, 1.0, v[100:101], 1.0
	v_rcp_f64_e32 v[104:105], v[102:103]
	v_fma_f64 v[106:107], -v[102:103], v[104:105], 1.0
	v_fma_f64 v[104:105], v[104:105], v[106:107], v[104:105]
	v_fma_f64 v[106:107], -v[102:103], v[104:105], 1.0
	v_fma_f64 v[104:105], v[104:105], v[106:107], v[104:105]
	v_mul_f64 v[106:107], v[108:109], v[104:105]
	v_fma_f64 v[102:103], -v[102:103], v[106:107], v[108:109]
	v_div_fmas_f64 v[102:103], v[102:103], v[104:105], v[106:107]
	v_div_fixup_f64 v[114:115], v[102:103], v[100:101], 1.0
	v_mul_f64 v[116:117], v[98:99], -v[114:115]
.LBB54_534:
	s_or_b64 exec, exec, s[8:9]
.LBB54_535:
	s_or_b64 exec, exec, s[0:1]
	v_cmp_ne_u32_e32 vcc, v124, v122
	s_and_saveexec_b64 s[0:1], vcc
	s_xor_b64 s[0:1], exec, s[0:1]
	s_cbranch_execz .LBB54_541
; %bb.536:
	v_cmp_eq_u32_e32 vcc, 25, v124
	s_and_saveexec_b64 s[8:9], vcc
	s_cbranch_execz .LBB54_540
; %bb.537:
	v_cmp_ne_u32_e32 vcc, 25, v122
	s_xor_b64 s[20:21], s[18:19], -1
	s_and_b64 s[24:25], s[20:21], vcc
	s_and_saveexec_b64 s[20:21], s[24:25]
	s_cbranch_execz .LBB54_539
; %bb.538:
	buffer_load_dword v94, off, s[28:31], 0 offset:48 ; 4-byte Folded Reload
	buffer_load_dword v95, off, s[28:31], 0 offset:52 ; 4-byte Folded Reload
	v_ashrrev_i32_e32 v123, 31, v122
	v_lshlrev_b64 v[98:99], 2, v[122:123]
	s_waitcnt vmcnt(1)
	v_add_co_u32_e32 v98, vcc, v94, v98
	s_waitcnt vmcnt(0)
	v_addc_co_u32_e32 v99, vcc, v95, v99, vcc
	global_load_dword v0, v[98:99], off
	global_load_dword v100, v[94:95], off offset:100
	s_waitcnt vmcnt(1)
	global_store_dword v[94:95], v0, off offset:100
	s_waitcnt vmcnt(1)
	global_store_dword v[98:99], v100, off
.LBB54_539:
	s_or_b64 exec, exec, s[20:21]
	v_mov_b32_e32 v124, v122
	v_mov_b32_e32 v0, v122
.LBB54_540:
	s_or_b64 exec, exec, s[8:9]
.LBB54_541:
	s_andn2_saveexec_b64 s[0:1], s[0:1]
	s_cbranch_execz .LBB54_543
; %bb.542:
	v_mov_b32_e32 v124, 25
	ds_write2_b64 v1, v[2:3], v[4:5] offset0:52 offset1:53
	ds_write2_b64 v1, v[110:111], v[112:113] offset0:54 offset1:55
.LBB54_543:
	s_or_b64 exec, exec, s[0:1]
	v_cmp_lt_i32_e32 vcc, 25, v124
	s_waitcnt vmcnt(0) lgkmcnt(0)
	s_barrier
	s_and_saveexec_b64 s[0:1], vcc
	s_cbranch_execz .LBB54_545
; %bb.544:
	v_mul_f64 v[98:99], v[114:115], v[8:9]
	v_mul_f64 v[8:9], v[116:117], v[8:9]
	ds_read2_b64 v[106:109], v1 offset0:52 offset1:53
	v_fma_f64 v[98:99], v[116:117], v[6:7], v[98:99]
	v_fma_f64 v[6:7], v[114:115], v[6:7], -v[8:9]
	s_waitcnt lgkmcnt(0)
	v_mul_f64 v[8:9], v[108:109], v[98:99]
	v_mul_f64 v[100:101], v[106:107], v[98:99]
	v_fma_f64 v[8:9], v[106:107], v[6:7], -v[8:9]
	v_fma_f64 v[100:101], v[108:109], v[6:7], v[100:101]
	ds_read2_b64 v[106:109], v1 offset0:54 offset1:55
	v_add_f64 v[2:3], v[2:3], -v[8:9]
	v_add_f64 v[4:5], v[4:5], -v[100:101]
	s_waitcnt lgkmcnt(0)
	v_mul_f64 v[8:9], v[108:109], v[98:99]
	v_mul_f64 v[100:101], v[106:107], v[98:99]
	v_fma_f64 v[8:9], v[106:107], v[6:7], -v[8:9]
	v_fma_f64 v[100:101], v[108:109], v[6:7], v[100:101]
	v_add_f64 v[110:111], v[110:111], -v[8:9]
	v_add_f64 v[112:113], v[112:113], -v[100:101]
	v_mov_b32_e32 v8, v98
	v_mov_b32_e32 v9, v99
.LBB54_545:
	s_or_b64 exec, exec, s[0:1]
	v_lshl_add_u32 v98, v124, 4, v1
	s_barrier
	ds_write2_b64 v98, v[2:3], v[4:5] offset1:1
	s_waitcnt lgkmcnt(0)
	s_barrier
	ds_read2_b64 v[114:117], v1 offset0:52 offset1:53
	s_cmp_lt_i32 s22, 28
	v_mov_b32_e32 v122, 26
	s_cbranch_scc1 .LBB54_548
; %bb.546:
	v_add_u32_e32 v118, 0x1b0, v1
	s_mov_b32 s0, 27
	v_mov_b32_e32 v122, 26
.LBB54_547:                             ; =>This Inner Loop Header: Depth=1
	s_waitcnt lgkmcnt(0)
	v_cmp_gt_f64_e32 vcc, 0, v[114:115]
	v_xor_b32_e32 v98, 0x80000000, v115
	ds_read2_b64 v[106:109], v118 offset1:1
	v_xor_b32_e32 v100, 0x80000000, v117
	v_add_u32_e32 v118, 16, v118
	s_waitcnt lgkmcnt(0)
	v_xor_b32_e32 v102, 0x80000000, v109
	v_cndmask_b32_e32 v99, v115, v98, vcc
	v_cmp_gt_f64_e32 vcc, 0, v[116:117]
	v_mov_b32_e32 v98, v114
	v_cndmask_b32_e32 v101, v117, v100, vcc
	v_cmp_gt_f64_e32 vcc, 0, v[106:107]
	v_mov_b32_e32 v100, v116
	v_add_f64 v[98:99], v[98:99], v[100:101]
	v_xor_b32_e32 v100, 0x80000000, v107
	v_cndmask_b32_e32 v101, v107, v100, vcc
	v_cmp_gt_f64_e32 vcc, 0, v[108:109]
	v_mov_b32_e32 v100, v106
	v_cndmask_b32_e32 v103, v109, v102, vcc
	v_mov_b32_e32 v102, v108
	v_add_f64 v[100:101], v[100:101], v[102:103]
	v_cmp_lt_f64_e32 vcc, v[98:99], v[100:101]
	v_mov_b32_e32 v98, s0
	s_add_i32 s0, s0, 1
	s_cmp_lg_u32 s22, s0
	v_cndmask_b32_e32 v115, v115, v107, vcc
	v_cndmask_b32_e32 v114, v114, v106, vcc
	;; [unrolled: 1-line block ×5, first 2 shown]
	s_cbranch_scc1 .LBB54_547
.LBB54_548:
	s_waitcnt lgkmcnt(0)
	v_cmp_eq_f64_e32 vcc, 0, v[114:115]
	v_cmp_eq_f64_e64 s[0:1], 0, v[116:117]
	s_and_b64 s[0:1], vcc, s[0:1]
	s_and_saveexec_b64 s[8:9], s[0:1]
	s_xor_b64 s[0:1], exec, s[8:9]
; %bb.549:
	v_cmp_ne_u32_e32 vcc, 0, v120
	v_cndmask_b32_e32 v120, 27, v120, vcc
; %bb.550:
	s_andn2_saveexec_b64 s[0:1], s[0:1]
	s_cbranch_execz .LBB54_556
; %bb.551:
	v_cmp_ngt_f64_e64 s[8:9], |v[114:115]|, |v[116:117]|
	s_and_saveexec_b64 s[20:21], s[8:9]
	s_xor_b64 s[8:9], exec, s[20:21]
	s_cbranch_execz .LBB54_553
; %bb.552:
	v_div_scale_f64 v[98:99], s[20:21], v[116:117], v[116:117], v[114:115]
	v_rcp_f64_e32 v[100:101], v[98:99]
	v_fma_f64 v[102:103], -v[98:99], v[100:101], 1.0
	v_fma_f64 v[100:101], v[100:101], v[102:103], v[100:101]
	v_div_scale_f64 v[102:103], vcc, v[114:115], v[116:117], v[114:115]
	v_fma_f64 v[104:105], -v[98:99], v[100:101], 1.0
	v_fma_f64 v[100:101], v[100:101], v[104:105], v[100:101]
	v_mul_f64 v[104:105], v[102:103], v[100:101]
	v_fma_f64 v[98:99], -v[98:99], v[104:105], v[102:103]
	v_div_fmas_f64 v[98:99], v[98:99], v[100:101], v[104:105]
	v_div_fixup_f64 v[98:99], v[98:99], v[116:117], v[114:115]
	v_fma_f64 v[100:101], v[114:115], v[98:99], v[116:117]
	v_div_scale_f64 v[102:103], s[20:21], v[100:101], v[100:101], 1.0
	v_div_scale_f64 v[108:109], vcc, 1.0, v[100:101], 1.0
	v_rcp_f64_e32 v[104:105], v[102:103]
	v_fma_f64 v[106:107], -v[102:103], v[104:105], 1.0
	v_fma_f64 v[104:105], v[104:105], v[106:107], v[104:105]
	v_fma_f64 v[106:107], -v[102:103], v[104:105], 1.0
	v_fma_f64 v[104:105], v[104:105], v[106:107], v[104:105]
	v_mul_f64 v[106:107], v[108:109], v[104:105]
	v_fma_f64 v[102:103], -v[102:103], v[106:107], v[108:109]
	v_div_fmas_f64 v[102:103], v[102:103], v[104:105], v[106:107]
	v_div_fixup_f64 v[116:117], v[102:103], v[100:101], 1.0
	v_mul_f64 v[114:115], v[98:99], v[116:117]
	v_xor_b32_e32 v117, 0x80000000, v117
.LBB54_553:
	s_andn2_saveexec_b64 s[8:9], s[8:9]
	s_cbranch_execz .LBB54_555
; %bb.554:
	v_div_scale_f64 v[98:99], s[20:21], v[114:115], v[114:115], v[116:117]
	v_rcp_f64_e32 v[100:101], v[98:99]
	v_fma_f64 v[102:103], -v[98:99], v[100:101], 1.0
	v_fma_f64 v[100:101], v[100:101], v[102:103], v[100:101]
	v_div_scale_f64 v[102:103], vcc, v[116:117], v[114:115], v[116:117]
	v_fma_f64 v[104:105], -v[98:99], v[100:101], 1.0
	v_fma_f64 v[100:101], v[100:101], v[104:105], v[100:101]
	v_mul_f64 v[104:105], v[102:103], v[100:101]
	v_fma_f64 v[98:99], -v[98:99], v[104:105], v[102:103]
	v_div_fmas_f64 v[98:99], v[98:99], v[100:101], v[104:105]
	v_div_fixup_f64 v[98:99], v[98:99], v[114:115], v[116:117]
	v_fma_f64 v[100:101], v[116:117], v[98:99], v[114:115]
	v_div_scale_f64 v[102:103], s[20:21], v[100:101], v[100:101], 1.0
	v_div_scale_f64 v[108:109], vcc, 1.0, v[100:101], 1.0
	v_rcp_f64_e32 v[104:105], v[102:103]
	v_fma_f64 v[106:107], -v[102:103], v[104:105], 1.0
	v_fma_f64 v[104:105], v[104:105], v[106:107], v[104:105]
	v_fma_f64 v[106:107], -v[102:103], v[104:105], 1.0
	v_fma_f64 v[104:105], v[104:105], v[106:107], v[104:105]
	v_mul_f64 v[106:107], v[108:109], v[104:105]
	v_fma_f64 v[102:103], -v[102:103], v[106:107], v[108:109]
	v_div_fmas_f64 v[102:103], v[102:103], v[104:105], v[106:107]
	v_div_fixup_f64 v[114:115], v[102:103], v[100:101], 1.0
	v_mul_f64 v[116:117], v[98:99], -v[114:115]
.LBB54_555:
	s_or_b64 exec, exec, s[8:9]
.LBB54_556:
	s_or_b64 exec, exec, s[0:1]
	v_cmp_ne_u32_e32 vcc, v124, v122
	s_and_saveexec_b64 s[0:1], vcc
	s_xor_b64 s[0:1], exec, s[0:1]
	s_cbranch_execz .LBB54_562
; %bb.557:
	v_cmp_eq_u32_e32 vcc, 26, v124
	s_and_saveexec_b64 s[8:9], vcc
	s_cbranch_execz .LBB54_561
; %bb.558:
	v_cmp_ne_u32_e32 vcc, 26, v122
	s_xor_b64 s[20:21], s[18:19], -1
	s_and_b64 s[24:25], s[20:21], vcc
	s_and_saveexec_b64 s[20:21], s[24:25]
	s_cbranch_execz .LBB54_560
; %bb.559:
	buffer_load_dword v94, off, s[28:31], 0 offset:48 ; 4-byte Folded Reload
	buffer_load_dword v95, off, s[28:31], 0 offset:52 ; 4-byte Folded Reload
	v_ashrrev_i32_e32 v123, 31, v122
	v_lshlrev_b64 v[98:99], 2, v[122:123]
	s_waitcnt vmcnt(1)
	v_add_co_u32_e32 v98, vcc, v94, v98
	s_waitcnt vmcnt(0)
	v_addc_co_u32_e32 v99, vcc, v95, v99, vcc
	global_load_dword v0, v[98:99], off
	global_load_dword v100, v[94:95], off offset:104
	s_waitcnt vmcnt(1)
	global_store_dword v[94:95], v0, off offset:104
	s_waitcnt vmcnt(1)
	global_store_dword v[98:99], v100, off
.LBB54_560:
	s_or_b64 exec, exec, s[20:21]
	v_mov_b32_e32 v124, v122
	v_mov_b32_e32 v0, v122
.LBB54_561:
	s_or_b64 exec, exec, s[8:9]
.LBB54_562:
	s_andn2_saveexec_b64 s[0:1], s[0:1]
; %bb.563:
	v_mov_b32_e32 v124, 26
	ds_write2_b64 v1, v[110:111], v[112:113] offset0:54 offset1:55
; %bb.564:
	s_or_b64 exec, exec, s[0:1]
	v_cmp_lt_i32_e32 vcc, 26, v124
	s_waitcnt vmcnt(0) lgkmcnt(0)
	s_barrier
	s_and_saveexec_b64 s[0:1], vcc
	s_cbranch_execz .LBB54_566
; %bb.565:
	v_mul_f64 v[98:99], v[114:115], v[4:5]
	v_mul_f64 v[4:5], v[116:117], v[4:5]
	ds_read2_b64 v[106:109], v1 offset0:54 offset1:55
	v_fma_f64 v[98:99], v[116:117], v[2:3], v[98:99]
	v_fma_f64 v[2:3], v[114:115], v[2:3], -v[4:5]
	s_waitcnt lgkmcnt(0)
	v_mul_f64 v[4:5], v[108:109], v[98:99]
	v_mul_f64 v[100:101], v[106:107], v[98:99]
	v_fma_f64 v[4:5], v[106:107], v[2:3], -v[4:5]
	v_fma_f64 v[100:101], v[108:109], v[2:3], v[100:101]
	v_add_f64 v[110:111], v[110:111], -v[4:5]
	v_add_f64 v[112:113], v[112:113], -v[100:101]
	v_mov_b32_e32 v4, v98
	v_mov_b32_e32 v5, v99
.LBB54_566:
	s_or_b64 exec, exec, s[0:1]
	v_lshl_add_u32 v98, v124, 4, v1
	s_barrier
	ds_write2_b64 v98, v[110:111], v[112:113] offset1:1
	s_waitcnt lgkmcnt(0)
	s_barrier
	ds_read2_b64 v[114:117], v1 offset0:54 offset1:55
	s_cmp_lt_i32 s22, 29
	v_mov_b32_e32 v122, 27
	s_cbranch_scc1 .LBB54_569
; %bb.567:
	v_add_u32_e32 v1, 0x1c0, v1
	s_mov_b32 s0, 28
	v_mov_b32_e32 v122, 27
.LBB54_568:                             ; =>This Inner Loop Header: Depth=1
	s_waitcnt lgkmcnt(0)
	v_cmp_gt_f64_e32 vcc, 0, v[114:115]
	v_xor_b32_e32 v98, 0x80000000, v115
	ds_read2_b64 v[106:109], v1 offset1:1
	v_xor_b32_e32 v100, 0x80000000, v117
	v_add_u32_e32 v1, 16, v1
	s_waitcnt lgkmcnt(0)
	v_xor_b32_e32 v102, 0x80000000, v109
	v_cndmask_b32_e32 v99, v115, v98, vcc
	v_cmp_gt_f64_e32 vcc, 0, v[116:117]
	v_mov_b32_e32 v98, v114
	v_cndmask_b32_e32 v101, v117, v100, vcc
	v_cmp_gt_f64_e32 vcc, 0, v[106:107]
	v_mov_b32_e32 v100, v116
	v_add_f64 v[98:99], v[98:99], v[100:101]
	v_xor_b32_e32 v100, 0x80000000, v107
	v_cndmask_b32_e32 v101, v107, v100, vcc
	v_cmp_gt_f64_e32 vcc, 0, v[108:109]
	v_mov_b32_e32 v100, v106
	v_cndmask_b32_e32 v103, v109, v102, vcc
	v_mov_b32_e32 v102, v108
	v_add_f64 v[100:101], v[100:101], v[102:103]
	v_cmp_lt_f64_e32 vcc, v[98:99], v[100:101]
	v_mov_b32_e32 v98, s0
	s_add_i32 s0, s0, 1
	s_cmp_lg_u32 s22, s0
	v_cndmask_b32_e32 v115, v115, v107, vcc
	v_cndmask_b32_e32 v114, v114, v106, vcc
	v_cndmask_b32_e32 v117, v117, v109, vcc
	v_cndmask_b32_e32 v116, v116, v108, vcc
	v_cndmask_b32_e32 v122, v122, v98, vcc
	s_cbranch_scc1 .LBB54_568
.LBB54_569:
	s_waitcnt lgkmcnt(0)
	v_cmp_eq_f64_e32 vcc, 0, v[114:115]
	v_cmp_eq_f64_e64 s[0:1], 0, v[116:117]
	s_and_b64 s[0:1], vcc, s[0:1]
	s_and_saveexec_b64 s[8:9], s[0:1]
	s_xor_b64 s[0:1], exec, s[8:9]
; %bb.570:
	v_cmp_ne_u32_e32 vcc, 0, v120
	v_cndmask_b32_e32 v120, 28, v120, vcc
; %bb.571:
	s_andn2_saveexec_b64 s[0:1], s[0:1]
	s_cbranch_execz .LBB54_577
; %bb.572:
	v_cmp_ngt_f64_e64 s[8:9], |v[114:115]|, |v[116:117]|
	s_and_saveexec_b64 s[20:21], s[8:9]
	s_xor_b64 s[8:9], exec, s[20:21]
	s_cbranch_execz .LBB54_574
; %bb.573:
	v_div_scale_f64 v[98:99], s[20:21], v[116:117], v[116:117], v[114:115]
	v_rcp_f64_e32 v[100:101], v[98:99]
	v_fma_f64 v[102:103], -v[98:99], v[100:101], 1.0
	v_fma_f64 v[100:101], v[100:101], v[102:103], v[100:101]
	v_div_scale_f64 v[102:103], vcc, v[114:115], v[116:117], v[114:115]
	v_fma_f64 v[104:105], -v[98:99], v[100:101], 1.0
	v_fma_f64 v[100:101], v[100:101], v[104:105], v[100:101]
	v_mul_f64 v[104:105], v[102:103], v[100:101]
	v_fma_f64 v[98:99], -v[98:99], v[104:105], v[102:103]
	v_div_fmas_f64 v[98:99], v[98:99], v[100:101], v[104:105]
	v_div_fixup_f64 v[98:99], v[98:99], v[116:117], v[114:115]
	v_fma_f64 v[100:101], v[114:115], v[98:99], v[116:117]
	v_div_scale_f64 v[102:103], s[20:21], v[100:101], v[100:101], 1.0
	v_div_scale_f64 v[108:109], vcc, 1.0, v[100:101], 1.0
	v_rcp_f64_e32 v[104:105], v[102:103]
	v_fma_f64 v[106:107], -v[102:103], v[104:105], 1.0
	v_fma_f64 v[104:105], v[104:105], v[106:107], v[104:105]
	v_fma_f64 v[106:107], -v[102:103], v[104:105], 1.0
	v_fma_f64 v[104:105], v[104:105], v[106:107], v[104:105]
	v_mul_f64 v[106:107], v[108:109], v[104:105]
	v_fma_f64 v[102:103], -v[102:103], v[106:107], v[108:109]
	v_div_fmas_f64 v[102:103], v[102:103], v[104:105], v[106:107]
	v_div_fixup_f64 v[116:117], v[102:103], v[100:101], 1.0
	v_mul_f64 v[114:115], v[98:99], v[116:117]
	v_xor_b32_e32 v117, 0x80000000, v117
.LBB54_574:
	s_andn2_saveexec_b64 s[8:9], s[8:9]
	s_cbranch_execz .LBB54_576
; %bb.575:
	v_div_scale_f64 v[98:99], s[20:21], v[114:115], v[114:115], v[116:117]
	v_rcp_f64_e32 v[100:101], v[98:99]
	v_fma_f64 v[102:103], -v[98:99], v[100:101], 1.0
	v_fma_f64 v[100:101], v[100:101], v[102:103], v[100:101]
	v_div_scale_f64 v[102:103], vcc, v[116:117], v[114:115], v[116:117]
	v_fma_f64 v[104:105], -v[98:99], v[100:101], 1.0
	v_fma_f64 v[100:101], v[100:101], v[104:105], v[100:101]
	v_mul_f64 v[104:105], v[102:103], v[100:101]
	v_fma_f64 v[98:99], -v[98:99], v[104:105], v[102:103]
	v_div_fmas_f64 v[98:99], v[98:99], v[100:101], v[104:105]
	v_div_fixup_f64 v[98:99], v[98:99], v[114:115], v[116:117]
	v_fma_f64 v[100:101], v[116:117], v[98:99], v[114:115]
	v_div_scale_f64 v[102:103], s[20:21], v[100:101], v[100:101], 1.0
	v_div_scale_f64 v[108:109], vcc, 1.0, v[100:101], 1.0
	v_rcp_f64_e32 v[104:105], v[102:103]
	v_fma_f64 v[106:107], -v[102:103], v[104:105], 1.0
	v_fma_f64 v[104:105], v[104:105], v[106:107], v[104:105]
	v_fma_f64 v[106:107], -v[102:103], v[104:105], 1.0
	v_fma_f64 v[104:105], v[104:105], v[106:107], v[104:105]
	v_mul_f64 v[106:107], v[108:109], v[104:105]
	v_fma_f64 v[102:103], -v[102:103], v[106:107], v[108:109]
	v_div_fmas_f64 v[102:103], v[102:103], v[104:105], v[106:107]
	v_div_fixup_f64 v[114:115], v[102:103], v[100:101], 1.0
	v_mul_f64 v[116:117], v[98:99], -v[114:115]
.LBB54_576:
	s_or_b64 exec, exec, s[8:9]
.LBB54_577:
	s_or_b64 exec, exec, s[0:1]
	v_cmp_ne_u32_e32 vcc, v124, v122
	v_mov_b32_e32 v123, 27
	s_and_saveexec_b64 s[0:1], vcc
	s_cbranch_execz .LBB54_583
; %bb.578:
	v_cmp_eq_u32_e32 vcc, 27, v124
	s_and_saveexec_b64 s[8:9], vcc
	s_cbranch_execz .LBB54_582
; %bb.579:
	v_cmp_ne_u32_e32 vcc, 27, v122
	s_xor_b64 s[18:19], s[18:19], -1
	s_and_b64 s[20:21], s[18:19], vcc
	s_and_saveexec_b64 s[18:19], s[20:21]
	s_cbranch_execz .LBB54_581
; %bb.580:
	buffer_load_dword v94, off, s[28:31], 0 offset:48 ; 4-byte Folded Reload
	buffer_load_dword v95, off, s[28:31], 0 offset:52 ; 4-byte Folded Reload
	v_ashrrev_i32_e32 v123, 31, v122
	v_lshlrev_b64 v[0:1], 2, v[122:123]
	s_waitcnt vmcnt(1)
	v_add_co_u32_e32 v0, vcc, v94, v0
	s_waitcnt vmcnt(0)
	v_addc_co_u32_e32 v1, vcc, v95, v1, vcc
	global_load_dword v98, v[0:1], off
	global_load_dword v99, v[94:95], off offset:108
	s_waitcnt vmcnt(1)
	global_store_dword v[94:95], v98, off offset:108
	s_waitcnt vmcnt(1)
	global_store_dword v[0:1], v99, off
.LBB54_581:
	s_or_b64 exec, exec, s[18:19]
	v_mov_b32_e32 v124, v122
	v_mov_b32_e32 v0, v122
.LBB54_582:
	s_or_b64 exec, exec, s[8:9]
	v_mov_b32_e32 v123, v124
.LBB54_583:
	s_or_b64 exec, exec, s[0:1]
	v_cmp_gt_i32_e32 vcc, 28, v123
	v_ashrrev_i32_e32 v124, 31, v123
	s_waitcnt vmcnt(0)
	s_barrier
	s_barrier
	s_and_saveexec_b64 s[0:1], vcc
	s_cbranch_execz .LBB54_585
; %bb.584:
	buffer_load_dword v94, off, s[28:31], 0 offset:80 ; 4-byte Folded Reload
	buffer_load_dword v95, off, s[28:31], 0 offset:84 ; 4-byte Folded Reload
	v_add3_u32 v0, v0, s17, 1
	s_waitcnt vmcnt(1)
	v_mul_lo_u32 v1, s15, v94
	s_waitcnt vmcnt(0)
	v_mul_lo_u32 v100, s14, v95
	v_mad_u64_u32 v[98:99], s[8:9], s14, v94, 0
	s_lshl_b64 s[8:9], s[12:13], 2
	v_add3_u32 v99, v99, v100, v1
	v_lshlrev_b64 v[98:99], 2, v[98:99]
	v_mov_b32_e32 v1, s11
	v_add_co_u32_e32 v98, vcc, s10, v98
	v_addc_co_u32_e32 v1, vcc, v1, v99, vcc
	v_mov_b32_e32 v99, s9
	v_add_co_u32_e32 v100, vcc, s8, v98
	v_addc_co_u32_e32 v1, vcc, v1, v99, vcc
	v_lshlrev_b64 v[98:99], 2, v[123:124]
	v_add_co_u32_e32 v98, vcc, v100, v98
	v_addc_co_u32_e32 v99, vcc, v1, v99, vcc
	global_store_dword v[98:99], v0, off
.LBB54_585:
	s_or_b64 exec, exec, s[0:1]
	v_cmp_eq_u32_e32 vcc, 0, v123
	s_and_saveexec_b64 s[8:9], vcc
	s_cbranch_execz .LBB54_588
; %bb.586:
	buffer_load_dword v0, off, s[28:31], 0 offset:80 ; 4-byte Folded Reload
	buffer_load_dword v1, off, s[28:31], 0 offset:84 ; 4-byte Folded Reload
	v_mov_b32_e32 v98, s5
	v_cmp_ne_u32_e64 s[0:1], 0, v120
	s_waitcnt vmcnt(0)
	v_lshlrev_b64 v[0:1], 2, v[0:1]
	v_add_co_u32_e32 v0, vcc, s4, v0
	v_addc_co_u32_e32 v1, vcc, v98, v1, vcc
	global_load_dword v98, v[0:1], off
	s_waitcnt vmcnt(0)
	v_cmp_eq_u32_e32 vcc, 0, v98
	s_and_b64 s[0:1], vcc, s[0:1]
	s_and_b64 exec, exec, s[0:1]
	s_cbranch_execz .LBB54_588
; %bb.587:
	v_add_u32_e32 v98, s17, v120
	global_store_dword v[0:1], v98, off
.LBB54_588:
	s_or_b64 exec, exec, s[8:9]
	buffer_load_dword v103, off, s[28:31], 0 offset:72 ; 4-byte Folded Reload
	buffer_load_dword v104, off, s[28:31], 0 offset:76 ; 4-byte Folded Reload
	;; [unrolled: 1-line block ×6, first 2 shown]
	v_lshlrev_b64 v[100:101], 4, v[123:124]
	v_mul_f64 v[0:1], v[116:117], v[112:113]
	v_mul_f64 v[98:99], v[114:115], v[112:113]
	v_mov_b32_e32 v102, s3
	v_fma_f64 v[0:1], v[114:115], v[110:111], -v[0:1]
	v_fma_f64 v[98:99], v[116:117], v[110:111], v[98:99]
	s_waitcnt vmcnt(5)
	v_add_co_u32_e32 v100, vcc, v103, v100
	s_waitcnt vmcnt(4)
	v_addc_co_u32_e32 v101, vcc, v104, v101, vcc
	s_waitcnt vmcnt(0)
	global_store_dwordx4 v[100:101], v[94:97], off
	buffer_load_dword v94, off, s[28:31], 0 offset:32 ; 4-byte Folded Reload
	s_nop 0
	buffer_load_dword v95, off, s[28:31], 0 offset:36 ; 4-byte Folded Reload
	buffer_load_dword v96, off, s[28:31], 0 offset:40 ; 4-byte Folded Reload
	;; [unrolled: 1-line block ×3, first 2 shown]
	v_cmp_lt_i32_e32 vcc, 27, v123
	v_cndmask_b32_e32 v109, v113, v99, vcc
	v_cndmask_b32_e32 v108, v112, v98, vcc
	;; [unrolled: 1-line block ×4, first 2 shown]
	v_add_co_u32_e32 v0, vcc, s2, v100
	v_addc_co_u32_e32 v1, vcc, v101, v102, vcc
	s_waitcnt vmcnt(0)
	global_store_dwordx4 v[0:1], v[94:97], off
	buffer_load_dword v94, off, s[28:31], 0 offset:16 ; 4-byte Folded Reload
	s_nop 0
	buffer_load_dword v95, off, s[28:31], 0 offset:20 ; 4-byte Folded Reload
	buffer_load_dword v96, off, s[28:31], 0 offset:24 ; 4-byte Folded Reload
	;; [unrolled: 1-line block ×3, first 2 shown]
	v_add_u32_e32 v0, s16, v123
	v_ashrrev_i32_e32 v1, 31, v0
	v_lshlrev_b64 v[98:99], 4, v[0:1]
	v_add_u32_e32 v0, s6, v0
	v_add_co_u32_e32 v98, vcc, v103, v98
	v_addc_co_u32_e32 v99, vcc, v104, v99, vcc
	v_ashrrev_i32_e32 v1, 31, v0
	s_waitcnt vmcnt(0)
	global_store_dwordx4 v[98:99], v[94:97], off
	buffer_load_dword v94, off, s[28:31], 0 ; 4-byte Folded Reload
	s_nop 0
	buffer_load_dword v95, off, s[28:31], 0 offset:4 ; 4-byte Folded Reload
	buffer_load_dword v96, off, s[28:31], 0 offset:8 ; 4-byte Folded Reload
	;; [unrolled: 1-line block ×3, first 2 shown]
	v_lshlrev_b64 v[98:99], 4, v[0:1]
	v_add_u32_e32 v0, s6, v0
	v_add_co_u32_e32 v98, vcc, v103, v98
	v_addc_co_u32_e32 v99, vcc, v104, v99, vcc
	v_ashrrev_i32_e32 v1, 31, v0
	s_waitcnt vmcnt(0)
	global_store_dwordx4 v[98:99], v[94:97], off
	s_nop 0
	v_lshlrev_b64 v[94:95], 4, v[0:1]
	v_add_u32_e32 v0, s6, v0
	v_add_co_u32_e32 v94, vcc, v103, v94
	v_addc_co_u32_e32 v95, vcc, v104, v95, vcc
	v_ashrrev_i32_e32 v1, 31, v0
	global_store_dwordx4 v[94:95], v[90:93], off
	s_nop 0
	v_lshlrev_b64 v[90:91], 4, v[0:1]
	v_add_u32_e32 v0, s6, v0
	v_add_co_u32_e32 v90, vcc, v103, v90
	v_addc_co_u32_e32 v91, vcc, v104, v91, vcc
	v_ashrrev_i32_e32 v1, 31, v0
	;; [unrolled: 7-line block ×22, first 2 shown]
	global_store_dwordx4 v[10:11], v[6:9], off
	s_nop 0
	v_lshlrev_b64 v[6:7], 4, v[0:1]
	v_add_u32_e32 v0, s6, v0
	v_ashrrev_i32_e32 v1, 31, v0
	v_add_co_u32_e32 v6, vcc, v103, v6
	v_lshlrev_b64 v[0:1], 4, v[0:1]
	v_addc_co_u32_e32 v7, vcc, v104, v7, vcc
	v_add_co_u32_e32 v0, vcc, v103, v0
	v_addc_co_u32_e32 v1, vcc, v104, v1, vcc
	global_store_dwordx4 v[6:7], v[2:5], off
	global_store_dwordx4 v[0:1], v[106:109], off
.LBB54_589:
	s_endpgm
	.section	.rodata,"a",@progbits
	.p2align	6, 0x0
	.amdhsa_kernel _ZN9rocsolver6v33100L18getf2_small_kernelILi28E19rocblas_complex_numIdEiiPS3_EEvT1_T3_lS5_lPS5_llPT2_S5_S5_S7_l
		.amdhsa_group_segment_fixed_size 0
		.amdhsa_private_segment_fixed_size 92
		.amdhsa_kernarg_size 352
		.amdhsa_user_sgpr_count 6
		.amdhsa_user_sgpr_private_segment_buffer 1
		.amdhsa_user_sgpr_dispatch_ptr 0
		.amdhsa_user_sgpr_queue_ptr 0
		.amdhsa_user_sgpr_kernarg_segment_ptr 1
		.amdhsa_user_sgpr_dispatch_id 0
		.amdhsa_user_sgpr_flat_scratch_init 0
		.amdhsa_user_sgpr_private_segment_size 0
		.amdhsa_uses_dynamic_stack 0
		.amdhsa_system_sgpr_private_segment_wavefront_offset 1
		.amdhsa_system_sgpr_workgroup_id_x 1
		.amdhsa_system_sgpr_workgroup_id_y 1
		.amdhsa_system_sgpr_workgroup_id_z 0
		.amdhsa_system_sgpr_workgroup_info 0
		.amdhsa_system_vgpr_workitem_id 1
		.amdhsa_next_free_vgpr 128
		.amdhsa_next_free_sgpr 32
		.amdhsa_reserve_vcc 1
		.amdhsa_reserve_flat_scratch 0
		.amdhsa_float_round_mode_32 0
		.amdhsa_float_round_mode_16_64 0
		.amdhsa_float_denorm_mode_32 3
		.amdhsa_float_denorm_mode_16_64 3
		.amdhsa_dx10_clamp 1
		.amdhsa_ieee_mode 1
		.amdhsa_fp16_overflow 0
		.amdhsa_exception_fp_ieee_invalid_op 0
		.amdhsa_exception_fp_denorm_src 0
		.amdhsa_exception_fp_ieee_div_zero 0
		.amdhsa_exception_fp_ieee_overflow 0
		.amdhsa_exception_fp_ieee_underflow 0
		.amdhsa_exception_fp_ieee_inexact 0
		.amdhsa_exception_int_div_zero 0
	.end_amdhsa_kernel
	.section	.text._ZN9rocsolver6v33100L18getf2_small_kernelILi28E19rocblas_complex_numIdEiiPS3_EEvT1_T3_lS5_lPS5_llPT2_S5_S5_S7_l,"axG",@progbits,_ZN9rocsolver6v33100L18getf2_small_kernelILi28E19rocblas_complex_numIdEiiPS3_EEvT1_T3_lS5_lPS5_llPT2_S5_S5_S7_l,comdat
.Lfunc_end54:
	.size	_ZN9rocsolver6v33100L18getf2_small_kernelILi28E19rocblas_complex_numIdEiiPS3_EEvT1_T3_lS5_lPS5_llPT2_S5_S5_S7_l, .Lfunc_end54-_ZN9rocsolver6v33100L18getf2_small_kernelILi28E19rocblas_complex_numIdEiiPS3_EEvT1_T3_lS5_lPS5_llPT2_S5_S5_S7_l
                                        ; -- End function
	.set _ZN9rocsolver6v33100L18getf2_small_kernelILi28E19rocblas_complex_numIdEiiPS3_EEvT1_T3_lS5_lPS5_llPT2_S5_S5_S7_l.num_vgpr, 128
	.set _ZN9rocsolver6v33100L18getf2_small_kernelILi28E19rocblas_complex_numIdEiiPS3_EEvT1_T3_lS5_lPS5_llPT2_S5_S5_S7_l.num_agpr, 0
	.set _ZN9rocsolver6v33100L18getf2_small_kernelILi28E19rocblas_complex_numIdEiiPS3_EEvT1_T3_lS5_lPS5_llPT2_S5_S5_S7_l.numbered_sgpr, 32
	.set _ZN9rocsolver6v33100L18getf2_small_kernelILi28E19rocblas_complex_numIdEiiPS3_EEvT1_T3_lS5_lPS5_llPT2_S5_S5_S7_l.num_named_barrier, 0
	.set _ZN9rocsolver6v33100L18getf2_small_kernelILi28E19rocblas_complex_numIdEiiPS3_EEvT1_T3_lS5_lPS5_llPT2_S5_S5_S7_l.private_seg_size, 92
	.set _ZN9rocsolver6v33100L18getf2_small_kernelILi28E19rocblas_complex_numIdEiiPS3_EEvT1_T3_lS5_lPS5_llPT2_S5_S5_S7_l.uses_vcc, 1
	.set _ZN9rocsolver6v33100L18getf2_small_kernelILi28E19rocblas_complex_numIdEiiPS3_EEvT1_T3_lS5_lPS5_llPT2_S5_S5_S7_l.uses_flat_scratch, 0
	.set _ZN9rocsolver6v33100L18getf2_small_kernelILi28E19rocblas_complex_numIdEiiPS3_EEvT1_T3_lS5_lPS5_llPT2_S5_S5_S7_l.has_dyn_sized_stack, 0
	.set _ZN9rocsolver6v33100L18getf2_small_kernelILi28E19rocblas_complex_numIdEiiPS3_EEvT1_T3_lS5_lPS5_llPT2_S5_S5_S7_l.has_recursion, 0
	.set _ZN9rocsolver6v33100L18getf2_small_kernelILi28E19rocblas_complex_numIdEiiPS3_EEvT1_T3_lS5_lPS5_llPT2_S5_S5_S7_l.has_indirect_call, 0
	.section	.AMDGPU.csdata,"",@progbits
; Kernel info:
; codeLenInByte = 54996
; TotalNumSgprs: 36
; NumVgprs: 128
; ScratchSize: 92
; MemoryBound: 0
; FloatMode: 240
; IeeeMode: 1
; LDSByteSize: 0 bytes/workgroup (compile time only)
; SGPRBlocks: 4
; VGPRBlocks: 31
; NumSGPRsForWavesPerEU: 36
; NumVGPRsForWavesPerEU: 128
; Occupancy: 2
; WaveLimiterHint : 0
; COMPUTE_PGM_RSRC2:SCRATCH_EN: 1
; COMPUTE_PGM_RSRC2:USER_SGPR: 6
; COMPUTE_PGM_RSRC2:TRAP_HANDLER: 0
; COMPUTE_PGM_RSRC2:TGID_X_EN: 1
; COMPUTE_PGM_RSRC2:TGID_Y_EN: 1
; COMPUTE_PGM_RSRC2:TGID_Z_EN: 0
; COMPUTE_PGM_RSRC2:TIDIG_COMP_CNT: 1
	.section	.text._ZN9rocsolver6v33100L23getf2_npvt_small_kernelILi28E19rocblas_complex_numIdEiiPS3_EEvT1_T3_lS5_lPT2_S5_S5_,"axG",@progbits,_ZN9rocsolver6v33100L23getf2_npvt_small_kernelILi28E19rocblas_complex_numIdEiiPS3_EEvT1_T3_lS5_lPT2_S5_S5_,comdat
	.globl	_ZN9rocsolver6v33100L23getf2_npvt_small_kernelILi28E19rocblas_complex_numIdEiiPS3_EEvT1_T3_lS5_lPT2_S5_S5_ ; -- Begin function _ZN9rocsolver6v33100L23getf2_npvt_small_kernelILi28E19rocblas_complex_numIdEiiPS3_EEvT1_T3_lS5_lPT2_S5_S5_
	.p2align	8
	.type	_ZN9rocsolver6v33100L23getf2_npvt_small_kernelILi28E19rocblas_complex_numIdEiiPS3_EEvT1_T3_lS5_lPT2_S5_S5_,@function
_ZN9rocsolver6v33100L23getf2_npvt_small_kernelILi28E19rocblas_complex_numIdEiiPS3_EEvT1_T3_lS5_lPT2_S5_S5_: ; @_ZN9rocsolver6v33100L23getf2_npvt_small_kernelILi28E19rocblas_complex_numIdEiiPS3_EEvT1_T3_lS5_lPT2_S5_S5_
; %bb.0:
	s_mov_b64 s[22:23], s[2:3]
	s_mov_b64 s[20:21], s[0:1]
	s_load_dword s0, s[4:5], 0x44
	s_load_dwordx2 s[12:13], s[4:5], 0x30
	s_add_u32 s20, s20, s8
	s_addc_u32 s21, s21, 0
	s_waitcnt lgkmcnt(0)
	s_lshr_b32 s2, s0, 16
	s_mul_i32 s7, s7, s2
	v_add_u32_e32 v2, s7, v1
	v_cmp_gt_i32_e32 vcc, s12, v2
	s_and_saveexec_b64 s[0:1], vcc
	s_cbranch_execz .LBB55_255
; %bb.1:
	s_load_dwordx4 s[8:11], s[4:5], 0x20
	s_load_dwordx4 s[16:19], s[4:5], 0x8
	v_ashrrev_i32_e32 v3, 31, v2
	s_mulk_i32 s2, 0x1c0
	s_waitcnt lgkmcnt(0)
	v_mul_lo_u32 v4, s9, v2
	v_mul_lo_u32 v5, s8, v3
	buffer_store_dword v2, off, s[20:23], 0 offset:656 ; 4-byte Folded Spill
	s_nop 0
	buffer_store_dword v3, off, s[20:23], 0 offset:660 ; 4-byte Folded Spill
	v_mov_b32_e32 v6, s17
	v_mad_u64_u32 v[2:3], s[0:1], s8, v2, 0
	s_load_dword s0, s[4:5], 0x18
	s_lshl_b64 s[4:5], s[18:19], 4
	v_add3_u32 v3, v3, v5, v4
	v_lshlrev_b64 v[2:3], 4, v[2:3]
	v_mov_b32_e32 v4, s5
	v_add_co_u32_e32 v2, vcc, s16, v2
	v_addc_co_u32_e32 v3, vcc, v6, v3, vcc
	v_add_co_u32_e32 v2, vcc, s4, v2
	s_waitcnt lgkmcnt(0)
	s_add_i32 s1, s0, s0
	v_addc_co_u32_e32 v3, vcc, v3, v4, vcc
	v_add_u32_e32 v4, s1, v0
	v_ashrrev_i32_e32 v5, 31, v4
	v_lshlrev_b64 v[5:6], 4, v[4:5]
	v_add_u32_e32 v4, s0, v4
	v_add_co_u32_e32 v115, vcc, v2, v5
	v_ashrrev_i32_e32 v5, 31, v4
	v_addc_co_u32_e32 v116, vcc, v3, v6, vcc
	v_lshlrev_b64 v[5:6], 4, v[4:5]
	v_add_u32_e32 v4, s0, v4
	v_add_co_u32_e32 v7, vcc, v2, v5
	v_ashrrev_i32_e32 v5, 31, v4
	v_addc_co_u32_e32 v8, vcc, v3, v6, vcc
	;; [unrolled: 5-line block ×24, first 2 shown]
	v_lshlrev_b64 v[5:6], 4, v[4:5]
	v_add_u32_e32 v4, s0, v4
	v_add_co_u32_e32 v101, vcc, v2, v5
	v_ashrrev_i32_e32 v5, 31, v4
	v_lshlrev_b64 v[4:5], 4, v[4:5]
	v_addc_co_u32_e32 v102, vcc, v3, v6, vcc
	v_add_co_u32_e32 v103, vcc, v2, v4
	v_addc_co_u32_e32 v104, vcc, v3, v5, vcc
	v_lshlrev_b32_e32 v4, 4, v0
	v_add_co_u32_e32 v4, vcc, v2, v4
	s_ashr_i32 s1, s0, 31
	v_addc_co_u32_e32 v5, vcc, 0, v3, vcc
	s_lshl_b64 s[0:1], s[0:1], 4
	v_mov_b32_e32 v2, s1
	v_add_co_u32_e32 v33, vcc, s0, v4
	v_addc_co_u32_e32 v34, vcc, v5, v2, vcc
	buffer_store_dword v4, off, s[20:23], 0 offset:288 ; 4-byte Folded Spill
	s_nop 0
	buffer_store_dword v5, off, s[20:23], 0 offset:292 ; 4-byte Folded Spill
	s_movk_i32 s0, 0x1c0
	s_add_i32 s1, s2, 0
	v_mad_u32_u24 v125, v1, s0, 0
	v_lshl_add_u32 v127, v1, 4, s1
	v_cmp_ne_u32_e64 s[2:3], 0, v0
	v_cmp_eq_u32_e64 s[0:1], 0, v0
	global_load_dwordx4 v[1:4], v[4:5], off
	s_waitcnt vmcnt(0)
	buffer_store_dword v1, off, s[20:23], 0 offset:80 ; 4-byte Folded Spill
	s_nop 0
	buffer_store_dword v2, off, s[20:23], 0 offset:84 ; 4-byte Folded Spill
	buffer_store_dword v3, off, s[20:23], 0 offset:88 ; 4-byte Folded Spill
	;; [unrolled: 1-line block ×4, first 2 shown]
	s_nop 0
	buffer_store_dword v34, off, s[20:23], 0 offset:300 ; 4-byte Folded Spill
	global_load_dwordx4 v[1:4], v[33:34], off
	s_waitcnt vmcnt(0)
	buffer_store_dword v1, off, s[20:23], 0 offset:64 ; 4-byte Folded Spill
	s_nop 0
	buffer_store_dword v2, off, s[20:23], 0 offset:68 ; 4-byte Folded Spill
	buffer_store_dword v3, off, s[20:23], 0 offset:72 ; 4-byte Folded Spill
	;; [unrolled: 1-line block ×3, first 2 shown]
	global_load_dwordx4 v[1:4], v[115:116], off
	s_waitcnt vmcnt(0)
	buffer_store_dword v1, off, s[20:23], 0 offset:48 ; 4-byte Folded Spill
	s_nop 0
	buffer_store_dword v2, off, s[20:23], 0 offset:52 ; 4-byte Folded Spill
	buffer_store_dword v3, off, s[20:23], 0 offset:56 ; 4-byte Folded Spill
	;; [unrolled: 1-line block ×4, first 2 shown]
	s_nop 0
	buffer_store_dword v8, off, s[20:23], 0 offset:100 ; 4-byte Folded Spill
	global_load_dwordx4 v[1:4], v[7:8], off
	s_waitcnt vmcnt(0)
	buffer_store_dword v1, off, s[20:23], 0 offset:32 ; 4-byte Folded Spill
	s_nop 0
	buffer_store_dword v2, off, s[20:23], 0 offset:36 ; 4-byte Folded Spill
	buffer_store_dword v3, off, s[20:23], 0 offset:40 ; 4-byte Folded Spill
	;; [unrolled: 1-line block ×3, first 2 shown]
	global_load_dwordx4 v[1:4], v[95:96], off
	s_waitcnt vmcnt(0)
	buffer_store_dword v1, off, s[20:23], 0 offset:16 ; 4-byte Folded Spill
	s_nop 0
	buffer_store_dword v2, off, s[20:23], 0 offset:20 ; 4-byte Folded Spill
	buffer_store_dword v3, off, s[20:23], 0 offset:24 ; 4-byte Folded Spill
	;; [unrolled: 1-line block ×3, first 2 shown]
	global_load_dwordx4 v[1:4], v[87:88], off
	s_waitcnt vmcnt(0)
	buffer_store_dword v1, off, s[20:23], 0 ; 4-byte Folded Spill
	s_nop 0
	buffer_store_dword v2, off, s[20:23], 0 offset:4 ; 4-byte Folded Spill
	buffer_store_dword v3, off, s[20:23], 0 offset:8 ; 4-byte Folded Spill
	;; [unrolled: 1-line block ×4, first 2 shown]
	s_nop 0
	buffer_store_dword v10, off, s[20:23], 0 offset:108 ; 4-byte Folded Spill
	global_load_dwordx4 v[1:4], v[9:10], off
	global_load_dwordx4 v[77:80], v[81:82], off
	s_nop 0
	buffer_store_dword v11, off, s[20:23], 0 offset:112 ; 4-byte Folded Spill
	s_nop 0
	buffer_store_dword v12, off, s[20:23], 0 offset:116 ; 4-byte Folded Spill
	global_load_dwordx4 v[73:76], v[11:12], off
	s_nop 0
	buffer_store_dword v13, off, s[20:23], 0 offset:120 ; 4-byte Folded Spill
	s_nop 0
	buffer_store_dword v14, off, s[20:23], 0 offset:124 ; 4-byte Folded Spill
	;; [unrolled: 5-line block ×14, first 2 shown]
	s_waitcnt vmcnt(42)
	v_mov_b32_e32 v86, v4
	v_mov_b32_e32 v85, v3
	;; [unrolled: 1-line block ×4, first 2 shown]
	global_load_dwordx4 v[21:24], v[89:90], off
	s_nop 0
	buffer_store_dword v91, off, s[20:23], 0 offset:224 ; 4-byte Folded Spill
	s_nop 0
	buffer_store_dword v92, off, s[20:23], 0 offset:228 ; 4-byte Folded Spill
	global_load_dwordx4 v[17:20], v[91:92], off
	s_nop 0
	buffer_store_dword v93, off, s[20:23], 0 offset:232 ; 4-byte Folded Spill
	s_nop 0
	buffer_store_dword v94, off, s[20:23], 0 offset:236 ; 4-byte Folded Spill
	;; [unrolled: 5-line block ×6, first 2 shown]
	global_load_dwordx4 v[89:92], v[103:104], off
	s_and_saveexec_b64 s[6:7], s[0:1]
	s_cbranch_execz .LBB55_8
; %bb.2:
	buffer_load_dword v97, off, s[20:23], 0 offset:80 ; 4-byte Folded Reload
	buffer_load_dword v98, off, s[20:23], 0 offset:84 ; 4-byte Folded Reload
	;; [unrolled: 1-line block ×4, first 2 shown]
	s_waitcnt vmcnt(0)
	ds_write2_b64 v127, v[97:98], v[99:100] offset1:1
	buffer_load_dword v97, off, s[20:23], 0 offset:64 ; 4-byte Folded Reload
	buffer_load_dword v98, off, s[20:23], 0 offset:68 ; 4-byte Folded Reload
	buffer_load_dword v99, off, s[20:23], 0 offset:72 ; 4-byte Folded Reload
	buffer_load_dword v100, off, s[20:23], 0 offset:76 ; 4-byte Folded Reload
	s_waitcnt vmcnt(0)
	ds_write2_b64 v125, v[97:98], v[99:100] offset0:2 offset1:3
	buffer_load_dword v97, off, s[20:23], 0 offset:48 ; 4-byte Folded Reload
	buffer_load_dword v98, off, s[20:23], 0 offset:52 ; 4-byte Folded Reload
	buffer_load_dword v99, off, s[20:23], 0 offset:56 ; 4-byte Folded Reload
	buffer_load_dword v100, off, s[20:23], 0 offset:60 ; 4-byte Folded Reload
	s_waitcnt vmcnt(0)
	ds_write2_b64 v125, v[97:98], v[99:100] offset0:4 offset1:5
	;; [unrolled: 6-line block ×4, first 2 shown]
	buffer_load_dword v97, off, s[20:23], 0 ; 4-byte Folded Reload
	buffer_load_dword v98, off, s[20:23], 0 offset:4 ; 4-byte Folded Reload
	buffer_load_dword v99, off, s[20:23], 0 offset:8 ; 4-byte Folded Reload
	;; [unrolled: 1-line block ×3, first 2 shown]
	s_waitcnt vmcnt(0)
	ds_write2_b64 v125, v[97:98], v[99:100] offset0:10 offset1:11
	ds_write2_b64 v125, v[83:84], v[85:86] offset0:12 offset1:13
	ds_write2_b64 v125, v[77:78], v[79:80] offset0:14 offset1:15
	ds_write2_b64 v125, v[73:74], v[75:76] offset0:16 offset1:17
	ds_write2_b64 v125, v[69:70], v[71:72] offset0:18 offset1:19
	ds_write2_b64 v125, v[65:66], v[67:68] offset0:20 offset1:21
	ds_write2_b64 v125, v[61:62], v[63:64] offset0:22 offset1:23
	ds_write2_b64 v125, v[57:58], v[59:60] offset0:24 offset1:25
	ds_write2_b64 v125, v[53:54], v[55:56] offset0:26 offset1:27
	ds_write2_b64 v125, v[49:50], v[51:52] offset0:28 offset1:29
	ds_write2_b64 v125, v[45:46], v[47:48] offset0:30 offset1:31
	ds_write2_b64 v125, v[41:42], v[43:44] offset0:32 offset1:33
	ds_write2_b64 v125, v[37:38], v[39:40] offset0:34 offset1:35
	ds_write2_b64 v125, v[33:34], v[35:36] offset0:36 offset1:37
	ds_write2_b64 v125, v[29:30], v[31:32] offset0:38 offset1:39
	ds_write2_b64 v125, v[25:26], v[27:28] offset0:40 offset1:41
	ds_write2_b64 v125, v[21:22], v[23:24] offset0:42 offset1:43
	ds_write2_b64 v125, v[17:18], v[19:20] offset0:44 offset1:45
	ds_write2_b64 v125, v[13:14], v[15:16] offset0:46 offset1:47
	ds_write2_b64 v125, v[9:10], v[11:12] offset0:48 offset1:49
	ds_write2_b64 v125, v[5:6], v[7:8] offset0:50 offset1:51
	ds_write2_b64 v125, v[1:2], v[3:4] offset0:52 offset1:53
	ds_write2_b64 v125, v[89:90], v[91:92] offset0:54 offset1:55
	ds_read2_b64 v[97:100], v127 offset1:1
	s_waitcnt lgkmcnt(0)
	v_cmp_neq_f64_e32 vcc, 0, v[97:98]
	v_cmp_neq_f64_e64 s[4:5], 0, v[99:100]
	s_or_b64 s[4:5], vcc, s[4:5]
	s_and_b64 exec, exec, s[4:5]
	s_cbranch_execz .LBB55_8
; %bb.3:
	v_cmp_ngt_f64_e64 s[4:5], |v[97:98]|, |v[99:100]|
                                        ; implicit-def: $vgpr101_vgpr102
	s_and_saveexec_b64 s[8:9], s[4:5]
	s_xor_b64 s[4:5], exec, s[8:9]
                                        ; implicit-def: $vgpr103_vgpr104
	s_cbranch_execz .LBB55_5
; %bb.4:
	v_div_scale_f64 v[101:102], s[8:9], v[99:100], v[99:100], v[97:98]
	v_rcp_f64_e32 v[103:104], v[101:102]
	v_fma_f64 v[105:106], -v[101:102], v[103:104], 1.0
	v_fma_f64 v[103:104], v[103:104], v[105:106], v[103:104]
	v_div_scale_f64 v[105:106], vcc, v[97:98], v[99:100], v[97:98]
	v_fma_f64 v[107:108], -v[101:102], v[103:104], 1.0
	v_fma_f64 v[103:104], v[103:104], v[107:108], v[103:104]
	v_mul_f64 v[107:108], v[105:106], v[103:104]
	v_fma_f64 v[101:102], -v[101:102], v[107:108], v[105:106]
	v_div_fmas_f64 v[101:102], v[101:102], v[103:104], v[107:108]
	v_div_fixup_f64 v[101:102], v[101:102], v[99:100], v[97:98]
	v_fma_f64 v[97:98], v[97:98], v[101:102], v[99:100]
	v_div_scale_f64 v[99:100], s[8:9], v[97:98], v[97:98], 1.0
	v_div_scale_f64 v[107:108], vcc, 1.0, v[97:98], 1.0
	v_rcp_f64_e32 v[103:104], v[99:100]
	v_fma_f64 v[105:106], -v[99:100], v[103:104], 1.0
	v_fma_f64 v[103:104], v[103:104], v[105:106], v[103:104]
	v_fma_f64 v[105:106], -v[99:100], v[103:104], 1.0
	v_fma_f64 v[103:104], v[103:104], v[105:106], v[103:104]
	v_mul_f64 v[105:106], v[107:108], v[103:104]
	v_fma_f64 v[99:100], -v[99:100], v[105:106], v[107:108]
	v_div_fmas_f64 v[99:100], v[99:100], v[103:104], v[105:106]
	v_div_fixup_f64 v[103:104], v[99:100], v[97:98], 1.0
                                        ; implicit-def: $vgpr97_vgpr98
	v_mul_f64 v[101:102], v[101:102], v[103:104]
	v_xor_b32_e32 v104, 0x80000000, v104
.LBB55_5:
	s_andn2_saveexec_b64 s[4:5], s[4:5]
	s_cbranch_execz .LBB55_7
; %bb.6:
	v_div_scale_f64 v[101:102], s[8:9], v[97:98], v[97:98], v[99:100]
	v_rcp_f64_e32 v[103:104], v[101:102]
	v_fma_f64 v[105:106], -v[101:102], v[103:104], 1.0
	v_fma_f64 v[103:104], v[103:104], v[105:106], v[103:104]
	v_div_scale_f64 v[105:106], vcc, v[99:100], v[97:98], v[99:100]
	v_fma_f64 v[107:108], -v[101:102], v[103:104], 1.0
	v_fma_f64 v[103:104], v[103:104], v[107:108], v[103:104]
	v_mul_f64 v[107:108], v[105:106], v[103:104]
	v_fma_f64 v[101:102], -v[101:102], v[107:108], v[105:106]
	v_div_fmas_f64 v[101:102], v[101:102], v[103:104], v[107:108]
	v_div_fixup_f64 v[103:104], v[101:102], v[97:98], v[99:100]
	v_fma_f64 v[97:98], v[99:100], v[103:104], v[97:98]
	v_div_scale_f64 v[99:100], s[8:9], v[97:98], v[97:98], 1.0
	v_div_scale_f64 v[107:108], vcc, 1.0, v[97:98], 1.0
	v_rcp_f64_e32 v[101:102], v[99:100]
	v_fma_f64 v[105:106], -v[99:100], v[101:102], 1.0
	v_fma_f64 v[101:102], v[101:102], v[105:106], v[101:102]
	v_fma_f64 v[105:106], -v[99:100], v[101:102], 1.0
	v_fma_f64 v[101:102], v[101:102], v[105:106], v[101:102]
	v_mul_f64 v[105:106], v[107:108], v[101:102]
	v_fma_f64 v[99:100], -v[99:100], v[105:106], v[107:108]
	v_div_fmas_f64 v[99:100], v[99:100], v[101:102], v[105:106]
	v_div_fixup_f64 v[101:102], v[99:100], v[97:98], 1.0
	v_mul_f64 v[103:104], v[103:104], -v[101:102]
.LBB55_7:
	s_or_b64 exec, exec, s[4:5]
	ds_write2_b64 v127, v[101:102], v[103:104] offset1:1
.LBB55_8:
	s_or_b64 exec, exec, s[6:7]
	s_waitcnt vmcnt(0) lgkmcnt(0)
	s_barrier
	ds_read2_b64 v[97:100], v127 offset1:1
	s_waitcnt lgkmcnt(0)
	buffer_store_dword v97, off, s[20:23], 0 offset:304 ; 4-byte Folded Spill
	s_nop 0
	buffer_store_dword v98, off, s[20:23], 0 offset:308 ; 4-byte Folded Spill
	buffer_store_dword v99, off, s[20:23], 0 offset:312 ; 4-byte Folded Spill
	;; [unrolled: 1-line block ×3, first 2 shown]
	s_and_saveexec_b64 s[4:5], s[2:3]
	s_cbranch_execz .LBB55_10
; %bb.9:
	buffer_load_dword v107, off, s[20:23], 0 offset:80 ; 4-byte Folded Reload
	buffer_load_dword v108, off, s[20:23], 0 offset:84 ; 4-byte Folded Reload
	;; [unrolled: 1-line block ×8, first 2 shown]
	s_waitcnt vmcnt(0)
	v_mul_f64 v[97:98], v[101:102], v[109:110]
	v_fma_f64 v[97:98], v[99:100], v[107:108], -v[97:98]
	v_mul_f64 v[99:100], v[99:100], v[109:110]
	v_fma_f64 v[109:110], v[101:102], v[107:108], v[99:100]
	ds_read2_b64 v[99:102], v125 offset0:2 offset1:3
	buffer_load_dword v105, off, s[20:23], 0 offset:64 ; 4-byte Folded Reload
	buffer_load_dword v106, off, s[20:23], 0 offset:68 ; 4-byte Folded Reload
	buffer_load_dword v107, off, s[20:23], 0 offset:72 ; 4-byte Folded Reload
	buffer_load_dword v108, off, s[20:23], 0 offset:76 ; 4-byte Folded Reload
	s_waitcnt lgkmcnt(0)
	v_mul_f64 v[103:104], v[101:102], v[109:110]
	v_fma_f64 v[103:104], v[99:100], v[97:98], -v[103:104]
	v_mul_f64 v[99:100], v[99:100], v[109:110]
	v_fma_f64 v[99:100], v[101:102], v[97:98], v[99:100]
	s_waitcnt vmcnt(2)
	v_add_f64 v[105:106], v[105:106], -v[103:104]
	s_waitcnt vmcnt(0)
	v_add_f64 v[107:108], v[107:108], -v[99:100]
	buffer_store_dword v105, off, s[20:23], 0 offset:64 ; 4-byte Folded Spill
	s_nop 0
	buffer_store_dword v106, off, s[20:23], 0 offset:68 ; 4-byte Folded Spill
	buffer_store_dword v107, off, s[20:23], 0 offset:72 ; 4-byte Folded Spill
	buffer_store_dword v108, off, s[20:23], 0 offset:76 ; 4-byte Folded Spill
	ds_read2_b64 v[99:102], v125 offset0:4 offset1:5
	buffer_load_dword v105, off, s[20:23], 0 offset:48 ; 4-byte Folded Reload
	buffer_load_dword v106, off, s[20:23], 0 offset:52 ; 4-byte Folded Reload
	buffer_load_dword v107, off, s[20:23], 0 offset:56 ; 4-byte Folded Reload
	buffer_load_dword v108, off, s[20:23], 0 offset:60 ; 4-byte Folded Reload
	s_waitcnt lgkmcnt(0)
	v_mul_f64 v[103:104], v[101:102], v[109:110]
	v_fma_f64 v[103:104], v[99:100], v[97:98], -v[103:104]
	v_mul_f64 v[99:100], v[99:100], v[109:110]
	v_fma_f64 v[99:100], v[101:102], v[97:98], v[99:100]
	s_waitcnt vmcnt(2)
	v_add_f64 v[105:106], v[105:106], -v[103:104]
	s_waitcnt vmcnt(0)
	v_add_f64 v[107:108], v[107:108], -v[99:100]
	buffer_store_dword v105, off, s[20:23], 0 offset:48 ; 4-byte Folded Spill
	s_nop 0
	buffer_store_dword v106, off, s[20:23], 0 offset:52 ; 4-byte Folded Spill
	buffer_store_dword v107, off, s[20:23], 0 offset:56 ; 4-byte Folded Spill
	buffer_store_dword v108, off, s[20:23], 0 offset:60 ; 4-byte Folded Spill
	;; [unrolled: 19-line block ×4, first 2 shown]
	ds_read2_b64 v[99:102], v125 offset0:10 offset1:11
	buffer_load_dword v105, off, s[20:23], 0 ; 4-byte Folded Reload
	buffer_load_dword v106, off, s[20:23], 0 offset:4 ; 4-byte Folded Reload
	buffer_load_dword v107, off, s[20:23], 0 offset:8 ; 4-byte Folded Reload
	;; [unrolled: 1-line block ×3, first 2 shown]
	s_waitcnt lgkmcnt(0)
	v_mul_f64 v[103:104], v[101:102], v[109:110]
	v_fma_f64 v[103:104], v[99:100], v[97:98], -v[103:104]
	v_mul_f64 v[99:100], v[99:100], v[109:110]
	v_fma_f64 v[99:100], v[101:102], v[97:98], v[99:100]
	s_waitcnt vmcnt(2)
	v_add_f64 v[105:106], v[105:106], -v[103:104]
	s_waitcnt vmcnt(0)
	v_add_f64 v[107:108], v[107:108], -v[99:100]
	buffer_store_dword v105, off, s[20:23], 0 ; 4-byte Folded Spill
	s_nop 0
	buffer_store_dword v106, off, s[20:23], 0 offset:4 ; 4-byte Folded Spill
	buffer_store_dword v107, off, s[20:23], 0 offset:8 ; 4-byte Folded Spill
	buffer_store_dword v108, off, s[20:23], 0 offset:12 ; 4-byte Folded Spill
	ds_read2_b64 v[99:102], v125 offset0:12 offset1:13
	v_mov_b32_e32 v108, v98
	v_mov_b32_e32 v107, v97
	s_waitcnt lgkmcnt(0)
	v_mul_f64 v[103:104], v[101:102], v[109:110]
	v_fma_f64 v[103:104], v[99:100], v[97:98], -v[103:104]
	v_mul_f64 v[99:100], v[99:100], v[109:110]
	v_add_f64 v[83:84], v[83:84], -v[103:104]
	v_fma_f64 v[99:100], v[101:102], v[97:98], v[99:100]
	v_add_f64 v[85:86], v[85:86], -v[99:100]
	ds_read2_b64 v[99:102], v125 offset0:14 offset1:15
	s_waitcnt lgkmcnt(0)
	v_mul_f64 v[103:104], v[101:102], v[109:110]
	v_fma_f64 v[103:104], v[99:100], v[97:98], -v[103:104]
	v_mul_f64 v[99:100], v[99:100], v[109:110]
	v_add_f64 v[77:78], v[77:78], -v[103:104]
	v_fma_f64 v[99:100], v[101:102], v[97:98], v[99:100]
	v_add_f64 v[79:80], v[79:80], -v[99:100]
	ds_read2_b64 v[99:102], v125 offset0:16 offset1:17
	;; [unrolled: 8-line block ×21, first 2 shown]
	s_waitcnt lgkmcnt(0)
	v_mul_f64 v[103:104], v[101:102], v[109:110]
	v_fma_f64 v[103:104], v[99:100], v[97:98], -v[103:104]
	v_mul_f64 v[99:100], v[99:100], v[109:110]
	buffer_store_dword v107, off, s[20:23], 0 offset:80 ; 4-byte Folded Spill
	s_nop 0
	buffer_store_dword v108, off, s[20:23], 0 offset:84 ; 4-byte Folded Spill
	buffer_store_dword v109, off, s[20:23], 0 offset:88 ; 4-byte Folded Spill
	;; [unrolled: 1-line block ×3, first 2 shown]
	v_add_f64 v[89:90], v[89:90], -v[103:104]
	v_fma_f64 v[99:100], v[101:102], v[97:98], v[99:100]
	v_add_f64 v[91:92], v[91:92], -v[99:100]
.LBB55_10:
	s_or_b64 exec, exec, s[4:5]
	v_cmp_eq_u32_e32 vcc, 1, v0
	s_waitcnt vmcnt(0)
	s_barrier
	s_and_saveexec_b64 s[4:5], vcc
	s_cbranch_execz .LBB55_17
; %bb.11:
	buffer_load_dword v97, off, s[20:23], 0 offset:64 ; 4-byte Folded Reload
	buffer_load_dword v98, off, s[20:23], 0 offset:68 ; 4-byte Folded Reload
	;; [unrolled: 1-line block ×4, first 2 shown]
	s_waitcnt vmcnt(0)
	ds_write2_b64 v127, v[97:98], v[99:100] offset1:1
	buffer_load_dword v97, off, s[20:23], 0 offset:48 ; 4-byte Folded Reload
	buffer_load_dword v98, off, s[20:23], 0 offset:52 ; 4-byte Folded Reload
	buffer_load_dword v99, off, s[20:23], 0 offset:56 ; 4-byte Folded Reload
	buffer_load_dword v100, off, s[20:23], 0 offset:60 ; 4-byte Folded Reload
	s_waitcnt vmcnt(0)
	ds_write2_b64 v125, v[97:98], v[99:100] offset0:4 offset1:5
	buffer_load_dword v97, off, s[20:23], 0 offset:32 ; 4-byte Folded Reload
	buffer_load_dword v98, off, s[20:23], 0 offset:36 ; 4-byte Folded Reload
	buffer_load_dword v99, off, s[20:23], 0 offset:40 ; 4-byte Folded Reload
	buffer_load_dword v100, off, s[20:23], 0 offset:44 ; 4-byte Folded Reload
	s_waitcnt vmcnt(0)
	ds_write2_b64 v125, v[97:98], v[99:100] offset0:6 offset1:7
	;; [unrolled: 6-line block ×3, first 2 shown]
	buffer_load_dword v97, off, s[20:23], 0 ; 4-byte Folded Reload
	buffer_load_dword v98, off, s[20:23], 0 offset:4 ; 4-byte Folded Reload
	buffer_load_dword v99, off, s[20:23], 0 offset:8 ; 4-byte Folded Reload
	;; [unrolled: 1-line block ×3, first 2 shown]
	s_waitcnt vmcnt(0)
	ds_write2_b64 v125, v[97:98], v[99:100] offset0:10 offset1:11
	ds_write2_b64 v125, v[83:84], v[85:86] offset0:12 offset1:13
	;; [unrolled: 1-line block ×23, first 2 shown]
	ds_read2_b64 v[97:100], v127 offset1:1
	s_waitcnt lgkmcnt(0)
	v_cmp_neq_f64_e32 vcc, 0, v[97:98]
	v_cmp_neq_f64_e64 s[2:3], 0, v[99:100]
	s_or_b64 s[2:3], vcc, s[2:3]
	s_and_b64 exec, exec, s[2:3]
	s_cbranch_execz .LBB55_17
; %bb.12:
	v_cmp_ngt_f64_e64 s[2:3], |v[97:98]|, |v[99:100]|
                                        ; implicit-def: $vgpr101_vgpr102
	s_and_saveexec_b64 s[6:7], s[2:3]
	s_xor_b64 s[2:3], exec, s[6:7]
                                        ; implicit-def: $vgpr103_vgpr104
	s_cbranch_execz .LBB55_14
; %bb.13:
	v_div_scale_f64 v[101:102], s[6:7], v[99:100], v[99:100], v[97:98]
	v_rcp_f64_e32 v[103:104], v[101:102]
	v_fma_f64 v[105:106], -v[101:102], v[103:104], 1.0
	v_fma_f64 v[103:104], v[103:104], v[105:106], v[103:104]
	v_div_scale_f64 v[105:106], vcc, v[97:98], v[99:100], v[97:98]
	v_fma_f64 v[107:108], -v[101:102], v[103:104], 1.0
	v_fma_f64 v[103:104], v[103:104], v[107:108], v[103:104]
	v_mul_f64 v[107:108], v[105:106], v[103:104]
	v_fma_f64 v[101:102], -v[101:102], v[107:108], v[105:106]
	v_div_fmas_f64 v[101:102], v[101:102], v[103:104], v[107:108]
	v_div_fixup_f64 v[101:102], v[101:102], v[99:100], v[97:98]
	v_fma_f64 v[97:98], v[97:98], v[101:102], v[99:100]
	v_div_scale_f64 v[99:100], s[6:7], v[97:98], v[97:98], 1.0
	v_div_scale_f64 v[107:108], vcc, 1.0, v[97:98], 1.0
	v_rcp_f64_e32 v[103:104], v[99:100]
	v_fma_f64 v[105:106], -v[99:100], v[103:104], 1.0
	v_fma_f64 v[103:104], v[103:104], v[105:106], v[103:104]
	v_fma_f64 v[105:106], -v[99:100], v[103:104], 1.0
	v_fma_f64 v[103:104], v[103:104], v[105:106], v[103:104]
	v_mul_f64 v[105:106], v[107:108], v[103:104]
	v_fma_f64 v[99:100], -v[99:100], v[105:106], v[107:108]
	v_div_fmas_f64 v[99:100], v[99:100], v[103:104], v[105:106]
	v_div_fixup_f64 v[103:104], v[99:100], v[97:98], 1.0
                                        ; implicit-def: $vgpr97_vgpr98
	v_mul_f64 v[101:102], v[101:102], v[103:104]
	v_xor_b32_e32 v104, 0x80000000, v104
.LBB55_14:
	s_andn2_saveexec_b64 s[2:3], s[2:3]
	s_cbranch_execz .LBB55_16
; %bb.15:
	v_div_scale_f64 v[101:102], s[6:7], v[97:98], v[97:98], v[99:100]
	v_rcp_f64_e32 v[103:104], v[101:102]
	v_fma_f64 v[105:106], -v[101:102], v[103:104], 1.0
	v_fma_f64 v[103:104], v[103:104], v[105:106], v[103:104]
	v_div_scale_f64 v[105:106], vcc, v[99:100], v[97:98], v[99:100]
	v_fma_f64 v[107:108], -v[101:102], v[103:104], 1.0
	v_fma_f64 v[103:104], v[103:104], v[107:108], v[103:104]
	v_mul_f64 v[107:108], v[105:106], v[103:104]
	v_fma_f64 v[101:102], -v[101:102], v[107:108], v[105:106]
	v_div_fmas_f64 v[101:102], v[101:102], v[103:104], v[107:108]
	v_div_fixup_f64 v[103:104], v[101:102], v[97:98], v[99:100]
	v_fma_f64 v[97:98], v[99:100], v[103:104], v[97:98]
	v_div_scale_f64 v[99:100], s[6:7], v[97:98], v[97:98], 1.0
	v_div_scale_f64 v[107:108], vcc, 1.0, v[97:98], 1.0
	v_rcp_f64_e32 v[101:102], v[99:100]
	v_fma_f64 v[105:106], -v[99:100], v[101:102], 1.0
	v_fma_f64 v[101:102], v[101:102], v[105:106], v[101:102]
	v_fma_f64 v[105:106], -v[99:100], v[101:102], 1.0
	v_fma_f64 v[101:102], v[101:102], v[105:106], v[101:102]
	v_mul_f64 v[105:106], v[107:108], v[101:102]
	v_fma_f64 v[99:100], -v[99:100], v[105:106], v[107:108]
	v_div_fmas_f64 v[99:100], v[99:100], v[101:102], v[105:106]
	v_div_fixup_f64 v[101:102], v[99:100], v[97:98], 1.0
	v_mul_f64 v[103:104], v[103:104], -v[101:102]
.LBB55_16:
	s_or_b64 exec, exec, s[2:3]
	ds_write2_b64 v127, v[101:102], v[103:104] offset1:1
.LBB55_17:
	s_or_b64 exec, exec, s[4:5]
	s_waitcnt lgkmcnt(0)
	s_barrier
	ds_read2_b64 v[97:100], v127 offset1:1
	v_cmp_lt_u32_e32 vcc, 1, v0
	s_waitcnt lgkmcnt(0)
	buffer_store_dword v97, off, s[20:23], 0 offset:320 ; 4-byte Folded Spill
	s_nop 0
	buffer_store_dword v98, off, s[20:23], 0 offset:324 ; 4-byte Folded Spill
	buffer_store_dword v99, off, s[20:23], 0 offset:328 ; 4-byte Folded Spill
	;; [unrolled: 1-line block ×3, first 2 shown]
	s_and_saveexec_b64 s[2:3], vcc
	s_cbranch_execz .LBB55_19
; %bb.18:
	buffer_load_dword v107, off, s[20:23], 0 offset:64 ; 4-byte Folded Reload
	buffer_load_dword v108, off, s[20:23], 0 offset:68 ; 4-byte Folded Reload
	;; [unrolled: 1-line block ×8, first 2 shown]
	s_waitcnt vmcnt(0)
	v_mul_f64 v[97:98], v[101:102], v[109:110]
	v_fma_f64 v[97:98], v[99:100], v[107:108], -v[97:98]
	v_mul_f64 v[99:100], v[99:100], v[109:110]
	v_fma_f64 v[109:110], v[101:102], v[107:108], v[99:100]
	ds_read2_b64 v[99:102], v125 offset0:4 offset1:5
	buffer_load_dword v105, off, s[20:23], 0 offset:48 ; 4-byte Folded Reload
	buffer_load_dword v106, off, s[20:23], 0 offset:52 ; 4-byte Folded Reload
	buffer_load_dword v107, off, s[20:23], 0 offset:56 ; 4-byte Folded Reload
	buffer_load_dword v108, off, s[20:23], 0 offset:60 ; 4-byte Folded Reload
	s_waitcnt lgkmcnt(0)
	v_mul_f64 v[103:104], v[101:102], v[109:110]
	v_fma_f64 v[103:104], v[99:100], v[97:98], -v[103:104]
	v_mul_f64 v[99:100], v[99:100], v[109:110]
	v_fma_f64 v[99:100], v[101:102], v[97:98], v[99:100]
	s_waitcnt vmcnt(2)
	v_add_f64 v[105:106], v[105:106], -v[103:104]
	s_waitcnt vmcnt(0)
	v_add_f64 v[107:108], v[107:108], -v[99:100]
	buffer_store_dword v105, off, s[20:23], 0 offset:48 ; 4-byte Folded Spill
	s_nop 0
	buffer_store_dword v106, off, s[20:23], 0 offset:52 ; 4-byte Folded Spill
	buffer_store_dword v107, off, s[20:23], 0 offset:56 ; 4-byte Folded Spill
	buffer_store_dword v108, off, s[20:23], 0 offset:60 ; 4-byte Folded Spill
	ds_read2_b64 v[99:102], v125 offset0:6 offset1:7
	buffer_load_dword v105, off, s[20:23], 0 offset:32 ; 4-byte Folded Reload
	buffer_load_dword v106, off, s[20:23], 0 offset:36 ; 4-byte Folded Reload
	buffer_load_dword v107, off, s[20:23], 0 offset:40 ; 4-byte Folded Reload
	buffer_load_dword v108, off, s[20:23], 0 offset:44 ; 4-byte Folded Reload
	s_waitcnt lgkmcnt(0)
	v_mul_f64 v[103:104], v[101:102], v[109:110]
	v_fma_f64 v[103:104], v[99:100], v[97:98], -v[103:104]
	v_mul_f64 v[99:100], v[99:100], v[109:110]
	v_fma_f64 v[99:100], v[101:102], v[97:98], v[99:100]
	s_waitcnt vmcnt(2)
	v_add_f64 v[105:106], v[105:106], -v[103:104]
	s_waitcnt vmcnt(0)
	v_add_f64 v[107:108], v[107:108], -v[99:100]
	buffer_store_dword v105, off, s[20:23], 0 offset:32 ; 4-byte Folded Spill
	s_nop 0
	buffer_store_dword v106, off, s[20:23], 0 offset:36 ; 4-byte Folded Spill
	buffer_store_dword v107, off, s[20:23], 0 offset:40 ; 4-byte Folded Spill
	buffer_store_dword v108, off, s[20:23], 0 offset:44 ; 4-byte Folded Spill
	;; [unrolled: 19-line block ×3, first 2 shown]
	ds_read2_b64 v[99:102], v125 offset0:10 offset1:11
	buffer_load_dword v105, off, s[20:23], 0 ; 4-byte Folded Reload
	buffer_load_dword v106, off, s[20:23], 0 offset:4 ; 4-byte Folded Reload
	buffer_load_dword v107, off, s[20:23], 0 offset:8 ; 4-byte Folded Reload
	;; [unrolled: 1-line block ×3, first 2 shown]
	s_waitcnt lgkmcnt(0)
	v_mul_f64 v[103:104], v[101:102], v[109:110]
	v_fma_f64 v[103:104], v[99:100], v[97:98], -v[103:104]
	v_mul_f64 v[99:100], v[99:100], v[109:110]
	v_fma_f64 v[99:100], v[101:102], v[97:98], v[99:100]
	s_waitcnt vmcnt(2)
	v_add_f64 v[105:106], v[105:106], -v[103:104]
	s_waitcnt vmcnt(0)
	v_add_f64 v[107:108], v[107:108], -v[99:100]
	buffer_store_dword v105, off, s[20:23], 0 ; 4-byte Folded Spill
	s_nop 0
	buffer_store_dword v106, off, s[20:23], 0 offset:4 ; 4-byte Folded Spill
	buffer_store_dword v107, off, s[20:23], 0 offset:8 ; 4-byte Folded Spill
	buffer_store_dword v108, off, s[20:23], 0 offset:12 ; 4-byte Folded Spill
	ds_read2_b64 v[99:102], v125 offset0:12 offset1:13
	v_mov_b32_e32 v108, v98
	v_mov_b32_e32 v107, v97
	s_waitcnt lgkmcnt(0)
	v_mul_f64 v[103:104], v[101:102], v[109:110]
	v_fma_f64 v[103:104], v[99:100], v[97:98], -v[103:104]
	v_mul_f64 v[99:100], v[99:100], v[109:110]
	v_add_f64 v[83:84], v[83:84], -v[103:104]
	v_fma_f64 v[99:100], v[101:102], v[97:98], v[99:100]
	v_add_f64 v[85:86], v[85:86], -v[99:100]
	ds_read2_b64 v[99:102], v125 offset0:14 offset1:15
	s_waitcnt lgkmcnt(0)
	v_mul_f64 v[103:104], v[101:102], v[109:110]
	v_fma_f64 v[103:104], v[99:100], v[97:98], -v[103:104]
	v_mul_f64 v[99:100], v[99:100], v[109:110]
	v_add_f64 v[77:78], v[77:78], -v[103:104]
	v_fma_f64 v[99:100], v[101:102], v[97:98], v[99:100]
	v_add_f64 v[79:80], v[79:80], -v[99:100]
	ds_read2_b64 v[99:102], v125 offset0:16 offset1:17
	;; [unrolled: 8-line block ×21, first 2 shown]
	s_waitcnt lgkmcnt(0)
	v_mul_f64 v[103:104], v[101:102], v[109:110]
	v_fma_f64 v[103:104], v[99:100], v[97:98], -v[103:104]
	v_mul_f64 v[99:100], v[99:100], v[109:110]
	buffer_store_dword v107, off, s[20:23], 0 offset:64 ; 4-byte Folded Spill
	s_nop 0
	buffer_store_dword v108, off, s[20:23], 0 offset:68 ; 4-byte Folded Spill
	buffer_store_dword v109, off, s[20:23], 0 offset:72 ; 4-byte Folded Spill
	;; [unrolled: 1-line block ×3, first 2 shown]
	v_add_f64 v[89:90], v[89:90], -v[103:104]
	v_fma_f64 v[99:100], v[101:102], v[97:98], v[99:100]
	v_add_f64 v[91:92], v[91:92], -v[99:100]
.LBB55_19:
	s_or_b64 exec, exec, s[2:3]
	v_cmp_eq_u32_e32 vcc, 2, v0
	s_waitcnt vmcnt(0)
	s_barrier
	s_and_saveexec_b64 s[4:5], vcc
	s_cbranch_execz .LBB55_26
; %bb.20:
	buffer_load_dword v97, off, s[20:23], 0 offset:48 ; 4-byte Folded Reload
	buffer_load_dword v98, off, s[20:23], 0 offset:52 ; 4-byte Folded Reload
	;; [unrolled: 1-line block ×4, first 2 shown]
	s_waitcnt vmcnt(0)
	ds_write2_b64 v127, v[97:98], v[99:100] offset1:1
	buffer_load_dword v97, off, s[20:23], 0 offset:32 ; 4-byte Folded Reload
	buffer_load_dword v98, off, s[20:23], 0 offset:36 ; 4-byte Folded Reload
	buffer_load_dword v99, off, s[20:23], 0 offset:40 ; 4-byte Folded Reload
	buffer_load_dword v100, off, s[20:23], 0 offset:44 ; 4-byte Folded Reload
	s_waitcnt vmcnt(0)
	ds_write2_b64 v125, v[97:98], v[99:100] offset0:6 offset1:7
	buffer_load_dword v97, off, s[20:23], 0 offset:16 ; 4-byte Folded Reload
	buffer_load_dword v98, off, s[20:23], 0 offset:20 ; 4-byte Folded Reload
	;; [unrolled: 1-line block ×4, first 2 shown]
	s_waitcnt vmcnt(0)
	ds_write2_b64 v125, v[97:98], v[99:100] offset0:8 offset1:9
	buffer_load_dword v97, off, s[20:23], 0 ; 4-byte Folded Reload
	buffer_load_dword v98, off, s[20:23], 0 offset:4 ; 4-byte Folded Reload
	buffer_load_dword v99, off, s[20:23], 0 offset:8 ; 4-byte Folded Reload
	;; [unrolled: 1-line block ×3, first 2 shown]
	s_waitcnt vmcnt(0)
	ds_write2_b64 v125, v[97:98], v[99:100] offset0:10 offset1:11
	ds_write2_b64 v125, v[83:84], v[85:86] offset0:12 offset1:13
	;; [unrolled: 1-line block ×23, first 2 shown]
	ds_read2_b64 v[97:100], v127 offset1:1
	s_waitcnt lgkmcnt(0)
	v_cmp_neq_f64_e32 vcc, 0, v[97:98]
	v_cmp_neq_f64_e64 s[2:3], 0, v[99:100]
	s_or_b64 s[2:3], vcc, s[2:3]
	s_and_b64 exec, exec, s[2:3]
	s_cbranch_execz .LBB55_26
; %bb.21:
	v_cmp_ngt_f64_e64 s[2:3], |v[97:98]|, |v[99:100]|
                                        ; implicit-def: $vgpr101_vgpr102
	s_and_saveexec_b64 s[6:7], s[2:3]
	s_xor_b64 s[2:3], exec, s[6:7]
                                        ; implicit-def: $vgpr103_vgpr104
	s_cbranch_execz .LBB55_23
; %bb.22:
	v_div_scale_f64 v[101:102], s[6:7], v[99:100], v[99:100], v[97:98]
	v_rcp_f64_e32 v[103:104], v[101:102]
	v_fma_f64 v[105:106], -v[101:102], v[103:104], 1.0
	v_fma_f64 v[103:104], v[103:104], v[105:106], v[103:104]
	v_div_scale_f64 v[105:106], vcc, v[97:98], v[99:100], v[97:98]
	v_fma_f64 v[107:108], -v[101:102], v[103:104], 1.0
	v_fma_f64 v[103:104], v[103:104], v[107:108], v[103:104]
	v_mul_f64 v[107:108], v[105:106], v[103:104]
	v_fma_f64 v[101:102], -v[101:102], v[107:108], v[105:106]
	v_div_fmas_f64 v[101:102], v[101:102], v[103:104], v[107:108]
	v_div_fixup_f64 v[101:102], v[101:102], v[99:100], v[97:98]
	v_fma_f64 v[97:98], v[97:98], v[101:102], v[99:100]
	v_div_scale_f64 v[99:100], s[6:7], v[97:98], v[97:98], 1.0
	v_div_scale_f64 v[107:108], vcc, 1.0, v[97:98], 1.0
	v_rcp_f64_e32 v[103:104], v[99:100]
	v_fma_f64 v[105:106], -v[99:100], v[103:104], 1.0
	v_fma_f64 v[103:104], v[103:104], v[105:106], v[103:104]
	v_fma_f64 v[105:106], -v[99:100], v[103:104], 1.0
	v_fma_f64 v[103:104], v[103:104], v[105:106], v[103:104]
	v_mul_f64 v[105:106], v[107:108], v[103:104]
	v_fma_f64 v[99:100], -v[99:100], v[105:106], v[107:108]
	v_div_fmas_f64 v[99:100], v[99:100], v[103:104], v[105:106]
	v_div_fixup_f64 v[103:104], v[99:100], v[97:98], 1.0
                                        ; implicit-def: $vgpr97_vgpr98
	v_mul_f64 v[101:102], v[101:102], v[103:104]
	v_xor_b32_e32 v104, 0x80000000, v104
.LBB55_23:
	s_andn2_saveexec_b64 s[2:3], s[2:3]
	s_cbranch_execz .LBB55_25
; %bb.24:
	v_div_scale_f64 v[101:102], s[6:7], v[97:98], v[97:98], v[99:100]
	v_rcp_f64_e32 v[103:104], v[101:102]
	v_fma_f64 v[105:106], -v[101:102], v[103:104], 1.0
	v_fma_f64 v[103:104], v[103:104], v[105:106], v[103:104]
	v_div_scale_f64 v[105:106], vcc, v[99:100], v[97:98], v[99:100]
	v_fma_f64 v[107:108], -v[101:102], v[103:104], 1.0
	v_fma_f64 v[103:104], v[103:104], v[107:108], v[103:104]
	v_mul_f64 v[107:108], v[105:106], v[103:104]
	v_fma_f64 v[101:102], -v[101:102], v[107:108], v[105:106]
	v_div_fmas_f64 v[101:102], v[101:102], v[103:104], v[107:108]
	v_div_fixup_f64 v[103:104], v[101:102], v[97:98], v[99:100]
	v_fma_f64 v[97:98], v[99:100], v[103:104], v[97:98]
	v_div_scale_f64 v[99:100], s[6:7], v[97:98], v[97:98], 1.0
	v_div_scale_f64 v[107:108], vcc, 1.0, v[97:98], 1.0
	v_rcp_f64_e32 v[101:102], v[99:100]
	v_fma_f64 v[105:106], -v[99:100], v[101:102], 1.0
	v_fma_f64 v[101:102], v[101:102], v[105:106], v[101:102]
	v_fma_f64 v[105:106], -v[99:100], v[101:102], 1.0
	v_fma_f64 v[101:102], v[101:102], v[105:106], v[101:102]
	v_mul_f64 v[105:106], v[107:108], v[101:102]
	v_fma_f64 v[99:100], -v[99:100], v[105:106], v[107:108]
	v_div_fmas_f64 v[99:100], v[99:100], v[101:102], v[105:106]
	v_div_fixup_f64 v[101:102], v[99:100], v[97:98], 1.0
	v_mul_f64 v[103:104], v[103:104], -v[101:102]
.LBB55_25:
	s_or_b64 exec, exec, s[2:3]
	ds_write2_b64 v127, v[101:102], v[103:104] offset1:1
.LBB55_26:
	s_or_b64 exec, exec, s[4:5]
	s_waitcnt lgkmcnt(0)
	s_barrier
	ds_read2_b64 v[97:100], v127 offset1:1
	v_cmp_lt_u32_e32 vcc, 2, v0
	s_waitcnt lgkmcnt(0)
	buffer_store_dword v97, off, s[20:23], 0 offset:336 ; 4-byte Folded Spill
	s_nop 0
	buffer_store_dword v98, off, s[20:23], 0 offset:340 ; 4-byte Folded Spill
	buffer_store_dword v99, off, s[20:23], 0 offset:344 ; 4-byte Folded Spill
	;; [unrolled: 1-line block ×3, first 2 shown]
	s_and_saveexec_b64 s[2:3], vcc
	s_cbranch_execz .LBB55_28
; %bb.27:
	buffer_load_dword v107, off, s[20:23], 0 offset:48 ; 4-byte Folded Reload
	buffer_load_dword v108, off, s[20:23], 0 offset:52 ; 4-byte Folded Reload
	;; [unrolled: 1-line block ×8, first 2 shown]
	s_waitcnt vmcnt(0)
	v_mul_f64 v[97:98], v[101:102], v[109:110]
	v_fma_f64 v[97:98], v[99:100], v[107:108], -v[97:98]
	v_mul_f64 v[99:100], v[99:100], v[109:110]
	v_fma_f64 v[109:110], v[101:102], v[107:108], v[99:100]
	ds_read2_b64 v[99:102], v125 offset0:6 offset1:7
	buffer_load_dword v105, off, s[20:23], 0 offset:32 ; 4-byte Folded Reload
	buffer_load_dword v106, off, s[20:23], 0 offset:36 ; 4-byte Folded Reload
	;; [unrolled: 1-line block ×4, first 2 shown]
	s_waitcnt lgkmcnt(0)
	v_mul_f64 v[103:104], v[101:102], v[109:110]
	v_fma_f64 v[103:104], v[99:100], v[97:98], -v[103:104]
	v_mul_f64 v[99:100], v[99:100], v[109:110]
	v_fma_f64 v[99:100], v[101:102], v[97:98], v[99:100]
	s_waitcnt vmcnt(2)
	v_add_f64 v[105:106], v[105:106], -v[103:104]
	s_waitcnt vmcnt(0)
	v_add_f64 v[107:108], v[107:108], -v[99:100]
	buffer_store_dword v105, off, s[20:23], 0 offset:32 ; 4-byte Folded Spill
	s_nop 0
	buffer_store_dword v106, off, s[20:23], 0 offset:36 ; 4-byte Folded Spill
	buffer_store_dword v107, off, s[20:23], 0 offset:40 ; 4-byte Folded Spill
	;; [unrolled: 1-line block ×3, first 2 shown]
	ds_read2_b64 v[99:102], v125 offset0:8 offset1:9
	buffer_load_dword v105, off, s[20:23], 0 offset:16 ; 4-byte Folded Reload
	buffer_load_dword v106, off, s[20:23], 0 offset:20 ; 4-byte Folded Reload
	;; [unrolled: 1-line block ×4, first 2 shown]
	s_waitcnt lgkmcnt(0)
	v_mul_f64 v[103:104], v[101:102], v[109:110]
	v_fma_f64 v[103:104], v[99:100], v[97:98], -v[103:104]
	v_mul_f64 v[99:100], v[99:100], v[109:110]
	v_fma_f64 v[99:100], v[101:102], v[97:98], v[99:100]
	s_waitcnt vmcnt(2)
	v_add_f64 v[105:106], v[105:106], -v[103:104]
	s_waitcnt vmcnt(0)
	v_add_f64 v[107:108], v[107:108], -v[99:100]
	buffer_store_dword v105, off, s[20:23], 0 offset:16 ; 4-byte Folded Spill
	s_nop 0
	buffer_store_dword v106, off, s[20:23], 0 offset:20 ; 4-byte Folded Spill
	buffer_store_dword v107, off, s[20:23], 0 offset:24 ; 4-byte Folded Spill
	;; [unrolled: 1-line block ×3, first 2 shown]
	ds_read2_b64 v[99:102], v125 offset0:10 offset1:11
	buffer_load_dword v105, off, s[20:23], 0 ; 4-byte Folded Reload
	buffer_load_dword v106, off, s[20:23], 0 offset:4 ; 4-byte Folded Reload
	buffer_load_dword v107, off, s[20:23], 0 offset:8 ; 4-byte Folded Reload
	;; [unrolled: 1-line block ×3, first 2 shown]
	s_waitcnt lgkmcnt(0)
	v_mul_f64 v[103:104], v[101:102], v[109:110]
	v_fma_f64 v[103:104], v[99:100], v[97:98], -v[103:104]
	v_mul_f64 v[99:100], v[99:100], v[109:110]
	v_fma_f64 v[99:100], v[101:102], v[97:98], v[99:100]
	s_waitcnt vmcnt(2)
	v_add_f64 v[105:106], v[105:106], -v[103:104]
	s_waitcnt vmcnt(0)
	v_add_f64 v[107:108], v[107:108], -v[99:100]
	buffer_store_dword v105, off, s[20:23], 0 ; 4-byte Folded Spill
	s_nop 0
	buffer_store_dword v106, off, s[20:23], 0 offset:4 ; 4-byte Folded Spill
	buffer_store_dword v107, off, s[20:23], 0 offset:8 ; 4-byte Folded Spill
	;; [unrolled: 1-line block ×3, first 2 shown]
	ds_read2_b64 v[99:102], v125 offset0:12 offset1:13
	v_mov_b32_e32 v108, v98
	v_mov_b32_e32 v107, v97
	s_waitcnt lgkmcnt(0)
	v_mul_f64 v[103:104], v[101:102], v[109:110]
	v_fma_f64 v[103:104], v[99:100], v[97:98], -v[103:104]
	v_mul_f64 v[99:100], v[99:100], v[109:110]
	v_add_f64 v[83:84], v[83:84], -v[103:104]
	v_fma_f64 v[99:100], v[101:102], v[97:98], v[99:100]
	v_add_f64 v[85:86], v[85:86], -v[99:100]
	ds_read2_b64 v[99:102], v125 offset0:14 offset1:15
	s_waitcnt lgkmcnt(0)
	v_mul_f64 v[103:104], v[101:102], v[109:110]
	v_fma_f64 v[103:104], v[99:100], v[97:98], -v[103:104]
	v_mul_f64 v[99:100], v[99:100], v[109:110]
	v_add_f64 v[77:78], v[77:78], -v[103:104]
	v_fma_f64 v[99:100], v[101:102], v[97:98], v[99:100]
	v_add_f64 v[79:80], v[79:80], -v[99:100]
	ds_read2_b64 v[99:102], v125 offset0:16 offset1:17
	;; [unrolled: 8-line block ×21, first 2 shown]
	s_waitcnt lgkmcnt(0)
	v_mul_f64 v[103:104], v[101:102], v[109:110]
	v_fma_f64 v[103:104], v[99:100], v[97:98], -v[103:104]
	v_mul_f64 v[99:100], v[99:100], v[109:110]
	buffer_store_dword v107, off, s[20:23], 0 offset:48 ; 4-byte Folded Spill
	s_nop 0
	buffer_store_dword v108, off, s[20:23], 0 offset:52 ; 4-byte Folded Spill
	buffer_store_dword v109, off, s[20:23], 0 offset:56 ; 4-byte Folded Spill
	;; [unrolled: 1-line block ×3, first 2 shown]
	v_add_f64 v[89:90], v[89:90], -v[103:104]
	v_fma_f64 v[99:100], v[101:102], v[97:98], v[99:100]
	v_add_f64 v[91:92], v[91:92], -v[99:100]
.LBB55_28:
	s_or_b64 exec, exec, s[2:3]
	v_cmp_eq_u32_e32 vcc, 3, v0
	s_waitcnt vmcnt(0)
	s_barrier
	s_and_saveexec_b64 s[4:5], vcc
	s_cbranch_execz .LBB55_35
; %bb.29:
	buffer_load_dword v97, off, s[20:23], 0 offset:32 ; 4-byte Folded Reload
	buffer_load_dword v98, off, s[20:23], 0 offset:36 ; 4-byte Folded Reload
	;; [unrolled: 1-line block ×4, first 2 shown]
	s_waitcnt vmcnt(0)
	ds_write2_b64 v127, v[97:98], v[99:100] offset1:1
	buffer_load_dword v97, off, s[20:23], 0 offset:16 ; 4-byte Folded Reload
	buffer_load_dword v98, off, s[20:23], 0 offset:20 ; 4-byte Folded Reload
	;; [unrolled: 1-line block ×4, first 2 shown]
	s_waitcnt vmcnt(0)
	ds_write2_b64 v125, v[97:98], v[99:100] offset0:8 offset1:9
	buffer_load_dword v97, off, s[20:23], 0 ; 4-byte Folded Reload
	buffer_load_dword v98, off, s[20:23], 0 offset:4 ; 4-byte Folded Reload
	buffer_load_dword v99, off, s[20:23], 0 offset:8 ; 4-byte Folded Reload
	;; [unrolled: 1-line block ×3, first 2 shown]
	s_waitcnt vmcnt(0)
	ds_write2_b64 v125, v[97:98], v[99:100] offset0:10 offset1:11
	ds_write2_b64 v125, v[83:84], v[85:86] offset0:12 offset1:13
	;; [unrolled: 1-line block ×23, first 2 shown]
	ds_read2_b64 v[97:100], v127 offset1:1
	s_waitcnt lgkmcnt(0)
	v_cmp_neq_f64_e32 vcc, 0, v[97:98]
	v_cmp_neq_f64_e64 s[2:3], 0, v[99:100]
	s_or_b64 s[2:3], vcc, s[2:3]
	s_and_b64 exec, exec, s[2:3]
	s_cbranch_execz .LBB55_35
; %bb.30:
	v_cmp_ngt_f64_e64 s[2:3], |v[97:98]|, |v[99:100]|
                                        ; implicit-def: $vgpr101_vgpr102
	s_and_saveexec_b64 s[6:7], s[2:3]
	s_xor_b64 s[2:3], exec, s[6:7]
                                        ; implicit-def: $vgpr103_vgpr104
	s_cbranch_execz .LBB55_32
; %bb.31:
	v_div_scale_f64 v[101:102], s[6:7], v[99:100], v[99:100], v[97:98]
	v_rcp_f64_e32 v[103:104], v[101:102]
	v_fma_f64 v[105:106], -v[101:102], v[103:104], 1.0
	v_fma_f64 v[103:104], v[103:104], v[105:106], v[103:104]
	v_div_scale_f64 v[105:106], vcc, v[97:98], v[99:100], v[97:98]
	v_fma_f64 v[107:108], -v[101:102], v[103:104], 1.0
	v_fma_f64 v[103:104], v[103:104], v[107:108], v[103:104]
	v_mul_f64 v[107:108], v[105:106], v[103:104]
	v_fma_f64 v[101:102], -v[101:102], v[107:108], v[105:106]
	v_div_fmas_f64 v[101:102], v[101:102], v[103:104], v[107:108]
	v_div_fixup_f64 v[101:102], v[101:102], v[99:100], v[97:98]
	v_fma_f64 v[97:98], v[97:98], v[101:102], v[99:100]
	v_div_scale_f64 v[99:100], s[6:7], v[97:98], v[97:98], 1.0
	v_div_scale_f64 v[107:108], vcc, 1.0, v[97:98], 1.0
	v_rcp_f64_e32 v[103:104], v[99:100]
	v_fma_f64 v[105:106], -v[99:100], v[103:104], 1.0
	v_fma_f64 v[103:104], v[103:104], v[105:106], v[103:104]
	v_fma_f64 v[105:106], -v[99:100], v[103:104], 1.0
	v_fma_f64 v[103:104], v[103:104], v[105:106], v[103:104]
	v_mul_f64 v[105:106], v[107:108], v[103:104]
	v_fma_f64 v[99:100], -v[99:100], v[105:106], v[107:108]
	v_div_fmas_f64 v[99:100], v[99:100], v[103:104], v[105:106]
	v_div_fixup_f64 v[103:104], v[99:100], v[97:98], 1.0
                                        ; implicit-def: $vgpr97_vgpr98
	v_mul_f64 v[101:102], v[101:102], v[103:104]
	v_xor_b32_e32 v104, 0x80000000, v104
.LBB55_32:
	s_andn2_saveexec_b64 s[2:3], s[2:3]
	s_cbranch_execz .LBB55_34
; %bb.33:
	v_div_scale_f64 v[101:102], s[6:7], v[97:98], v[97:98], v[99:100]
	v_rcp_f64_e32 v[103:104], v[101:102]
	v_fma_f64 v[105:106], -v[101:102], v[103:104], 1.0
	v_fma_f64 v[103:104], v[103:104], v[105:106], v[103:104]
	v_div_scale_f64 v[105:106], vcc, v[99:100], v[97:98], v[99:100]
	v_fma_f64 v[107:108], -v[101:102], v[103:104], 1.0
	v_fma_f64 v[103:104], v[103:104], v[107:108], v[103:104]
	v_mul_f64 v[107:108], v[105:106], v[103:104]
	v_fma_f64 v[101:102], -v[101:102], v[107:108], v[105:106]
	v_div_fmas_f64 v[101:102], v[101:102], v[103:104], v[107:108]
	v_div_fixup_f64 v[103:104], v[101:102], v[97:98], v[99:100]
	v_fma_f64 v[97:98], v[99:100], v[103:104], v[97:98]
	v_div_scale_f64 v[99:100], s[6:7], v[97:98], v[97:98], 1.0
	v_div_scale_f64 v[107:108], vcc, 1.0, v[97:98], 1.0
	v_rcp_f64_e32 v[101:102], v[99:100]
	v_fma_f64 v[105:106], -v[99:100], v[101:102], 1.0
	v_fma_f64 v[101:102], v[101:102], v[105:106], v[101:102]
	v_fma_f64 v[105:106], -v[99:100], v[101:102], 1.0
	v_fma_f64 v[101:102], v[101:102], v[105:106], v[101:102]
	v_mul_f64 v[105:106], v[107:108], v[101:102]
	v_fma_f64 v[99:100], -v[99:100], v[105:106], v[107:108]
	v_div_fmas_f64 v[99:100], v[99:100], v[101:102], v[105:106]
	v_div_fixup_f64 v[101:102], v[99:100], v[97:98], 1.0
	v_mul_f64 v[103:104], v[103:104], -v[101:102]
.LBB55_34:
	s_or_b64 exec, exec, s[2:3]
	ds_write2_b64 v127, v[101:102], v[103:104] offset1:1
.LBB55_35:
	s_or_b64 exec, exec, s[4:5]
	s_waitcnt lgkmcnt(0)
	s_barrier
	ds_read2_b64 v[97:100], v127 offset1:1
	v_cmp_lt_u32_e32 vcc, 3, v0
	s_waitcnt lgkmcnt(0)
	buffer_store_dword v97, off, s[20:23], 0 offset:352 ; 4-byte Folded Spill
	s_nop 0
	buffer_store_dword v98, off, s[20:23], 0 offset:356 ; 4-byte Folded Spill
	buffer_store_dword v99, off, s[20:23], 0 offset:360 ; 4-byte Folded Spill
	;; [unrolled: 1-line block ×3, first 2 shown]
	s_and_saveexec_b64 s[2:3], vcc
	s_cbranch_execz .LBB55_37
; %bb.36:
	buffer_load_dword v107, off, s[20:23], 0 offset:32 ; 4-byte Folded Reload
	buffer_load_dword v108, off, s[20:23], 0 offset:36 ; 4-byte Folded Reload
	;; [unrolled: 1-line block ×8, first 2 shown]
	s_waitcnt vmcnt(0)
	v_mul_f64 v[97:98], v[101:102], v[109:110]
	v_fma_f64 v[97:98], v[99:100], v[107:108], -v[97:98]
	v_mul_f64 v[99:100], v[99:100], v[109:110]
	v_fma_f64 v[109:110], v[101:102], v[107:108], v[99:100]
	ds_read2_b64 v[99:102], v125 offset0:8 offset1:9
	buffer_load_dword v105, off, s[20:23], 0 offset:16 ; 4-byte Folded Reload
	buffer_load_dword v106, off, s[20:23], 0 offset:20 ; 4-byte Folded Reload
	;; [unrolled: 1-line block ×4, first 2 shown]
	s_waitcnt lgkmcnt(0)
	v_mul_f64 v[103:104], v[101:102], v[109:110]
	v_fma_f64 v[103:104], v[99:100], v[97:98], -v[103:104]
	v_mul_f64 v[99:100], v[99:100], v[109:110]
	v_fma_f64 v[99:100], v[101:102], v[97:98], v[99:100]
	s_waitcnt vmcnt(2)
	v_add_f64 v[105:106], v[105:106], -v[103:104]
	s_waitcnt vmcnt(0)
	v_add_f64 v[107:108], v[107:108], -v[99:100]
	buffer_store_dword v105, off, s[20:23], 0 offset:16 ; 4-byte Folded Spill
	s_nop 0
	buffer_store_dword v106, off, s[20:23], 0 offset:20 ; 4-byte Folded Spill
	buffer_store_dword v107, off, s[20:23], 0 offset:24 ; 4-byte Folded Spill
	;; [unrolled: 1-line block ×3, first 2 shown]
	ds_read2_b64 v[99:102], v125 offset0:10 offset1:11
	buffer_load_dword v105, off, s[20:23], 0 ; 4-byte Folded Reload
	buffer_load_dword v106, off, s[20:23], 0 offset:4 ; 4-byte Folded Reload
	buffer_load_dword v107, off, s[20:23], 0 offset:8 ; 4-byte Folded Reload
	;; [unrolled: 1-line block ×3, first 2 shown]
	s_waitcnt lgkmcnt(0)
	v_mul_f64 v[103:104], v[101:102], v[109:110]
	v_fma_f64 v[103:104], v[99:100], v[97:98], -v[103:104]
	v_mul_f64 v[99:100], v[99:100], v[109:110]
	v_fma_f64 v[99:100], v[101:102], v[97:98], v[99:100]
	s_waitcnt vmcnt(2)
	v_add_f64 v[105:106], v[105:106], -v[103:104]
	s_waitcnt vmcnt(0)
	v_add_f64 v[107:108], v[107:108], -v[99:100]
	buffer_store_dword v105, off, s[20:23], 0 ; 4-byte Folded Spill
	s_nop 0
	buffer_store_dword v106, off, s[20:23], 0 offset:4 ; 4-byte Folded Spill
	buffer_store_dword v107, off, s[20:23], 0 offset:8 ; 4-byte Folded Spill
	;; [unrolled: 1-line block ×3, first 2 shown]
	ds_read2_b64 v[99:102], v125 offset0:12 offset1:13
	v_mov_b32_e32 v108, v98
	v_mov_b32_e32 v107, v97
	s_waitcnt lgkmcnt(0)
	v_mul_f64 v[103:104], v[101:102], v[109:110]
	v_fma_f64 v[103:104], v[99:100], v[97:98], -v[103:104]
	v_mul_f64 v[99:100], v[99:100], v[109:110]
	v_add_f64 v[83:84], v[83:84], -v[103:104]
	v_fma_f64 v[99:100], v[101:102], v[97:98], v[99:100]
	v_add_f64 v[85:86], v[85:86], -v[99:100]
	ds_read2_b64 v[99:102], v125 offset0:14 offset1:15
	s_waitcnt lgkmcnt(0)
	v_mul_f64 v[103:104], v[101:102], v[109:110]
	v_fma_f64 v[103:104], v[99:100], v[97:98], -v[103:104]
	v_mul_f64 v[99:100], v[99:100], v[109:110]
	v_add_f64 v[77:78], v[77:78], -v[103:104]
	v_fma_f64 v[99:100], v[101:102], v[97:98], v[99:100]
	v_add_f64 v[79:80], v[79:80], -v[99:100]
	ds_read2_b64 v[99:102], v125 offset0:16 offset1:17
	;; [unrolled: 8-line block ×21, first 2 shown]
	s_waitcnt lgkmcnt(0)
	v_mul_f64 v[103:104], v[101:102], v[109:110]
	v_fma_f64 v[103:104], v[99:100], v[97:98], -v[103:104]
	v_mul_f64 v[99:100], v[99:100], v[109:110]
	buffer_store_dword v107, off, s[20:23], 0 offset:32 ; 4-byte Folded Spill
	s_nop 0
	buffer_store_dword v108, off, s[20:23], 0 offset:36 ; 4-byte Folded Spill
	buffer_store_dword v109, off, s[20:23], 0 offset:40 ; 4-byte Folded Spill
	;; [unrolled: 1-line block ×3, first 2 shown]
	v_add_f64 v[89:90], v[89:90], -v[103:104]
	v_fma_f64 v[99:100], v[101:102], v[97:98], v[99:100]
	v_add_f64 v[91:92], v[91:92], -v[99:100]
.LBB55_37:
	s_or_b64 exec, exec, s[2:3]
	v_cmp_eq_u32_e32 vcc, 4, v0
	s_waitcnt vmcnt(0)
	s_barrier
	s_and_saveexec_b64 s[4:5], vcc
	s_cbranch_execz .LBB55_44
; %bb.38:
	buffer_load_dword v97, off, s[20:23], 0 offset:16 ; 4-byte Folded Reload
	buffer_load_dword v98, off, s[20:23], 0 offset:20 ; 4-byte Folded Reload
	;; [unrolled: 1-line block ×4, first 2 shown]
	s_waitcnt vmcnt(0)
	ds_write2_b64 v127, v[97:98], v[99:100] offset1:1
	buffer_load_dword v97, off, s[20:23], 0 ; 4-byte Folded Reload
	buffer_load_dword v98, off, s[20:23], 0 offset:4 ; 4-byte Folded Reload
	buffer_load_dword v99, off, s[20:23], 0 offset:8 ; 4-byte Folded Reload
	buffer_load_dword v100, off, s[20:23], 0 offset:12 ; 4-byte Folded Reload
	s_waitcnt vmcnt(0)
	ds_write2_b64 v125, v[97:98], v[99:100] offset0:10 offset1:11
	ds_write2_b64 v125, v[83:84], v[85:86] offset0:12 offset1:13
	;; [unrolled: 1-line block ×23, first 2 shown]
	ds_read2_b64 v[97:100], v127 offset1:1
	s_waitcnt lgkmcnt(0)
	v_cmp_neq_f64_e32 vcc, 0, v[97:98]
	v_cmp_neq_f64_e64 s[2:3], 0, v[99:100]
	s_or_b64 s[2:3], vcc, s[2:3]
	s_and_b64 exec, exec, s[2:3]
	s_cbranch_execz .LBB55_44
; %bb.39:
	v_cmp_ngt_f64_e64 s[2:3], |v[97:98]|, |v[99:100]|
                                        ; implicit-def: $vgpr101_vgpr102
	s_and_saveexec_b64 s[6:7], s[2:3]
	s_xor_b64 s[2:3], exec, s[6:7]
                                        ; implicit-def: $vgpr103_vgpr104
	s_cbranch_execz .LBB55_41
; %bb.40:
	v_div_scale_f64 v[101:102], s[6:7], v[99:100], v[99:100], v[97:98]
	v_rcp_f64_e32 v[103:104], v[101:102]
	v_fma_f64 v[105:106], -v[101:102], v[103:104], 1.0
	v_fma_f64 v[103:104], v[103:104], v[105:106], v[103:104]
	v_div_scale_f64 v[105:106], vcc, v[97:98], v[99:100], v[97:98]
	v_fma_f64 v[107:108], -v[101:102], v[103:104], 1.0
	v_fma_f64 v[103:104], v[103:104], v[107:108], v[103:104]
	v_mul_f64 v[107:108], v[105:106], v[103:104]
	v_fma_f64 v[101:102], -v[101:102], v[107:108], v[105:106]
	v_div_fmas_f64 v[101:102], v[101:102], v[103:104], v[107:108]
	v_div_fixup_f64 v[101:102], v[101:102], v[99:100], v[97:98]
	v_fma_f64 v[97:98], v[97:98], v[101:102], v[99:100]
	v_div_scale_f64 v[99:100], s[6:7], v[97:98], v[97:98], 1.0
	v_div_scale_f64 v[107:108], vcc, 1.0, v[97:98], 1.0
	v_rcp_f64_e32 v[103:104], v[99:100]
	v_fma_f64 v[105:106], -v[99:100], v[103:104], 1.0
	v_fma_f64 v[103:104], v[103:104], v[105:106], v[103:104]
	v_fma_f64 v[105:106], -v[99:100], v[103:104], 1.0
	v_fma_f64 v[103:104], v[103:104], v[105:106], v[103:104]
	v_mul_f64 v[105:106], v[107:108], v[103:104]
	v_fma_f64 v[99:100], -v[99:100], v[105:106], v[107:108]
	v_div_fmas_f64 v[99:100], v[99:100], v[103:104], v[105:106]
	v_div_fixup_f64 v[103:104], v[99:100], v[97:98], 1.0
                                        ; implicit-def: $vgpr97_vgpr98
	v_mul_f64 v[101:102], v[101:102], v[103:104]
	v_xor_b32_e32 v104, 0x80000000, v104
.LBB55_41:
	s_andn2_saveexec_b64 s[2:3], s[2:3]
	s_cbranch_execz .LBB55_43
; %bb.42:
	v_div_scale_f64 v[101:102], s[6:7], v[97:98], v[97:98], v[99:100]
	v_rcp_f64_e32 v[103:104], v[101:102]
	v_fma_f64 v[105:106], -v[101:102], v[103:104], 1.0
	v_fma_f64 v[103:104], v[103:104], v[105:106], v[103:104]
	v_div_scale_f64 v[105:106], vcc, v[99:100], v[97:98], v[99:100]
	v_fma_f64 v[107:108], -v[101:102], v[103:104], 1.0
	v_fma_f64 v[103:104], v[103:104], v[107:108], v[103:104]
	v_mul_f64 v[107:108], v[105:106], v[103:104]
	v_fma_f64 v[101:102], -v[101:102], v[107:108], v[105:106]
	v_div_fmas_f64 v[101:102], v[101:102], v[103:104], v[107:108]
	v_div_fixup_f64 v[103:104], v[101:102], v[97:98], v[99:100]
	v_fma_f64 v[97:98], v[99:100], v[103:104], v[97:98]
	v_div_scale_f64 v[99:100], s[6:7], v[97:98], v[97:98], 1.0
	v_div_scale_f64 v[107:108], vcc, 1.0, v[97:98], 1.0
	v_rcp_f64_e32 v[101:102], v[99:100]
	v_fma_f64 v[105:106], -v[99:100], v[101:102], 1.0
	v_fma_f64 v[101:102], v[101:102], v[105:106], v[101:102]
	v_fma_f64 v[105:106], -v[99:100], v[101:102], 1.0
	v_fma_f64 v[101:102], v[101:102], v[105:106], v[101:102]
	v_mul_f64 v[105:106], v[107:108], v[101:102]
	v_fma_f64 v[99:100], -v[99:100], v[105:106], v[107:108]
	v_div_fmas_f64 v[99:100], v[99:100], v[101:102], v[105:106]
	v_div_fixup_f64 v[101:102], v[99:100], v[97:98], 1.0
	v_mul_f64 v[103:104], v[103:104], -v[101:102]
.LBB55_43:
	s_or_b64 exec, exec, s[2:3]
	ds_write2_b64 v127, v[101:102], v[103:104] offset1:1
.LBB55_44:
	s_or_b64 exec, exec, s[4:5]
	s_waitcnt lgkmcnt(0)
	s_barrier
	ds_read2_b64 v[97:100], v127 offset1:1
	v_cmp_lt_u32_e32 vcc, 4, v0
	s_waitcnt lgkmcnt(0)
	buffer_store_dword v97, off, s[20:23], 0 offset:368 ; 4-byte Folded Spill
	s_nop 0
	buffer_store_dword v98, off, s[20:23], 0 offset:372 ; 4-byte Folded Spill
	buffer_store_dword v99, off, s[20:23], 0 offset:376 ; 4-byte Folded Spill
	buffer_store_dword v100, off, s[20:23], 0 offset:380 ; 4-byte Folded Spill
	s_and_saveexec_b64 s[2:3], vcc
	s_cbranch_execz .LBB55_46
; %bb.45:
	buffer_load_dword v103, off, s[20:23], 0 offset:16 ; 4-byte Folded Reload
	buffer_load_dword v104, off, s[20:23], 0 offset:20 ; 4-byte Folded Reload
	;; [unrolled: 1-line block ×8, first 2 shown]
	v_mov_b32_e32 v102, v86
	v_mov_b32_e32 v101, v85
	;; [unrolled: 1-line block ×6, first 2 shown]
	s_waitcnt vmcnt(2)
	v_mul_f64 v[95:96], v[107:108], v[105:106]
	s_waitcnt vmcnt(0)
	v_mul_f64 v[97:98], v[109:110], v[105:106]
	v_fma_f64 v[105:106], v[109:110], v[103:104], v[95:96]
	v_mov_b32_e32 v96, v86
	v_mov_b32_e32 v95, v85
	;; [unrolled: 1-line block ×6, first 2 shown]
	ds_read2_b64 v[99:102], v125 offset0:10 offset1:11
	v_fma_f64 v[97:98], v[107:108], v[103:104], -v[97:98]
	s_waitcnt lgkmcnt(0)
	v_mul_f64 v[93:94], v[101:102], v[105:106]
	v_fma_f64 v[93:94], v[99:100], v[97:98], -v[93:94]
	v_mul_f64 v[99:100], v[99:100], v[105:106]
	v_fma_f64 v[99:100], v[101:102], v[97:98], v[99:100]
	buffer_load_dword v101, off, s[20:23], 0 ; 4-byte Folded Reload
	buffer_load_dword v102, off, s[20:23], 0 offset:4 ; 4-byte Folded Reload
	buffer_load_dword v103, off, s[20:23], 0 offset:8 ; 4-byte Folded Reload
	;; [unrolled: 1-line block ×3, first 2 shown]
	s_waitcnt vmcnt(2)
	v_add_f64 v[101:102], v[101:102], -v[93:94]
	s_waitcnt vmcnt(0)
	v_add_f64 v[103:104], v[103:104], -v[99:100]
	buffer_store_dword v101, off, s[20:23], 0 ; 4-byte Folded Spill
	s_nop 0
	buffer_store_dword v102, off, s[20:23], 0 offset:4 ; 4-byte Folded Spill
	buffer_store_dword v103, off, s[20:23], 0 offset:8 ; 4-byte Folded Spill
	buffer_store_dword v104, off, s[20:23], 0 offset:12 ; 4-byte Folded Spill
	ds_read2_b64 v[99:102], v125 offset0:12 offset1:13
	v_mov_b32_e32 v104, v98
	v_mov_b32_e32 v103, v97
	s_waitcnt lgkmcnt(0)
	v_mul_f64 v[93:94], v[101:102], v[105:106]
	v_fma_f64 v[93:94], v[99:100], v[97:98], -v[93:94]
	v_mul_f64 v[99:100], v[99:100], v[105:106]
	v_add_f64 v[83:84], v[83:84], -v[93:94]
	v_fma_f64 v[99:100], v[101:102], v[97:98], v[99:100]
	v_add_f64 v[85:86], v[85:86], -v[99:100]
	ds_read2_b64 v[99:102], v125 offset0:14 offset1:15
	s_waitcnt lgkmcnt(0)
	v_mul_f64 v[93:94], v[101:102], v[105:106]
	v_fma_f64 v[93:94], v[99:100], v[97:98], -v[93:94]
	v_mul_f64 v[99:100], v[99:100], v[105:106]
	v_add_f64 v[77:78], v[77:78], -v[93:94]
	v_fma_f64 v[99:100], v[101:102], v[97:98], v[99:100]
	v_add_f64 v[79:80], v[79:80], -v[99:100]
	ds_read2_b64 v[99:102], v125 offset0:16 offset1:17
	;; [unrolled: 8-line block ×21, first 2 shown]
	s_waitcnt lgkmcnt(0)
	v_mul_f64 v[93:94], v[101:102], v[105:106]
	v_fma_f64 v[93:94], v[99:100], v[97:98], -v[93:94]
	v_mul_f64 v[99:100], v[99:100], v[105:106]
	buffer_store_dword v103, off, s[20:23], 0 offset:16 ; 4-byte Folded Spill
	s_nop 0
	buffer_store_dword v104, off, s[20:23], 0 offset:20 ; 4-byte Folded Spill
	buffer_store_dword v105, off, s[20:23], 0 offset:24 ; 4-byte Folded Spill
	;; [unrolled: 1-line block ×3, first 2 shown]
	v_add_f64 v[89:90], v[89:90], -v[93:94]
	v_fma_f64 v[99:100], v[101:102], v[97:98], v[99:100]
	v_add_f64 v[91:92], v[91:92], -v[99:100]
.LBB55_46:
	s_or_b64 exec, exec, s[2:3]
	v_cmp_eq_u32_e32 vcc, 5, v0
	s_waitcnt vmcnt(0)
	s_barrier
	s_and_saveexec_b64 s[4:5], vcc
	s_cbranch_execz .LBB55_53
; %bb.47:
	buffer_load_dword v97, off, s[20:23], 0 ; 4-byte Folded Reload
	buffer_load_dword v98, off, s[20:23], 0 offset:4 ; 4-byte Folded Reload
	buffer_load_dword v99, off, s[20:23], 0 offset:8 ; 4-byte Folded Reload
	;; [unrolled: 1-line block ×3, first 2 shown]
	s_waitcnt vmcnt(0)
	ds_write2_b64 v127, v[97:98], v[99:100] offset1:1
	ds_write2_b64 v125, v[83:84], v[85:86] offset0:12 offset1:13
	ds_write2_b64 v125, v[77:78], v[79:80] offset0:14 offset1:15
	;; [unrolled: 1-line block ×22, first 2 shown]
	ds_read2_b64 v[97:100], v127 offset1:1
	s_waitcnt lgkmcnt(0)
	v_cmp_neq_f64_e32 vcc, 0, v[97:98]
	v_cmp_neq_f64_e64 s[2:3], 0, v[99:100]
	s_or_b64 s[2:3], vcc, s[2:3]
	s_and_b64 exec, exec, s[2:3]
	s_cbranch_execz .LBB55_53
; %bb.48:
	v_cmp_ngt_f64_e64 s[2:3], |v[97:98]|, |v[99:100]|
                                        ; implicit-def: $vgpr101_vgpr102
	s_and_saveexec_b64 s[6:7], s[2:3]
	s_xor_b64 s[2:3], exec, s[6:7]
                                        ; implicit-def: $vgpr103_vgpr104
	s_cbranch_execz .LBB55_50
; %bb.49:
	v_div_scale_f64 v[101:102], s[6:7], v[99:100], v[99:100], v[97:98]
	v_rcp_f64_e32 v[103:104], v[101:102]
	v_fma_f64 v[105:106], -v[101:102], v[103:104], 1.0
	v_fma_f64 v[103:104], v[103:104], v[105:106], v[103:104]
	v_div_scale_f64 v[105:106], vcc, v[97:98], v[99:100], v[97:98]
	v_fma_f64 v[107:108], -v[101:102], v[103:104], 1.0
	v_fma_f64 v[103:104], v[103:104], v[107:108], v[103:104]
	v_mul_f64 v[107:108], v[105:106], v[103:104]
	v_fma_f64 v[101:102], -v[101:102], v[107:108], v[105:106]
	v_div_fmas_f64 v[101:102], v[101:102], v[103:104], v[107:108]
	v_div_fixup_f64 v[101:102], v[101:102], v[99:100], v[97:98]
	v_fma_f64 v[97:98], v[97:98], v[101:102], v[99:100]
	v_div_scale_f64 v[99:100], s[6:7], v[97:98], v[97:98], 1.0
	v_div_scale_f64 v[107:108], vcc, 1.0, v[97:98], 1.0
	v_rcp_f64_e32 v[103:104], v[99:100]
	v_fma_f64 v[105:106], -v[99:100], v[103:104], 1.0
	v_fma_f64 v[103:104], v[103:104], v[105:106], v[103:104]
	v_fma_f64 v[105:106], -v[99:100], v[103:104], 1.0
	v_fma_f64 v[103:104], v[103:104], v[105:106], v[103:104]
	v_mul_f64 v[105:106], v[107:108], v[103:104]
	v_fma_f64 v[99:100], -v[99:100], v[105:106], v[107:108]
	v_div_fmas_f64 v[99:100], v[99:100], v[103:104], v[105:106]
	v_div_fixup_f64 v[103:104], v[99:100], v[97:98], 1.0
                                        ; implicit-def: $vgpr97_vgpr98
	v_mul_f64 v[101:102], v[101:102], v[103:104]
	v_xor_b32_e32 v104, 0x80000000, v104
.LBB55_50:
	s_andn2_saveexec_b64 s[2:3], s[2:3]
	s_cbranch_execz .LBB55_52
; %bb.51:
	v_div_scale_f64 v[101:102], s[6:7], v[97:98], v[97:98], v[99:100]
	v_rcp_f64_e32 v[103:104], v[101:102]
	v_fma_f64 v[105:106], -v[101:102], v[103:104], 1.0
	v_fma_f64 v[103:104], v[103:104], v[105:106], v[103:104]
	v_div_scale_f64 v[105:106], vcc, v[99:100], v[97:98], v[99:100]
	v_fma_f64 v[107:108], -v[101:102], v[103:104], 1.0
	v_fma_f64 v[103:104], v[103:104], v[107:108], v[103:104]
	v_mul_f64 v[107:108], v[105:106], v[103:104]
	v_fma_f64 v[101:102], -v[101:102], v[107:108], v[105:106]
	v_div_fmas_f64 v[101:102], v[101:102], v[103:104], v[107:108]
	v_div_fixup_f64 v[103:104], v[101:102], v[97:98], v[99:100]
	v_fma_f64 v[97:98], v[99:100], v[103:104], v[97:98]
	v_div_scale_f64 v[99:100], s[6:7], v[97:98], v[97:98], 1.0
	v_div_scale_f64 v[107:108], vcc, 1.0, v[97:98], 1.0
	v_rcp_f64_e32 v[101:102], v[99:100]
	v_fma_f64 v[105:106], -v[99:100], v[101:102], 1.0
	v_fma_f64 v[101:102], v[101:102], v[105:106], v[101:102]
	v_fma_f64 v[105:106], -v[99:100], v[101:102], 1.0
	v_fma_f64 v[101:102], v[101:102], v[105:106], v[101:102]
	v_mul_f64 v[105:106], v[107:108], v[101:102]
	v_fma_f64 v[99:100], -v[99:100], v[105:106], v[107:108]
	v_div_fmas_f64 v[99:100], v[99:100], v[101:102], v[105:106]
	v_div_fixup_f64 v[101:102], v[99:100], v[97:98], 1.0
	v_mul_f64 v[103:104], v[103:104], -v[101:102]
.LBB55_52:
	s_or_b64 exec, exec, s[2:3]
	ds_write2_b64 v127, v[101:102], v[103:104] offset1:1
.LBB55_53:
	s_or_b64 exec, exec, s[4:5]
	s_waitcnt lgkmcnt(0)
	s_barrier
	ds_read2_b64 v[97:100], v127 offset1:1
	v_cmp_lt_u32_e32 vcc, 5, v0
	s_waitcnt lgkmcnt(0)
	buffer_store_dword v97, off, s[20:23], 0 offset:384 ; 4-byte Folded Spill
	s_nop 0
	buffer_store_dword v98, off, s[20:23], 0 offset:388 ; 4-byte Folded Spill
	buffer_store_dword v99, off, s[20:23], 0 offset:392 ; 4-byte Folded Spill
	;; [unrolled: 1-line block ×3, first 2 shown]
	s_and_saveexec_b64 s[2:3], vcc
	s_cbranch_execz .LBB55_55
; %bb.54:
	buffer_load_dword v107, off, s[20:23], 0 ; 4-byte Folded Reload
	buffer_load_dword v108, off, s[20:23], 0 offset:4 ; 4-byte Folded Reload
	buffer_load_dword v109, off, s[20:23], 0 offset:8 ; 4-byte Folded Reload
	;; [unrolled: 1-line block ×7, first 2 shown]
	v_mov_b32_e32 v106, v86
	v_mov_b32_e32 v105, v85
	v_mov_b32_e32 v104, v84
	v_mov_b32_e32 v103, v83
	v_mov_b32_e32 v85, v87
	v_mov_b32_e32 v86, v88
	s_waitcnt vmcnt(2)
	v_mul_f64 v[87:88], v[99:100], v[109:110]
	s_waitcnt vmcnt(0)
	v_mul_f64 v[97:98], v[101:102], v[109:110]
	v_fma_f64 v[109:110], v[101:102], v[107:108], v[87:88]
	v_mov_b32_e32 v88, v86
	v_fma_f64 v[97:98], v[99:100], v[107:108], -v[97:98]
	ds_read2_b64 v[99:102], v125 offset0:12 offset1:13
	v_mov_b32_e32 v87, v85
	s_waitcnt lgkmcnt(0)
	v_mul_f64 v[85:86], v[101:102], v[109:110]
	v_mov_b32_e32 v108, v98
	v_mov_b32_e32 v107, v97
	v_fma_f64 v[85:86], v[99:100], v[97:98], -v[85:86]
	v_mul_f64 v[99:100], v[99:100], v[109:110]
	v_add_f64 v[103:104], v[103:104], -v[85:86]
	v_fma_f64 v[99:100], v[101:102], v[97:98], v[99:100]
	v_add_f64 v[105:106], v[105:106], -v[99:100]
	ds_read2_b64 v[99:102], v125 offset0:14 offset1:15
	s_waitcnt lgkmcnt(0)
	v_mul_f64 v[85:86], v[101:102], v[109:110]
	v_fma_f64 v[85:86], v[99:100], v[97:98], -v[85:86]
	v_mul_f64 v[99:100], v[99:100], v[109:110]
	v_add_f64 v[77:78], v[77:78], -v[85:86]
	v_fma_f64 v[99:100], v[101:102], v[97:98], v[99:100]
	v_add_f64 v[79:80], v[79:80], -v[99:100]
	ds_read2_b64 v[99:102], v125 offset0:16 offset1:17
	s_waitcnt lgkmcnt(0)
	v_mul_f64 v[85:86], v[101:102], v[109:110]
	;; [unrolled: 8-line block ×21, first 2 shown]
	v_fma_f64 v[85:86], v[99:100], v[97:98], -v[85:86]
	v_mul_f64 v[99:100], v[99:100], v[109:110]
	buffer_store_dword v107, off, s[20:23], 0 ; 4-byte Folded Spill
	s_nop 0
	buffer_store_dword v108, off, s[20:23], 0 offset:4 ; 4-byte Folded Spill
	buffer_store_dword v109, off, s[20:23], 0 offset:8 ; 4-byte Folded Spill
	;; [unrolled: 1-line block ×3, first 2 shown]
	v_add_f64 v[89:90], v[89:90], -v[85:86]
	v_fma_f64 v[99:100], v[101:102], v[97:98], v[99:100]
	v_mov_b32_e32 v83, v103
	v_mov_b32_e32 v84, v104
	;; [unrolled: 1-line block ×4, first 2 shown]
	v_add_f64 v[91:92], v[91:92], -v[99:100]
.LBB55_55:
	s_or_b64 exec, exec, s[2:3]
	v_cmp_eq_u32_e32 vcc, 6, v0
	s_waitcnt vmcnt(0)
	s_barrier
	s_and_saveexec_b64 s[4:5], vcc
	s_cbranch_execz .LBB55_62
; %bb.56:
	ds_write2_b64 v127, v[83:84], v[85:86] offset1:1
	ds_write2_b64 v125, v[77:78], v[79:80] offset0:14 offset1:15
	ds_write2_b64 v125, v[73:74], v[75:76] offset0:16 offset1:17
	;; [unrolled: 1-line block ×21, first 2 shown]
	ds_read2_b64 v[97:100], v127 offset1:1
	s_waitcnt lgkmcnt(0)
	v_cmp_neq_f64_e32 vcc, 0, v[97:98]
	v_cmp_neq_f64_e64 s[2:3], 0, v[99:100]
	s_or_b64 s[2:3], vcc, s[2:3]
	s_and_b64 exec, exec, s[2:3]
	s_cbranch_execz .LBB55_62
; %bb.57:
	v_cmp_ngt_f64_e64 s[2:3], |v[97:98]|, |v[99:100]|
                                        ; implicit-def: $vgpr101_vgpr102
	s_and_saveexec_b64 s[6:7], s[2:3]
	s_xor_b64 s[2:3], exec, s[6:7]
                                        ; implicit-def: $vgpr103_vgpr104
	s_cbranch_execz .LBB55_59
; %bb.58:
	v_div_scale_f64 v[101:102], s[6:7], v[99:100], v[99:100], v[97:98]
	v_rcp_f64_e32 v[103:104], v[101:102]
	v_fma_f64 v[105:106], -v[101:102], v[103:104], 1.0
	v_fma_f64 v[103:104], v[103:104], v[105:106], v[103:104]
	v_div_scale_f64 v[105:106], vcc, v[97:98], v[99:100], v[97:98]
	v_fma_f64 v[107:108], -v[101:102], v[103:104], 1.0
	v_fma_f64 v[103:104], v[103:104], v[107:108], v[103:104]
	v_mul_f64 v[107:108], v[105:106], v[103:104]
	v_fma_f64 v[101:102], -v[101:102], v[107:108], v[105:106]
	v_div_fmas_f64 v[101:102], v[101:102], v[103:104], v[107:108]
	v_div_fixup_f64 v[101:102], v[101:102], v[99:100], v[97:98]
	v_fma_f64 v[97:98], v[97:98], v[101:102], v[99:100]
	v_div_scale_f64 v[99:100], s[6:7], v[97:98], v[97:98], 1.0
	v_div_scale_f64 v[107:108], vcc, 1.0, v[97:98], 1.0
	v_rcp_f64_e32 v[103:104], v[99:100]
	v_fma_f64 v[105:106], -v[99:100], v[103:104], 1.0
	v_fma_f64 v[103:104], v[103:104], v[105:106], v[103:104]
	v_fma_f64 v[105:106], -v[99:100], v[103:104], 1.0
	v_fma_f64 v[103:104], v[103:104], v[105:106], v[103:104]
	v_mul_f64 v[105:106], v[107:108], v[103:104]
	v_fma_f64 v[99:100], -v[99:100], v[105:106], v[107:108]
	v_div_fmas_f64 v[99:100], v[99:100], v[103:104], v[105:106]
	v_div_fixup_f64 v[103:104], v[99:100], v[97:98], 1.0
                                        ; implicit-def: $vgpr97_vgpr98
	v_mul_f64 v[101:102], v[101:102], v[103:104]
	v_xor_b32_e32 v104, 0x80000000, v104
.LBB55_59:
	s_andn2_saveexec_b64 s[2:3], s[2:3]
	s_cbranch_execz .LBB55_61
; %bb.60:
	v_div_scale_f64 v[101:102], s[6:7], v[97:98], v[97:98], v[99:100]
	v_rcp_f64_e32 v[103:104], v[101:102]
	v_fma_f64 v[105:106], -v[101:102], v[103:104], 1.0
	v_fma_f64 v[103:104], v[103:104], v[105:106], v[103:104]
	v_div_scale_f64 v[105:106], vcc, v[99:100], v[97:98], v[99:100]
	v_fma_f64 v[107:108], -v[101:102], v[103:104], 1.0
	v_fma_f64 v[103:104], v[103:104], v[107:108], v[103:104]
	v_mul_f64 v[107:108], v[105:106], v[103:104]
	v_fma_f64 v[101:102], -v[101:102], v[107:108], v[105:106]
	v_div_fmas_f64 v[101:102], v[101:102], v[103:104], v[107:108]
	v_div_fixup_f64 v[103:104], v[101:102], v[97:98], v[99:100]
	v_fma_f64 v[97:98], v[99:100], v[103:104], v[97:98]
	v_div_scale_f64 v[99:100], s[6:7], v[97:98], v[97:98], 1.0
	v_div_scale_f64 v[107:108], vcc, 1.0, v[97:98], 1.0
	v_rcp_f64_e32 v[101:102], v[99:100]
	v_fma_f64 v[105:106], -v[99:100], v[101:102], 1.0
	v_fma_f64 v[101:102], v[101:102], v[105:106], v[101:102]
	v_fma_f64 v[105:106], -v[99:100], v[101:102], 1.0
	v_fma_f64 v[101:102], v[101:102], v[105:106], v[101:102]
	v_mul_f64 v[105:106], v[107:108], v[101:102]
	v_fma_f64 v[99:100], -v[99:100], v[105:106], v[107:108]
	v_div_fmas_f64 v[99:100], v[99:100], v[101:102], v[105:106]
	v_div_fixup_f64 v[101:102], v[99:100], v[97:98], 1.0
	v_mul_f64 v[103:104], v[103:104], -v[101:102]
.LBB55_61:
	s_or_b64 exec, exec, s[2:3]
	ds_write2_b64 v127, v[101:102], v[103:104] offset1:1
.LBB55_62:
	s_or_b64 exec, exec, s[4:5]
	s_waitcnt lgkmcnt(0)
	s_barrier
	ds_read2_b64 v[97:100], v127 offset1:1
	v_cmp_lt_u32_e32 vcc, 6, v0
	s_waitcnt lgkmcnt(0)
	buffer_store_dword v97, off, s[20:23], 0 offset:400 ; 4-byte Folded Spill
	s_nop 0
	buffer_store_dword v98, off, s[20:23], 0 offset:404 ; 4-byte Folded Spill
	buffer_store_dword v99, off, s[20:23], 0 offset:408 ; 4-byte Folded Spill
	;; [unrolled: 1-line block ×3, first 2 shown]
	s_and_saveexec_b64 s[2:3], vcc
	s_cbranch_execz .LBB55_64
; %bb.63:
	buffer_load_dword v105, off, s[20:23], 0 offset:400 ; 4-byte Folded Reload
	buffer_load_dword v106, off, s[20:23], 0 offset:404 ; 4-byte Folded Reload
	;; [unrolled: 1-line block ×4, first 2 shown]
	v_mov_b32_e32 v104, v86
	v_mov_b32_e32 v103, v85
	;; [unrolled: 1-line block ×4, first 2 shown]
	s_waitcnt vmcnt(0)
	v_mul_f64 v[97:98], v[107:108], v[85:86]
	v_mov_b32_e32 v86, v82
	v_mov_b32_e32 v85, v81
	v_fma_f64 v[97:98], v[105:106], v[83:84], -v[97:98]
	v_mul_f64 v[83:84], v[105:106], v[103:104]
	v_fma_f64 v[103:104], v[107:108], v[101:102], v[83:84]
	ds_read2_b64 v[99:102], v125 offset0:14 offset1:15
	v_mov_b32_e32 v83, v97
	v_mov_b32_e32 v84, v98
	s_waitcnt lgkmcnt(0)
	v_mul_f64 v[81:82], v[101:102], v[103:104]
	v_fma_f64 v[81:82], v[99:100], v[97:98], -v[81:82]
	v_mul_f64 v[99:100], v[99:100], v[103:104]
	v_add_f64 v[77:78], v[77:78], -v[81:82]
	v_fma_f64 v[99:100], v[101:102], v[97:98], v[99:100]
	v_add_f64 v[79:80], v[79:80], -v[99:100]
	ds_read2_b64 v[99:102], v125 offset0:16 offset1:17
	s_waitcnt lgkmcnt(0)
	v_mul_f64 v[81:82], v[101:102], v[103:104]
	v_fma_f64 v[81:82], v[99:100], v[97:98], -v[81:82]
	v_mul_f64 v[99:100], v[99:100], v[103:104]
	v_add_f64 v[73:74], v[73:74], -v[81:82]
	v_fma_f64 v[99:100], v[101:102], v[97:98], v[99:100]
	v_add_f64 v[75:76], v[75:76], -v[99:100]
	ds_read2_b64 v[99:102], v125 offset0:18 offset1:19
	s_waitcnt lgkmcnt(0)
	v_mul_f64 v[81:82], v[101:102], v[103:104]
	v_fma_f64 v[81:82], v[99:100], v[97:98], -v[81:82]
	v_mul_f64 v[99:100], v[99:100], v[103:104]
	v_add_f64 v[69:70], v[69:70], -v[81:82]
	v_fma_f64 v[99:100], v[101:102], v[97:98], v[99:100]
	v_add_f64 v[71:72], v[71:72], -v[99:100]
	ds_read2_b64 v[99:102], v125 offset0:20 offset1:21
	s_waitcnt lgkmcnt(0)
	v_mul_f64 v[81:82], v[101:102], v[103:104]
	v_fma_f64 v[81:82], v[99:100], v[97:98], -v[81:82]
	v_mul_f64 v[99:100], v[99:100], v[103:104]
	v_add_f64 v[65:66], v[65:66], -v[81:82]
	v_fma_f64 v[99:100], v[101:102], v[97:98], v[99:100]
	v_add_f64 v[67:68], v[67:68], -v[99:100]
	ds_read2_b64 v[99:102], v125 offset0:22 offset1:23
	s_waitcnt lgkmcnt(0)
	v_mul_f64 v[81:82], v[101:102], v[103:104]
	v_fma_f64 v[81:82], v[99:100], v[97:98], -v[81:82]
	v_mul_f64 v[99:100], v[99:100], v[103:104]
	v_add_f64 v[61:62], v[61:62], -v[81:82]
	v_fma_f64 v[99:100], v[101:102], v[97:98], v[99:100]
	v_add_f64 v[63:64], v[63:64], -v[99:100]
	ds_read2_b64 v[99:102], v125 offset0:24 offset1:25
	s_waitcnt lgkmcnt(0)
	v_mul_f64 v[81:82], v[101:102], v[103:104]
	v_fma_f64 v[81:82], v[99:100], v[97:98], -v[81:82]
	v_mul_f64 v[99:100], v[99:100], v[103:104]
	v_add_f64 v[57:58], v[57:58], -v[81:82]
	v_fma_f64 v[99:100], v[101:102], v[97:98], v[99:100]
	v_add_f64 v[59:60], v[59:60], -v[99:100]
	ds_read2_b64 v[99:102], v125 offset0:26 offset1:27
	s_waitcnt lgkmcnt(0)
	v_mul_f64 v[81:82], v[101:102], v[103:104]
	v_fma_f64 v[81:82], v[99:100], v[97:98], -v[81:82]
	v_mul_f64 v[99:100], v[99:100], v[103:104]
	v_add_f64 v[53:54], v[53:54], -v[81:82]
	v_fma_f64 v[99:100], v[101:102], v[97:98], v[99:100]
	v_add_f64 v[55:56], v[55:56], -v[99:100]
	ds_read2_b64 v[99:102], v125 offset0:28 offset1:29
	s_waitcnt lgkmcnt(0)
	v_mul_f64 v[81:82], v[101:102], v[103:104]
	v_fma_f64 v[81:82], v[99:100], v[97:98], -v[81:82]
	v_mul_f64 v[99:100], v[99:100], v[103:104]
	v_add_f64 v[49:50], v[49:50], -v[81:82]
	v_fma_f64 v[99:100], v[101:102], v[97:98], v[99:100]
	v_add_f64 v[51:52], v[51:52], -v[99:100]
	ds_read2_b64 v[99:102], v125 offset0:30 offset1:31
	s_waitcnt lgkmcnt(0)
	v_mul_f64 v[81:82], v[101:102], v[103:104]
	v_fma_f64 v[81:82], v[99:100], v[97:98], -v[81:82]
	v_mul_f64 v[99:100], v[99:100], v[103:104]
	v_add_f64 v[45:46], v[45:46], -v[81:82]
	v_fma_f64 v[99:100], v[101:102], v[97:98], v[99:100]
	v_add_f64 v[47:48], v[47:48], -v[99:100]
	ds_read2_b64 v[99:102], v125 offset0:32 offset1:33
	s_waitcnt lgkmcnt(0)
	v_mul_f64 v[81:82], v[101:102], v[103:104]
	v_fma_f64 v[81:82], v[99:100], v[97:98], -v[81:82]
	v_mul_f64 v[99:100], v[99:100], v[103:104]
	v_add_f64 v[41:42], v[41:42], -v[81:82]
	v_fma_f64 v[99:100], v[101:102], v[97:98], v[99:100]
	v_add_f64 v[43:44], v[43:44], -v[99:100]
	ds_read2_b64 v[99:102], v125 offset0:34 offset1:35
	s_waitcnt lgkmcnt(0)
	v_mul_f64 v[81:82], v[101:102], v[103:104]
	v_fma_f64 v[81:82], v[99:100], v[97:98], -v[81:82]
	v_mul_f64 v[99:100], v[99:100], v[103:104]
	v_add_f64 v[37:38], v[37:38], -v[81:82]
	v_fma_f64 v[99:100], v[101:102], v[97:98], v[99:100]
	v_add_f64 v[39:40], v[39:40], -v[99:100]
	ds_read2_b64 v[99:102], v125 offset0:36 offset1:37
	s_waitcnt lgkmcnt(0)
	v_mul_f64 v[81:82], v[101:102], v[103:104]
	v_fma_f64 v[81:82], v[99:100], v[97:98], -v[81:82]
	v_mul_f64 v[99:100], v[99:100], v[103:104]
	v_add_f64 v[33:34], v[33:34], -v[81:82]
	v_fma_f64 v[99:100], v[101:102], v[97:98], v[99:100]
	v_add_f64 v[35:36], v[35:36], -v[99:100]
	ds_read2_b64 v[99:102], v125 offset0:38 offset1:39
	s_waitcnt lgkmcnt(0)
	v_mul_f64 v[81:82], v[101:102], v[103:104]
	v_fma_f64 v[81:82], v[99:100], v[97:98], -v[81:82]
	v_mul_f64 v[99:100], v[99:100], v[103:104]
	v_add_f64 v[29:30], v[29:30], -v[81:82]
	v_fma_f64 v[99:100], v[101:102], v[97:98], v[99:100]
	v_add_f64 v[31:32], v[31:32], -v[99:100]
	ds_read2_b64 v[99:102], v125 offset0:40 offset1:41
	s_waitcnt lgkmcnt(0)
	v_mul_f64 v[81:82], v[101:102], v[103:104]
	v_fma_f64 v[81:82], v[99:100], v[97:98], -v[81:82]
	v_mul_f64 v[99:100], v[99:100], v[103:104]
	v_add_f64 v[25:26], v[25:26], -v[81:82]
	v_fma_f64 v[99:100], v[101:102], v[97:98], v[99:100]
	v_add_f64 v[27:28], v[27:28], -v[99:100]
	ds_read2_b64 v[99:102], v125 offset0:42 offset1:43
	s_waitcnt lgkmcnt(0)
	v_mul_f64 v[81:82], v[101:102], v[103:104]
	v_fma_f64 v[81:82], v[99:100], v[97:98], -v[81:82]
	v_mul_f64 v[99:100], v[99:100], v[103:104]
	v_add_f64 v[21:22], v[21:22], -v[81:82]
	v_fma_f64 v[99:100], v[101:102], v[97:98], v[99:100]
	v_add_f64 v[23:24], v[23:24], -v[99:100]
	ds_read2_b64 v[99:102], v125 offset0:44 offset1:45
	s_waitcnt lgkmcnt(0)
	v_mul_f64 v[81:82], v[101:102], v[103:104]
	v_fma_f64 v[81:82], v[99:100], v[97:98], -v[81:82]
	v_mul_f64 v[99:100], v[99:100], v[103:104]
	v_add_f64 v[17:18], v[17:18], -v[81:82]
	v_fma_f64 v[99:100], v[101:102], v[97:98], v[99:100]
	v_add_f64 v[19:20], v[19:20], -v[99:100]
	ds_read2_b64 v[99:102], v125 offset0:46 offset1:47
	s_waitcnt lgkmcnt(0)
	v_mul_f64 v[81:82], v[101:102], v[103:104]
	v_fma_f64 v[81:82], v[99:100], v[97:98], -v[81:82]
	v_mul_f64 v[99:100], v[99:100], v[103:104]
	v_add_f64 v[13:14], v[13:14], -v[81:82]
	v_fma_f64 v[99:100], v[101:102], v[97:98], v[99:100]
	v_add_f64 v[15:16], v[15:16], -v[99:100]
	ds_read2_b64 v[99:102], v125 offset0:48 offset1:49
	s_waitcnt lgkmcnt(0)
	v_mul_f64 v[81:82], v[101:102], v[103:104]
	v_fma_f64 v[81:82], v[99:100], v[97:98], -v[81:82]
	v_mul_f64 v[99:100], v[99:100], v[103:104]
	v_add_f64 v[9:10], v[9:10], -v[81:82]
	v_fma_f64 v[99:100], v[101:102], v[97:98], v[99:100]
	v_add_f64 v[11:12], v[11:12], -v[99:100]
	ds_read2_b64 v[99:102], v125 offset0:50 offset1:51
	s_waitcnt lgkmcnt(0)
	v_mul_f64 v[81:82], v[101:102], v[103:104]
	v_fma_f64 v[81:82], v[99:100], v[97:98], -v[81:82]
	v_mul_f64 v[99:100], v[99:100], v[103:104]
	v_add_f64 v[5:6], v[5:6], -v[81:82]
	v_fma_f64 v[99:100], v[101:102], v[97:98], v[99:100]
	v_add_f64 v[7:8], v[7:8], -v[99:100]
	ds_read2_b64 v[99:102], v125 offset0:52 offset1:53
	s_waitcnt lgkmcnt(0)
	v_mul_f64 v[81:82], v[101:102], v[103:104]
	v_fma_f64 v[81:82], v[99:100], v[97:98], -v[81:82]
	v_mul_f64 v[99:100], v[99:100], v[103:104]
	v_add_f64 v[1:2], v[1:2], -v[81:82]
	v_fma_f64 v[99:100], v[101:102], v[97:98], v[99:100]
	v_add_f64 v[3:4], v[3:4], -v[99:100]
	ds_read2_b64 v[99:102], v125 offset0:54 offset1:55
	s_waitcnt lgkmcnt(0)
	v_mul_f64 v[81:82], v[101:102], v[103:104]
	v_fma_f64 v[81:82], v[99:100], v[97:98], -v[81:82]
	v_mul_f64 v[99:100], v[99:100], v[103:104]
	v_add_f64 v[89:90], v[89:90], -v[81:82]
	v_fma_f64 v[99:100], v[101:102], v[97:98], v[99:100]
	v_mov_b32_e32 v81, v85
	v_mov_b32_e32 v82, v86
	v_mov_b32_e32 v85, v103
	v_mov_b32_e32 v86, v104
	v_add_f64 v[91:92], v[91:92], -v[99:100]
.LBB55_64:
	s_or_b64 exec, exec, s[2:3]
	v_cmp_eq_u32_e32 vcc, 7, v0
	s_waitcnt vmcnt(0)
	s_barrier
	s_and_saveexec_b64 s[4:5], vcc
	s_cbranch_execz .LBB55_71
; %bb.65:
	ds_write2_b64 v127, v[77:78], v[79:80] offset1:1
	ds_write2_b64 v125, v[73:74], v[75:76] offset0:16 offset1:17
	ds_write2_b64 v125, v[69:70], v[71:72] offset0:18 offset1:19
	;; [unrolled: 1-line block ×20, first 2 shown]
	ds_read2_b64 v[97:100], v127 offset1:1
	s_waitcnt lgkmcnt(0)
	v_cmp_neq_f64_e32 vcc, 0, v[97:98]
	v_cmp_neq_f64_e64 s[2:3], 0, v[99:100]
	s_or_b64 s[2:3], vcc, s[2:3]
	s_and_b64 exec, exec, s[2:3]
	s_cbranch_execz .LBB55_71
; %bb.66:
	v_cmp_ngt_f64_e64 s[2:3], |v[97:98]|, |v[99:100]|
                                        ; implicit-def: $vgpr101_vgpr102
	s_and_saveexec_b64 s[6:7], s[2:3]
	s_xor_b64 s[2:3], exec, s[6:7]
                                        ; implicit-def: $vgpr103_vgpr104
	s_cbranch_execz .LBB55_68
; %bb.67:
	v_div_scale_f64 v[101:102], s[6:7], v[99:100], v[99:100], v[97:98]
	v_rcp_f64_e32 v[103:104], v[101:102]
	v_fma_f64 v[105:106], -v[101:102], v[103:104], 1.0
	v_fma_f64 v[103:104], v[103:104], v[105:106], v[103:104]
	v_div_scale_f64 v[105:106], vcc, v[97:98], v[99:100], v[97:98]
	v_fma_f64 v[107:108], -v[101:102], v[103:104], 1.0
	v_fma_f64 v[103:104], v[103:104], v[107:108], v[103:104]
	v_mul_f64 v[107:108], v[105:106], v[103:104]
	v_fma_f64 v[101:102], -v[101:102], v[107:108], v[105:106]
	v_div_fmas_f64 v[101:102], v[101:102], v[103:104], v[107:108]
	v_div_fixup_f64 v[101:102], v[101:102], v[99:100], v[97:98]
	v_fma_f64 v[97:98], v[97:98], v[101:102], v[99:100]
	v_div_scale_f64 v[99:100], s[6:7], v[97:98], v[97:98], 1.0
	v_div_scale_f64 v[107:108], vcc, 1.0, v[97:98], 1.0
	v_rcp_f64_e32 v[103:104], v[99:100]
	v_fma_f64 v[105:106], -v[99:100], v[103:104], 1.0
	v_fma_f64 v[103:104], v[103:104], v[105:106], v[103:104]
	v_fma_f64 v[105:106], -v[99:100], v[103:104], 1.0
	v_fma_f64 v[103:104], v[103:104], v[105:106], v[103:104]
	v_mul_f64 v[105:106], v[107:108], v[103:104]
	v_fma_f64 v[99:100], -v[99:100], v[105:106], v[107:108]
	v_div_fmas_f64 v[99:100], v[99:100], v[103:104], v[105:106]
	v_div_fixup_f64 v[103:104], v[99:100], v[97:98], 1.0
                                        ; implicit-def: $vgpr97_vgpr98
	v_mul_f64 v[101:102], v[101:102], v[103:104]
	v_xor_b32_e32 v104, 0x80000000, v104
.LBB55_68:
	s_andn2_saveexec_b64 s[2:3], s[2:3]
	s_cbranch_execz .LBB55_70
; %bb.69:
	v_div_scale_f64 v[101:102], s[6:7], v[97:98], v[97:98], v[99:100]
	v_rcp_f64_e32 v[103:104], v[101:102]
	v_fma_f64 v[105:106], -v[101:102], v[103:104], 1.0
	v_fma_f64 v[103:104], v[103:104], v[105:106], v[103:104]
	v_div_scale_f64 v[105:106], vcc, v[99:100], v[97:98], v[99:100]
	v_fma_f64 v[107:108], -v[101:102], v[103:104], 1.0
	v_fma_f64 v[103:104], v[103:104], v[107:108], v[103:104]
	v_mul_f64 v[107:108], v[105:106], v[103:104]
	v_fma_f64 v[101:102], -v[101:102], v[107:108], v[105:106]
	v_div_fmas_f64 v[101:102], v[101:102], v[103:104], v[107:108]
	v_div_fixup_f64 v[103:104], v[101:102], v[97:98], v[99:100]
	v_fma_f64 v[97:98], v[99:100], v[103:104], v[97:98]
	v_div_scale_f64 v[99:100], s[6:7], v[97:98], v[97:98], 1.0
	v_div_scale_f64 v[107:108], vcc, 1.0, v[97:98], 1.0
	v_rcp_f64_e32 v[101:102], v[99:100]
	v_fma_f64 v[105:106], -v[99:100], v[101:102], 1.0
	v_fma_f64 v[101:102], v[101:102], v[105:106], v[101:102]
	v_fma_f64 v[105:106], -v[99:100], v[101:102], 1.0
	v_fma_f64 v[101:102], v[101:102], v[105:106], v[101:102]
	v_mul_f64 v[105:106], v[107:108], v[101:102]
	v_fma_f64 v[99:100], -v[99:100], v[105:106], v[107:108]
	v_div_fmas_f64 v[99:100], v[99:100], v[101:102], v[105:106]
	v_div_fixup_f64 v[101:102], v[99:100], v[97:98], 1.0
	v_mul_f64 v[103:104], v[103:104], -v[101:102]
.LBB55_70:
	s_or_b64 exec, exec, s[2:3]
	ds_write2_b64 v127, v[101:102], v[103:104] offset1:1
.LBB55_71:
	s_or_b64 exec, exec, s[4:5]
	s_waitcnt lgkmcnt(0)
	s_barrier
	ds_read2_b64 v[97:100], v127 offset1:1
	v_cmp_lt_u32_e32 vcc, 7, v0
	s_waitcnt lgkmcnt(0)
	buffer_store_dword v97, off, s[20:23], 0 offset:416 ; 4-byte Folded Spill
	s_nop 0
	buffer_store_dword v98, off, s[20:23], 0 offset:420 ; 4-byte Folded Spill
	buffer_store_dword v99, off, s[20:23], 0 offset:424 ; 4-byte Folded Spill
	;; [unrolled: 1-line block ×3, first 2 shown]
	s_and_saveexec_b64 s[2:3], vcc
	s_cbranch_execz .LBB55_73
; %bb.72:
	buffer_load_dword v99, off, s[20:23], 0 offset:416 ; 4-byte Folded Reload
	buffer_load_dword v100, off, s[20:23], 0 offset:420 ; 4-byte Folded Reload
	;; [unrolled: 1-line block ×4, first 2 shown]
	s_waitcnt vmcnt(0)
	v_mul_f64 v[97:98], v[101:102], v[79:80]
	v_mul_f64 v[79:80], v[99:100], v[79:80]
	v_fma_f64 v[97:98], v[99:100], v[77:78], -v[97:98]
	v_fma_f64 v[79:80], v[101:102], v[77:78], v[79:80]
	ds_read2_b64 v[99:102], v125 offset0:16 offset1:17
	s_waitcnt lgkmcnt(0)
	v_mul_f64 v[77:78], v[101:102], v[79:80]
	v_fma_f64 v[77:78], v[99:100], v[97:98], -v[77:78]
	v_mul_f64 v[99:100], v[99:100], v[79:80]
	v_add_f64 v[73:74], v[73:74], -v[77:78]
	v_fma_f64 v[99:100], v[101:102], v[97:98], v[99:100]
	v_add_f64 v[75:76], v[75:76], -v[99:100]
	ds_read2_b64 v[99:102], v125 offset0:18 offset1:19
	s_waitcnt lgkmcnt(0)
	v_mul_f64 v[77:78], v[101:102], v[79:80]
	v_fma_f64 v[77:78], v[99:100], v[97:98], -v[77:78]
	v_mul_f64 v[99:100], v[99:100], v[79:80]
	v_add_f64 v[69:70], v[69:70], -v[77:78]
	v_fma_f64 v[99:100], v[101:102], v[97:98], v[99:100]
	v_add_f64 v[71:72], v[71:72], -v[99:100]
	;; [unrolled: 8-line block ×19, first 2 shown]
	ds_read2_b64 v[99:102], v125 offset0:54 offset1:55
	s_waitcnt lgkmcnt(0)
	v_mul_f64 v[77:78], v[101:102], v[79:80]
	v_fma_f64 v[77:78], v[99:100], v[97:98], -v[77:78]
	v_mul_f64 v[99:100], v[99:100], v[79:80]
	v_add_f64 v[89:90], v[89:90], -v[77:78]
	v_fma_f64 v[99:100], v[101:102], v[97:98], v[99:100]
	v_mov_b32_e32 v77, v97
	v_mov_b32_e32 v78, v98
	v_add_f64 v[91:92], v[91:92], -v[99:100]
.LBB55_73:
	s_or_b64 exec, exec, s[2:3]
	v_cmp_eq_u32_e32 vcc, 8, v0
	s_waitcnt vmcnt(0)
	s_barrier
	s_and_saveexec_b64 s[4:5], vcc
	s_cbranch_execz .LBB55_80
; %bb.74:
	ds_write2_b64 v127, v[73:74], v[75:76] offset1:1
	ds_write2_b64 v125, v[69:70], v[71:72] offset0:18 offset1:19
	ds_write2_b64 v125, v[65:66], v[67:68] offset0:20 offset1:21
	;; [unrolled: 1-line block ×19, first 2 shown]
	ds_read2_b64 v[97:100], v127 offset1:1
	s_waitcnt lgkmcnt(0)
	v_cmp_neq_f64_e32 vcc, 0, v[97:98]
	v_cmp_neq_f64_e64 s[2:3], 0, v[99:100]
	s_or_b64 s[2:3], vcc, s[2:3]
	s_and_b64 exec, exec, s[2:3]
	s_cbranch_execz .LBB55_80
; %bb.75:
	v_cmp_ngt_f64_e64 s[2:3], |v[97:98]|, |v[99:100]|
                                        ; implicit-def: $vgpr101_vgpr102
	s_and_saveexec_b64 s[6:7], s[2:3]
	s_xor_b64 s[2:3], exec, s[6:7]
                                        ; implicit-def: $vgpr103_vgpr104
	s_cbranch_execz .LBB55_77
; %bb.76:
	v_div_scale_f64 v[101:102], s[6:7], v[99:100], v[99:100], v[97:98]
	v_rcp_f64_e32 v[103:104], v[101:102]
	v_fma_f64 v[105:106], -v[101:102], v[103:104], 1.0
	v_fma_f64 v[103:104], v[103:104], v[105:106], v[103:104]
	v_div_scale_f64 v[105:106], vcc, v[97:98], v[99:100], v[97:98]
	v_fma_f64 v[107:108], -v[101:102], v[103:104], 1.0
	v_fma_f64 v[103:104], v[103:104], v[107:108], v[103:104]
	v_mul_f64 v[107:108], v[105:106], v[103:104]
	v_fma_f64 v[101:102], -v[101:102], v[107:108], v[105:106]
	v_div_fmas_f64 v[101:102], v[101:102], v[103:104], v[107:108]
	v_div_fixup_f64 v[101:102], v[101:102], v[99:100], v[97:98]
	v_fma_f64 v[97:98], v[97:98], v[101:102], v[99:100]
	v_div_scale_f64 v[99:100], s[6:7], v[97:98], v[97:98], 1.0
	v_div_scale_f64 v[107:108], vcc, 1.0, v[97:98], 1.0
	v_rcp_f64_e32 v[103:104], v[99:100]
	v_fma_f64 v[105:106], -v[99:100], v[103:104], 1.0
	v_fma_f64 v[103:104], v[103:104], v[105:106], v[103:104]
	v_fma_f64 v[105:106], -v[99:100], v[103:104], 1.0
	v_fma_f64 v[103:104], v[103:104], v[105:106], v[103:104]
	v_mul_f64 v[105:106], v[107:108], v[103:104]
	v_fma_f64 v[99:100], -v[99:100], v[105:106], v[107:108]
	v_div_fmas_f64 v[99:100], v[99:100], v[103:104], v[105:106]
	v_div_fixup_f64 v[103:104], v[99:100], v[97:98], 1.0
                                        ; implicit-def: $vgpr97_vgpr98
	v_mul_f64 v[101:102], v[101:102], v[103:104]
	v_xor_b32_e32 v104, 0x80000000, v104
.LBB55_77:
	s_andn2_saveexec_b64 s[2:3], s[2:3]
	s_cbranch_execz .LBB55_79
; %bb.78:
	v_div_scale_f64 v[101:102], s[6:7], v[97:98], v[97:98], v[99:100]
	v_rcp_f64_e32 v[103:104], v[101:102]
	v_fma_f64 v[105:106], -v[101:102], v[103:104], 1.0
	v_fma_f64 v[103:104], v[103:104], v[105:106], v[103:104]
	v_div_scale_f64 v[105:106], vcc, v[99:100], v[97:98], v[99:100]
	v_fma_f64 v[107:108], -v[101:102], v[103:104], 1.0
	v_fma_f64 v[103:104], v[103:104], v[107:108], v[103:104]
	v_mul_f64 v[107:108], v[105:106], v[103:104]
	v_fma_f64 v[101:102], -v[101:102], v[107:108], v[105:106]
	v_div_fmas_f64 v[101:102], v[101:102], v[103:104], v[107:108]
	v_div_fixup_f64 v[103:104], v[101:102], v[97:98], v[99:100]
	v_fma_f64 v[97:98], v[99:100], v[103:104], v[97:98]
	v_div_scale_f64 v[99:100], s[6:7], v[97:98], v[97:98], 1.0
	v_div_scale_f64 v[107:108], vcc, 1.0, v[97:98], 1.0
	v_rcp_f64_e32 v[101:102], v[99:100]
	v_fma_f64 v[105:106], -v[99:100], v[101:102], 1.0
	v_fma_f64 v[101:102], v[101:102], v[105:106], v[101:102]
	v_fma_f64 v[105:106], -v[99:100], v[101:102], 1.0
	v_fma_f64 v[101:102], v[101:102], v[105:106], v[101:102]
	v_mul_f64 v[105:106], v[107:108], v[101:102]
	v_fma_f64 v[99:100], -v[99:100], v[105:106], v[107:108]
	v_div_fmas_f64 v[99:100], v[99:100], v[101:102], v[105:106]
	v_div_fixup_f64 v[101:102], v[99:100], v[97:98], 1.0
	v_mul_f64 v[103:104], v[103:104], -v[101:102]
.LBB55_79:
	s_or_b64 exec, exec, s[2:3]
	ds_write2_b64 v127, v[101:102], v[103:104] offset1:1
.LBB55_80:
	s_or_b64 exec, exec, s[4:5]
	s_waitcnt lgkmcnt(0)
	s_barrier
	ds_read2_b64 v[97:100], v127 offset1:1
	v_cmp_lt_u32_e32 vcc, 8, v0
	s_waitcnt lgkmcnt(0)
	buffer_store_dword v97, off, s[20:23], 0 offset:432 ; 4-byte Folded Spill
	s_nop 0
	buffer_store_dword v98, off, s[20:23], 0 offset:436 ; 4-byte Folded Spill
	buffer_store_dword v99, off, s[20:23], 0 offset:440 ; 4-byte Folded Spill
	;; [unrolled: 1-line block ×3, first 2 shown]
	s_and_saveexec_b64 s[2:3], vcc
	s_cbranch_execz .LBB55_82
; %bb.81:
	buffer_load_dword v99, off, s[20:23], 0 offset:432 ; 4-byte Folded Reload
	buffer_load_dword v100, off, s[20:23], 0 offset:436 ; 4-byte Folded Reload
	;; [unrolled: 1-line block ×4, first 2 shown]
	s_waitcnt vmcnt(0)
	v_mul_f64 v[97:98], v[101:102], v[75:76]
	v_mul_f64 v[75:76], v[99:100], v[75:76]
	v_fma_f64 v[97:98], v[99:100], v[73:74], -v[97:98]
	v_fma_f64 v[75:76], v[101:102], v[73:74], v[75:76]
	ds_read2_b64 v[99:102], v125 offset0:18 offset1:19
	s_waitcnt lgkmcnt(0)
	v_mul_f64 v[73:74], v[101:102], v[75:76]
	v_fma_f64 v[73:74], v[99:100], v[97:98], -v[73:74]
	v_mul_f64 v[99:100], v[99:100], v[75:76]
	v_add_f64 v[69:70], v[69:70], -v[73:74]
	v_fma_f64 v[99:100], v[101:102], v[97:98], v[99:100]
	v_add_f64 v[71:72], v[71:72], -v[99:100]
	ds_read2_b64 v[99:102], v125 offset0:20 offset1:21
	s_waitcnt lgkmcnt(0)
	v_mul_f64 v[73:74], v[101:102], v[75:76]
	v_fma_f64 v[73:74], v[99:100], v[97:98], -v[73:74]
	v_mul_f64 v[99:100], v[99:100], v[75:76]
	v_add_f64 v[65:66], v[65:66], -v[73:74]
	v_fma_f64 v[99:100], v[101:102], v[97:98], v[99:100]
	v_add_f64 v[67:68], v[67:68], -v[99:100]
	;; [unrolled: 8-line block ×18, first 2 shown]
	ds_read2_b64 v[99:102], v125 offset0:54 offset1:55
	s_waitcnt lgkmcnt(0)
	v_mul_f64 v[73:74], v[101:102], v[75:76]
	v_fma_f64 v[73:74], v[99:100], v[97:98], -v[73:74]
	v_mul_f64 v[99:100], v[99:100], v[75:76]
	v_add_f64 v[89:90], v[89:90], -v[73:74]
	v_fma_f64 v[99:100], v[101:102], v[97:98], v[99:100]
	v_mov_b32_e32 v73, v97
	v_mov_b32_e32 v74, v98
	v_add_f64 v[91:92], v[91:92], -v[99:100]
.LBB55_82:
	s_or_b64 exec, exec, s[2:3]
	v_cmp_eq_u32_e32 vcc, 9, v0
	s_waitcnt vmcnt(0)
	s_barrier
	s_and_saveexec_b64 s[4:5], vcc
	s_cbranch_execz .LBB55_89
; %bb.83:
	ds_write2_b64 v127, v[69:70], v[71:72] offset1:1
	ds_write2_b64 v125, v[65:66], v[67:68] offset0:20 offset1:21
	ds_write2_b64 v125, v[61:62], v[63:64] offset0:22 offset1:23
	;; [unrolled: 1-line block ×18, first 2 shown]
	ds_read2_b64 v[97:100], v127 offset1:1
	s_waitcnt lgkmcnt(0)
	v_cmp_neq_f64_e32 vcc, 0, v[97:98]
	v_cmp_neq_f64_e64 s[2:3], 0, v[99:100]
	s_or_b64 s[2:3], vcc, s[2:3]
	s_and_b64 exec, exec, s[2:3]
	s_cbranch_execz .LBB55_89
; %bb.84:
	v_cmp_ngt_f64_e64 s[2:3], |v[97:98]|, |v[99:100]|
                                        ; implicit-def: $vgpr101_vgpr102
	s_and_saveexec_b64 s[6:7], s[2:3]
	s_xor_b64 s[2:3], exec, s[6:7]
                                        ; implicit-def: $vgpr103_vgpr104
	s_cbranch_execz .LBB55_86
; %bb.85:
	v_div_scale_f64 v[101:102], s[6:7], v[99:100], v[99:100], v[97:98]
	v_rcp_f64_e32 v[103:104], v[101:102]
	v_fma_f64 v[105:106], -v[101:102], v[103:104], 1.0
	v_fma_f64 v[103:104], v[103:104], v[105:106], v[103:104]
	v_div_scale_f64 v[105:106], vcc, v[97:98], v[99:100], v[97:98]
	v_fma_f64 v[107:108], -v[101:102], v[103:104], 1.0
	v_fma_f64 v[103:104], v[103:104], v[107:108], v[103:104]
	v_mul_f64 v[107:108], v[105:106], v[103:104]
	v_fma_f64 v[101:102], -v[101:102], v[107:108], v[105:106]
	v_div_fmas_f64 v[101:102], v[101:102], v[103:104], v[107:108]
	v_div_fixup_f64 v[101:102], v[101:102], v[99:100], v[97:98]
	v_fma_f64 v[97:98], v[97:98], v[101:102], v[99:100]
	v_div_scale_f64 v[99:100], s[6:7], v[97:98], v[97:98], 1.0
	v_div_scale_f64 v[107:108], vcc, 1.0, v[97:98], 1.0
	v_rcp_f64_e32 v[103:104], v[99:100]
	v_fma_f64 v[105:106], -v[99:100], v[103:104], 1.0
	v_fma_f64 v[103:104], v[103:104], v[105:106], v[103:104]
	v_fma_f64 v[105:106], -v[99:100], v[103:104], 1.0
	v_fma_f64 v[103:104], v[103:104], v[105:106], v[103:104]
	v_mul_f64 v[105:106], v[107:108], v[103:104]
	v_fma_f64 v[99:100], -v[99:100], v[105:106], v[107:108]
	v_div_fmas_f64 v[99:100], v[99:100], v[103:104], v[105:106]
	v_div_fixup_f64 v[103:104], v[99:100], v[97:98], 1.0
                                        ; implicit-def: $vgpr97_vgpr98
	v_mul_f64 v[101:102], v[101:102], v[103:104]
	v_xor_b32_e32 v104, 0x80000000, v104
.LBB55_86:
	s_andn2_saveexec_b64 s[2:3], s[2:3]
	s_cbranch_execz .LBB55_88
; %bb.87:
	v_div_scale_f64 v[101:102], s[6:7], v[97:98], v[97:98], v[99:100]
	v_rcp_f64_e32 v[103:104], v[101:102]
	v_fma_f64 v[105:106], -v[101:102], v[103:104], 1.0
	v_fma_f64 v[103:104], v[103:104], v[105:106], v[103:104]
	v_div_scale_f64 v[105:106], vcc, v[99:100], v[97:98], v[99:100]
	v_fma_f64 v[107:108], -v[101:102], v[103:104], 1.0
	v_fma_f64 v[103:104], v[103:104], v[107:108], v[103:104]
	v_mul_f64 v[107:108], v[105:106], v[103:104]
	v_fma_f64 v[101:102], -v[101:102], v[107:108], v[105:106]
	v_div_fmas_f64 v[101:102], v[101:102], v[103:104], v[107:108]
	v_div_fixup_f64 v[103:104], v[101:102], v[97:98], v[99:100]
	v_fma_f64 v[97:98], v[99:100], v[103:104], v[97:98]
	v_div_scale_f64 v[99:100], s[6:7], v[97:98], v[97:98], 1.0
	v_div_scale_f64 v[107:108], vcc, 1.0, v[97:98], 1.0
	v_rcp_f64_e32 v[101:102], v[99:100]
	v_fma_f64 v[105:106], -v[99:100], v[101:102], 1.0
	v_fma_f64 v[101:102], v[101:102], v[105:106], v[101:102]
	v_fma_f64 v[105:106], -v[99:100], v[101:102], 1.0
	v_fma_f64 v[101:102], v[101:102], v[105:106], v[101:102]
	v_mul_f64 v[105:106], v[107:108], v[101:102]
	v_fma_f64 v[99:100], -v[99:100], v[105:106], v[107:108]
	v_div_fmas_f64 v[99:100], v[99:100], v[101:102], v[105:106]
	v_div_fixup_f64 v[101:102], v[99:100], v[97:98], 1.0
	v_mul_f64 v[103:104], v[103:104], -v[101:102]
.LBB55_88:
	s_or_b64 exec, exec, s[2:3]
	ds_write2_b64 v127, v[101:102], v[103:104] offset1:1
.LBB55_89:
	s_or_b64 exec, exec, s[4:5]
	s_waitcnt lgkmcnt(0)
	s_barrier
	ds_read2_b64 v[97:100], v127 offset1:1
	v_cmp_lt_u32_e32 vcc, 9, v0
	s_waitcnt lgkmcnt(0)
	buffer_store_dword v97, off, s[20:23], 0 offset:448 ; 4-byte Folded Spill
	s_nop 0
	buffer_store_dword v98, off, s[20:23], 0 offset:452 ; 4-byte Folded Spill
	buffer_store_dword v99, off, s[20:23], 0 offset:456 ; 4-byte Folded Spill
	;; [unrolled: 1-line block ×3, first 2 shown]
	s_and_saveexec_b64 s[2:3], vcc
	s_cbranch_execz .LBB55_91
; %bb.90:
	buffer_load_dword v99, off, s[20:23], 0 offset:448 ; 4-byte Folded Reload
	buffer_load_dword v100, off, s[20:23], 0 offset:452 ; 4-byte Folded Reload
	;; [unrolled: 1-line block ×4, first 2 shown]
	s_waitcnt vmcnt(0)
	v_mul_f64 v[97:98], v[101:102], v[71:72]
	v_mul_f64 v[71:72], v[99:100], v[71:72]
	v_fma_f64 v[97:98], v[99:100], v[69:70], -v[97:98]
	v_fma_f64 v[71:72], v[101:102], v[69:70], v[71:72]
	ds_read2_b64 v[99:102], v125 offset0:20 offset1:21
	s_waitcnt lgkmcnt(0)
	v_mul_f64 v[69:70], v[101:102], v[71:72]
	v_fma_f64 v[69:70], v[99:100], v[97:98], -v[69:70]
	v_mul_f64 v[99:100], v[99:100], v[71:72]
	v_add_f64 v[65:66], v[65:66], -v[69:70]
	v_fma_f64 v[99:100], v[101:102], v[97:98], v[99:100]
	v_add_f64 v[67:68], v[67:68], -v[99:100]
	ds_read2_b64 v[99:102], v125 offset0:22 offset1:23
	s_waitcnt lgkmcnt(0)
	v_mul_f64 v[69:70], v[101:102], v[71:72]
	v_fma_f64 v[69:70], v[99:100], v[97:98], -v[69:70]
	v_mul_f64 v[99:100], v[99:100], v[71:72]
	v_add_f64 v[61:62], v[61:62], -v[69:70]
	v_fma_f64 v[99:100], v[101:102], v[97:98], v[99:100]
	v_add_f64 v[63:64], v[63:64], -v[99:100]
	;; [unrolled: 8-line block ×17, first 2 shown]
	ds_read2_b64 v[99:102], v125 offset0:54 offset1:55
	s_waitcnt lgkmcnt(0)
	v_mul_f64 v[69:70], v[101:102], v[71:72]
	v_fma_f64 v[69:70], v[99:100], v[97:98], -v[69:70]
	v_mul_f64 v[99:100], v[99:100], v[71:72]
	v_add_f64 v[89:90], v[89:90], -v[69:70]
	v_fma_f64 v[99:100], v[101:102], v[97:98], v[99:100]
	v_mov_b32_e32 v69, v97
	v_mov_b32_e32 v70, v98
	v_add_f64 v[91:92], v[91:92], -v[99:100]
.LBB55_91:
	s_or_b64 exec, exec, s[2:3]
	v_cmp_eq_u32_e32 vcc, 10, v0
	s_waitcnt vmcnt(0)
	s_barrier
	s_and_saveexec_b64 s[4:5], vcc
	s_cbranch_execz .LBB55_98
; %bb.92:
	ds_write2_b64 v127, v[65:66], v[67:68] offset1:1
	ds_write2_b64 v125, v[61:62], v[63:64] offset0:22 offset1:23
	ds_write2_b64 v125, v[57:58], v[59:60] offset0:24 offset1:25
	;; [unrolled: 1-line block ×17, first 2 shown]
	ds_read2_b64 v[97:100], v127 offset1:1
	s_waitcnt lgkmcnt(0)
	v_cmp_neq_f64_e32 vcc, 0, v[97:98]
	v_cmp_neq_f64_e64 s[2:3], 0, v[99:100]
	s_or_b64 s[2:3], vcc, s[2:3]
	s_and_b64 exec, exec, s[2:3]
	s_cbranch_execz .LBB55_98
; %bb.93:
	v_cmp_ngt_f64_e64 s[2:3], |v[97:98]|, |v[99:100]|
                                        ; implicit-def: $vgpr101_vgpr102
	s_and_saveexec_b64 s[6:7], s[2:3]
	s_xor_b64 s[2:3], exec, s[6:7]
                                        ; implicit-def: $vgpr103_vgpr104
	s_cbranch_execz .LBB55_95
; %bb.94:
	v_div_scale_f64 v[101:102], s[6:7], v[99:100], v[99:100], v[97:98]
	v_rcp_f64_e32 v[103:104], v[101:102]
	v_fma_f64 v[105:106], -v[101:102], v[103:104], 1.0
	v_fma_f64 v[103:104], v[103:104], v[105:106], v[103:104]
	v_div_scale_f64 v[105:106], vcc, v[97:98], v[99:100], v[97:98]
	v_fma_f64 v[107:108], -v[101:102], v[103:104], 1.0
	v_fma_f64 v[103:104], v[103:104], v[107:108], v[103:104]
	v_mul_f64 v[107:108], v[105:106], v[103:104]
	v_fma_f64 v[101:102], -v[101:102], v[107:108], v[105:106]
	v_div_fmas_f64 v[101:102], v[101:102], v[103:104], v[107:108]
	v_div_fixup_f64 v[101:102], v[101:102], v[99:100], v[97:98]
	v_fma_f64 v[97:98], v[97:98], v[101:102], v[99:100]
	v_div_scale_f64 v[99:100], s[6:7], v[97:98], v[97:98], 1.0
	v_div_scale_f64 v[107:108], vcc, 1.0, v[97:98], 1.0
	v_rcp_f64_e32 v[103:104], v[99:100]
	v_fma_f64 v[105:106], -v[99:100], v[103:104], 1.0
	v_fma_f64 v[103:104], v[103:104], v[105:106], v[103:104]
	v_fma_f64 v[105:106], -v[99:100], v[103:104], 1.0
	v_fma_f64 v[103:104], v[103:104], v[105:106], v[103:104]
	v_mul_f64 v[105:106], v[107:108], v[103:104]
	v_fma_f64 v[99:100], -v[99:100], v[105:106], v[107:108]
	v_div_fmas_f64 v[99:100], v[99:100], v[103:104], v[105:106]
	v_div_fixup_f64 v[103:104], v[99:100], v[97:98], 1.0
                                        ; implicit-def: $vgpr97_vgpr98
	v_mul_f64 v[101:102], v[101:102], v[103:104]
	v_xor_b32_e32 v104, 0x80000000, v104
.LBB55_95:
	s_andn2_saveexec_b64 s[2:3], s[2:3]
	s_cbranch_execz .LBB55_97
; %bb.96:
	v_div_scale_f64 v[101:102], s[6:7], v[97:98], v[97:98], v[99:100]
	v_rcp_f64_e32 v[103:104], v[101:102]
	v_fma_f64 v[105:106], -v[101:102], v[103:104], 1.0
	v_fma_f64 v[103:104], v[103:104], v[105:106], v[103:104]
	v_div_scale_f64 v[105:106], vcc, v[99:100], v[97:98], v[99:100]
	v_fma_f64 v[107:108], -v[101:102], v[103:104], 1.0
	v_fma_f64 v[103:104], v[103:104], v[107:108], v[103:104]
	v_mul_f64 v[107:108], v[105:106], v[103:104]
	v_fma_f64 v[101:102], -v[101:102], v[107:108], v[105:106]
	v_div_fmas_f64 v[101:102], v[101:102], v[103:104], v[107:108]
	v_div_fixup_f64 v[103:104], v[101:102], v[97:98], v[99:100]
	v_fma_f64 v[97:98], v[99:100], v[103:104], v[97:98]
	v_div_scale_f64 v[99:100], s[6:7], v[97:98], v[97:98], 1.0
	v_div_scale_f64 v[107:108], vcc, 1.0, v[97:98], 1.0
	v_rcp_f64_e32 v[101:102], v[99:100]
	v_fma_f64 v[105:106], -v[99:100], v[101:102], 1.0
	v_fma_f64 v[101:102], v[101:102], v[105:106], v[101:102]
	v_fma_f64 v[105:106], -v[99:100], v[101:102], 1.0
	v_fma_f64 v[101:102], v[101:102], v[105:106], v[101:102]
	v_mul_f64 v[105:106], v[107:108], v[101:102]
	v_fma_f64 v[99:100], -v[99:100], v[105:106], v[107:108]
	v_div_fmas_f64 v[99:100], v[99:100], v[101:102], v[105:106]
	v_div_fixup_f64 v[101:102], v[99:100], v[97:98], 1.0
	v_mul_f64 v[103:104], v[103:104], -v[101:102]
.LBB55_97:
	s_or_b64 exec, exec, s[2:3]
	ds_write2_b64 v127, v[101:102], v[103:104] offset1:1
.LBB55_98:
	s_or_b64 exec, exec, s[4:5]
	s_waitcnt lgkmcnt(0)
	s_barrier
	ds_read2_b64 v[97:100], v127 offset1:1
	v_cmp_lt_u32_e32 vcc, 10, v0
	s_waitcnt lgkmcnt(0)
	buffer_store_dword v97, off, s[20:23], 0 offset:464 ; 4-byte Folded Spill
	s_nop 0
	buffer_store_dword v98, off, s[20:23], 0 offset:468 ; 4-byte Folded Spill
	buffer_store_dword v99, off, s[20:23], 0 offset:472 ; 4-byte Folded Spill
	;; [unrolled: 1-line block ×3, first 2 shown]
	s_and_saveexec_b64 s[2:3], vcc
	s_cbranch_execz .LBB55_100
; %bb.99:
	buffer_load_dword v99, off, s[20:23], 0 offset:464 ; 4-byte Folded Reload
	buffer_load_dword v100, off, s[20:23], 0 offset:468 ; 4-byte Folded Reload
	;; [unrolled: 1-line block ×4, first 2 shown]
	s_waitcnt vmcnt(0)
	v_mul_f64 v[97:98], v[101:102], v[67:68]
	v_mul_f64 v[67:68], v[99:100], v[67:68]
	v_fma_f64 v[97:98], v[99:100], v[65:66], -v[97:98]
	v_fma_f64 v[67:68], v[101:102], v[65:66], v[67:68]
	ds_read2_b64 v[99:102], v125 offset0:22 offset1:23
	s_waitcnt lgkmcnt(0)
	v_mul_f64 v[65:66], v[101:102], v[67:68]
	v_fma_f64 v[65:66], v[99:100], v[97:98], -v[65:66]
	v_mul_f64 v[99:100], v[99:100], v[67:68]
	v_add_f64 v[61:62], v[61:62], -v[65:66]
	v_fma_f64 v[99:100], v[101:102], v[97:98], v[99:100]
	v_add_f64 v[63:64], v[63:64], -v[99:100]
	ds_read2_b64 v[99:102], v125 offset0:24 offset1:25
	s_waitcnt lgkmcnt(0)
	v_mul_f64 v[65:66], v[101:102], v[67:68]
	v_fma_f64 v[65:66], v[99:100], v[97:98], -v[65:66]
	v_mul_f64 v[99:100], v[99:100], v[67:68]
	v_add_f64 v[57:58], v[57:58], -v[65:66]
	v_fma_f64 v[99:100], v[101:102], v[97:98], v[99:100]
	v_add_f64 v[59:60], v[59:60], -v[99:100]
	ds_read2_b64 v[99:102], v125 offset0:26 offset1:27
	s_waitcnt lgkmcnt(0)
	v_mul_f64 v[65:66], v[101:102], v[67:68]
	v_fma_f64 v[65:66], v[99:100], v[97:98], -v[65:66]
	v_mul_f64 v[99:100], v[99:100], v[67:68]
	v_add_f64 v[53:54], v[53:54], -v[65:66]
	v_fma_f64 v[99:100], v[101:102], v[97:98], v[99:100]
	v_add_f64 v[55:56], v[55:56], -v[99:100]
	ds_read2_b64 v[99:102], v125 offset0:28 offset1:29
	s_waitcnt lgkmcnt(0)
	v_mul_f64 v[65:66], v[101:102], v[67:68]
	v_fma_f64 v[65:66], v[99:100], v[97:98], -v[65:66]
	v_mul_f64 v[99:100], v[99:100], v[67:68]
	v_add_f64 v[49:50], v[49:50], -v[65:66]
	v_fma_f64 v[99:100], v[101:102], v[97:98], v[99:100]
	v_add_f64 v[51:52], v[51:52], -v[99:100]
	ds_read2_b64 v[99:102], v125 offset0:30 offset1:31
	s_waitcnt lgkmcnt(0)
	v_mul_f64 v[65:66], v[101:102], v[67:68]
	v_fma_f64 v[65:66], v[99:100], v[97:98], -v[65:66]
	v_mul_f64 v[99:100], v[99:100], v[67:68]
	v_add_f64 v[45:46], v[45:46], -v[65:66]
	v_fma_f64 v[99:100], v[101:102], v[97:98], v[99:100]
	v_add_f64 v[47:48], v[47:48], -v[99:100]
	ds_read2_b64 v[99:102], v125 offset0:32 offset1:33
	s_waitcnt lgkmcnt(0)
	v_mul_f64 v[65:66], v[101:102], v[67:68]
	v_fma_f64 v[65:66], v[99:100], v[97:98], -v[65:66]
	v_mul_f64 v[99:100], v[99:100], v[67:68]
	v_add_f64 v[41:42], v[41:42], -v[65:66]
	v_fma_f64 v[99:100], v[101:102], v[97:98], v[99:100]
	v_add_f64 v[43:44], v[43:44], -v[99:100]
	ds_read2_b64 v[99:102], v125 offset0:34 offset1:35
	s_waitcnt lgkmcnt(0)
	v_mul_f64 v[65:66], v[101:102], v[67:68]
	v_fma_f64 v[65:66], v[99:100], v[97:98], -v[65:66]
	v_mul_f64 v[99:100], v[99:100], v[67:68]
	v_add_f64 v[37:38], v[37:38], -v[65:66]
	v_fma_f64 v[99:100], v[101:102], v[97:98], v[99:100]
	v_add_f64 v[39:40], v[39:40], -v[99:100]
	ds_read2_b64 v[99:102], v125 offset0:36 offset1:37
	s_waitcnt lgkmcnt(0)
	v_mul_f64 v[65:66], v[101:102], v[67:68]
	v_fma_f64 v[65:66], v[99:100], v[97:98], -v[65:66]
	v_mul_f64 v[99:100], v[99:100], v[67:68]
	v_add_f64 v[33:34], v[33:34], -v[65:66]
	v_fma_f64 v[99:100], v[101:102], v[97:98], v[99:100]
	v_add_f64 v[35:36], v[35:36], -v[99:100]
	ds_read2_b64 v[99:102], v125 offset0:38 offset1:39
	s_waitcnt lgkmcnt(0)
	v_mul_f64 v[65:66], v[101:102], v[67:68]
	v_fma_f64 v[65:66], v[99:100], v[97:98], -v[65:66]
	v_mul_f64 v[99:100], v[99:100], v[67:68]
	v_add_f64 v[29:30], v[29:30], -v[65:66]
	v_fma_f64 v[99:100], v[101:102], v[97:98], v[99:100]
	v_add_f64 v[31:32], v[31:32], -v[99:100]
	ds_read2_b64 v[99:102], v125 offset0:40 offset1:41
	s_waitcnt lgkmcnt(0)
	v_mul_f64 v[65:66], v[101:102], v[67:68]
	v_fma_f64 v[65:66], v[99:100], v[97:98], -v[65:66]
	v_mul_f64 v[99:100], v[99:100], v[67:68]
	v_add_f64 v[25:26], v[25:26], -v[65:66]
	v_fma_f64 v[99:100], v[101:102], v[97:98], v[99:100]
	v_add_f64 v[27:28], v[27:28], -v[99:100]
	ds_read2_b64 v[99:102], v125 offset0:42 offset1:43
	s_waitcnt lgkmcnt(0)
	v_mul_f64 v[65:66], v[101:102], v[67:68]
	v_fma_f64 v[65:66], v[99:100], v[97:98], -v[65:66]
	v_mul_f64 v[99:100], v[99:100], v[67:68]
	v_add_f64 v[21:22], v[21:22], -v[65:66]
	v_fma_f64 v[99:100], v[101:102], v[97:98], v[99:100]
	v_add_f64 v[23:24], v[23:24], -v[99:100]
	ds_read2_b64 v[99:102], v125 offset0:44 offset1:45
	s_waitcnt lgkmcnt(0)
	v_mul_f64 v[65:66], v[101:102], v[67:68]
	v_fma_f64 v[65:66], v[99:100], v[97:98], -v[65:66]
	v_mul_f64 v[99:100], v[99:100], v[67:68]
	v_add_f64 v[17:18], v[17:18], -v[65:66]
	v_fma_f64 v[99:100], v[101:102], v[97:98], v[99:100]
	v_add_f64 v[19:20], v[19:20], -v[99:100]
	ds_read2_b64 v[99:102], v125 offset0:46 offset1:47
	s_waitcnt lgkmcnt(0)
	v_mul_f64 v[65:66], v[101:102], v[67:68]
	v_fma_f64 v[65:66], v[99:100], v[97:98], -v[65:66]
	v_mul_f64 v[99:100], v[99:100], v[67:68]
	v_add_f64 v[13:14], v[13:14], -v[65:66]
	v_fma_f64 v[99:100], v[101:102], v[97:98], v[99:100]
	v_add_f64 v[15:16], v[15:16], -v[99:100]
	ds_read2_b64 v[99:102], v125 offset0:48 offset1:49
	s_waitcnt lgkmcnt(0)
	v_mul_f64 v[65:66], v[101:102], v[67:68]
	v_fma_f64 v[65:66], v[99:100], v[97:98], -v[65:66]
	v_mul_f64 v[99:100], v[99:100], v[67:68]
	v_add_f64 v[9:10], v[9:10], -v[65:66]
	v_fma_f64 v[99:100], v[101:102], v[97:98], v[99:100]
	v_add_f64 v[11:12], v[11:12], -v[99:100]
	ds_read2_b64 v[99:102], v125 offset0:50 offset1:51
	s_waitcnt lgkmcnt(0)
	v_mul_f64 v[65:66], v[101:102], v[67:68]
	v_fma_f64 v[65:66], v[99:100], v[97:98], -v[65:66]
	v_mul_f64 v[99:100], v[99:100], v[67:68]
	v_add_f64 v[5:6], v[5:6], -v[65:66]
	v_fma_f64 v[99:100], v[101:102], v[97:98], v[99:100]
	v_add_f64 v[7:8], v[7:8], -v[99:100]
	ds_read2_b64 v[99:102], v125 offset0:52 offset1:53
	s_waitcnt lgkmcnt(0)
	v_mul_f64 v[65:66], v[101:102], v[67:68]
	v_fma_f64 v[65:66], v[99:100], v[97:98], -v[65:66]
	v_mul_f64 v[99:100], v[99:100], v[67:68]
	v_add_f64 v[1:2], v[1:2], -v[65:66]
	v_fma_f64 v[99:100], v[101:102], v[97:98], v[99:100]
	v_add_f64 v[3:4], v[3:4], -v[99:100]
	ds_read2_b64 v[99:102], v125 offset0:54 offset1:55
	s_waitcnt lgkmcnt(0)
	v_mul_f64 v[65:66], v[101:102], v[67:68]
	v_fma_f64 v[65:66], v[99:100], v[97:98], -v[65:66]
	v_mul_f64 v[99:100], v[99:100], v[67:68]
	v_add_f64 v[89:90], v[89:90], -v[65:66]
	v_fma_f64 v[99:100], v[101:102], v[97:98], v[99:100]
	v_mov_b32_e32 v65, v97
	v_mov_b32_e32 v66, v98
	v_add_f64 v[91:92], v[91:92], -v[99:100]
.LBB55_100:
	s_or_b64 exec, exec, s[2:3]
	v_cmp_eq_u32_e32 vcc, 11, v0
	s_waitcnt vmcnt(0)
	s_barrier
	s_and_saveexec_b64 s[4:5], vcc
	s_cbranch_execz .LBB55_107
; %bb.101:
	ds_write2_b64 v127, v[61:62], v[63:64] offset1:1
	ds_write2_b64 v125, v[57:58], v[59:60] offset0:24 offset1:25
	ds_write2_b64 v125, v[53:54], v[55:56] offset0:26 offset1:27
	;; [unrolled: 1-line block ×16, first 2 shown]
	ds_read2_b64 v[97:100], v127 offset1:1
	s_waitcnt lgkmcnt(0)
	v_cmp_neq_f64_e32 vcc, 0, v[97:98]
	v_cmp_neq_f64_e64 s[2:3], 0, v[99:100]
	s_or_b64 s[2:3], vcc, s[2:3]
	s_and_b64 exec, exec, s[2:3]
	s_cbranch_execz .LBB55_107
; %bb.102:
	v_cmp_ngt_f64_e64 s[2:3], |v[97:98]|, |v[99:100]|
                                        ; implicit-def: $vgpr101_vgpr102
	s_and_saveexec_b64 s[6:7], s[2:3]
	s_xor_b64 s[2:3], exec, s[6:7]
                                        ; implicit-def: $vgpr103_vgpr104
	s_cbranch_execz .LBB55_104
; %bb.103:
	v_div_scale_f64 v[101:102], s[6:7], v[99:100], v[99:100], v[97:98]
	v_rcp_f64_e32 v[103:104], v[101:102]
	v_fma_f64 v[105:106], -v[101:102], v[103:104], 1.0
	v_fma_f64 v[103:104], v[103:104], v[105:106], v[103:104]
	v_div_scale_f64 v[105:106], vcc, v[97:98], v[99:100], v[97:98]
	v_fma_f64 v[107:108], -v[101:102], v[103:104], 1.0
	v_fma_f64 v[103:104], v[103:104], v[107:108], v[103:104]
	v_mul_f64 v[107:108], v[105:106], v[103:104]
	v_fma_f64 v[101:102], -v[101:102], v[107:108], v[105:106]
	v_div_fmas_f64 v[101:102], v[101:102], v[103:104], v[107:108]
	v_div_fixup_f64 v[101:102], v[101:102], v[99:100], v[97:98]
	v_fma_f64 v[97:98], v[97:98], v[101:102], v[99:100]
	v_div_scale_f64 v[99:100], s[6:7], v[97:98], v[97:98], 1.0
	v_div_scale_f64 v[107:108], vcc, 1.0, v[97:98], 1.0
	v_rcp_f64_e32 v[103:104], v[99:100]
	v_fma_f64 v[105:106], -v[99:100], v[103:104], 1.0
	v_fma_f64 v[103:104], v[103:104], v[105:106], v[103:104]
	v_fma_f64 v[105:106], -v[99:100], v[103:104], 1.0
	v_fma_f64 v[103:104], v[103:104], v[105:106], v[103:104]
	v_mul_f64 v[105:106], v[107:108], v[103:104]
	v_fma_f64 v[99:100], -v[99:100], v[105:106], v[107:108]
	v_div_fmas_f64 v[99:100], v[99:100], v[103:104], v[105:106]
	v_div_fixup_f64 v[103:104], v[99:100], v[97:98], 1.0
                                        ; implicit-def: $vgpr97_vgpr98
	v_mul_f64 v[101:102], v[101:102], v[103:104]
	v_xor_b32_e32 v104, 0x80000000, v104
.LBB55_104:
	s_andn2_saveexec_b64 s[2:3], s[2:3]
	s_cbranch_execz .LBB55_106
; %bb.105:
	v_div_scale_f64 v[101:102], s[6:7], v[97:98], v[97:98], v[99:100]
	v_rcp_f64_e32 v[103:104], v[101:102]
	v_fma_f64 v[105:106], -v[101:102], v[103:104], 1.0
	v_fma_f64 v[103:104], v[103:104], v[105:106], v[103:104]
	v_div_scale_f64 v[105:106], vcc, v[99:100], v[97:98], v[99:100]
	v_fma_f64 v[107:108], -v[101:102], v[103:104], 1.0
	v_fma_f64 v[103:104], v[103:104], v[107:108], v[103:104]
	v_mul_f64 v[107:108], v[105:106], v[103:104]
	v_fma_f64 v[101:102], -v[101:102], v[107:108], v[105:106]
	v_div_fmas_f64 v[101:102], v[101:102], v[103:104], v[107:108]
	v_div_fixup_f64 v[103:104], v[101:102], v[97:98], v[99:100]
	v_fma_f64 v[97:98], v[99:100], v[103:104], v[97:98]
	v_div_scale_f64 v[99:100], s[6:7], v[97:98], v[97:98], 1.0
	v_div_scale_f64 v[107:108], vcc, 1.0, v[97:98], 1.0
	v_rcp_f64_e32 v[101:102], v[99:100]
	v_fma_f64 v[105:106], -v[99:100], v[101:102], 1.0
	v_fma_f64 v[101:102], v[101:102], v[105:106], v[101:102]
	v_fma_f64 v[105:106], -v[99:100], v[101:102], 1.0
	v_fma_f64 v[101:102], v[101:102], v[105:106], v[101:102]
	v_mul_f64 v[105:106], v[107:108], v[101:102]
	v_fma_f64 v[99:100], -v[99:100], v[105:106], v[107:108]
	v_div_fmas_f64 v[99:100], v[99:100], v[101:102], v[105:106]
	v_div_fixup_f64 v[101:102], v[99:100], v[97:98], 1.0
	v_mul_f64 v[103:104], v[103:104], -v[101:102]
.LBB55_106:
	s_or_b64 exec, exec, s[2:3]
	ds_write2_b64 v127, v[101:102], v[103:104] offset1:1
.LBB55_107:
	s_or_b64 exec, exec, s[4:5]
	s_waitcnt lgkmcnt(0)
	s_barrier
	ds_read2_b64 v[97:100], v127 offset1:1
	v_cmp_lt_u32_e32 vcc, 11, v0
	s_waitcnt lgkmcnt(0)
	buffer_store_dword v97, off, s[20:23], 0 offset:480 ; 4-byte Folded Spill
	s_nop 0
	buffer_store_dword v98, off, s[20:23], 0 offset:484 ; 4-byte Folded Spill
	buffer_store_dword v99, off, s[20:23], 0 offset:488 ; 4-byte Folded Spill
	;; [unrolled: 1-line block ×3, first 2 shown]
	s_and_saveexec_b64 s[2:3], vcc
	s_cbranch_execz .LBB55_109
; %bb.108:
	buffer_load_dword v99, off, s[20:23], 0 offset:480 ; 4-byte Folded Reload
	buffer_load_dword v100, off, s[20:23], 0 offset:484 ; 4-byte Folded Reload
	;; [unrolled: 1-line block ×4, first 2 shown]
	s_waitcnt vmcnt(2)
	v_mul_f64 v[97:98], v[99:100], v[63:64]
	s_waitcnt vmcnt(0)
	v_mul_f64 v[63:64], v[101:102], v[63:64]
	v_fma_f64 v[97:98], v[101:102], v[61:62], v[97:98]
	v_fma_f64 v[61:62], v[99:100], v[61:62], -v[63:64]
	ds_read2_b64 v[99:102], v125 offset0:24 offset1:25
	s_waitcnt lgkmcnt(0)
	v_mul_f64 v[63:64], v[101:102], v[97:98]
	v_fma_f64 v[63:64], v[99:100], v[61:62], -v[63:64]
	v_mul_f64 v[99:100], v[99:100], v[97:98]
	v_add_f64 v[57:58], v[57:58], -v[63:64]
	v_fma_f64 v[99:100], v[101:102], v[61:62], v[99:100]
	v_add_f64 v[59:60], v[59:60], -v[99:100]
	ds_read2_b64 v[99:102], v125 offset0:26 offset1:27
	s_waitcnt lgkmcnt(0)
	v_mul_f64 v[63:64], v[101:102], v[97:98]
	v_fma_f64 v[63:64], v[99:100], v[61:62], -v[63:64]
	v_mul_f64 v[99:100], v[99:100], v[97:98]
	v_add_f64 v[53:54], v[53:54], -v[63:64]
	v_fma_f64 v[99:100], v[101:102], v[61:62], v[99:100]
	v_add_f64 v[55:56], v[55:56], -v[99:100]
	ds_read2_b64 v[99:102], v125 offset0:28 offset1:29
	s_waitcnt lgkmcnt(0)
	v_mul_f64 v[63:64], v[101:102], v[97:98]
	v_fma_f64 v[63:64], v[99:100], v[61:62], -v[63:64]
	v_mul_f64 v[99:100], v[99:100], v[97:98]
	v_add_f64 v[49:50], v[49:50], -v[63:64]
	v_fma_f64 v[99:100], v[101:102], v[61:62], v[99:100]
	v_add_f64 v[51:52], v[51:52], -v[99:100]
	ds_read2_b64 v[99:102], v125 offset0:30 offset1:31
	s_waitcnt lgkmcnt(0)
	v_mul_f64 v[63:64], v[101:102], v[97:98]
	v_fma_f64 v[63:64], v[99:100], v[61:62], -v[63:64]
	v_mul_f64 v[99:100], v[99:100], v[97:98]
	v_add_f64 v[45:46], v[45:46], -v[63:64]
	v_fma_f64 v[99:100], v[101:102], v[61:62], v[99:100]
	v_add_f64 v[47:48], v[47:48], -v[99:100]
	ds_read2_b64 v[99:102], v125 offset0:32 offset1:33
	s_waitcnt lgkmcnt(0)
	v_mul_f64 v[63:64], v[101:102], v[97:98]
	v_fma_f64 v[63:64], v[99:100], v[61:62], -v[63:64]
	v_mul_f64 v[99:100], v[99:100], v[97:98]
	v_add_f64 v[41:42], v[41:42], -v[63:64]
	v_fma_f64 v[99:100], v[101:102], v[61:62], v[99:100]
	v_add_f64 v[43:44], v[43:44], -v[99:100]
	ds_read2_b64 v[99:102], v125 offset0:34 offset1:35
	s_waitcnt lgkmcnt(0)
	v_mul_f64 v[63:64], v[101:102], v[97:98]
	v_fma_f64 v[63:64], v[99:100], v[61:62], -v[63:64]
	v_mul_f64 v[99:100], v[99:100], v[97:98]
	v_add_f64 v[37:38], v[37:38], -v[63:64]
	v_fma_f64 v[99:100], v[101:102], v[61:62], v[99:100]
	v_add_f64 v[39:40], v[39:40], -v[99:100]
	ds_read2_b64 v[99:102], v125 offset0:36 offset1:37
	s_waitcnt lgkmcnt(0)
	v_mul_f64 v[63:64], v[101:102], v[97:98]
	v_fma_f64 v[63:64], v[99:100], v[61:62], -v[63:64]
	v_mul_f64 v[99:100], v[99:100], v[97:98]
	v_add_f64 v[33:34], v[33:34], -v[63:64]
	v_fma_f64 v[99:100], v[101:102], v[61:62], v[99:100]
	v_add_f64 v[35:36], v[35:36], -v[99:100]
	ds_read2_b64 v[99:102], v125 offset0:38 offset1:39
	s_waitcnt lgkmcnt(0)
	v_mul_f64 v[63:64], v[101:102], v[97:98]
	v_fma_f64 v[63:64], v[99:100], v[61:62], -v[63:64]
	v_mul_f64 v[99:100], v[99:100], v[97:98]
	v_add_f64 v[29:30], v[29:30], -v[63:64]
	v_fma_f64 v[99:100], v[101:102], v[61:62], v[99:100]
	v_add_f64 v[31:32], v[31:32], -v[99:100]
	ds_read2_b64 v[99:102], v125 offset0:40 offset1:41
	s_waitcnt lgkmcnt(0)
	v_mul_f64 v[63:64], v[101:102], v[97:98]
	v_fma_f64 v[63:64], v[99:100], v[61:62], -v[63:64]
	v_mul_f64 v[99:100], v[99:100], v[97:98]
	v_add_f64 v[25:26], v[25:26], -v[63:64]
	v_fma_f64 v[99:100], v[101:102], v[61:62], v[99:100]
	v_add_f64 v[27:28], v[27:28], -v[99:100]
	ds_read2_b64 v[99:102], v125 offset0:42 offset1:43
	s_waitcnt lgkmcnt(0)
	v_mul_f64 v[63:64], v[101:102], v[97:98]
	v_fma_f64 v[63:64], v[99:100], v[61:62], -v[63:64]
	v_mul_f64 v[99:100], v[99:100], v[97:98]
	v_add_f64 v[21:22], v[21:22], -v[63:64]
	v_fma_f64 v[99:100], v[101:102], v[61:62], v[99:100]
	v_add_f64 v[23:24], v[23:24], -v[99:100]
	ds_read2_b64 v[99:102], v125 offset0:44 offset1:45
	s_waitcnt lgkmcnt(0)
	v_mul_f64 v[63:64], v[101:102], v[97:98]
	v_fma_f64 v[63:64], v[99:100], v[61:62], -v[63:64]
	v_mul_f64 v[99:100], v[99:100], v[97:98]
	v_add_f64 v[17:18], v[17:18], -v[63:64]
	v_fma_f64 v[99:100], v[101:102], v[61:62], v[99:100]
	v_add_f64 v[19:20], v[19:20], -v[99:100]
	ds_read2_b64 v[99:102], v125 offset0:46 offset1:47
	s_waitcnt lgkmcnt(0)
	v_mul_f64 v[63:64], v[101:102], v[97:98]
	v_fma_f64 v[63:64], v[99:100], v[61:62], -v[63:64]
	v_mul_f64 v[99:100], v[99:100], v[97:98]
	v_add_f64 v[13:14], v[13:14], -v[63:64]
	v_fma_f64 v[99:100], v[101:102], v[61:62], v[99:100]
	v_add_f64 v[15:16], v[15:16], -v[99:100]
	ds_read2_b64 v[99:102], v125 offset0:48 offset1:49
	s_waitcnt lgkmcnt(0)
	v_mul_f64 v[63:64], v[101:102], v[97:98]
	v_fma_f64 v[63:64], v[99:100], v[61:62], -v[63:64]
	v_mul_f64 v[99:100], v[99:100], v[97:98]
	v_add_f64 v[9:10], v[9:10], -v[63:64]
	v_fma_f64 v[99:100], v[101:102], v[61:62], v[99:100]
	v_add_f64 v[11:12], v[11:12], -v[99:100]
	ds_read2_b64 v[99:102], v125 offset0:50 offset1:51
	s_waitcnt lgkmcnt(0)
	v_mul_f64 v[63:64], v[101:102], v[97:98]
	v_fma_f64 v[63:64], v[99:100], v[61:62], -v[63:64]
	v_mul_f64 v[99:100], v[99:100], v[97:98]
	v_add_f64 v[5:6], v[5:6], -v[63:64]
	v_fma_f64 v[99:100], v[101:102], v[61:62], v[99:100]
	v_add_f64 v[7:8], v[7:8], -v[99:100]
	ds_read2_b64 v[99:102], v125 offset0:52 offset1:53
	s_waitcnt lgkmcnt(0)
	v_mul_f64 v[63:64], v[101:102], v[97:98]
	v_fma_f64 v[63:64], v[99:100], v[61:62], -v[63:64]
	v_mul_f64 v[99:100], v[99:100], v[97:98]
	v_add_f64 v[1:2], v[1:2], -v[63:64]
	v_fma_f64 v[99:100], v[101:102], v[61:62], v[99:100]
	v_add_f64 v[3:4], v[3:4], -v[99:100]
	ds_read2_b64 v[99:102], v125 offset0:54 offset1:55
	s_waitcnt lgkmcnt(0)
	v_mul_f64 v[63:64], v[101:102], v[97:98]
	v_fma_f64 v[63:64], v[99:100], v[61:62], -v[63:64]
	v_mul_f64 v[99:100], v[99:100], v[97:98]
	v_add_f64 v[89:90], v[89:90], -v[63:64]
	v_fma_f64 v[99:100], v[101:102], v[61:62], v[99:100]
	v_mov_b32_e32 v63, v97
	v_mov_b32_e32 v64, v98
	v_add_f64 v[91:92], v[91:92], -v[99:100]
.LBB55_109:
	s_or_b64 exec, exec, s[2:3]
	v_cmp_eq_u32_e32 vcc, 12, v0
	s_waitcnt vmcnt(0)
	s_barrier
	s_and_saveexec_b64 s[4:5], vcc
	s_cbranch_execz .LBB55_116
; %bb.110:
	ds_write2_b64 v127, v[57:58], v[59:60] offset1:1
	ds_write2_b64 v125, v[53:54], v[55:56] offset0:26 offset1:27
	ds_write2_b64 v125, v[49:50], v[51:52] offset0:28 offset1:29
	;; [unrolled: 1-line block ×15, first 2 shown]
	ds_read2_b64 v[97:100], v127 offset1:1
	s_waitcnt lgkmcnt(0)
	v_cmp_neq_f64_e32 vcc, 0, v[97:98]
	v_cmp_neq_f64_e64 s[2:3], 0, v[99:100]
	s_or_b64 s[2:3], vcc, s[2:3]
	s_and_b64 exec, exec, s[2:3]
	s_cbranch_execz .LBB55_116
; %bb.111:
	v_cmp_ngt_f64_e64 s[2:3], |v[97:98]|, |v[99:100]|
                                        ; implicit-def: $vgpr101_vgpr102
	s_and_saveexec_b64 s[6:7], s[2:3]
	s_xor_b64 s[2:3], exec, s[6:7]
                                        ; implicit-def: $vgpr103_vgpr104
	s_cbranch_execz .LBB55_113
; %bb.112:
	v_div_scale_f64 v[101:102], s[6:7], v[99:100], v[99:100], v[97:98]
	v_rcp_f64_e32 v[103:104], v[101:102]
	v_fma_f64 v[105:106], -v[101:102], v[103:104], 1.0
	v_fma_f64 v[103:104], v[103:104], v[105:106], v[103:104]
	v_div_scale_f64 v[105:106], vcc, v[97:98], v[99:100], v[97:98]
	v_fma_f64 v[107:108], -v[101:102], v[103:104], 1.0
	v_fma_f64 v[103:104], v[103:104], v[107:108], v[103:104]
	v_mul_f64 v[107:108], v[105:106], v[103:104]
	v_fma_f64 v[101:102], -v[101:102], v[107:108], v[105:106]
	v_div_fmas_f64 v[101:102], v[101:102], v[103:104], v[107:108]
	v_div_fixup_f64 v[101:102], v[101:102], v[99:100], v[97:98]
	v_fma_f64 v[97:98], v[97:98], v[101:102], v[99:100]
	v_div_scale_f64 v[99:100], s[6:7], v[97:98], v[97:98], 1.0
	v_div_scale_f64 v[107:108], vcc, 1.0, v[97:98], 1.0
	v_rcp_f64_e32 v[103:104], v[99:100]
	v_fma_f64 v[105:106], -v[99:100], v[103:104], 1.0
	v_fma_f64 v[103:104], v[103:104], v[105:106], v[103:104]
	v_fma_f64 v[105:106], -v[99:100], v[103:104], 1.0
	v_fma_f64 v[103:104], v[103:104], v[105:106], v[103:104]
	v_mul_f64 v[105:106], v[107:108], v[103:104]
	v_fma_f64 v[99:100], -v[99:100], v[105:106], v[107:108]
	v_div_fmas_f64 v[99:100], v[99:100], v[103:104], v[105:106]
	v_div_fixup_f64 v[103:104], v[99:100], v[97:98], 1.0
                                        ; implicit-def: $vgpr97_vgpr98
	v_mul_f64 v[101:102], v[101:102], v[103:104]
	v_xor_b32_e32 v104, 0x80000000, v104
.LBB55_113:
	s_andn2_saveexec_b64 s[2:3], s[2:3]
	s_cbranch_execz .LBB55_115
; %bb.114:
	v_div_scale_f64 v[101:102], s[6:7], v[97:98], v[97:98], v[99:100]
	v_rcp_f64_e32 v[103:104], v[101:102]
	v_fma_f64 v[105:106], -v[101:102], v[103:104], 1.0
	v_fma_f64 v[103:104], v[103:104], v[105:106], v[103:104]
	v_div_scale_f64 v[105:106], vcc, v[99:100], v[97:98], v[99:100]
	v_fma_f64 v[107:108], -v[101:102], v[103:104], 1.0
	v_fma_f64 v[103:104], v[103:104], v[107:108], v[103:104]
	v_mul_f64 v[107:108], v[105:106], v[103:104]
	v_fma_f64 v[101:102], -v[101:102], v[107:108], v[105:106]
	v_div_fmas_f64 v[101:102], v[101:102], v[103:104], v[107:108]
	v_div_fixup_f64 v[103:104], v[101:102], v[97:98], v[99:100]
	v_fma_f64 v[97:98], v[99:100], v[103:104], v[97:98]
	v_div_scale_f64 v[99:100], s[6:7], v[97:98], v[97:98], 1.0
	v_div_scale_f64 v[107:108], vcc, 1.0, v[97:98], 1.0
	v_rcp_f64_e32 v[101:102], v[99:100]
	v_fma_f64 v[105:106], -v[99:100], v[101:102], 1.0
	v_fma_f64 v[101:102], v[101:102], v[105:106], v[101:102]
	v_fma_f64 v[105:106], -v[99:100], v[101:102], 1.0
	v_fma_f64 v[101:102], v[101:102], v[105:106], v[101:102]
	v_mul_f64 v[105:106], v[107:108], v[101:102]
	v_fma_f64 v[99:100], -v[99:100], v[105:106], v[107:108]
	v_div_fmas_f64 v[99:100], v[99:100], v[101:102], v[105:106]
	v_div_fixup_f64 v[101:102], v[99:100], v[97:98], 1.0
	v_mul_f64 v[103:104], v[103:104], -v[101:102]
.LBB55_115:
	s_or_b64 exec, exec, s[2:3]
	ds_write2_b64 v127, v[101:102], v[103:104] offset1:1
.LBB55_116:
	s_or_b64 exec, exec, s[4:5]
	s_waitcnt lgkmcnt(0)
	s_barrier
	ds_read2_b64 v[97:100], v127 offset1:1
	v_cmp_lt_u32_e32 vcc, 12, v0
	s_waitcnt lgkmcnt(0)
	buffer_store_dword v97, off, s[20:23], 0 offset:496 ; 4-byte Folded Spill
	s_nop 0
	buffer_store_dword v98, off, s[20:23], 0 offset:500 ; 4-byte Folded Spill
	buffer_store_dword v99, off, s[20:23], 0 offset:504 ; 4-byte Folded Spill
	;; [unrolled: 1-line block ×3, first 2 shown]
	s_and_saveexec_b64 s[2:3], vcc
	s_cbranch_execz .LBB55_118
; %bb.117:
	buffer_load_dword v99, off, s[20:23], 0 offset:496 ; 4-byte Folded Reload
	buffer_load_dword v100, off, s[20:23], 0 offset:500 ; 4-byte Folded Reload
	;; [unrolled: 1-line block ×4, first 2 shown]
	s_waitcnt vmcnt(2)
	v_mul_f64 v[97:98], v[99:100], v[59:60]
	s_waitcnt vmcnt(0)
	v_mul_f64 v[59:60], v[101:102], v[59:60]
	v_fma_f64 v[97:98], v[101:102], v[57:58], v[97:98]
	v_fma_f64 v[57:58], v[99:100], v[57:58], -v[59:60]
	ds_read2_b64 v[99:102], v125 offset0:26 offset1:27
	s_waitcnt lgkmcnt(0)
	v_mul_f64 v[59:60], v[101:102], v[97:98]
	v_fma_f64 v[59:60], v[99:100], v[57:58], -v[59:60]
	v_mul_f64 v[99:100], v[99:100], v[97:98]
	v_add_f64 v[53:54], v[53:54], -v[59:60]
	v_fma_f64 v[99:100], v[101:102], v[57:58], v[99:100]
	v_add_f64 v[55:56], v[55:56], -v[99:100]
	ds_read2_b64 v[99:102], v125 offset0:28 offset1:29
	s_waitcnt lgkmcnt(0)
	v_mul_f64 v[59:60], v[101:102], v[97:98]
	v_fma_f64 v[59:60], v[99:100], v[57:58], -v[59:60]
	v_mul_f64 v[99:100], v[99:100], v[97:98]
	v_add_f64 v[49:50], v[49:50], -v[59:60]
	v_fma_f64 v[99:100], v[101:102], v[57:58], v[99:100]
	v_add_f64 v[51:52], v[51:52], -v[99:100]
	;; [unrolled: 8-line block ×14, first 2 shown]
	ds_read2_b64 v[99:102], v125 offset0:54 offset1:55
	s_waitcnt lgkmcnt(0)
	v_mul_f64 v[59:60], v[101:102], v[97:98]
	v_fma_f64 v[59:60], v[99:100], v[57:58], -v[59:60]
	v_mul_f64 v[99:100], v[99:100], v[97:98]
	v_add_f64 v[89:90], v[89:90], -v[59:60]
	v_fma_f64 v[99:100], v[101:102], v[57:58], v[99:100]
	v_mov_b32_e32 v59, v97
	v_mov_b32_e32 v60, v98
	v_add_f64 v[91:92], v[91:92], -v[99:100]
.LBB55_118:
	s_or_b64 exec, exec, s[2:3]
	v_cmp_eq_u32_e32 vcc, 13, v0
	s_waitcnt vmcnt(0)
	s_barrier
	s_and_saveexec_b64 s[4:5], vcc
	s_cbranch_execz .LBB55_125
; %bb.119:
	ds_write2_b64 v127, v[53:54], v[55:56] offset1:1
	ds_write2_b64 v125, v[49:50], v[51:52] offset0:28 offset1:29
	ds_write2_b64 v125, v[45:46], v[47:48] offset0:30 offset1:31
	;; [unrolled: 1-line block ×14, first 2 shown]
	ds_read2_b64 v[97:100], v127 offset1:1
	s_waitcnt lgkmcnt(0)
	v_cmp_neq_f64_e32 vcc, 0, v[97:98]
	v_cmp_neq_f64_e64 s[2:3], 0, v[99:100]
	s_or_b64 s[2:3], vcc, s[2:3]
	s_and_b64 exec, exec, s[2:3]
	s_cbranch_execz .LBB55_125
; %bb.120:
	v_cmp_ngt_f64_e64 s[2:3], |v[97:98]|, |v[99:100]|
                                        ; implicit-def: $vgpr101_vgpr102
	s_and_saveexec_b64 s[6:7], s[2:3]
	s_xor_b64 s[2:3], exec, s[6:7]
                                        ; implicit-def: $vgpr103_vgpr104
	s_cbranch_execz .LBB55_122
; %bb.121:
	v_div_scale_f64 v[101:102], s[6:7], v[99:100], v[99:100], v[97:98]
	v_rcp_f64_e32 v[103:104], v[101:102]
	v_fma_f64 v[105:106], -v[101:102], v[103:104], 1.0
	v_fma_f64 v[103:104], v[103:104], v[105:106], v[103:104]
	v_div_scale_f64 v[105:106], vcc, v[97:98], v[99:100], v[97:98]
	v_fma_f64 v[107:108], -v[101:102], v[103:104], 1.0
	v_fma_f64 v[103:104], v[103:104], v[107:108], v[103:104]
	v_mul_f64 v[107:108], v[105:106], v[103:104]
	v_fma_f64 v[101:102], -v[101:102], v[107:108], v[105:106]
	v_div_fmas_f64 v[101:102], v[101:102], v[103:104], v[107:108]
	v_div_fixup_f64 v[101:102], v[101:102], v[99:100], v[97:98]
	v_fma_f64 v[97:98], v[97:98], v[101:102], v[99:100]
	v_div_scale_f64 v[99:100], s[6:7], v[97:98], v[97:98], 1.0
	v_div_scale_f64 v[107:108], vcc, 1.0, v[97:98], 1.0
	v_rcp_f64_e32 v[103:104], v[99:100]
	v_fma_f64 v[105:106], -v[99:100], v[103:104], 1.0
	v_fma_f64 v[103:104], v[103:104], v[105:106], v[103:104]
	v_fma_f64 v[105:106], -v[99:100], v[103:104], 1.0
	v_fma_f64 v[103:104], v[103:104], v[105:106], v[103:104]
	v_mul_f64 v[105:106], v[107:108], v[103:104]
	v_fma_f64 v[99:100], -v[99:100], v[105:106], v[107:108]
	v_div_fmas_f64 v[99:100], v[99:100], v[103:104], v[105:106]
	v_div_fixup_f64 v[103:104], v[99:100], v[97:98], 1.0
                                        ; implicit-def: $vgpr97_vgpr98
	v_mul_f64 v[101:102], v[101:102], v[103:104]
	v_xor_b32_e32 v104, 0x80000000, v104
.LBB55_122:
	s_andn2_saveexec_b64 s[2:3], s[2:3]
	s_cbranch_execz .LBB55_124
; %bb.123:
	v_div_scale_f64 v[101:102], s[6:7], v[97:98], v[97:98], v[99:100]
	v_rcp_f64_e32 v[103:104], v[101:102]
	v_fma_f64 v[105:106], -v[101:102], v[103:104], 1.0
	v_fma_f64 v[103:104], v[103:104], v[105:106], v[103:104]
	v_div_scale_f64 v[105:106], vcc, v[99:100], v[97:98], v[99:100]
	v_fma_f64 v[107:108], -v[101:102], v[103:104], 1.0
	v_fma_f64 v[103:104], v[103:104], v[107:108], v[103:104]
	v_mul_f64 v[107:108], v[105:106], v[103:104]
	v_fma_f64 v[101:102], -v[101:102], v[107:108], v[105:106]
	v_div_fmas_f64 v[101:102], v[101:102], v[103:104], v[107:108]
	v_div_fixup_f64 v[103:104], v[101:102], v[97:98], v[99:100]
	v_fma_f64 v[97:98], v[99:100], v[103:104], v[97:98]
	v_div_scale_f64 v[99:100], s[6:7], v[97:98], v[97:98], 1.0
	v_div_scale_f64 v[107:108], vcc, 1.0, v[97:98], 1.0
	v_rcp_f64_e32 v[101:102], v[99:100]
	v_fma_f64 v[105:106], -v[99:100], v[101:102], 1.0
	v_fma_f64 v[101:102], v[101:102], v[105:106], v[101:102]
	v_fma_f64 v[105:106], -v[99:100], v[101:102], 1.0
	v_fma_f64 v[101:102], v[101:102], v[105:106], v[101:102]
	v_mul_f64 v[105:106], v[107:108], v[101:102]
	v_fma_f64 v[99:100], -v[99:100], v[105:106], v[107:108]
	v_div_fmas_f64 v[99:100], v[99:100], v[101:102], v[105:106]
	v_div_fixup_f64 v[101:102], v[99:100], v[97:98], 1.0
	v_mul_f64 v[103:104], v[103:104], -v[101:102]
.LBB55_124:
	s_or_b64 exec, exec, s[2:3]
	ds_write2_b64 v127, v[101:102], v[103:104] offset1:1
.LBB55_125:
	s_or_b64 exec, exec, s[4:5]
	s_waitcnt lgkmcnt(0)
	s_barrier
	ds_read2_b64 v[97:100], v127 offset1:1
	v_cmp_lt_u32_e32 vcc, 13, v0
	s_waitcnt lgkmcnt(0)
	buffer_store_dword v97, off, s[20:23], 0 offset:512 ; 4-byte Folded Spill
	s_nop 0
	buffer_store_dword v98, off, s[20:23], 0 offset:516 ; 4-byte Folded Spill
	buffer_store_dword v99, off, s[20:23], 0 offset:520 ; 4-byte Folded Spill
	buffer_store_dword v100, off, s[20:23], 0 offset:524 ; 4-byte Folded Spill
	s_and_saveexec_b64 s[2:3], vcc
	s_cbranch_execz .LBB55_127
; %bb.126:
	buffer_load_dword v99, off, s[20:23], 0 offset:512 ; 4-byte Folded Reload
	buffer_load_dword v100, off, s[20:23], 0 offset:516 ; 4-byte Folded Reload
	;; [unrolled: 1-line block ×4, first 2 shown]
	s_waitcnt vmcnt(2)
	v_mul_f64 v[97:98], v[99:100], v[55:56]
	s_waitcnt vmcnt(0)
	v_mul_f64 v[55:56], v[101:102], v[55:56]
	v_fma_f64 v[97:98], v[101:102], v[53:54], v[97:98]
	v_fma_f64 v[53:54], v[99:100], v[53:54], -v[55:56]
	ds_read2_b64 v[99:102], v125 offset0:28 offset1:29
	s_waitcnt lgkmcnt(0)
	v_mul_f64 v[55:56], v[101:102], v[97:98]
	v_fma_f64 v[55:56], v[99:100], v[53:54], -v[55:56]
	v_mul_f64 v[99:100], v[99:100], v[97:98]
	v_add_f64 v[49:50], v[49:50], -v[55:56]
	v_fma_f64 v[99:100], v[101:102], v[53:54], v[99:100]
	v_add_f64 v[51:52], v[51:52], -v[99:100]
	ds_read2_b64 v[99:102], v125 offset0:30 offset1:31
	s_waitcnt lgkmcnt(0)
	v_mul_f64 v[55:56], v[101:102], v[97:98]
	v_fma_f64 v[55:56], v[99:100], v[53:54], -v[55:56]
	v_mul_f64 v[99:100], v[99:100], v[97:98]
	v_add_f64 v[45:46], v[45:46], -v[55:56]
	v_fma_f64 v[99:100], v[101:102], v[53:54], v[99:100]
	v_add_f64 v[47:48], v[47:48], -v[99:100]
	;; [unrolled: 8-line block ×13, first 2 shown]
	ds_read2_b64 v[99:102], v125 offset0:54 offset1:55
	s_waitcnt lgkmcnt(0)
	v_mul_f64 v[55:56], v[101:102], v[97:98]
	v_fma_f64 v[55:56], v[99:100], v[53:54], -v[55:56]
	v_mul_f64 v[99:100], v[99:100], v[97:98]
	v_add_f64 v[89:90], v[89:90], -v[55:56]
	v_fma_f64 v[99:100], v[101:102], v[53:54], v[99:100]
	v_mov_b32_e32 v55, v97
	v_mov_b32_e32 v56, v98
	v_add_f64 v[91:92], v[91:92], -v[99:100]
.LBB55_127:
	s_or_b64 exec, exec, s[2:3]
	v_cmp_eq_u32_e32 vcc, 14, v0
	s_waitcnt vmcnt(0)
	s_barrier
	s_and_saveexec_b64 s[4:5], vcc
	s_cbranch_execz .LBB55_134
; %bb.128:
	ds_write2_b64 v127, v[49:50], v[51:52] offset1:1
	ds_write2_b64 v125, v[45:46], v[47:48] offset0:30 offset1:31
	ds_write2_b64 v125, v[41:42], v[43:44] offset0:32 offset1:33
	;; [unrolled: 1-line block ×13, first 2 shown]
	ds_read2_b64 v[97:100], v127 offset1:1
	s_waitcnt lgkmcnt(0)
	v_cmp_neq_f64_e32 vcc, 0, v[97:98]
	v_cmp_neq_f64_e64 s[2:3], 0, v[99:100]
	s_or_b64 s[2:3], vcc, s[2:3]
	s_and_b64 exec, exec, s[2:3]
	s_cbranch_execz .LBB55_134
; %bb.129:
	v_cmp_ngt_f64_e64 s[2:3], |v[97:98]|, |v[99:100]|
                                        ; implicit-def: $vgpr101_vgpr102
	s_and_saveexec_b64 s[6:7], s[2:3]
	s_xor_b64 s[2:3], exec, s[6:7]
                                        ; implicit-def: $vgpr103_vgpr104
	s_cbranch_execz .LBB55_131
; %bb.130:
	v_div_scale_f64 v[101:102], s[6:7], v[99:100], v[99:100], v[97:98]
	v_rcp_f64_e32 v[103:104], v[101:102]
	v_fma_f64 v[105:106], -v[101:102], v[103:104], 1.0
	v_fma_f64 v[103:104], v[103:104], v[105:106], v[103:104]
	v_div_scale_f64 v[105:106], vcc, v[97:98], v[99:100], v[97:98]
	v_fma_f64 v[107:108], -v[101:102], v[103:104], 1.0
	v_fma_f64 v[103:104], v[103:104], v[107:108], v[103:104]
	v_mul_f64 v[107:108], v[105:106], v[103:104]
	v_fma_f64 v[101:102], -v[101:102], v[107:108], v[105:106]
	v_div_fmas_f64 v[101:102], v[101:102], v[103:104], v[107:108]
	v_div_fixup_f64 v[101:102], v[101:102], v[99:100], v[97:98]
	v_fma_f64 v[97:98], v[97:98], v[101:102], v[99:100]
	v_div_scale_f64 v[99:100], s[6:7], v[97:98], v[97:98], 1.0
	v_div_scale_f64 v[107:108], vcc, 1.0, v[97:98], 1.0
	v_rcp_f64_e32 v[103:104], v[99:100]
	v_fma_f64 v[105:106], -v[99:100], v[103:104], 1.0
	v_fma_f64 v[103:104], v[103:104], v[105:106], v[103:104]
	v_fma_f64 v[105:106], -v[99:100], v[103:104], 1.0
	v_fma_f64 v[103:104], v[103:104], v[105:106], v[103:104]
	v_mul_f64 v[105:106], v[107:108], v[103:104]
	v_fma_f64 v[99:100], -v[99:100], v[105:106], v[107:108]
	v_div_fmas_f64 v[99:100], v[99:100], v[103:104], v[105:106]
	v_div_fixup_f64 v[103:104], v[99:100], v[97:98], 1.0
                                        ; implicit-def: $vgpr97_vgpr98
	v_mul_f64 v[101:102], v[101:102], v[103:104]
	v_xor_b32_e32 v104, 0x80000000, v104
.LBB55_131:
	s_andn2_saveexec_b64 s[2:3], s[2:3]
	s_cbranch_execz .LBB55_133
; %bb.132:
	v_div_scale_f64 v[101:102], s[6:7], v[97:98], v[97:98], v[99:100]
	v_rcp_f64_e32 v[103:104], v[101:102]
	v_fma_f64 v[105:106], -v[101:102], v[103:104], 1.0
	v_fma_f64 v[103:104], v[103:104], v[105:106], v[103:104]
	v_div_scale_f64 v[105:106], vcc, v[99:100], v[97:98], v[99:100]
	v_fma_f64 v[107:108], -v[101:102], v[103:104], 1.0
	v_fma_f64 v[103:104], v[103:104], v[107:108], v[103:104]
	v_mul_f64 v[107:108], v[105:106], v[103:104]
	v_fma_f64 v[101:102], -v[101:102], v[107:108], v[105:106]
	v_div_fmas_f64 v[101:102], v[101:102], v[103:104], v[107:108]
	v_div_fixup_f64 v[103:104], v[101:102], v[97:98], v[99:100]
	v_fma_f64 v[97:98], v[99:100], v[103:104], v[97:98]
	v_div_scale_f64 v[99:100], s[6:7], v[97:98], v[97:98], 1.0
	v_div_scale_f64 v[107:108], vcc, 1.0, v[97:98], 1.0
	v_rcp_f64_e32 v[101:102], v[99:100]
	v_fma_f64 v[105:106], -v[99:100], v[101:102], 1.0
	v_fma_f64 v[101:102], v[101:102], v[105:106], v[101:102]
	v_fma_f64 v[105:106], -v[99:100], v[101:102], 1.0
	v_fma_f64 v[101:102], v[101:102], v[105:106], v[101:102]
	v_mul_f64 v[105:106], v[107:108], v[101:102]
	v_fma_f64 v[99:100], -v[99:100], v[105:106], v[107:108]
	v_div_fmas_f64 v[99:100], v[99:100], v[101:102], v[105:106]
	v_div_fixup_f64 v[101:102], v[99:100], v[97:98], 1.0
	v_mul_f64 v[103:104], v[103:104], -v[101:102]
.LBB55_133:
	s_or_b64 exec, exec, s[2:3]
	ds_write2_b64 v127, v[101:102], v[103:104] offset1:1
.LBB55_134:
	s_or_b64 exec, exec, s[4:5]
	s_waitcnt lgkmcnt(0)
	s_barrier
	ds_read2_b64 v[97:100], v127 offset1:1
	v_cmp_lt_u32_e32 vcc, 14, v0
	s_waitcnt lgkmcnt(0)
	buffer_store_dword v97, off, s[20:23], 0 offset:528 ; 4-byte Folded Spill
	s_nop 0
	buffer_store_dword v98, off, s[20:23], 0 offset:532 ; 4-byte Folded Spill
	buffer_store_dword v99, off, s[20:23], 0 offset:536 ; 4-byte Folded Spill
	;; [unrolled: 1-line block ×3, first 2 shown]
	s_and_saveexec_b64 s[2:3], vcc
	s_cbranch_execz .LBB55_136
; %bb.135:
	buffer_load_dword v99, off, s[20:23], 0 offset:528 ; 4-byte Folded Reload
	buffer_load_dword v100, off, s[20:23], 0 offset:532 ; 4-byte Folded Reload
	;; [unrolled: 1-line block ×4, first 2 shown]
	s_waitcnt vmcnt(2)
	v_mul_f64 v[97:98], v[99:100], v[51:52]
	s_waitcnt vmcnt(0)
	v_mul_f64 v[51:52], v[101:102], v[51:52]
	v_fma_f64 v[97:98], v[101:102], v[49:50], v[97:98]
	v_fma_f64 v[49:50], v[99:100], v[49:50], -v[51:52]
	ds_read2_b64 v[99:102], v125 offset0:30 offset1:31
	s_waitcnt lgkmcnt(0)
	v_mul_f64 v[51:52], v[101:102], v[97:98]
	v_fma_f64 v[51:52], v[99:100], v[49:50], -v[51:52]
	v_mul_f64 v[99:100], v[99:100], v[97:98]
	v_add_f64 v[45:46], v[45:46], -v[51:52]
	v_fma_f64 v[99:100], v[101:102], v[49:50], v[99:100]
	v_add_f64 v[47:48], v[47:48], -v[99:100]
	ds_read2_b64 v[99:102], v125 offset0:32 offset1:33
	s_waitcnt lgkmcnt(0)
	v_mul_f64 v[51:52], v[101:102], v[97:98]
	v_fma_f64 v[51:52], v[99:100], v[49:50], -v[51:52]
	v_mul_f64 v[99:100], v[99:100], v[97:98]
	v_add_f64 v[41:42], v[41:42], -v[51:52]
	v_fma_f64 v[99:100], v[101:102], v[49:50], v[99:100]
	v_add_f64 v[43:44], v[43:44], -v[99:100]
	;; [unrolled: 8-line block ×12, first 2 shown]
	ds_read2_b64 v[99:102], v125 offset0:54 offset1:55
	s_waitcnt lgkmcnt(0)
	v_mul_f64 v[51:52], v[101:102], v[97:98]
	v_fma_f64 v[51:52], v[99:100], v[49:50], -v[51:52]
	v_mul_f64 v[99:100], v[99:100], v[97:98]
	v_add_f64 v[89:90], v[89:90], -v[51:52]
	v_fma_f64 v[99:100], v[101:102], v[49:50], v[99:100]
	v_mov_b32_e32 v51, v97
	v_mov_b32_e32 v52, v98
	v_add_f64 v[91:92], v[91:92], -v[99:100]
.LBB55_136:
	s_or_b64 exec, exec, s[2:3]
	v_cmp_eq_u32_e32 vcc, 15, v0
	s_waitcnt vmcnt(0)
	s_barrier
	s_and_saveexec_b64 s[4:5], vcc
	s_cbranch_execz .LBB55_143
; %bb.137:
	ds_write2_b64 v127, v[45:46], v[47:48] offset1:1
	ds_write2_b64 v125, v[41:42], v[43:44] offset0:32 offset1:33
	ds_write2_b64 v125, v[37:38], v[39:40] offset0:34 offset1:35
	;; [unrolled: 1-line block ×12, first 2 shown]
	ds_read2_b64 v[97:100], v127 offset1:1
	s_waitcnt lgkmcnt(0)
	v_cmp_neq_f64_e32 vcc, 0, v[97:98]
	v_cmp_neq_f64_e64 s[2:3], 0, v[99:100]
	s_or_b64 s[2:3], vcc, s[2:3]
	s_and_b64 exec, exec, s[2:3]
	s_cbranch_execz .LBB55_143
; %bb.138:
	v_cmp_ngt_f64_e64 s[2:3], |v[97:98]|, |v[99:100]|
                                        ; implicit-def: $vgpr101_vgpr102
	s_and_saveexec_b64 s[6:7], s[2:3]
	s_xor_b64 s[2:3], exec, s[6:7]
                                        ; implicit-def: $vgpr103_vgpr104
	s_cbranch_execz .LBB55_140
; %bb.139:
	v_div_scale_f64 v[101:102], s[6:7], v[99:100], v[99:100], v[97:98]
	v_rcp_f64_e32 v[103:104], v[101:102]
	v_fma_f64 v[105:106], -v[101:102], v[103:104], 1.0
	v_fma_f64 v[103:104], v[103:104], v[105:106], v[103:104]
	v_div_scale_f64 v[105:106], vcc, v[97:98], v[99:100], v[97:98]
	v_fma_f64 v[107:108], -v[101:102], v[103:104], 1.0
	v_fma_f64 v[103:104], v[103:104], v[107:108], v[103:104]
	v_mul_f64 v[107:108], v[105:106], v[103:104]
	v_fma_f64 v[101:102], -v[101:102], v[107:108], v[105:106]
	v_div_fmas_f64 v[101:102], v[101:102], v[103:104], v[107:108]
	v_div_fixup_f64 v[101:102], v[101:102], v[99:100], v[97:98]
	v_fma_f64 v[97:98], v[97:98], v[101:102], v[99:100]
	v_div_scale_f64 v[99:100], s[6:7], v[97:98], v[97:98], 1.0
	v_div_scale_f64 v[107:108], vcc, 1.0, v[97:98], 1.0
	v_rcp_f64_e32 v[103:104], v[99:100]
	v_fma_f64 v[105:106], -v[99:100], v[103:104], 1.0
	v_fma_f64 v[103:104], v[103:104], v[105:106], v[103:104]
	v_fma_f64 v[105:106], -v[99:100], v[103:104], 1.0
	v_fma_f64 v[103:104], v[103:104], v[105:106], v[103:104]
	v_mul_f64 v[105:106], v[107:108], v[103:104]
	v_fma_f64 v[99:100], -v[99:100], v[105:106], v[107:108]
	v_div_fmas_f64 v[99:100], v[99:100], v[103:104], v[105:106]
	v_div_fixup_f64 v[103:104], v[99:100], v[97:98], 1.0
                                        ; implicit-def: $vgpr97_vgpr98
	v_mul_f64 v[101:102], v[101:102], v[103:104]
	v_xor_b32_e32 v104, 0x80000000, v104
.LBB55_140:
	s_andn2_saveexec_b64 s[2:3], s[2:3]
	s_cbranch_execz .LBB55_142
; %bb.141:
	v_div_scale_f64 v[101:102], s[6:7], v[97:98], v[97:98], v[99:100]
	v_rcp_f64_e32 v[103:104], v[101:102]
	v_fma_f64 v[105:106], -v[101:102], v[103:104], 1.0
	v_fma_f64 v[103:104], v[103:104], v[105:106], v[103:104]
	v_div_scale_f64 v[105:106], vcc, v[99:100], v[97:98], v[99:100]
	v_fma_f64 v[107:108], -v[101:102], v[103:104], 1.0
	v_fma_f64 v[103:104], v[103:104], v[107:108], v[103:104]
	v_mul_f64 v[107:108], v[105:106], v[103:104]
	v_fma_f64 v[101:102], -v[101:102], v[107:108], v[105:106]
	v_div_fmas_f64 v[101:102], v[101:102], v[103:104], v[107:108]
	v_div_fixup_f64 v[103:104], v[101:102], v[97:98], v[99:100]
	v_fma_f64 v[97:98], v[99:100], v[103:104], v[97:98]
	v_div_scale_f64 v[99:100], s[6:7], v[97:98], v[97:98], 1.0
	v_div_scale_f64 v[107:108], vcc, 1.0, v[97:98], 1.0
	v_rcp_f64_e32 v[101:102], v[99:100]
	v_fma_f64 v[105:106], -v[99:100], v[101:102], 1.0
	v_fma_f64 v[101:102], v[101:102], v[105:106], v[101:102]
	v_fma_f64 v[105:106], -v[99:100], v[101:102], 1.0
	v_fma_f64 v[101:102], v[101:102], v[105:106], v[101:102]
	v_mul_f64 v[105:106], v[107:108], v[101:102]
	v_fma_f64 v[99:100], -v[99:100], v[105:106], v[107:108]
	v_div_fmas_f64 v[99:100], v[99:100], v[101:102], v[105:106]
	v_div_fixup_f64 v[101:102], v[99:100], v[97:98], 1.0
	v_mul_f64 v[103:104], v[103:104], -v[101:102]
.LBB55_142:
	s_or_b64 exec, exec, s[2:3]
	ds_write2_b64 v127, v[101:102], v[103:104] offset1:1
.LBB55_143:
	s_or_b64 exec, exec, s[4:5]
	s_waitcnt lgkmcnt(0)
	s_barrier
	ds_read2_b64 v[97:100], v127 offset1:1
	v_cmp_lt_u32_e32 vcc, 15, v0
	s_waitcnt lgkmcnt(0)
	buffer_store_dword v97, off, s[20:23], 0 offset:544 ; 4-byte Folded Spill
	s_nop 0
	buffer_store_dword v98, off, s[20:23], 0 offset:548 ; 4-byte Folded Spill
	buffer_store_dword v99, off, s[20:23], 0 offset:552 ; 4-byte Folded Spill
	;; [unrolled: 1-line block ×3, first 2 shown]
	s_and_saveexec_b64 s[2:3], vcc
	s_cbranch_execz .LBB55_145
; %bb.144:
	buffer_load_dword v99, off, s[20:23], 0 offset:544 ; 4-byte Folded Reload
	buffer_load_dword v100, off, s[20:23], 0 offset:548 ; 4-byte Folded Reload
	;; [unrolled: 1-line block ×4, first 2 shown]
	s_waitcnt vmcnt(2)
	v_mul_f64 v[97:98], v[99:100], v[47:48]
	s_waitcnt vmcnt(0)
	v_mul_f64 v[47:48], v[101:102], v[47:48]
	v_fma_f64 v[97:98], v[101:102], v[45:46], v[97:98]
	v_fma_f64 v[45:46], v[99:100], v[45:46], -v[47:48]
	ds_read2_b64 v[99:102], v125 offset0:32 offset1:33
	s_waitcnt lgkmcnt(0)
	v_mul_f64 v[47:48], v[101:102], v[97:98]
	v_fma_f64 v[47:48], v[99:100], v[45:46], -v[47:48]
	v_mul_f64 v[99:100], v[99:100], v[97:98]
	v_add_f64 v[41:42], v[41:42], -v[47:48]
	v_fma_f64 v[99:100], v[101:102], v[45:46], v[99:100]
	v_add_f64 v[43:44], v[43:44], -v[99:100]
	ds_read2_b64 v[99:102], v125 offset0:34 offset1:35
	s_waitcnt lgkmcnt(0)
	v_mul_f64 v[47:48], v[101:102], v[97:98]
	v_fma_f64 v[47:48], v[99:100], v[45:46], -v[47:48]
	v_mul_f64 v[99:100], v[99:100], v[97:98]
	v_add_f64 v[37:38], v[37:38], -v[47:48]
	v_fma_f64 v[99:100], v[101:102], v[45:46], v[99:100]
	v_add_f64 v[39:40], v[39:40], -v[99:100]
	;; [unrolled: 8-line block ×11, first 2 shown]
	ds_read2_b64 v[99:102], v125 offset0:54 offset1:55
	s_waitcnt lgkmcnt(0)
	v_mul_f64 v[47:48], v[101:102], v[97:98]
	v_fma_f64 v[47:48], v[99:100], v[45:46], -v[47:48]
	v_mul_f64 v[99:100], v[99:100], v[97:98]
	v_add_f64 v[89:90], v[89:90], -v[47:48]
	v_fma_f64 v[99:100], v[101:102], v[45:46], v[99:100]
	v_mov_b32_e32 v47, v97
	v_mov_b32_e32 v48, v98
	v_add_f64 v[91:92], v[91:92], -v[99:100]
.LBB55_145:
	s_or_b64 exec, exec, s[2:3]
	v_cmp_eq_u32_e32 vcc, 16, v0
	s_waitcnt vmcnt(0)
	s_barrier
	s_and_saveexec_b64 s[4:5], vcc
	s_cbranch_execz .LBB55_152
; %bb.146:
	ds_write2_b64 v127, v[41:42], v[43:44] offset1:1
	ds_write2_b64 v125, v[37:38], v[39:40] offset0:34 offset1:35
	ds_write2_b64 v125, v[33:34], v[35:36] offset0:36 offset1:37
	;; [unrolled: 1-line block ×11, first 2 shown]
	ds_read2_b64 v[97:100], v127 offset1:1
	s_waitcnt lgkmcnt(0)
	v_cmp_neq_f64_e32 vcc, 0, v[97:98]
	v_cmp_neq_f64_e64 s[2:3], 0, v[99:100]
	s_or_b64 s[2:3], vcc, s[2:3]
	s_and_b64 exec, exec, s[2:3]
	s_cbranch_execz .LBB55_152
; %bb.147:
	v_cmp_ngt_f64_e64 s[2:3], |v[97:98]|, |v[99:100]|
                                        ; implicit-def: $vgpr101_vgpr102
	s_and_saveexec_b64 s[6:7], s[2:3]
	s_xor_b64 s[2:3], exec, s[6:7]
                                        ; implicit-def: $vgpr103_vgpr104
	s_cbranch_execz .LBB55_149
; %bb.148:
	v_div_scale_f64 v[101:102], s[6:7], v[99:100], v[99:100], v[97:98]
	v_rcp_f64_e32 v[103:104], v[101:102]
	v_fma_f64 v[105:106], -v[101:102], v[103:104], 1.0
	v_fma_f64 v[103:104], v[103:104], v[105:106], v[103:104]
	v_div_scale_f64 v[105:106], vcc, v[97:98], v[99:100], v[97:98]
	v_fma_f64 v[107:108], -v[101:102], v[103:104], 1.0
	v_fma_f64 v[103:104], v[103:104], v[107:108], v[103:104]
	v_mul_f64 v[107:108], v[105:106], v[103:104]
	v_fma_f64 v[101:102], -v[101:102], v[107:108], v[105:106]
	v_div_fmas_f64 v[101:102], v[101:102], v[103:104], v[107:108]
	v_div_fixup_f64 v[101:102], v[101:102], v[99:100], v[97:98]
	v_fma_f64 v[97:98], v[97:98], v[101:102], v[99:100]
	v_div_scale_f64 v[99:100], s[6:7], v[97:98], v[97:98], 1.0
	v_div_scale_f64 v[107:108], vcc, 1.0, v[97:98], 1.0
	v_rcp_f64_e32 v[103:104], v[99:100]
	v_fma_f64 v[105:106], -v[99:100], v[103:104], 1.0
	v_fma_f64 v[103:104], v[103:104], v[105:106], v[103:104]
	v_fma_f64 v[105:106], -v[99:100], v[103:104], 1.0
	v_fma_f64 v[103:104], v[103:104], v[105:106], v[103:104]
	v_mul_f64 v[105:106], v[107:108], v[103:104]
	v_fma_f64 v[99:100], -v[99:100], v[105:106], v[107:108]
	v_div_fmas_f64 v[99:100], v[99:100], v[103:104], v[105:106]
	v_div_fixup_f64 v[103:104], v[99:100], v[97:98], 1.0
                                        ; implicit-def: $vgpr97_vgpr98
	v_mul_f64 v[101:102], v[101:102], v[103:104]
	v_xor_b32_e32 v104, 0x80000000, v104
.LBB55_149:
	s_andn2_saveexec_b64 s[2:3], s[2:3]
	s_cbranch_execz .LBB55_151
; %bb.150:
	v_div_scale_f64 v[101:102], s[6:7], v[97:98], v[97:98], v[99:100]
	v_rcp_f64_e32 v[103:104], v[101:102]
	v_fma_f64 v[105:106], -v[101:102], v[103:104], 1.0
	v_fma_f64 v[103:104], v[103:104], v[105:106], v[103:104]
	v_div_scale_f64 v[105:106], vcc, v[99:100], v[97:98], v[99:100]
	v_fma_f64 v[107:108], -v[101:102], v[103:104], 1.0
	v_fma_f64 v[103:104], v[103:104], v[107:108], v[103:104]
	v_mul_f64 v[107:108], v[105:106], v[103:104]
	v_fma_f64 v[101:102], -v[101:102], v[107:108], v[105:106]
	v_div_fmas_f64 v[101:102], v[101:102], v[103:104], v[107:108]
	v_div_fixup_f64 v[103:104], v[101:102], v[97:98], v[99:100]
	v_fma_f64 v[97:98], v[99:100], v[103:104], v[97:98]
	v_div_scale_f64 v[99:100], s[6:7], v[97:98], v[97:98], 1.0
	v_div_scale_f64 v[107:108], vcc, 1.0, v[97:98], 1.0
	v_rcp_f64_e32 v[101:102], v[99:100]
	v_fma_f64 v[105:106], -v[99:100], v[101:102], 1.0
	v_fma_f64 v[101:102], v[101:102], v[105:106], v[101:102]
	v_fma_f64 v[105:106], -v[99:100], v[101:102], 1.0
	v_fma_f64 v[101:102], v[101:102], v[105:106], v[101:102]
	v_mul_f64 v[105:106], v[107:108], v[101:102]
	v_fma_f64 v[99:100], -v[99:100], v[105:106], v[107:108]
	v_div_fmas_f64 v[99:100], v[99:100], v[101:102], v[105:106]
	v_div_fixup_f64 v[101:102], v[99:100], v[97:98], 1.0
	v_mul_f64 v[103:104], v[103:104], -v[101:102]
.LBB55_151:
	s_or_b64 exec, exec, s[2:3]
	ds_write2_b64 v127, v[101:102], v[103:104] offset1:1
.LBB55_152:
	s_or_b64 exec, exec, s[4:5]
	s_waitcnt lgkmcnt(0)
	s_barrier
	ds_read2_b64 v[97:100], v127 offset1:1
	v_cmp_lt_u32_e32 vcc, 16, v0
	s_waitcnt lgkmcnt(0)
	buffer_store_dword v97, off, s[20:23], 0 offset:560 ; 4-byte Folded Spill
	s_nop 0
	buffer_store_dword v98, off, s[20:23], 0 offset:564 ; 4-byte Folded Spill
	buffer_store_dword v99, off, s[20:23], 0 offset:568 ; 4-byte Folded Spill
	;; [unrolled: 1-line block ×3, first 2 shown]
	s_and_saveexec_b64 s[2:3], vcc
	s_cbranch_execz .LBB55_154
; %bb.153:
	buffer_load_dword v99, off, s[20:23], 0 offset:560 ; 4-byte Folded Reload
	buffer_load_dword v100, off, s[20:23], 0 offset:564 ; 4-byte Folded Reload
	;; [unrolled: 1-line block ×4, first 2 shown]
	s_waitcnt vmcnt(2)
	v_mul_f64 v[97:98], v[99:100], v[43:44]
	s_waitcnt vmcnt(0)
	v_mul_f64 v[43:44], v[101:102], v[43:44]
	v_fma_f64 v[97:98], v[101:102], v[41:42], v[97:98]
	v_fma_f64 v[41:42], v[99:100], v[41:42], -v[43:44]
	ds_read2_b64 v[99:102], v125 offset0:34 offset1:35
	s_waitcnt lgkmcnt(0)
	v_mul_f64 v[43:44], v[101:102], v[97:98]
	v_fma_f64 v[43:44], v[99:100], v[41:42], -v[43:44]
	v_mul_f64 v[99:100], v[99:100], v[97:98]
	v_add_f64 v[37:38], v[37:38], -v[43:44]
	v_fma_f64 v[99:100], v[101:102], v[41:42], v[99:100]
	v_add_f64 v[39:40], v[39:40], -v[99:100]
	ds_read2_b64 v[99:102], v125 offset0:36 offset1:37
	s_waitcnt lgkmcnt(0)
	v_mul_f64 v[43:44], v[101:102], v[97:98]
	v_fma_f64 v[43:44], v[99:100], v[41:42], -v[43:44]
	v_mul_f64 v[99:100], v[99:100], v[97:98]
	v_add_f64 v[33:34], v[33:34], -v[43:44]
	v_fma_f64 v[99:100], v[101:102], v[41:42], v[99:100]
	v_add_f64 v[35:36], v[35:36], -v[99:100]
	;; [unrolled: 8-line block ×10, first 2 shown]
	ds_read2_b64 v[99:102], v125 offset0:54 offset1:55
	s_waitcnt lgkmcnt(0)
	v_mul_f64 v[43:44], v[101:102], v[97:98]
	v_fma_f64 v[43:44], v[99:100], v[41:42], -v[43:44]
	v_mul_f64 v[99:100], v[99:100], v[97:98]
	v_add_f64 v[89:90], v[89:90], -v[43:44]
	v_fma_f64 v[99:100], v[101:102], v[41:42], v[99:100]
	v_mov_b32_e32 v43, v97
	v_mov_b32_e32 v44, v98
	v_add_f64 v[91:92], v[91:92], -v[99:100]
.LBB55_154:
	s_or_b64 exec, exec, s[2:3]
	v_cmp_eq_u32_e32 vcc, 17, v0
	s_waitcnt vmcnt(0)
	s_barrier
	s_and_saveexec_b64 s[4:5], vcc
	s_cbranch_execz .LBB55_161
; %bb.155:
	ds_write2_b64 v127, v[37:38], v[39:40] offset1:1
	ds_write2_b64 v125, v[33:34], v[35:36] offset0:36 offset1:37
	ds_write2_b64 v125, v[29:30], v[31:32] offset0:38 offset1:39
	;; [unrolled: 1-line block ×10, first 2 shown]
	ds_read2_b64 v[97:100], v127 offset1:1
	s_waitcnt lgkmcnt(0)
	v_cmp_neq_f64_e32 vcc, 0, v[97:98]
	v_cmp_neq_f64_e64 s[2:3], 0, v[99:100]
	s_or_b64 s[2:3], vcc, s[2:3]
	s_and_b64 exec, exec, s[2:3]
	s_cbranch_execz .LBB55_161
; %bb.156:
	v_cmp_ngt_f64_e64 s[2:3], |v[97:98]|, |v[99:100]|
                                        ; implicit-def: $vgpr101_vgpr102
	s_and_saveexec_b64 s[6:7], s[2:3]
	s_xor_b64 s[2:3], exec, s[6:7]
                                        ; implicit-def: $vgpr103_vgpr104
	s_cbranch_execz .LBB55_158
; %bb.157:
	v_div_scale_f64 v[101:102], s[6:7], v[99:100], v[99:100], v[97:98]
	v_rcp_f64_e32 v[103:104], v[101:102]
	v_fma_f64 v[105:106], -v[101:102], v[103:104], 1.0
	v_fma_f64 v[103:104], v[103:104], v[105:106], v[103:104]
	v_div_scale_f64 v[105:106], vcc, v[97:98], v[99:100], v[97:98]
	v_fma_f64 v[107:108], -v[101:102], v[103:104], 1.0
	v_fma_f64 v[103:104], v[103:104], v[107:108], v[103:104]
	v_mul_f64 v[107:108], v[105:106], v[103:104]
	v_fma_f64 v[101:102], -v[101:102], v[107:108], v[105:106]
	v_div_fmas_f64 v[101:102], v[101:102], v[103:104], v[107:108]
	v_div_fixup_f64 v[101:102], v[101:102], v[99:100], v[97:98]
	v_fma_f64 v[97:98], v[97:98], v[101:102], v[99:100]
	v_div_scale_f64 v[99:100], s[6:7], v[97:98], v[97:98], 1.0
	v_div_scale_f64 v[107:108], vcc, 1.0, v[97:98], 1.0
	v_rcp_f64_e32 v[103:104], v[99:100]
	v_fma_f64 v[105:106], -v[99:100], v[103:104], 1.0
	v_fma_f64 v[103:104], v[103:104], v[105:106], v[103:104]
	v_fma_f64 v[105:106], -v[99:100], v[103:104], 1.0
	v_fma_f64 v[103:104], v[103:104], v[105:106], v[103:104]
	v_mul_f64 v[105:106], v[107:108], v[103:104]
	v_fma_f64 v[99:100], -v[99:100], v[105:106], v[107:108]
	v_div_fmas_f64 v[99:100], v[99:100], v[103:104], v[105:106]
	v_div_fixup_f64 v[103:104], v[99:100], v[97:98], 1.0
                                        ; implicit-def: $vgpr97_vgpr98
	v_mul_f64 v[101:102], v[101:102], v[103:104]
	v_xor_b32_e32 v104, 0x80000000, v104
.LBB55_158:
	s_andn2_saveexec_b64 s[2:3], s[2:3]
	s_cbranch_execz .LBB55_160
; %bb.159:
	v_div_scale_f64 v[101:102], s[6:7], v[97:98], v[97:98], v[99:100]
	v_rcp_f64_e32 v[103:104], v[101:102]
	v_fma_f64 v[105:106], -v[101:102], v[103:104], 1.0
	v_fma_f64 v[103:104], v[103:104], v[105:106], v[103:104]
	v_div_scale_f64 v[105:106], vcc, v[99:100], v[97:98], v[99:100]
	v_fma_f64 v[107:108], -v[101:102], v[103:104], 1.0
	v_fma_f64 v[103:104], v[103:104], v[107:108], v[103:104]
	v_mul_f64 v[107:108], v[105:106], v[103:104]
	v_fma_f64 v[101:102], -v[101:102], v[107:108], v[105:106]
	v_div_fmas_f64 v[101:102], v[101:102], v[103:104], v[107:108]
	v_div_fixup_f64 v[103:104], v[101:102], v[97:98], v[99:100]
	v_fma_f64 v[97:98], v[99:100], v[103:104], v[97:98]
	v_div_scale_f64 v[99:100], s[6:7], v[97:98], v[97:98], 1.0
	v_div_scale_f64 v[107:108], vcc, 1.0, v[97:98], 1.0
	v_rcp_f64_e32 v[101:102], v[99:100]
	v_fma_f64 v[105:106], -v[99:100], v[101:102], 1.0
	v_fma_f64 v[101:102], v[101:102], v[105:106], v[101:102]
	v_fma_f64 v[105:106], -v[99:100], v[101:102], 1.0
	v_fma_f64 v[101:102], v[101:102], v[105:106], v[101:102]
	v_mul_f64 v[105:106], v[107:108], v[101:102]
	v_fma_f64 v[99:100], -v[99:100], v[105:106], v[107:108]
	v_div_fmas_f64 v[99:100], v[99:100], v[101:102], v[105:106]
	v_div_fixup_f64 v[101:102], v[99:100], v[97:98], 1.0
	v_mul_f64 v[103:104], v[103:104], -v[101:102]
.LBB55_160:
	s_or_b64 exec, exec, s[2:3]
	ds_write2_b64 v127, v[101:102], v[103:104] offset1:1
.LBB55_161:
	s_or_b64 exec, exec, s[4:5]
	s_waitcnt lgkmcnt(0)
	s_barrier
	ds_read2_b64 v[97:100], v127 offset1:1
	v_cmp_lt_u32_e32 vcc, 17, v0
	s_waitcnt lgkmcnt(0)
	buffer_store_dword v97, off, s[20:23], 0 offset:576 ; 4-byte Folded Spill
	s_nop 0
	buffer_store_dword v98, off, s[20:23], 0 offset:580 ; 4-byte Folded Spill
	buffer_store_dword v99, off, s[20:23], 0 offset:584 ; 4-byte Folded Spill
	;; [unrolled: 1-line block ×3, first 2 shown]
	s_and_saveexec_b64 s[2:3], vcc
	s_cbranch_execz .LBB55_163
; %bb.162:
	buffer_load_dword v99, off, s[20:23], 0 offset:576 ; 4-byte Folded Reload
	buffer_load_dword v100, off, s[20:23], 0 offset:580 ; 4-byte Folded Reload
	;; [unrolled: 1-line block ×4, first 2 shown]
	s_waitcnt vmcnt(2)
	v_mul_f64 v[97:98], v[99:100], v[39:40]
	s_waitcnt vmcnt(0)
	v_mul_f64 v[39:40], v[101:102], v[39:40]
	v_fma_f64 v[97:98], v[101:102], v[37:38], v[97:98]
	v_fma_f64 v[37:38], v[99:100], v[37:38], -v[39:40]
	ds_read2_b64 v[99:102], v125 offset0:36 offset1:37
	s_waitcnt lgkmcnt(0)
	v_mul_f64 v[39:40], v[101:102], v[97:98]
	v_fma_f64 v[39:40], v[99:100], v[37:38], -v[39:40]
	v_mul_f64 v[99:100], v[99:100], v[97:98]
	v_add_f64 v[33:34], v[33:34], -v[39:40]
	v_fma_f64 v[99:100], v[101:102], v[37:38], v[99:100]
	v_add_f64 v[35:36], v[35:36], -v[99:100]
	ds_read2_b64 v[99:102], v125 offset0:38 offset1:39
	s_waitcnt lgkmcnt(0)
	v_mul_f64 v[39:40], v[101:102], v[97:98]
	v_fma_f64 v[39:40], v[99:100], v[37:38], -v[39:40]
	v_mul_f64 v[99:100], v[99:100], v[97:98]
	v_add_f64 v[29:30], v[29:30], -v[39:40]
	v_fma_f64 v[99:100], v[101:102], v[37:38], v[99:100]
	v_add_f64 v[31:32], v[31:32], -v[99:100]
	;; [unrolled: 8-line block ×9, first 2 shown]
	ds_read2_b64 v[99:102], v125 offset0:54 offset1:55
	s_waitcnt lgkmcnt(0)
	v_mul_f64 v[39:40], v[101:102], v[97:98]
	v_fma_f64 v[39:40], v[99:100], v[37:38], -v[39:40]
	v_mul_f64 v[99:100], v[99:100], v[97:98]
	v_add_f64 v[89:90], v[89:90], -v[39:40]
	v_fma_f64 v[99:100], v[101:102], v[37:38], v[99:100]
	v_mov_b32_e32 v39, v97
	v_mov_b32_e32 v40, v98
	v_add_f64 v[91:92], v[91:92], -v[99:100]
.LBB55_163:
	s_or_b64 exec, exec, s[2:3]
	v_cmp_eq_u32_e32 vcc, 18, v0
	s_waitcnt vmcnt(0)
	s_barrier
	s_and_saveexec_b64 s[4:5], vcc
	s_cbranch_execz .LBB55_170
; %bb.164:
	ds_write2_b64 v127, v[33:34], v[35:36] offset1:1
	ds_write2_b64 v125, v[29:30], v[31:32] offset0:38 offset1:39
	ds_write2_b64 v125, v[25:26], v[27:28] offset0:40 offset1:41
	;; [unrolled: 1-line block ×9, first 2 shown]
	ds_read2_b64 v[97:100], v127 offset1:1
	s_waitcnt lgkmcnt(0)
	v_cmp_neq_f64_e32 vcc, 0, v[97:98]
	v_cmp_neq_f64_e64 s[2:3], 0, v[99:100]
	s_or_b64 s[2:3], vcc, s[2:3]
	s_and_b64 exec, exec, s[2:3]
	s_cbranch_execz .LBB55_170
; %bb.165:
	v_cmp_ngt_f64_e64 s[2:3], |v[97:98]|, |v[99:100]|
                                        ; implicit-def: $vgpr101_vgpr102
	s_and_saveexec_b64 s[6:7], s[2:3]
	s_xor_b64 s[2:3], exec, s[6:7]
                                        ; implicit-def: $vgpr103_vgpr104
	s_cbranch_execz .LBB55_167
; %bb.166:
	v_div_scale_f64 v[101:102], s[6:7], v[99:100], v[99:100], v[97:98]
	v_rcp_f64_e32 v[103:104], v[101:102]
	v_fma_f64 v[105:106], -v[101:102], v[103:104], 1.0
	v_fma_f64 v[103:104], v[103:104], v[105:106], v[103:104]
	v_div_scale_f64 v[105:106], vcc, v[97:98], v[99:100], v[97:98]
	v_fma_f64 v[107:108], -v[101:102], v[103:104], 1.0
	v_fma_f64 v[103:104], v[103:104], v[107:108], v[103:104]
	v_mul_f64 v[107:108], v[105:106], v[103:104]
	v_fma_f64 v[101:102], -v[101:102], v[107:108], v[105:106]
	v_div_fmas_f64 v[101:102], v[101:102], v[103:104], v[107:108]
	v_div_fixup_f64 v[101:102], v[101:102], v[99:100], v[97:98]
	v_fma_f64 v[97:98], v[97:98], v[101:102], v[99:100]
	v_div_scale_f64 v[99:100], s[6:7], v[97:98], v[97:98], 1.0
	v_div_scale_f64 v[107:108], vcc, 1.0, v[97:98], 1.0
	v_rcp_f64_e32 v[103:104], v[99:100]
	v_fma_f64 v[105:106], -v[99:100], v[103:104], 1.0
	v_fma_f64 v[103:104], v[103:104], v[105:106], v[103:104]
	v_fma_f64 v[105:106], -v[99:100], v[103:104], 1.0
	v_fma_f64 v[103:104], v[103:104], v[105:106], v[103:104]
	v_mul_f64 v[105:106], v[107:108], v[103:104]
	v_fma_f64 v[99:100], -v[99:100], v[105:106], v[107:108]
	v_div_fmas_f64 v[99:100], v[99:100], v[103:104], v[105:106]
	v_div_fixup_f64 v[103:104], v[99:100], v[97:98], 1.0
                                        ; implicit-def: $vgpr97_vgpr98
	v_mul_f64 v[101:102], v[101:102], v[103:104]
	v_xor_b32_e32 v104, 0x80000000, v104
.LBB55_167:
	s_andn2_saveexec_b64 s[2:3], s[2:3]
	s_cbranch_execz .LBB55_169
; %bb.168:
	v_div_scale_f64 v[101:102], s[6:7], v[97:98], v[97:98], v[99:100]
	v_rcp_f64_e32 v[103:104], v[101:102]
	v_fma_f64 v[105:106], -v[101:102], v[103:104], 1.0
	v_fma_f64 v[103:104], v[103:104], v[105:106], v[103:104]
	v_div_scale_f64 v[105:106], vcc, v[99:100], v[97:98], v[99:100]
	v_fma_f64 v[107:108], -v[101:102], v[103:104], 1.0
	v_fma_f64 v[103:104], v[103:104], v[107:108], v[103:104]
	v_mul_f64 v[107:108], v[105:106], v[103:104]
	v_fma_f64 v[101:102], -v[101:102], v[107:108], v[105:106]
	v_div_fmas_f64 v[101:102], v[101:102], v[103:104], v[107:108]
	v_div_fixup_f64 v[103:104], v[101:102], v[97:98], v[99:100]
	v_fma_f64 v[97:98], v[99:100], v[103:104], v[97:98]
	v_div_scale_f64 v[99:100], s[6:7], v[97:98], v[97:98], 1.0
	v_div_scale_f64 v[107:108], vcc, 1.0, v[97:98], 1.0
	v_rcp_f64_e32 v[101:102], v[99:100]
	v_fma_f64 v[105:106], -v[99:100], v[101:102], 1.0
	v_fma_f64 v[101:102], v[101:102], v[105:106], v[101:102]
	v_fma_f64 v[105:106], -v[99:100], v[101:102], 1.0
	v_fma_f64 v[101:102], v[101:102], v[105:106], v[101:102]
	v_mul_f64 v[105:106], v[107:108], v[101:102]
	v_fma_f64 v[99:100], -v[99:100], v[105:106], v[107:108]
	v_div_fmas_f64 v[99:100], v[99:100], v[101:102], v[105:106]
	v_div_fixup_f64 v[101:102], v[99:100], v[97:98], 1.0
	v_mul_f64 v[103:104], v[103:104], -v[101:102]
.LBB55_169:
	s_or_b64 exec, exec, s[2:3]
	ds_write2_b64 v127, v[101:102], v[103:104] offset1:1
.LBB55_170:
	s_or_b64 exec, exec, s[4:5]
	s_waitcnt lgkmcnt(0)
	s_barrier
	ds_read2_b64 v[97:100], v127 offset1:1
	v_cmp_lt_u32_e32 vcc, 18, v0
	s_waitcnt lgkmcnt(0)
	buffer_store_dword v97, off, s[20:23], 0 offset:592 ; 4-byte Folded Spill
	s_nop 0
	buffer_store_dword v98, off, s[20:23], 0 offset:596 ; 4-byte Folded Spill
	buffer_store_dword v99, off, s[20:23], 0 offset:600 ; 4-byte Folded Spill
	buffer_store_dword v100, off, s[20:23], 0 offset:604 ; 4-byte Folded Spill
	s_and_saveexec_b64 s[2:3], vcc
	s_cbranch_execz .LBB55_172
; %bb.171:
	buffer_load_dword v99, off, s[20:23], 0 offset:592 ; 4-byte Folded Reload
	buffer_load_dword v100, off, s[20:23], 0 offset:596 ; 4-byte Folded Reload
	;; [unrolled: 1-line block ×4, first 2 shown]
	s_waitcnt vmcnt(2)
	v_mul_f64 v[97:98], v[99:100], v[35:36]
	s_waitcnt vmcnt(0)
	v_mul_f64 v[35:36], v[101:102], v[35:36]
	v_fma_f64 v[97:98], v[101:102], v[33:34], v[97:98]
	v_fma_f64 v[33:34], v[99:100], v[33:34], -v[35:36]
	ds_read2_b64 v[99:102], v125 offset0:38 offset1:39
	s_waitcnt lgkmcnt(0)
	v_mul_f64 v[35:36], v[101:102], v[97:98]
	v_fma_f64 v[35:36], v[99:100], v[33:34], -v[35:36]
	v_mul_f64 v[99:100], v[99:100], v[97:98]
	v_add_f64 v[29:30], v[29:30], -v[35:36]
	v_fma_f64 v[99:100], v[101:102], v[33:34], v[99:100]
	v_add_f64 v[31:32], v[31:32], -v[99:100]
	ds_read2_b64 v[99:102], v125 offset0:40 offset1:41
	s_waitcnt lgkmcnt(0)
	v_mul_f64 v[35:36], v[101:102], v[97:98]
	v_fma_f64 v[35:36], v[99:100], v[33:34], -v[35:36]
	v_mul_f64 v[99:100], v[99:100], v[97:98]
	v_add_f64 v[25:26], v[25:26], -v[35:36]
	v_fma_f64 v[99:100], v[101:102], v[33:34], v[99:100]
	v_add_f64 v[27:28], v[27:28], -v[99:100]
	;; [unrolled: 8-line block ×8, first 2 shown]
	ds_read2_b64 v[99:102], v125 offset0:54 offset1:55
	s_waitcnt lgkmcnt(0)
	v_mul_f64 v[35:36], v[101:102], v[97:98]
	v_fma_f64 v[35:36], v[99:100], v[33:34], -v[35:36]
	v_mul_f64 v[99:100], v[99:100], v[97:98]
	v_add_f64 v[89:90], v[89:90], -v[35:36]
	v_fma_f64 v[99:100], v[101:102], v[33:34], v[99:100]
	v_mov_b32_e32 v35, v97
	v_mov_b32_e32 v36, v98
	v_add_f64 v[91:92], v[91:92], -v[99:100]
.LBB55_172:
	s_or_b64 exec, exec, s[2:3]
	v_cmp_eq_u32_e32 vcc, 19, v0
	s_waitcnt vmcnt(0)
	s_barrier
	s_and_saveexec_b64 s[4:5], vcc
	s_cbranch_execz .LBB55_179
; %bb.173:
	ds_write2_b64 v127, v[29:30], v[31:32] offset1:1
	ds_write2_b64 v125, v[25:26], v[27:28] offset0:40 offset1:41
	ds_write2_b64 v125, v[21:22], v[23:24] offset0:42 offset1:43
	;; [unrolled: 1-line block ×8, first 2 shown]
	ds_read2_b64 v[97:100], v127 offset1:1
	s_waitcnt lgkmcnt(0)
	v_cmp_neq_f64_e32 vcc, 0, v[97:98]
	v_cmp_neq_f64_e64 s[2:3], 0, v[99:100]
	s_or_b64 s[2:3], vcc, s[2:3]
	s_and_b64 exec, exec, s[2:3]
	s_cbranch_execz .LBB55_179
; %bb.174:
	v_cmp_ngt_f64_e64 s[2:3], |v[97:98]|, |v[99:100]|
                                        ; implicit-def: $vgpr101_vgpr102
	s_and_saveexec_b64 s[6:7], s[2:3]
	s_xor_b64 s[2:3], exec, s[6:7]
                                        ; implicit-def: $vgpr103_vgpr104
	s_cbranch_execz .LBB55_176
; %bb.175:
	v_div_scale_f64 v[101:102], s[6:7], v[99:100], v[99:100], v[97:98]
	v_rcp_f64_e32 v[103:104], v[101:102]
	v_fma_f64 v[105:106], -v[101:102], v[103:104], 1.0
	v_fma_f64 v[103:104], v[103:104], v[105:106], v[103:104]
	v_div_scale_f64 v[105:106], vcc, v[97:98], v[99:100], v[97:98]
	v_fma_f64 v[107:108], -v[101:102], v[103:104], 1.0
	v_fma_f64 v[103:104], v[103:104], v[107:108], v[103:104]
	v_mul_f64 v[107:108], v[105:106], v[103:104]
	v_fma_f64 v[101:102], -v[101:102], v[107:108], v[105:106]
	v_div_fmas_f64 v[101:102], v[101:102], v[103:104], v[107:108]
	v_div_fixup_f64 v[101:102], v[101:102], v[99:100], v[97:98]
	v_fma_f64 v[97:98], v[97:98], v[101:102], v[99:100]
	v_div_scale_f64 v[99:100], s[6:7], v[97:98], v[97:98], 1.0
	v_div_scale_f64 v[107:108], vcc, 1.0, v[97:98], 1.0
	v_rcp_f64_e32 v[103:104], v[99:100]
	v_fma_f64 v[105:106], -v[99:100], v[103:104], 1.0
	v_fma_f64 v[103:104], v[103:104], v[105:106], v[103:104]
	v_fma_f64 v[105:106], -v[99:100], v[103:104], 1.0
	v_fma_f64 v[103:104], v[103:104], v[105:106], v[103:104]
	v_mul_f64 v[105:106], v[107:108], v[103:104]
	v_fma_f64 v[99:100], -v[99:100], v[105:106], v[107:108]
	v_div_fmas_f64 v[99:100], v[99:100], v[103:104], v[105:106]
	v_div_fixup_f64 v[103:104], v[99:100], v[97:98], 1.0
                                        ; implicit-def: $vgpr97_vgpr98
	v_mul_f64 v[101:102], v[101:102], v[103:104]
	v_xor_b32_e32 v104, 0x80000000, v104
.LBB55_176:
	s_andn2_saveexec_b64 s[2:3], s[2:3]
	s_cbranch_execz .LBB55_178
; %bb.177:
	v_div_scale_f64 v[101:102], s[6:7], v[97:98], v[97:98], v[99:100]
	v_rcp_f64_e32 v[103:104], v[101:102]
	v_fma_f64 v[105:106], -v[101:102], v[103:104], 1.0
	v_fma_f64 v[103:104], v[103:104], v[105:106], v[103:104]
	v_div_scale_f64 v[105:106], vcc, v[99:100], v[97:98], v[99:100]
	v_fma_f64 v[107:108], -v[101:102], v[103:104], 1.0
	v_fma_f64 v[103:104], v[103:104], v[107:108], v[103:104]
	v_mul_f64 v[107:108], v[105:106], v[103:104]
	v_fma_f64 v[101:102], -v[101:102], v[107:108], v[105:106]
	v_div_fmas_f64 v[101:102], v[101:102], v[103:104], v[107:108]
	v_div_fixup_f64 v[103:104], v[101:102], v[97:98], v[99:100]
	v_fma_f64 v[97:98], v[99:100], v[103:104], v[97:98]
	v_div_scale_f64 v[99:100], s[6:7], v[97:98], v[97:98], 1.0
	v_div_scale_f64 v[107:108], vcc, 1.0, v[97:98], 1.0
	v_rcp_f64_e32 v[101:102], v[99:100]
	v_fma_f64 v[105:106], -v[99:100], v[101:102], 1.0
	v_fma_f64 v[101:102], v[101:102], v[105:106], v[101:102]
	v_fma_f64 v[105:106], -v[99:100], v[101:102], 1.0
	v_fma_f64 v[101:102], v[101:102], v[105:106], v[101:102]
	v_mul_f64 v[105:106], v[107:108], v[101:102]
	v_fma_f64 v[99:100], -v[99:100], v[105:106], v[107:108]
	v_div_fmas_f64 v[99:100], v[99:100], v[101:102], v[105:106]
	v_div_fixup_f64 v[101:102], v[99:100], v[97:98], 1.0
	v_mul_f64 v[103:104], v[103:104], -v[101:102]
.LBB55_178:
	s_or_b64 exec, exec, s[2:3]
	ds_write2_b64 v127, v[101:102], v[103:104] offset1:1
.LBB55_179:
	s_or_b64 exec, exec, s[4:5]
	s_waitcnt lgkmcnt(0)
	s_barrier
	ds_read2_b64 v[97:100], v127 offset1:1
	v_cmp_lt_u32_e32 vcc, 19, v0
	s_waitcnt lgkmcnt(0)
	buffer_store_dword v97, off, s[20:23], 0 offset:608 ; 4-byte Folded Spill
	s_nop 0
	buffer_store_dword v98, off, s[20:23], 0 offset:612 ; 4-byte Folded Spill
	buffer_store_dword v99, off, s[20:23], 0 offset:616 ; 4-byte Folded Spill
	;; [unrolled: 1-line block ×3, first 2 shown]
	s_and_saveexec_b64 s[2:3], vcc
	s_cbranch_execz .LBB55_181
; %bb.180:
	buffer_load_dword v99, off, s[20:23], 0 offset:608 ; 4-byte Folded Reload
	buffer_load_dword v100, off, s[20:23], 0 offset:612 ; 4-byte Folded Reload
	;; [unrolled: 1-line block ×4, first 2 shown]
	s_waitcnt vmcnt(2)
	v_mul_f64 v[97:98], v[99:100], v[31:32]
	s_waitcnt vmcnt(0)
	v_mul_f64 v[31:32], v[101:102], v[31:32]
	v_fma_f64 v[97:98], v[101:102], v[29:30], v[97:98]
	v_fma_f64 v[29:30], v[99:100], v[29:30], -v[31:32]
	ds_read2_b64 v[99:102], v125 offset0:40 offset1:41
	s_waitcnt lgkmcnt(0)
	v_mul_f64 v[31:32], v[101:102], v[97:98]
	v_fma_f64 v[31:32], v[99:100], v[29:30], -v[31:32]
	v_mul_f64 v[99:100], v[99:100], v[97:98]
	v_add_f64 v[25:26], v[25:26], -v[31:32]
	v_fma_f64 v[99:100], v[101:102], v[29:30], v[99:100]
	v_add_f64 v[27:28], v[27:28], -v[99:100]
	ds_read2_b64 v[99:102], v125 offset0:42 offset1:43
	s_waitcnt lgkmcnt(0)
	v_mul_f64 v[31:32], v[101:102], v[97:98]
	v_fma_f64 v[31:32], v[99:100], v[29:30], -v[31:32]
	v_mul_f64 v[99:100], v[99:100], v[97:98]
	v_add_f64 v[21:22], v[21:22], -v[31:32]
	v_fma_f64 v[99:100], v[101:102], v[29:30], v[99:100]
	v_add_f64 v[23:24], v[23:24], -v[99:100]
	;; [unrolled: 8-line block ×7, first 2 shown]
	ds_read2_b64 v[99:102], v125 offset0:54 offset1:55
	s_waitcnt lgkmcnt(0)
	v_mul_f64 v[31:32], v[101:102], v[97:98]
	v_fma_f64 v[31:32], v[99:100], v[29:30], -v[31:32]
	v_mul_f64 v[99:100], v[99:100], v[97:98]
	v_add_f64 v[89:90], v[89:90], -v[31:32]
	v_fma_f64 v[99:100], v[101:102], v[29:30], v[99:100]
	v_mov_b32_e32 v31, v97
	v_mov_b32_e32 v32, v98
	v_add_f64 v[91:92], v[91:92], -v[99:100]
.LBB55_181:
	s_or_b64 exec, exec, s[2:3]
	v_cmp_eq_u32_e32 vcc, 20, v0
	s_waitcnt vmcnt(0)
	s_barrier
	s_and_saveexec_b64 s[4:5], vcc
	s_cbranch_execz .LBB55_188
; %bb.182:
	ds_write2_b64 v127, v[25:26], v[27:28] offset1:1
	ds_write2_b64 v125, v[21:22], v[23:24] offset0:42 offset1:43
	ds_write2_b64 v125, v[17:18], v[19:20] offset0:44 offset1:45
	;; [unrolled: 1-line block ×7, first 2 shown]
	ds_read2_b64 v[97:100], v127 offset1:1
	s_waitcnt lgkmcnt(0)
	v_cmp_neq_f64_e32 vcc, 0, v[97:98]
	v_cmp_neq_f64_e64 s[2:3], 0, v[99:100]
	s_or_b64 s[2:3], vcc, s[2:3]
	s_and_b64 exec, exec, s[2:3]
	s_cbranch_execz .LBB55_188
; %bb.183:
	v_cmp_ngt_f64_e64 s[2:3], |v[97:98]|, |v[99:100]|
                                        ; implicit-def: $vgpr101_vgpr102
	s_and_saveexec_b64 s[6:7], s[2:3]
	s_xor_b64 s[2:3], exec, s[6:7]
                                        ; implicit-def: $vgpr103_vgpr104
	s_cbranch_execz .LBB55_185
; %bb.184:
	v_div_scale_f64 v[101:102], s[6:7], v[99:100], v[99:100], v[97:98]
	v_rcp_f64_e32 v[103:104], v[101:102]
	v_fma_f64 v[105:106], -v[101:102], v[103:104], 1.0
	v_fma_f64 v[103:104], v[103:104], v[105:106], v[103:104]
	v_div_scale_f64 v[105:106], vcc, v[97:98], v[99:100], v[97:98]
	v_fma_f64 v[107:108], -v[101:102], v[103:104], 1.0
	v_fma_f64 v[103:104], v[103:104], v[107:108], v[103:104]
	v_mul_f64 v[107:108], v[105:106], v[103:104]
	v_fma_f64 v[101:102], -v[101:102], v[107:108], v[105:106]
	v_div_fmas_f64 v[101:102], v[101:102], v[103:104], v[107:108]
	v_div_fixup_f64 v[101:102], v[101:102], v[99:100], v[97:98]
	v_fma_f64 v[97:98], v[97:98], v[101:102], v[99:100]
	v_div_scale_f64 v[99:100], s[6:7], v[97:98], v[97:98], 1.0
	v_div_scale_f64 v[107:108], vcc, 1.0, v[97:98], 1.0
	v_rcp_f64_e32 v[103:104], v[99:100]
	v_fma_f64 v[105:106], -v[99:100], v[103:104], 1.0
	v_fma_f64 v[103:104], v[103:104], v[105:106], v[103:104]
	v_fma_f64 v[105:106], -v[99:100], v[103:104], 1.0
	v_fma_f64 v[103:104], v[103:104], v[105:106], v[103:104]
	v_mul_f64 v[105:106], v[107:108], v[103:104]
	v_fma_f64 v[99:100], -v[99:100], v[105:106], v[107:108]
	v_div_fmas_f64 v[99:100], v[99:100], v[103:104], v[105:106]
	v_div_fixup_f64 v[103:104], v[99:100], v[97:98], 1.0
                                        ; implicit-def: $vgpr97_vgpr98
	v_mul_f64 v[101:102], v[101:102], v[103:104]
	v_xor_b32_e32 v104, 0x80000000, v104
.LBB55_185:
	s_andn2_saveexec_b64 s[2:3], s[2:3]
	s_cbranch_execz .LBB55_187
; %bb.186:
	v_div_scale_f64 v[101:102], s[6:7], v[97:98], v[97:98], v[99:100]
	v_rcp_f64_e32 v[103:104], v[101:102]
	v_fma_f64 v[105:106], -v[101:102], v[103:104], 1.0
	v_fma_f64 v[103:104], v[103:104], v[105:106], v[103:104]
	v_div_scale_f64 v[105:106], vcc, v[99:100], v[97:98], v[99:100]
	v_fma_f64 v[107:108], -v[101:102], v[103:104], 1.0
	v_fma_f64 v[103:104], v[103:104], v[107:108], v[103:104]
	v_mul_f64 v[107:108], v[105:106], v[103:104]
	v_fma_f64 v[101:102], -v[101:102], v[107:108], v[105:106]
	v_div_fmas_f64 v[101:102], v[101:102], v[103:104], v[107:108]
	v_div_fixup_f64 v[103:104], v[101:102], v[97:98], v[99:100]
	v_fma_f64 v[97:98], v[99:100], v[103:104], v[97:98]
	v_div_scale_f64 v[99:100], s[6:7], v[97:98], v[97:98], 1.0
	v_div_scale_f64 v[107:108], vcc, 1.0, v[97:98], 1.0
	v_rcp_f64_e32 v[101:102], v[99:100]
	v_fma_f64 v[105:106], -v[99:100], v[101:102], 1.0
	v_fma_f64 v[101:102], v[101:102], v[105:106], v[101:102]
	v_fma_f64 v[105:106], -v[99:100], v[101:102], 1.0
	v_fma_f64 v[101:102], v[101:102], v[105:106], v[101:102]
	v_mul_f64 v[105:106], v[107:108], v[101:102]
	v_fma_f64 v[99:100], -v[99:100], v[105:106], v[107:108]
	v_div_fmas_f64 v[99:100], v[99:100], v[101:102], v[105:106]
	v_div_fixup_f64 v[101:102], v[99:100], v[97:98], 1.0
	v_mul_f64 v[103:104], v[103:104], -v[101:102]
.LBB55_187:
	s_or_b64 exec, exec, s[2:3]
	ds_write2_b64 v127, v[101:102], v[103:104] offset1:1
.LBB55_188:
	s_or_b64 exec, exec, s[4:5]
	s_waitcnt lgkmcnt(0)
	s_barrier
	ds_read2_b64 v[97:100], v127 offset1:1
	v_cmp_lt_u32_e32 vcc, 20, v0
	s_waitcnt lgkmcnt(0)
	buffer_store_dword v97, off, s[20:23], 0 offset:624 ; 4-byte Folded Spill
	s_nop 0
	buffer_store_dword v98, off, s[20:23], 0 offset:628 ; 4-byte Folded Spill
	buffer_store_dword v99, off, s[20:23], 0 offset:632 ; 4-byte Folded Spill
	;; [unrolled: 1-line block ×3, first 2 shown]
	s_and_saveexec_b64 s[2:3], vcc
	s_cbranch_execz .LBB55_190
; %bb.189:
	buffer_load_dword v99, off, s[20:23], 0 offset:624 ; 4-byte Folded Reload
	buffer_load_dword v100, off, s[20:23], 0 offset:628 ; 4-byte Folded Reload
	;; [unrolled: 1-line block ×4, first 2 shown]
	s_waitcnt vmcnt(2)
	v_mul_f64 v[97:98], v[99:100], v[27:28]
	s_waitcnt vmcnt(0)
	v_mul_f64 v[27:28], v[101:102], v[27:28]
	v_fma_f64 v[97:98], v[101:102], v[25:26], v[97:98]
	v_fma_f64 v[25:26], v[99:100], v[25:26], -v[27:28]
	ds_read2_b64 v[99:102], v125 offset0:42 offset1:43
	s_waitcnt lgkmcnt(0)
	v_mul_f64 v[27:28], v[101:102], v[97:98]
	v_fma_f64 v[27:28], v[99:100], v[25:26], -v[27:28]
	v_mul_f64 v[99:100], v[99:100], v[97:98]
	v_add_f64 v[21:22], v[21:22], -v[27:28]
	v_fma_f64 v[99:100], v[101:102], v[25:26], v[99:100]
	v_add_f64 v[23:24], v[23:24], -v[99:100]
	ds_read2_b64 v[99:102], v125 offset0:44 offset1:45
	s_waitcnt lgkmcnt(0)
	v_mul_f64 v[27:28], v[101:102], v[97:98]
	v_fma_f64 v[27:28], v[99:100], v[25:26], -v[27:28]
	v_mul_f64 v[99:100], v[99:100], v[97:98]
	v_add_f64 v[17:18], v[17:18], -v[27:28]
	v_fma_f64 v[99:100], v[101:102], v[25:26], v[99:100]
	v_add_f64 v[19:20], v[19:20], -v[99:100]
	;; [unrolled: 8-line block ×6, first 2 shown]
	ds_read2_b64 v[99:102], v125 offset0:54 offset1:55
	s_waitcnt lgkmcnt(0)
	v_mul_f64 v[27:28], v[101:102], v[97:98]
	v_fma_f64 v[27:28], v[99:100], v[25:26], -v[27:28]
	v_mul_f64 v[99:100], v[99:100], v[97:98]
	v_add_f64 v[89:90], v[89:90], -v[27:28]
	v_fma_f64 v[99:100], v[101:102], v[25:26], v[99:100]
	v_mov_b32_e32 v27, v97
	v_mov_b32_e32 v28, v98
	v_add_f64 v[91:92], v[91:92], -v[99:100]
.LBB55_190:
	s_or_b64 exec, exec, s[2:3]
	v_cmp_eq_u32_e32 vcc, 21, v0
	s_waitcnt vmcnt(0)
	s_barrier
	s_and_saveexec_b64 s[4:5], vcc
	s_cbranch_execz .LBB55_197
; %bb.191:
	ds_write2_b64 v127, v[21:22], v[23:24] offset1:1
	ds_write2_b64 v125, v[17:18], v[19:20] offset0:44 offset1:45
	ds_write2_b64 v125, v[13:14], v[15:16] offset0:46 offset1:47
	;; [unrolled: 1-line block ×6, first 2 shown]
	ds_read2_b64 v[97:100], v127 offset1:1
	s_waitcnt lgkmcnt(0)
	v_cmp_neq_f64_e32 vcc, 0, v[97:98]
	v_cmp_neq_f64_e64 s[2:3], 0, v[99:100]
	s_or_b64 s[2:3], vcc, s[2:3]
	s_and_b64 exec, exec, s[2:3]
	s_cbranch_execz .LBB55_197
; %bb.192:
	v_cmp_ngt_f64_e64 s[2:3], |v[97:98]|, |v[99:100]|
                                        ; implicit-def: $vgpr101_vgpr102
	s_and_saveexec_b64 s[6:7], s[2:3]
	s_xor_b64 s[2:3], exec, s[6:7]
                                        ; implicit-def: $vgpr103_vgpr104
	s_cbranch_execz .LBB55_194
; %bb.193:
	v_div_scale_f64 v[101:102], s[6:7], v[99:100], v[99:100], v[97:98]
	v_rcp_f64_e32 v[103:104], v[101:102]
	v_fma_f64 v[105:106], -v[101:102], v[103:104], 1.0
	v_fma_f64 v[103:104], v[103:104], v[105:106], v[103:104]
	v_div_scale_f64 v[105:106], vcc, v[97:98], v[99:100], v[97:98]
	v_fma_f64 v[107:108], -v[101:102], v[103:104], 1.0
	v_fma_f64 v[103:104], v[103:104], v[107:108], v[103:104]
	v_mul_f64 v[107:108], v[105:106], v[103:104]
	v_fma_f64 v[101:102], -v[101:102], v[107:108], v[105:106]
	v_div_fmas_f64 v[101:102], v[101:102], v[103:104], v[107:108]
	v_div_fixup_f64 v[101:102], v[101:102], v[99:100], v[97:98]
	v_fma_f64 v[97:98], v[97:98], v[101:102], v[99:100]
	v_div_scale_f64 v[99:100], s[6:7], v[97:98], v[97:98], 1.0
	v_div_scale_f64 v[107:108], vcc, 1.0, v[97:98], 1.0
	v_rcp_f64_e32 v[103:104], v[99:100]
	v_fma_f64 v[105:106], -v[99:100], v[103:104], 1.0
	v_fma_f64 v[103:104], v[103:104], v[105:106], v[103:104]
	v_fma_f64 v[105:106], -v[99:100], v[103:104], 1.0
	v_fma_f64 v[103:104], v[103:104], v[105:106], v[103:104]
	v_mul_f64 v[105:106], v[107:108], v[103:104]
	v_fma_f64 v[99:100], -v[99:100], v[105:106], v[107:108]
	v_div_fmas_f64 v[99:100], v[99:100], v[103:104], v[105:106]
	v_div_fixup_f64 v[103:104], v[99:100], v[97:98], 1.0
                                        ; implicit-def: $vgpr97_vgpr98
	v_mul_f64 v[101:102], v[101:102], v[103:104]
	v_xor_b32_e32 v104, 0x80000000, v104
.LBB55_194:
	s_andn2_saveexec_b64 s[2:3], s[2:3]
	s_cbranch_execz .LBB55_196
; %bb.195:
	v_div_scale_f64 v[101:102], s[6:7], v[97:98], v[97:98], v[99:100]
	v_rcp_f64_e32 v[103:104], v[101:102]
	v_fma_f64 v[105:106], -v[101:102], v[103:104], 1.0
	v_fma_f64 v[103:104], v[103:104], v[105:106], v[103:104]
	v_div_scale_f64 v[105:106], vcc, v[99:100], v[97:98], v[99:100]
	v_fma_f64 v[107:108], -v[101:102], v[103:104], 1.0
	v_fma_f64 v[103:104], v[103:104], v[107:108], v[103:104]
	v_mul_f64 v[107:108], v[105:106], v[103:104]
	v_fma_f64 v[101:102], -v[101:102], v[107:108], v[105:106]
	v_div_fmas_f64 v[101:102], v[101:102], v[103:104], v[107:108]
	v_div_fixup_f64 v[103:104], v[101:102], v[97:98], v[99:100]
	v_fma_f64 v[97:98], v[99:100], v[103:104], v[97:98]
	v_div_scale_f64 v[99:100], s[6:7], v[97:98], v[97:98], 1.0
	v_div_scale_f64 v[107:108], vcc, 1.0, v[97:98], 1.0
	v_rcp_f64_e32 v[101:102], v[99:100]
	v_fma_f64 v[105:106], -v[99:100], v[101:102], 1.0
	v_fma_f64 v[101:102], v[101:102], v[105:106], v[101:102]
	v_fma_f64 v[105:106], -v[99:100], v[101:102], 1.0
	v_fma_f64 v[101:102], v[101:102], v[105:106], v[101:102]
	v_mul_f64 v[105:106], v[107:108], v[101:102]
	v_fma_f64 v[99:100], -v[99:100], v[105:106], v[107:108]
	v_div_fmas_f64 v[99:100], v[99:100], v[101:102], v[105:106]
	v_div_fixup_f64 v[101:102], v[99:100], v[97:98], 1.0
	v_mul_f64 v[103:104], v[103:104], -v[101:102]
.LBB55_196:
	s_or_b64 exec, exec, s[2:3]
	ds_write2_b64 v127, v[101:102], v[103:104] offset1:1
.LBB55_197:
	s_or_b64 exec, exec, s[4:5]
	s_waitcnt lgkmcnt(0)
	s_barrier
	ds_read2_b64 v[97:100], v127 offset1:1
	v_cmp_lt_u32_e32 vcc, 21, v0
	s_waitcnt lgkmcnt(0)
	buffer_store_dword v97, off, s[20:23], 0 offset:640 ; 4-byte Folded Spill
	s_nop 0
	buffer_store_dword v98, off, s[20:23], 0 offset:644 ; 4-byte Folded Spill
	buffer_store_dword v99, off, s[20:23], 0 offset:648 ; 4-byte Folded Spill
	;; [unrolled: 1-line block ×3, first 2 shown]
	s_and_saveexec_b64 s[2:3], vcc
	s_cbranch_execz .LBB55_199
; %bb.198:
	buffer_load_dword v99, off, s[20:23], 0 offset:640 ; 4-byte Folded Reload
	buffer_load_dword v100, off, s[20:23], 0 offset:644 ; 4-byte Folded Reload
	;; [unrolled: 1-line block ×4, first 2 shown]
	s_waitcnt vmcnt(2)
	v_mul_f64 v[97:98], v[99:100], v[23:24]
	s_waitcnt vmcnt(0)
	v_mul_f64 v[23:24], v[101:102], v[23:24]
	v_fma_f64 v[97:98], v[101:102], v[21:22], v[97:98]
	v_fma_f64 v[21:22], v[99:100], v[21:22], -v[23:24]
	ds_read2_b64 v[99:102], v125 offset0:44 offset1:45
	s_waitcnt lgkmcnt(0)
	v_mul_f64 v[23:24], v[101:102], v[97:98]
	v_fma_f64 v[23:24], v[99:100], v[21:22], -v[23:24]
	v_mul_f64 v[99:100], v[99:100], v[97:98]
	v_add_f64 v[17:18], v[17:18], -v[23:24]
	v_fma_f64 v[99:100], v[101:102], v[21:22], v[99:100]
	v_add_f64 v[19:20], v[19:20], -v[99:100]
	ds_read2_b64 v[99:102], v125 offset0:46 offset1:47
	s_waitcnt lgkmcnt(0)
	v_mul_f64 v[23:24], v[101:102], v[97:98]
	v_fma_f64 v[23:24], v[99:100], v[21:22], -v[23:24]
	v_mul_f64 v[99:100], v[99:100], v[97:98]
	v_add_f64 v[13:14], v[13:14], -v[23:24]
	v_fma_f64 v[99:100], v[101:102], v[21:22], v[99:100]
	v_add_f64 v[15:16], v[15:16], -v[99:100]
	;; [unrolled: 8-line block ×5, first 2 shown]
	ds_read2_b64 v[99:102], v125 offset0:54 offset1:55
	s_waitcnt lgkmcnt(0)
	v_mul_f64 v[23:24], v[101:102], v[97:98]
	v_fma_f64 v[23:24], v[99:100], v[21:22], -v[23:24]
	v_mul_f64 v[99:100], v[99:100], v[97:98]
	v_add_f64 v[89:90], v[89:90], -v[23:24]
	v_fma_f64 v[99:100], v[101:102], v[21:22], v[99:100]
	v_mov_b32_e32 v23, v97
	v_mov_b32_e32 v24, v98
	v_add_f64 v[91:92], v[91:92], -v[99:100]
.LBB55_199:
	s_or_b64 exec, exec, s[2:3]
	v_cmp_eq_u32_e32 vcc, 22, v0
	s_waitcnt vmcnt(0)
	s_barrier
	s_and_saveexec_b64 s[4:5], vcc
	s_cbranch_execz .LBB55_206
; %bb.200:
	ds_write2_b64 v127, v[17:18], v[19:20] offset1:1
	ds_write2_b64 v125, v[13:14], v[15:16] offset0:46 offset1:47
	ds_write2_b64 v125, v[9:10], v[11:12] offset0:48 offset1:49
	;; [unrolled: 1-line block ×5, first 2 shown]
	ds_read2_b64 v[97:100], v127 offset1:1
	s_waitcnt lgkmcnt(0)
	v_cmp_neq_f64_e32 vcc, 0, v[97:98]
	v_cmp_neq_f64_e64 s[2:3], 0, v[99:100]
	s_or_b64 s[2:3], vcc, s[2:3]
	s_and_b64 exec, exec, s[2:3]
	s_cbranch_execz .LBB55_206
; %bb.201:
	v_cmp_ngt_f64_e64 s[2:3], |v[97:98]|, |v[99:100]|
                                        ; implicit-def: $vgpr101_vgpr102
	s_and_saveexec_b64 s[6:7], s[2:3]
	s_xor_b64 s[2:3], exec, s[6:7]
                                        ; implicit-def: $vgpr103_vgpr104
	s_cbranch_execz .LBB55_203
; %bb.202:
	v_div_scale_f64 v[101:102], s[6:7], v[99:100], v[99:100], v[97:98]
	v_rcp_f64_e32 v[103:104], v[101:102]
	v_fma_f64 v[105:106], -v[101:102], v[103:104], 1.0
	v_fma_f64 v[103:104], v[103:104], v[105:106], v[103:104]
	v_div_scale_f64 v[105:106], vcc, v[97:98], v[99:100], v[97:98]
	v_fma_f64 v[107:108], -v[101:102], v[103:104], 1.0
	v_fma_f64 v[103:104], v[103:104], v[107:108], v[103:104]
	v_mul_f64 v[107:108], v[105:106], v[103:104]
	v_fma_f64 v[101:102], -v[101:102], v[107:108], v[105:106]
	v_div_fmas_f64 v[101:102], v[101:102], v[103:104], v[107:108]
	v_div_fixup_f64 v[101:102], v[101:102], v[99:100], v[97:98]
	v_fma_f64 v[97:98], v[97:98], v[101:102], v[99:100]
	v_div_scale_f64 v[99:100], s[6:7], v[97:98], v[97:98], 1.0
	v_div_scale_f64 v[107:108], vcc, 1.0, v[97:98], 1.0
	v_rcp_f64_e32 v[103:104], v[99:100]
	v_fma_f64 v[105:106], -v[99:100], v[103:104], 1.0
	v_fma_f64 v[103:104], v[103:104], v[105:106], v[103:104]
	v_fma_f64 v[105:106], -v[99:100], v[103:104], 1.0
	v_fma_f64 v[103:104], v[103:104], v[105:106], v[103:104]
	v_mul_f64 v[105:106], v[107:108], v[103:104]
	v_fma_f64 v[99:100], -v[99:100], v[105:106], v[107:108]
	v_div_fmas_f64 v[99:100], v[99:100], v[103:104], v[105:106]
	v_div_fixup_f64 v[103:104], v[99:100], v[97:98], 1.0
                                        ; implicit-def: $vgpr97_vgpr98
	v_mul_f64 v[101:102], v[101:102], v[103:104]
	v_xor_b32_e32 v104, 0x80000000, v104
.LBB55_203:
	s_andn2_saveexec_b64 s[2:3], s[2:3]
	s_cbranch_execz .LBB55_205
; %bb.204:
	v_div_scale_f64 v[101:102], s[6:7], v[97:98], v[97:98], v[99:100]
	v_rcp_f64_e32 v[103:104], v[101:102]
	v_fma_f64 v[105:106], -v[101:102], v[103:104], 1.0
	v_fma_f64 v[103:104], v[103:104], v[105:106], v[103:104]
	v_div_scale_f64 v[105:106], vcc, v[99:100], v[97:98], v[99:100]
	v_fma_f64 v[107:108], -v[101:102], v[103:104], 1.0
	v_fma_f64 v[103:104], v[103:104], v[107:108], v[103:104]
	v_mul_f64 v[107:108], v[105:106], v[103:104]
	v_fma_f64 v[101:102], -v[101:102], v[107:108], v[105:106]
	v_div_fmas_f64 v[101:102], v[101:102], v[103:104], v[107:108]
	v_div_fixup_f64 v[103:104], v[101:102], v[97:98], v[99:100]
	v_fma_f64 v[97:98], v[99:100], v[103:104], v[97:98]
	v_div_scale_f64 v[99:100], s[6:7], v[97:98], v[97:98], 1.0
	v_div_scale_f64 v[107:108], vcc, 1.0, v[97:98], 1.0
	v_rcp_f64_e32 v[101:102], v[99:100]
	v_fma_f64 v[105:106], -v[99:100], v[101:102], 1.0
	v_fma_f64 v[101:102], v[101:102], v[105:106], v[101:102]
	v_fma_f64 v[105:106], -v[99:100], v[101:102], 1.0
	v_fma_f64 v[101:102], v[101:102], v[105:106], v[101:102]
	v_mul_f64 v[105:106], v[107:108], v[101:102]
	v_fma_f64 v[99:100], -v[99:100], v[105:106], v[107:108]
	v_div_fmas_f64 v[99:100], v[99:100], v[101:102], v[105:106]
	v_div_fixup_f64 v[101:102], v[99:100], v[97:98], 1.0
	v_mul_f64 v[103:104], v[103:104], -v[101:102]
.LBB55_205:
	s_or_b64 exec, exec, s[2:3]
	ds_write2_b64 v127, v[101:102], v[103:104] offset1:1
.LBB55_206:
	s_or_b64 exec, exec, s[4:5]
	s_waitcnt lgkmcnt(0)
	s_barrier
	ds_read2_b64 v[117:120], v127 offset1:1
	v_cmp_lt_u32_e32 vcc, 22, v0
	s_and_saveexec_b64 s[2:3], vcc
	s_cbranch_execz .LBB55_208
; %bb.207:
	s_waitcnt lgkmcnt(0)
	v_mul_f64 v[97:98], v[117:118], v[19:20]
	v_mul_f64 v[19:20], v[119:120], v[19:20]
	v_fma_f64 v[101:102], v[119:120], v[17:18], v[97:98]
	ds_read2_b64 v[97:100], v125 offset0:46 offset1:47
	v_fma_f64 v[17:18], v[117:118], v[17:18], -v[19:20]
	s_waitcnt lgkmcnt(0)
	v_mul_f64 v[19:20], v[99:100], v[101:102]
	v_fma_f64 v[19:20], v[97:98], v[17:18], -v[19:20]
	v_mul_f64 v[97:98], v[97:98], v[101:102]
	v_add_f64 v[13:14], v[13:14], -v[19:20]
	v_fma_f64 v[97:98], v[99:100], v[17:18], v[97:98]
	v_add_f64 v[15:16], v[15:16], -v[97:98]
	ds_read2_b64 v[97:100], v125 offset0:48 offset1:49
	s_waitcnt lgkmcnt(0)
	v_mul_f64 v[19:20], v[99:100], v[101:102]
	v_fma_f64 v[19:20], v[97:98], v[17:18], -v[19:20]
	v_mul_f64 v[97:98], v[97:98], v[101:102]
	v_add_f64 v[9:10], v[9:10], -v[19:20]
	v_fma_f64 v[97:98], v[99:100], v[17:18], v[97:98]
	v_add_f64 v[11:12], v[11:12], -v[97:98]
	ds_read2_b64 v[97:100], v125 offset0:50 offset1:51
	;; [unrolled: 8-line block ×4, first 2 shown]
	s_waitcnt lgkmcnt(0)
	v_mul_f64 v[19:20], v[99:100], v[101:102]
	v_fma_f64 v[19:20], v[97:98], v[17:18], -v[19:20]
	v_mul_f64 v[97:98], v[97:98], v[101:102]
	v_add_f64 v[89:90], v[89:90], -v[19:20]
	v_fma_f64 v[97:98], v[99:100], v[17:18], v[97:98]
	v_mov_b32_e32 v19, v101
	v_mov_b32_e32 v20, v102
	v_add_f64 v[91:92], v[91:92], -v[97:98]
.LBB55_208:
	s_or_b64 exec, exec, s[2:3]
	v_cmp_eq_u32_e32 vcc, 23, v0
	s_waitcnt lgkmcnt(0)
	s_barrier
	s_and_saveexec_b64 s[4:5], vcc
	s_cbranch_execz .LBB55_215
; %bb.209:
	ds_write2_b64 v127, v[13:14], v[15:16] offset1:1
	ds_write2_b64 v125, v[9:10], v[11:12] offset0:48 offset1:49
	ds_write2_b64 v125, v[5:6], v[7:8] offset0:50 offset1:51
	;; [unrolled: 1-line block ×4, first 2 shown]
	ds_read2_b64 v[97:100], v127 offset1:1
	s_waitcnt lgkmcnt(0)
	v_cmp_neq_f64_e32 vcc, 0, v[97:98]
	v_cmp_neq_f64_e64 s[2:3], 0, v[99:100]
	s_or_b64 s[2:3], vcc, s[2:3]
	s_and_b64 exec, exec, s[2:3]
	s_cbranch_execz .LBB55_215
; %bb.210:
	v_cmp_ngt_f64_e64 s[2:3], |v[97:98]|, |v[99:100]|
                                        ; implicit-def: $vgpr101_vgpr102
	s_and_saveexec_b64 s[6:7], s[2:3]
	s_xor_b64 s[2:3], exec, s[6:7]
                                        ; implicit-def: $vgpr103_vgpr104
	s_cbranch_execz .LBB55_212
; %bb.211:
	v_div_scale_f64 v[101:102], s[6:7], v[99:100], v[99:100], v[97:98]
	v_rcp_f64_e32 v[103:104], v[101:102]
	v_fma_f64 v[105:106], -v[101:102], v[103:104], 1.0
	v_fma_f64 v[103:104], v[103:104], v[105:106], v[103:104]
	v_div_scale_f64 v[105:106], vcc, v[97:98], v[99:100], v[97:98]
	v_fma_f64 v[107:108], -v[101:102], v[103:104], 1.0
	v_fma_f64 v[103:104], v[103:104], v[107:108], v[103:104]
	v_mul_f64 v[107:108], v[105:106], v[103:104]
	v_fma_f64 v[101:102], -v[101:102], v[107:108], v[105:106]
	v_div_fmas_f64 v[101:102], v[101:102], v[103:104], v[107:108]
	v_div_fixup_f64 v[101:102], v[101:102], v[99:100], v[97:98]
	v_fma_f64 v[97:98], v[97:98], v[101:102], v[99:100]
	v_div_scale_f64 v[99:100], s[6:7], v[97:98], v[97:98], 1.0
	v_div_scale_f64 v[107:108], vcc, 1.0, v[97:98], 1.0
	v_rcp_f64_e32 v[103:104], v[99:100]
	v_fma_f64 v[105:106], -v[99:100], v[103:104], 1.0
	v_fma_f64 v[103:104], v[103:104], v[105:106], v[103:104]
	v_fma_f64 v[105:106], -v[99:100], v[103:104], 1.0
	v_fma_f64 v[103:104], v[103:104], v[105:106], v[103:104]
	v_mul_f64 v[105:106], v[107:108], v[103:104]
	v_fma_f64 v[99:100], -v[99:100], v[105:106], v[107:108]
	v_div_fmas_f64 v[99:100], v[99:100], v[103:104], v[105:106]
	v_div_fixup_f64 v[103:104], v[99:100], v[97:98], 1.0
                                        ; implicit-def: $vgpr97_vgpr98
	v_mul_f64 v[101:102], v[101:102], v[103:104]
	v_xor_b32_e32 v104, 0x80000000, v104
.LBB55_212:
	s_andn2_saveexec_b64 s[2:3], s[2:3]
	s_cbranch_execz .LBB55_214
; %bb.213:
	v_div_scale_f64 v[101:102], s[6:7], v[97:98], v[97:98], v[99:100]
	v_rcp_f64_e32 v[103:104], v[101:102]
	v_fma_f64 v[105:106], -v[101:102], v[103:104], 1.0
	v_fma_f64 v[103:104], v[103:104], v[105:106], v[103:104]
	v_div_scale_f64 v[105:106], vcc, v[99:100], v[97:98], v[99:100]
	v_fma_f64 v[107:108], -v[101:102], v[103:104], 1.0
	v_fma_f64 v[103:104], v[103:104], v[107:108], v[103:104]
	v_mul_f64 v[107:108], v[105:106], v[103:104]
	v_fma_f64 v[101:102], -v[101:102], v[107:108], v[105:106]
	v_div_fmas_f64 v[101:102], v[101:102], v[103:104], v[107:108]
	v_div_fixup_f64 v[103:104], v[101:102], v[97:98], v[99:100]
	v_fma_f64 v[97:98], v[99:100], v[103:104], v[97:98]
	v_div_scale_f64 v[99:100], s[6:7], v[97:98], v[97:98], 1.0
	v_div_scale_f64 v[107:108], vcc, 1.0, v[97:98], 1.0
	v_rcp_f64_e32 v[101:102], v[99:100]
	v_fma_f64 v[105:106], -v[99:100], v[101:102], 1.0
	v_fma_f64 v[101:102], v[101:102], v[105:106], v[101:102]
	v_fma_f64 v[105:106], -v[99:100], v[101:102], 1.0
	v_fma_f64 v[101:102], v[101:102], v[105:106], v[101:102]
	v_mul_f64 v[105:106], v[107:108], v[101:102]
	v_fma_f64 v[99:100], -v[99:100], v[105:106], v[107:108]
	v_div_fmas_f64 v[99:100], v[99:100], v[101:102], v[105:106]
	v_div_fixup_f64 v[101:102], v[99:100], v[97:98], 1.0
	v_mul_f64 v[103:104], v[103:104], -v[101:102]
.LBB55_214:
	s_or_b64 exec, exec, s[2:3]
	ds_write2_b64 v127, v[101:102], v[103:104] offset1:1
.LBB55_215:
	s_or_b64 exec, exec, s[4:5]
	s_waitcnt lgkmcnt(0)
	s_barrier
	ds_read2_b64 v[121:124], v127 offset1:1
	v_cmp_lt_u32_e32 vcc, 23, v0
	s_and_saveexec_b64 s[2:3], vcc
	s_cbranch_execz .LBB55_217
; %bb.216:
	s_waitcnt lgkmcnt(0)
	v_mul_f64 v[97:98], v[121:122], v[15:16]
	v_mul_f64 v[15:16], v[123:124], v[15:16]
	v_fma_f64 v[101:102], v[123:124], v[13:14], v[97:98]
	ds_read2_b64 v[97:100], v125 offset0:48 offset1:49
	v_fma_f64 v[13:14], v[121:122], v[13:14], -v[15:16]
	s_waitcnt lgkmcnt(0)
	v_mul_f64 v[15:16], v[99:100], v[101:102]
	v_fma_f64 v[15:16], v[97:98], v[13:14], -v[15:16]
	v_mul_f64 v[97:98], v[97:98], v[101:102]
	v_add_f64 v[9:10], v[9:10], -v[15:16]
	v_fma_f64 v[97:98], v[99:100], v[13:14], v[97:98]
	v_add_f64 v[11:12], v[11:12], -v[97:98]
	ds_read2_b64 v[97:100], v125 offset0:50 offset1:51
	s_waitcnt lgkmcnt(0)
	v_mul_f64 v[15:16], v[99:100], v[101:102]
	v_fma_f64 v[15:16], v[97:98], v[13:14], -v[15:16]
	v_mul_f64 v[97:98], v[97:98], v[101:102]
	v_add_f64 v[5:6], v[5:6], -v[15:16]
	v_fma_f64 v[97:98], v[99:100], v[13:14], v[97:98]
	v_add_f64 v[7:8], v[7:8], -v[97:98]
	ds_read2_b64 v[97:100], v125 offset0:52 offset1:53
	;; [unrolled: 8-line block ×3, first 2 shown]
	s_waitcnt lgkmcnt(0)
	v_mul_f64 v[15:16], v[99:100], v[101:102]
	v_fma_f64 v[15:16], v[97:98], v[13:14], -v[15:16]
	v_mul_f64 v[97:98], v[97:98], v[101:102]
	v_add_f64 v[89:90], v[89:90], -v[15:16]
	v_fma_f64 v[97:98], v[99:100], v[13:14], v[97:98]
	v_mov_b32_e32 v15, v101
	v_mov_b32_e32 v16, v102
	v_add_f64 v[91:92], v[91:92], -v[97:98]
.LBB55_217:
	s_or_b64 exec, exec, s[2:3]
	v_cmp_eq_u32_e32 vcc, 24, v0
	s_waitcnt lgkmcnt(0)
	s_barrier
	s_and_saveexec_b64 s[4:5], vcc
	s_cbranch_execz .LBB55_224
; %bb.218:
	ds_write2_b64 v127, v[9:10], v[11:12] offset1:1
	ds_write2_b64 v125, v[5:6], v[7:8] offset0:50 offset1:51
	ds_write2_b64 v125, v[1:2], v[3:4] offset0:52 offset1:53
	;; [unrolled: 1-line block ×3, first 2 shown]
	ds_read2_b64 v[97:100], v127 offset1:1
	s_waitcnt lgkmcnt(0)
	v_cmp_neq_f64_e32 vcc, 0, v[97:98]
	v_cmp_neq_f64_e64 s[2:3], 0, v[99:100]
	s_or_b64 s[2:3], vcc, s[2:3]
	s_and_b64 exec, exec, s[2:3]
	s_cbranch_execz .LBB55_224
; %bb.219:
	v_cmp_ngt_f64_e64 s[2:3], |v[97:98]|, |v[99:100]|
                                        ; implicit-def: $vgpr101_vgpr102
	s_and_saveexec_b64 s[6:7], s[2:3]
	s_xor_b64 s[2:3], exec, s[6:7]
                                        ; implicit-def: $vgpr103_vgpr104
	s_cbranch_execz .LBB55_221
; %bb.220:
	v_div_scale_f64 v[101:102], s[6:7], v[99:100], v[99:100], v[97:98]
	v_rcp_f64_e32 v[103:104], v[101:102]
	v_fma_f64 v[105:106], -v[101:102], v[103:104], 1.0
	v_fma_f64 v[103:104], v[103:104], v[105:106], v[103:104]
	v_div_scale_f64 v[105:106], vcc, v[97:98], v[99:100], v[97:98]
	v_fma_f64 v[107:108], -v[101:102], v[103:104], 1.0
	v_fma_f64 v[103:104], v[103:104], v[107:108], v[103:104]
	v_mul_f64 v[107:108], v[105:106], v[103:104]
	v_fma_f64 v[101:102], -v[101:102], v[107:108], v[105:106]
	v_div_fmas_f64 v[101:102], v[101:102], v[103:104], v[107:108]
	v_div_fixup_f64 v[101:102], v[101:102], v[99:100], v[97:98]
	v_fma_f64 v[97:98], v[97:98], v[101:102], v[99:100]
	v_div_scale_f64 v[99:100], s[6:7], v[97:98], v[97:98], 1.0
	v_div_scale_f64 v[107:108], vcc, 1.0, v[97:98], 1.0
	v_rcp_f64_e32 v[103:104], v[99:100]
	v_fma_f64 v[105:106], -v[99:100], v[103:104], 1.0
	v_fma_f64 v[103:104], v[103:104], v[105:106], v[103:104]
	v_fma_f64 v[105:106], -v[99:100], v[103:104], 1.0
	v_fma_f64 v[103:104], v[103:104], v[105:106], v[103:104]
	v_mul_f64 v[105:106], v[107:108], v[103:104]
	v_fma_f64 v[99:100], -v[99:100], v[105:106], v[107:108]
	v_div_fmas_f64 v[99:100], v[99:100], v[103:104], v[105:106]
	v_div_fixup_f64 v[103:104], v[99:100], v[97:98], 1.0
                                        ; implicit-def: $vgpr97_vgpr98
	v_mul_f64 v[101:102], v[101:102], v[103:104]
	v_xor_b32_e32 v104, 0x80000000, v104
.LBB55_221:
	s_andn2_saveexec_b64 s[2:3], s[2:3]
	s_cbranch_execz .LBB55_223
; %bb.222:
	v_div_scale_f64 v[101:102], s[6:7], v[97:98], v[97:98], v[99:100]
	v_rcp_f64_e32 v[103:104], v[101:102]
	v_fma_f64 v[105:106], -v[101:102], v[103:104], 1.0
	v_fma_f64 v[103:104], v[103:104], v[105:106], v[103:104]
	v_div_scale_f64 v[105:106], vcc, v[99:100], v[97:98], v[99:100]
	v_fma_f64 v[107:108], -v[101:102], v[103:104], 1.0
	v_fma_f64 v[103:104], v[103:104], v[107:108], v[103:104]
	v_mul_f64 v[107:108], v[105:106], v[103:104]
	v_fma_f64 v[101:102], -v[101:102], v[107:108], v[105:106]
	v_div_fmas_f64 v[101:102], v[101:102], v[103:104], v[107:108]
	v_div_fixup_f64 v[103:104], v[101:102], v[97:98], v[99:100]
	v_fma_f64 v[97:98], v[99:100], v[103:104], v[97:98]
	v_div_scale_f64 v[99:100], s[6:7], v[97:98], v[97:98], 1.0
	v_div_scale_f64 v[107:108], vcc, 1.0, v[97:98], 1.0
	v_rcp_f64_e32 v[101:102], v[99:100]
	v_fma_f64 v[105:106], -v[99:100], v[101:102], 1.0
	v_fma_f64 v[101:102], v[101:102], v[105:106], v[101:102]
	v_fma_f64 v[105:106], -v[99:100], v[101:102], 1.0
	v_fma_f64 v[101:102], v[101:102], v[105:106], v[101:102]
	v_mul_f64 v[105:106], v[107:108], v[101:102]
	v_fma_f64 v[99:100], -v[99:100], v[105:106], v[107:108]
	v_div_fmas_f64 v[99:100], v[99:100], v[101:102], v[105:106]
	v_div_fixup_f64 v[101:102], v[99:100], v[97:98], 1.0
	v_mul_f64 v[103:104], v[103:104], -v[101:102]
.LBB55_223:
	s_or_b64 exec, exec, s[2:3]
	ds_write2_b64 v127, v[101:102], v[103:104] offset1:1
.LBB55_224:
	s_or_b64 exec, exec, s[4:5]
	s_waitcnt lgkmcnt(0)
	s_barrier
	ds_read2_b64 v[109:112], v127 offset1:1
	v_cmp_lt_u32_e32 vcc, 24, v0
	s_and_saveexec_b64 s[2:3], vcc
	s_cbranch_execz .LBB55_226
; %bb.225:
	s_waitcnt lgkmcnt(0)
	v_mul_f64 v[97:98], v[109:110], v[11:12]
	v_mul_f64 v[11:12], v[111:112], v[11:12]
	v_fma_f64 v[101:102], v[111:112], v[9:10], v[97:98]
	ds_read2_b64 v[97:100], v125 offset0:50 offset1:51
	v_fma_f64 v[9:10], v[109:110], v[9:10], -v[11:12]
	s_waitcnt lgkmcnt(0)
	v_mul_f64 v[11:12], v[99:100], v[101:102]
	v_fma_f64 v[11:12], v[97:98], v[9:10], -v[11:12]
	v_mul_f64 v[97:98], v[97:98], v[101:102]
	v_add_f64 v[5:6], v[5:6], -v[11:12]
	v_fma_f64 v[97:98], v[99:100], v[9:10], v[97:98]
	v_add_f64 v[7:8], v[7:8], -v[97:98]
	ds_read2_b64 v[97:100], v125 offset0:52 offset1:53
	s_waitcnt lgkmcnt(0)
	v_mul_f64 v[11:12], v[99:100], v[101:102]
	v_fma_f64 v[11:12], v[97:98], v[9:10], -v[11:12]
	v_mul_f64 v[97:98], v[97:98], v[101:102]
	v_add_f64 v[1:2], v[1:2], -v[11:12]
	v_fma_f64 v[97:98], v[99:100], v[9:10], v[97:98]
	v_add_f64 v[3:4], v[3:4], -v[97:98]
	ds_read2_b64 v[97:100], v125 offset0:54 offset1:55
	s_waitcnt lgkmcnt(0)
	v_mul_f64 v[11:12], v[99:100], v[101:102]
	v_fma_f64 v[11:12], v[97:98], v[9:10], -v[11:12]
	v_mul_f64 v[97:98], v[97:98], v[101:102]
	v_add_f64 v[89:90], v[89:90], -v[11:12]
	v_fma_f64 v[97:98], v[99:100], v[9:10], v[97:98]
	v_mov_b32_e32 v11, v101
	v_mov_b32_e32 v12, v102
	v_add_f64 v[91:92], v[91:92], -v[97:98]
.LBB55_226:
	s_or_b64 exec, exec, s[2:3]
	v_cmp_eq_u32_e32 vcc, 25, v0
	s_waitcnt lgkmcnt(0)
	s_barrier
	s_and_saveexec_b64 s[4:5], vcc
	s_cbranch_execz .LBB55_233
; %bb.227:
	ds_write2_b64 v127, v[5:6], v[7:8] offset1:1
	ds_write2_b64 v125, v[1:2], v[3:4] offset0:52 offset1:53
	ds_write2_b64 v125, v[89:90], v[91:92] offset0:54 offset1:55
	ds_read2_b64 v[97:100], v127 offset1:1
	s_waitcnt lgkmcnt(0)
	v_cmp_neq_f64_e32 vcc, 0, v[97:98]
	v_cmp_neq_f64_e64 s[2:3], 0, v[99:100]
	s_or_b64 s[2:3], vcc, s[2:3]
	s_and_b64 exec, exec, s[2:3]
	s_cbranch_execz .LBB55_233
; %bb.228:
	v_cmp_ngt_f64_e64 s[2:3], |v[97:98]|, |v[99:100]|
                                        ; implicit-def: $vgpr101_vgpr102
	s_and_saveexec_b64 s[6:7], s[2:3]
	s_xor_b64 s[2:3], exec, s[6:7]
                                        ; implicit-def: $vgpr103_vgpr104
	s_cbranch_execz .LBB55_230
; %bb.229:
	v_div_scale_f64 v[101:102], s[6:7], v[99:100], v[99:100], v[97:98]
	v_rcp_f64_e32 v[103:104], v[101:102]
	v_fma_f64 v[105:106], -v[101:102], v[103:104], 1.0
	v_fma_f64 v[103:104], v[103:104], v[105:106], v[103:104]
	v_div_scale_f64 v[105:106], vcc, v[97:98], v[99:100], v[97:98]
	v_fma_f64 v[107:108], -v[101:102], v[103:104], 1.0
	v_fma_f64 v[103:104], v[103:104], v[107:108], v[103:104]
	v_mul_f64 v[107:108], v[105:106], v[103:104]
	v_fma_f64 v[101:102], -v[101:102], v[107:108], v[105:106]
	v_div_fmas_f64 v[101:102], v[101:102], v[103:104], v[107:108]
	v_div_fixup_f64 v[101:102], v[101:102], v[99:100], v[97:98]
	v_fma_f64 v[97:98], v[97:98], v[101:102], v[99:100]
	v_div_scale_f64 v[99:100], s[6:7], v[97:98], v[97:98], 1.0
	v_div_scale_f64 v[107:108], vcc, 1.0, v[97:98], 1.0
	v_rcp_f64_e32 v[103:104], v[99:100]
	v_fma_f64 v[105:106], -v[99:100], v[103:104], 1.0
	v_fma_f64 v[103:104], v[103:104], v[105:106], v[103:104]
	v_fma_f64 v[105:106], -v[99:100], v[103:104], 1.0
	v_fma_f64 v[103:104], v[103:104], v[105:106], v[103:104]
	v_mul_f64 v[105:106], v[107:108], v[103:104]
	v_fma_f64 v[99:100], -v[99:100], v[105:106], v[107:108]
	v_div_fmas_f64 v[99:100], v[99:100], v[103:104], v[105:106]
	v_div_fixup_f64 v[103:104], v[99:100], v[97:98], 1.0
                                        ; implicit-def: $vgpr97_vgpr98
	v_mul_f64 v[101:102], v[101:102], v[103:104]
	v_xor_b32_e32 v104, 0x80000000, v104
.LBB55_230:
	s_andn2_saveexec_b64 s[2:3], s[2:3]
	s_cbranch_execz .LBB55_232
; %bb.231:
	v_div_scale_f64 v[101:102], s[6:7], v[97:98], v[97:98], v[99:100]
	v_rcp_f64_e32 v[103:104], v[101:102]
	v_fma_f64 v[105:106], -v[101:102], v[103:104], 1.0
	v_fma_f64 v[103:104], v[103:104], v[105:106], v[103:104]
	v_div_scale_f64 v[105:106], vcc, v[99:100], v[97:98], v[99:100]
	v_fma_f64 v[107:108], -v[101:102], v[103:104], 1.0
	v_fma_f64 v[103:104], v[103:104], v[107:108], v[103:104]
	v_mul_f64 v[107:108], v[105:106], v[103:104]
	v_fma_f64 v[101:102], -v[101:102], v[107:108], v[105:106]
	v_div_fmas_f64 v[101:102], v[101:102], v[103:104], v[107:108]
	v_div_fixup_f64 v[103:104], v[101:102], v[97:98], v[99:100]
	v_fma_f64 v[97:98], v[99:100], v[103:104], v[97:98]
	v_div_scale_f64 v[99:100], s[6:7], v[97:98], v[97:98], 1.0
	v_div_scale_f64 v[107:108], vcc, 1.0, v[97:98], 1.0
	v_rcp_f64_e32 v[101:102], v[99:100]
	v_fma_f64 v[105:106], -v[99:100], v[101:102], 1.0
	v_fma_f64 v[101:102], v[101:102], v[105:106], v[101:102]
	v_fma_f64 v[105:106], -v[99:100], v[101:102], 1.0
	v_fma_f64 v[101:102], v[101:102], v[105:106], v[101:102]
	v_mul_f64 v[105:106], v[107:108], v[101:102]
	v_fma_f64 v[99:100], -v[99:100], v[105:106], v[107:108]
	v_div_fmas_f64 v[99:100], v[99:100], v[101:102], v[105:106]
	v_div_fixup_f64 v[101:102], v[99:100], v[97:98], 1.0
	v_mul_f64 v[103:104], v[103:104], -v[101:102]
.LBB55_232:
	s_or_b64 exec, exec, s[2:3]
	ds_write2_b64 v127, v[101:102], v[103:104] offset1:1
.LBB55_233:
	s_or_b64 exec, exec, s[4:5]
	s_waitcnt lgkmcnt(0)
	s_barrier
	ds_read2_b64 v[101:104], v127 offset1:1
	v_cmp_lt_u32_e32 vcc, 25, v0
	s_and_saveexec_b64 s[2:3], vcc
	s_cbranch_execz .LBB55_235
; %bb.234:
	s_waitcnt lgkmcnt(0)
	v_mul_f64 v[97:98], v[101:102], v[7:8]
	v_mul_f64 v[7:8], v[103:104], v[7:8]
	v_fma_f64 v[105:106], v[103:104], v[5:6], v[97:98]
	ds_read2_b64 v[97:100], v125 offset0:52 offset1:53
	v_fma_f64 v[5:6], v[101:102], v[5:6], -v[7:8]
	s_waitcnt lgkmcnt(0)
	v_mul_f64 v[7:8], v[99:100], v[105:106]
	v_fma_f64 v[7:8], v[97:98], v[5:6], -v[7:8]
	v_mul_f64 v[97:98], v[97:98], v[105:106]
	v_add_f64 v[1:2], v[1:2], -v[7:8]
	v_fma_f64 v[97:98], v[99:100], v[5:6], v[97:98]
	v_add_f64 v[3:4], v[3:4], -v[97:98]
	ds_read2_b64 v[97:100], v125 offset0:54 offset1:55
	s_waitcnt lgkmcnt(0)
	v_mul_f64 v[7:8], v[99:100], v[105:106]
	v_fma_f64 v[7:8], v[97:98], v[5:6], -v[7:8]
	v_mul_f64 v[97:98], v[97:98], v[105:106]
	v_add_f64 v[89:90], v[89:90], -v[7:8]
	v_fma_f64 v[97:98], v[99:100], v[5:6], v[97:98]
	v_mov_b32_e32 v7, v105
	v_mov_b32_e32 v8, v106
	v_add_f64 v[91:92], v[91:92], -v[97:98]
.LBB55_235:
	s_or_b64 exec, exec, s[2:3]
	s_waitcnt lgkmcnt(0)
	s_barrier
	v_cmp_eq_u32_e32 vcc, 26, v0
	s_mov_b64 s[4:5], exec
	s_and_b64 s[2:3], s[4:5], vcc
	buffer_store_dword v83, off, s[20:23], 0 offset:272 ; 4-byte Folded Spill
	s_nop 0
	buffer_store_dword v84, off, s[20:23], 0 offset:276 ; 4-byte Folded Spill
	buffer_store_dword v85, off, s[20:23], 0 offset:280 ; 4-byte Folded Spill
	;; [unrolled: 1-line block ×3, first 2 shown]
	s_mov_b64 exec, s[2:3]
	s_cbranch_execz .LBB55_242
; %bb.236:
	ds_write2_b64 v127, v[1:2], v[3:4] offset1:1
	ds_write2_b64 v125, v[89:90], v[91:92] offset0:54 offset1:55
	ds_read2_b64 v[97:100], v127 offset1:1
	s_waitcnt lgkmcnt(0)
	v_cmp_neq_f64_e32 vcc, 0, v[97:98]
	v_cmp_neq_f64_e64 s[2:3], 0, v[99:100]
	s_or_b64 s[2:3], vcc, s[2:3]
	s_and_b64 exec, exec, s[2:3]
	s_cbranch_execz .LBB55_242
; %bb.237:
	v_cmp_ngt_f64_e64 s[2:3], |v[97:98]|, |v[99:100]|
                                        ; implicit-def: $vgpr105_vgpr106
	s_and_saveexec_b64 s[6:7], s[2:3]
	s_xor_b64 s[2:3], exec, s[6:7]
                                        ; implicit-def: $vgpr107_vgpr108
	s_cbranch_execz .LBB55_239
; %bb.238:
	v_div_scale_f64 v[105:106], s[6:7], v[99:100], v[99:100], v[97:98]
	v_mov_b32_e32 v85, v115
	v_mov_b32_e32 v86, v116
	v_rcp_f64_e32 v[107:108], v[105:106]
	v_fma_f64 v[113:114], -v[105:106], v[107:108], 1.0
	v_fma_f64 v[107:108], v[107:108], v[113:114], v[107:108]
	v_div_scale_f64 v[113:114], vcc, v[97:98], v[99:100], v[97:98]
	v_fma_f64 v[115:116], -v[105:106], v[107:108], 1.0
	v_fma_f64 v[107:108], v[107:108], v[115:116], v[107:108]
	v_mul_f64 v[115:116], v[113:114], v[107:108]
	v_fma_f64 v[105:106], -v[105:106], v[115:116], v[113:114]
	v_div_fmas_f64 v[105:106], v[105:106], v[107:108], v[115:116]
	v_div_fixup_f64 v[105:106], v[105:106], v[99:100], v[97:98]
	v_fma_f64 v[97:98], v[97:98], v[105:106], v[99:100]
	v_div_scale_f64 v[99:100], s[6:7], v[97:98], v[97:98], 1.0
	v_div_scale_f64 v[115:116], vcc, 1.0, v[97:98], 1.0
	v_rcp_f64_e32 v[107:108], v[99:100]
	v_fma_f64 v[113:114], -v[99:100], v[107:108], 1.0
	v_fma_f64 v[107:108], v[107:108], v[113:114], v[107:108]
	v_fma_f64 v[113:114], -v[99:100], v[107:108], 1.0
	v_fma_f64 v[107:108], v[107:108], v[113:114], v[107:108]
	v_mul_f64 v[113:114], v[115:116], v[107:108]
	v_fma_f64 v[99:100], -v[99:100], v[113:114], v[115:116]
	v_mov_b32_e32 v116, v86
	v_mov_b32_e32 v115, v85
	v_div_fmas_f64 v[99:100], v[99:100], v[107:108], v[113:114]
	v_div_fixup_f64 v[107:108], v[99:100], v[97:98], 1.0
                                        ; implicit-def: $vgpr97_vgpr98
	v_mul_f64 v[105:106], v[105:106], v[107:108]
	v_xor_b32_e32 v108, 0x80000000, v108
.LBB55_239:
	s_andn2_saveexec_b64 s[2:3], s[2:3]
	s_cbranch_execz .LBB55_241
; %bb.240:
	v_div_scale_f64 v[105:106], s[6:7], v[97:98], v[97:98], v[99:100]
	v_mov_b32_e32 v85, v115
	v_mov_b32_e32 v86, v116
	v_rcp_f64_e32 v[107:108], v[105:106]
	v_fma_f64 v[113:114], -v[105:106], v[107:108], 1.0
	v_fma_f64 v[107:108], v[107:108], v[113:114], v[107:108]
	v_div_scale_f64 v[113:114], vcc, v[99:100], v[97:98], v[99:100]
	v_fma_f64 v[115:116], -v[105:106], v[107:108], 1.0
	v_fma_f64 v[107:108], v[107:108], v[115:116], v[107:108]
	v_mul_f64 v[115:116], v[113:114], v[107:108]
	v_fma_f64 v[105:106], -v[105:106], v[115:116], v[113:114]
	v_div_fmas_f64 v[105:106], v[105:106], v[107:108], v[115:116]
	v_div_fixup_f64 v[107:108], v[105:106], v[97:98], v[99:100]
	v_fma_f64 v[97:98], v[99:100], v[107:108], v[97:98]
	v_div_scale_f64 v[99:100], s[6:7], v[97:98], v[97:98], 1.0
	v_div_scale_f64 v[115:116], vcc, 1.0, v[97:98], 1.0
	v_rcp_f64_e32 v[105:106], v[99:100]
	v_fma_f64 v[113:114], -v[99:100], v[105:106], 1.0
	v_fma_f64 v[105:106], v[105:106], v[113:114], v[105:106]
	v_fma_f64 v[113:114], -v[99:100], v[105:106], 1.0
	v_fma_f64 v[105:106], v[105:106], v[113:114], v[105:106]
	v_mul_f64 v[113:114], v[115:116], v[105:106]
	v_fma_f64 v[99:100], -v[99:100], v[113:114], v[115:116]
	v_mov_b32_e32 v116, v86
	v_mov_b32_e32 v115, v85
	v_div_fmas_f64 v[99:100], v[99:100], v[105:106], v[113:114]
	v_div_fixup_f64 v[105:106], v[99:100], v[97:98], 1.0
	v_mul_f64 v[107:108], v[107:108], -v[105:106]
.LBB55_241:
	s_or_b64 exec, exec, s[2:3]
	ds_write2_b64 v127, v[105:106], v[107:108] offset1:1
.LBB55_242:
	s_or_b64 exec, exec, s[4:5]
	s_waitcnt vmcnt(0) lgkmcnt(0)
	s_barrier
	ds_read2_b64 v[97:100], v127 offset1:1
	v_cmp_lt_u32_e32 vcc, 26, v0
	s_and_saveexec_b64 s[2:3], vcc
	s_cbranch_execz .LBB55_244
; %bb.243:
	s_waitcnt lgkmcnt(0)
	v_mul_f64 v[105:106], v[97:98], v[3:4]
	v_mul_f64 v[3:4], v[99:100], v[3:4]
	v_fma_f64 v[113:114], v[99:100], v[1:2], v[105:106]
	ds_read2_b64 v[105:108], v125 offset0:54 offset1:55
	v_fma_f64 v[1:2], v[97:98], v[1:2], -v[3:4]
	s_waitcnt lgkmcnt(0)
	v_mul_f64 v[3:4], v[107:108], v[113:114]
	v_fma_f64 v[3:4], v[105:106], v[1:2], -v[3:4]
	v_mul_f64 v[105:106], v[105:106], v[113:114]
	v_add_f64 v[89:90], v[89:90], -v[3:4]
	v_fma_f64 v[105:106], v[107:108], v[1:2], v[105:106]
	v_mov_b32_e32 v3, v113
	v_mov_b32_e32 v4, v114
	v_add_f64 v[91:92], v[91:92], -v[105:106]
.LBB55_244:
	s_or_b64 exec, exec, s[2:3]
	v_cmp_eq_u32_e32 vcc, 27, v0
	s_waitcnt lgkmcnt(0)
	s_barrier
	s_and_saveexec_b64 s[4:5], vcc
	s_cbranch_execz .LBB55_251
; %bb.245:
	v_cmp_neq_f64_e32 vcc, 0, v[89:90]
	v_cmp_neq_f64_e64 s[2:3], 0, v[91:92]
	ds_write2_b64 v127, v[89:90], v[91:92] offset1:1
	s_or_b64 s[2:3], vcc, s[2:3]
	s_and_b64 exec, exec, s[2:3]
	s_cbranch_execz .LBB55_251
; %bb.246:
	v_cmp_ngt_f64_e64 s[2:3], |v[89:90]|, |v[91:92]|
                                        ; implicit-def: $vgpr105_vgpr106
	s_and_saveexec_b64 s[6:7], s[2:3]
	s_xor_b64 s[2:3], exec, s[6:7]
                                        ; implicit-def: $vgpr107_vgpr108
	s_cbranch_execz .LBB55_248
; %bb.247:
	v_div_scale_f64 v[105:106], s[6:7], v[91:92], v[91:92], v[89:90]
	v_mov_b32_e32 v85, v115
	v_mov_b32_e32 v86, v116
	;; [unrolled: 1-line block ×8, first 2 shown]
	v_rcp_f64_e32 v[107:108], v[105:106]
	v_fma_f64 v[113:114], -v[105:106], v[107:108], 1.0
	v_fma_f64 v[107:108], v[107:108], v[113:114], v[107:108]
	v_div_scale_f64 v[113:114], vcc, v[89:90], v[91:92], v[89:90]
	v_fma_f64 v[115:116], -v[105:106], v[107:108], 1.0
	v_fma_f64 v[107:108], v[107:108], v[115:116], v[107:108]
	v_mul_f64 v[115:116], v[113:114], v[107:108]
	v_fma_f64 v[105:106], -v[105:106], v[115:116], v[113:114]
	v_div_fmas_f64 v[105:106], v[105:106], v[107:108], v[115:116]
	v_div_fixup_f64 v[105:106], v[105:106], v[91:92], v[89:90]
	v_fma_f64 v[107:108], v[89:90], v[105:106], v[91:92]
	v_div_scale_f64 v[113:114], s[6:7], v[107:108], v[107:108], 1.0
	v_div_scale_f64 v[93:94], vcc, 1.0, v[107:108], 1.0
	v_rcp_f64_e32 v[115:116], v[113:114]
	v_fma_f64 v[125:126], -v[113:114], v[115:116], 1.0
	v_fma_f64 v[115:116], v[115:116], v[125:126], v[115:116]
	v_fma_f64 v[125:126], -v[113:114], v[115:116], 1.0
	v_fma_f64 v[95:96], v[115:116], v[125:126], v[115:116]
	v_mul_f64 v[115:116], v[93:94], v[95:96]
	v_fma_f64 v[93:94], -v[113:114], v[115:116], v[93:94]
	v_div_fmas_f64 v[93:94], v[93:94], v[95:96], v[115:116]
	v_mov_b32_e32 v96, v88
	v_mov_b32_e32 v95, v87
	v_mov_b32_e32 v88, v82
	v_mov_b32_e32 v87, v81
	v_mov_b32_e32 v81, v83
	v_mov_b32_e32 v116, v86
	v_mov_b32_e32 v82, v84
	v_mov_b32_e32 v115, v85
	v_div_fixup_f64 v[107:108], v[93:94], v[107:108], 1.0
	v_mul_f64 v[105:106], v[105:106], v[107:108]
	v_xor_b32_e32 v108, 0x80000000, v108
.LBB55_248:
	s_andn2_saveexec_b64 s[2:3], s[2:3]
	s_cbranch_execz .LBB55_250
; %bb.249:
	v_div_scale_f64 v[93:94], s[6:7], v[89:90], v[89:90], v[91:92]
	v_mov_b32_e32 v126, v96
	v_mov_b32_e32 v125, v95
	;; [unrolled: 1-line block ×4, first 2 shown]
	v_rcp_f64_e32 v[95:96], v[93:94]
	v_fma_f64 v[105:106], -v[93:94], v[95:96], 1.0
	v_fma_f64 v[95:96], v[95:96], v[105:106], v[95:96]
	v_div_scale_f64 v[105:106], vcc, v[91:92], v[89:90], v[91:92]
	v_fma_f64 v[107:108], -v[93:94], v[95:96], 1.0
	v_fma_f64 v[95:96], v[95:96], v[107:108], v[95:96]
	v_mul_f64 v[107:108], v[105:106], v[95:96]
	v_fma_f64 v[93:94], -v[93:94], v[107:108], v[105:106]
	v_div_fmas_f64 v[93:94], v[93:94], v[95:96], v[107:108]
	v_div_fixup_f64 v[93:94], v[93:94], v[89:90], v[91:92]
	v_fma_f64 v[95:96], v[91:92], v[93:94], v[89:90]
	v_div_scale_f64 v[105:106], s[6:7], v[95:96], v[95:96], 1.0
	v_div_scale_f64 v[115:116], vcc, 1.0, v[95:96], 1.0
	v_rcp_f64_e32 v[107:108], v[105:106]
	v_fma_f64 v[113:114], -v[105:106], v[107:108], 1.0
	v_fma_f64 v[107:108], v[107:108], v[113:114], v[107:108]
	v_fma_f64 v[113:114], -v[105:106], v[107:108], 1.0
	v_fma_f64 v[107:108], v[107:108], v[113:114], v[107:108]
	v_mul_f64 v[113:114], v[115:116], v[107:108]
	v_fma_f64 v[105:106], -v[105:106], v[113:114], v[115:116]
	v_mov_b32_e32 v116, v86
	v_mov_b32_e32 v115, v85
	v_div_fmas_f64 v[105:106], v[105:106], v[107:108], v[113:114]
	v_div_fixup_f64 v[105:106], v[105:106], v[95:96], 1.0
	v_mov_b32_e32 v95, v125
	v_mov_b32_e32 v96, v126
	v_mul_f64 v[107:108], v[93:94], -v[105:106]
.LBB55_250:
	s_or_b64 exec, exec, s[2:3]
	ds_write2_b64 v127, v[105:106], v[107:108] offset1:1
.LBB55_251:
	s_or_b64 exec, exec, s[4:5]
	s_waitcnt lgkmcnt(0)
	s_barrier
	ds_read2_b64 v[105:108], v127 offset1:1
	s_waitcnt lgkmcnt(0)
	s_barrier
	s_and_saveexec_b64 s[2:3], s[0:1]
	s_cbranch_execz .LBB55_254
; %bb.252:
	buffer_load_dword v83, off, s[20:23], 0 offset:304 ; 4-byte Folded Reload
	buffer_load_dword v84, off, s[20:23], 0 offset:308 ; 4-byte Folded Reload
	;; [unrolled: 1-line block ×4, first 2 shown]
	s_waitcnt vmcnt(2)
	v_cmp_eq_f64_e32 vcc, 0, v[83:84]
	s_waitcnt vmcnt(0)
	v_cmp_eq_f64_e64 s[0:1], 0, v[85:86]
	buffer_load_dword v83, off, s[20:23], 0 offset:320 ; 4-byte Folded Reload
	buffer_load_dword v84, off, s[20:23], 0 offset:324 ; 4-byte Folded Reload
	;; [unrolled: 1-line block ×4, first 2 shown]
	s_and_b64 s[4:5], vcc, s[0:1]
	v_cndmask_b32_e64 v93, 0, 1, s[4:5]
	s_waitcnt vmcnt(2)
	v_cmp_neq_f64_e32 vcc, 0, v[83:84]
	s_waitcnt vmcnt(0)
	v_cmp_neq_f64_e64 s[0:1], 0, v[85:86]
	buffer_load_dword v83, off, s[20:23], 0 offset:336 ; 4-byte Folded Reload
	buffer_load_dword v84, off, s[20:23], 0 offset:340 ; 4-byte Folded Reload
	;; [unrolled: 1-line block ×4, first 2 shown]
	s_or_b64 s[0:1], vcc, s[0:1]
	s_or_b64 vcc, s[0:1], s[4:5]
	v_cndmask_b32_e32 v93, 2, v93, vcc
	s_waitcnt vmcnt(2)
	v_cmp_eq_f64_e32 vcc, 0, v[83:84]
	s_waitcnt vmcnt(0)
	v_cmp_eq_f64_e64 s[0:1], 0, v[85:86]
	buffer_load_dword v83, off, s[20:23], 0 offset:352 ; 4-byte Folded Reload
	buffer_load_dword v84, off, s[20:23], 0 offset:356 ; 4-byte Folded Reload
	buffer_load_dword v85, off, s[20:23], 0 offset:360 ; 4-byte Folded Reload
	buffer_load_dword v86, off, s[20:23], 0 offset:364 ; 4-byte Folded Reload
	s_and_b64 s[0:1], vcc, s[0:1]
	v_cmp_eq_u32_e32 vcc, 0, v93
	s_and_b64 s[0:1], s[0:1], vcc
	v_cndmask_b32_e64 v93, v93, 3, s[0:1]
	s_waitcnt vmcnt(2)
	v_cmp_eq_f64_e32 vcc, 0, v[83:84]
	s_waitcnt vmcnt(0)
	v_cmp_eq_f64_e64 s[0:1], 0, v[85:86]
	buffer_load_dword v83, off, s[20:23], 0 offset:368 ; 4-byte Folded Reload
	buffer_load_dword v84, off, s[20:23], 0 offset:372 ; 4-byte Folded Reload
	buffer_load_dword v85, off, s[20:23], 0 offset:376 ; 4-byte Folded Reload
	buffer_load_dword v86, off, s[20:23], 0 offset:380 ; 4-byte Folded Reload
	s_and_b64 s[0:1], vcc, s[0:1]
	v_cmp_eq_u32_e32 vcc, 0, v93
	s_and_b64 s[0:1], s[0:1], vcc
	v_cndmask_b32_e64 v93, v93, 4, s[0:1]
	;; [unrolled: 12-line block ×19, first 2 shown]
	s_waitcnt vmcnt(2)
	v_cmp_eq_f64_e32 vcc, 0, v[83:84]
	buffer_load_dword v83, off, s[20:23], 0 offset:656 ; 4-byte Folded Reload
	buffer_load_dword v84, off, s[20:23], 0 offset:660 ; 4-byte Folded Reload
	s_waitcnt vmcnt(2)
	v_cmp_eq_f64_e64 s[0:1], 0, v[85:86]
	s_and_b64 s[0:1], vcc, s[0:1]
	v_cmp_eq_u32_e32 vcc, 0, v93
	s_and_b64 s[0:1], s[0:1], vcc
	v_cndmask_b32_e64 v93, v93, 22, s[0:1]
	v_cmp_eq_f64_e32 vcc, 0, v[117:118]
	v_cmp_eq_f64_e64 s[0:1], 0, v[119:120]
	s_and_b64 s[0:1], vcc, s[0:1]
	v_cmp_eq_u32_e32 vcc, 0, v93
	s_and_b64 s[0:1], s[0:1], vcc
	v_cndmask_b32_e64 v93, v93, 23, s[0:1]
	v_cmp_eq_f64_e32 vcc, 0, v[121:122]
	;; [unrolled: 6-line block ×6, first 2 shown]
	v_cmp_eq_f64_e64 s[0:1], 0, v[107:108]
	s_and_b64 s[0:1], vcc, s[0:1]
	v_cmp_eq_u32_e32 vcc, 0, v93
	s_and_b64 s[0:1], s[0:1], vcc
	v_cndmask_b32_e64 v99, v93, 28, s[0:1]
	s_waitcnt vmcnt(0)
	v_lshlrev_b64 v[93:94], 2, v[83:84]
	v_cmp_ne_u32_e64 s[0:1], 0, v99
	v_add_co_u32_e32 v97, vcc, s10, v93
	v_mov_b32_e32 v93, s11
	v_addc_co_u32_e32 v98, vcc, v93, v94, vcc
	global_load_dword v93, v[97:98], off
	s_waitcnt vmcnt(0)
	v_cmp_eq_u32_e32 vcc, 0, v93
	s_and_b64 s[0:1], vcc, s[0:1]
	s_and_b64 exec, exec, s[0:1]
	s_cbranch_execz .LBB55_254
; %bb.253:
	v_add_u32_e32 v93, s13, v99
	global_store_dword v[97:98], v93, off
.LBB55_254:
	s_or_b64 exec, exec, s[2:3]
	buffer_load_dword v83, off, s[20:23], 0 offset:288 ; 4-byte Folded Reload
	buffer_load_dword v84, off, s[20:23], 0 offset:292 ; 4-byte Folded Reload
	;; [unrolled: 1-line block ×6, first 2 shown]
	v_cmp_lt_u32_e32 vcc, 27, v0
	s_waitcnt vmcnt(0)
	global_store_dwordx4 v[83:84], v[97:100], off
	buffer_load_dword v83, off, s[20:23], 0 offset:296 ; 4-byte Folded Reload
	s_nop 0
	buffer_load_dword v84, off, s[20:23], 0 offset:300 ; 4-byte Folded Reload
	buffer_load_dword v97, off, s[20:23], 0 offset:64 ; 4-byte Folded Reload
	;; [unrolled: 1-line block ×5, first 2 shown]
	s_waitcnt vmcnt(0)
	global_store_dwordx4 v[83:84], v[97:100], off
	buffer_load_dword v83, off, s[20:23], 0 offset:48 ; 4-byte Folded Reload
	s_nop 0
	buffer_load_dword v84, off, s[20:23], 0 offset:52 ; 4-byte Folded Reload
	buffer_load_dword v85, off, s[20:23], 0 offset:56 ; 4-byte Folded Reload
	;; [unrolled: 1-line block ×3, first 2 shown]
	s_waitcnt vmcnt(0)
	global_store_dwordx4 v[115:116], v[83:86], off
	buffer_load_dword v85, off, s[20:23], 0 offset:96 ; 4-byte Folded Reload
	s_nop 0
	buffer_load_dword v86, off, s[20:23], 0 offset:100 ; 4-byte Folded Reload
	buffer_load_dword v97, off, s[20:23], 0 offset:32 ; 4-byte Folded Reload
	;; [unrolled: 1-line block ×5, first 2 shown]
	s_waitcnt vmcnt(0)
	global_store_dwordx4 v[85:86], v[97:100], off
	buffer_load_dword v83, off, s[20:23], 0 offset:16 ; 4-byte Folded Reload
	s_nop 0
	buffer_load_dword v84, off, s[20:23], 0 offset:20 ; 4-byte Folded Reload
	buffer_load_dword v85, off, s[20:23], 0 offset:24 ; 4-byte Folded Reload
	;; [unrolled: 1-line block ×3, first 2 shown]
	s_waitcnt vmcnt(0)
	global_store_dwordx4 v[95:96], v[83:86], off
	buffer_load_dword v83, off, s[20:23], 0 ; 4-byte Folded Reload
	s_nop 0
	buffer_load_dword v84, off, s[20:23], 0 offset:4 ; 4-byte Folded Reload
	buffer_load_dword v85, off, s[20:23], 0 offset:8 ; 4-byte Folded Reload
	;; [unrolled: 1-line block ×3, first 2 shown]
	s_waitcnt vmcnt(0)
	global_store_dwordx4 v[87:88], v[83:86], off
	buffer_load_dword v83, off, s[20:23], 0 offset:104 ; 4-byte Folded Reload
	s_nop 0
	buffer_load_dword v84, off, s[20:23], 0 offset:108 ; 4-byte Folded Reload
	buffer_load_dword v85, off, s[20:23], 0 offset:272 ; 4-byte Folded Reload
	buffer_load_dword v86, off, s[20:23], 0 offset:276 ; 4-byte Folded Reload
	buffer_load_dword v87, off, s[20:23], 0 offset:280 ; 4-byte Folded Reload
	buffer_load_dword v88, off, s[20:23], 0 offset:284 ; 4-byte Folded Reload
	s_waitcnt vmcnt(0)
	global_store_dwordx4 v[83:84], v[85:88], off
	global_store_dwordx4 v[81:82], v[77:80], off
	s_nop 0
	v_mul_f64 v[77:78], v[105:106], v[91:92]
	v_mul_f64 v[79:80], v[107:108], v[91:92]
	v_fma_f64 v[77:78], v[107:108], v[89:90], v[77:78]
	v_fma_f64 v[81:82], v[105:106], v[89:90], -v[79:80]
	v_cndmask_b32_e32 v80, v92, v78, vcc
	v_cndmask_b32_e32 v79, v91, v77, vcc
	;; [unrolled: 1-line block ×4, first 2 shown]
	buffer_load_dword v81, off, s[20:23], 0 offset:112 ; 4-byte Folded Reload
	buffer_load_dword v82, off, s[20:23], 0 offset:116 ; 4-byte Folded Reload
	s_waitcnt vmcnt(0)
	global_store_dwordx4 v[81:82], v[73:76], off
	buffer_load_dword v73, off, s[20:23], 0 offset:120 ; 4-byte Folded Reload
	s_nop 0
	buffer_load_dword v74, off, s[20:23], 0 offset:124 ; 4-byte Folded Reload
	s_waitcnt vmcnt(0)
	global_store_dwordx4 v[73:74], v[69:72], off
	buffer_load_dword v69, off, s[20:23], 0 offset:128 ; 4-byte Folded Reload
	s_nop 0
	buffer_load_dword v70, off, s[20:23], 0 offset:132 ; 4-byte Folded Reload
	s_waitcnt vmcnt(0)
	global_store_dwordx4 v[69:70], v[65:68], off
	buffer_load_dword v65, off, s[20:23], 0 offset:136 ; 4-byte Folded Reload
	s_nop 0
	buffer_load_dword v66, off, s[20:23], 0 offset:140 ; 4-byte Folded Reload
	s_waitcnt vmcnt(0)
	global_store_dwordx4 v[65:66], v[61:64], off
	buffer_load_dword v61, off, s[20:23], 0 offset:144 ; 4-byte Folded Reload
	s_nop 0
	buffer_load_dword v62, off, s[20:23], 0 offset:148 ; 4-byte Folded Reload
	s_waitcnt vmcnt(0)
	global_store_dwordx4 v[61:62], v[57:60], off
	buffer_load_dword v57, off, s[20:23], 0 offset:152 ; 4-byte Folded Reload
	s_nop 0
	buffer_load_dword v58, off, s[20:23], 0 offset:156 ; 4-byte Folded Reload
	s_waitcnt vmcnt(0)
	global_store_dwordx4 v[57:58], v[53:56], off
	buffer_load_dword v53, off, s[20:23], 0 offset:160 ; 4-byte Folded Reload
	s_nop 0
	buffer_load_dword v54, off, s[20:23], 0 offset:164 ; 4-byte Folded Reload
	s_waitcnt vmcnt(0)
	global_store_dwordx4 v[53:54], v[49:52], off
	buffer_load_dword v49, off, s[20:23], 0 offset:168 ; 4-byte Folded Reload
	s_nop 0
	buffer_load_dword v50, off, s[20:23], 0 offset:172 ; 4-byte Folded Reload
	s_waitcnt vmcnt(0)
	global_store_dwordx4 v[49:50], v[45:48], off
	buffer_load_dword v45, off, s[20:23], 0 offset:176 ; 4-byte Folded Reload
	s_nop 0
	buffer_load_dword v46, off, s[20:23], 0 offset:180 ; 4-byte Folded Reload
	s_waitcnt vmcnt(0)
	global_store_dwordx4 v[45:46], v[41:44], off
	buffer_load_dword v41, off, s[20:23], 0 offset:184 ; 4-byte Folded Reload
	s_nop 0
	buffer_load_dword v42, off, s[20:23], 0 offset:188 ; 4-byte Folded Reload
	s_waitcnt vmcnt(0)
	global_store_dwordx4 v[41:42], v[37:40], off
	buffer_load_dword v37, off, s[20:23], 0 offset:192 ; 4-byte Folded Reload
	s_nop 0
	buffer_load_dword v38, off, s[20:23], 0 offset:196 ; 4-byte Folded Reload
	s_waitcnt vmcnt(0)
	global_store_dwordx4 v[37:38], v[33:36], off
	buffer_load_dword v33, off, s[20:23], 0 offset:200 ; 4-byte Folded Reload
	s_nop 0
	buffer_load_dword v34, off, s[20:23], 0 offset:204 ; 4-byte Folded Reload
	s_waitcnt vmcnt(0)
	global_store_dwordx4 v[33:34], v[29:32], off
	buffer_load_dword v29, off, s[20:23], 0 offset:208 ; 4-byte Folded Reload
	s_nop 0
	buffer_load_dword v30, off, s[20:23], 0 offset:212 ; 4-byte Folded Reload
	s_waitcnt vmcnt(0)
	global_store_dwordx4 v[29:30], v[25:28], off
	buffer_load_dword v25, off, s[20:23], 0 offset:216 ; 4-byte Folded Reload
	s_nop 0
	buffer_load_dword v26, off, s[20:23], 0 offset:220 ; 4-byte Folded Reload
	s_waitcnt vmcnt(0)
	global_store_dwordx4 v[25:26], v[21:24], off
	buffer_load_dword v21, off, s[20:23], 0 offset:224 ; 4-byte Folded Reload
	s_nop 0
	buffer_load_dword v22, off, s[20:23], 0 offset:228 ; 4-byte Folded Reload
	s_waitcnt vmcnt(0)
	global_store_dwordx4 v[21:22], v[17:20], off
	buffer_load_dword v17, off, s[20:23], 0 offset:232 ; 4-byte Folded Reload
	s_nop 0
	buffer_load_dword v18, off, s[20:23], 0 offset:236 ; 4-byte Folded Reload
	s_waitcnt vmcnt(0)
	global_store_dwordx4 v[17:18], v[13:16], off
	buffer_load_dword v13, off, s[20:23], 0 offset:240 ; 4-byte Folded Reload
	s_nop 0
	buffer_load_dword v14, off, s[20:23], 0 offset:244 ; 4-byte Folded Reload
	s_waitcnt vmcnt(0)
	global_store_dwordx4 v[13:14], v[9:12], off
	buffer_load_dword v9, off, s[20:23], 0 offset:248 ; 4-byte Folded Reload
	s_nop 0
	buffer_load_dword v10, off, s[20:23], 0 offset:252 ; 4-byte Folded Reload
	s_waitcnt vmcnt(0)
	global_store_dwordx4 v[9:10], v[5:8], off
	buffer_load_dword v5, off, s[20:23], 0 offset:256 ; 4-byte Folded Reload
	s_nop 0
	buffer_load_dword v6, off, s[20:23], 0 offset:260 ; 4-byte Folded Reload
	s_waitcnt vmcnt(0)
	global_store_dwordx4 v[5:6], v[1:4], off
	buffer_load_dword v0, off, s[20:23], 0 offset:264 ; 4-byte Folded Reload
	s_nop 0
	buffer_load_dword v1, off, s[20:23], 0 offset:268 ; 4-byte Folded Reload
	s_waitcnt vmcnt(0)
	global_store_dwordx4 v[0:1], v[77:80], off
.LBB55_255:
	s_endpgm
	.section	.rodata,"a",@progbits
	.p2align	6, 0x0
	.amdhsa_kernel _ZN9rocsolver6v33100L23getf2_npvt_small_kernelILi28E19rocblas_complex_numIdEiiPS3_EEvT1_T3_lS5_lPT2_S5_S5_
		.amdhsa_group_segment_fixed_size 0
		.amdhsa_private_segment_fixed_size 668
		.amdhsa_kernarg_size 312
		.amdhsa_user_sgpr_count 6
		.amdhsa_user_sgpr_private_segment_buffer 1
		.amdhsa_user_sgpr_dispatch_ptr 0
		.amdhsa_user_sgpr_queue_ptr 0
		.amdhsa_user_sgpr_kernarg_segment_ptr 1
		.amdhsa_user_sgpr_dispatch_id 0
		.amdhsa_user_sgpr_flat_scratch_init 0
		.amdhsa_user_sgpr_private_segment_size 0
		.amdhsa_uses_dynamic_stack 0
		.amdhsa_system_sgpr_private_segment_wavefront_offset 1
		.amdhsa_system_sgpr_workgroup_id_x 1
		.amdhsa_system_sgpr_workgroup_id_y 1
		.amdhsa_system_sgpr_workgroup_id_z 0
		.amdhsa_system_sgpr_workgroup_info 0
		.amdhsa_system_vgpr_workitem_id 1
		.amdhsa_next_free_vgpr 128
		.amdhsa_next_free_sgpr 24
		.amdhsa_reserve_vcc 1
		.amdhsa_reserve_flat_scratch 0
		.amdhsa_float_round_mode_32 0
		.amdhsa_float_round_mode_16_64 0
		.amdhsa_float_denorm_mode_32 3
		.amdhsa_float_denorm_mode_16_64 3
		.amdhsa_dx10_clamp 1
		.amdhsa_ieee_mode 1
		.amdhsa_fp16_overflow 0
		.amdhsa_exception_fp_ieee_invalid_op 0
		.amdhsa_exception_fp_denorm_src 0
		.amdhsa_exception_fp_ieee_div_zero 0
		.amdhsa_exception_fp_ieee_overflow 0
		.amdhsa_exception_fp_ieee_underflow 0
		.amdhsa_exception_fp_ieee_inexact 0
		.amdhsa_exception_int_div_zero 0
	.end_amdhsa_kernel
	.section	.text._ZN9rocsolver6v33100L23getf2_npvt_small_kernelILi28E19rocblas_complex_numIdEiiPS3_EEvT1_T3_lS5_lPT2_S5_S5_,"axG",@progbits,_ZN9rocsolver6v33100L23getf2_npvt_small_kernelILi28E19rocblas_complex_numIdEiiPS3_EEvT1_T3_lS5_lPT2_S5_S5_,comdat
.Lfunc_end55:
	.size	_ZN9rocsolver6v33100L23getf2_npvt_small_kernelILi28E19rocblas_complex_numIdEiiPS3_EEvT1_T3_lS5_lPT2_S5_S5_, .Lfunc_end55-_ZN9rocsolver6v33100L23getf2_npvt_small_kernelILi28E19rocblas_complex_numIdEiiPS3_EEvT1_T3_lS5_lPT2_S5_S5_
                                        ; -- End function
	.set _ZN9rocsolver6v33100L23getf2_npvt_small_kernelILi28E19rocblas_complex_numIdEiiPS3_EEvT1_T3_lS5_lPT2_S5_S5_.num_vgpr, 128
	.set _ZN9rocsolver6v33100L23getf2_npvt_small_kernelILi28E19rocblas_complex_numIdEiiPS3_EEvT1_T3_lS5_lPT2_S5_S5_.num_agpr, 0
	.set _ZN9rocsolver6v33100L23getf2_npvt_small_kernelILi28E19rocblas_complex_numIdEiiPS3_EEvT1_T3_lS5_lPT2_S5_S5_.numbered_sgpr, 24
	.set _ZN9rocsolver6v33100L23getf2_npvt_small_kernelILi28E19rocblas_complex_numIdEiiPS3_EEvT1_T3_lS5_lPT2_S5_S5_.num_named_barrier, 0
	.set _ZN9rocsolver6v33100L23getf2_npvt_small_kernelILi28E19rocblas_complex_numIdEiiPS3_EEvT1_T3_lS5_lPT2_S5_S5_.private_seg_size, 668
	.set _ZN9rocsolver6v33100L23getf2_npvt_small_kernelILi28E19rocblas_complex_numIdEiiPS3_EEvT1_T3_lS5_lPT2_S5_S5_.uses_vcc, 1
	.set _ZN9rocsolver6v33100L23getf2_npvt_small_kernelILi28E19rocblas_complex_numIdEiiPS3_EEvT1_T3_lS5_lPT2_S5_S5_.uses_flat_scratch, 0
	.set _ZN9rocsolver6v33100L23getf2_npvt_small_kernelILi28E19rocblas_complex_numIdEiiPS3_EEvT1_T3_lS5_lPT2_S5_S5_.has_dyn_sized_stack, 0
	.set _ZN9rocsolver6v33100L23getf2_npvt_small_kernelILi28E19rocblas_complex_numIdEiiPS3_EEvT1_T3_lS5_lPT2_S5_S5_.has_recursion, 0
	.set _ZN9rocsolver6v33100L23getf2_npvt_small_kernelILi28E19rocblas_complex_numIdEiiPS3_EEvT1_T3_lS5_lPT2_S5_S5_.has_indirect_call, 0
	.section	.AMDGPU.csdata,"",@progbits
; Kernel info:
; codeLenInByte = 50444
; TotalNumSgprs: 28
; NumVgprs: 128
; ScratchSize: 668
; MemoryBound: 1
; FloatMode: 240
; IeeeMode: 1
; LDSByteSize: 0 bytes/workgroup (compile time only)
; SGPRBlocks: 3
; VGPRBlocks: 31
; NumSGPRsForWavesPerEU: 28
; NumVGPRsForWavesPerEU: 128
; Occupancy: 2
; WaveLimiterHint : 0
; COMPUTE_PGM_RSRC2:SCRATCH_EN: 1
; COMPUTE_PGM_RSRC2:USER_SGPR: 6
; COMPUTE_PGM_RSRC2:TRAP_HANDLER: 0
; COMPUTE_PGM_RSRC2:TGID_X_EN: 1
; COMPUTE_PGM_RSRC2:TGID_Y_EN: 1
; COMPUTE_PGM_RSRC2:TGID_Z_EN: 0
; COMPUTE_PGM_RSRC2:TIDIG_COMP_CNT: 1
	.section	.text._ZN9rocsolver6v33100L18getf2_small_kernelILi29E19rocblas_complex_numIdEiiPS3_EEvT1_T3_lS5_lPS5_llPT2_S5_S5_S7_l,"axG",@progbits,_ZN9rocsolver6v33100L18getf2_small_kernelILi29E19rocblas_complex_numIdEiiPS3_EEvT1_T3_lS5_lPS5_llPT2_S5_S5_S7_l,comdat
	.globl	_ZN9rocsolver6v33100L18getf2_small_kernelILi29E19rocblas_complex_numIdEiiPS3_EEvT1_T3_lS5_lPS5_llPT2_S5_S5_S7_l ; -- Begin function _ZN9rocsolver6v33100L18getf2_small_kernelILi29E19rocblas_complex_numIdEiiPS3_EEvT1_T3_lS5_lPS5_llPT2_S5_S5_S7_l
	.p2align	8
	.type	_ZN9rocsolver6v33100L18getf2_small_kernelILi29E19rocblas_complex_numIdEiiPS3_EEvT1_T3_lS5_lPS5_llPT2_S5_S5_S7_l,@function
_ZN9rocsolver6v33100L18getf2_small_kernelILi29E19rocblas_complex_numIdEiiPS3_EEvT1_T3_lS5_lPS5_llPT2_S5_S5_S7_l: ; @_ZN9rocsolver6v33100L18getf2_small_kernelILi29E19rocblas_complex_numIdEiiPS3_EEvT1_T3_lS5_lPS5_llPT2_S5_S5_S7_l
; %bb.0:
	s_mov_b64 s[26:27], s[2:3]
	s_mov_b64 s[24:25], s[0:1]
	s_load_dword s0, s[4:5], 0x6c
	s_load_dwordx2 s[16:17], s[4:5], 0x48
	s_add_u32 s24, s24, s8
	s_addc_u32 s25, s25, 0
	s_waitcnt lgkmcnt(0)
	s_lshr_b32 s0, s0, 16
	s_mul_i32 s7, s7, s0
	v_add_u32_e32 v6, s7, v1
	v_cmp_gt_i32_e32 vcc, s16, v6
	s_and_saveexec_b64 s[0:1], vcc
	s_cbranch_execz .LBB56_610
; %bb.1:
	s_load_dwordx4 s[0:3], s[4:5], 0x50
	v_mov_b32_e32 v2, 0
	v_ashrrev_i32_e32 v7, 31, v6
	v_mov_b32_e32 v3, 0
	buffer_store_dword v2, off, s[24:27], 0 offset:32 ; 4-byte Folded Spill
	s_nop 0
	buffer_store_dword v3, off, s[24:27], 0 offset:36 ; 4-byte Folded Spill
	s_waitcnt lgkmcnt(0)
	s_cmp_eq_u64 s[0:1], 0
	s_cselect_b64 s[6:7], -1, 0
	s_and_b64 vcc, exec, s[6:7]
	s_cbranch_vccnz .LBB56_3
; %bb.2:
	v_mul_lo_u32 v4, s3, v6
	v_mul_lo_u32 v5, s2, v7
	v_mad_u64_u32 v[2:3], s[2:3], s2, v6, 0
	v_add3_u32 v3, v3, v5, v4
	v_lshlrev_b64 v[2:3], 2, v[2:3]
	v_mov_b32_e32 v4, s1
	v_add_co_u32_e32 v2, vcc, s0, v2
	v_addc_co_u32_e32 v3, vcc, v4, v3, vcc
	buffer_store_dword v2, off, s[24:27], 0 offset:32 ; 4-byte Folded Spill
	s_nop 0
	buffer_store_dword v3, off, s[24:27], 0 offset:36 ; 4-byte Folded Spill
.LBB56_3:
	s_load_dwordx8 s[8:15], s[4:5], 0x20
	s_load_dwordx4 s[20:23], s[4:5], 0x8
	s_load_dword s2, s[4:5], 0x18
	v_lshlrev_b32_e32 v40, 4, v0
	s_waitcnt lgkmcnt(0)
	v_mul_lo_u32 v4, s9, v6
	v_mul_lo_u32 v5, s8, v7
	buffer_store_dword v6, off, s[24:27], 0 offset:56 ; 4-byte Folded Spill
	s_nop 0
	buffer_store_dword v7, off, s[24:27], 0 offset:60 ; 4-byte Folded Spill
	s_add_i32 s16, s2, s2
	s_ashr_i32 s3, s2, 31
	v_mad_u64_u32 v[2:3], s[0:1], s8, v6, 0
	v_mov_b32_e32 v6, s21
	s_lshl_b64 s[0:1], s[22:23], 4
	v_add3_u32 v3, v3, v5, v4
	v_lshlrev_b64 v[2:3], 4, v[2:3]
	v_mov_b32_e32 v4, s1
	v_add_co_u32_e32 v2, vcc, s20, v2
	v_addc_co_u32_e32 v3, vcc, v6, v3, vcc
	v_add_co_u32_e32 v111, vcc, s0, v2
	v_addc_co_u32_e32 v112, vcc, v3, v4, vcc
	v_add_u32_e32 v4, s16, v0
	v_ashrrev_i32_e32 v5, 31, v4
	v_lshlrev_b64 v[2:3], 4, v[4:5]
	v_add_u32_e32 v6, s2, v4
	v_ashrrev_i32_e32 v7, 31, v6
	v_add_co_u32_e32 v2, vcc, v111, v2
	v_lshlrev_b64 v[4:5], 4, v[6:7]
	v_add_u32_e32 v8, s2, v6
	v_addc_co_u32_e32 v3, vcc, v112, v3, vcc
	v_ashrrev_i32_e32 v9, 31, v8
	v_add_co_u32_e32 v4, vcc, v111, v4
	v_lshlrev_b64 v[6:7], 4, v[8:9]
	v_add_u32_e32 v10, s2, v8
	v_addc_co_u32_e32 v5, vcc, v112, v5, vcc
	;; [unrolled: 5-line block ×16, first 2 shown]
	v_ashrrev_i32_e32 v37, 31, v36
	v_add_co_u32_e32 v34, vcc, v111, v34
	v_lshlrev_b64 v[37:38], 4, v[36:37]
	v_addc_co_u32_e32 v35, vcc, v112, v35, vcc
	v_add_u32_e32 v36, s2, v36
	v_add_co_u32_e32 v113, vcc, v111, v37
	v_ashrrev_i32_e32 v37, 31, v36
	v_addc_co_u32_e32 v114, vcc, v112, v38, vcc
	v_lshlrev_b64 v[37:38], 4, v[36:37]
	v_add_u32_e32 v36, s2, v36
	v_add_co_u32_e32 v115, vcc, v111, v37
	v_ashrrev_i32_e32 v37, 31, v36
	v_addc_co_u32_e32 v116, vcc, v112, v38, vcc
	v_lshlrev_b64 v[37:38], 4, v[36:37]
	;; [unrolled: 5-line block ×7, first 2 shown]
	v_add_u32_e32 v36, s2, v36
	v_add_co_u32_e32 v89, vcc, v111, v37
	v_ashrrev_i32_e32 v37, 31, v36
	s_lshl_b64 s[8:9], s[2:3], 4
	s_load_dword s3, s[4:5], 0x0
	v_addc_co_u32_e32 v90, vcc, v112, v38, vcc
	v_lshlrev_b64 v[37:38], 4, v[36:37]
	v_add_u32_e32 v36, s2, v36
	v_add_co_u32_e32 v91, vcc, v111, v37
	v_ashrrev_i32_e32 v37, 31, v36
	v_lshlrev_b64 v[36:37], 4, v[36:37]
	v_addc_co_u32_e32 v92, vcc, v112, v38, vcc
	s_waitcnt lgkmcnt(0)
	s_max_i32 s0, s3, 29
	v_add_co_u32_e32 v109, vcc, v111, v36
	v_mul_lo_u32 v105, s0, v1
	v_addc_co_u32_e32 v110, vcc, v112, v37, vcc
	v_add_co_u32_e32 v38, vcc, v111, v40
	v_addc_co_u32_e32 v39, vcc, 0, v112, vcc
	v_mov_b32_e32 v37, s9
	v_add_co_u32_e32 v36, vcc, s8, v38
	v_lshl_add_u32 v127, v105, 4, 0
	v_addc_co_u32_e32 v37, vcc, v39, v37, vcc
	v_add_u32_e32 v1, v127, v40
	global_load_dwordx4 v[38:41], v[38:39], off
	s_nop 0
	global_load_dwordx4 v[42:45], v[36:37], off
	s_waitcnt vmcnt(0)
	buffer_store_dword v42, off, s[24:27], 0 offset:16 ; 4-byte Folded Spill
	s_nop 0
	buffer_store_dword v43, off, s[24:27], 0 offset:20 ; 4-byte Folded Spill
	buffer_store_dword v44, off, s[24:27], 0 offset:24 ; 4-byte Folded Spill
	;; [unrolled: 1-line block ×4, first 2 shown]
	s_nop 0
	buffer_store_dword v39, off, s[24:27], 0 offset:44 ; 4-byte Folded Spill
	buffer_store_dword v40, off, s[24:27], 0 offset:48 ; 4-byte Folded Spill
	;; [unrolled: 1-line block ×3, first 2 shown]
	s_load_dwordx2 s[4:5], s[4:5], 0x40
	s_cmp_lt_i32 s3, 2
	ds_write2_b64 v1, v[38:39], v[40:41] offset1:1
	global_load_dwordx4 v[36:39], v[2:3], off
	s_waitcnt vmcnt(0)
	buffer_store_dword v36, off, s[24:27], 0 ; 4-byte Folded Spill
	s_nop 0
	buffer_store_dword v37, off, s[24:27], 0 offset:4 ; 4-byte Folded Spill
	buffer_store_dword v38, off, s[24:27], 0 offset:8 ; 4-byte Folded Spill
	;; [unrolled: 1-line block ×3, first 2 shown]
	global_load_dwordx4 v[101:104], v[4:5], off
	global_load_dwordx4 v[97:100], v[6:7], off
	global_load_dwordx4 v[93:96], v[8:9], off
	global_load_dwordx4 v[85:88], v[10:11], off
	global_load_dwordx4 v[81:84], v[12:13], off
	global_load_dwordx4 v[77:80], v[14:15], off
	global_load_dwordx4 v[73:76], v[16:17], off
	global_load_dwordx4 v[69:72], v[18:19], off
	global_load_dwordx4 v[65:68], v[20:21], off
	global_load_dwordx4 v[61:64], v[22:23], off
	global_load_dwordx4 v[57:60], v[24:25], off
	global_load_dwordx4 v[53:56], v[26:27], off
	global_load_dwordx4 v[49:52], v[28:29], off
	global_load_dwordx4 v[45:48], v[30:31], off
	global_load_dwordx4 v[41:44], v[32:33], off
	global_load_dwordx4 v[37:40], v[34:35], off
	s_nop 0
	global_load_dwordx4 v[33:36], v[113:114], off
	global_load_dwordx4 v[29:32], v[115:116], off
	;; [unrolled: 1-line block ×10, first 2 shown]
	s_waitcnt vmcnt(0) lgkmcnt(0)
	s_barrier
	ds_read2_b64 v[117:120], v127 offset1:1
	v_lshlrev_b32_e32 v109, 4, v105
	v_mov_b32_e32 v89, 0
	s_cbranch_scc1 .LBB56_6
; %bb.4:
	v_add3_u32 v90, v109, 0, 16
	s_mov_b32 s0, 1
	v_mov_b32_e32 v89, 0
.LBB56_5:                               ; =>This Inner Loop Header: Depth=1
	s_waitcnt lgkmcnt(0)
	v_cmp_gt_f64_e32 vcc, 0, v[117:118]
	v_xor_b32_e32 v91, 0x80000000, v118
	ds_read2_b64 v[105:108], v90 offset1:1
	v_xor_b32_e32 v110, 0x80000000, v120
	v_mov_b32_e32 v121, v119
	v_add_u32_e32 v90, 16, v90
	s_waitcnt lgkmcnt(0)
	v_mov_b32_e32 v123, v107
	v_cndmask_b32_e32 v92, v118, v91, vcc
	v_cmp_gt_f64_e32 vcc, 0, v[119:120]
	v_mov_b32_e32 v91, v117
	v_cndmask_b32_e32 v122, v120, v110, vcc
	v_cmp_gt_f64_e32 vcc, 0, v[105:106]
	v_xor_b32_e32 v110, 0x80000000, v106
	v_add_f64 v[91:92], v[91:92], v[121:122]
	v_mov_b32_e32 v121, v105
	v_cndmask_b32_e32 v122, v106, v110, vcc
	v_cmp_gt_f64_e32 vcc, 0, v[107:108]
	v_xor_b32_e32 v110, 0x80000000, v108
	v_cndmask_b32_e32 v124, v108, v110, vcc
	v_add_f64 v[121:122], v[121:122], v[123:124]
	v_cmp_lt_f64_e32 vcc, v[91:92], v[121:122]
	v_mov_b32_e32 v91, s0
	s_add_i32 s0, s0, 1
	s_cmp_eq_u32 s3, s0
	v_cndmask_b32_e32 v118, v118, v106, vcc
	v_cndmask_b32_e32 v117, v117, v105, vcc
	;; [unrolled: 1-line block ×5, first 2 shown]
	s_cbranch_scc0 .LBB56_5
.LBB56_6:
	s_waitcnt lgkmcnt(0)
	v_cmp_neq_f64_e32 vcc, 0, v[117:118]
	v_cmp_neq_f64_e64 s[0:1], 0, v[119:120]
	v_mov_b32_e32 v92, 1
	v_mov_b32_e32 v110, 1
	s_or_b64 s[18:19], vcc, s[0:1]
	s_and_saveexec_b64 s[0:1], s[18:19]
	s_cbranch_execz .LBB56_12
; %bb.7:
	v_cmp_ngt_f64_e64 s[18:19], |v[117:118]|, |v[119:120]|
	s_and_saveexec_b64 s[20:21], s[18:19]
	s_xor_b64 s[18:19], exec, s[20:21]
	s_cbranch_execz .LBB56_9
; %bb.8:
	v_div_scale_f64 v[90:91], s[20:21], v[119:120], v[119:120], v[117:118]
	v_rcp_f64_e32 v[105:106], v[90:91]
	v_fma_f64 v[107:108], -v[90:91], v[105:106], 1.0
	v_fma_f64 v[105:106], v[105:106], v[107:108], v[105:106]
	v_div_scale_f64 v[107:108], vcc, v[117:118], v[119:120], v[117:118]
	v_fma_f64 v[121:122], -v[90:91], v[105:106], 1.0
	v_fma_f64 v[105:106], v[105:106], v[121:122], v[105:106]
	v_mul_f64 v[121:122], v[107:108], v[105:106]
	v_fma_f64 v[90:91], -v[90:91], v[121:122], v[107:108]
	v_div_fmas_f64 v[90:91], v[90:91], v[105:106], v[121:122]
	v_div_fixup_f64 v[90:91], v[90:91], v[119:120], v[117:118]
	v_fma_f64 v[105:106], v[117:118], v[90:91], v[119:120]
	v_div_scale_f64 v[107:108], s[20:21], v[105:106], v[105:106], 1.0
	v_div_scale_f64 v[121:122], vcc, 1.0, v[105:106], 1.0
	v_rcp_f64_e32 v[117:118], v[107:108]
	v_fma_f64 v[119:120], -v[107:108], v[117:118], 1.0
	v_fma_f64 v[117:118], v[117:118], v[119:120], v[117:118]
	v_fma_f64 v[119:120], -v[107:108], v[117:118], 1.0
	v_fma_f64 v[117:118], v[117:118], v[119:120], v[117:118]
	v_mul_f64 v[119:120], v[121:122], v[117:118]
	v_fma_f64 v[107:108], -v[107:108], v[119:120], v[121:122]
	v_div_fmas_f64 v[107:108], v[107:108], v[117:118], v[119:120]
	v_div_fixup_f64 v[119:120], v[107:108], v[105:106], 1.0
	v_mul_f64 v[117:118], v[90:91], v[119:120]
	v_xor_b32_e32 v120, 0x80000000, v120
.LBB56_9:
	s_andn2_saveexec_b64 s[18:19], s[18:19]
	s_cbranch_execz .LBB56_11
; %bb.10:
	v_div_scale_f64 v[90:91], s[20:21], v[117:118], v[117:118], v[119:120]
	v_rcp_f64_e32 v[105:106], v[90:91]
	v_fma_f64 v[107:108], -v[90:91], v[105:106], 1.0
	v_fma_f64 v[105:106], v[105:106], v[107:108], v[105:106]
	v_div_scale_f64 v[107:108], vcc, v[119:120], v[117:118], v[119:120]
	v_fma_f64 v[121:122], -v[90:91], v[105:106], 1.0
	v_fma_f64 v[105:106], v[105:106], v[121:122], v[105:106]
	v_mul_f64 v[121:122], v[107:108], v[105:106]
	v_fma_f64 v[90:91], -v[90:91], v[121:122], v[107:108]
	v_div_fmas_f64 v[90:91], v[90:91], v[105:106], v[121:122]
	v_div_fixup_f64 v[90:91], v[90:91], v[117:118], v[119:120]
	v_fma_f64 v[105:106], v[119:120], v[90:91], v[117:118]
	v_div_scale_f64 v[107:108], s[20:21], v[105:106], v[105:106], 1.0
	v_div_scale_f64 v[121:122], vcc, 1.0, v[105:106], 1.0
	v_rcp_f64_e32 v[117:118], v[107:108]
	v_fma_f64 v[119:120], -v[107:108], v[117:118], 1.0
	v_fma_f64 v[117:118], v[117:118], v[119:120], v[117:118]
	v_fma_f64 v[119:120], -v[107:108], v[117:118], 1.0
	v_fma_f64 v[117:118], v[117:118], v[119:120], v[117:118]
	v_mul_f64 v[119:120], v[121:122], v[117:118]
	v_fma_f64 v[107:108], -v[107:108], v[119:120], v[121:122]
	v_div_fmas_f64 v[107:108], v[107:108], v[117:118], v[119:120]
	v_div_fixup_f64 v[117:118], v[107:108], v[105:106], 1.0
	v_mul_f64 v[119:120], v[90:91], -v[117:118]
.LBB56_11:
	s_or_b64 exec, exec, s[18:19]
	v_mov_b32_e32 v110, 0
	v_mov_b32_e32 v92, 2
.LBB56_12:
	s_or_b64 exec, exec, s[0:1]
	v_cmp_ne_u32_e32 vcc, v0, v89
	s_and_saveexec_b64 s[0:1], vcc
	s_xor_b64 s[0:1], exec, s[0:1]
	s_cbranch_execz .LBB56_18
; %bb.13:
	v_cmp_eq_u32_e32 vcc, 0, v0
	s_and_saveexec_b64 s[18:19], vcc
	s_cbranch_execz .LBB56_17
; %bb.14:
	v_cmp_ne_u32_e32 vcc, 0, v89
	s_xor_b64 s[20:21], s[6:7], -1
	s_and_b64 s[22:23], s[20:21], vcc
	s_and_saveexec_b64 s[20:21], s[22:23]
	s_cbranch_execz .LBB56_16
; %bb.15:
	buffer_load_dword v106, off, s[24:27], 0 offset:32 ; 4-byte Folded Reload
	buffer_load_dword v107, off, s[24:27], 0 offset:36 ; 4-byte Folded Reload
	v_ashrrev_i32_e32 v90, 31, v89
	v_lshlrev_b64 v[90:91], 2, v[89:90]
	s_waitcnt vmcnt(1)
	v_add_co_u32_e32 v90, vcc, v106, v90
	s_waitcnt vmcnt(0)
	v_addc_co_u32_e32 v91, vcc, v107, v91, vcc
	global_load_dword v0, v[90:91], off
	global_load_dword v105, v[106:107], off
	s_waitcnt vmcnt(1)
	global_store_dword v[106:107], v0, off
	s_waitcnt vmcnt(1)
	global_store_dword v[90:91], v105, off
.LBB56_16:
	s_or_b64 exec, exec, s[20:21]
	v_mov_b32_e32 v0, v89
.LBB56_17:
	s_or_b64 exec, exec, s[18:19]
.LBB56_18:
	s_or_saveexec_b64 s[0:1], s[0:1]
	v_mov_b32_e32 v91, v0
	s_xor_b64 exec, exec, s[0:1]
	s_cbranch_execz .LBB56_20
; %bb.19:
	buffer_load_dword v105, off, s[24:27], 0 offset:16 ; 4-byte Folded Reload
	buffer_load_dword v106, off, s[24:27], 0 offset:20 ; 4-byte Folded Reload
	;; [unrolled: 1-line block ×4, first 2 shown]
	v_mov_b32_e32 v91, 0
	s_waitcnt vmcnt(0)
	ds_write2_b64 v127, v[105:106], v[107:108] offset0:2 offset1:3
	buffer_load_dword v105, off, s[24:27], 0 ; 4-byte Folded Reload
	buffer_load_dword v106, off, s[24:27], 0 offset:4 ; 4-byte Folded Reload
	buffer_load_dword v107, off, s[24:27], 0 offset:8 ; 4-byte Folded Reload
	;; [unrolled: 1-line block ×3, first 2 shown]
	s_waitcnt vmcnt(0)
	ds_write2_b64 v127, v[105:106], v[107:108] offset0:4 offset1:5
	ds_write2_b64 v127, v[101:102], v[103:104] offset0:6 offset1:7
	;; [unrolled: 1-line block ×27, first 2 shown]
.LBB56_20:
	s_or_b64 exec, exec, s[0:1]
	v_cmp_lt_i32_e32 vcc, 0, v91
	s_waitcnt vmcnt(0) lgkmcnt(0)
	s_barrier
	s_and_saveexec_b64 s[0:1], vcc
	s_cbranch_execz .LBB56_22
; %bb.21:
	buffer_load_dword v121, off, s[24:27], 0 offset:40 ; 4-byte Folded Reload
	buffer_load_dword v122, off, s[24:27], 0 offset:44 ; 4-byte Folded Reload
	;; [unrolled: 1-line block ×4, first 2 shown]
	ds_read2_b64 v[105:108], v127 offset0:2 offset1:3
	s_waitcnt vmcnt(0)
	v_mul_f64 v[89:90], v[119:120], v[123:124]
	v_fma_f64 v[125:126], v[117:118], v[121:122], -v[89:90]
	v_mul_f64 v[89:90], v[117:118], v[123:124]
	v_fma_f64 v[123:124], v[119:120], v[121:122], v[89:90]
	buffer_load_dword v117, off, s[24:27], 0 offset:16 ; 4-byte Folded Reload
	buffer_load_dword v118, off, s[24:27], 0 offset:20 ; 4-byte Folded Reload
	;; [unrolled: 1-line block ×4, first 2 shown]
	v_mov_b32_e32 v121, v125
	v_mov_b32_e32 v122, v126
	s_waitcnt lgkmcnt(0)
	v_mul_f64 v[89:90], v[107:108], v[123:124]
	v_fma_f64 v[89:90], v[105:106], v[125:126], -v[89:90]
	v_mul_f64 v[105:106], v[105:106], v[123:124]
	v_fma_f64 v[105:106], v[107:108], v[125:126], v[105:106]
	s_waitcnt vmcnt(2)
	v_add_f64 v[117:118], v[117:118], -v[89:90]
	s_waitcnt vmcnt(0)
	v_add_f64 v[119:120], v[119:120], -v[105:106]
	buffer_store_dword v117, off, s[24:27], 0 offset:16 ; 4-byte Folded Spill
	s_nop 0
	buffer_store_dword v118, off, s[24:27], 0 offset:20 ; 4-byte Folded Spill
	buffer_store_dword v119, off, s[24:27], 0 offset:24 ; 4-byte Folded Spill
	;; [unrolled: 1-line block ×3, first 2 shown]
	ds_read2_b64 v[105:108], v127 offset0:4 offset1:5
	buffer_load_dword v117, off, s[24:27], 0 ; 4-byte Folded Reload
	buffer_load_dword v118, off, s[24:27], 0 offset:4 ; 4-byte Folded Reload
	buffer_load_dword v119, off, s[24:27], 0 offset:8 ; 4-byte Folded Reload
	;; [unrolled: 1-line block ×3, first 2 shown]
	s_waitcnt lgkmcnt(0)
	v_mul_f64 v[89:90], v[107:108], v[123:124]
	v_fma_f64 v[89:90], v[105:106], v[125:126], -v[89:90]
	v_mul_f64 v[105:106], v[105:106], v[123:124]
	v_fma_f64 v[105:106], v[107:108], v[125:126], v[105:106]
	s_waitcnt vmcnt(2)
	v_add_f64 v[117:118], v[117:118], -v[89:90]
	s_waitcnt vmcnt(0)
	v_add_f64 v[119:120], v[119:120], -v[105:106]
	buffer_store_dword v117, off, s[24:27], 0 ; 4-byte Folded Spill
	s_nop 0
	buffer_store_dword v118, off, s[24:27], 0 offset:4 ; 4-byte Folded Spill
	buffer_store_dword v119, off, s[24:27], 0 offset:8 ; 4-byte Folded Spill
	;; [unrolled: 1-line block ×3, first 2 shown]
	ds_read2_b64 v[105:108], v127 offset0:6 offset1:7
	s_waitcnt lgkmcnt(0)
	v_mul_f64 v[89:90], v[107:108], v[123:124]
	v_fma_f64 v[89:90], v[105:106], v[125:126], -v[89:90]
	v_mul_f64 v[105:106], v[105:106], v[123:124]
	v_add_f64 v[101:102], v[101:102], -v[89:90]
	v_fma_f64 v[105:106], v[107:108], v[125:126], v[105:106]
	v_add_f64 v[103:104], v[103:104], -v[105:106]
	ds_read2_b64 v[105:108], v127 offset0:8 offset1:9
	s_waitcnt lgkmcnt(0)
	v_mul_f64 v[89:90], v[107:108], v[123:124]
	v_fma_f64 v[89:90], v[105:106], v[125:126], -v[89:90]
	v_mul_f64 v[105:106], v[105:106], v[123:124]
	v_add_f64 v[97:98], v[97:98], -v[89:90]
	v_fma_f64 v[105:106], v[107:108], v[125:126], v[105:106]
	v_add_f64 v[99:100], v[99:100], -v[105:106]
	;; [unrolled: 8-line block ×25, first 2 shown]
	ds_read2_b64 v[105:108], v127 offset0:56 offset1:57
	s_waitcnt lgkmcnt(0)
	v_mul_f64 v[89:90], v[107:108], v[123:124]
	v_fma_f64 v[89:90], v[105:106], v[125:126], -v[89:90]
	v_mul_f64 v[105:106], v[105:106], v[123:124]
	buffer_store_dword v121, off, s[24:27], 0 offset:40 ; 4-byte Folded Spill
	s_nop 0
	buffer_store_dword v122, off, s[24:27], 0 offset:44 ; 4-byte Folded Spill
	buffer_store_dword v123, off, s[24:27], 0 offset:48 ; 4-byte Folded Spill
	;; [unrolled: 1-line block ×3, first 2 shown]
	v_add_f64 v[113:114], v[113:114], -v[89:90]
	v_fma_f64 v[105:106], v[107:108], v[125:126], v[105:106]
	v_add_f64 v[115:116], v[115:116], -v[105:106]
.LBB56_22:
	s_or_b64 exec, exec, s[0:1]
	s_waitcnt vmcnt(0)
	s_barrier
	buffer_load_dword v105, off, s[24:27], 0 offset:16 ; 4-byte Folded Reload
	buffer_load_dword v106, off, s[24:27], 0 offset:20 ; 4-byte Folded Reload
	;; [unrolled: 1-line block ×4, first 2 shown]
	v_lshl_add_u32 v89, v91, 4, v127
	s_cmp_lt_i32 s3, 3
	s_waitcnt vmcnt(0)
	ds_write2_b64 v89, v[105:106], v[107:108] offset1:1
	s_waitcnt lgkmcnt(0)
	s_barrier
	ds_read2_b64 v[117:120], v127 offset0:2 offset1:3
	v_mov_b32_e32 v89, 1
	s_cbranch_scc1 .LBB56_25
; %bb.23:
	v_add3_u32 v90, v109, 0, 32
	s_mov_b32 s0, 2
	v_mov_b32_e32 v89, 1
.LBB56_24:                              ; =>This Inner Loop Header: Depth=1
	s_waitcnt lgkmcnt(0)
	v_cmp_gt_f64_e32 vcc, 0, v[117:118]
	v_xor_b32_e32 v121, 0x80000000, v118
	ds_read2_b64 v[105:108], v90 offset1:1
	v_xor_b32_e32 v123, 0x80000000, v120
	v_add_u32_e32 v90, 16, v90
	s_waitcnt lgkmcnt(0)
	v_xor_b32_e32 v125, 0x80000000, v108
	v_cndmask_b32_e32 v122, v118, v121, vcc
	v_cmp_gt_f64_e32 vcc, 0, v[119:120]
	v_mov_b32_e32 v121, v117
	v_cndmask_b32_e32 v124, v120, v123, vcc
	v_cmp_gt_f64_e32 vcc, 0, v[105:106]
	v_mov_b32_e32 v123, v119
	v_add_f64 v[121:122], v[121:122], v[123:124]
	v_xor_b32_e32 v123, 0x80000000, v106
	v_cndmask_b32_e32 v124, v106, v123, vcc
	v_cmp_gt_f64_e32 vcc, 0, v[107:108]
	v_mov_b32_e32 v123, v105
	v_cndmask_b32_e32 v126, v108, v125, vcc
	v_mov_b32_e32 v125, v107
	v_add_f64 v[123:124], v[123:124], v[125:126]
	v_cmp_lt_f64_e32 vcc, v[121:122], v[123:124]
	v_cndmask_b32_e32 v117, v117, v105, vcc
	v_mov_b32_e32 v105, s0
	s_add_i32 s0, s0, 1
	v_cndmask_b32_e32 v118, v118, v106, vcc
	v_cndmask_b32_e32 v120, v120, v108, vcc
	v_cndmask_b32_e32 v119, v119, v107, vcc
	v_cndmask_b32_e32 v89, v89, v105, vcc
	s_cmp_lg_u32 s3, s0
	s_cbranch_scc1 .LBB56_24
.LBB56_25:
	s_waitcnt lgkmcnt(0)
	v_cmp_neq_f64_e32 vcc, 0, v[117:118]
	v_cmp_neq_f64_e64 s[0:1], 0, v[119:120]
	s_or_b64 s[18:19], vcc, s[0:1]
	s_and_saveexec_b64 s[0:1], s[18:19]
	s_cbranch_execz .LBB56_31
; %bb.26:
	v_cmp_ngt_f64_e64 s[18:19], |v[117:118]|, |v[119:120]|
	s_and_saveexec_b64 s[20:21], s[18:19]
	s_xor_b64 s[18:19], exec, s[20:21]
	s_cbranch_execz .LBB56_28
; %bb.27:
	v_div_scale_f64 v[105:106], s[20:21], v[119:120], v[119:120], v[117:118]
	v_rcp_f64_e32 v[107:108], v[105:106]
	v_fma_f64 v[121:122], -v[105:106], v[107:108], 1.0
	v_fma_f64 v[107:108], v[107:108], v[121:122], v[107:108]
	v_div_scale_f64 v[121:122], vcc, v[117:118], v[119:120], v[117:118]
	v_fma_f64 v[123:124], -v[105:106], v[107:108], 1.0
	v_fma_f64 v[107:108], v[107:108], v[123:124], v[107:108]
	v_mul_f64 v[123:124], v[121:122], v[107:108]
	v_fma_f64 v[105:106], -v[105:106], v[123:124], v[121:122]
	v_div_fmas_f64 v[105:106], v[105:106], v[107:108], v[123:124]
	v_div_fixup_f64 v[105:106], v[105:106], v[119:120], v[117:118]
	v_fma_f64 v[107:108], v[117:118], v[105:106], v[119:120]
	v_div_scale_f64 v[117:118], s[20:21], v[107:108], v[107:108], 1.0
	v_div_scale_f64 v[123:124], vcc, 1.0, v[107:108], 1.0
	v_rcp_f64_e32 v[119:120], v[117:118]
	v_fma_f64 v[121:122], -v[117:118], v[119:120], 1.0
	v_fma_f64 v[119:120], v[119:120], v[121:122], v[119:120]
	v_fma_f64 v[121:122], -v[117:118], v[119:120], 1.0
	v_fma_f64 v[119:120], v[119:120], v[121:122], v[119:120]
	v_mul_f64 v[121:122], v[123:124], v[119:120]
	v_fma_f64 v[117:118], -v[117:118], v[121:122], v[123:124]
	v_div_fmas_f64 v[117:118], v[117:118], v[119:120], v[121:122]
	v_div_fixup_f64 v[119:120], v[117:118], v[107:108], 1.0
	v_mul_f64 v[117:118], v[105:106], v[119:120]
	v_xor_b32_e32 v120, 0x80000000, v120
.LBB56_28:
	s_andn2_saveexec_b64 s[18:19], s[18:19]
	s_cbranch_execz .LBB56_30
; %bb.29:
	v_div_scale_f64 v[105:106], s[20:21], v[117:118], v[117:118], v[119:120]
	v_rcp_f64_e32 v[107:108], v[105:106]
	v_fma_f64 v[121:122], -v[105:106], v[107:108], 1.0
	v_fma_f64 v[107:108], v[107:108], v[121:122], v[107:108]
	v_div_scale_f64 v[121:122], vcc, v[119:120], v[117:118], v[119:120]
	v_fma_f64 v[123:124], -v[105:106], v[107:108], 1.0
	v_fma_f64 v[107:108], v[107:108], v[123:124], v[107:108]
	v_mul_f64 v[123:124], v[121:122], v[107:108]
	v_fma_f64 v[105:106], -v[105:106], v[123:124], v[121:122]
	v_div_fmas_f64 v[105:106], v[105:106], v[107:108], v[123:124]
	v_div_fixup_f64 v[105:106], v[105:106], v[117:118], v[119:120]
	v_fma_f64 v[107:108], v[119:120], v[105:106], v[117:118]
	v_div_scale_f64 v[117:118], s[20:21], v[107:108], v[107:108], 1.0
	v_div_scale_f64 v[123:124], vcc, 1.0, v[107:108], 1.0
	v_rcp_f64_e32 v[119:120], v[117:118]
	v_fma_f64 v[121:122], -v[117:118], v[119:120], 1.0
	v_fma_f64 v[119:120], v[119:120], v[121:122], v[119:120]
	v_fma_f64 v[121:122], -v[117:118], v[119:120], 1.0
	v_fma_f64 v[119:120], v[119:120], v[121:122], v[119:120]
	v_mul_f64 v[121:122], v[123:124], v[119:120]
	v_fma_f64 v[117:118], -v[117:118], v[121:122], v[123:124]
	v_div_fmas_f64 v[117:118], v[117:118], v[119:120], v[121:122]
	v_div_fixup_f64 v[117:118], v[117:118], v[107:108], 1.0
	v_mul_f64 v[119:120], v[105:106], -v[117:118]
.LBB56_30:
	s_or_b64 exec, exec, s[18:19]
	v_mov_b32_e32 v92, v110
.LBB56_31:
	s_or_b64 exec, exec, s[0:1]
	v_cmp_ne_u32_e32 vcc, v91, v89
	s_and_saveexec_b64 s[0:1], vcc
	s_xor_b64 s[0:1], exec, s[0:1]
	s_cbranch_execz .LBB56_37
; %bb.32:
	v_cmp_eq_u32_e32 vcc, 1, v91
	s_and_saveexec_b64 s[18:19], vcc
	s_cbranch_execz .LBB56_36
; %bb.33:
	v_cmp_ne_u32_e32 vcc, 1, v89
	s_xor_b64 s[20:21], s[6:7], -1
	s_and_b64 s[22:23], s[20:21], vcc
	s_and_saveexec_b64 s[20:21], s[22:23]
	s_cbranch_execz .LBB56_35
; %bb.34:
	buffer_load_dword v106, off, s[24:27], 0 offset:32 ; 4-byte Folded Reload
	buffer_load_dword v107, off, s[24:27], 0 offset:36 ; 4-byte Folded Reload
	v_ashrrev_i32_e32 v90, 31, v89
	v_lshlrev_b64 v[90:91], 2, v[89:90]
	s_waitcnt vmcnt(1)
	v_add_co_u32_e32 v90, vcc, v106, v90
	s_waitcnt vmcnt(0)
	v_addc_co_u32_e32 v91, vcc, v107, v91, vcc
	global_load_dword v0, v[90:91], off
	global_load_dword v105, v[106:107], off offset:4
	s_waitcnt vmcnt(1)
	global_store_dword v[106:107], v0, off offset:4
	s_waitcnt vmcnt(1)
	global_store_dword v[90:91], v105, off
.LBB56_35:
	s_or_b64 exec, exec, s[20:21]
	v_mov_b32_e32 v91, v89
	v_mov_b32_e32 v0, v89
.LBB56_36:
	s_or_b64 exec, exec, s[18:19]
.LBB56_37:
	s_andn2_saveexec_b64 s[0:1], s[0:1]
	s_cbranch_execz .LBB56_39
; %bb.38:
	buffer_load_dword v105, off, s[24:27], 0 ; 4-byte Folded Reload
	buffer_load_dword v106, off, s[24:27], 0 offset:4 ; 4-byte Folded Reload
	buffer_load_dword v107, off, s[24:27], 0 offset:8 ; 4-byte Folded Reload
	;; [unrolled: 1-line block ×3, first 2 shown]
	v_mov_b32_e32 v91, 1
	s_waitcnt vmcnt(0)
	ds_write2_b64 v127, v[105:106], v[107:108] offset0:4 offset1:5
	ds_write2_b64 v127, v[101:102], v[103:104] offset0:6 offset1:7
	;; [unrolled: 1-line block ×27, first 2 shown]
.LBB56_39:
	s_or_b64 exec, exec, s[0:1]
	v_cmp_lt_i32_e32 vcc, 1, v91
	s_waitcnt vmcnt(0) lgkmcnt(0)
	s_barrier
	s_and_saveexec_b64 s[0:1], vcc
	s_cbranch_execz .LBB56_41
; %bb.40:
	buffer_load_dword v121, off, s[24:27], 0 offset:16 ; 4-byte Folded Reload
	buffer_load_dword v122, off, s[24:27], 0 offset:20 ; 4-byte Folded Reload
	;; [unrolled: 1-line block ×4, first 2 shown]
	ds_read2_b64 v[105:108], v127 offset0:4 offset1:5
	s_waitcnt vmcnt(0)
	v_mul_f64 v[89:90], v[119:120], v[123:124]
	v_fma_f64 v[125:126], v[117:118], v[121:122], -v[89:90]
	v_mul_f64 v[89:90], v[117:118], v[123:124]
	v_fma_f64 v[123:124], v[119:120], v[121:122], v[89:90]
	buffer_load_dword v117, off, s[24:27], 0 ; 4-byte Folded Reload
	buffer_load_dword v118, off, s[24:27], 0 offset:4 ; 4-byte Folded Reload
	buffer_load_dword v119, off, s[24:27], 0 offset:8 ; 4-byte Folded Reload
	;; [unrolled: 1-line block ×3, first 2 shown]
	v_mov_b32_e32 v121, v125
	v_mov_b32_e32 v122, v126
	s_waitcnt lgkmcnt(0)
	v_mul_f64 v[89:90], v[107:108], v[123:124]
	v_fma_f64 v[89:90], v[105:106], v[125:126], -v[89:90]
	v_mul_f64 v[105:106], v[105:106], v[123:124]
	v_fma_f64 v[105:106], v[107:108], v[125:126], v[105:106]
	s_waitcnt vmcnt(2)
	v_add_f64 v[117:118], v[117:118], -v[89:90]
	s_waitcnt vmcnt(0)
	v_add_f64 v[119:120], v[119:120], -v[105:106]
	buffer_store_dword v117, off, s[24:27], 0 ; 4-byte Folded Spill
	s_nop 0
	buffer_store_dword v118, off, s[24:27], 0 offset:4 ; 4-byte Folded Spill
	buffer_store_dword v119, off, s[24:27], 0 offset:8 ; 4-byte Folded Spill
	;; [unrolled: 1-line block ×3, first 2 shown]
	ds_read2_b64 v[105:108], v127 offset0:6 offset1:7
	s_waitcnt lgkmcnt(0)
	v_mul_f64 v[89:90], v[107:108], v[123:124]
	v_fma_f64 v[89:90], v[105:106], v[125:126], -v[89:90]
	v_mul_f64 v[105:106], v[105:106], v[123:124]
	v_add_f64 v[101:102], v[101:102], -v[89:90]
	v_fma_f64 v[105:106], v[107:108], v[125:126], v[105:106]
	v_add_f64 v[103:104], v[103:104], -v[105:106]
	ds_read2_b64 v[105:108], v127 offset0:8 offset1:9
	s_waitcnt lgkmcnt(0)
	v_mul_f64 v[89:90], v[107:108], v[123:124]
	v_fma_f64 v[89:90], v[105:106], v[125:126], -v[89:90]
	v_mul_f64 v[105:106], v[105:106], v[123:124]
	v_add_f64 v[97:98], v[97:98], -v[89:90]
	v_fma_f64 v[105:106], v[107:108], v[125:126], v[105:106]
	v_add_f64 v[99:100], v[99:100], -v[105:106]
	;; [unrolled: 8-line block ×25, first 2 shown]
	ds_read2_b64 v[105:108], v127 offset0:56 offset1:57
	s_waitcnt lgkmcnt(0)
	v_mul_f64 v[89:90], v[107:108], v[123:124]
	v_fma_f64 v[89:90], v[105:106], v[125:126], -v[89:90]
	v_mul_f64 v[105:106], v[105:106], v[123:124]
	buffer_store_dword v121, off, s[24:27], 0 offset:16 ; 4-byte Folded Spill
	s_nop 0
	buffer_store_dword v122, off, s[24:27], 0 offset:20 ; 4-byte Folded Spill
	buffer_store_dword v123, off, s[24:27], 0 offset:24 ; 4-byte Folded Spill
	;; [unrolled: 1-line block ×3, first 2 shown]
	v_add_f64 v[113:114], v[113:114], -v[89:90]
	v_fma_f64 v[105:106], v[107:108], v[125:126], v[105:106]
	v_add_f64 v[115:116], v[115:116], -v[105:106]
.LBB56_41:
	s_or_b64 exec, exec, s[0:1]
	s_waitcnt vmcnt(0)
	s_barrier
	buffer_load_dword v105, off, s[24:27], 0 ; 4-byte Folded Reload
	buffer_load_dword v106, off, s[24:27], 0 offset:4 ; 4-byte Folded Reload
	buffer_load_dword v107, off, s[24:27], 0 offset:8 ; 4-byte Folded Reload
	;; [unrolled: 1-line block ×3, first 2 shown]
	v_lshl_add_u32 v89, v91, 4, v127
	s_cmp_lt_i32 s3, 4
	s_waitcnt vmcnt(0)
	ds_write2_b64 v89, v[105:106], v[107:108] offset1:1
	s_waitcnt lgkmcnt(0)
	s_barrier
	ds_read2_b64 v[117:120], v127 offset0:4 offset1:5
	v_mov_b32_e32 v89, 2
	s_cbranch_scc1 .LBB56_44
; %bb.42:
	v_add3_u32 v90, v109, 0, 48
	s_mov_b32 s0, 3
	v_mov_b32_e32 v89, 2
.LBB56_43:                              ; =>This Inner Loop Header: Depth=1
	s_waitcnt lgkmcnt(0)
	v_cmp_gt_f64_e32 vcc, 0, v[117:118]
	v_xor_b32_e32 v110, 0x80000000, v118
	ds_read2_b64 v[105:108], v90 offset1:1
	v_mov_b32_e32 v121, v117
	v_mov_b32_e32 v123, v119
	v_add_u32_e32 v90, 16, v90
	s_waitcnt lgkmcnt(0)
	v_mov_b32_e32 v125, v107
	v_cndmask_b32_e32 v122, v118, v110, vcc
	v_cmp_gt_f64_e32 vcc, 0, v[119:120]
	v_xor_b32_e32 v110, 0x80000000, v120
	v_cndmask_b32_e32 v124, v120, v110, vcc
	v_cmp_gt_f64_e32 vcc, 0, v[105:106]
	v_xor_b32_e32 v110, 0x80000000, v106
	v_add_f64 v[121:122], v[121:122], v[123:124]
	v_mov_b32_e32 v123, v105
	v_cndmask_b32_e32 v124, v106, v110, vcc
	v_cmp_gt_f64_e32 vcc, 0, v[107:108]
	v_xor_b32_e32 v110, 0x80000000, v108
	v_cndmask_b32_e32 v126, v108, v110, vcc
	v_add_f64 v[123:124], v[123:124], v[125:126]
	v_cmp_lt_f64_e32 vcc, v[121:122], v[123:124]
	v_cndmask_b32_e32 v117, v117, v105, vcc
	v_mov_b32_e32 v105, s0
	s_add_i32 s0, s0, 1
	v_cndmask_b32_e32 v118, v118, v106, vcc
	v_cndmask_b32_e32 v120, v120, v108, vcc
	;; [unrolled: 1-line block ×4, first 2 shown]
	s_cmp_lg_u32 s3, s0
	s_cbranch_scc1 .LBB56_43
.LBB56_44:
	s_waitcnt lgkmcnt(0)
	v_cmp_eq_f64_e32 vcc, 0, v[117:118]
	v_cmp_eq_f64_e64 s[0:1], 0, v[119:120]
	s_and_b64 s[0:1], vcc, s[0:1]
	s_and_saveexec_b64 s[18:19], s[0:1]
	s_xor_b64 s[0:1], exec, s[18:19]
; %bb.45:
	v_cmp_ne_u32_e32 vcc, 0, v92
	v_cndmask_b32_e32 v92, 3, v92, vcc
; %bb.46:
	s_andn2_saveexec_b64 s[0:1], s[0:1]
	s_cbranch_execz .LBB56_52
; %bb.47:
	v_cmp_ngt_f64_e64 s[18:19], |v[117:118]|, |v[119:120]|
	s_and_saveexec_b64 s[20:21], s[18:19]
	s_xor_b64 s[18:19], exec, s[20:21]
	s_cbranch_execz .LBB56_49
; %bb.48:
	v_div_scale_f64 v[105:106], s[20:21], v[119:120], v[119:120], v[117:118]
	v_rcp_f64_e32 v[107:108], v[105:106]
	v_fma_f64 v[121:122], -v[105:106], v[107:108], 1.0
	v_fma_f64 v[107:108], v[107:108], v[121:122], v[107:108]
	v_div_scale_f64 v[121:122], vcc, v[117:118], v[119:120], v[117:118]
	v_fma_f64 v[123:124], -v[105:106], v[107:108], 1.0
	v_fma_f64 v[107:108], v[107:108], v[123:124], v[107:108]
	v_mul_f64 v[123:124], v[121:122], v[107:108]
	v_fma_f64 v[105:106], -v[105:106], v[123:124], v[121:122]
	v_div_fmas_f64 v[105:106], v[105:106], v[107:108], v[123:124]
	v_div_fixup_f64 v[105:106], v[105:106], v[119:120], v[117:118]
	v_fma_f64 v[107:108], v[117:118], v[105:106], v[119:120]
	v_div_scale_f64 v[117:118], s[20:21], v[107:108], v[107:108], 1.0
	v_div_scale_f64 v[123:124], vcc, 1.0, v[107:108], 1.0
	v_rcp_f64_e32 v[119:120], v[117:118]
	v_fma_f64 v[121:122], -v[117:118], v[119:120], 1.0
	v_fma_f64 v[119:120], v[119:120], v[121:122], v[119:120]
	v_fma_f64 v[121:122], -v[117:118], v[119:120], 1.0
	v_fma_f64 v[119:120], v[119:120], v[121:122], v[119:120]
	v_mul_f64 v[121:122], v[123:124], v[119:120]
	v_fma_f64 v[117:118], -v[117:118], v[121:122], v[123:124]
	v_div_fmas_f64 v[117:118], v[117:118], v[119:120], v[121:122]
	v_div_fixup_f64 v[119:120], v[117:118], v[107:108], 1.0
	v_mul_f64 v[117:118], v[105:106], v[119:120]
	v_xor_b32_e32 v120, 0x80000000, v120
.LBB56_49:
	s_andn2_saveexec_b64 s[18:19], s[18:19]
	s_cbranch_execz .LBB56_51
; %bb.50:
	v_div_scale_f64 v[105:106], s[20:21], v[117:118], v[117:118], v[119:120]
	v_rcp_f64_e32 v[107:108], v[105:106]
	v_fma_f64 v[121:122], -v[105:106], v[107:108], 1.0
	v_fma_f64 v[107:108], v[107:108], v[121:122], v[107:108]
	v_div_scale_f64 v[121:122], vcc, v[119:120], v[117:118], v[119:120]
	v_fma_f64 v[123:124], -v[105:106], v[107:108], 1.0
	v_fma_f64 v[107:108], v[107:108], v[123:124], v[107:108]
	v_mul_f64 v[123:124], v[121:122], v[107:108]
	v_fma_f64 v[105:106], -v[105:106], v[123:124], v[121:122]
	v_div_fmas_f64 v[105:106], v[105:106], v[107:108], v[123:124]
	v_div_fixup_f64 v[105:106], v[105:106], v[117:118], v[119:120]
	v_fma_f64 v[107:108], v[119:120], v[105:106], v[117:118]
	v_div_scale_f64 v[117:118], s[20:21], v[107:108], v[107:108], 1.0
	v_div_scale_f64 v[123:124], vcc, 1.0, v[107:108], 1.0
	v_rcp_f64_e32 v[119:120], v[117:118]
	v_fma_f64 v[121:122], -v[117:118], v[119:120], 1.0
	v_fma_f64 v[119:120], v[119:120], v[121:122], v[119:120]
	v_fma_f64 v[121:122], -v[117:118], v[119:120], 1.0
	v_fma_f64 v[119:120], v[119:120], v[121:122], v[119:120]
	v_mul_f64 v[121:122], v[123:124], v[119:120]
	v_fma_f64 v[117:118], -v[117:118], v[121:122], v[123:124]
	v_div_fmas_f64 v[117:118], v[117:118], v[119:120], v[121:122]
	v_div_fixup_f64 v[117:118], v[117:118], v[107:108], 1.0
	v_mul_f64 v[119:120], v[105:106], -v[117:118]
.LBB56_51:
	s_or_b64 exec, exec, s[18:19]
.LBB56_52:
	s_or_b64 exec, exec, s[0:1]
	v_cmp_ne_u32_e32 vcc, v91, v89
	s_and_saveexec_b64 s[0:1], vcc
	s_xor_b64 s[0:1], exec, s[0:1]
	s_cbranch_execz .LBB56_58
; %bb.53:
	v_cmp_eq_u32_e32 vcc, 2, v91
	s_and_saveexec_b64 s[18:19], vcc
	s_cbranch_execz .LBB56_57
; %bb.54:
	v_cmp_ne_u32_e32 vcc, 2, v89
	s_xor_b64 s[20:21], s[6:7], -1
	s_and_b64 s[22:23], s[20:21], vcc
	s_and_saveexec_b64 s[20:21], s[22:23]
	s_cbranch_execz .LBB56_56
; %bb.55:
	buffer_load_dword v106, off, s[24:27], 0 offset:32 ; 4-byte Folded Reload
	buffer_load_dword v107, off, s[24:27], 0 offset:36 ; 4-byte Folded Reload
	v_ashrrev_i32_e32 v90, 31, v89
	v_lshlrev_b64 v[90:91], 2, v[89:90]
	s_waitcnt vmcnt(1)
	v_add_co_u32_e32 v90, vcc, v106, v90
	s_waitcnt vmcnt(0)
	v_addc_co_u32_e32 v91, vcc, v107, v91, vcc
	global_load_dword v0, v[90:91], off
	global_load_dword v105, v[106:107], off offset:8
	s_waitcnt vmcnt(1)
	global_store_dword v[106:107], v0, off offset:8
	s_waitcnt vmcnt(1)
	global_store_dword v[90:91], v105, off
.LBB56_56:
	s_or_b64 exec, exec, s[20:21]
	v_mov_b32_e32 v91, v89
	v_mov_b32_e32 v0, v89
.LBB56_57:
	s_or_b64 exec, exec, s[18:19]
.LBB56_58:
	s_andn2_saveexec_b64 s[0:1], s[0:1]
	s_cbranch_execz .LBB56_60
; %bb.59:
	v_mov_b32_e32 v91, 2
	ds_write2_b64 v127, v[101:102], v[103:104] offset0:6 offset1:7
	ds_write2_b64 v127, v[97:98], v[99:100] offset0:8 offset1:9
	;; [unrolled: 1-line block ×26, first 2 shown]
.LBB56_60:
	s_or_b64 exec, exec, s[0:1]
	v_cmp_lt_i32_e32 vcc, 2, v91
	s_waitcnt vmcnt(0) lgkmcnt(0)
	s_barrier
	s_and_saveexec_b64 s[0:1], vcc
	s_cbranch_execz .LBB56_62
; %bb.61:
	buffer_load_dword v121, off, s[24:27], 0 ; 4-byte Folded Reload
	buffer_load_dword v122, off, s[24:27], 0 offset:4 ; 4-byte Folded Reload
	buffer_load_dword v123, off, s[24:27], 0 offset:8 ; 4-byte Folded Reload
	;; [unrolled: 1-line block ×3, first 2 shown]
	ds_read2_b64 v[105:108], v127 offset0:6 offset1:7
	s_waitcnt vmcnt(0)
	v_mul_f64 v[89:90], v[119:120], v[123:124]
	v_fma_f64 v[125:126], v[117:118], v[121:122], -v[89:90]
	v_mul_f64 v[89:90], v[117:118], v[123:124]
	v_fma_f64 v[123:124], v[119:120], v[121:122], v[89:90]
	v_mov_b32_e32 v121, v125
	v_mov_b32_e32 v122, v126
	s_waitcnt lgkmcnt(0)
	v_mul_f64 v[89:90], v[107:108], v[123:124]
	v_fma_f64 v[89:90], v[105:106], v[125:126], -v[89:90]
	v_mul_f64 v[105:106], v[105:106], v[123:124]
	v_add_f64 v[101:102], v[101:102], -v[89:90]
	v_fma_f64 v[105:106], v[107:108], v[125:126], v[105:106]
	v_add_f64 v[103:104], v[103:104], -v[105:106]
	ds_read2_b64 v[105:108], v127 offset0:8 offset1:9
	s_waitcnt lgkmcnt(0)
	v_mul_f64 v[89:90], v[107:108], v[123:124]
	v_fma_f64 v[89:90], v[105:106], v[125:126], -v[89:90]
	v_mul_f64 v[105:106], v[105:106], v[123:124]
	v_add_f64 v[97:98], v[97:98], -v[89:90]
	v_fma_f64 v[105:106], v[107:108], v[125:126], v[105:106]
	v_add_f64 v[99:100], v[99:100], -v[105:106]
	ds_read2_b64 v[105:108], v127 offset0:10 offset1:11
	;; [unrolled: 8-line block ×25, first 2 shown]
	s_waitcnt lgkmcnt(0)
	v_mul_f64 v[89:90], v[107:108], v[123:124]
	v_fma_f64 v[89:90], v[105:106], v[125:126], -v[89:90]
	v_mul_f64 v[105:106], v[105:106], v[123:124]
	buffer_store_dword v121, off, s[24:27], 0 ; 4-byte Folded Spill
	s_nop 0
	buffer_store_dword v122, off, s[24:27], 0 offset:4 ; 4-byte Folded Spill
	buffer_store_dword v123, off, s[24:27], 0 offset:8 ; 4-byte Folded Spill
	;; [unrolled: 1-line block ×3, first 2 shown]
	v_add_f64 v[113:114], v[113:114], -v[89:90]
	v_fma_f64 v[105:106], v[107:108], v[125:126], v[105:106]
	v_add_f64 v[115:116], v[115:116], -v[105:106]
.LBB56_62:
	s_or_b64 exec, exec, s[0:1]
	v_lshl_add_u32 v89, v91, 4, v127
	s_waitcnt vmcnt(0)
	s_barrier
	ds_write2_b64 v89, v[101:102], v[103:104] offset1:1
	s_waitcnt lgkmcnt(0)
	s_barrier
	ds_read2_b64 v[117:120], v127 offset0:6 offset1:7
	s_mov_b32 s0, 4
	s_cmp_lt_i32 s3, 5
	v_mov_b32_e32 v89, 3
	s_cbranch_scc1 .LBB56_65
; %bb.63:
	v_add3_u32 v90, v109, 0, 64
	v_mov_b32_e32 v89, 3
.LBB56_64:                              ; =>This Inner Loop Header: Depth=1
	s_waitcnt lgkmcnt(0)
	v_cmp_gt_f64_e32 vcc, 0, v[117:118]
	v_xor_b32_e32 v109, 0x80000000, v118
	ds_read2_b64 v[105:108], v90 offset1:1
	v_xor_b32_e32 v121, 0x80000000, v120
	v_add_u32_e32 v90, 16, v90
	s_waitcnt lgkmcnt(0)
	v_xor_b32_e32 v123, 0x80000000, v108
	v_cndmask_b32_e32 v110, v118, v109, vcc
	v_cmp_gt_f64_e32 vcc, 0, v[119:120]
	v_mov_b32_e32 v109, v117
	v_cndmask_b32_e32 v122, v120, v121, vcc
	v_cmp_gt_f64_e32 vcc, 0, v[105:106]
	v_mov_b32_e32 v121, v119
	v_add_f64 v[109:110], v[109:110], v[121:122]
	v_xor_b32_e32 v121, 0x80000000, v106
	v_cndmask_b32_e32 v122, v106, v121, vcc
	v_cmp_gt_f64_e32 vcc, 0, v[107:108]
	v_mov_b32_e32 v121, v105
	v_cndmask_b32_e32 v124, v108, v123, vcc
	v_mov_b32_e32 v123, v107
	v_add_f64 v[121:122], v[121:122], v[123:124]
	v_cmp_lt_f64_e32 vcc, v[109:110], v[121:122]
	v_cndmask_b32_e32 v117, v117, v105, vcc
	v_mov_b32_e32 v105, s0
	s_add_i32 s0, s0, 1
	v_cndmask_b32_e32 v118, v118, v106, vcc
	v_cndmask_b32_e32 v120, v120, v108, vcc
	;; [unrolled: 1-line block ×4, first 2 shown]
	s_cmp_lg_u32 s3, s0
	s_cbranch_scc1 .LBB56_64
.LBB56_65:
	s_waitcnt lgkmcnt(0)
	v_cmp_eq_f64_e32 vcc, 0, v[117:118]
	v_cmp_eq_f64_e64 s[0:1], 0, v[119:120]
	s_and_b64 s[0:1], vcc, s[0:1]
	s_and_saveexec_b64 s[18:19], s[0:1]
	s_xor_b64 s[0:1], exec, s[18:19]
; %bb.66:
	v_cmp_ne_u32_e32 vcc, 0, v92
	v_cndmask_b32_e32 v92, 4, v92, vcc
; %bb.67:
	s_andn2_saveexec_b64 s[0:1], s[0:1]
	s_cbranch_execz .LBB56_73
; %bb.68:
	v_cmp_ngt_f64_e64 s[18:19], |v[117:118]|, |v[119:120]|
	s_and_saveexec_b64 s[20:21], s[18:19]
	s_xor_b64 s[18:19], exec, s[20:21]
	s_cbranch_execz .LBB56_70
; %bb.69:
	v_div_scale_f64 v[105:106], s[20:21], v[119:120], v[119:120], v[117:118]
	v_rcp_f64_e32 v[107:108], v[105:106]
	v_fma_f64 v[109:110], -v[105:106], v[107:108], 1.0
	v_fma_f64 v[107:108], v[107:108], v[109:110], v[107:108]
	v_div_scale_f64 v[109:110], vcc, v[117:118], v[119:120], v[117:118]
	v_fma_f64 v[121:122], -v[105:106], v[107:108], 1.0
	v_fma_f64 v[107:108], v[107:108], v[121:122], v[107:108]
	v_mul_f64 v[121:122], v[109:110], v[107:108]
	v_fma_f64 v[105:106], -v[105:106], v[121:122], v[109:110]
	v_div_fmas_f64 v[105:106], v[105:106], v[107:108], v[121:122]
	v_div_fixup_f64 v[105:106], v[105:106], v[119:120], v[117:118]
	v_fma_f64 v[107:108], v[117:118], v[105:106], v[119:120]
	v_div_scale_f64 v[109:110], s[20:21], v[107:108], v[107:108], 1.0
	v_div_scale_f64 v[121:122], vcc, 1.0, v[107:108], 1.0
	v_rcp_f64_e32 v[117:118], v[109:110]
	v_fma_f64 v[119:120], -v[109:110], v[117:118], 1.0
	v_fma_f64 v[117:118], v[117:118], v[119:120], v[117:118]
	v_fma_f64 v[119:120], -v[109:110], v[117:118], 1.0
	v_fma_f64 v[117:118], v[117:118], v[119:120], v[117:118]
	v_mul_f64 v[119:120], v[121:122], v[117:118]
	v_fma_f64 v[109:110], -v[109:110], v[119:120], v[121:122]
	v_div_fmas_f64 v[109:110], v[109:110], v[117:118], v[119:120]
	v_div_fixup_f64 v[119:120], v[109:110], v[107:108], 1.0
	v_mul_f64 v[117:118], v[105:106], v[119:120]
	v_xor_b32_e32 v120, 0x80000000, v120
.LBB56_70:
	s_andn2_saveexec_b64 s[18:19], s[18:19]
	s_cbranch_execz .LBB56_72
; %bb.71:
	v_div_scale_f64 v[105:106], s[20:21], v[117:118], v[117:118], v[119:120]
	v_rcp_f64_e32 v[107:108], v[105:106]
	v_fma_f64 v[109:110], -v[105:106], v[107:108], 1.0
	v_fma_f64 v[107:108], v[107:108], v[109:110], v[107:108]
	v_div_scale_f64 v[109:110], vcc, v[119:120], v[117:118], v[119:120]
	v_fma_f64 v[121:122], -v[105:106], v[107:108], 1.0
	v_fma_f64 v[107:108], v[107:108], v[121:122], v[107:108]
	v_mul_f64 v[121:122], v[109:110], v[107:108]
	v_fma_f64 v[105:106], -v[105:106], v[121:122], v[109:110]
	v_div_fmas_f64 v[105:106], v[105:106], v[107:108], v[121:122]
	v_div_fixup_f64 v[105:106], v[105:106], v[117:118], v[119:120]
	v_fma_f64 v[107:108], v[119:120], v[105:106], v[117:118]
	v_div_scale_f64 v[109:110], s[20:21], v[107:108], v[107:108], 1.0
	v_div_scale_f64 v[121:122], vcc, 1.0, v[107:108], 1.0
	v_rcp_f64_e32 v[117:118], v[109:110]
	v_fma_f64 v[119:120], -v[109:110], v[117:118], 1.0
	v_fma_f64 v[117:118], v[117:118], v[119:120], v[117:118]
	v_fma_f64 v[119:120], -v[109:110], v[117:118], 1.0
	v_fma_f64 v[117:118], v[117:118], v[119:120], v[117:118]
	v_mul_f64 v[119:120], v[121:122], v[117:118]
	v_fma_f64 v[109:110], -v[109:110], v[119:120], v[121:122]
	v_div_fmas_f64 v[109:110], v[109:110], v[117:118], v[119:120]
	v_div_fixup_f64 v[117:118], v[109:110], v[107:108], 1.0
	v_mul_f64 v[119:120], v[105:106], -v[117:118]
.LBB56_72:
	s_or_b64 exec, exec, s[18:19]
.LBB56_73:
	s_or_b64 exec, exec, s[0:1]
	v_cmp_ne_u32_e32 vcc, v91, v89
	s_and_saveexec_b64 s[0:1], vcc
	s_xor_b64 s[0:1], exec, s[0:1]
	s_cbranch_execz .LBB56_79
; %bb.74:
	v_cmp_eq_u32_e32 vcc, 3, v91
	s_and_saveexec_b64 s[18:19], vcc
	s_cbranch_execz .LBB56_78
; %bb.75:
	v_cmp_ne_u32_e32 vcc, 3, v89
	s_xor_b64 s[20:21], s[6:7], -1
	s_and_b64 s[22:23], s[20:21], vcc
	s_and_saveexec_b64 s[20:21], s[22:23]
	s_cbranch_execz .LBB56_77
; %bb.76:
	buffer_load_dword v106, off, s[24:27], 0 offset:32 ; 4-byte Folded Reload
	buffer_load_dword v107, off, s[24:27], 0 offset:36 ; 4-byte Folded Reload
	v_ashrrev_i32_e32 v90, 31, v89
	v_lshlrev_b64 v[90:91], 2, v[89:90]
	s_waitcnt vmcnt(1)
	v_add_co_u32_e32 v90, vcc, v106, v90
	s_waitcnt vmcnt(0)
	v_addc_co_u32_e32 v91, vcc, v107, v91, vcc
	global_load_dword v0, v[90:91], off
	global_load_dword v105, v[106:107], off offset:12
	s_waitcnt vmcnt(1)
	global_store_dword v[106:107], v0, off offset:12
	s_waitcnt vmcnt(1)
	global_store_dword v[90:91], v105, off
.LBB56_77:
	s_or_b64 exec, exec, s[20:21]
	v_mov_b32_e32 v91, v89
	v_mov_b32_e32 v0, v89
.LBB56_78:
	s_or_b64 exec, exec, s[18:19]
.LBB56_79:
	s_andn2_saveexec_b64 s[0:1], s[0:1]
	s_cbranch_execz .LBB56_81
; %bb.80:
	v_mov_b32_e32 v91, 3
	ds_write2_b64 v127, v[97:98], v[99:100] offset0:8 offset1:9
	ds_write2_b64 v127, v[93:94], v[95:96] offset0:10 offset1:11
	;; [unrolled: 1-line block ×25, first 2 shown]
.LBB56_81:
	s_or_b64 exec, exec, s[0:1]
	v_cmp_lt_i32_e32 vcc, 3, v91
	s_waitcnt vmcnt(0) lgkmcnt(0)
	s_barrier
	s_and_saveexec_b64 s[0:1], vcc
	s_cbranch_execz .LBB56_83
; %bb.82:
	v_mul_f64 v[89:90], v[119:120], v[103:104]
	ds_read2_b64 v[105:108], v127 offset0:8 offset1:9
	v_fma_f64 v[125:126], v[117:118], v[101:102], -v[89:90]
	v_mul_f64 v[89:90], v[117:118], v[103:104]
	v_fma_f64 v[103:104], v[119:120], v[101:102], v[89:90]
	s_waitcnt lgkmcnt(0)
	v_mul_f64 v[89:90], v[107:108], v[103:104]
	v_mul_f64 v[101:102], v[105:106], v[103:104]
	v_fma_f64 v[89:90], v[105:106], v[125:126], -v[89:90]
	v_fma_f64 v[101:102], v[107:108], v[125:126], v[101:102]
	ds_read2_b64 v[105:108], v127 offset0:10 offset1:11
	v_add_f64 v[97:98], v[97:98], -v[89:90]
	v_add_f64 v[99:100], v[99:100], -v[101:102]
	s_waitcnt lgkmcnt(0)
	v_mul_f64 v[89:90], v[107:108], v[103:104]
	v_mul_f64 v[101:102], v[105:106], v[103:104]
	v_fma_f64 v[89:90], v[105:106], v[125:126], -v[89:90]
	v_fma_f64 v[101:102], v[107:108], v[125:126], v[101:102]
	ds_read2_b64 v[105:108], v127 offset0:12 offset1:13
	v_add_f64 v[93:94], v[93:94], -v[89:90]
	v_add_f64 v[95:96], v[95:96], -v[101:102]
	;; [unrolled: 8-line block ×24, first 2 shown]
	s_waitcnt lgkmcnt(0)
	v_mul_f64 v[89:90], v[107:108], v[103:104]
	v_mul_f64 v[101:102], v[105:106], v[103:104]
	v_fma_f64 v[89:90], v[105:106], v[125:126], -v[89:90]
	v_fma_f64 v[101:102], v[107:108], v[125:126], v[101:102]
	v_add_f64 v[113:114], v[113:114], -v[89:90]
	v_add_f64 v[115:116], v[115:116], -v[101:102]
	v_mov_b32_e32 v101, v125
	v_mov_b32_e32 v102, v126
.LBB56_83:
	s_or_b64 exec, exec, s[0:1]
	v_lshl_add_u32 v89, v91, 4, v127
	s_barrier
	ds_write2_b64 v89, v[97:98], v[99:100] offset1:1
	s_waitcnt lgkmcnt(0)
	s_barrier
	ds_read2_b64 v[117:120], v127 offset0:8 offset1:9
	s_cmp_lt_i32 s3, 6
	v_mov_b32_e32 v89, 4
	s_cbranch_scc1 .LBB56_86
; %bb.84:
	v_mov_b32_e32 v89, 4
	v_add_u32_e32 v90, 0x50, v127
	s_mov_b32 s0, 5
.LBB56_85:                              ; =>This Inner Loop Header: Depth=1
	s_waitcnt lgkmcnt(0)
	v_cmp_gt_f64_e32 vcc, 0, v[117:118]
	v_xor_b32_e32 v109, 0x80000000, v118
	ds_read2_b64 v[105:108], v90 offset1:1
	v_xor_b32_e32 v121, 0x80000000, v120
	v_add_u32_e32 v90, 16, v90
	s_waitcnt lgkmcnt(0)
	v_xor_b32_e32 v123, 0x80000000, v108
	v_cndmask_b32_e32 v110, v118, v109, vcc
	v_cmp_gt_f64_e32 vcc, 0, v[119:120]
	v_mov_b32_e32 v109, v117
	v_cndmask_b32_e32 v122, v120, v121, vcc
	v_cmp_gt_f64_e32 vcc, 0, v[105:106]
	v_mov_b32_e32 v121, v119
	v_add_f64 v[109:110], v[109:110], v[121:122]
	v_xor_b32_e32 v121, 0x80000000, v106
	v_cndmask_b32_e32 v122, v106, v121, vcc
	v_cmp_gt_f64_e32 vcc, 0, v[107:108]
	v_mov_b32_e32 v121, v105
	v_cndmask_b32_e32 v124, v108, v123, vcc
	v_mov_b32_e32 v123, v107
	v_add_f64 v[121:122], v[121:122], v[123:124]
	v_cmp_lt_f64_e32 vcc, v[109:110], v[121:122]
	v_cndmask_b32_e32 v117, v117, v105, vcc
	v_mov_b32_e32 v105, s0
	s_add_i32 s0, s0, 1
	v_cndmask_b32_e32 v118, v118, v106, vcc
	v_cndmask_b32_e32 v120, v120, v108, vcc
	;; [unrolled: 1-line block ×4, first 2 shown]
	s_cmp_lg_u32 s3, s0
	s_cbranch_scc1 .LBB56_85
.LBB56_86:
	s_waitcnt lgkmcnt(0)
	v_cmp_eq_f64_e32 vcc, 0, v[117:118]
	v_cmp_eq_f64_e64 s[0:1], 0, v[119:120]
	s_and_b64 s[0:1], vcc, s[0:1]
	s_and_saveexec_b64 s[18:19], s[0:1]
	s_xor_b64 s[0:1], exec, s[18:19]
; %bb.87:
	v_cmp_ne_u32_e32 vcc, 0, v92
	v_cndmask_b32_e32 v92, 5, v92, vcc
; %bb.88:
	s_andn2_saveexec_b64 s[0:1], s[0:1]
	s_cbranch_execz .LBB56_94
; %bb.89:
	v_cmp_ngt_f64_e64 s[18:19], |v[117:118]|, |v[119:120]|
	s_and_saveexec_b64 s[20:21], s[18:19]
	s_xor_b64 s[18:19], exec, s[20:21]
	s_cbranch_execz .LBB56_91
; %bb.90:
	v_div_scale_f64 v[105:106], s[20:21], v[119:120], v[119:120], v[117:118]
	v_rcp_f64_e32 v[107:108], v[105:106]
	v_fma_f64 v[109:110], -v[105:106], v[107:108], 1.0
	v_fma_f64 v[107:108], v[107:108], v[109:110], v[107:108]
	v_div_scale_f64 v[109:110], vcc, v[117:118], v[119:120], v[117:118]
	v_fma_f64 v[121:122], -v[105:106], v[107:108], 1.0
	v_fma_f64 v[107:108], v[107:108], v[121:122], v[107:108]
	v_mul_f64 v[121:122], v[109:110], v[107:108]
	v_fma_f64 v[105:106], -v[105:106], v[121:122], v[109:110]
	v_div_fmas_f64 v[105:106], v[105:106], v[107:108], v[121:122]
	v_div_fixup_f64 v[105:106], v[105:106], v[119:120], v[117:118]
	v_fma_f64 v[107:108], v[117:118], v[105:106], v[119:120]
	v_div_scale_f64 v[109:110], s[20:21], v[107:108], v[107:108], 1.0
	v_div_scale_f64 v[121:122], vcc, 1.0, v[107:108], 1.0
	v_rcp_f64_e32 v[117:118], v[109:110]
	v_fma_f64 v[119:120], -v[109:110], v[117:118], 1.0
	v_fma_f64 v[117:118], v[117:118], v[119:120], v[117:118]
	v_fma_f64 v[119:120], -v[109:110], v[117:118], 1.0
	v_fma_f64 v[117:118], v[117:118], v[119:120], v[117:118]
	v_mul_f64 v[119:120], v[121:122], v[117:118]
	v_fma_f64 v[109:110], -v[109:110], v[119:120], v[121:122]
	v_div_fmas_f64 v[109:110], v[109:110], v[117:118], v[119:120]
	v_div_fixup_f64 v[119:120], v[109:110], v[107:108], 1.0
	v_mul_f64 v[117:118], v[105:106], v[119:120]
	v_xor_b32_e32 v120, 0x80000000, v120
.LBB56_91:
	s_andn2_saveexec_b64 s[18:19], s[18:19]
	s_cbranch_execz .LBB56_93
; %bb.92:
	v_div_scale_f64 v[105:106], s[20:21], v[117:118], v[117:118], v[119:120]
	v_rcp_f64_e32 v[107:108], v[105:106]
	v_fma_f64 v[109:110], -v[105:106], v[107:108], 1.0
	v_fma_f64 v[107:108], v[107:108], v[109:110], v[107:108]
	v_div_scale_f64 v[109:110], vcc, v[119:120], v[117:118], v[119:120]
	v_fma_f64 v[121:122], -v[105:106], v[107:108], 1.0
	v_fma_f64 v[107:108], v[107:108], v[121:122], v[107:108]
	v_mul_f64 v[121:122], v[109:110], v[107:108]
	v_fma_f64 v[105:106], -v[105:106], v[121:122], v[109:110]
	v_div_fmas_f64 v[105:106], v[105:106], v[107:108], v[121:122]
	v_div_fixup_f64 v[105:106], v[105:106], v[117:118], v[119:120]
	v_fma_f64 v[107:108], v[119:120], v[105:106], v[117:118]
	v_div_scale_f64 v[109:110], s[20:21], v[107:108], v[107:108], 1.0
	v_div_scale_f64 v[121:122], vcc, 1.0, v[107:108], 1.0
	v_rcp_f64_e32 v[117:118], v[109:110]
	v_fma_f64 v[119:120], -v[109:110], v[117:118], 1.0
	v_fma_f64 v[117:118], v[117:118], v[119:120], v[117:118]
	v_fma_f64 v[119:120], -v[109:110], v[117:118], 1.0
	v_fma_f64 v[117:118], v[117:118], v[119:120], v[117:118]
	v_mul_f64 v[119:120], v[121:122], v[117:118]
	v_fma_f64 v[109:110], -v[109:110], v[119:120], v[121:122]
	v_div_fmas_f64 v[109:110], v[109:110], v[117:118], v[119:120]
	v_div_fixup_f64 v[117:118], v[109:110], v[107:108], 1.0
	v_mul_f64 v[119:120], v[105:106], -v[117:118]
.LBB56_93:
	s_or_b64 exec, exec, s[18:19]
.LBB56_94:
	s_or_b64 exec, exec, s[0:1]
	v_cmp_ne_u32_e32 vcc, v91, v89
	s_and_saveexec_b64 s[0:1], vcc
	s_xor_b64 s[0:1], exec, s[0:1]
	s_cbranch_execz .LBB56_100
; %bb.95:
	v_cmp_eq_u32_e32 vcc, 4, v91
	s_and_saveexec_b64 s[18:19], vcc
	s_cbranch_execz .LBB56_99
; %bb.96:
	v_cmp_ne_u32_e32 vcc, 4, v89
	s_xor_b64 s[20:21], s[6:7], -1
	s_and_b64 s[22:23], s[20:21], vcc
	s_and_saveexec_b64 s[20:21], s[22:23]
	s_cbranch_execz .LBB56_98
; %bb.97:
	buffer_load_dword v106, off, s[24:27], 0 offset:32 ; 4-byte Folded Reload
	buffer_load_dword v107, off, s[24:27], 0 offset:36 ; 4-byte Folded Reload
	v_ashrrev_i32_e32 v90, 31, v89
	v_lshlrev_b64 v[90:91], 2, v[89:90]
	s_waitcnt vmcnt(1)
	v_add_co_u32_e32 v90, vcc, v106, v90
	s_waitcnt vmcnt(0)
	v_addc_co_u32_e32 v91, vcc, v107, v91, vcc
	global_load_dword v0, v[90:91], off
	global_load_dword v105, v[106:107], off offset:16
	s_waitcnt vmcnt(1)
	global_store_dword v[106:107], v0, off offset:16
	s_waitcnt vmcnt(1)
	global_store_dword v[90:91], v105, off
.LBB56_98:
	s_or_b64 exec, exec, s[20:21]
	v_mov_b32_e32 v91, v89
	v_mov_b32_e32 v0, v89
.LBB56_99:
	s_or_b64 exec, exec, s[18:19]
.LBB56_100:
	s_andn2_saveexec_b64 s[0:1], s[0:1]
	s_cbranch_execz .LBB56_102
; %bb.101:
	v_mov_b32_e32 v91, 4
	ds_write2_b64 v127, v[93:94], v[95:96] offset0:10 offset1:11
	ds_write2_b64 v127, v[85:86], v[87:88] offset0:12 offset1:13
	;; [unrolled: 1-line block ×24, first 2 shown]
.LBB56_102:
	s_or_b64 exec, exec, s[0:1]
	v_cmp_lt_i32_e32 vcc, 4, v91
	s_waitcnt vmcnt(0) lgkmcnt(0)
	s_barrier
	s_and_saveexec_b64 s[0:1], vcc
	s_cbranch_execz .LBB56_104
; %bb.103:
	v_mul_f64 v[89:90], v[119:120], v[99:100]
	ds_read2_b64 v[105:108], v127 offset0:10 offset1:11
	v_fma_f64 v[125:126], v[117:118], v[97:98], -v[89:90]
	v_mul_f64 v[89:90], v[117:118], v[99:100]
	v_fma_f64 v[99:100], v[119:120], v[97:98], v[89:90]
	s_waitcnt lgkmcnt(0)
	v_mul_f64 v[89:90], v[107:108], v[99:100]
	v_mul_f64 v[97:98], v[105:106], v[99:100]
	v_fma_f64 v[89:90], v[105:106], v[125:126], -v[89:90]
	v_fma_f64 v[97:98], v[107:108], v[125:126], v[97:98]
	ds_read2_b64 v[105:108], v127 offset0:12 offset1:13
	v_add_f64 v[93:94], v[93:94], -v[89:90]
	v_add_f64 v[95:96], v[95:96], -v[97:98]
	s_waitcnt lgkmcnt(0)
	v_mul_f64 v[89:90], v[107:108], v[99:100]
	v_mul_f64 v[97:98], v[105:106], v[99:100]
	v_fma_f64 v[89:90], v[105:106], v[125:126], -v[89:90]
	v_fma_f64 v[97:98], v[107:108], v[125:126], v[97:98]
	ds_read2_b64 v[105:108], v127 offset0:14 offset1:15
	v_add_f64 v[85:86], v[85:86], -v[89:90]
	v_add_f64 v[87:88], v[87:88], -v[97:98]
	;; [unrolled: 8-line block ×23, first 2 shown]
	s_waitcnt lgkmcnt(0)
	v_mul_f64 v[89:90], v[107:108], v[99:100]
	v_mul_f64 v[97:98], v[105:106], v[99:100]
	v_fma_f64 v[89:90], v[105:106], v[125:126], -v[89:90]
	v_fma_f64 v[97:98], v[107:108], v[125:126], v[97:98]
	v_add_f64 v[113:114], v[113:114], -v[89:90]
	v_add_f64 v[115:116], v[115:116], -v[97:98]
	v_mov_b32_e32 v97, v125
	v_mov_b32_e32 v98, v126
.LBB56_104:
	s_or_b64 exec, exec, s[0:1]
	v_lshl_add_u32 v89, v91, 4, v127
	s_barrier
	ds_write2_b64 v89, v[93:94], v[95:96] offset1:1
	s_waitcnt lgkmcnt(0)
	s_barrier
	ds_read2_b64 v[117:120], v127 offset0:10 offset1:11
	s_cmp_lt_i32 s3, 7
	v_mov_b32_e32 v89, 5
	s_cbranch_scc1 .LBB56_107
; %bb.105:
	v_add_u32_e32 v90, 0x60, v127
	s_mov_b32 s0, 6
	v_mov_b32_e32 v89, 5
.LBB56_106:                             ; =>This Inner Loop Header: Depth=1
	s_waitcnt lgkmcnt(0)
	v_cmp_gt_f64_e32 vcc, 0, v[117:118]
	v_xor_b32_e32 v109, 0x80000000, v118
	ds_read2_b64 v[105:108], v90 offset1:1
	v_xor_b32_e32 v121, 0x80000000, v120
	v_add_u32_e32 v90, 16, v90
	s_waitcnt lgkmcnt(0)
	v_xor_b32_e32 v123, 0x80000000, v108
	v_cndmask_b32_e32 v110, v118, v109, vcc
	v_cmp_gt_f64_e32 vcc, 0, v[119:120]
	v_mov_b32_e32 v109, v117
	v_cndmask_b32_e32 v122, v120, v121, vcc
	v_cmp_gt_f64_e32 vcc, 0, v[105:106]
	v_mov_b32_e32 v121, v119
	v_add_f64 v[109:110], v[109:110], v[121:122]
	v_xor_b32_e32 v121, 0x80000000, v106
	v_cndmask_b32_e32 v122, v106, v121, vcc
	v_cmp_gt_f64_e32 vcc, 0, v[107:108]
	v_mov_b32_e32 v121, v105
	v_cndmask_b32_e32 v124, v108, v123, vcc
	v_mov_b32_e32 v123, v107
	v_add_f64 v[121:122], v[121:122], v[123:124]
	v_cmp_lt_f64_e32 vcc, v[109:110], v[121:122]
	v_cndmask_b32_e32 v117, v117, v105, vcc
	v_mov_b32_e32 v105, s0
	s_add_i32 s0, s0, 1
	v_cndmask_b32_e32 v118, v118, v106, vcc
	v_cndmask_b32_e32 v120, v120, v108, vcc
	;; [unrolled: 1-line block ×4, first 2 shown]
	s_cmp_lg_u32 s3, s0
	s_cbranch_scc1 .LBB56_106
.LBB56_107:
	s_waitcnt lgkmcnt(0)
	v_cmp_eq_f64_e32 vcc, 0, v[117:118]
	v_cmp_eq_f64_e64 s[0:1], 0, v[119:120]
	s_and_b64 s[0:1], vcc, s[0:1]
	s_and_saveexec_b64 s[18:19], s[0:1]
	s_xor_b64 s[0:1], exec, s[18:19]
; %bb.108:
	v_cmp_ne_u32_e32 vcc, 0, v92
	v_cndmask_b32_e32 v92, 6, v92, vcc
; %bb.109:
	s_andn2_saveexec_b64 s[0:1], s[0:1]
	s_cbranch_execz .LBB56_115
; %bb.110:
	v_cmp_ngt_f64_e64 s[18:19], |v[117:118]|, |v[119:120]|
	s_and_saveexec_b64 s[20:21], s[18:19]
	s_xor_b64 s[18:19], exec, s[20:21]
	s_cbranch_execz .LBB56_112
; %bb.111:
	v_div_scale_f64 v[105:106], s[20:21], v[119:120], v[119:120], v[117:118]
	v_rcp_f64_e32 v[107:108], v[105:106]
	v_fma_f64 v[109:110], -v[105:106], v[107:108], 1.0
	v_fma_f64 v[107:108], v[107:108], v[109:110], v[107:108]
	v_div_scale_f64 v[109:110], vcc, v[117:118], v[119:120], v[117:118]
	v_fma_f64 v[121:122], -v[105:106], v[107:108], 1.0
	v_fma_f64 v[107:108], v[107:108], v[121:122], v[107:108]
	v_mul_f64 v[121:122], v[109:110], v[107:108]
	v_fma_f64 v[105:106], -v[105:106], v[121:122], v[109:110]
	v_div_fmas_f64 v[105:106], v[105:106], v[107:108], v[121:122]
	v_div_fixup_f64 v[105:106], v[105:106], v[119:120], v[117:118]
	v_fma_f64 v[107:108], v[117:118], v[105:106], v[119:120]
	v_div_scale_f64 v[109:110], s[20:21], v[107:108], v[107:108], 1.0
	v_div_scale_f64 v[121:122], vcc, 1.0, v[107:108], 1.0
	v_rcp_f64_e32 v[117:118], v[109:110]
	v_fma_f64 v[119:120], -v[109:110], v[117:118], 1.0
	v_fma_f64 v[117:118], v[117:118], v[119:120], v[117:118]
	v_fma_f64 v[119:120], -v[109:110], v[117:118], 1.0
	v_fma_f64 v[117:118], v[117:118], v[119:120], v[117:118]
	v_mul_f64 v[119:120], v[121:122], v[117:118]
	v_fma_f64 v[109:110], -v[109:110], v[119:120], v[121:122]
	v_div_fmas_f64 v[109:110], v[109:110], v[117:118], v[119:120]
	v_div_fixup_f64 v[119:120], v[109:110], v[107:108], 1.0
	v_mul_f64 v[117:118], v[105:106], v[119:120]
	v_xor_b32_e32 v120, 0x80000000, v120
.LBB56_112:
	s_andn2_saveexec_b64 s[18:19], s[18:19]
	s_cbranch_execz .LBB56_114
; %bb.113:
	v_div_scale_f64 v[105:106], s[20:21], v[117:118], v[117:118], v[119:120]
	v_rcp_f64_e32 v[107:108], v[105:106]
	v_fma_f64 v[109:110], -v[105:106], v[107:108], 1.0
	v_fma_f64 v[107:108], v[107:108], v[109:110], v[107:108]
	v_div_scale_f64 v[109:110], vcc, v[119:120], v[117:118], v[119:120]
	v_fma_f64 v[121:122], -v[105:106], v[107:108], 1.0
	v_fma_f64 v[107:108], v[107:108], v[121:122], v[107:108]
	v_mul_f64 v[121:122], v[109:110], v[107:108]
	v_fma_f64 v[105:106], -v[105:106], v[121:122], v[109:110]
	v_div_fmas_f64 v[105:106], v[105:106], v[107:108], v[121:122]
	v_div_fixup_f64 v[105:106], v[105:106], v[117:118], v[119:120]
	v_fma_f64 v[107:108], v[119:120], v[105:106], v[117:118]
	v_div_scale_f64 v[109:110], s[20:21], v[107:108], v[107:108], 1.0
	v_div_scale_f64 v[121:122], vcc, 1.0, v[107:108], 1.0
	v_rcp_f64_e32 v[117:118], v[109:110]
	v_fma_f64 v[119:120], -v[109:110], v[117:118], 1.0
	v_fma_f64 v[117:118], v[117:118], v[119:120], v[117:118]
	v_fma_f64 v[119:120], -v[109:110], v[117:118], 1.0
	v_fma_f64 v[117:118], v[117:118], v[119:120], v[117:118]
	v_mul_f64 v[119:120], v[121:122], v[117:118]
	v_fma_f64 v[109:110], -v[109:110], v[119:120], v[121:122]
	v_div_fmas_f64 v[109:110], v[109:110], v[117:118], v[119:120]
	v_div_fixup_f64 v[117:118], v[109:110], v[107:108], 1.0
	v_mul_f64 v[119:120], v[105:106], -v[117:118]
.LBB56_114:
	s_or_b64 exec, exec, s[18:19]
.LBB56_115:
	s_or_b64 exec, exec, s[0:1]
	v_cmp_ne_u32_e32 vcc, v91, v89
	s_and_saveexec_b64 s[0:1], vcc
	s_xor_b64 s[0:1], exec, s[0:1]
	s_cbranch_execz .LBB56_121
; %bb.116:
	v_cmp_eq_u32_e32 vcc, 5, v91
	s_and_saveexec_b64 s[18:19], vcc
	s_cbranch_execz .LBB56_120
; %bb.117:
	v_cmp_ne_u32_e32 vcc, 5, v89
	s_xor_b64 s[20:21], s[6:7], -1
	s_and_b64 s[22:23], s[20:21], vcc
	s_and_saveexec_b64 s[20:21], s[22:23]
	s_cbranch_execz .LBB56_119
; %bb.118:
	buffer_load_dword v106, off, s[24:27], 0 offset:32 ; 4-byte Folded Reload
	buffer_load_dword v107, off, s[24:27], 0 offset:36 ; 4-byte Folded Reload
	v_ashrrev_i32_e32 v90, 31, v89
	v_lshlrev_b64 v[90:91], 2, v[89:90]
	s_waitcnt vmcnt(1)
	v_add_co_u32_e32 v90, vcc, v106, v90
	s_waitcnt vmcnt(0)
	v_addc_co_u32_e32 v91, vcc, v107, v91, vcc
	global_load_dword v0, v[90:91], off
	global_load_dword v105, v[106:107], off offset:20
	s_waitcnt vmcnt(1)
	global_store_dword v[106:107], v0, off offset:20
	s_waitcnt vmcnt(1)
	global_store_dword v[90:91], v105, off
.LBB56_119:
	s_or_b64 exec, exec, s[20:21]
	v_mov_b32_e32 v91, v89
	v_mov_b32_e32 v0, v89
.LBB56_120:
	s_or_b64 exec, exec, s[18:19]
.LBB56_121:
	s_andn2_saveexec_b64 s[0:1], s[0:1]
	s_cbranch_execz .LBB56_123
; %bb.122:
	v_mov_b32_e32 v91, 5
	ds_write2_b64 v127, v[85:86], v[87:88] offset0:12 offset1:13
	ds_write2_b64 v127, v[81:82], v[83:84] offset0:14 offset1:15
	;; [unrolled: 1-line block ×23, first 2 shown]
.LBB56_123:
	s_or_b64 exec, exec, s[0:1]
	v_cmp_lt_i32_e32 vcc, 5, v91
	s_waitcnt vmcnt(0) lgkmcnt(0)
	s_barrier
	s_and_saveexec_b64 s[0:1], vcc
	s_cbranch_execz .LBB56_125
; %bb.124:
	v_mul_f64 v[89:90], v[119:120], v[95:96]
	ds_read2_b64 v[105:108], v127 offset0:12 offset1:13
	v_fma_f64 v[125:126], v[117:118], v[93:94], -v[89:90]
	v_mul_f64 v[89:90], v[117:118], v[95:96]
	v_fma_f64 v[95:96], v[119:120], v[93:94], v[89:90]
	s_waitcnt lgkmcnt(0)
	v_mul_f64 v[89:90], v[107:108], v[95:96]
	v_mul_f64 v[93:94], v[105:106], v[95:96]
	v_fma_f64 v[89:90], v[105:106], v[125:126], -v[89:90]
	v_fma_f64 v[93:94], v[107:108], v[125:126], v[93:94]
	ds_read2_b64 v[105:108], v127 offset0:14 offset1:15
	v_add_f64 v[85:86], v[85:86], -v[89:90]
	v_add_f64 v[87:88], v[87:88], -v[93:94]
	s_waitcnt lgkmcnt(0)
	v_mul_f64 v[89:90], v[107:108], v[95:96]
	v_mul_f64 v[93:94], v[105:106], v[95:96]
	v_fma_f64 v[89:90], v[105:106], v[125:126], -v[89:90]
	v_fma_f64 v[93:94], v[107:108], v[125:126], v[93:94]
	ds_read2_b64 v[105:108], v127 offset0:16 offset1:17
	v_add_f64 v[81:82], v[81:82], -v[89:90]
	v_add_f64 v[83:84], v[83:84], -v[93:94]
	;; [unrolled: 8-line block ×22, first 2 shown]
	s_waitcnt lgkmcnt(0)
	v_mul_f64 v[89:90], v[107:108], v[95:96]
	v_mul_f64 v[93:94], v[105:106], v[95:96]
	v_fma_f64 v[89:90], v[105:106], v[125:126], -v[89:90]
	v_fma_f64 v[93:94], v[107:108], v[125:126], v[93:94]
	v_add_f64 v[113:114], v[113:114], -v[89:90]
	v_add_f64 v[115:116], v[115:116], -v[93:94]
	v_mov_b32_e32 v93, v125
	v_mov_b32_e32 v94, v126
.LBB56_125:
	s_or_b64 exec, exec, s[0:1]
	v_lshl_add_u32 v89, v91, 4, v127
	s_barrier
	ds_write2_b64 v89, v[85:86], v[87:88] offset1:1
	s_waitcnt lgkmcnt(0)
	s_barrier
	ds_read2_b64 v[117:120], v127 offset0:12 offset1:13
	s_cmp_lt_i32 s3, 8
	v_mov_b32_e32 v89, 6
	s_cbranch_scc1 .LBB56_128
; %bb.126:
	v_add_u32_e32 v90, 0x70, v127
	s_mov_b32 s0, 7
	v_mov_b32_e32 v89, 6
.LBB56_127:                             ; =>This Inner Loop Header: Depth=1
	s_waitcnt lgkmcnt(0)
	v_cmp_gt_f64_e32 vcc, 0, v[117:118]
	v_xor_b32_e32 v109, 0x80000000, v118
	ds_read2_b64 v[105:108], v90 offset1:1
	v_xor_b32_e32 v121, 0x80000000, v120
	v_add_u32_e32 v90, 16, v90
	s_waitcnt lgkmcnt(0)
	v_xor_b32_e32 v123, 0x80000000, v108
	v_cndmask_b32_e32 v110, v118, v109, vcc
	v_cmp_gt_f64_e32 vcc, 0, v[119:120]
	v_mov_b32_e32 v109, v117
	v_cndmask_b32_e32 v122, v120, v121, vcc
	v_cmp_gt_f64_e32 vcc, 0, v[105:106]
	v_mov_b32_e32 v121, v119
	v_add_f64 v[109:110], v[109:110], v[121:122]
	v_xor_b32_e32 v121, 0x80000000, v106
	v_cndmask_b32_e32 v122, v106, v121, vcc
	v_cmp_gt_f64_e32 vcc, 0, v[107:108]
	v_mov_b32_e32 v121, v105
	v_cndmask_b32_e32 v124, v108, v123, vcc
	v_mov_b32_e32 v123, v107
	v_add_f64 v[121:122], v[121:122], v[123:124]
	v_cmp_lt_f64_e32 vcc, v[109:110], v[121:122]
	v_cndmask_b32_e32 v117, v117, v105, vcc
	v_mov_b32_e32 v105, s0
	s_add_i32 s0, s0, 1
	v_cndmask_b32_e32 v118, v118, v106, vcc
	v_cndmask_b32_e32 v120, v120, v108, vcc
	;; [unrolled: 1-line block ×4, first 2 shown]
	s_cmp_lg_u32 s3, s0
	s_cbranch_scc1 .LBB56_127
.LBB56_128:
	s_waitcnt lgkmcnt(0)
	v_cmp_eq_f64_e32 vcc, 0, v[117:118]
	v_cmp_eq_f64_e64 s[0:1], 0, v[119:120]
	s_and_b64 s[0:1], vcc, s[0:1]
	s_and_saveexec_b64 s[18:19], s[0:1]
	s_xor_b64 s[0:1], exec, s[18:19]
; %bb.129:
	v_cmp_ne_u32_e32 vcc, 0, v92
	v_cndmask_b32_e32 v92, 7, v92, vcc
; %bb.130:
	s_andn2_saveexec_b64 s[0:1], s[0:1]
	s_cbranch_execz .LBB56_136
; %bb.131:
	v_cmp_ngt_f64_e64 s[18:19], |v[117:118]|, |v[119:120]|
	s_and_saveexec_b64 s[20:21], s[18:19]
	s_xor_b64 s[18:19], exec, s[20:21]
	s_cbranch_execz .LBB56_133
; %bb.132:
	v_div_scale_f64 v[105:106], s[20:21], v[119:120], v[119:120], v[117:118]
	v_rcp_f64_e32 v[107:108], v[105:106]
	v_fma_f64 v[109:110], -v[105:106], v[107:108], 1.0
	v_fma_f64 v[107:108], v[107:108], v[109:110], v[107:108]
	v_div_scale_f64 v[109:110], vcc, v[117:118], v[119:120], v[117:118]
	v_fma_f64 v[121:122], -v[105:106], v[107:108], 1.0
	v_fma_f64 v[107:108], v[107:108], v[121:122], v[107:108]
	v_mul_f64 v[121:122], v[109:110], v[107:108]
	v_fma_f64 v[105:106], -v[105:106], v[121:122], v[109:110]
	v_div_fmas_f64 v[105:106], v[105:106], v[107:108], v[121:122]
	v_div_fixup_f64 v[105:106], v[105:106], v[119:120], v[117:118]
	v_fma_f64 v[107:108], v[117:118], v[105:106], v[119:120]
	v_div_scale_f64 v[109:110], s[20:21], v[107:108], v[107:108], 1.0
	v_div_scale_f64 v[121:122], vcc, 1.0, v[107:108], 1.0
	v_rcp_f64_e32 v[117:118], v[109:110]
	v_fma_f64 v[119:120], -v[109:110], v[117:118], 1.0
	v_fma_f64 v[117:118], v[117:118], v[119:120], v[117:118]
	v_fma_f64 v[119:120], -v[109:110], v[117:118], 1.0
	v_fma_f64 v[117:118], v[117:118], v[119:120], v[117:118]
	v_mul_f64 v[119:120], v[121:122], v[117:118]
	v_fma_f64 v[109:110], -v[109:110], v[119:120], v[121:122]
	v_div_fmas_f64 v[109:110], v[109:110], v[117:118], v[119:120]
	v_div_fixup_f64 v[119:120], v[109:110], v[107:108], 1.0
	v_mul_f64 v[117:118], v[105:106], v[119:120]
	v_xor_b32_e32 v120, 0x80000000, v120
.LBB56_133:
	s_andn2_saveexec_b64 s[18:19], s[18:19]
	s_cbranch_execz .LBB56_135
; %bb.134:
	v_div_scale_f64 v[105:106], s[20:21], v[117:118], v[117:118], v[119:120]
	v_rcp_f64_e32 v[107:108], v[105:106]
	v_fma_f64 v[109:110], -v[105:106], v[107:108], 1.0
	v_fma_f64 v[107:108], v[107:108], v[109:110], v[107:108]
	v_div_scale_f64 v[109:110], vcc, v[119:120], v[117:118], v[119:120]
	v_fma_f64 v[121:122], -v[105:106], v[107:108], 1.0
	v_fma_f64 v[107:108], v[107:108], v[121:122], v[107:108]
	v_mul_f64 v[121:122], v[109:110], v[107:108]
	v_fma_f64 v[105:106], -v[105:106], v[121:122], v[109:110]
	v_div_fmas_f64 v[105:106], v[105:106], v[107:108], v[121:122]
	v_div_fixup_f64 v[105:106], v[105:106], v[117:118], v[119:120]
	v_fma_f64 v[107:108], v[119:120], v[105:106], v[117:118]
	v_div_scale_f64 v[109:110], s[20:21], v[107:108], v[107:108], 1.0
	v_div_scale_f64 v[121:122], vcc, 1.0, v[107:108], 1.0
	v_rcp_f64_e32 v[117:118], v[109:110]
	v_fma_f64 v[119:120], -v[109:110], v[117:118], 1.0
	v_fma_f64 v[117:118], v[117:118], v[119:120], v[117:118]
	v_fma_f64 v[119:120], -v[109:110], v[117:118], 1.0
	v_fma_f64 v[117:118], v[117:118], v[119:120], v[117:118]
	v_mul_f64 v[119:120], v[121:122], v[117:118]
	v_fma_f64 v[109:110], -v[109:110], v[119:120], v[121:122]
	v_div_fmas_f64 v[109:110], v[109:110], v[117:118], v[119:120]
	v_div_fixup_f64 v[117:118], v[109:110], v[107:108], 1.0
	v_mul_f64 v[119:120], v[105:106], -v[117:118]
.LBB56_135:
	s_or_b64 exec, exec, s[18:19]
.LBB56_136:
	s_or_b64 exec, exec, s[0:1]
	v_cmp_ne_u32_e32 vcc, v91, v89
	s_and_saveexec_b64 s[0:1], vcc
	s_xor_b64 s[0:1], exec, s[0:1]
	s_cbranch_execz .LBB56_142
; %bb.137:
	v_cmp_eq_u32_e32 vcc, 6, v91
	s_and_saveexec_b64 s[18:19], vcc
	s_cbranch_execz .LBB56_141
; %bb.138:
	v_cmp_ne_u32_e32 vcc, 6, v89
	s_xor_b64 s[20:21], s[6:7], -1
	s_and_b64 s[22:23], s[20:21], vcc
	s_and_saveexec_b64 s[20:21], s[22:23]
	s_cbranch_execz .LBB56_140
; %bb.139:
	buffer_load_dword v106, off, s[24:27], 0 offset:32 ; 4-byte Folded Reload
	buffer_load_dword v107, off, s[24:27], 0 offset:36 ; 4-byte Folded Reload
	v_ashrrev_i32_e32 v90, 31, v89
	v_lshlrev_b64 v[90:91], 2, v[89:90]
	s_waitcnt vmcnt(1)
	v_add_co_u32_e32 v90, vcc, v106, v90
	s_waitcnt vmcnt(0)
	v_addc_co_u32_e32 v91, vcc, v107, v91, vcc
	global_load_dword v0, v[90:91], off
	global_load_dword v105, v[106:107], off offset:24
	s_waitcnt vmcnt(1)
	global_store_dword v[106:107], v0, off offset:24
	s_waitcnt vmcnt(1)
	global_store_dword v[90:91], v105, off
.LBB56_140:
	s_or_b64 exec, exec, s[20:21]
	v_mov_b32_e32 v91, v89
	v_mov_b32_e32 v0, v89
.LBB56_141:
	s_or_b64 exec, exec, s[18:19]
.LBB56_142:
	s_andn2_saveexec_b64 s[0:1], s[0:1]
	s_cbranch_execz .LBB56_144
; %bb.143:
	v_mov_b32_e32 v91, 6
	ds_write2_b64 v127, v[81:82], v[83:84] offset0:14 offset1:15
	ds_write2_b64 v127, v[77:78], v[79:80] offset0:16 offset1:17
	;; [unrolled: 1-line block ×22, first 2 shown]
.LBB56_144:
	s_or_b64 exec, exec, s[0:1]
	v_cmp_lt_i32_e32 vcc, 6, v91
	s_waitcnt vmcnt(0) lgkmcnt(0)
	s_barrier
	s_and_saveexec_b64 s[0:1], vcc
	s_cbranch_execz .LBB56_146
; %bb.145:
	v_mul_f64 v[89:90], v[119:120], v[87:88]
	v_mul_f64 v[87:88], v[117:118], v[87:88]
	ds_read2_b64 v[105:108], v127 offset0:14 offset1:15
	v_fma_f64 v[125:126], v[117:118], v[85:86], -v[89:90]
	v_fma_f64 v[87:88], v[119:120], v[85:86], v[87:88]
	s_waitcnt lgkmcnt(0)
	v_mul_f64 v[85:86], v[107:108], v[87:88]
	v_mul_f64 v[89:90], v[105:106], v[87:88]
	v_fma_f64 v[85:86], v[105:106], v[125:126], -v[85:86]
	v_fma_f64 v[89:90], v[107:108], v[125:126], v[89:90]
	ds_read2_b64 v[105:108], v127 offset0:16 offset1:17
	v_add_f64 v[81:82], v[81:82], -v[85:86]
	v_add_f64 v[83:84], v[83:84], -v[89:90]
	s_waitcnt lgkmcnt(0)
	v_mul_f64 v[85:86], v[107:108], v[87:88]
	v_mul_f64 v[89:90], v[105:106], v[87:88]
	v_fma_f64 v[85:86], v[105:106], v[125:126], -v[85:86]
	v_fma_f64 v[89:90], v[107:108], v[125:126], v[89:90]
	ds_read2_b64 v[105:108], v127 offset0:18 offset1:19
	v_add_f64 v[77:78], v[77:78], -v[85:86]
	v_add_f64 v[79:80], v[79:80], -v[89:90]
	;; [unrolled: 8-line block ×21, first 2 shown]
	s_waitcnt lgkmcnt(0)
	v_mul_f64 v[85:86], v[107:108], v[87:88]
	v_mul_f64 v[89:90], v[105:106], v[87:88]
	v_fma_f64 v[85:86], v[105:106], v[125:126], -v[85:86]
	v_fma_f64 v[89:90], v[107:108], v[125:126], v[89:90]
	v_add_f64 v[113:114], v[113:114], -v[85:86]
	v_add_f64 v[115:116], v[115:116], -v[89:90]
	v_mov_b32_e32 v85, v125
	v_mov_b32_e32 v86, v126
.LBB56_146:
	s_or_b64 exec, exec, s[0:1]
	v_lshl_add_u32 v89, v91, 4, v127
	s_barrier
	ds_write2_b64 v89, v[81:82], v[83:84] offset1:1
	s_waitcnt lgkmcnt(0)
	s_barrier
	ds_read2_b64 v[117:120], v127 offset0:14 offset1:15
	s_cmp_lt_i32 s3, 9
	v_mov_b32_e32 v89, 7
	s_cbranch_scc1 .LBB56_149
; %bb.147:
	v_add_u32_e32 v90, 0x80, v127
	s_mov_b32 s0, 8
	v_mov_b32_e32 v89, 7
.LBB56_148:                             ; =>This Inner Loop Header: Depth=1
	s_waitcnt lgkmcnt(0)
	v_cmp_gt_f64_e32 vcc, 0, v[117:118]
	v_xor_b32_e32 v109, 0x80000000, v118
	ds_read2_b64 v[105:108], v90 offset1:1
	v_xor_b32_e32 v121, 0x80000000, v120
	v_add_u32_e32 v90, 16, v90
	s_waitcnt lgkmcnt(0)
	v_xor_b32_e32 v123, 0x80000000, v108
	v_cndmask_b32_e32 v110, v118, v109, vcc
	v_cmp_gt_f64_e32 vcc, 0, v[119:120]
	v_mov_b32_e32 v109, v117
	v_cndmask_b32_e32 v122, v120, v121, vcc
	v_cmp_gt_f64_e32 vcc, 0, v[105:106]
	v_mov_b32_e32 v121, v119
	v_add_f64 v[109:110], v[109:110], v[121:122]
	v_xor_b32_e32 v121, 0x80000000, v106
	v_cndmask_b32_e32 v122, v106, v121, vcc
	v_cmp_gt_f64_e32 vcc, 0, v[107:108]
	v_mov_b32_e32 v121, v105
	v_cndmask_b32_e32 v124, v108, v123, vcc
	v_mov_b32_e32 v123, v107
	v_add_f64 v[121:122], v[121:122], v[123:124]
	v_cmp_lt_f64_e32 vcc, v[109:110], v[121:122]
	v_cndmask_b32_e32 v117, v117, v105, vcc
	v_mov_b32_e32 v105, s0
	s_add_i32 s0, s0, 1
	v_cndmask_b32_e32 v118, v118, v106, vcc
	v_cndmask_b32_e32 v120, v120, v108, vcc
	;; [unrolled: 1-line block ×4, first 2 shown]
	s_cmp_lg_u32 s3, s0
	s_cbranch_scc1 .LBB56_148
.LBB56_149:
	s_waitcnt lgkmcnt(0)
	v_cmp_eq_f64_e32 vcc, 0, v[117:118]
	v_cmp_eq_f64_e64 s[0:1], 0, v[119:120]
	s_and_b64 s[0:1], vcc, s[0:1]
	s_and_saveexec_b64 s[18:19], s[0:1]
	s_xor_b64 s[0:1], exec, s[18:19]
; %bb.150:
	v_cmp_ne_u32_e32 vcc, 0, v92
	v_cndmask_b32_e32 v92, 8, v92, vcc
; %bb.151:
	s_andn2_saveexec_b64 s[0:1], s[0:1]
	s_cbranch_execz .LBB56_157
; %bb.152:
	v_cmp_ngt_f64_e64 s[18:19], |v[117:118]|, |v[119:120]|
	s_and_saveexec_b64 s[20:21], s[18:19]
	s_xor_b64 s[18:19], exec, s[20:21]
	s_cbranch_execz .LBB56_154
; %bb.153:
	v_div_scale_f64 v[105:106], s[20:21], v[119:120], v[119:120], v[117:118]
	v_rcp_f64_e32 v[107:108], v[105:106]
	v_fma_f64 v[109:110], -v[105:106], v[107:108], 1.0
	v_fma_f64 v[107:108], v[107:108], v[109:110], v[107:108]
	v_div_scale_f64 v[109:110], vcc, v[117:118], v[119:120], v[117:118]
	v_fma_f64 v[121:122], -v[105:106], v[107:108], 1.0
	v_fma_f64 v[107:108], v[107:108], v[121:122], v[107:108]
	v_mul_f64 v[121:122], v[109:110], v[107:108]
	v_fma_f64 v[105:106], -v[105:106], v[121:122], v[109:110]
	v_div_fmas_f64 v[105:106], v[105:106], v[107:108], v[121:122]
	v_div_fixup_f64 v[105:106], v[105:106], v[119:120], v[117:118]
	v_fma_f64 v[107:108], v[117:118], v[105:106], v[119:120]
	v_div_scale_f64 v[109:110], s[20:21], v[107:108], v[107:108], 1.0
	v_div_scale_f64 v[121:122], vcc, 1.0, v[107:108], 1.0
	v_rcp_f64_e32 v[117:118], v[109:110]
	v_fma_f64 v[119:120], -v[109:110], v[117:118], 1.0
	v_fma_f64 v[117:118], v[117:118], v[119:120], v[117:118]
	v_fma_f64 v[119:120], -v[109:110], v[117:118], 1.0
	v_fma_f64 v[117:118], v[117:118], v[119:120], v[117:118]
	v_mul_f64 v[119:120], v[121:122], v[117:118]
	v_fma_f64 v[109:110], -v[109:110], v[119:120], v[121:122]
	v_div_fmas_f64 v[109:110], v[109:110], v[117:118], v[119:120]
	v_div_fixup_f64 v[119:120], v[109:110], v[107:108], 1.0
	v_mul_f64 v[117:118], v[105:106], v[119:120]
	v_xor_b32_e32 v120, 0x80000000, v120
.LBB56_154:
	s_andn2_saveexec_b64 s[18:19], s[18:19]
	s_cbranch_execz .LBB56_156
; %bb.155:
	v_div_scale_f64 v[105:106], s[20:21], v[117:118], v[117:118], v[119:120]
	v_rcp_f64_e32 v[107:108], v[105:106]
	v_fma_f64 v[109:110], -v[105:106], v[107:108], 1.0
	v_fma_f64 v[107:108], v[107:108], v[109:110], v[107:108]
	v_div_scale_f64 v[109:110], vcc, v[119:120], v[117:118], v[119:120]
	v_fma_f64 v[121:122], -v[105:106], v[107:108], 1.0
	v_fma_f64 v[107:108], v[107:108], v[121:122], v[107:108]
	v_mul_f64 v[121:122], v[109:110], v[107:108]
	v_fma_f64 v[105:106], -v[105:106], v[121:122], v[109:110]
	v_div_fmas_f64 v[105:106], v[105:106], v[107:108], v[121:122]
	v_div_fixup_f64 v[105:106], v[105:106], v[117:118], v[119:120]
	v_fma_f64 v[107:108], v[119:120], v[105:106], v[117:118]
	v_div_scale_f64 v[109:110], s[20:21], v[107:108], v[107:108], 1.0
	v_div_scale_f64 v[121:122], vcc, 1.0, v[107:108], 1.0
	v_rcp_f64_e32 v[117:118], v[109:110]
	v_fma_f64 v[119:120], -v[109:110], v[117:118], 1.0
	v_fma_f64 v[117:118], v[117:118], v[119:120], v[117:118]
	v_fma_f64 v[119:120], -v[109:110], v[117:118], 1.0
	v_fma_f64 v[117:118], v[117:118], v[119:120], v[117:118]
	v_mul_f64 v[119:120], v[121:122], v[117:118]
	v_fma_f64 v[109:110], -v[109:110], v[119:120], v[121:122]
	v_div_fmas_f64 v[109:110], v[109:110], v[117:118], v[119:120]
	v_div_fixup_f64 v[117:118], v[109:110], v[107:108], 1.0
	v_mul_f64 v[119:120], v[105:106], -v[117:118]
.LBB56_156:
	s_or_b64 exec, exec, s[18:19]
.LBB56_157:
	s_or_b64 exec, exec, s[0:1]
	v_cmp_ne_u32_e32 vcc, v91, v89
	s_and_saveexec_b64 s[0:1], vcc
	s_xor_b64 s[0:1], exec, s[0:1]
	s_cbranch_execz .LBB56_163
; %bb.158:
	v_cmp_eq_u32_e32 vcc, 7, v91
	s_and_saveexec_b64 s[18:19], vcc
	s_cbranch_execz .LBB56_162
; %bb.159:
	v_cmp_ne_u32_e32 vcc, 7, v89
	s_xor_b64 s[20:21], s[6:7], -1
	s_and_b64 s[22:23], s[20:21], vcc
	s_and_saveexec_b64 s[20:21], s[22:23]
	s_cbranch_execz .LBB56_161
; %bb.160:
	buffer_load_dword v106, off, s[24:27], 0 offset:32 ; 4-byte Folded Reload
	buffer_load_dword v107, off, s[24:27], 0 offset:36 ; 4-byte Folded Reload
	v_ashrrev_i32_e32 v90, 31, v89
	v_lshlrev_b64 v[90:91], 2, v[89:90]
	s_waitcnt vmcnt(1)
	v_add_co_u32_e32 v90, vcc, v106, v90
	s_waitcnt vmcnt(0)
	v_addc_co_u32_e32 v91, vcc, v107, v91, vcc
	global_load_dword v0, v[90:91], off
	global_load_dword v105, v[106:107], off offset:28
	s_waitcnt vmcnt(1)
	global_store_dword v[106:107], v0, off offset:28
	s_waitcnt vmcnt(1)
	global_store_dword v[90:91], v105, off
.LBB56_161:
	s_or_b64 exec, exec, s[20:21]
	v_mov_b32_e32 v91, v89
	v_mov_b32_e32 v0, v89
.LBB56_162:
	s_or_b64 exec, exec, s[18:19]
.LBB56_163:
	s_andn2_saveexec_b64 s[0:1], s[0:1]
	s_cbranch_execz .LBB56_165
; %bb.164:
	v_mov_b32_e32 v91, 7
	ds_write2_b64 v127, v[77:78], v[79:80] offset0:16 offset1:17
	ds_write2_b64 v127, v[73:74], v[75:76] offset0:18 offset1:19
	;; [unrolled: 1-line block ×21, first 2 shown]
.LBB56_165:
	s_or_b64 exec, exec, s[0:1]
	v_cmp_lt_i32_e32 vcc, 7, v91
	s_waitcnt vmcnt(0) lgkmcnt(0)
	s_barrier
	s_and_saveexec_b64 s[0:1], vcc
	s_cbranch_execz .LBB56_167
; %bb.166:
	v_mul_f64 v[89:90], v[119:120], v[83:84]
	v_mul_f64 v[83:84], v[117:118], v[83:84]
	ds_read2_b64 v[105:108], v127 offset0:16 offset1:17
	v_fma_f64 v[125:126], v[117:118], v[81:82], -v[89:90]
	v_fma_f64 v[83:84], v[119:120], v[81:82], v[83:84]
	s_waitcnt lgkmcnt(0)
	v_mul_f64 v[81:82], v[107:108], v[83:84]
	v_mul_f64 v[89:90], v[105:106], v[83:84]
	v_fma_f64 v[81:82], v[105:106], v[125:126], -v[81:82]
	v_fma_f64 v[89:90], v[107:108], v[125:126], v[89:90]
	ds_read2_b64 v[105:108], v127 offset0:18 offset1:19
	v_add_f64 v[77:78], v[77:78], -v[81:82]
	v_add_f64 v[79:80], v[79:80], -v[89:90]
	s_waitcnt lgkmcnt(0)
	v_mul_f64 v[81:82], v[107:108], v[83:84]
	v_mul_f64 v[89:90], v[105:106], v[83:84]
	v_fma_f64 v[81:82], v[105:106], v[125:126], -v[81:82]
	v_fma_f64 v[89:90], v[107:108], v[125:126], v[89:90]
	ds_read2_b64 v[105:108], v127 offset0:20 offset1:21
	v_add_f64 v[73:74], v[73:74], -v[81:82]
	v_add_f64 v[75:76], v[75:76], -v[89:90]
	;; [unrolled: 8-line block ×20, first 2 shown]
	s_waitcnt lgkmcnt(0)
	v_mul_f64 v[81:82], v[107:108], v[83:84]
	v_mul_f64 v[89:90], v[105:106], v[83:84]
	v_fma_f64 v[81:82], v[105:106], v[125:126], -v[81:82]
	v_fma_f64 v[89:90], v[107:108], v[125:126], v[89:90]
	v_add_f64 v[113:114], v[113:114], -v[81:82]
	v_add_f64 v[115:116], v[115:116], -v[89:90]
	v_mov_b32_e32 v81, v125
	v_mov_b32_e32 v82, v126
.LBB56_167:
	s_or_b64 exec, exec, s[0:1]
	v_lshl_add_u32 v89, v91, 4, v127
	s_barrier
	ds_write2_b64 v89, v[77:78], v[79:80] offset1:1
	s_waitcnt lgkmcnt(0)
	s_barrier
	ds_read2_b64 v[117:120], v127 offset0:16 offset1:17
	s_cmp_lt_i32 s3, 10
	v_mov_b32_e32 v89, 8
	s_cbranch_scc1 .LBB56_170
; %bb.168:
	v_add_u32_e32 v90, 0x90, v127
	s_mov_b32 s0, 9
	v_mov_b32_e32 v89, 8
.LBB56_169:                             ; =>This Inner Loop Header: Depth=1
	s_waitcnt lgkmcnt(0)
	v_cmp_gt_f64_e32 vcc, 0, v[117:118]
	v_xor_b32_e32 v109, 0x80000000, v118
	ds_read2_b64 v[105:108], v90 offset1:1
	v_xor_b32_e32 v121, 0x80000000, v120
	v_add_u32_e32 v90, 16, v90
	s_waitcnt lgkmcnt(0)
	v_xor_b32_e32 v123, 0x80000000, v108
	v_cndmask_b32_e32 v110, v118, v109, vcc
	v_cmp_gt_f64_e32 vcc, 0, v[119:120]
	v_mov_b32_e32 v109, v117
	v_cndmask_b32_e32 v122, v120, v121, vcc
	v_cmp_gt_f64_e32 vcc, 0, v[105:106]
	v_mov_b32_e32 v121, v119
	v_add_f64 v[109:110], v[109:110], v[121:122]
	v_xor_b32_e32 v121, 0x80000000, v106
	v_cndmask_b32_e32 v122, v106, v121, vcc
	v_cmp_gt_f64_e32 vcc, 0, v[107:108]
	v_mov_b32_e32 v121, v105
	v_cndmask_b32_e32 v124, v108, v123, vcc
	v_mov_b32_e32 v123, v107
	v_add_f64 v[121:122], v[121:122], v[123:124]
	v_cmp_lt_f64_e32 vcc, v[109:110], v[121:122]
	v_cndmask_b32_e32 v117, v117, v105, vcc
	v_mov_b32_e32 v105, s0
	s_add_i32 s0, s0, 1
	v_cndmask_b32_e32 v118, v118, v106, vcc
	v_cndmask_b32_e32 v120, v120, v108, vcc
	;; [unrolled: 1-line block ×4, first 2 shown]
	s_cmp_lg_u32 s3, s0
	s_cbranch_scc1 .LBB56_169
.LBB56_170:
	s_waitcnt lgkmcnt(0)
	v_cmp_eq_f64_e32 vcc, 0, v[117:118]
	v_cmp_eq_f64_e64 s[0:1], 0, v[119:120]
	s_and_b64 s[0:1], vcc, s[0:1]
	s_and_saveexec_b64 s[18:19], s[0:1]
	s_xor_b64 s[0:1], exec, s[18:19]
; %bb.171:
	v_cmp_ne_u32_e32 vcc, 0, v92
	v_cndmask_b32_e32 v92, 9, v92, vcc
; %bb.172:
	s_andn2_saveexec_b64 s[0:1], s[0:1]
	s_cbranch_execz .LBB56_178
; %bb.173:
	v_cmp_ngt_f64_e64 s[18:19], |v[117:118]|, |v[119:120]|
	s_and_saveexec_b64 s[20:21], s[18:19]
	s_xor_b64 s[18:19], exec, s[20:21]
	s_cbranch_execz .LBB56_175
; %bb.174:
	v_div_scale_f64 v[105:106], s[20:21], v[119:120], v[119:120], v[117:118]
	v_rcp_f64_e32 v[107:108], v[105:106]
	v_fma_f64 v[109:110], -v[105:106], v[107:108], 1.0
	v_fma_f64 v[107:108], v[107:108], v[109:110], v[107:108]
	v_div_scale_f64 v[109:110], vcc, v[117:118], v[119:120], v[117:118]
	v_fma_f64 v[121:122], -v[105:106], v[107:108], 1.0
	v_fma_f64 v[107:108], v[107:108], v[121:122], v[107:108]
	v_mul_f64 v[121:122], v[109:110], v[107:108]
	v_fma_f64 v[105:106], -v[105:106], v[121:122], v[109:110]
	v_div_fmas_f64 v[105:106], v[105:106], v[107:108], v[121:122]
	v_div_fixup_f64 v[105:106], v[105:106], v[119:120], v[117:118]
	v_fma_f64 v[107:108], v[117:118], v[105:106], v[119:120]
	v_div_scale_f64 v[109:110], s[20:21], v[107:108], v[107:108], 1.0
	v_div_scale_f64 v[121:122], vcc, 1.0, v[107:108], 1.0
	v_rcp_f64_e32 v[117:118], v[109:110]
	v_fma_f64 v[119:120], -v[109:110], v[117:118], 1.0
	v_fma_f64 v[117:118], v[117:118], v[119:120], v[117:118]
	v_fma_f64 v[119:120], -v[109:110], v[117:118], 1.0
	v_fma_f64 v[117:118], v[117:118], v[119:120], v[117:118]
	v_mul_f64 v[119:120], v[121:122], v[117:118]
	v_fma_f64 v[109:110], -v[109:110], v[119:120], v[121:122]
	v_div_fmas_f64 v[109:110], v[109:110], v[117:118], v[119:120]
	v_div_fixup_f64 v[119:120], v[109:110], v[107:108], 1.0
	v_mul_f64 v[117:118], v[105:106], v[119:120]
	v_xor_b32_e32 v120, 0x80000000, v120
.LBB56_175:
	s_andn2_saveexec_b64 s[18:19], s[18:19]
	s_cbranch_execz .LBB56_177
; %bb.176:
	v_div_scale_f64 v[105:106], s[20:21], v[117:118], v[117:118], v[119:120]
	v_rcp_f64_e32 v[107:108], v[105:106]
	v_fma_f64 v[109:110], -v[105:106], v[107:108], 1.0
	v_fma_f64 v[107:108], v[107:108], v[109:110], v[107:108]
	v_div_scale_f64 v[109:110], vcc, v[119:120], v[117:118], v[119:120]
	v_fma_f64 v[121:122], -v[105:106], v[107:108], 1.0
	v_fma_f64 v[107:108], v[107:108], v[121:122], v[107:108]
	v_mul_f64 v[121:122], v[109:110], v[107:108]
	v_fma_f64 v[105:106], -v[105:106], v[121:122], v[109:110]
	v_div_fmas_f64 v[105:106], v[105:106], v[107:108], v[121:122]
	v_div_fixup_f64 v[105:106], v[105:106], v[117:118], v[119:120]
	v_fma_f64 v[107:108], v[119:120], v[105:106], v[117:118]
	v_div_scale_f64 v[109:110], s[20:21], v[107:108], v[107:108], 1.0
	v_div_scale_f64 v[121:122], vcc, 1.0, v[107:108], 1.0
	v_rcp_f64_e32 v[117:118], v[109:110]
	v_fma_f64 v[119:120], -v[109:110], v[117:118], 1.0
	v_fma_f64 v[117:118], v[117:118], v[119:120], v[117:118]
	v_fma_f64 v[119:120], -v[109:110], v[117:118], 1.0
	v_fma_f64 v[117:118], v[117:118], v[119:120], v[117:118]
	v_mul_f64 v[119:120], v[121:122], v[117:118]
	v_fma_f64 v[109:110], -v[109:110], v[119:120], v[121:122]
	v_div_fmas_f64 v[109:110], v[109:110], v[117:118], v[119:120]
	v_div_fixup_f64 v[117:118], v[109:110], v[107:108], 1.0
	v_mul_f64 v[119:120], v[105:106], -v[117:118]
.LBB56_177:
	s_or_b64 exec, exec, s[18:19]
.LBB56_178:
	s_or_b64 exec, exec, s[0:1]
	v_cmp_ne_u32_e32 vcc, v91, v89
	s_and_saveexec_b64 s[0:1], vcc
	s_xor_b64 s[0:1], exec, s[0:1]
	s_cbranch_execz .LBB56_184
; %bb.179:
	v_cmp_eq_u32_e32 vcc, 8, v91
	s_and_saveexec_b64 s[18:19], vcc
	s_cbranch_execz .LBB56_183
; %bb.180:
	v_cmp_ne_u32_e32 vcc, 8, v89
	s_xor_b64 s[20:21], s[6:7], -1
	s_and_b64 s[22:23], s[20:21], vcc
	s_and_saveexec_b64 s[20:21], s[22:23]
	s_cbranch_execz .LBB56_182
; %bb.181:
	buffer_load_dword v106, off, s[24:27], 0 offset:32 ; 4-byte Folded Reload
	buffer_load_dword v107, off, s[24:27], 0 offset:36 ; 4-byte Folded Reload
	v_ashrrev_i32_e32 v90, 31, v89
	v_lshlrev_b64 v[90:91], 2, v[89:90]
	s_waitcnt vmcnt(1)
	v_add_co_u32_e32 v90, vcc, v106, v90
	s_waitcnt vmcnt(0)
	v_addc_co_u32_e32 v91, vcc, v107, v91, vcc
	global_load_dword v0, v[90:91], off
	global_load_dword v105, v[106:107], off offset:32
	s_waitcnt vmcnt(1)
	global_store_dword v[106:107], v0, off offset:32
	s_waitcnt vmcnt(1)
	global_store_dword v[90:91], v105, off
.LBB56_182:
	s_or_b64 exec, exec, s[20:21]
	v_mov_b32_e32 v91, v89
	v_mov_b32_e32 v0, v89
.LBB56_183:
	s_or_b64 exec, exec, s[18:19]
.LBB56_184:
	s_andn2_saveexec_b64 s[0:1], s[0:1]
	s_cbranch_execz .LBB56_186
; %bb.185:
	v_mov_b32_e32 v91, 8
	ds_write2_b64 v127, v[73:74], v[75:76] offset0:18 offset1:19
	ds_write2_b64 v127, v[69:70], v[71:72] offset0:20 offset1:21
	;; [unrolled: 1-line block ×20, first 2 shown]
.LBB56_186:
	s_or_b64 exec, exec, s[0:1]
	v_cmp_lt_i32_e32 vcc, 8, v91
	s_waitcnt vmcnt(0) lgkmcnt(0)
	s_barrier
	s_and_saveexec_b64 s[0:1], vcc
	s_cbranch_execz .LBB56_188
; %bb.187:
	v_mul_f64 v[89:90], v[119:120], v[79:80]
	v_mul_f64 v[79:80], v[117:118], v[79:80]
	ds_read2_b64 v[105:108], v127 offset0:18 offset1:19
	v_fma_f64 v[125:126], v[117:118], v[77:78], -v[89:90]
	v_fma_f64 v[79:80], v[119:120], v[77:78], v[79:80]
	s_waitcnt lgkmcnt(0)
	v_mul_f64 v[77:78], v[107:108], v[79:80]
	v_mul_f64 v[89:90], v[105:106], v[79:80]
	v_fma_f64 v[77:78], v[105:106], v[125:126], -v[77:78]
	v_fma_f64 v[89:90], v[107:108], v[125:126], v[89:90]
	ds_read2_b64 v[105:108], v127 offset0:20 offset1:21
	v_add_f64 v[73:74], v[73:74], -v[77:78]
	v_add_f64 v[75:76], v[75:76], -v[89:90]
	s_waitcnt lgkmcnt(0)
	v_mul_f64 v[77:78], v[107:108], v[79:80]
	v_mul_f64 v[89:90], v[105:106], v[79:80]
	v_fma_f64 v[77:78], v[105:106], v[125:126], -v[77:78]
	v_fma_f64 v[89:90], v[107:108], v[125:126], v[89:90]
	ds_read2_b64 v[105:108], v127 offset0:22 offset1:23
	v_add_f64 v[69:70], v[69:70], -v[77:78]
	v_add_f64 v[71:72], v[71:72], -v[89:90]
	;; [unrolled: 8-line block ×19, first 2 shown]
	s_waitcnt lgkmcnt(0)
	v_mul_f64 v[77:78], v[107:108], v[79:80]
	v_mul_f64 v[89:90], v[105:106], v[79:80]
	v_fma_f64 v[77:78], v[105:106], v[125:126], -v[77:78]
	v_fma_f64 v[89:90], v[107:108], v[125:126], v[89:90]
	v_add_f64 v[113:114], v[113:114], -v[77:78]
	v_add_f64 v[115:116], v[115:116], -v[89:90]
	v_mov_b32_e32 v77, v125
	v_mov_b32_e32 v78, v126
.LBB56_188:
	s_or_b64 exec, exec, s[0:1]
	v_lshl_add_u32 v89, v91, 4, v127
	s_barrier
	ds_write2_b64 v89, v[73:74], v[75:76] offset1:1
	s_waitcnt lgkmcnt(0)
	s_barrier
	ds_read2_b64 v[117:120], v127 offset0:18 offset1:19
	s_cmp_lt_i32 s3, 11
	v_mov_b32_e32 v89, 9
	s_cbranch_scc1 .LBB56_191
; %bb.189:
	v_add_u32_e32 v90, 0xa0, v127
	s_mov_b32 s0, 10
	v_mov_b32_e32 v89, 9
.LBB56_190:                             ; =>This Inner Loop Header: Depth=1
	s_waitcnt lgkmcnt(0)
	v_cmp_gt_f64_e32 vcc, 0, v[117:118]
	v_xor_b32_e32 v109, 0x80000000, v118
	ds_read2_b64 v[105:108], v90 offset1:1
	v_xor_b32_e32 v121, 0x80000000, v120
	v_add_u32_e32 v90, 16, v90
	s_waitcnt lgkmcnt(0)
	v_xor_b32_e32 v123, 0x80000000, v108
	v_cndmask_b32_e32 v110, v118, v109, vcc
	v_cmp_gt_f64_e32 vcc, 0, v[119:120]
	v_mov_b32_e32 v109, v117
	v_cndmask_b32_e32 v122, v120, v121, vcc
	v_cmp_gt_f64_e32 vcc, 0, v[105:106]
	v_mov_b32_e32 v121, v119
	v_add_f64 v[109:110], v[109:110], v[121:122]
	v_xor_b32_e32 v121, 0x80000000, v106
	v_cndmask_b32_e32 v122, v106, v121, vcc
	v_cmp_gt_f64_e32 vcc, 0, v[107:108]
	v_mov_b32_e32 v121, v105
	v_cndmask_b32_e32 v124, v108, v123, vcc
	v_mov_b32_e32 v123, v107
	v_add_f64 v[121:122], v[121:122], v[123:124]
	v_cmp_lt_f64_e32 vcc, v[109:110], v[121:122]
	v_cndmask_b32_e32 v117, v117, v105, vcc
	v_mov_b32_e32 v105, s0
	s_add_i32 s0, s0, 1
	v_cndmask_b32_e32 v118, v118, v106, vcc
	v_cndmask_b32_e32 v120, v120, v108, vcc
	;; [unrolled: 1-line block ×4, first 2 shown]
	s_cmp_lg_u32 s3, s0
	s_cbranch_scc1 .LBB56_190
.LBB56_191:
	s_waitcnt lgkmcnt(0)
	v_cmp_eq_f64_e32 vcc, 0, v[117:118]
	v_cmp_eq_f64_e64 s[0:1], 0, v[119:120]
	s_and_b64 s[0:1], vcc, s[0:1]
	s_and_saveexec_b64 s[18:19], s[0:1]
	s_xor_b64 s[0:1], exec, s[18:19]
; %bb.192:
	v_cmp_ne_u32_e32 vcc, 0, v92
	v_cndmask_b32_e32 v92, 10, v92, vcc
; %bb.193:
	s_andn2_saveexec_b64 s[0:1], s[0:1]
	s_cbranch_execz .LBB56_199
; %bb.194:
	v_cmp_ngt_f64_e64 s[18:19], |v[117:118]|, |v[119:120]|
	s_and_saveexec_b64 s[20:21], s[18:19]
	s_xor_b64 s[18:19], exec, s[20:21]
	s_cbranch_execz .LBB56_196
; %bb.195:
	v_div_scale_f64 v[105:106], s[20:21], v[119:120], v[119:120], v[117:118]
	v_rcp_f64_e32 v[107:108], v[105:106]
	v_fma_f64 v[109:110], -v[105:106], v[107:108], 1.0
	v_fma_f64 v[107:108], v[107:108], v[109:110], v[107:108]
	v_div_scale_f64 v[109:110], vcc, v[117:118], v[119:120], v[117:118]
	v_fma_f64 v[121:122], -v[105:106], v[107:108], 1.0
	v_fma_f64 v[107:108], v[107:108], v[121:122], v[107:108]
	v_mul_f64 v[121:122], v[109:110], v[107:108]
	v_fma_f64 v[105:106], -v[105:106], v[121:122], v[109:110]
	v_div_fmas_f64 v[105:106], v[105:106], v[107:108], v[121:122]
	v_div_fixup_f64 v[105:106], v[105:106], v[119:120], v[117:118]
	v_fma_f64 v[107:108], v[117:118], v[105:106], v[119:120]
	v_div_scale_f64 v[109:110], s[20:21], v[107:108], v[107:108], 1.0
	v_div_scale_f64 v[121:122], vcc, 1.0, v[107:108], 1.0
	v_rcp_f64_e32 v[117:118], v[109:110]
	v_fma_f64 v[119:120], -v[109:110], v[117:118], 1.0
	v_fma_f64 v[117:118], v[117:118], v[119:120], v[117:118]
	v_fma_f64 v[119:120], -v[109:110], v[117:118], 1.0
	v_fma_f64 v[117:118], v[117:118], v[119:120], v[117:118]
	v_mul_f64 v[119:120], v[121:122], v[117:118]
	v_fma_f64 v[109:110], -v[109:110], v[119:120], v[121:122]
	v_div_fmas_f64 v[109:110], v[109:110], v[117:118], v[119:120]
	v_div_fixup_f64 v[119:120], v[109:110], v[107:108], 1.0
	v_mul_f64 v[117:118], v[105:106], v[119:120]
	v_xor_b32_e32 v120, 0x80000000, v120
.LBB56_196:
	s_andn2_saveexec_b64 s[18:19], s[18:19]
	s_cbranch_execz .LBB56_198
; %bb.197:
	v_div_scale_f64 v[105:106], s[20:21], v[117:118], v[117:118], v[119:120]
	v_rcp_f64_e32 v[107:108], v[105:106]
	v_fma_f64 v[109:110], -v[105:106], v[107:108], 1.0
	v_fma_f64 v[107:108], v[107:108], v[109:110], v[107:108]
	v_div_scale_f64 v[109:110], vcc, v[119:120], v[117:118], v[119:120]
	v_fma_f64 v[121:122], -v[105:106], v[107:108], 1.0
	v_fma_f64 v[107:108], v[107:108], v[121:122], v[107:108]
	v_mul_f64 v[121:122], v[109:110], v[107:108]
	v_fma_f64 v[105:106], -v[105:106], v[121:122], v[109:110]
	v_div_fmas_f64 v[105:106], v[105:106], v[107:108], v[121:122]
	v_div_fixup_f64 v[105:106], v[105:106], v[117:118], v[119:120]
	v_fma_f64 v[107:108], v[119:120], v[105:106], v[117:118]
	v_div_scale_f64 v[109:110], s[20:21], v[107:108], v[107:108], 1.0
	v_div_scale_f64 v[121:122], vcc, 1.0, v[107:108], 1.0
	v_rcp_f64_e32 v[117:118], v[109:110]
	v_fma_f64 v[119:120], -v[109:110], v[117:118], 1.0
	v_fma_f64 v[117:118], v[117:118], v[119:120], v[117:118]
	v_fma_f64 v[119:120], -v[109:110], v[117:118], 1.0
	v_fma_f64 v[117:118], v[117:118], v[119:120], v[117:118]
	v_mul_f64 v[119:120], v[121:122], v[117:118]
	v_fma_f64 v[109:110], -v[109:110], v[119:120], v[121:122]
	v_div_fmas_f64 v[109:110], v[109:110], v[117:118], v[119:120]
	v_div_fixup_f64 v[117:118], v[109:110], v[107:108], 1.0
	v_mul_f64 v[119:120], v[105:106], -v[117:118]
.LBB56_198:
	s_or_b64 exec, exec, s[18:19]
.LBB56_199:
	s_or_b64 exec, exec, s[0:1]
	v_cmp_ne_u32_e32 vcc, v91, v89
	s_and_saveexec_b64 s[0:1], vcc
	s_xor_b64 s[0:1], exec, s[0:1]
	s_cbranch_execz .LBB56_205
; %bb.200:
	v_cmp_eq_u32_e32 vcc, 9, v91
	s_and_saveexec_b64 s[18:19], vcc
	s_cbranch_execz .LBB56_204
; %bb.201:
	v_cmp_ne_u32_e32 vcc, 9, v89
	s_xor_b64 s[20:21], s[6:7], -1
	s_and_b64 s[22:23], s[20:21], vcc
	s_and_saveexec_b64 s[20:21], s[22:23]
	s_cbranch_execz .LBB56_203
; %bb.202:
	buffer_load_dword v106, off, s[24:27], 0 offset:32 ; 4-byte Folded Reload
	buffer_load_dword v107, off, s[24:27], 0 offset:36 ; 4-byte Folded Reload
	v_ashrrev_i32_e32 v90, 31, v89
	v_lshlrev_b64 v[90:91], 2, v[89:90]
	s_waitcnt vmcnt(1)
	v_add_co_u32_e32 v90, vcc, v106, v90
	s_waitcnt vmcnt(0)
	v_addc_co_u32_e32 v91, vcc, v107, v91, vcc
	global_load_dword v0, v[90:91], off
	global_load_dword v105, v[106:107], off offset:36
	s_waitcnt vmcnt(1)
	global_store_dword v[106:107], v0, off offset:36
	s_waitcnt vmcnt(1)
	global_store_dword v[90:91], v105, off
.LBB56_203:
	s_or_b64 exec, exec, s[20:21]
	v_mov_b32_e32 v91, v89
	v_mov_b32_e32 v0, v89
.LBB56_204:
	s_or_b64 exec, exec, s[18:19]
.LBB56_205:
	s_andn2_saveexec_b64 s[0:1], s[0:1]
	s_cbranch_execz .LBB56_207
; %bb.206:
	v_mov_b32_e32 v91, 9
	ds_write2_b64 v127, v[69:70], v[71:72] offset0:20 offset1:21
	ds_write2_b64 v127, v[65:66], v[67:68] offset0:22 offset1:23
	;; [unrolled: 1-line block ×19, first 2 shown]
.LBB56_207:
	s_or_b64 exec, exec, s[0:1]
	v_cmp_lt_i32_e32 vcc, 9, v91
	s_waitcnt vmcnt(0) lgkmcnt(0)
	s_barrier
	s_and_saveexec_b64 s[0:1], vcc
	s_cbranch_execz .LBB56_209
; %bb.208:
	v_mul_f64 v[89:90], v[119:120], v[75:76]
	v_mul_f64 v[75:76], v[117:118], v[75:76]
	ds_read2_b64 v[105:108], v127 offset0:20 offset1:21
	v_fma_f64 v[125:126], v[117:118], v[73:74], -v[89:90]
	v_fma_f64 v[75:76], v[119:120], v[73:74], v[75:76]
	s_waitcnt lgkmcnt(0)
	v_mul_f64 v[73:74], v[107:108], v[75:76]
	v_mul_f64 v[89:90], v[105:106], v[75:76]
	v_fma_f64 v[73:74], v[105:106], v[125:126], -v[73:74]
	v_fma_f64 v[89:90], v[107:108], v[125:126], v[89:90]
	ds_read2_b64 v[105:108], v127 offset0:22 offset1:23
	v_add_f64 v[69:70], v[69:70], -v[73:74]
	v_add_f64 v[71:72], v[71:72], -v[89:90]
	s_waitcnt lgkmcnt(0)
	v_mul_f64 v[73:74], v[107:108], v[75:76]
	v_mul_f64 v[89:90], v[105:106], v[75:76]
	v_fma_f64 v[73:74], v[105:106], v[125:126], -v[73:74]
	v_fma_f64 v[89:90], v[107:108], v[125:126], v[89:90]
	ds_read2_b64 v[105:108], v127 offset0:24 offset1:25
	v_add_f64 v[65:66], v[65:66], -v[73:74]
	v_add_f64 v[67:68], v[67:68], -v[89:90]
	;; [unrolled: 8-line block ×18, first 2 shown]
	s_waitcnt lgkmcnt(0)
	v_mul_f64 v[73:74], v[107:108], v[75:76]
	v_mul_f64 v[89:90], v[105:106], v[75:76]
	v_fma_f64 v[73:74], v[105:106], v[125:126], -v[73:74]
	v_fma_f64 v[89:90], v[107:108], v[125:126], v[89:90]
	v_add_f64 v[113:114], v[113:114], -v[73:74]
	v_add_f64 v[115:116], v[115:116], -v[89:90]
	v_mov_b32_e32 v73, v125
	v_mov_b32_e32 v74, v126
.LBB56_209:
	s_or_b64 exec, exec, s[0:1]
	v_lshl_add_u32 v89, v91, 4, v127
	s_barrier
	ds_write2_b64 v89, v[69:70], v[71:72] offset1:1
	s_waitcnt lgkmcnt(0)
	s_barrier
	ds_read2_b64 v[117:120], v127 offset0:20 offset1:21
	s_cmp_lt_i32 s3, 12
	v_mov_b32_e32 v89, 10
	s_cbranch_scc1 .LBB56_212
; %bb.210:
	v_add_u32_e32 v90, 0xb0, v127
	s_mov_b32 s0, 11
	v_mov_b32_e32 v89, 10
.LBB56_211:                             ; =>This Inner Loop Header: Depth=1
	s_waitcnt lgkmcnt(0)
	v_cmp_gt_f64_e32 vcc, 0, v[117:118]
	v_xor_b32_e32 v109, 0x80000000, v118
	ds_read2_b64 v[105:108], v90 offset1:1
	v_xor_b32_e32 v121, 0x80000000, v120
	v_add_u32_e32 v90, 16, v90
	s_waitcnt lgkmcnt(0)
	v_xor_b32_e32 v123, 0x80000000, v108
	v_cndmask_b32_e32 v110, v118, v109, vcc
	v_cmp_gt_f64_e32 vcc, 0, v[119:120]
	v_mov_b32_e32 v109, v117
	v_cndmask_b32_e32 v122, v120, v121, vcc
	v_cmp_gt_f64_e32 vcc, 0, v[105:106]
	v_mov_b32_e32 v121, v119
	v_add_f64 v[109:110], v[109:110], v[121:122]
	v_xor_b32_e32 v121, 0x80000000, v106
	v_cndmask_b32_e32 v122, v106, v121, vcc
	v_cmp_gt_f64_e32 vcc, 0, v[107:108]
	v_mov_b32_e32 v121, v105
	v_cndmask_b32_e32 v124, v108, v123, vcc
	v_mov_b32_e32 v123, v107
	v_add_f64 v[121:122], v[121:122], v[123:124]
	v_cmp_lt_f64_e32 vcc, v[109:110], v[121:122]
	v_cndmask_b32_e32 v117, v117, v105, vcc
	v_mov_b32_e32 v105, s0
	s_add_i32 s0, s0, 1
	v_cndmask_b32_e32 v118, v118, v106, vcc
	v_cndmask_b32_e32 v120, v120, v108, vcc
	v_cndmask_b32_e32 v119, v119, v107, vcc
	v_cndmask_b32_e32 v89, v89, v105, vcc
	s_cmp_lg_u32 s3, s0
	s_cbranch_scc1 .LBB56_211
.LBB56_212:
	s_waitcnt lgkmcnt(0)
	v_cmp_eq_f64_e32 vcc, 0, v[117:118]
	v_cmp_eq_f64_e64 s[0:1], 0, v[119:120]
	s_and_b64 s[0:1], vcc, s[0:1]
	s_and_saveexec_b64 s[18:19], s[0:1]
	s_xor_b64 s[0:1], exec, s[18:19]
; %bb.213:
	v_cmp_ne_u32_e32 vcc, 0, v92
	v_cndmask_b32_e32 v92, 11, v92, vcc
; %bb.214:
	s_andn2_saveexec_b64 s[0:1], s[0:1]
	s_cbranch_execz .LBB56_220
; %bb.215:
	v_cmp_ngt_f64_e64 s[18:19], |v[117:118]|, |v[119:120]|
	s_and_saveexec_b64 s[20:21], s[18:19]
	s_xor_b64 s[18:19], exec, s[20:21]
	s_cbranch_execz .LBB56_217
; %bb.216:
	v_div_scale_f64 v[105:106], s[20:21], v[119:120], v[119:120], v[117:118]
	v_rcp_f64_e32 v[107:108], v[105:106]
	v_fma_f64 v[109:110], -v[105:106], v[107:108], 1.0
	v_fma_f64 v[107:108], v[107:108], v[109:110], v[107:108]
	v_div_scale_f64 v[109:110], vcc, v[117:118], v[119:120], v[117:118]
	v_fma_f64 v[121:122], -v[105:106], v[107:108], 1.0
	v_fma_f64 v[107:108], v[107:108], v[121:122], v[107:108]
	v_mul_f64 v[121:122], v[109:110], v[107:108]
	v_fma_f64 v[105:106], -v[105:106], v[121:122], v[109:110]
	v_div_fmas_f64 v[105:106], v[105:106], v[107:108], v[121:122]
	v_div_fixup_f64 v[105:106], v[105:106], v[119:120], v[117:118]
	v_fma_f64 v[107:108], v[117:118], v[105:106], v[119:120]
	v_div_scale_f64 v[109:110], s[20:21], v[107:108], v[107:108], 1.0
	v_div_scale_f64 v[121:122], vcc, 1.0, v[107:108], 1.0
	v_rcp_f64_e32 v[117:118], v[109:110]
	v_fma_f64 v[119:120], -v[109:110], v[117:118], 1.0
	v_fma_f64 v[117:118], v[117:118], v[119:120], v[117:118]
	v_fma_f64 v[119:120], -v[109:110], v[117:118], 1.0
	v_fma_f64 v[117:118], v[117:118], v[119:120], v[117:118]
	v_mul_f64 v[119:120], v[121:122], v[117:118]
	v_fma_f64 v[109:110], -v[109:110], v[119:120], v[121:122]
	v_div_fmas_f64 v[109:110], v[109:110], v[117:118], v[119:120]
	v_div_fixup_f64 v[119:120], v[109:110], v[107:108], 1.0
	v_mul_f64 v[117:118], v[105:106], v[119:120]
	v_xor_b32_e32 v120, 0x80000000, v120
.LBB56_217:
	s_andn2_saveexec_b64 s[18:19], s[18:19]
	s_cbranch_execz .LBB56_219
; %bb.218:
	v_div_scale_f64 v[105:106], s[20:21], v[117:118], v[117:118], v[119:120]
	v_rcp_f64_e32 v[107:108], v[105:106]
	v_fma_f64 v[109:110], -v[105:106], v[107:108], 1.0
	v_fma_f64 v[107:108], v[107:108], v[109:110], v[107:108]
	v_div_scale_f64 v[109:110], vcc, v[119:120], v[117:118], v[119:120]
	v_fma_f64 v[121:122], -v[105:106], v[107:108], 1.0
	v_fma_f64 v[107:108], v[107:108], v[121:122], v[107:108]
	v_mul_f64 v[121:122], v[109:110], v[107:108]
	v_fma_f64 v[105:106], -v[105:106], v[121:122], v[109:110]
	v_div_fmas_f64 v[105:106], v[105:106], v[107:108], v[121:122]
	v_div_fixup_f64 v[105:106], v[105:106], v[117:118], v[119:120]
	v_fma_f64 v[107:108], v[119:120], v[105:106], v[117:118]
	v_div_scale_f64 v[109:110], s[20:21], v[107:108], v[107:108], 1.0
	v_div_scale_f64 v[121:122], vcc, 1.0, v[107:108], 1.0
	v_rcp_f64_e32 v[117:118], v[109:110]
	v_fma_f64 v[119:120], -v[109:110], v[117:118], 1.0
	v_fma_f64 v[117:118], v[117:118], v[119:120], v[117:118]
	v_fma_f64 v[119:120], -v[109:110], v[117:118], 1.0
	v_fma_f64 v[117:118], v[117:118], v[119:120], v[117:118]
	v_mul_f64 v[119:120], v[121:122], v[117:118]
	v_fma_f64 v[109:110], -v[109:110], v[119:120], v[121:122]
	v_div_fmas_f64 v[109:110], v[109:110], v[117:118], v[119:120]
	v_div_fixup_f64 v[117:118], v[109:110], v[107:108], 1.0
	v_mul_f64 v[119:120], v[105:106], -v[117:118]
.LBB56_219:
	s_or_b64 exec, exec, s[18:19]
.LBB56_220:
	s_or_b64 exec, exec, s[0:1]
	v_cmp_ne_u32_e32 vcc, v91, v89
	s_and_saveexec_b64 s[0:1], vcc
	s_xor_b64 s[0:1], exec, s[0:1]
	s_cbranch_execz .LBB56_226
; %bb.221:
	v_cmp_eq_u32_e32 vcc, 10, v91
	s_and_saveexec_b64 s[18:19], vcc
	s_cbranch_execz .LBB56_225
; %bb.222:
	v_cmp_ne_u32_e32 vcc, 10, v89
	s_xor_b64 s[20:21], s[6:7], -1
	s_and_b64 s[22:23], s[20:21], vcc
	s_and_saveexec_b64 s[20:21], s[22:23]
	s_cbranch_execz .LBB56_224
; %bb.223:
	buffer_load_dword v106, off, s[24:27], 0 offset:32 ; 4-byte Folded Reload
	buffer_load_dword v107, off, s[24:27], 0 offset:36 ; 4-byte Folded Reload
	v_ashrrev_i32_e32 v90, 31, v89
	v_lshlrev_b64 v[90:91], 2, v[89:90]
	s_waitcnt vmcnt(1)
	v_add_co_u32_e32 v90, vcc, v106, v90
	s_waitcnt vmcnt(0)
	v_addc_co_u32_e32 v91, vcc, v107, v91, vcc
	global_load_dword v0, v[90:91], off
	global_load_dword v105, v[106:107], off offset:40
	s_waitcnt vmcnt(1)
	global_store_dword v[106:107], v0, off offset:40
	s_waitcnt vmcnt(1)
	global_store_dword v[90:91], v105, off
.LBB56_224:
	s_or_b64 exec, exec, s[20:21]
	v_mov_b32_e32 v91, v89
	v_mov_b32_e32 v0, v89
.LBB56_225:
	s_or_b64 exec, exec, s[18:19]
.LBB56_226:
	s_andn2_saveexec_b64 s[0:1], s[0:1]
	s_cbranch_execz .LBB56_228
; %bb.227:
	v_mov_b32_e32 v91, 10
	ds_write2_b64 v127, v[65:66], v[67:68] offset0:22 offset1:23
	ds_write2_b64 v127, v[61:62], v[63:64] offset0:24 offset1:25
	ds_write2_b64 v127, v[57:58], v[59:60] offset0:26 offset1:27
	ds_write2_b64 v127, v[53:54], v[55:56] offset0:28 offset1:29
	ds_write2_b64 v127, v[49:50], v[51:52] offset0:30 offset1:31
	ds_write2_b64 v127, v[45:46], v[47:48] offset0:32 offset1:33
	ds_write2_b64 v127, v[41:42], v[43:44] offset0:34 offset1:35
	ds_write2_b64 v127, v[37:38], v[39:40] offset0:36 offset1:37
	ds_write2_b64 v127, v[33:34], v[35:36] offset0:38 offset1:39
	ds_write2_b64 v127, v[29:30], v[31:32] offset0:40 offset1:41
	ds_write2_b64 v127, v[25:26], v[27:28] offset0:42 offset1:43
	ds_write2_b64 v127, v[21:22], v[23:24] offset0:44 offset1:45
	ds_write2_b64 v127, v[17:18], v[19:20] offset0:46 offset1:47
	ds_write2_b64 v127, v[13:14], v[15:16] offset0:48 offset1:49
	ds_write2_b64 v127, v[9:10], v[11:12] offset0:50 offset1:51
	ds_write2_b64 v127, v[5:6], v[7:8] offset0:52 offset1:53
	ds_write2_b64 v127, v[1:2], v[3:4] offset0:54 offset1:55
	ds_write2_b64 v127, v[113:114], v[115:116] offset0:56 offset1:57
.LBB56_228:
	s_or_b64 exec, exec, s[0:1]
	v_cmp_lt_i32_e32 vcc, 10, v91
	s_waitcnt vmcnt(0) lgkmcnt(0)
	s_barrier
	s_and_saveexec_b64 s[0:1], vcc
	s_cbranch_execz .LBB56_230
; %bb.229:
	v_mul_f64 v[89:90], v[119:120], v[71:72]
	v_mul_f64 v[71:72], v[117:118], v[71:72]
	ds_read2_b64 v[105:108], v127 offset0:22 offset1:23
	v_fma_f64 v[125:126], v[117:118], v[69:70], -v[89:90]
	v_fma_f64 v[71:72], v[119:120], v[69:70], v[71:72]
	s_waitcnt lgkmcnt(0)
	v_mul_f64 v[69:70], v[107:108], v[71:72]
	v_mul_f64 v[89:90], v[105:106], v[71:72]
	v_fma_f64 v[69:70], v[105:106], v[125:126], -v[69:70]
	v_fma_f64 v[89:90], v[107:108], v[125:126], v[89:90]
	ds_read2_b64 v[105:108], v127 offset0:24 offset1:25
	v_add_f64 v[65:66], v[65:66], -v[69:70]
	v_add_f64 v[67:68], v[67:68], -v[89:90]
	s_waitcnt lgkmcnt(0)
	v_mul_f64 v[69:70], v[107:108], v[71:72]
	v_mul_f64 v[89:90], v[105:106], v[71:72]
	v_fma_f64 v[69:70], v[105:106], v[125:126], -v[69:70]
	v_fma_f64 v[89:90], v[107:108], v[125:126], v[89:90]
	ds_read2_b64 v[105:108], v127 offset0:26 offset1:27
	v_add_f64 v[61:62], v[61:62], -v[69:70]
	v_add_f64 v[63:64], v[63:64], -v[89:90]
	;; [unrolled: 8-line block ×17, first 2 shown]
	s_waitcnt lgkmcnt(0)
	v_mul_f64 v[69:70], v[107:108], v[71:72]
	v_mul_f64 v[89:90], v[105:106], v[71:72]
	v_fma_f64 v[69:70], v[105:106], v[125:126], -v[69:70]
	v_fma_f64 v[89:90], v[107:108], v[125:126], v[89:90]
	v_add_f64 v[113:114], v[113:114], -v[69:70]
	v_add_f64 v[115:116], v[115:116], -v[89:90]
	v_mov_b32_e32 v69, v125
	v_mov_b32_e32 v70, v126
.LBB56_230:
	s_or_b64 exec, exec, s[0:1]
	v_lshl_add_u32 v89, v91, 4, v127
	s_barrier
	ds_write2_b64 v89, v[65:66], v[67:68] offset1:1
	s_waitcnt lgkmcnt(0)
	s_barrier
	ds_read2_b64 v[117:120], v127 offset0:22 offset1:23
	s_cmp_lt_i32 s3, 13
	v_mov_b32_e32 v89, 11
	s_cbranch_scc1 .LBB56_233
; %bb.231:
	v_add_u32_e32 v90, 0xc0, v127
	s_mov_b32 s0, 12
	v_mov_b32_e32 v89, 11
.LBB56_232:                             ; =>This Inner Loop Header: Depth=1
	s_waitcnt lgkmcnt(0)
	v_cmp_gt_f64_e32 vcc, 0, v[117:118]
	v_xor_b32_e32 v109, 0x80000000, v118
	ds_read2_b64 v[105:108], v90 offset1:1
	v_xor_b32_e32 v121, 0x80000000, v120
	v_add_u32_e32 v90, 16, v90
	s_waitcnt lgkmcnt(0)
	v_xor_b32_e32 v123, 0x80000000, v108
	v_cndmask_b32_e32 v110, v118, v109, vcc
	v_cmp_gt_f64_e32 vcc, 0, v[119:120]
	v_mov_b32_e32 v109, v117
	v_cndmask_b32_e32 v122, v120, v121, vcc
	v_cmp_gt_f64_e32 vcc, 0, v[105:106]
	v_mov_b32_e32 v121, v119
	v_add_f64 v[109:110], v[109:110], v[121:122]
	v_xor_b32_e32 v121, 0x80000000, v106
	v_cndmask_b32_e32 v122, v106, v121, vcc
	v_cmp_gt_f64_e32 vcc, 0, v[107:108]
	v_mov_b32_e32 v121, v105
	v_cndmask_b32_e32 v124, v108, v123, vcc
	v_mov_b32_e32 v123, v107
	v_add_f64 v[121:122], v[121:122], v[123:124]
	v_cmp_lt_f64_e32 vcc, v[109:110], v[121:122]
	v_cndmask_b32_e32 v117, v117, v105, vcc
	v_mov_b32_e32 v105, s0
	s_add_i32 s0, s0, 1
	v_cndmask_b32_e32 v118, v118, v106, vcc
	v_cndmask_b32_e32 v120, v120, v108, vcc
	;; [unrolled: 1-line block ×4, first 2 shown]
	s_cmp_lg_u32 s3, s0
	s_cbranch_scc1 .LBB56_232
.LBB56_233:
	s_waitcnt lgkmcnt(0)
	v_cmp_eq_f64_e32 vcc, 0, v[117:118]
	v_cmp_eq_f64_e64 s[0:1], 0, v[119:120]
	s_and_b64 s[0:1], vcc, s[0:1]
	s_and_saveexec_b64 s[18:19], s[0:1]
	s_xor_b64 s[0:1], exec, s[18:19]
; %bb.234:
	v_cmp_ne_u32_e32 vcc, 0, v92
	v_cndmask_b32_e32 v92, 12, v92, vcc
; %bb.235:
	s_andn2_saveexec_b64 s[0:1], s[0:1]
	s_cbranch_execz .LBB56_241
; %bb.236:
	v_cmp_ngt_f64_e64 s[18:19], |v[117:118]|, |v[119:120]|
	s_and_saveexec_b64 s[20:21], s[18:19]
	s_xor_b64 s[18:19], exec, s[20:21]
	s_cbranch_execz .LBB56_238
; %bb.237:
	v_div_scale_f64 v[105:106], s[20:21], v[119:120], v[119:120], v[117:118]
	v_rcp_f64_e32 v[107:108], v[105:106]
	v_fma_f64 v[109:110], -v[105:106], v[107:108], 1.0
	v_fma_f64 v[107:108], v[107:108], v[109:110], v[107:108]
	v_div_scale_f64 v[109:110], vcc, v[117:118], v[119:120], v[117:118]
	v_fma_f64 v[121:122], -v[105:106], v[107:108], 1.0
	v_fma_f64 v[107:108], v[107:108], v[121:122], v[107:108]
	v_mul_f64 v[121:122], v[109:110], v[107:108]
	v_fma_f64 v[105:106], -v[105:106], v[121:122], v[109:110]
	v_div_fmas_f64 v[105:106], v[105:106], v[107:108], v[121:122]
	v_div_fixup_f64 v[105:106], v[105:106], v[119:120], v[117:118]
	v_fma_f64 v[107:108], v[117:118], v[105:106], v[119:120]
	v_div_scale_f64 v[109:110], s[20:21], v[107:108], v[107:108], 1.0
	v_div_scale_f64 v[121:122], vcc, 1.0, v[107:108], 1.0
	v_rcp_f64_e32 v[117:118], v[109:110]
	v_fma_f64 v[119:120], -v[109:110], v[117:118], 1.0
	v_fma_f64 v[117:118], v[117:118], v[119:120], v[117:118]
	v_fma_f64 v[119:120], -v[109:110], v[117:118], 1.0
	v_fma_f64 v[117:118], v[117:118], v[119:120], v[117:118]
	v_mul_f64 v[119:120], v[121:122], v[117:118]
	v_fma_f64 v[109:110], -v[109:110], v[119:120], v[121:122]
	v_div_fmas_f64 v[109:110], v[109:110], v[117:118], v[119:120]
	v_div_fixup_f64 v[119:120], v[109:110], v[107:108], 1.0
	v_mul_f64 v[117:118], v[105:106], v[119:120]
	v_xor_b32_e32 v120, 0x80000000, v120
.LBB56_238:
	s_andn2_saveexec_b64 s[18:19], s[18:19]
	s_cbranch_execz .LBB56_240
; %bb.239:
	v_div_scale_f64 v[105:106], s[20:21], v[117:118], v[117:118], v[119:120]
	v_rcp_f64_e32 v[107:108], v[105:106]
	v_fma_f64 v[109:110], -v[105:106], v[107:108], 1.0
	v_fma_f64 v[107:108], v[107:108], v[109:110], v[107:108]
	v_div_scale_f64 v[109:110], vcc, v[119:120], v[117:118], v[119:120]
	v_fma_f64 v[121:122], -v[105:106], v[107:108], 1.0
	v_fma_f64 v[107:108], v[107:108], v[121:122], v[107:108]
	v_mul_f64 v[121:122], v[109:110], v[107:108]
	v_fma_f64 v[105:106], -v[105:106], v[121:122], v[109:110]
	v_div_fmas_f64 v[105:106], v[105:106], v[107:108], v[121:122]
	v_div_fixup_f64 v[105:106], v[105:106], v[117:118], v[119:120]
	v_fma_f64 v[107:108], v[119:120], v[105:106], v[117:118]
	v_div_scale_f64 v[109:110], s[20:21], v[107:108], v[107:108], 1.0
	v_div_scale_f64 v[121:122], vcc, 1.0, v[107:108], 1.0
	v_rcp_f64_e32 v[117:118], v[109:110]
	v_fma_f64 v[119:120], -v[109:110], v[117:118], 1.0
	v_fma_f64 v[117:118], v[117:118], v[119:120], v[117:118]
	v_fma_f64 v[119:120], -v[109:110], v[117:118], 1.0
	v_fma_f64 v[117:118], v[117:118], v[119:120], v[117:118]
	v_mul_f64 v[119:120], v[121:122], v[117:118]
	v_fma_f64 v[109:110], -v[109:110], v[119:120], v[121:122]
	v_div_fmas_f64 v[109:110], v[109:110], v[117:118], v[119:120]
	v_div_fixup_f64 v[117:118], v[109:110], v[107:108], 1.0
	v_mul_f64 v[119:120], v[105:106], -v[117:118]
.LBB56_240:
	s_or_b64 exec, exec, s[18:19]
.LBB56_241:
	s_or_b64 exec, exec, s[0:1]
	v_cmp_ne_u32_e32 vcc, v91, v89
	s_and_saveexec_b64 s[0:1], vcc
	s_xor_b64 s[0:1], exec, s[0:1]
	s_cbranch_execz .LBB56_247
; %bb.242:
	v_cmp_eq_u32_e32 vcc, 11, v91
	s_and_saveexec_b64 s[18:19], vcc
	s_cbranch_execz .LBB56_246
; %bb.243:
	v_cmp_ne_u32_e32 vcc, 11, v89
	s_xor_b64 s[20:21], s[6:7], -1
	s_and_b64 s[22:23], s[20:21], vcc
	s_and_saveexec_b64 s[20:21], s[22:23]
	s_cbranch_execz .LBB56_245
; %bb.244:
	buffer_load_dword v106, off, s[24:27], 0 offset:32 ; 4-byte Folded Reload
	buffer_load_dword v107, off, s[24:27], 0 offset:36 ; 4-byte Folded Reload
	v_ashrrev_i32_e32 v90, 31, v89
	v_lshlrev_b64 v[90:91], 2, v[89:90]
	s_waitcnt vmcnt(1)
	v_add_co_u32_e32 v90, vcc, v106, v90
	s_waitcnt vmcnt(0)
	v_addc_co_u32_e32 v91, vcc, v107, v91, vcc
	global_load_dword v0, v[90:91], off
	global_load_dword v105, v[106:107], off offset:44
	s_waitcnt vmcnt(1)
	global_store_dword v[106:107], v0, off offset:44
	s_waitcnt vmcnt(1)
	global_store_dword v[90:91], v105, off
.LBB56_245:
	s_or_b64 exec, exec, s[20:21]
	v_mov_b32_e32 v91, v89
	v_mov_b32_e32 v0, v89
.LBB56_246:
	s_or_b64 exec, exec, s[18:19]
.LBB56_247:
	s_andn2_saveexec_b64 s[0:1], s[0:1]
	s_cbranch_execz .LBB56_249
; %bb.248:
	v_mov_b32_e32 v91, 11
	ds_write2_b64 v127, v[61:62], v[63:64] offset0:24 offset1:25
	ds_write2_b64 v127, v[57:58], v[59:60] offset0:26 offset1:27
	;; [unrolled: 1-line block ×17, first 2 shown]
.LBB56_249:
	s_or_b64 exec, exec, s[0:1]
	v_cmp_lt_i32_e32 vcc, 11, v91
	s_waitcnt vmcnt(0) lgkmcnt(0)
	s_barrier
	s_and_saveexec_b64 s[0:1], vcc
	s_cbranch_execz .LBB56_251
; %bb.250:
	v_mul_f64 v[89:90], v[119:120], v[67:68]
	v_mul_f64 v[67:68], v[117:118], v[67:68]
	ds_read2_b64 v[105:108], v127 offset0:24 offset1:25
	v_fma_f64 v[125:126], v[117:118], v[65:66], -v[89:90]
	v_fma_f64 v[67:68], v[119:120], v[65:66], v[67:68]
	s_waitcnt lgkmcnt(0)
	v_mul_f64 v[65:66], v[107:108], v[67:68]
	v_mul_f64 v[89:90], v[105:106], v[67:68]
	v_fma_f64 v[65:66], v[105:106], v[125:126], -v[65:66]
	v_fma_f64 v[89:90], v[107:108], v[125:126], v[89:90]
	ds_read2_b64 v[105:108], v127 offset0:26 offset1:27
	v_add_f64 v[61:62], v[61:62], -v[65:66]
	v_add_f64 v[63:64], v[63:64], -v[89:90]
	s_waitcnt lgkmcnt(0)
	v_mul_f64 v[65:66], v[107:108], v[67:68]
	v_mul_f64 v[89:90], v[105:106], v[67:68]
	v_fma_f64 v[65:66], v[105:106], v[125:126], -v[65:66]
	v_fma_f64 v[89:90], v[107:108], v[125:126], v[89:90]
	ds_read2_b64 v[105:108], v127 offset0:28 offset1:29
	v_add_f64 v[57:58], v[57:58], -v[65:66]
	v_add_f64 v[59:60], v[59:60], -v[89:90]
	;; [unrolled: 8-line block ×16, first 2 shown]
	s_waitcnt lgkmcnt(0)
	v_mul_f64 v[65:66], v[107:108], v[67:68]
	v_mul_f64 v[89:90], v[105:106], v[67:68]
	v_fma_f64 v[65:66], v[105:106], v[125:126], -v[65:66]
	v_fma_f64 v[89:90], v[107:108], v[125:126], v[89:90]
	v_add_f64 v[113:114], v[113:114], -v[65:66]
	v_add_f64 v[115:116], v[115:116], -v[89:90]
	v_mov_b32_e32 v65, v125
	v_mov_b32_e32 v66, v126
.LBB56_251:
	s_or_b64 exec, exec, s[0:1]
	v_lshl_add_u32 v89, v91, 4, v127
	s_barrier
	ds_write2_b64 v89, v[61:62], v[63:64] offset1:1
	s_waitcnt lgkmcnt(0)
	s_barrier
	ds_read2_b64 v[117:120], v127 offset0:24 offset1:25
	s_cmp_lt_i32 s3, 14
	v_mov_b32_e32 v89, 12
	s_cbranch_scc1 .LBB56_254
; %bb.252:
	v_add_u32_e32 v90, 0xd0, v127
	s_mov_b32 s0, 13
	v_mov_b32_e32 v89, 12
.LBB56_253:                             ; =>This Inner Loop Header: Depth=1
	s_waitcnt lgkmcnt(0)
	v_cmp_gt_f64_e32 vcc, 0, v[117:118]
	v_xor_b32_e32 v109, 0x80000000, v118
	ds_read2_b64 v[105:108], v90 offset1:1
	v_xor_b32_e32 v121, 0x80000000, v120
	v_add_u32_e32 v90, 16, v90
	s_waitcnt lgkmcnt(0)
	v_xor_b32_e32 v123, 0x80000000, v108
	v_cndmask_b32_e32 v110, v118, v109, vcc
	v_cmp_gt_f64_e32 vcc, 0, v[119:120]
	v_mov_b32_e32 v109, v117
	v_cndmask_b32_e32 v122, v120, v121, vcc
	v_cmp_gt_f64_e32 vcc, 0, v[105:106]
	v_mov_b32_e32 v121, v119
	v_add_f64 v[109:110], v[109:110], v[121:122]
	v_xor_b32_e32 v121, 0x80000000, v106
	v_cndmask_b32_e32 v122, v106, v121, vcc
	v_cmp_gt_f64_e32 vcc, 0, v[107:108]
	v_mov_b32_e32 v121, v105
	v_cndmask_b32_e32 v124, v108, v123, vcc
	v_mov_b32_e32 v123, v107
	v_add_f64 v[121:122], v[121:122], v[123:124]
	v_cmp_lt_f64_e32 vcc, v[109:110], v[121:122]
	v_cndmask_b32_e32 v117, v117, v105, vcc
	v_mov_b32_e32 v105, s0
	s_add_i32 s0, s0, 1
	v_cndmask_b32_e32 v118, v118, v106, vcc
	v_cndmask_b32_e32 v120, v120, v108, vcc
	;; [unrolled: 1-line block ×4, first 2 shown]
	s_cmp_lg_u32 s3, s0
	s_cbranch_scc1 .LBB56_253
.LBB56_254:
	s_waitcnt lgkmcnt(0)
	v_cmp_eq_f64_e32 vcc, 0, v[117:118]
	v_cmp_eq_f64_e64 s[0:1], 0, v[119:120]
	s_and_b64 s[0:1], vcc, s[0:1]
	s_and_saveexec_b64 s[18:19], s[0:1]
	s_xor_b64 s[0:1], exec, s[18:19]
; %bb.255:
	v_cmp_ne_u32_e32 vcc, 0, v92
	v_cndmask_b32_e32 v92, 13, v92, vcc
; %bb.256:
	s_andn2_saveexec_b64 s[0:1], s[0:1]
	s_cbranch_execz .LBB56_262
; %bb.257:
	v_cmp_ngt_f64_e64 s[18:19], |v[117:118]|, |v[119:120]|
	s_and_saveexec_b64 s[20:21], s[18:19]
	s_xor_b64 s[18:19], exec, s[20:21]
	s_cbranch_execz .LBB56_259
; %bb.258:
	v_div_scale_f64 v[105:106], s[20:21], v[119:120], v[119:120], v[117:118]
	v_rcp_f64_e32 v[107:108], v[105:106]
	v_fma_f64 v[109:110], -v[105:106], v[107:108], 1.0
	v_fma_f64 v[107:108], v[107:108], v[109:110], v[107:108]
	v_div_scale_f64 v[109:110], vcc, v[117:118], v[119:120], v[117:118]
	v_fma_f64 v[121:122], -v[105:106], v[107:108], 1.0
	v_fma_f64 v[107:108], v[107:108], v[121:122], v[107:108]
	v_mul_f64 v[121:122], v[109:110], v[107:108]
	v_fma_f64 v[105:106], -v[105:106], v[121:122], v[109:110]
	v_div_fmas_f64 v[105:106], v[105:106], v[107:108], v[121:122]
	v_div_fixup_f64 v[105:106], v[105:106], v[119:120], v[117:118]
	v_fma_f64 v[107:108], v[117:118], v[105:106], v[119:120]
	v_div_scale_f64 v[109:110], s[20:21], v[107:108], v[107:108], 1.0
	v_div_scale_f64 v[121:122], vcc, 1.0, v[107:108], 1.0
	v_rcp_f64_e32 v[117:118], v[109:110]
	v_fma_f64 v[119:120], -v[109:110], v[117:118], 1.0
	v_fma_f64 v[117:118], v[117:118], v[119:120], v[117:118]
	v_fma_f64 v[119:120], -v[109:110], v[117:118], 1.0
	v_fma_f64 v[117:118], v[117:118], v[119:120], v[117:118]
	v_mul_f64 v[119:120], v[121:122], v[117:118]
	v_fma_f64 v[109:110], -v[109:110], v[119:120], v[121:122]
	v_div_fmas_f64 v[109:110], v[109:110], v[117:118], v[119:120]
	v_div_fixup_f64 v[119:120], v[109:110], v[107:108], 1.0
	v_mul_f64 v[117:118], v[105:106], v[119:120]
	v_xor_b32_e32 v120, 0x80000000, v120
.LBB56_259:
	s_andn2_saveexec_b64 s[18:19], s[18:19]
	s_cbranch_execz .LBB56_261
; %bb.260:
	v_div_scale_f64 v[105:106], s[20:21], v[117:118], v[117:118], v[119:120]
	v_rcp_f64_e32 v[107:108], v[105:106]
	v_fma_f64 v[109:110], -v[105:106], v[107:108], 1.0
	v_fma_f64 v[107:108], v[107:108], v[109:110], v[107:108]
	v_div_scale_f64 v[109:110], vcc, v[119:120], v[117:118], v[119:120]
	v_fma_f64 v[121:122], -v[105:106], v[107:108], 1.0
	v_fma_f64 v[107:108], v[107:108], v[121:122], v[107:108]
	v_mul_f64 v[121:122], v[109:110], v[107:108]
	v_fma_f64 v[105:106], -v[105:106], v[121:122], v[109:110]
	v_div_fmas_f64 v[105:106], v[105:106], v[107:108], v[121:122]
	v_div_fixup_f64 v[105:106], v[105:106], v[117:118], v[119:120]
	v_fma_f64 v[107:108], v[119:120], v[105:106], v[117:118]
	v_div_scale_f64 v[109:110], s[20:21], v[107:108], v[107:108], 1.0
	v_div_scale_f64 v[121:122], vcc, 1.0, v[107:108], 1.0
	v_rcp_f64_e32 v[117:118], v[109:110]
	v_fma_f64 v[119:120], -v[109:110], v[117:118], 1.0
	v_fma_f64 v[117:118], v[117:118], v[119:120], v[117:118]
	v_fma_f64 v[119:120], -v[109:110], v[117:118], 1.0
	v_fma_f64 v[117:118], v[117:118], v[119:120], v[117:118]
	v_mul_f64 v[119:120], v[121:122], v[117:118]
	v_fma_f64 v[109:110], -v[109:110], v[119:120], v[121:122]
	v_div_fmas_f64 v[109:110], v[109:110], v[117:118], v[119:120]
	v_div_fixup_f64 v[117:118], v[109:110], v[107:108], 1.0
	v_mul_f64 v[119:120], v[105:106], -v[117:118]
.LBB56_261:
	s_or_b64 exec, exec, s[18:19]
.LBB56_262:
	s_or_b64 exec, exec, s[0:1]
	v_cmp_ne_u32_e32 vcc, v91, v89
	s_and_saveexec_b64 s[0:1], vcc
	s_xor_b64 s[0:1], exec, s[0:1]
	s_cbranch_execz .LBB56_268
; %bb.263:
	v_cmp_eq_u32_e32 vcc, 12, v91
	s_and_saveexec_b64 s[18:19], vcc
	s_cbranch_execz .LBB56_267
; %bb.264:
	v_cmp_ne_u32_e32 vcc, 12, v89
	s_xor_b64 s[20:21], s[6:7], -1
	s_and_b64 s[22:23], s[20:21], vcc
	s_and_saveexec_b64 s[20:21], s[22:23]
	s_cbranch_execz .LBB56_266
; %bb.265:
	buffer_load_dword v106, off, s[24:27], 0 offset:32 ; 4-byte Folded Reload
	buffer_load_dword v107, off, s[24:27], 0 offset:36 ; 4-byte Folded Reload
	v_ashrrev_i32_e32 v90, 31, v89
	v_lshlrev_b64 v[90:91], 2, v[89:90]
	s_waitcnt vmcnt(1)
	v_add_co_u32_e32 v90, vcc, v106, v90
	s_waitcnt vmcnt(0)
	v_addc_co_u32_e32 v91, vcc, v107, v91, vcc
	global_load_dword v0, v[90:91], off
	global_load_dword v105, v[106:107], off offset:48
	s_waitcnt vmcnt(1)
	global_store_dword v[106:107], v0, off offset:48
	s_waitcnt vmcnt(1)
	global_store_dword v[90:91], v105, off
.LBB56_266:
	s_or_b64 exec, exec, s[20:21]
	v_mov_b32_e32 v91, v89
	v_mov_b32_e32 v0, v89
.LBB56_267:
	s_or_b64 exec, exec, s[18:19]
.LBB56_268:
	s_andn2_saveexec_b64 s[0:1], s[0:1]
	s_cbranch_execz .LBB56_270
; %bb.269:
	v_mov_b32_e32 v91, 12
	ds_write2_b64 v127, v[57:58], v[59:60] offset0:26 offset1:27
	ds_write2_b64 v127, v[53:54], v[55:56] offset0:28 offset1:29
	;; [unrolled: 1-line block ×16, first 2 shown]
.LBB56_270:
	s_or_b64 exec, exec, s[0:1]
	v_cmp_lt_i32_e32 vcc, 12, v91
	s_waitcnt vmcnt(0) lgkmcnt(0)
	s_barrier
	s_and_saveexec_b64 s[0:1], vcc
	s_cbranch_execz .LBB56_272
; %bb.271:
	v_mul_f64 v[89:90], v[117:118], v[63:64]
	v_mul_f64 v[63:64], v[119:120], v[63:64]
	ds_read2_b64 v[105:108], v127 offset0:26 offset1:27
	v_fma_f64 v[125:126], v[119:120], v[61:62], v[89:90]
	v_fma_f64 v[61:62], v[117:118], v[61:62], -v[63:64]
	s_waitcnt lgkmcnt(0)
	v_mul_f64 v[63:64], v[107:108], v[125:126]
	v_mul_f64 v[89:90], v[105:106], v[125:126]
	v_fma_f64 v[63:64], v[105:106], v[61:62], -v[63:64]
	v_fma_f64 v[89:90], v[107:108], v[61:62], v[89:90]
	ds_read2_b64 v[105:108], v127 offset0:28 offset1:29
	v_add_f64 v[57:58], v[57:58], -v[63:64]
	v_add_f64 v[59:60], v[59:60], -v[89:90]
	s_waitcnt lgkmcnt(0)
	v_mul_f64 v[63:64], v[107:108], v[125:126]
	v_mul_f64 v[89:90], v[105:106], v[125:126]
	v_fma_f64 v[63:64], v[105:106], v[61:62], -v[63:64]
	v_fma_f64 v[89:90], v[107:108], v[61:62], v[89:90]
	ds_read2_b64 v[105:108], v127 offset0:30 offset1:31
	v_add_f64 v[53:54], v[53:54], -v[63:64]
	v_add_f64 v[55:56], v[55:56], -v[89:90]
	;; [unrolled: 8-line block ×15, first 2 shown]
	s_waitcnt lgkmcnt(0)
	v_mul_f64 v[63:64], v[107:108], v[125:126]
	v_mul_f64 v[89:90], v[105:106], v[125:126]
	v_fma_f64 v[63:64], v[105:106], v[61:62], -v[63:64]
	v_fma_f64 v[89:90], v[107:108], v[61:62], v[89:90]
	v_add_f64 v[113:114], v[113:114], -v[63:64]
	v_add_f64 v[115:116], v[115:116], -v[89:90]
	v_mov_b32_e32 v63, v125
	v_mov_b32_e32 v64, v126
.LBB56_272:
	s_or_b64 exec, exec, s[0:1]
	v_lshl_add_u32 v89, v91, 4, v127
	s_barrier
	ds_write2_b64 v89, v[57:58], v[59:60] offset1:1
	s_waitcnt lgkmcnt(0)
	s_barrier
	ds_read2_b64 v[117:120], v127 offset0:26 offset1:27
	s_cmp_lt_i32 s3, 15
	v_mov_b32_e32 v89, 13
	s_cbranch_scc1 .LBB56_275
; %bb.273:
	v_add_u32_e32 v90, 0xe0, v127
	s_mov_b32 s0, 14
	v_mov_b32_e32 v89, 13
.LBB56_274:                             ; =>This Inner Loop Header: Depth=1
	s_waitcnt lgkmcnt(0)
	v_cmp_gt_f64_e32 vcc, 0, v[117:118]
	v_xor_b32_e32 v109, 0x80000000, v118
	ds_read2_b64 v[105:108], v90 offset1:1
	v_xor_b32_e32 v121, 0x80000000, v120
	v_add_u32_e32 v90, 16, v90
	s_waitcnt lgkmcnt(0)
	v_xor_b32_e32 v123, 0x80000000, v108
	v_cndmask_b32_e32 v110, v118, v109, vcc
	v_cmp_gt_f64_e32 vcc, 0, v[119:120]
	v_mov_b32_e32 v109, v117
	v_cndmask_b32_e32 v122, v120, v121, vcc
	v_cmp_gt_f64_e32 vcc, 0, v[105:106]
	v_mov_b32_e32 v121, v119
	v_add_f64 v[109:110], v[109:110], v[121:122]
	v_xor_b32_e32 v121, 0x80000000, v106
	v_cndmask_b32_e32 v122, v106, v121, vcc
	v_cmp_gt_f64_e32 vcc, 0, v[107:108]
	v_mov_b32_e32 v121, v105
	v_cndmask_b32_e32 v124, v108, v123, vcc
	v_mov_b32_e32 v123, v107
	v_add_f64 v[121:122], v[121:122], v[123:124]
	v_cmp_lt_f64_e32 vcc, v[109:110], v[121:122]
	v_cndmask_b32_e32 v117, v117, v105, vcc
	v_mov_b32_e32 v105, s0
	s_add_i32 s0, s0, 1
	v_cndmask_b32_e32 v118, v118, v106, vcc
	v_cndmask_b32_e32 v120, v120, v108, vcc
	;; [unrolled: 1-line block ×4, first 2 shown]
	s_cmp_lg_u32 s3, s0
	s_cbranch_scc1 .LBB56_274
.LBB56_275:
	s_waitcnt lgkmcnt(0)
	v_cmp_eq_f64_e32 vcc, 0, v[117:118]
	v_cmp_eq_f64_e64 s[0:1], 0, v[119:120]
	s_and_b64 s[0:1], vcc, s[0:1]
	s_and_saveexec_b64 s[18:19], s[0:1]
	s_xor_b64 s[0:1], exec, s[18:19]
; %bb.276:
	v_cmp_ne_u32_e32 vcc, 0, v92
	v_cndmask_b32_e32 v92, 14, v92, vcc
; %bb.277:
	s_andn2_saveexec_b64 s[0:1], s[0:1]
	s_cbranch_execz .LBB56_283
; %bb.278:
	v_cmp_ngt_f64_e64 s[18:19], |v[117:118]|, |v[119:120]|
	s_and_saveexec_b64 s[20:21], s[18:19]
	s_xor_b64 s[18:19], exec, s[20:21]
	s_cbranch_execz .LBB56_280
; %bb.279:
	v_div_scale_f64 v[105:106], s[20:21], v[119:120], v[119:120], v[117:118]
	v_rcp_f64_e32 v[107:108], v[105:106]
	v_fma_f64 v[109:110], -v[105:106], v[107:108], 1.0
	v_fma_f64 v[107:108], v[107:108], v[109:110], v[107:108]
	v_div_scale_f64 v[109:110], vcc, v[117:118], v[119:120], v[117:118]
	v_fma_f64 v[121:122], -v[105:106], v[107:108], 1.0
	v_fma_f64 v[107:108], v[107:108], v[121:122], v[107:108]
	v_mul_f64 v[121:122], v[109:110], v[107:108]
	v_fma_f64 v[105:106], -v[105:106], v[121:122], v[109:110]
	v_div_fmas_f64 v[105:106], v[105:106], v[107:108], v[121:122]
	v_div_fixup_f64 v[105:106], v[105:106], v[119:120], v[117:118]
	v_fma_f64 v[107:108], v[117:118], v[105:106], v[119:120]
	v_div_scale_f64 v[109:110], s[20:21], v[107:108], v[107:108], 1.0
	v_div_scale_f64 v[121:122], vcc, 1.0, v[107:108], 1.0
	v_rcp_f64_e32 v[117:118], v[109:110]
	v_fma_f64 v[119:120], -v[109:110], v[117:118], 1.0
	v_fma_f64 v[117:118], v[117:118], v[119:120], v[117:118]
	v_fma_f64 v[119:120], -v[109:110], v[117:118], 1.0
	v_fma_f64 v[117:118], v[117:118], v[119:120], v[117:118]
	v_mul_f64 v[119:120], v[121:122], v[117:118]
	v_fma_f64 v[109:110], -v[109:110], v[119:120], v[121:122]
	v_div_fmas_f64 v[109:110], v[109:110], v[117:118], v[119:120]
	v_div_fixup_f64 v[119:120], v[109:110], v[107:108], 1.0
	v_mul_f64 v[117:118], v[105:106], v[119:120]
	v_xor_b32_e32 v120, 0x80000000, v120
.LBB56_280:
	s_andn2_saveexec_b64 s[18:19], s[18:19]
	s_cbranch_execz .LBB56_282
; %bb.281:
	v_div_scale_f64 v[105:106], s[20:21], v[117:118], v[117:118], v[119:120]
	v_rcp_f64_e32 v[107:108], v[105:106]
	v_fma_f64 v[109:110], -v[105:106], v[107:108], 1.0
	v_fma_f64 v[107:108], v[107:108], v[109:110], v[107:108]
	v_div_scale_f64 v[109:110], vcc, v[119:120], v[117:118], v[119:120]
	v_fma_f64 v[121:122], -v[105:106], v[107:108], 1.0
	v_fma_f64 v[107:108], v[107:108], v[121:122], v[107:108]
	v_mul_f64 v[121:122], v[109:110], v[107:108]
	v_fma_f64 v[105:106], -v[105:106], v[121:122], v[109:110]
	v_div_fmas_f64 v[105:106], v[105:106], v[107:108], v[121:122]
	v_div_fixup_f64 v[105:106], v[105:106], v[117:118], v[119:120]
	v_fma_f64 v[107:108], v[119:120], v[105:106], v[117:118]
	v_div_scale_f64 v[109:110], s[20:21], v[107:108], v[107:108], 1.0
	v_div_scale_f64 v[121:122], vcc, 1.0, v[107:108], 1.0
	v_rcp_f64_e32 v[117:118], v[109:110]
	v_fma_f64 v[119:120], -v[109:110], v[117:118], 1.0
	v_fma_f64 v[117:118], v[117:118], v[119:120], v[117:118]
	v_fma_f64 v[119:120], -v[109:110], v[117:118], 1.0
	v_fma_f64 v[117:118], v[117:118], v[119:120], v[117:118]
	v_mul_f64 v[119:120], v[121:122], v[117:118]
	v_fma_f64 v[109:110], -v[109:110], v[119:120], v[121:122]
	v_div_fmas_f64 v[109:110], v[109:110], v[117:118], v[119:120]
	v_div_fixup_f64 v[117:118], v[109:110], v[107:108], 1.0
	v_mul_f64 v[119:120], v[105:106], -v[117:118]
.LBB56_282:
	s_or_b64 exec, exec, s[18:19]
.LBB56_283:
	s_or_b64 exec, exec, s[0:1]
	v_cmp_ne_u32_e32 vcc, v91, v89
	s_and_saveexec_b64 s[0:1], vcc
	s_xor_b64 s[0:1], exec, s[0:1]
	s_cbranch_execz .LBB56_289
; %bb.284:
	v_cmp_eq_u32_e32 vcc, 13, v91
	s_and_saveexec_b64 s[18:19], vcc
	s_cbranch_execz .LBB56_288
; %bb.285:
	v_cmp_ne_u32_e32 vcc, 13, v89
	s_xor_b64 s[20:21], s[6:7], -1
	s_and_b64 s[22:23], s[20:21], vcc
	s_and_saveexec_b64 s[20:21], s[22:23]
	s_cbranch_execz .LBB56_287
; %bb.286:
	buffer_load_dword v106, off, s[24:27], 0 offset:32 ; 4-byte Folded Reload
	buffer_load_dword v107, off, s[24:27], 0 offset:36 ; 4-byte Folded Reload
	v_ashrrev_i32_e32 v90, 31, v89
	v_lshlrev_b64 v[90:91], 2, v[89:90]
	s_waitcnt vmcnt(1)
	v_add_co_u32_e32 v90, vcc, v106, v90
	s_waitcnt vmcnt(0)
	v_addc_co_u32_e32 v91, vcc, v107, v91, vcc
	global_load_dword v0, v[90:91], off
	global_load_dword v105, v[106:107], off offset:52
	s_waitcnt vmcnt(1)
	global_store_dword v[106:107], v0, off offset:52
	s_waitcnt vmcnt(1)
	global_store_dword v[90:91], v105, off
.LBB56_287:
	s_or_b64 exec, exec, s[20:21]
	v_mov_b32_e32 v91, v89
	v_mov_b32_e32 v0, v89
.LBB56_288:
	s_or_b64 exec, exec, s[18:19]
.LBB56_289:
	s_andn2_saveexec_b64 s[0:1], s[0:1]
	s_cbranch_execz .LBB56_291
; %bb.290:
	v_mov_b32_e32 v91, 13
	ds_write2_b64 v127, v[53:54], v[55:56] offset0:28 offset1:29
	ds_write2_b64 v127, v[49:50], v[51:52] offset0:30 offset1:31
	;; [unrolled: 1-line block ×15, first 2 shown]
.LBB56_291:
	s_or_b64 exec, exec, s[0:1]
	v_cmp_lt_i32_e32 vcc, 13, v91
	s_waitcnt vmcnt(0) lgkmcnt(0)
	s_barrier
	s_and_saveexec_b64 s[0:1], vcc
	s_cbranch_execz .LBB56_293
; %bb.292:
	v_mul_f64 v[89:90], v[117:118], v[59:60]
	v_mul_f64 v[59:60], v[119:120], v[59:60]
	ds_read2_b64 v[105:108], v127 offset0:28 offset1:29
	v_fma_f64 v[125:126], v[119:120], v[57:58], v[89:90]
	v_fma_f64 v[57:58], v[117:118], v[57:58], -v[59:60]
	s_waitcnt lgkmcnt(0)
	v_mul_f64 v[59:60], v[107:108], v[125:126]
	v_mul_f64 v[89:90], v[105:106], v[125:126]
	v_fma_f64 v[59:60], v[105:106], v[57:58], -v[59:60]
	v_fma_f64 v[89:90], v[107:108], v[57:58], v[89:90]
	ds_read2_b64 v[105:108], v127 offset0:30 offset1:31
	v_add_f64 v[53:54], v[53:54], -v[59:60]
	v_add_f64 v[55:56], v[55:56], -v[89:90]
	s_waitcnt lgkmcnt(0)
	v_mul_f64 v[59:60], v[107:108], v[125:126]
	v_mul_f64 v[89:90], v[105:106], v[125:126]
	v_fma_f64 v[59:60], v[105:106], v[57:58], -v[59:60]
	v_fma_f64 v[89:90], v[107:108], v[57:58], v[89:90]
	ds_read2_b64 v[105:108], v127 offset0:32 offset1:33
	v_add_f64 v[49:50], v[49:50], -v[59:60]
	v_add_f64 v[51:52], v[51:52], -v[89:90]
	;; [unrolled: 8-line block ×14, first 2 shown]
	s_waitcnt lgkmcnt(0)
	v_mul_f64 v[59:60], v[107:108], v[125:126]
	v_mul_f64 v[89:90], v[105:106], v[125:126]
	v_fma_f64 v[59:60], v[105:106], v[57:58], -v[59:60]
	v_fma_f64 v[89:90], v[107:108], v[57:58], v[89:90]
	v_add_f64 v[113:114], v[113:114], -v[59:60]
	v_add_f64 v[115:116], v[115:116], -v[89:90]
	v_mov_b32_e32 v59, v125
	v_mov_b32_e32 v60, v126
.LBB56_293:
	s_or_b64 exec, exec, s[0:1]
	v_lshl_add_u32 v89, v91, 4, v127
	s_barrier
	ds_write2_b64 v89, v[53:54], v[55:56] offset1:1
	s_waitcnt lgkmcnt(0)
	s_barrier
	ds_read2_b64 v[117:120], v127 offset0:28 offset1:29
	s_cmp_lt_i32 s3, 16
	v_mov_b32_e32 v89, 14
	s_cbranch_scc1 .LBB56_296
; %bb.294:
	v_add_u32_e32 v90, 0xf0, v127
	s_mov_b32 s0, 15
	v_mov_b32_e32 v89, 14
.LBB56_295:                             ; =>This Inner Loop Header: Depth=1
	s_waitcnt lgkmcnt(0)
	v_cmp_gt_f64_e32 vcc, 0, v[117:118]
	v_xor_b32_e32 v109, 0x80000000, v118
	ds_read2_b64 v[105:108], v90 offset1:1
	v_xor_b32_e32 v121, 0x80000000, v120
	v_add_u32_e32 v90, 16, v90
	s_waitcnt lgkmcnt(0)
	v_xor_b32_e32 v123, 0x80000000, v108
	v_cndmask_b32_e32 v110, v118, v109, vcc
	v_cmp_gt_f64_e32 vcc, 0, v[119:120]
	v_mov_b32_e32 v109, v117
	v_cndmask_b32_e32 v122, v120, v121, vcc
	v_cmp_gt_f64_e32 vcc, 0, v[105:106]
	v_mov_b32_e32 v121, v119
	v_add_f64 v[109:110], v[109:110], v[121:122]
	v_xor_b32_e32 v121, 0x80000000, v106
	v_cndmask_b32_e32 v122, v106, v121, vcc
	v_cmp_gt_f64_e32 vcc, 0, v[107:108]
	v_mov_b32_e32 v121, v105
	v_cndmask_b32_e32 v124, v108, v123, vcc
	v_mov_b32_e32 v123, v107
	v_add_f64 v[121:122], v[121:122], v[123:124]
	v_cmp_lt_f64_e32 vcc, v[109:110], v[121:122]
	v_cndmask_b32_e32 v117, v117, v105, vcc
	v_mov_b32_e32 v105, s0
	s_add_i32 s0, s0, 1
	v_cndmask_b32_e32 v118, v118, v106, vcc
	v_cndmask_b32_e32 v120, v120, v108, vcc
	;; [unrolled: 1-line block ×4, first 2 shown]
	s_cmp_lg_u32 s3, s0
	s_cbranch_scc1 .LBB56_295
.LBB56_296:
	s_waitcnt lgkmcnt(0)
	v_cmp_eq_f64_e32 vcc, 0, v[117:118]
	v_cmp_eq_f64_e64 s[0:1], 0, v[119:120]
	s_and_b64 s[0:1], vcc, s[0:1]
	s_and_saveexec_b64 s[18:19], s[0:1]
	s_xor_b64 s[0:1], exec, s[18:19]
; %bb.297:
	v_cmp_ne_u32_e32 vcc, 0, v92
	v_cndmask_b32_e32 v92, 15, v92, vcc
; %bb.298:
	s_andn2_saveexec_b64 s[0:1], s[0:1]
	s_cbranch_execz .LBB56_304
; %bb.299:
	v_cmp_ngt_f64_e64 s[18:19], |v[117:118]|, |v[119:120]|
	s_and_saveexec_b64 s[20:21], s[18:19]
	s_xor_b64 s[18:19], exec, s[20:21]
	s_cbranch_execz .LBB56_301
; %bb.300:
	v_div_scale_f64 v[105:106], s[20:21], v[119:120], v[119:120], v[117:118]
	v_rcp_f64_e32 v[107:108], v[105:106]
	v_fma_f64 v[109:110], -v[105:106], v[107:108], 1.0
	v_fma_f64 v[107:108], v[107:108], v[109:110], v[107:108]
	v_div_scale_f64 v[109:110], vcc, v[117:118], v[119:120], v[117:118]
	v_fma_f64 v[121:122], -v[105:106], v[107:108], 1.0
	v_fma_f64 v[107:108], v[107:108], v[121:122], v[107:108]
	v_mul_f64 v[121:122], v[109:110], v[107:108]
	v_fma_f64 v[105:106], -v[105:106], v[121:122], v[109:110]
	v_div_fmas_f64 v[105:106], v[105:106], v[107:108], v[121:122]
	v_div_fixup_f64 v[105:106], v[105:106], v[119:120], v[117:118]
	v_fma_f64 v[107:108], v[117:118], v[105:106], v[119:120]
	v_div_scale_f64 v[109:110], s[20:21], v[107:108], v[107:108], 1.0
	v_div_scale_f64 v[121:122], vcc, 1.0, v[107:108], 1.0
	v_rcp_f64_e32 v[117:118], v[109:110]
	v_fma_f64 v[119:120], -v[109:110], v[117:118], 1.0
	v_fma_f64 v[117:118], v[117:118], v[119:120], v[117:118]
	v_fma_f64 v[119:120], -v[109:110], v[117:118], 1.0
	v_fma_f64 v[117:118], v[117:118], v[119:120], v[117:118]
	v_mul_f64 v[119:120], v[121:122], v[117:118]
	v_fma_f64 v[109:110], -v[109:110], v[119:120], v[121:122]
	v_div_fmas_f64 v[109:110], v[109:110], v[117:118], v[119:120]
	v_div_fixup_f64 v[119:120], v[109:110], v[107:108], 1.0
	v_mul_f64 v[117:118], v[105:106], v[119:120]
	v_xor_b32_e32 v120, 0x80000000, v120
.LBB56_301:
	s_andn2_saveexec_b64 s[18:19], s[18:19]
	s_cbranch_execz .LBB56_303
; %bb.302:
	v_div_scale_f64 v[105:106], s[20:21], v[117:118], v[117:118], v[119:120]
	v_rcp_f64_e32 v[107:108], v[105:106]
	v_fma_f64 v[109:110], -v[105:106], v[107:108], 1.0
	v_fma_f64 v[107:108], v[107:108], v[109:110], v[107:108]
	v_div_scale_f64 v[109:110], vcc, v[119:120], v[117:118], v[119:120]
	v_fma_f64 v[121:122], -v[105:106], v[107:108], 1.0
	v_fma_f64 v[107:108], v[107:108], v[121:122], v[107:108]
	v_mul_f64 v[121:122], v[109:110], v[107:108]
	v_fma_f64 v[105:106], -v[105:106], v[121:122], v[109:110]
	v_div_fmas_f64 v[105:106], v[105:106], v[107:108], v[121:122]
	v_div_fixup_f64 v[105:106], v[105:106], v[117:118], v[119:120]
	v_fma_f64 v[107:108], v[119:120], v[105:106], v[117:118]
	v_div_scale_f64 v[109:110], s[20:21], v[107:108], v[107:108], 1.0
	v_div_scale_f64 v[121:122], vcc, 1.0, v[107:108], 1.0
	v_rcp_f64_e32 v[117:118], v[109:110]
	v_fma_f64 v[119:120], -v[109:110], v[117:118], 1.0
	v_fma_f64 v[117:118], v[117:118], v[119:120], v[117:118]
	v_fma_f64 v[119:120], -v[109:110], v[117:118], 1.0
	v_fma_f64 v[117:118], v[117:118], v[119:120], v[117:118]
	v_mul_f64 v[119:120], v[121:122], v[117:118]
	v_fma_f64 v[109:110], -v[109:110], v[119:120], v[121:122]
	v_div_fmas_f64 v[109:110], v[109:110], v[117:118], v[119:120]
	v_div_fixup_f64 v[117:118], v[109:110], v[107:108], 1.0
	v_mul_f64 v[119:120], v[105:106], -v[117:118]
.LBB56_303:
	s_or_b64 exec, exec, s[18:19]
.LBB56_304:
	s_or_b64 exec, exec, s[0:1]
	v_cmp_ne_u32_e32 vcc, v91, v89
	s_and_saveexec_b64 s[0:1], vcc
	s_xor_b64 s[0:1], exec, s[0:1]
	s_cbranch_execz .LBB56_310
; %bb.305:
	v_cmp_eq_u32_e32 vcc, 14, v91
	s_and_saveexec_b64 s[18:19], vcc
	s_cbranch_execz .LBB56_309
; %bb.306:
	v_cmp_ne_u32_e32 vcc, 14, v89
	s_xor_b64 s[20:21], s[6:7], -1
	s_and_b64 s[22:23], s[20:21], vcc
	s_and_saveexec_b64 s[20:21], s[22:23]
	s_cbranch_execz .LBB56_308
; %bb.307:
	buffer_load_dword v106, off, s[24:27], 0 offset:32 ; 4-byte Folded Reload
	buffer_load_dword v107, off, s[24:27], 0 offset:36 ; 4-byte Folded Reload
	v_ashrrev_i32_e32 v90, 31, v89
	v_lshlrev_b64 v[90:91], 2, v[89:90]
	s_waitcnt vmcnt(1)
	v_add_co_u32_e32 v90, vcc, v106, v90
	s_waitcnt vmcnt(0)
	v_addc_co_u32_e32 v91, vcc, v107, v91, vcc
	global_load_dword v0, v[90:91], off
	global_load_dword v105, v[106:107], off offset:56
	s_waitcnt vmcnt(1)
	global_store_dword v[106:107], v0, off offset:56
	s_waitcnt vmcnt(1)
	global_store_dword v[90:91], v105, off
.LBB56_308:
	s_or_b64 exec, exec, s[20:21]
	v_mov_b32_e32 v91, v89
	v_mov_b32_e32 v0, v89
.LBB56_309:
	s_or_b64 exec, exec, s[18:19]
.LBB56_310:
	s_andn2_saveexec_b64 s[0:1], s[0:1]
	s_cbranch_execz .LBB56_312
; %bb.311:
	v_mov_b32_e32 v91, 14
	ds_write2_b64 v127, v[49:50], v[51:52] offset0:30 offset1:31
	ds_write2_b64 v127, v[45:46], v[47:48] offset0:32 offset1:33
	ds_write2_b64 v127, v[41:42], v[43:44] offset0:34 offset1:35
	ds_write2_b64 v127, v[37:38], v[39:40] offset0:36 offset1:37
	ds_write2_b64 v127, v[33:34], v[35:36] offset0:38 offset1:39
	ds_write2_b64 v127, v[29:30], v[31:32] offset0:40 offset1:41
	ds_write2_b64 v127, v[25:26], v[27:28] offset0:42 offset1:43
	ds_write2_b64 v127, v[21:22], v[23:24] offset0:44 offset1:45
	ds_write2_b64 v127, v[17:18], v[19:20] offset0:46 offset1:47
	ds_write2_b64 v127, v[13:14], v[15:16] offset0:48 offset1:49
	ds_write2_b64 v127, v[9:10], v[11:12] offset0:50 offset1:51
	ds_write2_b64 v127, v[5:6], v[7:8] offset0:52 offset1:53
	ds_write2_b64 v127, v[1:2], v[3:4] offset0:54 offset1:55
	ds_write2_b64 v127, v[113:114], v[115:116] offset0:56 offset1:57
.LBB56_312:
	s_or_b64 exec, exec, s[0:1]
	v_cmp_lt_i32_e32 vcc, 14, v91
	s_waitcnt vmcnt(0) lgkmcnt(0)
	s_barrier
	s_and_saveexec_b64 s[0:1], vcc
	s_cbranch_execz .LBB56_314
; %bb.313:
	v_mul_f64 v[89:90], v[117:118], v[55:56]
	v_mul_f64 v[55:56], v[119:120], v[55:56]
	ds_read2_b64 v[105:108], v127 offset0:30 offset1:31
	v_fma_f64 v[89:90], v[119:120], v[53:54], v[89:90]
	v_fma_f64 v[53:54], v[117:118], v[53:54], -v[55:56]
	s_waitcnt lgkmcnt(0)
	v_mul_f64 v[55:56], v[107:108], v[89:90]
	v_fma_f64 v[55:56], v[105:106], v[53:54], -v[55:56]
	v_mul_f64 v[105:106], v[105:106], v[89:90]
	v_add_f64 v[49:50], v[49:50], -v[55:56]
	v_fma_f64 v[105:106], v[107:108], v[53:54], v[105:106]
	v_add_f64 v[51:52], v[51:52], -v[105:106]
	ds_read2_b64 v[105:108], v127 offset0:32 offset1:33
	s_waitcnt lgkmcnt(0)
	v_mul_f64 v[55:56], v[107:108], v[89:90]
	v_fma_f64 v[55:56], v[105:106], v[53:54], -v[55:56]
	v_mul_f64 v[105:106], v[105:106], v[89:90]
	v_add_f64 v[45:46], v[45:46], -v[55:56]
	v_fma_f64 v[105:106], v[107:108], v[53:54], v[105:106]
	v_add_f64 v[47:48], v[47:48], -v[105:106]
	ds_read2_b64 v[105:108], v127 offset0:34 offset1:35
	;; [unrolled: 8-line block ×13, first 2 shown]
	s_waitcnt lgkmcnt(0)
	v_mul_f64 v[55:56], v[107:108], v[89:90]
	v_fma_f64 v[55:56], v[105:106], v[53:54], -v[55:56]
	v_mul_f64 v[105:106], v[105:106], v[89:90]
	v_add_f64 v[113:114], v[113:114], -v[55:56]
	v_fma_f64 v[105:106], v[107:108], v[53:54], v[105:106]
	v_mov_b32_e32 v55, v89
	v_mov_b32_e32 v56, v90
	v_add_f64 v[115:116], v[115:116], -v[105:106]
.LBB56_314:
	s_or_b64 exec, exec, s[0:1]
	v_lshl_add_u32 v89, v91, 4, v127
	s_barrier
	ds_write2_b64 v89, v[49:50], v[51:52] offset1:1
	s_waitcnt lgkmcnt(0)
	s_barrier
	ds_read2_b64 v[117:120], v127 offset0:30 offset1:31
	s_cmp_lt_i32 s3, 17
	v_mov_b32_e32 v89, 15
	s_cbranch_scc1 .LBB56_317
; %bb.315:
	v_add_u32_e32 v90, 0x100, v127
	s_mov_b32 s0, 16
	v_mov_b32_e32 v89, 15
.LBB56_316:                             ; =>This Inner Loop Header: Depth=1
	s_waitcnt lgkmcnt(0)
	v_cmp_gt_f64_e32 vcc, 0, v[117:118]
	v_xor_b32_e32 v109, 0x80000000, v118
	ds_read2_b64 v[105:108], v90 offset1:1
	v_xor_b32_e32 v121, 0x80000000, v120
	v_add_u32_e32 v90, 16, v90
	s_waitcnt lgkmcnt(0)
	v_xor_b32_e32 v123, 0x80000000, v108
	v_cndmask_b32_e32 v110, v118, v109, vcc
	v_cmp_gt_f64_e32 vcc, 0, v[119:120]
	v_mov_b32_e32 v109, v117
	v_cndmask_b32_e32 v122, v120, v121, vcc
	v_cmp_gt_f64_e32 vcc, 0, v[105:106]
	v_mov_b32_e32 v121, v119
	v_add_f64 v[109:110], v[109:110], v[121:122]
	v_xor_b32_e32 v121, 0x80000000, v106
	v_cndmask_b32_e32 v122, v106, v121, vcc
	v_cmp_gt_f64_e32 vcc, 0, v[107:108]
	v_mov_b32_e32 v121, v105
	v_cndmask_b32_e32 v124, v108, v123, vcc
	v_mov_b32_e32 v123, v107
	v_add_f64 v[121:122], v[121:122], v[123:124]
	v_cmp_lt_f64_e32 vcc, v[109:110], v[121:122]
	v_cndmask_b32_e32 v117, v117, v105, vcc
	v_mov_b32_e32 v105, s0
	s_add_i32 s0, s0, 1
	v_cndmask_b32_e32 v118, v118, v106, vcc
	v_cndmask_b32_e32 v120, v120, v108, vcc
	;; [unrolled: 1-line block ×4, first 2 shown]
	s_cmp_lg_u32 s3, s0
	s_cbranch_scc1 .LBB56_316
.LBB56_317:
	s_waitcnt lgkmcnt(0)
	v_cmp_eq_f64_e32 vcc, 0, v[117:118]
	v_cmp_eq_f64_e64 s[0:1], 0, v[119:120]
	s_and_b64 s[0:1], vcc, s[0:1]
	s_and_saveexec_b64 s[18:19], s[0:1]
	s_xor_b64 s[0:1], exec, s[18:19]
; %bb.318:
	v_cmp_ne_u32_e32 vcc, 0, v92
	v_cndmask_b32_e32 v92, 16, v92, vcc
; %bb.319:
	s_andn2_saveexec_b64 s[0:1], s[0:1]
	s_cbranch_execz .LBB56_325
; %bb.320:
	v_cmp_ngt_f64_e64 s[18:19], |v[117:118]|, |v[119:120]|
	s_and_saveexec_b64 s[20:21], s[18:19]
	s_xor_b64 s[18:19], exec, s[20:21]
	s_cbranch_execz .LBB56_322
; %bb.321:
	v_div_scale_f64 v[105:106], s[20:21], v[119:120], v[119:120], v[117:118]
	v_rcp_f64_e32 v[107:108], v[105:106]
	v_fma_f64 v[109:110], -v[105:106], v[107:108], 1.0
	v_fma_f64 v[107:108], v[107:108], v[109:110], v[107:108]
	v_div_scale_f64 v[109:110], vcc, v[117:118], v[119:120], v[117:118]
	v_fma_f64 v[121:122], -v[105:106], v[107:108], 1.0
	v_fma_f64 v[107:108], v[107:108], v[121:122], v[107:108]
	v_mul_f64 v[121:122], v[109:110], v[107:108]
	v_fma_f64 v[105:106], -v[105:106], v[121:122], v[109:110]
	v_div_fmas_f64 v[105:106], v[105:106], v[107:108], v[121:122]
	v_div_fixup_f64 v[105:106], v[105:106], v[119:120], v[117:118]
	v_fma_f64 v[107:108], v[117:118], v[105:106], v[119:120]
	v_div_scale_f64 v[109:110], s[20:21], v[107:108], v[107:108], 1.0
	v_div_scale_f64 v[121:122], vcc, 1.0, v[107:108], 1.0
	v_rcp_f64_e32 v[117:118], v[109:110]
	v_fma_f64 v[119:120], -v[109:110], v[117:118], 1.0
	v_fma_f64 v[117:118], v[117:118], v[119:120], v[117:118]
	v_fma_f64 v[119:120], -v[109:110], v[117:118], 1.0
	v_fma_f64 v[117:118], v[117:118], v[119:120], v[117:118]
	v_mul_f64 v[119:120], v[121:122], v[117:118]
	v_fma_f64 v[109:110], -v[109:110], v[119:120], v[121:122]
	v_div_fmas_f64 v[109:110], v[109:110], v[117:118], v[119:120]
	v_div_fixup_f64 v[119:120], v[109:110], v[107:108], 1.0
	v_mul_f64 v[117:118], v[105:106], v[119:120]
	v_xor_b32_e32 v120, 0x80000000, v120
.LBB56_322:
	s_andn2_saveexec_b64 s[18:19], s[18:19]
	s_cbranch_execz .LBB56_324
; %bb.323:
	v_div_scale_f64 v[105:106], s[20:21], v[117:118], v[117:118], v[119:120]
	v_rcp_f64_e32 v[107:108], v[105:106]
	v_fma_f64 v[109:110], -v[105:106], v[107:108], 1.0
	v_fma_f64 v[107:108], v[107:108], v[109:110], v[107:108]
	v_div_scale_f64 v[109:110], vcc, v[119:120], v[117:118], v[119:120]
	v_fma_f64 v[121:122], -v[105:106], v[107:108], 1.0
	v_fma_f64 v[107:108], v[107:108], v[121:122], v[107:108]
	v_mul_f64 v[121:122], v[109:110], v[107:108]
	v_fma_f64 v[105:106], -v[105:106], v[121:122], v[109:110]
	v_div_fmas_f64 v[105:106], v[105:106], v[107:108], v[121:122]
	v_div_fixup_f64 v[105:106], v[105:106], v[117:118], v[119:120]
	v_fma_f64 v[107:108], v[119:120], v[105:106], v[117:118]
	v_div_scale_f64 v[109:110], s[20:21], v[107:108], v[107:108], 1.0
	v_div_scale_f64 v[121:122], vcc, 1.0, v[107:108], 1.0
	v_rcp_f64_e32 v[117:118], v[109:110]
	v_fma_f64 v[119:120], -v[109:110], v[117:118], 1.0
	v_fma_f64 v[117:118], v[117:118], v[119:120], v[117:118]
	v_fma_f64 v[119:120], -v[109:110], v[117:118], 1.0
	v_fma_f64 v[117:118], v[117:118], v[119:120], v[117:118]
	v_mul_f64 v[119:120], v[121:122], v[117:118]
	v_fma_f64 v[109:110], -v[109:110], v[119:120], v[121:122]
	v_div_fmas_f64 v[109:110], v[109:110], v[117:118], v[119:120]
	v_div_fixup_f64 v[117:118], v[109:110], v[107:108], 1.0
	v_mul_f64 v[119:120], v[105:106], -v[117:118]
.LBB56_324:
	s_or_b64 exec, exec, s[18:19]
.LBB56_325:
	s_or_b64 exec, exec, s[0:1]
	v_cmp_ne_u32_e32 vcc, v91, v89
	s_and_saveexec_b64 s[0:1], vcc
	s_xor_b64 s[0:1], exec, s[0:1]
	s_cbranch_execz .LBB56_331
; %bb.326:
	v_cmp_eq_u32_e32 vcc, 15, v91
	s_and_saveexec_b64 s[18:19], vcc
	s_cbranch_execz .LBB56_330
; %bb.327:
	v_cmp_ne_u32_e32 vcc, 15, v89
	s_xor_b64 s[20:21], s[6:7], -1
	s_and_b64 s[22:23], s[20:21], vcc
	s_and_saveexec_b64 s[20:21], s[22:23]
	s_cbranch_execz .LBB56_329
; %bb.328:
	buffer_load_dword v106, off, s[24:27], 0 offset:32 ; 4-byte Folded Reload
	buffer_load_dword v107, off, s[24:27], 0 offset:36 ; 4-byte Folded Reload
	v_ashrrev_i32_e32 v90, 31, v89
	v_lshlrev_b64 v[90:91], 2, v[89:90]
	s_waitcnt vmcnt(1)
	v_add_co_u32_e32 v90, vcc, v106, v90
	s_waitcnt vmcnt(0)
	v_addc_co_u32_e32 v91, vcc, v107, v91, vcc
	global_load_dword v0, v[90:91], off
	global_load_dword v105, v[106:107], off offset:60
	s_waitcnt vmcnt(1)
	global_store_dword v[106:107], v0, off offset:60
	s_waitcnt vmcnt(1)
	global_store_dword v[90:91], v105, off
.LBB56_329:
	s_or_b64 exec, exec, s[20:21]
	v_mov_b32_e32 v91, v89
	v_mov_b32_e32 v0, v89
.LBB56_330:
	s_or_b64 exec, exec, s[18:19]
.LBB56_331:
	s_andn2_saveexec_b64 s[0:1], s[0:1]
	s_cbranch_execz .LBB56_333
; %bb.332:
	v_mov_b32_e32 v91, 15
	ds_write2_b64 v127, v[45:46], v[47:48] offset0:32 offset1:33
	ds_write2_b64 v127, v[41:42], v[43:44] offset0:34 offset1:35
	;; [unrolled: 1-line block ×13, first 2 shown]
.LBB56_333:
	s_or_b64 exec, exec, s[0:1]
	v_cmp_lt_i32_e32 vcc, 15, v91
	s_waitcnt vmcnt(0) lgkmcnt(0)
	s_barrier
	s_and_saveexec_b64 s[0:1], vcc
	s_cbranch_execz .LBB56_335
; %bb.334:
	v_mul_f64 v[89:90], v[117:118], v[51:52]
	v_mul_f64 v[51:52], v[119:120], v[51:52]
	ds_read2_b64 v[105:108], v127 offset0:32 offset1:33
	v_fma_f64 v[89:90], v[119:120], v[49:50], v[89:90]
	v_fma_f64 v[49:50], v[117:118], v[49:50], -v[51:52]
	s_waitcnt lgkmcnt(0)
	v_mul_f64 v[51:52], v[107:108], v[89:90]
	v_fma_f64 v[51:52], v[105:106], v[49:50], -v[51:52]
	v_mul_f64 v[105:106], v[105:106], v[89:90]
	v_add_f64 v[45:46], v[45:46], -v[51:52]
	v_fma_f64 v[105:106], v[107:108], v[49:50], v[105:106]
	v_add_f64 v[47:48], v[47:48], -v[105:106]
	ds_read2_b64 v[105:108], v127 offset0:34 offset1:35
	s_waitcnt lgkmcnt(0)
	v_mul_f64 v[51:52], v[107:108], v[89:90]
	v_fma_f64 v[51:52], v[105:106], v[49:50], -v[51:52]
	v_mul_f64 v[105:106], v[105:106], v[89:90]
	v_add_f64 v[41:42], v[41:42], -v[51:52]
	v_fma_f64 v[105:106], v[107:108], v[49:50], v[105:106]
	v_add_f64 v[43:44], v[43:44], -v[105:106]
	ds_read2_b64 v[105:108], v127 offset0:36 offset1:37
	;; [unrolled: 8-line block ×12, first 2 shown]
	s_waitcnt lgkmcnt(0)
	v_mul_f64 v[51:52], v[107:108], v[89:90]
	v_fma_f64 v[51:52], v[105:106], v[49:50], -v[51:52]
	v_mul_f64 v[105:106], v[105:106], v[89:90]
	v_add_f64 v[113:114], v[113:114], -v[51:52]
	v_fma_f64 v[105:106], v[107:108], v[49:50], v[105:106]
	v_mov_b32_e32 v51, v89
	v_mov_b32_e32 v52, v90
	v_add_f64 v[115:116], v[115:116], -v[105:106]
.LBB56_335:
	s_or_b64 exec, exec, s[0:1]
	v_lshl_add_u32 v89, v91, 4, v127
	s_barrier
	ds_write2_b64 v89, v[45:46], v[47:48] offset1:1
	s_waitcnt lgkmcnt(0)
	s_barrier
	ds_read2_b64 v[117:120], v127 offset0:32 offset1:33
	s_cmp_lt_i32 s3, 18
	v_mov_b32_e32 v89, 16
	s_cbranch_scc1 .LBB56_338
; %bb.336:
	v_add_u32_e32 v90, 0x110, v127
	s_mov_b32 s0, 17
	v_mov_b32_e32 v89, 16
.LBB56_337:                             ; =>This Inner Loop Header: Depth=1
	s_waitcnt lgkmcnt(0)
	v_cmp_gt_f64_e32 vcc, 0, v[117:118]
	v_xor_b32_e32 v109, 0x80000000, v118
	ds_read2_b64 v[105:108], v90 offset1:1
	v_xor_b32_e32 v121, 0x80000000, v120
	v_add_u32_e32 v90, 16, v90
	s_waitcnt lgkmcnt(0)
	v_xor_b32_e32 v123, 0x80000000, v108
	v_cndmask_b32_e32 v110, v118, v109, vcc
	v_cmp_gt_f64_e32 vcc, 0, v[119:120]
	v_mov_b32_e32 v109, v117
	v_cndmask_b32_e32 v122, v120, v121, vcc
	v_cmp_gt_f64_e32 vcc, 0, v[105:106]
	v_mov_b32_e32 v121, v119
	v_add_f64 v[109:110], v[109:110], v[121:122]
	v_xor_b32_e32 v121, 0x80000000, v106
	v_cndmask_b32_e32 v122, v106, v121, vcc
	v_cmp_gt_f64_e32 vcc, 0, v[107:108]
	v_mov_b32_e32 v121, v105
	v_cndmask_b32_e32 v124, v108, v123, vcc
	v_mov_b32_e32 v123, v107
	v_add_f64 v[121:122], v[121:122], v[123:124]
	v_cmp_lt_f64_e32 vcc, v[109:110], v[121:122]
	v_cndmask_b32_e32 v117, v117, v105, vcc
	v_mov_b32_e32 v105, s0
	s_add_i32 s0, s0, 1
	v_cndmask_b32_e32 v118, v118, v106, vcc
	v_cndmask_b32_e32 v120, v120, v108, vcc
	;; [unrolled: 1-line block ×4, first 2 shown]
	s_cmp_lg_u32 s3, s0
	s_cbranch_scc1 .LBB56_337
.LBB56_338:
	s_waitcnt lgkmcnt(0)
	v_cmp_eq_f64_e32 vcc, 0, v[117:118]
	v_cmp_eq_f64_e64 s[0:1], 0, v[119:120]
	s_and_b64 s[0:1], vcc, s[0:1]
	s_and_saveexec_b64 s[18:19], s[0:1]
	s_xor_b64 s[0:1], exec, s[18:19]
; %bb.339:
	v_cmp_ne_u32_e32 vcc, 0, v92
	v_cndmask_b32_e32 v92, 17, v92, vcc
; %bb.340:
	s_andn2_saveexec_b64 s[0:1], s[0:1]
	s_cbranch_execz .LBB56_346
; %bb.341:
	v_cmp_ngt_f64_e64 s[18:19], |v[117:118]|, |v[119:120]|
	s_and_saveexec_b64 s[20:21], s[18:19]
	s_xor_b64 s[18:19], exec, s[20:21]
	s_cbranch_execz .LBB56_343
; %bb.342:
	v_div_scale_f64 v[105:106], s[20:21], v[119:120], v[119:120], v[117:118]
	v_rcp_f64_e32 v[107:108], v[105:106]
	v_fma_f64 v[109:110], -v[105:106], v[107:108], 1.0
	v_fma_f64 v[107:108], v[107:108], v[109:110], v[107:108]
	v_div_scale_f64 v[109:110], vcc, v[117:118], v[119:120], v[117:118]
	v_fma_f64 v[121:122], -v[105:106], v[107:108], 1.0
	v_fma_f64 v[107:108], v[107:108], v[121:122], v[107:108]
	v_mul_f64 v[121:122], v[109:110], v[107:108]
	v_fma_f64 v[105:106], -v[105:106], v[121:122], v[109:110]
	v_div_fmas_f64 v[105:106], v[105:106], v[107:108], v[121:122]
	v_div_fixup_f64 v[105:106], v[105:106], v[119:120], v[117:118]
	v_fma_f64 v[107:108], v[117:118], v[105:106], v[119:120]
	v_div_scale_f64 v[109:110], s[20:21], v[107:108], v[107:108], 1.0
	v_div_scale_f64 v[121:122], vcc, 1.0, v[107:108], 1.0
	v_rcp_f64_e32 v[117:118], v[109:110]
	v_fma_f64 v[119:120], -v[109:110], v[117:118], 1.0
	v_fma_f64 v[117:118], v[117:118], v[119:120], v[117:118]
	v_fma_f64 v[119:120], -v[109:110], v[117:118], 1.0
	v_fma_f64 v[117:118], v[117:118], v[119:120], v[117:118]
	v_mul_f64 v[119:120], v[121:122], v[117:118]
	v_fma_f64 v[109:110], -v[109:110], v[119:120], v[121:122]
	v_div_fmas_f64 v[109:110], v[109:110], v[117:118], v[119:120]
	v_div_fixup_f64 v[119:120], v[109:110], v[107:108], 1.0
	v_mul_f64 v[117:118], v[105:106], v[119:120]
	v_xor_b32_e32 v120, 0x80000000, v120
.LBB56_343:
	s_andn2_saveexec_b64 s[18:19], s[18:19]
	s_cbranch_execz .LBB56_345
; %bb.344:
	v_div_scale_f64 v[105:106], s[20:21], v[117:118], v[117:118], v[119:120]
	v_rcp_f64_e32 v[107:108], v[105:106]
	v_fma_f64 v[109:110], -v[105:106], v[107:108], 1.0
	v_fma_f64 v[107:108], v[107:108], v[109:110], v[107:108]
	v_div_scale_f64 v[109:110], vcc, v[119:120], v[117:118], v[119:120]
	v_fma_f64 v[121:122], -v[105:106], v[107:108], 1.0
	v_fma_f64 v[107:108], v[107:108], v[121:122], v[107:108]
	v_mul_f64 v[121:122], v[109:110], v[107:108]
	v_fma_f64 v[105:106], -v[105:106], v[121:122], v[109:110]
	v_div_fmas_f64 v[105:106], v[105:106], v[107:108], v[121:122]
	v_div_fixup_f64 v[105:106], v[105:106], v[117:118], v[119:120]
	v_fma_f64 v[107:108], v[119:120], v[105:106], v[117:118]
	v_div_scale_f64 v[109:110], s[20:21], v[107:108], v[107:108], 1.0
	v_div_scale_f64 v[121:122], vcc, 1.0, v[107:108], 1.0
	v_rcp_f64_e32 v[117:118], v[109:110]
	v_fma_f64 v[119:120], -v[109:110], v[117:118], 1.0
	v_fma_f64 v[117:118], v[117:118], v[119:120], v[117:118]
	v_fma_f64 v[119:120], -v[109:110], v[117:118], 1.0
	v_fma_f64 v[117:118], v[117:118], v[119:120], v[117:118]
	v_mul_f64 v[119:120], v[121:122], v[117:118]
	v_fma_f64 v[109:110], -v[109:110], v[119:120], v[121:122]
	v_div_fmas_f64 v[109:110], v[109:110], v[117:118], v[119:120]
	v_div_fixup_f64 v[117:118], v[109:110], v[107:108], 1.0
	v_mul_f64 v[119:120], v[105:106], -v[117:118]
.LBB56_345:
	s_or_b64 exec, exec, s[18:19]
.LBB56_346:
	s_or_b64 exec, exec, s[0:1]
	v_cmp_ne_u32_e32 vcc, v91, v89
	s_and_saveexec_b64 s[0:1], vcc
	s_xor_b64 s[0:1], exec, s[0:1]
	s_cbranch_execz .LBB56_352
; %bb.347:
	v_cmp_eq_u32_e32 vcc, 16, v91
	s_and_saveexec_b64 s[18:19], vcc
	s_cbranch_execz .LBB56_351
; %bb.348:
	v_cmp_ne_u32_e32 vcc, 16, v89
	s_xor_b64 s[20:21], s[6:7], -1
	s_and_b64 s[22:23], s[20:21], vcc
	s_and_saveexec_b64 s[20:21], s[22:23]
	s_cbranch_execz .LBB56_350
; %bb.349:
	buffer_load_dword v106, off, s[24:27], 0 offset:32 ; 4-byte Folded Reload
	buffer_load_dword v107, off, s[24:27], 0 offset:36 ; 4-byte Folded Reload
	v_ashrrev_i32_e32 v90, 31, v89
	v_lshlrev_b64 v[90:91], 2, v[89:90]
	s_waitcnt vmcnt(1)
	v_add_co_u32_e32 v90, vcc, v106, v90
	s_waitcnt vmcnt(0)
	v_addc_co_u32_e32 v91, vcc, v107, v91, vcc
	global_load_dword v0, v[90:91], off
	global_load_dword v105, v[106:107], off offset:64
	s_waitcnt vmcnt(1)
	global_store_dword v[106:107], v0, off offset:64
	s_waitcnt vmcnt(1)
	global_store_dword v[90:91], v105, off
.LBB56_350:
	s_or_b64 exec, exec, s[20:21]
	v_mov_b32_e32 v91, v89
	v_mov_b32_e32 v0, v89
.LBB56_351:
	s_or_b64 exec, exec, s[18:19]
.LBB56_352:
	s_andn2_saveexec_b64 s[0:1], s[0:1]
	s_cbranch_execz .LBB56_354
; %bb.353:
	v_mov_b32_e32 v91, 16
	ds_write2_b64 v127, v[41:42], v[43:44] offset0:34 offset1:35
	ds_write2_b64 v127, v[37:38], v[39:40] offset0:36 offset1:37
	;; [unrolled: 1-line block ×12, first 2 shown]
.LBB56_354:
	s_or_b64 exec, exec, s[0:1]
	v_cmp_lt_i32_e32 vcc, 16, v91
	s_waitcnt vmcnt(0) lgkmcnt(0)
	s_barrier
	s_and_saveexec_b64 s[0:1], vcc
	s_cbranch_execz .LBB56_356
; %bb.355:
	v_mul_f64 v[89:90], v[117:118], v[47:48]
	v_mul_f64 v[47:48], v[119:120], v[47:48]
	ds_read2_b64 v[105:108], v127 offset0:34 offset1:35
	v_fma_f64 v[89:90], v[119:120], v[45:46], v[89:90]
	v_fma_f64 v[45:46], v[117:118], v[45:46], -v[47:48]
	s_waitcnt lgkmcnt(0)
	v_mul_f64 v[47:48], v[107:108], v[89:90]
	v_fma_f64 v[47:48], v[105:106], v[45:46], -v[47:48]
	v_mul_f64 v[105:106], v[105:106], v[89:90]
	v_add_f64 v[41:42], v[41:42], -v[47:48]
	v_fma_f64 v[105:106], v[107:108], v[45:46], v[105:106]
	v_add_f64 v[43:44], v[43:44], -v[105:106]
	ds_read2_b64 v[105:108], v127 offset0:36 offset1:37
	s_waitcnt lgkmcnt(0)
	v_mul_f64 v[47:48], v[107:108], v[89:90]
	v_fma_f64 v[47:48], v[105:106], v[45:46], -v[47:48]
	v_mul_f64 v[105:106], v[105:106], v[89:90]
	v_add_f64 v[37:38], v[37:38], -v[47:48]
	v_fma_f64 v[105:106], v[107:108], v[45:46], v[105:106]
	v_add_f64 v[39:40], v[39:40], -v[105:106]
	ds_read2_b64 v[105:108], v127 offset0:38 offset1:39
	;; [unrolled: 8-line block ×11, first 2 shown]
	s_waitcnt lgkmcnt(0)
	v_mul_f64 v[47:48], v[107:108], v[89:90]
	v_fma_f64 v[47:48], v[105:106], v[45:46], -v[47:48]
	v_mul_f64 v[105:106], v[105:106], v[89:90]
	v_add_f64 v[113:114], v[113:114], -v[47:48]
	v_fma_f64 v[105:106], v[107:108], v[45:46], v[105:106]
	v_mov_b32_e32 v47, v89
	v_mov_b32_e32 v48, v90
	v_add_f64 v[115:116], v[115:116], -v[105:106]
.LBB56_356:
	s_or_b64 exec, exec, s[0:1]
	v_lshl_add_u32 v89, v91, 4, v127
	s_barrier
	ds_write2_b64 v89, v[41:42], v[43:44] offset1:1
	s_waitcnt lgkmcnt(0)
	s_barrier
	ds_read2_b64 v[117:120], v127 offset0:34 offset1:35
	s_cmp_lt_i32 s3, 19
	v_mov_b32_e32 v89, 17
	s_cbranch_scc1 .LBB56_359
; %bb.357:
	v_add_u32_e32 v90, 0x120, v127
	s_mov_b32 s0, 18
	v_mov_b32_e32 v89, 17
.LBB56_358:                             ; =>This Inner Loop Header: Depth=1
	s_waitcnt lgkmcnt(0)
	v_cmp_gt_f64_e32 vcc, 0, v[117:118]
	v_xor_b32_e32 v109, 0x80000000, v118
	ds_read2_b64 v[105:108], v90 offset1:1
	v_xor_b32_e32 v121, 0x80000000, v120
	v_add_u32_e32 v90, 16, v90
	s_waitcnt lgkmcnt(0)
	v_xor_b32_e32 v123, 0x80000000, v108
	v_cndmask_b32_e32 v110, v118, v109, vcc
	v_cmp_gt_f64_e32 vcc, 0, v[119:120]
	v_mov_b32_e32 v109, v117
	v_cndmask_b32_e32 v122, v120, v121, vcc
	v_cmp_gt_f64_e32 vcc, 0, v[105:106]
	v_mov_b32_e32 v121, v119
	v_add_f64 v[109:110], v[109:110], v[121:122]
	v_xor_b32_e32 v121, 0x80000000, v106
	v_cndmask_b32_e32 v122, v106, v121, vcc
	v_cmp_gt_f64_e32 vcc, 0, v[107:108]
	v_mov_b32_e32 v121, v105
	v_cndmask_b32_e32 v124, v108, v123, vcc
	v_mov_b32_e32 v123, v107
	v_add_f64 v[121:122], v[121:122], v[123:124]
	v_cmp_lt_f64_e32 vcc, v[109:110], v[121:122]
	v_cndmask_b32_e32 v117, v117, v105, vcc
	v_mov_b32_e32 v105, s0
	s_add_i32 s0, s0, 1
	v_cndmask_b32_e32 v118, v118, v106, vcc
	v_cndmask_b32_e32 v120, v120, v108, vcc
	;; [unrolled: 1-line block ×4, first 2 shown]
	s_cmp_lg_u32 s3, s0
	s_cbranch_scc1 .LBB56_358
.LBB56_359:
	s_waitcnt lgkmcnt(0)
	v_cmp_eq_f64_e32 vcc, 0, v[117:118]
	v_cmp_eq_f64_e64 s[0:1], 0, v[119:120]
	s_and_b64 s[0:1], vcc, s[0:1]
	s_and_saveexec_b64 s[18:19], s[0:1]
	s_xor_b64 s[0:1], exec, s[18:19]
; %bb.360:
	v_cmp_ne_u32_e32 vcc, 0, v92
	v_cndmask_b32_e32 v92, 18, v92, vcc
; %bb.361:
	s_andn2_saveexec_b64 s[0:1], s[0:1]
	s_cbranch_execz .LBB56_367
; %bb.362:
	v_cmp_ngt_f64_e64 s[18:19], |v[117:118]|, |v[119:120]|
	s_and_saveexec_b64 s[20:21], s[18:19]
	s_xor_b64 s[18:19], exec, s[20:21]
	s_cbranch_execz .LBB56_364
; %bb.363:
	v_div_scale_f64 v[105:106], s[20:21], v[119:120], v[119:120], v[117:118]
	v_rcp_f64_e32 v[107:108], v[105:106]
	v_fma_f64 v[109:110], -v[105:106], v[107:108], 1.0
	v_fma_f64 v[107:108], v[107:108], v[109:110], v[107:108]
	v_div_scale_f64 v[109:110], vcc, v[117:118], v[119:120], v[117:118]
	v_fma_f64 v[121:122], -v[105:106], v[107:108], 1.0
	v_fma_f64 v[107:108], v[107:108], v[121:122], v[107:108]
	v_mul_f64 v[121:122], v[109:110], v[107:108]
	v_fma_f64 v[105:106], -v[105:106], v[121:122], v[109:110]
	v_div_fmas_f64 v[105:106], v[105:106], v[107:108], v[121:122]
	v_div_fixup_f64 v[105:106], v[105:106], v[119:120], v[117:118]
	v_fma_f64 v[107:108], v[117:118], v[105:106], v[119:120]
	v_div_scale_f64 v[109:110], s[20:21], v[107:108], v[107:108], 1.0
	v_div_scale_f64 v[121:122], vcc, 1.0, v[107:108], 1.0
	v_rcp_f64_e32 v[117:118], v[109:110]
	v_fma_f64 v[119:120], -v[109:110], v[117:118], 1.0
	v_fma_f64 v[117:118], v[117:118], v[119:120], v[117:118]
	v_fma_f64 v[119:120], -v[109:110], v[117:118], 1.0
	v_fma_f64 v[117:118], v[117:118], v[119:120], v[117:118]
	v_mul_f64 v[119:120], v[121:122], v[117:118]
	v_fma_f64 v[109:110], -v[109:110], v[119:120], v[121:122]
	v_div_fmas_f64 v[109:110], v[109:110], v[117:118], v[119:120]
	v_div_fixup_f64 v[119:120], v[109:110], v[107:108], 1.0
	v_mul_f64 v[117:118], v[105:106], v[119:120]
	v_xor_b32_e32 v120, 0x80000000, v120
.LBB56_364:
	s_andn2_saveexec_b64 s[18:19], s[18:19]
	s_cbranch_execz .LBB56_366
; %bb.365:
	v_div_scale_f64 v[105:106], s[20:21], v[117:118], v[117:118], v[119:120]
	v_rcp_f64_e32 v[107:108], v[105:106]
	v_fma_f64 v[109:110], -v[105:106], v[107:108], 1.0
	v_fma_f64 v[107:108], v[107:108], v[109:110], v[107:108]
	v_div_scale_f64 v[109:110], vcc, v[119:120], v[117:118], v[119:120]
	v_fma_f64 v[121:122], -v[105:106], v[107:108], 1.0
	v_fma_f64 v[107:108], v[107:108], v[121:122], v[107:108]
	v_mul_f64 v[121:122], v[109:110], v[107:108]
	v_fma_f64 v[105:106], -v[105:106], v[121:122], v[109:110]
	v_div_fmas_f64 v[105:106], v[105:106], v[107:108], v[121:122]
	v_div_fixup_f64 v[105:106], v[105:106], v[117:118], v[119:120]
	v_fma_f64 v[107:108], v[119:120], v[105:106], v[117:118]
	v_div_scale_f64 v[109:110], s[20:21], v[107:108], v[107:108], 1.0
	v_div_scale_f64 v[121:122], vcc, 1.0, v[107:108], 1.0
	v_rcp_f64_e32 v[117:118], v[109:110]
	v_fma_f64 v[119:120], -v[109:110], v[117:118], 1.0
	v_fma_f64 v[117:118], v[117:118], v[119:120], v[117:118]
	v_fma_f64 v[119:120], -v[109:110], v[117:118], 1.0
	v_fma_f64 v[117:118], v[117:118], v[119:120], v[117:118]
	v_mul_f64 v[119:120], v[121:122], v[117:118]
	v_fma_f64 v[109:110], -v[109:110], v[119:120], v[121:122]
	v_div_fmas_f64 v[109:110], v[109:110], v[117:118], v[119:120]
	v_div_fixup_f64 v[117:118], v[109:110], v[107:108], 1.0
	v_mul_f64 v[119:120], v[105:106], -v[117:118]
.LBB56_366:
	s_or_b64 exec, exec, s[18:19]
.LBB56_367:
	s_or_b64 exec, exec, s[0:1]
	v_cmp_ne_u32_e32 vcc, v91, v89
	s_and_saveexec_b64 s[0:1], vcc
	s_xor_b64 s[0:1], exec, s[0:1]
	s_cbranch_execz .LBB56_373
; %bb.368:
	v_cmp_eq_u32_e32 vcc, 17, v91
	s_and_saveexec_b64 s[18:19], vcc
	s_cbranch_execz .LBB56_372
; %bb.369:
	v_cmp_ne_u32_e32 vcc, 17, v89
	s_xor_b64 s[20:21], s[6:7], -1
	s_and_b64 s[22:23], s[20:21], vcc
	s_and_saveexec_b64 s[20:21], s[22:23]
	s_cbranch_execz .LBB56_371
; %bb.370:
	buffer_load_dword v106, off, s[24:27], 0 offset:32 ; 4-byte Folded Reload
	buffer_load_dword v107, off, s[24:27], 0 offset:36 ; 4-byte Folded Reload
	v_ashrrev_i32_e32 v90, 31, v89
	v_lshlrev_b64 v[90:91], 2, v[89:90]
	s_waitcnt vmcnt(1)
	v_add_co_u32_e32 v90, vcc, v106, v90
	s_waitcnt vmcnt(0)
	v_addc_co_u32_e32 v91, vcc, v107, v91, vcc
	global_load_dword v0, v[90:91], off
	global_load_dword v105, v[106:107], off offset:68
	s_waitcnt vmcnt(1)
	global_store_dword v[106:107], v0, off offset:68
	s_waitcnt vmcnt(1)
	global_store_dword v[90:91], v105, off
.LBB56_371:
	s_or_b64 exec, exec, s[20:21]
	v_mov_b32_e32 v91, v89
	v_mov_b32_e32 v0, v89
.LBB56_372:
	s_or_b64 exec, exec, s[18:19]
.LBB56_373:
	s_andn2_saveexec_b64 s[0:1], s[0:1]
	s_cbranch_execz .LBB56_375
; %bb.374:
	v_mov_b32_e32 v91, 17
	ds_write2_b64 v127, v[37:38], v[39:40] offset0:36 offset1:37
	ds_write2_b64 v127, v[33:34], v[35:36] offset0:38 offset1:39
	;; [unrolled: 1-line block ×11, first 2 shown]
.LBB56_375:
	s_or_b64 exec, exec, s[0:1]
	v_cmp_lt_i32_e32 vcc, 17, v91
	s_waitcnt vmcnt(0) lgkmcnt(0)
	s_barrier
	s_and_saveexec_b64 s[0:1], vcc
	s_cbranch_execz .LBB56_377
; %bb.376:
	v_mul_f64 v[89:90], v[117:118], v[43:44]
	v_mul_f64 v[43:44], v[119:120], v[43:44]
	ds_read2_b64 v[105:108], v127 offset0:36 offset1:37
	v_fma_f64 v[89:90], v[119:120], v[41:42], v[89:90]
	v_fma_f64 v[41:42], v[117:118], v[41:42], -v[43:44]
	s_waitcnt lgkmcnt(0)
	v_mul_f64 v[43:44], v[107:108], v[89:90]
	v_fma_f64 v[43:44], v[105:106], v[41:42], -v[43:44]
	v_mul_f64 v[105:106], v[105:106], v[89:90]
	v_add_f64 v[37:38], v[37:38], -v[43:44]
	v_fma_f64 v[105:106], v[107:108], v[41:42], v[105:106]
	v_add_f64 v[39:40], v[39:40], -v[105:106]
	ds_read2_b64 v[105:108], v127 offset0:38 offset1:39
	s_waitcnt lgkmcnt(0)
	v_mul_f64 v[43:44], v[107:108], v[89:90]
	v_fma_f64 v[43:44], v[105:106], v[41:42], -v[43:44]
	v_mul_f64 v[105:106], v[105:106], v[89:90]
	v_add_f64 v[33:34], v[33:34], -v[43:44]
	v_fma_f64 v[105:106], v[107:108], v[41:42], v[105:106]
	v_add_f64 v[35:36], v[35:36], -v[105:106]
	ds_read2_b64 v[105:108], v127 offset0:40 offset1:41
	;; [unrolled: 8-line block ×10, first 2 shown]
	s_waitcnt lgkmcnt(0)
	v_mul_f64 v[43:44], v[107:108], v[89:90]
	v_fma_f64 v[43:44], v[105:106], v[41:42], -v[43:44]
	v_mul_f64 v[105:106], v[105:106], v[89:90]
	v_add_f64 v[113:114], v[113:114], -v[43:44]
	v_fma_f64 v[105:106], v[107:108], v[41:42], v[105:106]
	v_mov_b32_e32 v43, v89
	v_mov_b32_e32 v44, v90
	v_add_f64 v[115:116], v[115:116], -v[105:106]
.LBB56_377:
	s_or_b64 exec, exec, s[0:1]
	v_lshl_add_u32 v89, v91, 4, v127
	s_barrier
	ds_write2_b64 v89, v[37:38], v[39:40] offset1:1
	s_waitcnt lgkmcnt(0)
	s_barrier
	ds_read2_b64 v[117:120], v127 offset0:36 offset1:37
	s_cmp_lt_i32 s3, 20
	v_mov_b32_e32 v89, 18
	s_cbranch_scc1 .LBB56_380
; %bb.378:
	v_add_u32_e32 v90, 0x130, v127
	s_mov_b32 s0, 19
	v_mov_b32_e32 v89, 18
.LBB56_379:                             ; =>This Inner Loop Header: Depth=1
	s_waitcnt lgkmcnt(0)
	v_cmp_gt_f64_e32 vcc, 0, v[117:118]
	v_xor_b32_e32 v109, 0x80000000, v118
	ds_read2_b64 v[105:108], v90 offset1:1
	v_xor_b32_e32 v121, 0x80000000, v120
	v_add_u32_e32 v90, 16, v90
	s_waitcnt lgkmcnt(0)
	v_xor_b32_e32 v123, 0x80000000, v108
	v_cndmask_b32_e32 v110, v118, v109, vcc
	v_cmp_gt_f64_e32 vcc, 0, v[119:120]
	v_mov_b32_e32 v109, v117
	v_cndmask_b32_e32 v122, v120, v121, vcc
	v_cmp_gt_f64_e32 vcc, 0, v[105:106]
	v_mov_b32_e32 v121, v119
	v_add_f64 v[109:110], v[109:110], v[121:122]
	v_xor_b32_e32 v121, 0x80000000, v106
	v_cndmask_b32_e32 v122, v106, v121, vcc
	v_cmp_gt_f64_e32 vcc, 0, v[107:108]
	v_mov_b32_e32 v121, v105
	v_cndmask_b32_e32 v124, v108, v123, vcc
	v_mov_b32_e32 v123, v107
	v_add_f64 v[121:122], v[121:122], v[123:124]
	v_cmp_lt_f64_e32 vcc, v[109:110], v[121:122]
	v_cndmask_b32_e32 v117, v117, v105, vcc
	v_mov_b32_e32 v105, s0
	s_add_i32 s0, s0, 1
	v_cndmask_b32_e32 v118, v118, v106, vcc
	v_cndmask_b32_e32 v120, v120, v108, vcc
	;; [unrolled: 1-line block ×4, first 2 shown]
	s_cmp_lg_u32 s3, s0
	s_cbranch_scc1 .LBB56_379
.LBB56_380:
	s_waitcnt lgkmcnt(0)
	v_cmp_eq_f64_e32 vcc, 0, v[117:118]
	v_cmp_eq_f64_e64 s[0:1], 0, v[119:120]
	s_and_b64 s[0:1], vcc, s[0:1]
	s_and_saveexec_b64 s[18:19], s[0:1]
	s_xor_b64 s[0:1], exec, s[18:19]
; %bb.381:
	v_cmp_ne_u32_e32 vcc, 0, v92
	v_cndmask_b32_e32 v92, 19, v92, vcc
; %bb.382:
	s_andn2_saveexec_b64 s[0:1], s[0:1]
	s_cbranch_execz .LBB56_388
; %bb.383:
	v_cmp_ngt_f64_e64 s[18:19], |v[117:118]|, |v[119:120]|
	s_and_saveexec_b64 s[20:21], s[18:19]
	s_xor_b64 s[18:19], exec, s[20:21]
	s_cbranch_execz .LBB56_385
; %bb.384:
	v_div_scale_f64 v[105:106], s[20:21], v[119:120], v[119:120], v[117:118]
	v_rcp_f64_e32 v[107:108], v[105:106]
	v_fma_f64 v[109:110], -v[105:106], v[107:108], 1.0
	v_fma_f64 v[107:108], v[107:108], v[109:110], v[107:108]
	v_div_scale_f64 v[109:110], vcc, v[117:118], v[119:120], v[117:118]
	v_fma_f64 v[121:122], -v[105:106], v[107:108], 1.0
	v_fma_f64 v[107:108], v[107:108], v[121:122], v[107:108]
	v_mul_f64 v[121:122], v[109:110], v[107:108]
	v_fma_f64 v[105:106], -v[105:106], v[121:122], v[109:110]
	v_div_fmas_f64 v[105:106], v[105:106], v[107:108], v[121:122]
	v_div_fixup_f64 v[105:106], v[105:106], v[119:120], v[117:118]
	v_fma_f64 v[107:108], v[117:118], v[105:106], v[119:120]
	v_div_scale_f64 v[109:110], s[20:21], v[107:108], v[107:108], 1.0
	v_div_scale_f64 v[121:122], vcc, 1.0, v[107:108], 1.0
	v_rcp_f64_e32 v[117:118], v[109:110]
	v_fma_f64 v[119:120], -v[109:110], v[117:118], 1.0
	v_fma_f64 v[117:118], v[117:118], v[119:120], v[117:118]
	v_fma_f64 v[119:120], -v[109:110], v[117:118], 1.0
	v_fma_f64 v[117:118], v[117:118], v[119:120], v[117:118]
	v_mul_f64 v[119:120], v[121:122], v[117:118]
	v_fma_f64 v[109:110], -v[109:110], v[119:120], v[121:122]
	v_div_fmas_f64 v[109:110], v[109:110], v[117:118], v[119:120]
	v_div_fixup_f64 v[119:120], v[109:110], v[107:108], 1.0
	v_mul_f64 v[117:118], v[105:106], v[119:120]
	v_xor_b32_e32 v120, 0x80000000, v120
.LBB56_385:
	s_andn2_saveexec_b64 s[18:19], s[18:19]
	s_cbranch_execz .LBB56_387
; %bb.386:
	v_div_scale_f64 v[105:106], s[20:21], v[117:118], v[117:118], v[119:120]
	v_rcp_f64_e32 v[107:108], v[105:106]
	v_fma_f64 v[109:110], -v[105:106], v[107:108], 1.0
	v_fma_f64 v[107:108], v[107:108], v[109:110], v[107:108]
	v_div_scale_f64 v[109:110], vcc, v[119:120], v[117:118], v[119:120]
	v_fma_f64 v[121:122], -v[105:106], v[107:108], 1.0
	v_fma_f64 v[107:108], v[107:108], v[121:122], v[107:108]
	v_mul_f64 v[121:122], v[109:110], v[107:108]
	v_fma_f64 v[105:106], -v[105:106], v[121:122], v[109:110]
	v_div_fmas_f64 v[105:106], v[105:106], v[107:108], v[121:122]
	v_div_fixup_f64 v[105:106], v[105:106], v[117:118], v[119:120]
	v_fma_f64 v[107:108], v[119:120], v[105:106], v[117:118]
	v_div_scale_f64 v[109:110], s[20:21], v[107:108], v[107:108], 1.0
	v_div_scale_f64 v[121:122], vcc, 1.0, v[107:108], 1.0
	v_rcp_f64_e32 v[117:118], v[109:110]
	v_fma_f64 v[119:120], -v[109:110], v[117:118], 1.0
	v_fma_f64 v[117:118], v[117:118], v[119:120], v[117:118]
	v_fma_f64 v[119:120], -v[109:110], v[117:118], 1.0
	v_fma_f64 v[117:118], v[117:118], v[119:120], v[117:118]
	v_mul_f64 v[119:120], v[121:122], v[117:118]
	v_fma_f64 v[109:110], -v[109:110], v[119:120], v[121:122]
	v_div_fmas_f64 v[109:110], v[109:110], v[117:118], v[119:120]
	v_div_fixup_f64 v[117:118], v[109:110], v[107:108], 1.0
	v_mul_f64 v[119:120], v[105:106], -v[117:118]
.LBB56_387:
	s_or_b64 exec, exec, s[18:19]
.LBB56_388:
	s_or_b64 exec, exec, s[0:1]
	v_cmp_ne_u32_e32 vcc, v91, v89
	s_and_saveexec_b64 s[0:1], vcc
	s_xor_b64 s[0:1], exec, s[0:1]
	s_cbranch_execz .LBB56_394
; %bb.389:
	v_cmp_eq_u32_e32 vcc, 18, v91
	s_and_saveexec_b64 s[18:19], vcc
	s_cbranch_execz .LBB56_393
; %bb.390:
	v_cmp_ne_u32_e32 vcc, 18, v89
	s_xor_b64 s[20:21], s[6:7], -1
	s_and_b64 s[22:23], s[20:21], vcc
	s_and_saveexec_b64 s[20:21], s[22:23]
	s_cbranch_execz .LBB56_392
; %bb.391:
	buffer_load_dword v106, off, s[24:27], 0 offset:32 ; 4-byte Folded Reload
	buffer_load_dword v107, off, s[24:27], 0 offset:36 ; 4-byte Folded Reload
	v_ashrrev_i32_e32 v90, 31, v89
	v_lshlrev_b64 v[90:91], 2, v[89:90]
	s_waitcnt vmcnt(1)
	v_add_co_u32_e32 v90, vcc, v106, v90
	s_waitcnt vmcnt(0)
	v_addc_co_u32_e32 v91, vcc, v107, v91, vcc
	global_load_dword v0, v[90:91], off
	global_load_dword v105, v[106:107], off offset:72
	s_waitcnt vmcnt(1)
	global_store_dword v[106:107], v0, off offset:72
	s_waitcnt vmcnt(1)
	global_store_dword v[90:91], v105, off
.LBB56_392:
	s_or_b64 exec, exec, s[20:21]
	v_mov_b32_e32 v91, v89
	v_mov_b32_e32 v0, v89
.LBB56_393:
	s_or_b64 exec, exec, s[18:19]
.LBB56_394:
	s_andn2_saveexec_b64 s[0:1], s[0:1]
	s_cbranch_execz .LBB56_396
; %bb.395:
	v_mov_b32_e32 v91, 18
	ds_write2_b64 v127, v[33:34], v[35:36] offset0:38 offset1:39
	ds_write2_b64 v127, v[29:30], v[31:32] offset0:40 offset1:41
	;; [unrolled: 1-line block ×10, first 2 shown]
.LBB56_396:
	s_or_b64 exec, exec, s[0:1]
	v_cmp_lt_i32_e32 vcc, 18, v91
	s_waitcnt vmcnt(0) lgkmcnt(0)
	s_barrier
	s_and_saveexec_b64 s[0:1], vcc
	s_cbranch_execz .LBB56_398
; %bb.397:
	v_mul_f64 v[89:90], v[117:118], v[39:40]
	v_mul_f64 v[39:40], v[119:120], v[39:40]
	ds_read2_b64 v[105:108], v127 offset0:38 offset1:39
	v_fma_f64 v[89:90], v[119:120], v[37:38], v[89:90]
	v_fma_f64 v[37:38], v[117:118], v[37:38], -v[39:40]
	s_waitcnt lgkmcnt(0)
	v_mul_f64 v[39:40], v[107:108], v[89:90]
	v_fma_f64 v[39:40], v[105:106], v[37:38], -v[39:40]
	v_mul_f64 v[105:106], v[105:106], v[89:90]
	v_add_f64 v[33:34], v[33:34], -v[39:40]
	v_fma_f64 v[105:106], v[107:108], v[37:38], v[105:106]
	v_add_f64 v[35:36], v[35:36], -v[105:106]
	ds_read2_b64 v[105:108], v127 offset0:40 offset1:41
	s_waitcnt lgkmcnt(0)
	v_mul_f64 v[39:40], v[107:108], v[89:90]
	v_fma_f64 v[39:40], v[105:106], v[37:38], -v[39:40]
	v_mul_f64 v[105:106], v[105:106], v[89:90]
	v_add_f64 v[29:30], v[29:30], -v[39:40]
	v_fma_f64 v[105:106], v[107:108], v[37:38], v[105:106]
	v_add_f64 v[31:32], v[31:32], -v[105:106]
	ds_read2_b64 v[105:108], v127 offset0:42 offset1:43
	;; [unrolled: 8-line block ×9, first 2 shown]
	s_waitcnt lgkmcnt(0)
	v_mul_f64 v[39:40], v[107:108], v[89:90]
	v_fma_f64 v[39:40], v[105:106], v[37:38], -v[39:40]
	v_mul_f64 v[105:106], v[105:106], v[89:90]
	v_add_f64 v[113:114], v[113:114], -v[39:40]
	v_fma_f64 v[105:106], v[107:108], v[37:38], v[105:106]
	v_mov_b32_e32 v39, v89
	v_mov_b32_e32 v40, v90
	v_add_f64 v[115:116], v[115:116], -v[105:106]
.LBB56_398:
	s_or_b64 exec, exec, s[0:1]
	v_lshl_add_u32 v89, v91, 4, v127
	s_barrier
	ds_write2_b64 v89, v[33:34], v[35:36] offset1:1
	s_waitcnt lgkmcnt(0)
	s_barrier
	ds_read2_b64 v[117:120], v127 offset0:38 offset1:39
	s_cmp_lt_i32 s3, 21
	v_mov_b32_e32 v89, 19
	s_cbranch_scc1 .LBB56_401
; %bb.399:
	v_add_u32_e32 v90, 0x140, v127
	s_mov_b32 s0, 20
	v_mov_b32_e32 v89, 19
.LBB56_400:                             ; =>This Inner Loop Header: Depth=1
	s_waitcnt lgkmcnt(0)
	v_cmp_gt_f64_e32 vcc, 0, v[117:118]
	v_xor_b32_e32 v109, 0x80000000, v118
	ds_read2_b64 v[105:108], v90 offset1:1
	v_xor_b32_e32 v121, 0x80000000, v120
	v_add_u32_e32 v90, 16, v90
	s_waitcnt lgkmcnt(0)
	v_xor_b32_e32 v123, 0x80000000, v108
	v_cndmask_b32_e32 v110, v118, v109, vcc
	v_cmp_gt_f64_e32 vcc, 0, v[119:120]
	v_mov_b32_e32 v109, v117
	v_cndmask_b32_e32 v122, v120, v121, vcc
	v_cmp_gt_f64_e32 vcc, 0, v[105:106]
	v_mov_b32_e32 v121, v119
	v_add_f64 v[109:110], v[109:110], v[121:122]
	v_xor_b32_e32 v121, 0x80000000, v106
	v_cndmask_b32_e32 v122, v106, v121, vcc
	v_cmp_gt_f64_e32 vcc, 0, v[107:108]
	v_mov_b32_e32 v121, v105
	v_cndmask_b32_e32 v124, v108, v123, vcc
	v_mov_b32_e32 v123, v107
	v_add_f64 v[121:122], v[121:122], v[123:124]
	v_cmp_lt_f64_e32 vcc, v[109:110], v[121:122]
	v_cndmask_b32_e32 v117, v117, v105, vcc
	v_mov_b32_e32 v105, s0
	s_add_i32 s0, s0, 1
	v_cndmask_b32_e32 v118, v118, v106, vcc
	v_cndmask_b32_e32 v120, v120, v108, vcc
	;; [unrolled: 1-line block ×4, first 2 shown]
	s_cmp_lg_u32 s3, s0
	s_cbranch_scc1 .LBB56_400
.LBB56_401:
	s_waitcnt lgkmcnt(0)
	v_cmp_eq_f64_e32 vcc, 0, v[117:118]
	v_cmp_eq_f64_e64 s[0:1], 0, v[119:120]
	s_and_b64 s[0:1], vcc, s[0:1]
	s_and_saveexec_b64 s[18:19], s[0:1]
	s_xor_b64 s[0:1], exec, s[18:19]
; %bb.402:
	v_cmp_ne_u32_e32 vcc, 0, v92
	v_cndmask_b32_e32 v92, 20, v92, vcc
; %bb.403:
	s_andn2_saveexec_b64 s[0:1], s[0:1]
	s_cbranch_execz .LBB56_409
; %bb.404:
	v_cmp_ngt_f64_e64 s[18:19], |v[117:118]|, |v[119:120]|
	s_and_saveexec_b64 s[20:21], s[18:19]
	s_xor_b64 s[18:19], exec, s[20:21]
	s_cbranch_execz .LBB56_406
; %bb.405:
	v_div_scale_f64 v[105:106], s[20:21], v[119:120], v[119:120], v[117:118]
	v_rcp_f64_e32 v[107:108], v[105:106]
	v_fma_f64 v[109:110], -v[105:106], v[107:108], 1.0
	v_fma_f64 v[107:108], v[107:108], v[109:110], v[107:108]
	v_div_scale_f64 v[109:110], vcc, v[117:118], v[119:120], v[117:118]
	v_fma_f64 v[121:122], -v[105:106], v[107:108], 1.0
	v_fma_f64 v[107:108], v[107:108], v[121:122], v[107:108]
	v_mul_f64 v[121:122], v[109:110], v[107:108]
	v_fma_f64 v[105:106], -v[105:106], v[121:122], v[109:110]
	v_div_fmas_f64 v[105:106], v[105:106], v[107:108], v[121:122]
	v_div_fixup_f64 v[105:106], v[105:106], v[119:120], v[117:118]
	v_fma_f64 v[107:108], v[117:118], v[105:106], v[119:120]
	v_div_scale_f64 v[109:110], s[20:21], v[107:108], v[107:108], 1.0
	v_div_scale_f64 v[121:122], vcc, 1.0, v[107:108], 1.0
	v_rcp_f64_e32 v[117:118], v[109:110]
	v_fma_f64 v[119:120], -v[109:110], v[117:118], 1.0
	v_fma_f64 v[117:118], v[117:118], v[119:120], v[117:118]
	v_fma_f64 v[119:120], -v[109:110], v[117:118], 1.0
	v_fma_f64 v[117:118], v[117:118], v[119:120], v[117:118]
	v_mul_f64 v[119:120], v[121:122], v[117:118]
	v_fma_f64 v[109:110], -v[109:110], v[119:120], v[121:122]
	v_div_fmas_f64 v[109:110], v[109:110], v[117:118], v[119:120]
	v_div_fixup_f64 v[119:120], v[109:110], v[107:108], 1.0
	v_mul_f64 v[117:118], v[105:106], v[119:120]
	v_xor_b32_e32 v120, 0x80000000, v120
.LBB56_406:
	s_andn2_saveexec_b64 s[18:19], s[18:19]
	s_cbranch_execz .LBB56_408
; %bb.407:
	v_div_scale_f64 v[105:106], s[20:21], v[117:118], v[117:118], v[119:120]
	v_rcp_f64_e32 v[107:108], v[105:106]
	v_fma_f64 v[109:110], -v[105:106], v[107:108], 1.0
	v_fma_f64 v[107:108], v[107:108], v[109:110], v[107:108]
	v_div_scale_f64 v[109:110], vcc, v[119:120], v[117:118], v[119:120]
	v_fma_f64 v[121:122], -v[105:106], v[107:108], 1.0
	v_fma_f64 v[107:108], v[107:108], v[121:122], v[107:108]
	v_mul_f64 v[121:122], v[109:110], v[107:108]
	v_fma_f64 v[105:106], -v[105:106], v[121:122], v[109:110]
	v_div_fmas_f64 v[105:106], v[105:106], v[107:108], v[121:122]
	v_div_fixup_f64 v[105:106], v[105:106], v[117:118], v[119:120]
	v_fma_f64 v[107:108], v[119:120], v[105:106], v[117:118]
	v_div_scale_f64 v[109:110], s[20:21], v[107:108], v[107:108], 1.0
	v_div_scale_f64 v[121:122], vcc, 1.0, v[107:108], 1.0
	v_rcp_f64_e32 v[117:118], v[109:110]
	v_fma_f64 v[119:120], -v[109:110], v[117:118], 1.0
	v_fma_f64 v[117:118], v[117:118], v[119:120], v[117:118]
	v_fma_f64 v[119:120], -v[109:110], v[117:118], 1.0
	v_fma_f64 v[117:118], v[117:118], v[119:120], v[117:118]
	v_mul_f64 v[119:120], v[121:122], v[117:118]
	v_fma_f64 v[109:110], -v[109:110], v[119:120], v[121:122]
	v_div_fmas_f64 v[109:110], v[109:110], v[117:118], v[119:120]
	v_div_fixup_f64 v[117:118], v[109:110], v[107:108], 1.0
	v_mul_f64 v[119:120], v[105:106], -v[117:118]
.LBB56_408:
	s_or_b64 exec, exec, s[18:19]
.LBB56_409:
	s_or_b64 exec, exec, s[0:1]
	v_cmp_ne_u32_e32 vcc, v91, v89
	s_and_saveexec_b64 s[0:1], vcc
	s_xor_b64 s[0:1], exec, s[0:1]
	s_cbranch_execz .LBB56_415
; %bb.410:
	v_cmp_eq_u32_e32 vcc, 19, v91
	s_and_saveexec_b64 s[18:19], vcc
	s_cbranch_execz .LBB56_414
; %bb.411:
	v_cmp_ne_u32_e32 vcc, 19, v89
	s_xor_b64 s[20:21], s[6:7], -1
	s_and_b64 s[22:23], s[20:21], vcc
	s_and_saveexec_b64 s[20:21], s[22:23]
	s_cbranch_execz .LBB56_413
; %bb.412:
	buffer_load_dword v106, off, s[24:27], 0 offset:32 ; 4-byte Folded Reload
	buffer_load_dword v107, off, s[24:27], 0 offset:36 ; 4-byte Folded Reload
	v_ashrrev_i32_e32 v90, 31, v89
	v_lshlrev_b64 v[90:91], 2, v[89:90]
	s_waitcnt vmcnt(1)
	v_add_co_u32_e32 v90, vcc, v106, v90
	s_waitcnt vmcnt(0)
	v_addc_co_u32_e32 v91, vcc, v107, v91, vcc
	global_load_dword v0, v[90:91], off
	global_load_dword v105, v[106:107], off offset:76
	s_waitcnt vmcnt(1)
	global_store_dword v[106:107], v0, off offset:76
	s_waitcnt vmcnt(1)
	global_store_dword v[90:91], v105, off
.LBB56_413:
	s_or_b64 exec, exec, s[20:21]
	v_mov_b32_e32 v91, v89
	v_mov_b32_e32 v0, v89
.LBB56_414:
	s_or_b64 exec, exec, s[18:19]
.LBB56_415:
	s_andn2_saveexec_b64 s[0:1], s[0:1]
	s_cbranch_execz .LBB56_417
; %bb.416:
	v_mov_b32_e32 v91, 19
	ds_write2_b64 v127, v[29:30], v[31:32] offset0:40 offset1:41
	ds_write2_b64 v127, v[25:26], v[27:28] offset0:42 offset1:43
	;; [unrolled: 1-line block ×9, first 2 shown]
.LBB56_417:
	s_or_b64 exec, exec, s[0:1]
	v_cmp_lt_i32_e32 vcc, 19, v91
	s_waitcnt vmcnt(0) lgkmcnt(0)
	s_barrier
	s_and_saveexec_b64 s[0:1], vcc
	s_cbranch_execz .LBB56_419
; %bb.418:
	v_mul_f64 v[89:90], v[117:118], v[35:36]
	v_mul_f64 v[35:36], v[119:120], v[35:36]
	ds_read2_b64 v[105:108], v127 offset0:40 offset1:41
	v_fma_f64 v[89:90], v[119:120], v[33:34], v[89:90]
	v_fma_f64 v[33:34], v[117:118], v[33:34], -v[35:36]
	s_waitcnt lgkmcnt(0)
	v_mul_f64 v[35:36], v[107:108], v[89:90]
	v_fma_f64 v[35:36], v[105:106], v[33:34], -v[35:36]
	v_mul_f64 v[105:106], v[105:106], v[89:90]
	v_add_f64 v[29:30], v[29:30], -v[35:36]
	v_fma_f64 v[105:106], v[107:108], v[33:34], v[105:106]
	v_add_f64 v[31:32], v[31:32], -v[105:106]
	ds_read2_b64 v[105:108], v127 offset0:42 offset1:43
	s_waitcnt lgkmcnt(0)
	v_mul_f64 v[35:36], v[107:108], v[89:90]
	v_fma_f64 v[35:36], v[105:106], v[33:34], -v[35:36]
	v_mul_f64 v[105:106], v[105:106], v[89:90]
	v_add_f64 v[25:26], v[25:26], -v[35:36]
	v_fma_f64 v[105:106], v[107:108], v[33:34], v[105:106]
	v_add_f64 v[27:28], v[27:28], -v[105:106]
	ds_read2_b64 v[105:108], v127 offset0:44 offset1:45
	;; [unrolled: 8-line block ×8, first 2 shown]
	s_waitcnt lgkmcnt(0)
	v_mul_f64 v[35:36], v[107:108], v[89:90]
	v_fma_f64 v[35:36], v[105:106], v[33:34], -v[35:36]
	v_mul_f64 v[105:106], v[105:106], v[89:90]
	v_add_f64 v[113:114], v[113:114], -v[35:36]
	v_fma_f64 v[105:106], v[107:108], v[33:34], v[105:106]
	v_mov_b32_e32 v35, v89
	v_mov_b32_e32 v36, v90
	v_add_f64 v[115:116], v[115:116], -v[105:106]
.LBB56_419:
	s_or_b64 exec, exec, s[0:1]
	v_lshl_add_u32 v89, v91, 4, v127
	s_barrier
	ds_write2_b64 v89, v[29:30], v[31:32] offset1:1
	s_waitcnt lgkmcnt(0)
	s_barrier
	ds_read2_b64 v[117:120], v127 offset0:40 offset1:41
	s_cmp_lt_i32 s3, 22
	v_mov_b32_e32 v89, 20
	s_cbranch_scc1 .LBB56_422
; %bb.420:
	v_add_u32_e32 v90, 0x150, v127
	s_mov_b32 s0, 21
	v_mov_b32_e32 v89, 20
.LBB56_421:                             ; =>This Inner Loop Header: Depth=1
	s_waitcnt lgkmcnt(0)
	v_cmp_gt_f64_e32 vcc, 0, v[117:118]
	v_xor_b32_e32 v109, 0x80000000, v118
	ds_read2_b64 v[105:108], v90 offset1:1
	v_xor_b32_e32 v121, 0x80000000, v120
	v_add_u32_e32 v90, 16, v90
	s_waitcnt lgkmcnt(0)
	v_xor_b32_e32 v123, 0x80000000, v108
	v_cndmask_b32_e32 v110, v118, v109, vcc
	v_cmp_gt_f64_e32 vcc, 0, v[119:120]
	v_mov_b32_e32 v109, v117
	v_cndmask_b32_e32 v122, v120, v121, vcc
	v_cmp_gt_f64_e32 vcc, 0, v[105:106]
	v_mov_b32_e32 v121, v119
	v_add_f64 v[109:110], v[109:110], v[121:122]
	v_xor_b32_e32 v121, 0x80000000, v106
	v_cndmask_b32_e32 v122, v106, v121, vcc
	v_cmp_gt_f64_e32 vcc, 0, v[107:108]
	v_mov_b32_e32 v121, v105
	v_cndmask_b32_e32 v124, v108, v123, vcc
	v_mov_b32_e32 v123, v107
	v_add_f64 v[121:122], v[121:122], v[123:124]
	v_cmp_lt_f64_e32 vcc, v[109:110], v[121:122]
	v_cndmask_b32_e32 v117, v117, v105, vcc
	v_mov_b32_e32 v105, s0
	s_add_i32 s0, s0, 1
	v_cndmask_b32_e32 v118, v118, v106, vcc
	v_cndmask_b32_e32 v120, v120, v108, vcc
	;; [unrolled: 1-line block ×4, first 2 shown]
	s_cmp_lg_u32 s3, s0
	s_cbranch_scc1 .LBB56_421
.LBB56_422:
	s_waitcnt lgkmcnt(0)
	v_cmp_eq_f64_e32 vcc, 0, v[117:118]
	v_cmp_eq_f64_e64 s[0:1], 0, v[119:120]
	s_and_b64 s[0:1], vcc, s[0:1]
	s_and_saveexec_b64 s[18:19], s[0:1]
	s_xor_b64 s[0:1], exec, s[18:19]
; %bb.423:
	v_cmp_ne_u32_e32 vcc, 0, v92
	v_cndmask_b32_e32 v92, 21, v92, vcc
; %bb.424:
	s_andn2_saveexec_b64 s[0:1], s[0:1]
	s_cbranch_execz .LBB56_430
; %bb.425:
	v_cmp_ngt_f64_e64 s[18:19], |v[117:118]|, |v[119:120]|
	s_and_saveexec_b64 s[20:21], s[18:19]
	s_xor_b64 s[18:19], exec, s[20:21]
	s_cbranch_execz .LBB56_427
; %bb.426:
	v_div_scale_f64 v[105:106], s[20:21], v[119:120], v[119:120], v[117:118]
	v_rcp_f64_e32 v[107:108], v[105:106]
	v_fma_f64 v[109:110], -v[105:106], v[107:108], 1.0
	v_fma_f64 v[107:108], v[107:108], v[109:110], v[107:108]
	v_div_scale_f64 v[109:110], vcc, v[117:118], v[119:120], v[117:118]
	v_fma_f64 v[121:122], -v[105:106], v[107:108], 1.0
	v_fma_f64 v[107:108], v[107:108], v[121:122], v[107:108]
	v_mul_f64 v[121:122], v[109:110], v[107:108]
	v_fma_f64 v[105:106], -v[105:106], v[121:122], v[109:110]
	v_div_fmas_f64 v[105:106], v[105:106], v[107:108], v[121:122]
	v_div_fixup_f64 v[105:106], v[105:106], v[119:120], v[117:118]
	v_fma_f64 v[107:108], v[117:118], v[105:106], v[119:120]
	v_div_scale_f64 v[109:110], s[20:21], v[107:108], v[107:108], 1.0
	v_div_scale_f64 v[121:122], vcc, 1.0, v[107:108], 1.0
	v_rcp_f64_e32 v[117:118], v[109:110]
	v_fma_f64 v[119:120], -v[109:110], v[117:118], 1.0
	v_fma_f64 v[117:118], v[117:118], v[119:120], v[117:118]
	v_fma_f64 v[119:120], -v[109:110], v[117:118], 1.0
	v_fma_f64 v[117:118], v[117:118], v[119:120], v[117:118]
	v_mul_f64 v[119:120], v[121:122], v[117:118]
	v_fma_f64 v[109:110], -v[109:110], v[119:120], v[121:122]
	v_div_fmas_f64 v[109:110], v[109:110], v[117:118], v[119:120]
	v_div_fixup_f64 v[119:120], v[109:110], v[107:108], 1.0
	v_mul_f64 v[117:118], v[105:106], v[119:120]
	v_xor_b32_e32 v120, 0x80000000, v120
.LBB56_427:
	s_andn2_saveexec_b64 s[18:19], s[18:19]
	s_cbranch_execz .LBB56_429
; %bb.428:
	v_div_scale_f64 v[105:106], s[20:21], v[117:118], v[117:118], v[119:120]
	v_rcp_f64_e32 v[107:108], v[105:106]
	v_fma_f64 v[109:110], -v[105:106], v[107:108], 1.0
	v_fma_f64 v[107:108], v[107:108], v[109:110], v[107:108]
	v_div_scale_f64 v[109:110], vcc, v[119:120], v[117:118], v[119:120]
	v_fma_f64 v[121:122], -v[105:106], v[107:108], 1.0
	v_fma_f64 v[107:108], v[107:108], v[121:122], v[107:108]
	v_mul_f64 v[121:122], v[109:110], v[107:108]
	v_fma_f64 v[105:106], -v[105:106], v[121:122], v[109:110]
	v_div_fmas_f64 v[105:106], v[105:106], v[107:108], v[121:122]
	v_div_fixup_f64 v[105:106], v[105:106], v[117:118], v[119:120]
	v_fma_f64 v[107:108], v[119:120], v[105:106], v[117:118]
	v_div_scale_f64 v[109:110], s[20:21], v[107:108], v[107:108], 1.0
	v_div_scale_f64 v[121:122], vcc, 1.0, v[107:108], 1.0
	v_rcp_f64_e32 v[117:118], v[109:110]
	v_fma_f64 v[119:120], -v[109:110], v[117:118], 1.0
	v_fma_f64 v[117:118], v[117:118], v[119:120], v[117:118]
	v_fma_f64 v[119:120], -v[109:110], v[117:118], 1.0
	v_fma_f64 v[117:118], v[117:118], v[119:120], v[117:118]
	v_mul_f64 v[119:120], v[121:122], v[117:118]
	v_fma_f64 v[109:110], -v[109:110], v[119:120], v[121:122]
	v_div_fmas_f64 v[109:110], v[109:110], v[117:118], v[119:120]
	v_div_fixup_f64 v[117:118], v[109:110], v[107:108], 1.0
	v_mul_f64 v[119:120], v[105:106], -v[117:118]
.LBB56_429:
	s_or_b64 exec, exec, s[18:19]
.LBB56_430:
	s_or_b64 exec, exec, s[0:1]
	v_cmp_ne_u32_e32 vcc, v91, v89
	s_and_saveexec_b64 s[0:1], vcc
	s_xor_b64 s[0:1], exec, s[0:1]
	s_cbranch_execz .LBB56_436
; %bb.431:
	v_cmp_eq_u32_e32 vcc, 20, v91
	s_and_saveexec_b64 s[18:19], vcc
	s_cbranch_execz .LBB56_435
; %bb.432:
	v_cmp_ne_u32_e32 vcc, 20, v89
	s_xor_b64 s[20:21], s[6:7], -1
	s_and_b64 s[22:23], s[20:21], vcc
	s_and_saveexec_b64 s[20:21], s[22:23]
	s_cbranch_execz .LBB56_434
; %bb.433:
	buffer_load_dword v106, off, s[24:27], 0 offset:32 ; 4-byte Folded Reload
	buffer_load_dword v107, off, s[24:27], 0 offset:36 ; 4-byte Folded Reload
	v_ashrrev_i32_e32 v90, 31, v89
	v_lshlrev_b64 v[90:91], 2, v[89:90]
	s_waitcnt vmcnt(1)
	v_add_co_u32_e32 v90, vcc, v106, v90
	s_waitcnt vmcnt(0)
	v_addc_co_u32_e32 v91, vcc, v107, v91, vcc
	global_load_dword v0, v[90:91], off
	global_load_dword v105, v[106:107], off offset:80
	s_waitcnt vmcnt(1)
	global_store_dword v[106:107], v0, off offset:80
	s_waitcnt vmcnt(1)
	global_store_dword v[90:91], v105, off
.LBB56_434:
	s_or_b64 exec, exec, s[20:21]
	v_mov_b32_e32 v91, v89
	v_mov_b32_e32 v0, v89
.LBB56_435:
	s_or_b64 exec, exec, s[18:19]
.LBB56_436:
	s_andn2_saveexec_b64 s[0:1], s[0:1]
	s_cbranch_execz .LBB56_438
; %bb.437:
	v_mov_b32_e32 v91, 20
	ds_write2_b64 v127, v[25:26], v[27:28] offset0:42 offset1:43
	ds_write2_b64 v127, v[21:22], v[23:24] offset0:44 offset1:45
	ds_write2_b64 v127, v[17:18], v[19:20] offset0:46 offset1:47
	ds_write2_b64 v127, v[13:14], v[15:16] offset0:48 offset1:49
	ds_write2_b64 v127, v[9:10], v[11:12] offset0:50 offset1:51
	ds_write2_b64 v127, v[5:6], v[7:8] offset0:52 offset1:53
	ds_write2_b64 v127, v[1:2], v[3:4] offset0:54 offset1:55
	ds_write2_b64 v127, v[113:114], v[115:116] offset0:56 offset1:57
.LBB56_438:
	s_or_b64 exec, exec, s[0:1]
	v_cmp_lt_i32_e32 vcc, 20, v91
	s_waitcnt vmcnt(0) lgkmcnt(0)
	s_barrier
	s_and_saveexec_b64 s[0:1], vcc
	s_cbranch_execz .LBB56_440
; %bb.439:
	v_mul_f64 v[89:90], v[117:118], v[31:32]
	v_mul_f64 v[31:32], v[119:120], v[31:32]
	ds_read2_b64 v[105:108], v127 offset0:42 offset1:43
	v_fma_f64 v[89:90], v[119:120], v[29:30], v[89:90]
	v_fma_f64 v[29:30], v[117:118], v[29:30], -v[31:32]
	s_waitcnt lgkmcnt(0)
	v_mul_f64 v[31:32], v[107:108], v[89:90]
	v_fma_f64 v[31:32], v[105:106], v[29:30], -v[31:32]
	v_mul_f64 v[105:106], v[105:106], v[89:90]
	v_add_f64 v[25:26], v[25:26], -v[31:32]
	v_fma_f64 v[105:106], v[107:108], v[29:30], v[105:106]
	v_add_f64 v[27:28], v[27:28], -v[105:106]
	ds_read2_b64 v[105:108], v127 offset0:44 offset1:45
	s_waitcnt lgkmcnt(0)
	v_mul_f64 v[31:32], v[107:108], v[89:90]
	v_fma_f64 v[31:32], v[105:106], v[29:30], -v[31:32]
	v_mul_f64 v[105:106], v[105:106], v[89:90]
	v_add_f64 v[21:22], v[21:22], -v[31:32]
	v_fma_f64 v[105:106], v[107:108], v[29:30], v[105:106]
	v_add_f64 v[23:24], v[23:24], -v[105:106]
	ds_read2_b64 v[105:108], v127 offset0:46 offset1:47
	;; [unrolled: 8-line block ×7, first 2 shown]
	s_waitcnt lgkmcnt(0)
	v_mul_f64 v[31:32], v[107:108], v[89:90]
	v_fma_f64 v[31:32], v[105:106], v[29:30], -v[31:32]
	v_mul_f64 v[105:106], v[105:106], v[89:90]
	v_add_f64 v[113:114], v[113:114], -v[31:32]
	v_fma_f64 v[105:106], v[107:108], v[29:30], v[105:106]
	v_mov_b32_e32 v31, v89
	v_mov_b32_e32 v32, v90
	v_add_f64 v[115:116], v[115:116], -v[105:106]
.LBB56_440:
	s_or_b64 exec, exec, s[0:1]
	v_lshl_add_u32 v89, v91, 4, v127
	s_barrier
	ds_write2_b64 v89, v[25:26], v[27:28] offset1:1
	s_waitcnt lgkmcnt(0)
	s_barrier
	ds_read2_b64 v[117:120], v127 offset0:42 offset1:43
	s_cmp_lt_i32 s3, 23
	v_mov_b32_e32 v89, 21
	s_cbranch_scc1 .LBB56_443
; %bb.441:
	v_add_u32_e32 v90, 0x160, v127
	s_mov_b32 s0, 22
	v_mov_b32_e32 v89, 21
.LBB56_442:                             ; =>This Inner Loop Header: Depth=1
	s_waitcnt lgkmcnt(0)
	v_cmp_gt_f64_e32 vcc, 0, v[117:118]
	v_xor_b32_e32 v109, 0x80000000, v118
	ds_read2_b64 v[105:108], v90 offset1:1
	v_xor_b32_e32 v121, 0x80000000, v120
	v_add_u32_e32 v90, 16, v90
	s_waitcnt lgkmcnt(0)
	v_xor_b32_e32 v123, 0x80000000, v108
	v_cndmask_b32_e32 v110, v118, v109, vcc
	v_cmp_gt_f64_e32 vcc, 0, v[119:120]
	v_mov_b32_e32 v109, v117
	v_cndmask_b32_e32 v122, v120, v121, vcc
	v_cmp_gt_f64_e32 vcc, 0, v[105:106]
	v_mov_b32_e32 v121, v119
	v_add_f64 v[109:110], v[109:110], v[121:122]
	v_xor_b32_e32 v121, 0x80000000, v106
	v_cndmask_b32_e32 v122, v106, v121, vcc
	v_cmp_gt_f64_e32 vcc, 0, v[107:108]
	v_mov_b32_e32 v121, v105
	v_cndmask_b32_e32 v124, v108, v123, vcc
	v_mov_b32_e32 v123, v107
	v_add_f64 v[121:122], v[121:122], v[123:124]
	v_cmp_lt_f64_e32 vcc, v[109:110], v[121:122]
	v_cndmask_b32_e32 v117, v117, v105, vcc
	v_mov_b32_e32 v105, s0
	s_add_i32 s0, s0, 1
	v_cndmask_b32_e32 v118, v118, v106, vcc
	v_cndmask_b32_e32 v120, v120, v108, vcc
	;; [unrolled: 1-line block ×4, first 2 shown]
	s_cmp_lg_u32 s3, s0
	s_cbranch_scc1 .LBB56_442
.LBB56_443:
	s_waitcnt lgkmcnt(0)
	v_cmp_eq_f64_e32 vcc, 0, v[117:118]
	v_cmp_eq_f64_e64 s[0:1], 0, v[119:120]
	s_and_b64 s[0:1], vcc, s[0:1]
	s_and_saveexec_b64 s[18:19], s[0:1]
	s_xor_b64 s[0:1], exec, s[18:19]
; %bb.444:
	v_cmp_ne_u32_e32 vcc, 0, v92
	v_cndmask_b32_e32 v92, 22, v92, vcc
; %bb.445:
	s_andn2_saveexec_b64 s[0:1], s[0:1]
	s_cbranch_execz .LBB56_451
; %bb.446:
	v_cmp_ngt_f64_e64 s[18:19], |v[117:118]|, |v[119:120]|
	s_and_saveexec_b64 s[20:21], s[18:19]
	s_xor_b64 s[18:19], exec, s[20:21]
	s_cbranch_execz .LBB56_448
; %bb.447:
	v_div_scale_f64 v[105:106], s[20:21], v[119:120], v[119:120], v[117:118]
	v_rcp_f64_e32 v[107:108], v[105:106]
	v_fma_f64 v[109:110], -v[105:106], v[107:108], 1.0
	v_fma_f64 v[107:108], v[107:108], v[109:110], v[107:108]
	v_div_scale_f64 v[109:110], vcc, v[117:118], v[119:120], v[117:118]
	v_fma_f64 v[121:122], -v[105:106], v[107:108], 1.0
	v_fma_f64 v[107:108], v[107:108], v[121:122], v[107:108]
	v_mul_f64 v[121:122], v[109:110], v[107:108]
	v_fma_f64 v[105:106], -v[105:106], v[121:122], v[109:110]
	v_div_fmas_f64 v[105:106], v[105:106], v[107:108], v[121:122]
	v_div_fixup_f64 v[105:106], v[105:106], v[119:120], v[117:118]
	v_fma_f64 v[107:108], v[117:118], v[105:106], v[119:120]
	v_div_scale_f64 v[109:110], s[20:21], v[107:108], v[107:108], 1.0
	v_div_scale_f64 v[121:122], vcc, 1.0, v[107:108], 1.0
	v_rcp_f64_e32 v[117:118], v[109:110]
	v_fma_f64 v[119:120], -v[109:110], v[117:118], 1.0
	v_fma_f64 v[117:118], v[117:118], v[119:120], v[117:118]
	v_fma_f64 v[119:120], -v[109:110], v[117:118], 1.0
	v_fma_f64 v[117:118], v[117:118], v[119:120], v[117:118]
	v_mul_f64 v[119:120], v[121:122], v[117:118]
	v_fma_f64 v[109:110], -v[109:110], v[119:120], v[121:122]
	v_div_fmas_f64 v[109:110], v[109:110], v[117:118], v[119:120]
	v_div_fixup_f64 v[119:120], v[109:110], v[107:108], 1.0
	v_mul_f64 v[117:118], v[105:106], v[119:120]
	v_xor_b32_e32 v120, 0x80000000, v120
.LBB56_448:
	s_andn2_saveexec_b64 s[18:19], s[18:19]
	s_cbranch_execz .LBB56_450
; %bb.449:
	v_div_scale_f64 v[105:106], s[20:21], v[117:118], v[117:118], v[119:120]
	v_rcp_f64_e32 v[107:108], v[105:106]
	v_fma_f64 v[109:110], -v[105:106], v[107:108], 1.0
	v_fma_f64 v[107:108], v[107:108], v[109:110], v[107:108]
	v_div_scale_f64 v[109:110], vcc, v[119:120], v[117:118], v[119:120]
	v_fma_f64 v[121:122], -v[105:106], v[107:108], 1.0
	v_fma_f64 v[107:108], v[107:108], v[121:122], v[107:108]
	v_mul_f64 v[121:122], v[109:110], v[107:108]
	v_fma_f64 v[105:106], -v[105:106], v[121:122], v[109:110]
	v_div_fmas_f64 v[105:106], v[105:106], v[107:108], v[121:122]
	v_div_fixup_f64 v[105:106], v[105:106], v[117:118], v[119:120]
	v_fma_f64 v[107:108], v[119:120], v[105:106], v[117:118]
	v_div_scale_f64 v[109:110], s[20:21], v[107:108], v[107:108], 1.0
	v_div_scale_f64 v[121:122], vcc, 1.0, v[107:108], 1.0
	v_rcp_f64_e32 v[117:118], v[109:110]
	v_fma_f64 v[119:120], -v[109:110], v[117:118], 1.0
	v_fma_f64 v[117:118], v[117:118], v[119:120], v[117:118]
	v_fma_f64 v[119:120], -v[109:110], v[117:118], 1.0
	v_fma_f64 v[117:118], v[117:118], v[119:120], v[117:118]
	v_mul_f64 v[119:120], v[121:122], v[117:118]
	v_fma_f64 v[109:110], -v[109:110], v[119:120], v[121:122]
	v_div_fmas_f64 v[109:110], v[109:110], v[117:118], v[119:120]
	v_div_fixup_f64 v[117:118], v[109:110], v[107:108], 1.0
	v_mul_f64 v[119:120], v[105:106], -v[117:118]
.LBB56_450:
	s_or_b64 exec, exec, s[18:19]
.LBB56_451:
	s_or_b64 exec, exec, s[0:1]
	v_cmp_ne_u32_e32 vcc, v91, v89
	s_and_saveexec_b64 s[0:1], vcc
	s_xor_b64 s[0:1], exec, s[0:1]
	s_cbranch_execz .LBB56_457
; %bb.452:
	v_cmp_eq_u32_e32 vcc, 21, v91
	s_and_saveexec_b64 s[18:19], vcc
	s_cbranch_execz .LBB56_456
; %bb.453:
	v_cmp_ne_u32_e32 vcc, 21, v89
	s_xor_b64 s[20:21], s[6:7], -1
	s_and_b64 s[22:23], s[20:21], vcc
	s_and_saveexec_b64 s[20:21], s[22:23]
	s_cbranch_execz .LBB56_455
; %bb.454:
	buffer_load_dword v106, off, s[24:27], 0 offset:32 ; 4-byte Folded Reload
	buffer_load_dword v107, off, s[24:27], 0 offset:36 ; 4-byte Folded Reload
	v_ashrrev_i32_e32 v90, 31, v89
	v_lshlrev_b64 v[90:91], 2, v[89:90]
	s_waitcnt vmcnt(1)
	v_add_co_u32_e32 v90, vcc, v106, v90
	s_waitcnt vmcnt(0)
	v_addc_co_u32_e32 v91, vcc, v107, v91, vcc
	global_load_dword v0, v[90:91], off
	global_load_dword v105, v[106:107], off offset:84
	s_waitcnt vmcnt(1)
	global_store_dword v[106:107], v0, off offset:84
	s_waitcnt vmcnt(1)
	global_store_dword v[90:91], v105, off
.LBB56_455:
	s_or_b64 exec, exec, s[20:21]
	v_mov_b32_e32 v91, v89
	v_mov_b32_e32 v0, v89
.LBB56_456:
	s_or_b64 exec, exec, s[18:19]
.LBB56_457:
	s_andn2_saveexec_b64 s[0:1], s[0:1]
	s_cbranch_execz .LBB56_459
; %bb.458:
	v_mov_b32_e32 v91, 21
	ds_write2_b64 v127, v[21:22], v[23:24] offset0:44 offset1:45
	ds_write2_b64 v127, v[17:18], v[19:20] offset0:46 offset1:47
	;; [unrolled: 1-line block ×7, first 2 shown]
.LBB56_459:
	s_or_b64 exec, exec, s[0:1]
	v_cmp_lt_i32_e32 vcc, 21, v91
	s_waitcnt vmcnt(0) lgkmcnt(0)
	s_barrier
	s_and_saveexec_b64 s[0:1], vcc
	s_cbranch_execz .LBB56_461
; %bb.460:
	v_mul_f64 v[89:90], v[117:118], v[27:28]
	v_mul_f64 v[27:28], v[119:120], v[27:28]
	ds_read2_b64 v[105:108], v127 offset0:44 offset1:45
	v_fma_f64 v[89:90], v[119:120], v[25:26], v[89:90]
	v_fma_f64 v[25:26], v[117:118], v[25:26], -v[27:28]
	s_waitcnt lgkmcnt(0)
	v_mul_f64 v[27:28], v[107:108], v[89:90]
	v_fma_f64 v[27:28], v[105:106], v[25:26], -v[27:28]
	v_mul_f64 v[105:106], v[105:106], v[89:90]
	v_add_f64 v[21:22], v[21:22], -v[27:28]
	v_fma_f64 v[105:106], v[107:108], v[25:26], v[105:106]
	v_add_f64 v[23:24], v[23:24], -v[105:106]
	ds_read2_b64 v[105:108], v127 offset0:46 offset1:47
	s_waitcnt lgkmcnt(0)
	v_mul_f64 v[27:28], v[107:108], v[89:90]
	v_fma_f64 v[27:28], v[105:106], v[25:26], -v[27:28]
	v_mul_f64 v[105:106], v[105:106], v[89:90]
	v_add_f64 v[17:18], v[17:18], -v[27:28]
	v_fma_f64 v[105:106], v[107:108], v[25:26], v[105:106]
	v_add_f64 v[19:20], v[19:20], -v[105:106]
	ds_read2_b64 v[105:108], v127 offset0:48 offset1:49
	;; [unrolled: 8-line block ×6, first 2 shown]
	s_waitcnt lgkmcnt(0)
	v_mul_f64 v[27:28], v[107:108], v[89:90]
	v_fma_f64 v[27:28], v[105:106], v[25:26], -v[27:28]
	v_mul_f64 v[105:106], v[105:106], v[89:90]
	v_add_f64 v[113:114], v[113:114], -v[27:28]
	v_fma_f64 v[105:106], v[107:108], v[25:26], v[105:106]
	v_mov_b32_e32 v27, v89
	v_mov_b32_e32 v28, v90
	v_add_f64 v[115:116], v[115:116], -v[105:106]
.LBB56_461:
	s_or_b64 exec, exec, s[0:1]
	v_lshl_add_u32 v89, v91, 4, v127
	s_barrier
	ds_write2_b64 v89, v[21:22], v[23:24] offset1:1
	s_waitcnt lgkmcnt(0)
	s_barrier
	ds_read2_b64 v[117:120], v127 offset0:44 offset1:45
	s_cmp_lt_i32 s3, 24
	v_mov_b32_e32 v89, 22
	s_cbranch_scc1 .LBB56_464
; %bb.462:
	v_add_u32_e32 v90, 0x170, v127
	s_mov_b32 s0, 23
	v_mov_b32_e32 v89, 22
.LBB56_463:                             ; =>This Inner Loop Header: Depth=1
	s_waitcnt lgkmcnt(0)
	v_cmp_gt_f64_e32 vcc, 0, v[117:118]
	v_xor_b32_e32 v109, 0x80000000, v118
	ds_read2_b64 v[105:108], v90 offset1:1
	v_xor_b32_e32 v121, 0x80000000, v120
	v_add_u32_e32 v90, 16, v90
	s_waitcnt lgkmcnt(0)
	v_xor_b32_e32 v123, 0x80000000, v108
	v_cndmask_b32_e32 v110, v118, v109, vcc
	v_cmp_gt_f64_e32 vcc, 0, v[119:120]
	v_mov_b32_e32 v109, v117
	v_cndmask_b32_e32 v122, v120, v121, vcc
	v_cmp_gt_f64_e32 vcc, 0, v[105:106]
	v_mov_b32_e32 v121, v119
	v_add_f64 v[109:110], v[109:110], v[121:122]
	v_xor_b32_e32 v121, 0x80000000, v106
	v_cndmask_b32_e32 v122, v106, v121, vcc
	v_cmp_gt_f64_e32 vcc, 0, v[107:108]
	v_mov_b32_e32 v121, v105
	v_cndmask_b32_e32 v124, v108, v123, vcc
	v_mov_b32_e32 v123, v107
	v_add_f64 v[121:122], v[121:122], v[123:124]
	v_cmp_lt_f64_e32 vcc, v[109:110], v[121:122]
	v_cndmask_b32_e32 v117, v117, v105, vcc
	v_mov_b32_e32 v105, s0
	s_add_i32 s0, s0, 1
	v_cndmask_b32_e32 v118, v118, v106, vcc
	v_cndmask_b32_e32 v120, v120, v108, vcc
	;; [unrolled: 1-line block ×4, first 2 shown]
	s_cmp_lg_u32 s3, s0
	s_cbranch_scc1 .LBB56_463
.LBB56_464:
	s_waitcnt lgkmcnt(0)
	v_cmp_eq_f64_e32 vcc, 0, v[117:118]
	v_cmp_eq_f64_e64 s[0:1], 0, v[119:120]
	s_and_b64 s[0:1], vcc, s[0:1]
	s_and_saveexec_b64 s[18:19], s[0:1]
	s_xor_b64 s[0:1], exec, s[18:19]
; %bb.465:
	v_cmp_ne_u32_e32 vcc, 0, v92
	v_cndmask_b32_e32 v92, 23, v92, vcc
; %bb.466:
	s_andn2_saveexec_b64 s[0:1], s[0:1]
	s_cbranch_execz .LBB56_472
; %bb.467:
	v_cmp_ngt_f64_e64 s[18:19], |v[117:118]|, |v[119:120]|
	s_and_saveexec_b64 s[20:21], s[18:19]
	s_xor_b64 s[18:19], exec, s[20:21]
	s_cbranch_execz .LBB56_469
; %bb.468:
	v_div_scale_f64 v[105:106], s[20:21], v[119:120], v[119:120], v[117:118]
	v_rcp_f64_e32 v[107:108], v[105:106]
	v_fma_f64 v[109:110], -v[105:106], v[107:108], 1.0
	v_fma_f64 v[107:108], v[107:108], v[109:110], v[107:108]
	v_div_scale_f64 v[109:110], vcc, v[117:118], v[119:120], v[117:118]
	v_fma_f64 v[121:122], -v[105:106], v[107:108], 1.0
	v_fma_f64 v[107:108], v[107:108], v[121:122], v[107:108]
	v_mul_f64 v[121:122], v[109:110], v[107:108]
	v_fma_f64 v[105:106], -v[105:106], v[121:122], v[109:110]
	v_div_fmas_f64 v[105:106], v[105:106], v[107:108], v[121:122]
	v_div_fixup_f64 v[105:106], v[105:106], v[119:120], v[117:118]
	v_fma_f64 v[107:108], v[117:118], v[105:106], v[119:120]
	v_div_scale_f64 v[109:110], s[20:21], v[107:108], v[107:108], 1.0
	v_div_scale_f64 v[121:122], vcc, 1.0, v[107:108], 1.0
	v_rcp_f64_e32 v[117:118], v[109:110]
	v_fma_f64 v[119:120], -v[109:110], v[117:118], 1.0
	v_fma_f64 v[117:118], v[117:118], v[119:120], v[117:118]
	v_fma_f64 v[119:120], -v[109:110], v[117:118], 1.0
	v_fma_f64 v[117:118], v[117:118], v[119:120], v[117:118]
	v_mul_f64 v[119:120], v[121:122], v[117:118]
	v_fma_f64 v[109:110], -v[109:110], v[119:120], v[121:122]
	v_div_fmas_f64 v[109:110], v[109:110], v[117:118], v[119:120]
	v_div_fixup_f64 v[119:120], v[109:110], v[107:108], 1.0
	v_mul_f64 v[117:118], v[105:106], v[119:120]
	v_xor_b32_e32 v120, 0x80000000, v120
.LBB56_469:
	s_andn2_saveexec_b64 s[18:19], s[18:19]
	s_cbranch_execz .LBB56_471
; %bb.470:
	v_div_scale_f64 v[105:106], s[20:21], v[117:118], v[117:118], v[119:120]
	v_rcp_f64_e32 v[107:108], v[105:106]
	v_fma_f64 v[109:110], -v[105:106], v[107:108], 1.0
	v_fma_f64 v[107:108], v[107:108], v[109:110], v[107:108]
	v_div_scale_f64 v[109:110], vcc, v[119:120], v[117:118], v[119:120]
	v_fma_f64 v[121:122], -v[105:106], v[107:108], 1.0
	v_fma_f64 v[107:108], v[107:108], v[121:122], v[107:108]
	v_mul_f64 v[121:122], v[109:110], v[107:108]
	v_fma_f64 v[105:106], -v[105:106], v[121:122], v[109:110]
	v_div_fmas_f64 v[105:106], v[105:106], v[107:108], v[121:122]
	v_div_fixup_f64 v[105:106], v[105:106], v[117:118], v[119:120]
	v_fma_f64 v[107:108], v[119:120], v[105:106], v[117:118]
	v_div_scale_f64 v[109:110], s[20:21], v[107:108], v[107:108], 1.0
	v_div_scale_f64 v[121:122], vcc, 1.0, v[107:108], 1.0
	v_rcp_f64_e32 v[117:118], v[109:110]
	v_fma_f64 v[119:120], -v[109:110], v[117:118], 1.0
	v_fma_f64 v[117:118], v[117:118], v[119:120], v[117:118]
	v_fma_f64 v[119:120], -v[109:110], v[117:118], 1.0
	v_fma_f64 v[117:118], v[117:118], v[119:120], v[117:118]
	v_mul_f64 v[119:120], v[121:122], v[117:118]
	v_fma_f64 v[109:110], -v[109:110], v[119:120], v[121:122]
	v_div_fmas_f64 v[109:110], v[109:110], v[117:118], v[119:120]
	v_div_fixup_f64 v[117:118], v[109:110], v[107:108], 1.0
	v_mul_f64 v[119:120], v[105:106], -v[117:118]
.LBB56_471:
	s_or_b64 exec, exec, s[18:19]
.LBB56_472:
	s_or_b64 exec, exec, s[0:1]
	v_cmp_ne_u32_e32 vcc, v91, v89
	s_and_saveexec_b64 s[0:1], vcc
	s_xor_b64 s[0:1], exec, s[0:1]
	s_cbranch_execz .LBB56_478
; %bb.473:
	v_cmp_eq_u32_e32 vcc, 22, v91
	s_and_saveexec_b64 s[18:19], vcc
	s_cbranch_execz .LBB56_477
; %bb.474:
	v_cmp_ne_u32_e32 vcc, 22, v89
	s_xor_b64 s[20:21], s[6:7], -1
	s_and_b64 s[22:23], s[20:21], vcc
	s_and_saveexec_b64 s[20:21], s[22:23]
	s_cbranch_execz .LBB56_476
; %bb.475:
	buffer_load_dword v106, off, s[24:27], 0 offset:32 ; 4-byte Folded Reload
	buffer_load_dword v107, off, s[24:27], 0 offset:36 ; 4-byte Folded Reload
	v_ashrrev_i32_e32 v90, 31, v89
	v_lshlrev_b64 v[90:91], 2, v[89:90]
	s_waitcnt vmcnt(1)
	v_add_co_u32_e32 v90, vcc, v106, v90
	s_waitcnt vmcnt(0)
	v_addc_co_u32_e32 v91, vcc, v107, v91, vcc
	global_load_dword v0, v[90:91], off
	global_load_dword v105, v[106:107], off offset:88
	s_waitcnt vmcnt(1)
	global_store_dword v[106:107], v0, off offset:88
	s_waitcnt vmcnt(1)
	global_store_dword v[90:91], v105, off
.LBB56_476:
	s_or_b64 exec, exec, s[20:21]
	v_mov_b32_e32 v91, v89
	v_mov_b32_e32 v0, v89
.LBB56_477:
	s_or_b64 exec, exec, s[18:19]
.LBB56_478:
	s_andn2_saveexec_b64 s[0:1], s[0:1]
	s_cbranch_execz .LBB56_480
; %bb.479:
	v_mov_b32_e32 v91, 22
	ds_write2_b64 v127, v[17:18], v[19:20] offset0:46 offset1:47
	ds_write2_b64 v127, v[13:14], v[15:16] offset0:48 offset1:49
	ds_write2_b64 v127, v[9:10], v[11:12] offset0:50 offset1:51
	ds_write2_b64 v127, v[5:6], v[7:8] offset0:52 offset1:53
	ds_write2_b64 v127, v[1:2], v[3:4] offset0:54 offset1:55
	ds_write2_b64 v127, v[113:114], v[115:116] offset0:56 offset1:57
.LBB56_480:
	s_or_b64 exec, exec, s[0:1]
	v_cmp_lt_i32_e32 vcc, 22, v91
	s_waitcnt vmcnt(0) lgkmcnt(0)
	s_barrier
	s_and_saveexec_b64 s[0:1], vcc
	s_cbranch_execz .LBB56_482
; %bb.481:
	v_mul_f64 v[89:90], v[117:118], v[23:24]
	v_mul_f64 v[23:24], v[119:120], v[23:24]
	ds_read2_b64 v[105:108], v127 offset0:46 offset1:47
	v_fma_f64 v[89:90], v[119:120], v[21:22], v[89:90]
	v_fma_f64 v[21:22], v[117:118], v[21:22], -v[23:24]
	s_waitcnt lgkmcnt(0)
	v_mul_f64 v[23:24], v[107:108], v[89:90]
	v_fma_f64 v[23:24], v[105:106], v[21:22], -v[23:24]
	v_mul_f64 v[105:106], v[105:106], v[89:90]
	v_add_f64 v[17:18], v[17:18], -v[23:24]
	v_fma_f64 v[105:106], v[107:108], v[21:22], v[105:106]
	v_add_f64 v[19:20], v[19:20], -v[105:106]
	ds_read2_b64 v[105:108], v127 offset0:48 offset1:49
	s_waitcnt lgkmcnt(0)
	v_mul_f64 v[23:24], v[107:108], v[89:90]
	v_fma_f64 v[23:24], v[105:106], v[21:22], -v[23:24]
	v_mul_f64 v[105:106], v[105:106], v[89:90]
	v_add_f64 v[13:14], v[13:14], -v[23:24]
	v_fma_f64 v[105:106], v[107:108], v[21:22], v[105:106]
	v_add_f64 v[15:16], v[15:16], -v[105:106]
	ds_read2_b64 v[105:108], v127 offset0:50 offset1:51
	;; [unrolled: 8-line block ×5, first 2 shown]
	s_waitcnt lgkmcnt(0)
	v_mul_f64 v[23:24], v[107:108], v[89:90]
	v_fma_f64 v[23:24], v[105:106], v[21:22], -v[23:24]
	v_mul_f64 v[105:106], v[105:106], v[89:90]
	v_add_f64 v[113:114], v[113:114], -v[23:24]
	v_fma_f64 v[105:106], v[107:108], v[21:22], v[105:106]
	v_mov_b32_e32 v23, v89
	v_mov_b32_e32 v24, v90
	v_add_f64 v[115:116], v[115:116], -v[105:106]
.LBB56_482:
	s_or_b64 exec, exec, s[0:1]
	v_lshl_add_u32 v89, v91, 4, v127
	s_barrier
	ds_write2_b64 v89, v[17:18], v[19:20] offset1:1
	s_waitcnt lgkmcnt(0)
	s_barrier
	ds_read2_b64 v[117:120], v127 offset0:46 offset1:47
	s_cmp_lt_i32 s3, 25
	v_mov_b32_e32 v89, 23
	s_cbranch_scc1 .LBB56_485
; %bb.483:
	v_add_u32_e32 v90, 0x180, v127
	s_mov_b32 s0, 24
	v_mov_b32_e32 v89, 23
.LBB56_484:                             ; =>This Inner Loop Header: Depth=1
	s_waitcnt lgkmcnt(0)
	v_cmp_gt_f64_e32 vcc, 0, v[117:118]
	v_xor_b32_e32 v109, 0x80000000, v118
	ds_read2_b64 v[105:108], v90 offset1:1
	v_xor_b32_e32 v121, 0x80000000, v120
	v_add_u32_e32 v90, 16, v90
	s_waitcnt lgkmcnt(0)
	v_xor_b32_e32 v123, 0x80000000, v108
	v_cndmask_b32_e32 v110, v118, v109, vcc
	v_cmp_gt_f64_e32 vcc, 0, v[119:120]
	v_mov_b32_e32 v109, v117
	v_cndmask_b32_e32 v122, v120, v121, vcc
	v_cmp_gt_f64_e32 vcc, 0, v[105:106]
	v_mov_b32_e32 v121, v119
	v_add_f64 v[109:110], v[109:110], v[121:122]
	v_xor_b32_e32 v121, 0x80000000, v106
	v_cndmask_b32_e32 v122, v106, v121, vcc
	v_cmp_gt_f64_e32 vcc, 0, v[107:108]
	v_mov_b32_e32 v121, v105
	v_cndmask_b32_e32 v124, v108, v123, vcc
	v_mov_b32_e32 v123, v107
	v_add_f64 v[121:122], v[121:122], v[123:124]
	v_cmp_lt_f64_e32 vcc, v[109:110], v[121:122]
	v_cndmask_b32_e32 v117, v117, v105, vcc
	v_mov_b32_e32 v105, s0
	s_add_i32 s0, s0, 1
	v_cndmask_b32_e32 v118, v118, v106, vcc
	v_cndmask_b32_e32 v120, v120, v108, vcc
	v_cndmask_b32_e32 v119, v119, v107, vcc
	v_cndmask_b32_e32 v89, v89, v105, vcc
	s_cmp_lg_u32 s3, s0
	s_cbranch_scc1 .LBB56_484
.LBB56_485:
	s_waitcnt lgkmcnt(0)
	v_cmp_eq_f64_e32 vcc, 0, v[117:118]
	v_cmp_eq_f64_e64 s[0:1], 0, v[119:120]
	s_and_b64 s[0:1], vcc, s[0:1]
	s_and_saveexec_b64 s[18:19], s[0:1]
	s_xor_b64 s[0:1], exec, s[18:19]
; %bb.486:
	v_cmp_ne_u32_e32 vcc, 0, v92
	v_cndmask_b32_e32 v92, 24, v92, vcc
; %bb.487:
	s_andn2_saveexec_b64 s[0:1], s[0:1]
	s_cbranch_execz .LBB56_493
; %bb.488:
	v_cmp_ngt_f64_e64 s[18:19], |v[117:118]|, |v[119:120]|
	s_and_saveexec_b64 s[20:21], s[18:19]
	s_xor_b64 s[18:19], exec, s[20:21]
	s_cbranch_execz .LBB56_490
; %bb.489:
	v_div_scale_f64 v[105:106], s[20:21], v[119:120], v[119:120], v[117:118]
	v_rcp_f64_e32 v[107:108], v[105:106]
	v_fma_f64 v[109:110], -v[105:106], v[107:108], 1.0
	v_fma_f64 v[107:108], v[107:108], v[109:110], v[107:108]
	v_div_scale_f64 v[109:110], vcc, v[117:118], v[119:120], v[117:118]
	v_fma_f64 v[121:122], -v[105:106], v[107:108], 1.0
	v_fma_f64 v[107:108], v[107:108], v[121:122], v[107:108]
	v_mul_f64 v[121:122], v[109:110], v[107:108]
	v_fma_f64 v[105:106], -v[105:106], v[121:122], v[109:110]
	v_div_fmas_f64 v[105:106], v[105:106], v[107:108], v[121:122]
	v_div_fixup_f64 v[105:106], v[105:106], v[119:120], v[117:118]
	v_fma_f64 v[107:108], v[117:118], v[105:106], v[119:120]
	v_div_scale_f64 v[109:110], s[20:21], v[107:108], v[107:108], 1.0
	v_div_scale_f64 v[121:122], vcc, 1.0, v[107:108], 1.0
	v_rcp_f64_e32 v[117:118], v[109:110]
	v_fma_f64 v[119:120], -v[109:110], v[117:118], 1.0
	v_fma_f64 v[117:118], v[117:118], v[119:120], v[117:118]
	v_fma_f64 v[119:120], -v[109:110], v[117:118], 1.0
	v_fma_f64 v[117:118], v[117:118], v[119:120], v[117:118]
	v_mul_f64 v[119:120], v[121:122], v[117:118]
	v_fma_f64 v[109:110], -v[109:110], v[119:120], v[121:122]
	v_div_fmas_f64 v[109:110], v[109:110], v[117:118], v[119:120]
	v_div_fixup_f64 v[119:120], v[109:110], v[107:108], 1.0
	v_mul_f64 v[117:118], v[105:106], v[119:120]
	v_xor_b32_e32 v120, 0x80000000, v120
.LBB56_490:
	s_andn2_saveexec_b64 s[18:19], s[18:19]
	s_cbranch_execz .LBB56_492
; %bb.491:
	v_div_scale_f64 v[105:106], s[20:21], v[117:118], v[117:118], v[119:120]
	v_rcp_f64_e32 v[107:108], v[105:106]
	v_fma_f64 v[109:110], -v[105:106], v[107:108], 1.0
	v_fma_f64 v[107:108], v[107:108], v[109:110], v[107:108]
	v_div_scale_f64 v[109:110], vcc, v[119:120], v[117:118], v[119:120]
	v_fma_f64 v[121:122], -v[105:106], v[107:108], 1.0
	v_fma_f64 v[107:108], v[107:108], v[121:122], v[107:108]
	v_mul_f64 v[121:122], v[109:110], v[107:108]
	v_fma_f64 v[105:106], -v[105:106], v[121:122], v[109:110]
	v_div_fmas_f64 v[105:106], v[105:106], v[107:108], v[121:122]
	v_div_fixup_f64 v[105:106], v[105:106], v[117:118], v[119:120]
	v_fma_f64 v[107:108], v[119:120], v[105:106], v[117:118]
	v_div_scale_f64 v[109:110], s[20:21], v[107:108], v[107:108], 1.0
	v_div_scale_f64 v[121:122], vcc, 1.0, v[107:108], 1.0
	v_rcp_f64_e32 v[117:118], v[109:110]
	v_fma_f64 v[119:120], -v[109:110], v[117:118], 1.0
	v_fma_f64 v[117:118], v[117:118], v[119:120], v[117:118]
	v_fma_f64 v[119:120], -v[109:110], v[117:118], 1.0
	v_fma_f64 v[117:118], v[117:118], v[119:120], v[117:118]
	v_mul_f64 v[119:120], v[121:122], v[117:118]
	v_fma_f64 v[109:110], -v[109:110], v[119:120], v[121:122]
	v_div_fmas_f64 v[109:110], v[109:110], v[117:118], v[119:120]
	v_div_fixup_f64 v[117:118], v[109:110], v[107:108], 1.0
	v_mul_f64 v[119:120], v[105:106], -v[117:118]
.LBB56_492:
	s_or_b64 exec, exec, s[18:19]
.LBB56_493:
	s_or_b64 exec, exec, s[0:1]
	v_cmp_ne_u32_e32 vcc, v91, v89
	s_and_saveexec_b64 s[0:1], vcc
	s_xor_b64 s[0:1], exec, s[0:1]
	s_cbranch_execz .LBB56_499
; %bb.494:
	v_cmp_eq_u32_e32 vcc, 23, v91
	s_and_saveexec_b64 s[18:19], vcc
	s_cbranch_execz .LBB56_498
; %bb.495:
	v_cmp_ne_u32_e32 vcc, 23, v89
	s_xor_b64 s[20:21], s[6:7], -1
	s_and_b64 s[22:23], s[20:21], vcc
	s_and_saveexec_b64 s[20:21], s[22:23]
	s_cbranch_execz .LBB56_497
; %bb.496:
	buffer_load_dword v106, off, s[24:27], 0 offset:32 ; 4-byte Folded Reload
	buffer_load_dword v107, off, s[24:27], 0 offset:36 ; 4-byte Folded Reload
	v_ashrrev_i32_e32 v90, 31, v89
	v_lshlrev_b64 v[90:91], 2, v[89:90]
	s_waitcnt vmcnt(1)
	v_add_co_u32_e32 v90, vcc, v106, v90
	s_waitcnt vmcnt(0)
	v_addc_co_u32_e32 v91, vcc, v107, v91, vcc
	global_load_dword v0, v[90:91], off
	global_load_dword v105, v[106:107], off offset:92
	s_waitcnt vmcnt(1)
	global_store_dword v[106:107], v0, off offset:92
	s_waitcnt vmcnt(1)
	global_store_dword v[90:91], v105, off
.LBB56_497:
	s_or_b64 exec, exec, s[20:21]
	v_mov_b32_e32 v91, v89
	v_mov_b32_e32 v0, v89
.LBB56_498:
	s_or_b64 exec, exec, s[18:19]
.LBB56_499:
	s_andn2_saveexec_b64 s[0:1], s[0:1]
	s_cbranch_execz .LBB56_501
; %bb.500:
	v_mov_b32_e32 v91, 23
	ds_write2_b64 v127, v[13:14], v[15:16] offset0:48 offset1:49
	ds_write2_b64 v127, v[9:10], v[11:12] offset0:50 offset1:51
	;; [unrolled: 1-line block ×5, first 2 shown]
.LBB56_501:
	s_or_b64 exec, exec, s[0:1]
	v_cmp_lt_i32_e32 vcc, 23, v91
	s_waitcnt vmcnt(0) lgkmcnt(0)
	s_barrier
	s_and_saveexec_b64 s[0:1], vcc
	s_cbranch_execz .LBB56_503
; %bb.502:
	v_mul_f64 v[89:90], v[117:118], v[19:20]
	v_mul_f64 v[19:20], v[119:120], v[19:20]
	ds_read2_b64 v[105:108], v127 offset0:48 offset1:49
	v_fma_f64 v[89:90], v[119:120], v[17:18], v[89:90]
	v_fma_f64 v[17:18], v[117:118], v[17:18], -v[19:20]
	s_waitcnt lgkmcnt(0)
	v_mul_f64 v[19:20], v[107:108], v[89:90]
	v_fma_f64 v[19:20], v[105:106], v[17:18], -v[19:20]
	v_mul_f64 v[105:106], v[105:106], v[89:90]
	v_add_f64 v[13:14], v[13:14], -v[19:20]
	v_fma_f64 v[105:106], v[107:108], v[17:18], v[105:106]
	v_add_f64 v[15:16], v[15:16], -v[105:106]
	ds_read2_b64 v[105:108], v127 offset0:50 offset1:51
	s_waitcnt lgkmcnt(0)
	v_mul_f64 v[19:20], v[107:108], v[89:90]
	v_fma_f64 v[19:20], v[105:106], v[17:18], -v[19:20]
	v_mul_f64 v[105:106], v[105:106], v[89:90]
	v_add_f64 v[9:10], v[9:10], -v[19:20]
	v_fma_f64 v[105:106], v[107:108], v[17:18], v[105:106]
	v_add_f64 v[11:12], v[11:12], -v[105:106]
	ds_read2_b64 v[105:108], v127 offset0:52 offset1:53
	;; [unrolled: 8-line block ×4, first 2 shown]
	s_waitcnt lgkmcnt(0)
	v_mul_f64 v[19:20], v[107:108], v[89:90]
	v_fma_f64 v[19:20], v[105:106], v[17:18], -v[19:20]
	v_mul_f64 v[105:106], v[105:106], v[89:90]
	v_add_f64 v[113:114], v[113:114], -v[19:20]
	v_fma_f64 v[105:106], v[107:108], v[17:18], v[105:106]
	v_mov_b32_e32 v19, v89
	v_mov_b32_e32 v20, v90
	v_add_f64 v[115:116], v[115:116], -v[105:106]
.LBB56_503:
	s_or_b64 exec, exec, s[0:1]
	v_lshl_add_u32 v89, v91, 4, v127
	s_barrier
	ds_write2_b64 v89, v[13:14], v[15:16] offset1:1
	s_waitcnt lgkmcnt(0)
	s_barrier
	ds_read2_b64 v[117:120], v127 offset0:48 offset1:49
	s_cmp_lt_i32 s3, 26
	v_mov_b32_e32 v89, 24
	s_cbranch_scc1 .LBB56_506
; %bb.504:
	v_add_u32_e32 v90, 0x190, v127
	s_mov_b32 s0, 25
	v_mov_b32_e32 v89, 24
.LBB56_505:                             ; =>This Inner Loop Header: Depth=1
	s_waitcnt lgkmcnt(0)
	v_cmp_gt_f64_e32 vcc, 0, v[117:118]
	v_xor_b32_e32 v109, 0x80000000, v118
	ds_read2_b64 v[105:108], v90 offset1:1
	v_xor_b32_e32 v121, 0x80000000, v120
	v_add_u32_e32 v90, 16, v90
	s_waitcnt lgkmcnt(0)
	v_xor_b32_e32 v123, 0x80000000, v108
	v_cndmask_b32_e32 v110, v118, v109, vcc
	v_cmp_gt_f64_e32 vcc, 0, v[119:120]
	v_mov_b32_e32 v109, v117
	v_cndmask_b32_e32 v122, v120, v121, vcc
	v_cmp_gt_f64_e32 vcc, 0, v[105:106]
	v_mov_b32_e32 v121, v119
	v_add_f64 v[109:110], v[109:110], v[121:122]
	v_xor_b32_e32 v121, 0x80000000, v106
	v_cndmask_b32_e32 v122, v106, v121, vcc
	v_cmp_gt_f64_e32 vcc, 0, v[107:108]
	v_mov_b32_e32 v121, v105
	v_cndmask_b32_e32 v124, v108, v123, vcc
	v_mov_b32_e32 v123, v107
	v_add_f64 v[121:122], v[121:122], v[123:124]
	v_cmp_lt_f64_e32 vcc, v[109:110], v[121:122]
	v_cndmask_b32_e32 v117, v117, v105, vcc
	v_mov_b32_e32 v105, s0
	s_add_i32 s0, s0, 1
	v_cndmask_b32_e32 v118, v118, v106, vcc
	v_cndmask_b32_e32 v120, v120, v108, vcc
	;; [unrolled: 1-line block ×4, first 2 shown]
	s_cmp_lg_u32 s3, s0
	s_cbranch_scc1 .LBB56_505
.LBB56_506:
	s_waitcnt lgkmcnt(0)
	v_cmp_eq_f64_e32 vcc, 0, v[117:118]
	v_cmp_eq_f64_e64 s[0:1], 0, v[119:120]
	s_and_b64 s[0:1], vcc, s[0:1]
	s_and_saveexec_b64 s[18:19], s[0:1]
	s_xor_b64 s[0:1], exec, s[18:19]
; %bb.507:
	v_cmp_ne_u32_e32 vcc, 0, v92
	v_cndmask_b32_e32 v92, 25, v92, vcc
; %bb.508:
	s_andn2_saveexec_b64 s[0:1], s[0:1]
	s_cbranch_execz .LBB56_514
; %bb.509:
	v_cmp_ngt_f64_e64 s[18:19], |v[117:118]|, |v[119:120]|
	s_and_saveexec_b64 s[20:21], s[18:19]
	s_xor_b64 s[18:19], exec, s[20:21]
	s_cbranch_execz .LBB56_511
; %bb.510:
	v_div_scale_f64 v[105:106], s[20:21], v[119:120], v[119:120], v[117:118]
	v_rcp_f64_e32 v[107:108], v[105:106]
	v_fma_f64 v[109:110], -v[105:106], v[107:108], 1.0
	v_fma_f64 v[107:108], v[107:108], v[109:110], v[107:108]
	v_div_scale_f64 v[109:110], vcc, v[117:118], v[119:120], v[117:118]
	v_fma_f64 v[121:122], -v[105:106], v[107:108], 1.0
	v_fma_f64 v[107:108], v[107:108], v[121:122], v[107:108]
	v_mul_f64 v[121:122], v[109:110], v[107:108]
	v_fma_f64 v[105:106], -v[105:106], v[121:122], v[109:110]
	v_div_fmas_f64 v[105:106], v[105:106], v[107:108], v[121:122]
	v_div_fixup_f64 v[105:106], v[105:106], v[119:120], v[117:118]
	v_fma_f64 v[107:108], v[117:118], v[105:106], v[119:120]
	v_div_scale_f64 v[109:110], s[20:21], v[107:108], v[107:108], 1.0
	v_div_scale_f64 v[121:122], vcc, 1.0, v[107:108], 1.0
	v_rcp_f64_e32 v[117:118], v[109:110]
	v_fma_f64 v[119:120], -v[109:110], v[117:118], 1.0
	v_fma_f64 v[117:118], v[117:118], v[119:120], v[117:118]
	v_fma_f64 v[119:120], -v[109:110], v[117:118], 1.0
	v_fma_f64 v[117:118], v[117:118], v[119:120], v[117:118]
	v_mul_f64 v[119:120], v[121:122], v[117:118]
	v_fma_f64 v[109:110], -v[109:110], v[119:120], v[121:122]
	v_div_fmas_f64 v[109:110], v[109:110], v[117:118], v[119:120]
	v_div_fixup_f64 v[119:120], v[109:110], v[107:108], 1.0
	v_mul_f64 v[117:118], v[105:106], v[119:120]
	v_xor_b32_e32 v120, 0x80000000, v120
.LBB56_511:
	s_andn2_saveexec_b64 s[18:19], s[18:19]
	s_cbranch_execz .LBB56_513
; %bb.512:
	v_div_scale_f64 v[105:106], s[20:21], v[117:118], v[117:118], v[119:120]
	v_rcp_f64_e32 v[107:108], v[105:106]
	v_fma_f64 v[109:110], -v[105:106], v[107:108], 1.0
	v_fma_f64 v[107:108], v[107:108], v[109:110], v[107:108]
	v_div_scale_f64 v[109:110], vcc, v[119:120], v[117:118], v[119:120]
	v_fma_f64 v[121:122], -v[105:106], v[107:108], 1.0
	v_fma_f64 v[107:108], v[107:108], v[121:122], v[107:108]
	v_mul_f64 v[121:122], v[109:110], v[107:108]
	v_fma_f64 v[105:106], -v[105:106], v[121:122], v[109:110]
	v_div_fmas_f64 v[105:106], v[105:106], v[107:108], v[121:122]
	v_div_fixup_f64 v[105:106], v[105:106], v[117:118], v[119:120]
	v_fma_f64 v[107:108], v[119:120], v[105:106], v[117:118]
	v_div_scale_f64 v[109:110], s[20:21], v[107:108], v[107:108], 1.0
	v_div_scale_f64 v[121:122], vcc, 1.0, v[107:108], 1.0
	v_rcp_f64_e32 v[117:118], v[109:110]
	v_fma_f64 v[119:120], -v[109:110], v[117:118], 1.0
	v_fma_f64 v[117:118], v[117:118], v[119:120], v[117:118]
	v_fma_f64 v[119:120], -v[109:110], v[117:118], 1.0
	v_fma_f64 v[117:118], v[117:118], v[119:120], v[117:118]
	v_mul_f64 v[119:120], v[121:122], v[117:118]
	v_fma_f64 v[109:110], -v[109:110], v[119:120], v[121:122]
	v_div_fmas_f64 v[109:110], v[109:110], v[117:118], v[119:120]
	v_div_fixup_f64 v[117:118], v[109:110], v[107:108], 1.0
	v_mul_f64 v[119:120], v[105:106], -v[117:118]
.LBB56_513:
	s_or_b64 exec, exec, s[18:19]
.LBB56_514:
	s_or_b64 exec, exec, s[0:1]
	v_cmp_ne_u32_e32 vcc, v91, v89
	s_and_saveexec_b64 s[0:1], vcc
	s_xor_b64 s[0:1], exec, s[0:1]
	s_cbranch_execz .LBB56_520
; %bb.515:
	v_cmp_eq_u32_e32 vcc, 24, v91
	s_and_saveexec_b64 s[18:19], vcc
	s_cbranch_execz .LBB56_519
; %bb.516:
	v_cmp_ne_u32_e32 vcc, 24, v89
	s_xor_b64 s[20:21], s[6:7], -1
	s_and_b64 s[22:23], s[20:21], vcc
	s_and_saveexec_b64 s[20:21], s[22:23]
	s_cbranch_execz .LBB56_518
; %bb.517:
	buffer_load_dword v106, off, s[24:27], 0 offset:32 ; 4-byte Folded Reload
	buffer_load_dword v107, off, s[24:27], 0 offset:36 ; 4-byte Folded Reload
	v_ashrrev_i32_e32 v90, 31, v89
	v_lshlrev_b64 v[90:91], 2, v[89:90]
	s_waitcnt vmcnt(1)
	v_add_co_u32_e32 v90, vcc, v106, v90
	s_waitcnt vmcnt(0)
	v_addc_co_u32_e32 v91, vcc, v107, v91, vcc
	global_load_dword v0, v[90:91], off
	global_load_dword v105, v[106:107], off offset:96
	s_waitcnt vmcnt(1)
	global_store_dword v[106:107], v0, off offset:96
	s_waitcnt vmcnt(1)
	global_store_dword v[90:91], v105, off
.LBB56_518:
	s_or_b64 exec, exec, s[20:21]
	v_mov_b32_e32 v91, v89
	v_mov_b32_e32 v0, v89
.LBB56_519:
	s_or_b64 exec, exec, s[18:19]
.LBB56_520:
	s_andn2_saveexec_b64 s[0:1], s[0:1]
	s_cbranch_execz .LBB56_522
; %bb.521:
	v_mov_b32_e32 v91, 24
	ds_write2_b64 v127, v[9:10], v[11:12] offset0:50 offset1:51
	ds_write2_b64 v127, v[5:6], v[7:8] offset0:52 offset1:53
	;; [unrolled: 1-line block ×4, first 2 shown]
.LBB56_522:
	s_or_b64 exec, exec, s[0:1]
	v_cmp_lt_i32_e32 vcc, 24, v91
	s_waitcnt vmcnt(0) lgkmcnt(0)
	s_barrier
	s_and_saveexec_b64 s[0:1], vcc
	s_cbranch_execz .LBB56_524
; %bb.523:
	v_mul_f64 v[89:90], v[117:118], v[15:16]
	v_mul_f64 v[15:16], v[119:120], v[15:16]
	ds_read2_b64 v[105:108], v127 offset0:50 offset1:51
	v_fma_f64 v[89:90], v[119:120], v[13:14], v[89:90]
	v_fma_f64 v[13:14], v[117:118], v[13:14], -v[15:16]
	s_waitcnt lgkmcnt(0)
	v_mul_f64 v[15:16], v[107:108], v[89:90]
	v_fma_f64 v[15:16], v[105:106], v[13:14], -v[15:16]
	v_mul_f64 v[105:106], v[105:106], v[89:90]
	v_add_f64 v[9:10], v[9:10], -v[15:16]
	v_fma_f64 v[105:106], v[107:108], v[13:14], v[105:106]
	v_add_f64 v[11:12], v[11:12], -v[105:106]
	ds_read2_b64 v[105:108], v127 offset0:52 offset1:53
	s_waitcnt lgkmcnt(0)
	v_mul_f64 v[15:16], v[107:108], v[89:90]
	v_fma_f64 v[15:16], v[105:106], v[13:14], -v[15:16]
	v_mul_f64 v[105:106], v[105:106], v[89:90]
	v_add_f64 v[5:6], v[5:6], -v[15:16]
	v_fma_f64 v[105:106], v[107:108], v[13:14], v[105:106]
	v_add_f64 v[7:8], v[7:8], -v[105:106]
	ds_read2_b64 v[105:108], v127 offset0:54 offset1:55
	;; [unrolled: 8-line block ×3, first 2 shown]
	s_waitcnt lgkmcnt(0)
	v_mul_f64 v[15:16], v[107:108], v[89:90]
	v_fma_f64 v[15:16], v[105:106], v[13:14], -v[15:16]
	v_mul_f64 v[105:106], v[105:106], v[89:90]
	v_add_f64 v[113:114], v[113:114], -v[15:16]
	v_fma_f64 v[105:106], v[107:108], v[13:14], v[105:106]
	v_mov_b32_e32 v15, v89
	v_mov_b32_e32 v16, v90
	v_add_f64 v[115:116], v[115:116], -v[105:106]
.LBB56_524:
	s_or_b64 exec, exec, s[0:1]
	v_lshl_add_u32 v89, v91, 4, v127
	s_barrier
	ds_write2_b64 v89, v[9:10], v[11:12] offset1:1
	s_waitcnt lgkmcnt(0)
	s_barrier
	ds_read2_b64 v[117:120], v127 offset0:50 offset1:51
	s_cmp_lt_i32 s3, 27
	v_mov_b32_e32 v89, 25
	s_cbranch_scc1 .LBB56_527
; %bb.525:
	v_add_u32_e32 v90, 0x1a0, v127
	s_mov_b32 s0, 26
	v_mov_b32_e32 v89, 25
.LBB56_526:                             ; =>This Inner Loop Header: Depth=1
	s_waitcnt lgkmcnt(0)
	v_cmp_gt_f64_e32 vcc, 0, v[117:118]
	v_xor_b32_e32 v109, 0x80000000, v118
	ds_read2_b64 v[105:108], v90 offset1:1
	v_xor_b32_e32 v121, 0x80000000, v120
	v_add_u32_e32 v90, 16, v90
	s_waitcnt lgkmcnt(0)
	v_xor_b32_e32 v123, 0x80000000, v108
	v_cndmask_b32_e32 v110, v118, v109, vcc
	v_cmp_gt_f64_e32 vcc, 0, v[119:120]
	v_mov_b32_e32 v109, v117
	v_cndmask_b32_e32 v122, v120, v121, vcc
	v_cmp_gt_f64_e32 vcc, 0, v[105:106]
	v_mov_b32_e32 v121, v119
	v_add_f64 v[109:110], v[109:110], v[121:122]
	v_xor_b32_e32 v121, 0x80000000, v106
	v_cndmask_b32_e32 v122, v106, v121, vcc
	v_cmp_gt_f64_e32 vcc, 0, v[107:108]
	v_mov_b32_e32 v121, v105
	v_cndmask_b32_e32 v124, v108, v123, vcc
	v_mov_b32_e32 v123, v107
	v_add_f64 v[121:122], v[121:122], v[123:124]
	v_cmp_lt_f64_e32 vcc, v[109:110], v[121:122]
	v_cndmask_b32_e32 v117, v117, v105, vcc
	v_mov_b32_e32 v105, s0
	s_add_i32 s0, s0, 1
	v_cndmask_b32_e32 v118, v118, v106, vcc
	v_cndmask_b32_e32 v120, v120, v108, vcc
	;; [unrolled: 1-line block ×4, first 2 shown]
	s_cmp_lg_u32 s3, s0
	s_cbranch_scc1 .LBB56_526
.LBB56_527:
	s_waitcnt lgkmcnt(0)
	v_cmp_eq_f64_e32 vcc, 0, v[117:118]
	v_cmp_eq_f64_e64 s[0:1], 0, v[119:120]
	s_and_b64 s[0:1], vcc, s[0:1]
	s_and_saveexec_b64 s[18:19], s[0:1]
	s_xor_b64 s[0:1], exec, s[18:19]
; %bb.528:
	v_cmp_ne_u32_e32 vcc, 0, v92
	v_cndmask_b32_e32 v92, 26, v92, vcc
; %bb.529:
	s_andn2_saveexec_b64 s[0:1], s[0:1]
	s_cbranch_execz .LBB56_535
; %bb.530:
	v_cmp_ngt_f64_e64 s[18:19], |v[117:118]|, |v[119:120]|
	s_and_saveexec_b64 s[20:21], s[18:19]
	s_xor_b64 s[18:19], exec, s[20:21]
	s_cbranch_execz .LBB56_532
; %bb.531:
	v_div_scale_f64 v[105:106], s[20:21], v[119:120], v[119:120], v[117:118]
	v_rcp_f64_e32 v[107:108], v[105:106]
	v_fma_f64 v[109:110], -v[105:106], v[107:108], 1.0
	v_fma_f64 v[107:108], v[107:108], v[109:110], v[107:108]
	v_div_scale_f64 v[109:110], vcc, v[117:118], v[119:120], v[117:118]
	v_fma_f64 v[121:122], -v[105:106], v[107:108], 1.0
	v_fma_f64 v[107:108], v[107:108], v[121:122], v[107:108]
	v_mul_f64 v[121:122], v[109:110], v[107:108]
	v_fma_f64 v[105:106], -v[105:106], v[121:122], v[109:110]
	v_div_fmas_f64 v[105:106], v[105:106], v[107:108], v[121:122]
	v_div_fixup_f64 v[105:106], v[105:106], v[119:120], v[117:118]
	v_fma_f64 v[107:108], v[117:118], v[105:106], v[119:120]
	v_div_scale_f64 v[109:110], s[20:21], v[107:108], v[107:108], 1.0
	v_div_scale_f64 v[121:122], vcc, 1.0, v[107:108], 1.0
	v_rcp_f64_e32 v[117:118], v[109:110]
	v_fma_f64 v[119:120], -v[109:110], v[117:118], 1.0
	v_fma_f64 v[117:118], v[117:118], v[119:120], v[117:118]
	v_fma_f64 v[119:120], -v[109:110], v[117:118], 1.0
	v_fma_f64 v[117:118], v[117:118], v[119:120], v[117:118]
	v_mul_f64 v[119:120], v[121:122], v[117:118]
	v_fma_f64 v[109:110], -v[109:110], v[119:120], v[121:122]
	v_div_fmas_f64 v[109:110], v[109:110], v[117:118], v[119:120]
	v_div_fixup_f64 v[119:120], v[109:110], v[107:108], 1.0
	v_mul_f64 v[117:118], v[105:106], v[119:120]
	v_xor_b32_e32 v120, 0x80000000, v120
.LBB56_532:
	s_andn2_saveexec_b64 s[18:19], s[18:19]
	s_cbranch_execz .LBB56_534
; %bb.533:
	v_div_scale_f64 v[105:106], s[20:21], v[117:118], v[117:118], v[119:120]
	v_rcp_f64_e32 v[107:108], v[105:106]
	v_fma_f64 v[109:110], -v[105:106], v[107:108], 1.0
	v_fma_f64 v[107:108], v[107:108], v[109:110], v[107:108]
	v_div_scale_f64 v[109:110], vcc, v[119:120], v[117:118], v[119:120]
	v_fma_f64 v[121:122], -v[105:106], v[107:108], 1.0
	v_fma_f64 v[107:108], v[107:108], v[121:122], v[107:108]
	v_mul_f64 v[121:122], v[109:110], v[107:108]
	v_fma_f64 v[105:106], -v[105:106], v[121:122], v[109:110]
	v_div_fmas_f64 v[105:106], v[105:106], v[107:108], v[121:122]
	v_div_fixup_f64 v[105:106], v[105:106], v[117:118], v[119:120]
	v_fma_f64 v[107:108], v[119:120], v[105:106], v[117:118]
	v_div_scale_f64 v[109:110], s[20:21], v[107:108], v[107:108], 1.0
	v_div_scale_f64 v[121:122], vcc, 1.0, v[107:108], 1.0
	v_rcp_f64_e32 v[117:118], v[109:110]
	v_fma_f64 v[119:120], -v[109:110], v[117:118], 1.0
	v_fma_f64 v[117:118], v[117:118], v[119:120], v[117:118]
	v_fma_f64 v[119:120], -v[109:110], v[117:118], 1.0
	v_fma_f64 v[117:118], v[117:118], v[119:120], v[117:118]
	v_mul_f64 v[119:120], v[121:122], v[117:118]
	v_fma_f64 v[109:110], -v[109:110], v[119:120], v[121:122]
	v_div_fmas_f64 v[109:110], v[109:110], v[117:118], v[119:120]
	v_div_fixup_f64 v[117:118], v[109:110], v[107:108], 1.0
	v_mul_f64 v[119:120], v[105:106], -v[117:118]
.LBB56_534:
	s_or_b64 exec, exec, s[18:19]
.LBB56_535:
	s_or_b64 exec, exec, s[0:1]
	v_cmp_ne_u32_e32 vcc, v91, v89
	s_and_saveexec_b64 s[0:1], vcc
	s_xor_b64 s[0:1], exec, s[0:1]
	s_cbranch_execz .LBB56_541
; %bb.536:
	v_cmp_eq_u32_e32 vcc, 25, v91
	s_and_saveexec_b64 s[18:19], vcc
	s_cbranch_execz .LBB56_540
; %bb.537:
	v_cmp_ne_u32_e32 vcc, 25, v89
	s_xor_b64 s[20:21], s[6:7], -1
	s_and_b64 s[22:23], s[20:21], vcc
	s_and_saveexec_b64 s[20:21], s[22:23]
	s_cbranch_execz .LBB56_539
; %bb.538:
	buffer_load_dword v106, off, s[24:27], 0 offset:32 ; 4-byte Folded Reload
	buffer_load_dword v107, off, s[24:27], 0 offset:36 ; 4-byte Folded Reload
	v_ashrrev_i32_e32 v90, 31, v89
	v_lshlrev_b64 v[90:91], 2, v[89:90]
	s_waitcnt vmcnt(1)
	v_add_co_u32_e32 v90, vcc, v106, v90
	s_waitcnt vmcnt(0)
	v_addc_co_u32_e32 v91, vcc, v107, v91, vcc
	global_load_dword v0, v[90:91], off
	global_load_dword v105, v[106:107], off offset:100
	s_waitcnt vmcnt(1)
	global_store_dword v[106:107], v0, off offset:100
	s_waitcnt vmcnt(1)
	global_store_dword v[90:91], v105, off
.LBB56_539:
	s_or_b64 exec, exec, s[20:21]
	v_mov_b32_e32 v91, v89
	v_mov_b32_e32 v0, v89
.LBB56_540:
	s_or_b64 exec, exec, s[18:19]
.LBB56_541:
	s_andn2_saveexec_b64 s[0:1], s[0:1]
	s_cbranch_execz .LBB56_543
; %bb.542:
	v_mov_b32_e32 v91, 25
	ds_write2_b64 v127, v[5:6], v[7:8] offset0:52 offset1:53
	ds_write2_b64 v127, v[1:2], v[3:4] offset0:54 offset1:55
	;; [unrolled: 1-line block ×3, first 2 shown]
.LBB56_543:
	s_or_b64 exec, exec, s[0:1]
	v_cmp_lt_i32_e32 vcc, 25, v91
	s_waitcnt vmcnt(0) lgkmcnt(0)
	s_barrier
	s_and_saveexec_b64 s[0:1], vcc
	s_cbranch_execz .LBB56_545
; %bb.544:
	v_mul_f64 v[89:90], v[117:118], v[11:12]
	v_mul_f64 v[11:12], v[119:120], v[11:12]
	ds_read2_b64 v[105:108], v127 offset0:52 offset1:53
	v_fma_f64 v[89:90], v[119:120], v[9:10], v[89:90]
	v_fma_f64 v[9:10], v[117:118], v[9:10], -v[11:12]
	s_waitcnt lgkmcnt(0)
	v_mul_f64 v[11:12], v[107:108], v[89:90]
	v_fma_f64 v[11:12], v[105:106], v[9:10], -v[11:12]
	v_mul_f64 v[105:106], v[105:106], v[89:90]
	v_add_f64 v[5:6], v[5:6], -v[11:12]
	v_fma_f64 v[105:106], v[107:108], v[9:10], v[105:106]
	v_add_f64 v[7:8], v[7:8], -v[105:106]
	ds_read2_b64 v[105:108], v127 offset0:54 offset1:55
	s_waitcnt lgkmcnt(0)
	v_mul_f64 v[11:12], v[107:108], v[89:90]
	v_fma_f64 v[11:12], v[105:106], v[9:10], -v[11:12]
	v_mul_f64 v[105:106], v[105:106], v[89:90]
	v_add_f64 v[1:2], v[1:2], -v[11:12]
	v_fma_f64 v[105:106], v[107:108], v[9:10], v[105:106]
	v_add_f64 v[3:4], v[3:4], -v[105:106]
	ds_read2_b64 v[105:108], v127 offset0:56 offset1:57
	s_waitcnt lgkmcnt(0)
	v_mul_f64 v[11:12], v[107:108], v[89:90]
	v_fma_f64 v[11:12], v[105:106], v[9:10], -v[11:12]
	v_mul_f64 v[105:106], v[105:106], v[89:90]
	v_add_f64 v[113:114], v[113:114], -v[11:12]
	v_fma_f64 v[105:106], v[107:108], v[9:10], v[105:106]
	v_mov_b32_e32 v11, v89
	v_mov_b32_e32 v12, v90
	v_add_f64 v[115:116], v[115:116], -v[105:106]
.LBB56_545:
	s_or_b64 exec, exec, s[0:1]
	v_lshl_add_u32 v89, v91, 4, v127
	s_barrier
	ds_write2_b64 v89, v[5:6], v[7:8] offset1:1
	s_waitcnt lgkmcnt(0)
	s_barrier
	ds_read2_b64 v[117:120], v127 offset0:52 offset1:53
	s_cmp_lt_i32 s3, 28
	v_mov_b32_e32 v89, 26
	s_cbranch_scc1 .LBB56_548
; %bb.546:
	v_add_u32_e32 v90, 0x1b0, v127
	s_mov_b32 s0, 27
	v_mov_b32_e32 v89, 26
.LBB56_547:                             ; =>This Inner Loop Header: Depth=1
	s_waitcnt lgkmcnt(0)
	v_cmp_gt_f64_e32 vcc, 0, v[117:118]
	v_xor_b32_e32 v109, 0x80000000, v118
	ds_read2_b64 v[105:108], v90 offset1:1
	v_xor_b32_e32 v121, 0x80000000, v120
	v_add_u32_e32 v90, 16, v90
	s_waitcnt lgkmcnt(0)
	v_xor_b32_e32 v123, 0x80000000, v108
	v_cndmask_b32_e32 v110, v118, v109, vcc
	v_cmp_gt_f64_e32 vcc, 0, v[119:120]
	v_mov_b32_e32 v109, v117
	v_cndmask_b32_e32 v122, v120, v121, vcc
	v_cmp_gt_f64_e32 vcc, 0, v[105:106]
	v_mov_b32_e32 v121, v119
	v_add_f64 v[109:110], v[109:110], v[121:122]
	v_xor_b32_e32 v121, 0x80000000, v106
	v_cndmask_b32_e32 v122, v106, v121, vcc
	v_cmp_gt_f64_e32 vcc, 0, v[107:108]
	v_mov_b32_e32 v121, v105
	v_cndmask_b32_e32 v124, v108, v123, vcc
	v_mov_b32_e32 v123, v107
	v_add_f64 v[121:122], v[121:122], v[123:124]
	v_cmp_lt_f64_e32 vcc, v[109:110], v[121:122]
	v_cndmask_b32_e32 v117, v117, v105, vcc
	v_mov_b32_e32 v105, s0
	s_add_i32 s0, s0, 1
	v_cndmask_b32_e32 v118, v118, v106, vcc
	v_cndmask_b32_e32 v120, v120, v108, vcc
	;; [unrolled: 1-line block ×4, first 2 shown]
	s_cmp_lg_u32 s3, s0
	s_cbranch_scc1 .LBB56_547
.LBB56_548:
	s_waitcnt lgkmcnt(0)
	v_cmp_eq_f64_e32 vcc, 0, v[117:118]
	v_cmp_eq_f64_e64 s[0:1], 0, v[119:120]
	s_and_b64 s[0:1], vcc, s[0:1]
	s_and_saveexec_b64 s[18:19], s[0:1]
	s_xor_b64 s[0:1], exec, s[18:19]
; %bb.549:
	v_cmp_ne_u32_e32 vcc, 0, v92
	v_cndmask_b32_e32 v92, 27, v92, vcc
; %bb.550:
	s_andn2_saveexec_b64 s[0:1], s[0:1]
	s_cbranch_execz .LBB56_556
; %bb.551:
	v_cmp_ngt_f64_e64 s[18:19], |v[117:118]|, |v[119:120]|
	s_and_saveexec_b64 s[20:21], s[18:19]
	s_xor_b64 s[18:19], exec, s[20:21]
	s_cbranch_execz .LBB56_553
; %bb.552:
	v_div_scale_f64 v[105:106], s[20:21], v[119:120], v[119:120], v[117:118]
	v_rcp_f64_e32 v[107:108], v[105:106]
	v_fma_f64 v[109:110], -v[105:106], v[107:108], 1.0
	v_fma_f64 v[107:108], v[107:108], v[109:110], v[107:108]
	v_div_scale_f64 v[109:110], vcc, v[117:118], v[119:120], v[117:118]
	v_fma_f64 v[121:122], -v[105:106], v[107:108], 1.0
	v_fma_f64 v[107:108], v[107:108], v[121:122], v[107:108]
	v_mul_f64 v[121:122], v[109:110], v[107:108]
	v_fma_f64 v[105:106], -v[105:106], v[121:122], v[109:110]
	v_div_fmas_f64 v[105:106], v[105:106], v[107:108], v[121:122]
	v_div_fixup_f64 v[105:106], v[105:106], v[119:120], v[117:118]
	v_fma_f64 v[107:108], v[117:118], v[105:106], v[119:120]
	v_div_scale_f64 v[109:110], s[20:21], v[107:108], v[107:108], 1.0
	v_div_scale_f64 v[121:122], vcc, 1.0, v[107:108], 1.0
	v_rcp_f64_e32 v[117:118], v[109:110]
	v_fma_f64 v[119:120], -v[109:110], v[117:118], 1.0
	v_fma_f64 v[117:118], v[117:118], v[119:120], v[117:118]
	v_fma_f64 v[119:120], -v[109:110], v[117:118], 1.0
	v_fma_f64 v[117:118], v[117:118], v[119:120], v[117:118]
	v_mul_f64 v[119:120], v[121:122], v[117:118]
	v_fma_f64 v[109:110], -v[109:110], v[119:120], v[121:122]
	v_div_fmas_f64 v[109:110], v[109:110], v[117:118], v[119:120]
	v_div_fixup_f64 v[119:120], v[109:110], v[107:108], 1.0
	v_mul_f64 v[117:118], v[105:106], v[119:120]
	v_xor_b32_e32 v120, 0x80000000, v120
.LBB56_553:
	s_andn2_saveexec_b64 s[18:19], s[18:19]
	s_cbranch_execz .LBB56_555
; %bb.554:
	v_div_scale_f64 v[105:106], s[20:21], v[117:118], v[117:118], v[119:120]
	v_rcp_f64_e32 v[107:108], v[105:106]
	v_fma_f64 v[109:110], -v[105:106], v[107:108], 1.0
	v_fma_f64 v[107:108], v[107:108], v[109:110], v[107:108]
	v_div_scale_f64 v[109:110], vcc, v[119:120], v[117:118], v[119:120]
	v_fma_f64 v[121:122], -v[105:106], v[107:108], 1.0
	v_fma_f64 v[107:108], v[107:108], v[121:122], v[107:108]
	v_mul_f64 v[121:122], v[109:110], v[107:108]
	v_fma_f64 v[105:106], -v[105:106], v[121:122], v[109:110]
	v_div_fmas_f64 v[105:106], v[105:106], v[107:108], v[121:122]
	v_div_fixup_f64 v[105:106], v[105:106], v[117:118], v[119:120]
	v_fma_f64 v[107:108], v[119:120], v[105:106], v[117:118]
	v_div_scale_f64 v[109:110], s[20:21], v[107:108], v[107:108], 1.0
	v_div_scale_f64 v[121:122], vcc, 1.0, v[107:108], 1.0
	v_rcp_f64_e32 v[117:118], v[109:110]
	v_fma_f64 v[119:120], -v[109:110], v[117:118], 1.0
	v_fma_f64 v[117:118], v[117:118], v[119:120], v[117:118]
	v_fma_f64 v[119:120], -v[109:110], v[117:118], 1.0
	v_fma_f64 v[117:118], v[117:118], v[119:120], v[117:118]
	v_mul_f64 v[119:120], v[121:122], v[117:118]
	v_fma_f64 v[109:110], -v[109:110], v[119:120], v[121:122]
	v_div_fmas_f64 v[109:110], v[109:110], v[117:118], v[119:120]
	v_div_fixup_f64 v[117:118], v[109:110], v[107:108], 1.0
	v_mul_f64 v[119:120], v[105:106], -v[117:118]
.LBB56_555:
	s_or_b64 exec, exec, s[18:19]
.LBB56_556:
	s_or_b64 exec, exec, s[0:1]
	v_cmp_ne_u32_e32 vcc, v91, v89
	s_and_saveexec_b64 s[0:1], vcc
	s_xor_b64 s[0:1], exec, s[0:1]
	s_cbranch_execz .LBB56_562
; %bb.557:
	v_cmp_eq_u32_e32 vcc, 26, v91
	s_and_saveexec_b64 s[18:19], vcc
	s_cbranch_execz .LBB56_561
; %bb.558:
	v_cmp_ne_u32_e32 vcc, 26, v89
	s_xor_b64 s[20:21], s[6:7], -1
	s_and_b64 s[22:23], s[20:21], vcc
	s_and_saveexec_b64 s[20:21], s[22:23]
	s_cbranch_execz .LBB56_560
; %bb.559:
	buffer_load_dword v106, off, s[24:27], 0 offset:32 ; 4-byte Folded Reload
	buffer_load_dword v107, off, s[24:27], 0 offset:36 ; 4-byte Folded Reload
	v_ashrrev_i32_e32 v90, 31, v89
	v_lshlrev_b64 v[90:91], 2, v[89:90]
	s_waitcnt vmcnt(1)
	v_add_co_u32_e32 v90, vcc, v106, v90
	s_waitcnt vmcnt(0)
	v_addc_co_u32_e32 v91, vcc, v107, v91, vcc
	global_load_dword v0, v[90:91], off
	global_load_dword v105, v[106:107], off offset:104
	s_waitcnt vmcnt(1)
	global_store_dword v[106:107], v0, off offset:104
	s_waitcnt vmcnt(1)
	global_store_dword v[90:91], v105, off
.LBB56_560:
	s_or_b64 exec, exec, s[20:21]
	v_mov_b32_e32 v91, v89
	v_mov_b32_e32 v0, v89
.LBB56_561:
	s_or_b64 exec, exec, s[18:19]
.LBB56_562:
	s_andn2_saveexec_b64 s[0:1], s[0:1]
	s_cbranch_execz .LBB56_564
; %bb.563:
	v_mov_b32_e32 v91, 26
	ds_write2_b64 v127, v[1:2], v[3:4] offset0:54 offset1:55
	ds_write2_b64 v127, v[113:114], v[115:116] offset0:56 offset1:57
.LBB56_564:
	s_or_b64 exec, exec, s[0:1]
	v_cmp_lt_i32_e32 vcc, 26, v91
	s_waitcnt vmcnt(0) lgkmcnt(0)
	s_barrier
	s_and_saveexec_b64 s[0:1], vcc
	s_cbranch_execz .LBB56_566
; %bb.565:
	v_mul_f64 v[89:90], v[117:118], v[7:8]
	v_mul_f64 v[7:8], v[119:120], v[7:8]
	ds_read2_b64 v[105:108], v127 offset0:54 offset1:55
	v_fma_f64 v[89:90], v[119:120], v[5:6], v[89:90]
	v_fma_f64 v[5:6], v[117:118], v[5:6], -v[7:8]
	s_waitcnt lgkmcnt(0)
	v_mul_f64 v[7:8], v[107:108], v[89:90]
	v_fma_f64 v[7:8], v[105:106], v[5:6], -v[7:8]
	v_mul_f64 v[105:106], v[105:106], v[89:90]
	v_add_f64 v[1:2], v[1:2], -v[7:8]
	v_fma_f64 v[105:106], v[107:108], v[5:6], v[105:106]
	v_add_f64 v[3:4], v[3:4], -v[105:106]
	ds_read2_b64 v[105:108], v127 offset0:56 offset1:57
	s_waitcnt lgkmcnt(0)
	v_mul_f64 v[7:8], v[107:108], v[89:90]
	v_fma_f64 v[7:8], v[105:106], v[5:6], -v[7:8]
	v_mul_f64 v[105:106], v[105:106], v[89:90]
	v_add_f64 v[113:114], v[113:114], -v[7:8]
	v_fma_f64 v[105:106], v[107:108], v[5:6], v[105:106]
	v_mov_b32_e32 v7, v89
	v_mov_b32_e32 v8, v90
	v_add_f64 v[115:116], v[115:116], -v[105:106]
.LBB56_566:
	s_or_b64 exec, exec, s[0:1]
	v_lshl_add_u32 v89, v91, 4, v127
	s_barrier
	ds_write2_b64 v89, v[1:2], v[3:4] offset1:1
	s_waitcnt lgkmcnt(0)
	s_barrier
	ds_read2_b64 v[117:120], v127 offset0:54 offset1:55
	s_cmp_lt_i32 s3, 29
	v_mov_b32_e32 v89, 27
	s_cbranch_scc1 .LBB56_569
; %bb.567:
	v_add_u32_e32 v90, 0x1c0, v127
	s_mov_b32 s0, 28
	v_mov_b32_e32 v89, 27
.LBB56_568:                             ; =>This Inner Loop Header: Depth=1
	s_waitcnt lgkmcnt(0)
	v_cmp_gt_f64_e32 vcc, 0, v[117:118]
	v_xor_b32_e32 v109, 0x80000000, v118
	ds_read2_b64 v[105:108], v90 offset1:1
	v_xor_b32_e32 v121, 0x80000000, v120
	v_add_u32_e32 v90, 16, v90
	s_waitcnt lgkmcnt(0)
	v_xor_b32_e32 v123, 0x80000000, v108
	v_cndmask_b32_e32 v110, v118, v109, vcc
	v_cmp_gt_f64_e32 vcc, 0, v[119:120]
	v_mov_b32_e32 v109, v117
	v_cndmask_b32_e32 v122, v120, v121, vcc
	v_cmp_gt_f64_e32 vcc, 0, v[105:106]
	v_mov_b32_e32 v121, v119
	v_add_f64 v[109:110], v[109:110], v[121:122]
	v_xor_b32_e32 v121, 0x80000000, v106
	v_cndmask_b32_e32 v122, v106, v121, vcc
	v_cmp_gt_f64_e32 vcc, 0, v[107:108]
	v_mov_b32_e32 v121, v105
	v_cndmask_b32_e32 v124, v108, v123, vcc
	v_mov_b32_e32 v123, v107
	v_add_f64 v[121:122], v[121:122], v[123:124]
	v_cmp_lt_f64_e32 vcc, v[109:110], v[121:122]
	v_cndmask_b32_e32 v117, v117, v105, vcc
	v_mov_b32_e32 v105, s0
	s_add_i32 s0, s0, 1
	v_cndmask_b32_e32 v118, v118, v106, vcc
	v_cndmask_b32_e32 v120, v120, v108, vcc
	;; [unrolled: 1-line block ×4, first 2 shown]
	s_cmp_lg_u32 s3, s0
	s_cbranch_scc1 .LBB56_568
.LBB56_569:
	s_waitcnt lgkmcnt(0)
	v_cmp_eq_f64_e32 vcc, 0, v[117:118]
	v_cmp_eq_f64_e64 s[0:1], 0, v[119:120]
	s_and_b64 s[0:1], vcc, s[0:1]
	s_and_saveexec_b64 s[18:19], s[0:1]
	s_xor_b64 s[0:1], exec, s[18:19]
; %bb.570:
	v_cmp_ne_u32_e32 vcc, 0, v92
	v_cndmask_b32_e32 v92, 28, v92, vcc
; %bb.571:
	s_andn2_saveexec_b64 s[0:1], s[0:1]
	s_cbranch_execz .LBB56_577
; %bb.572:
	v_cmp_ngt_f64_e64 s[18:19], |v[117:118]|, |v[119:120]|
	s_and_saveexec_b64 s[20:21], s[18:19]
	s_xor_b64 s[18:19], exec, s[20:21]
	s_cbranch_execz .LBB56_574
; %bb.573:
	v_div_scale_f64 v[105:106], s[20:21], v[119:120], v[119:120], v[117:118]
	v_rcp_f64_e32 v[107:108], v[105:106]
	v_fma_f64 v[109:110], -v[105:106], v[107:108], 1.0
	v_fma_f64 v[107:108], v[107:108], v[109:110], v[107:108]
	v_div_scale_f64 v[109:110], vcc, v[117:118], v[119:120], v[117:118]
	v_fma_f64 v[121:122], -v[105:106], v[107:108], 1.0
	v_fma_f64 v[107:108], v[107:108], v[121:122], v[107:108]
	v_mul_f64 v[121:122], v[109:110], v[107:108]
	v_fma_f64 v[105:106], -v[105:106], v[121:122], v[109:110]
	v_div_fmas_f64 v[105:106], v[105:106], v[107:108], v[121:122]
	v_div_fixup_f64 v[105:106], v[105:106], v[119:120], v[117:118]
	v_fma_f64 v[107:108], v[117:118], v[105:106], v[119:120]
	v_div_scale_f64 v[109:110], s[20:21], v[107:108], v[107:108], 1.0
	v_div_scale_f64 v[121:122], vcc, 1.0, v[107:108], 1.0
	v_rcp_f64_e32 v[117:118], v[109:110]
	v_fma_f64 v[119:120], -v[109:110], v[117:118], 1.0
	v_fma_f64 v[117:118], v[117:118], v[119:120], v[117:118]
	v_fma_f64 v[119:120], -v[109:110], v[117:118], 1.0
	v_fma_f64 v[117:118], v[117:118], v[119:120], v[117:118]
	v_mul_f64 v[119:120], v[121:122], v[117:118]
	v_fma_f64 v[109:110], -v[109:110], v[119:120], v[121:122]
	v_div_fmas_f64 v[109:110], v[109:110], v[117:118], v[119:120]
	v_div_fixup_f64 v[119:120], v[109:110], v[107:108], 1.0
	v_mul_f64 v[117:118], v[105:106], v[119:120]
	v_xor_b32_e32 v120, 0x80000000, v120
.LBB56_574:
	s_andn2_saveexec_b64 s[18:19], s[18:19]
	s_cbranch_execz .LBB56_576
; %bb.575:
	v_div_scale_f64 v[105:106], s[20:21], v[117:118], v[117:118], v[119:120]
	v_rcp_f64_e32 v[107:108], v[105:106]
	v_fma_f64 v[109:110], -v[105:106], v[107:108], 1.0
	v_fma_f64 v[107:108], v[107:108], v[109:110], v[107:108]
	v_div_scale_f64 v[109:110], vcc, v[119:120], v[117:118], v[119:120]
	v_fma_f64 v[121:122], -v[105:106], v[107:108], 1.0
	v_fma_f64 v[107:108], v[107:108], v[121:122], v[107:108]
	v_mul_f64 v[121:122], v[109:110], v[107:108]
	v_fma_f64 v[105:106], -v[105:106], v[121:122], v[109:110]
	v_div_fmas_f64 v[105:106], v[105:106], v[107:108], v[121:122]
	v_div_fixup_f64 v[105:106], v[105:106], v[117:118], v[119:120]
	v_fma_f64 v[107:108], v[119:120], v[105:106], v[117:118]
	v_div_scale_f64 v[109:110], s[20:21], v[107:108], v[107:108], 1.0
	v_div_scale_f64 v[121:122], vcc, 1.0, v[107:108], 1.0
	v_rcp_f64_e32 v[117:118], v[109:110]
	v_fma_f64 v[119:120], -v[109:110], v[117:118], 1.0
	v_fma_f64 v[117:118], v[117:118], v[119:120], v[117:118]
	v_fma_f64 v[119:120], -v[109:110], v[117:118], 1.0
	v_fma_f64 v[117:118], v[117:118], v[119:120], v[117:118]
	v_mul_f64 v[119:120], v[121:122], v[117:118]
	v_fma_f64 v[109:110], -v[109:110], v[119:120], v[121:122]
	v_div_fmas_f64 v[109:110], v[109:110], v[117:118], v[119:120]
	v_div_fixup_f64 v[117:118], v[109:110], v[107:108], 1.0
	v_mul_f64 v[119:120], v[105:106], -v[117:118]
.LBB56_576:
	s_or_b64 exec, exec, s[18:19]
.LBB56_577:
	s_or_b64 exec, exec, s[0:1]
	v_cmp_ne_u32_e32 vcc, v91, v89
	s_and_saveexec_b64 s[0:1], vcc
	s_xor_b64 s[0:1], exec, s[0:1]
	s_cbranch_execz .LBB56_583
; %bb.578:
	v_cmp_eq_u32_e32 vcc, 27, v91
	s_and_saveexec_b64 s[18:19], vcc
	s_cbranch_execz .LBB56_582
; %bb.579:
	v_cmp_ne_u32_e32 vcc, 27, v89
	s_xor_b64 s[20:21], s[6:7], -1
	s_and_b64 s[22:23], s[20:21], vcc
	s_and_saveexec_b64 s[20:21], s[22:23]
	s_cbranch_execz .LBB56_581
; %bb.580:
	buffer_load_dword v106, off, s[24:27], 0 offset:32 ; 4-byte Folded Reload
	buffer_load_dword v107, off, s[24:27], 0 offset:36 ; 4-byte Folded Reload
	v_ashrrev_i32_e32 v90, 31, v89
	v_lshlrev_b64 v[90:91], 2, v[89:90]
	s_waitcnt vmcnt(1)
	v_add_co_u32_e32 v90, vcc, v106, v90
	s_waitcnt vmcnt(0)
	v_addc_co_u32_e32 v91, vcc, v107, v91, vcc
	global_load_dword v0, v[90:91], off
	global_load_dword v105, v[106:107], off offset:108
	s_waitcnt vmcnt(1)
	global_store_dword v[106:107], v0, off offset:108
	s_waitcnt vmcnt(1)
	global_store_dword v[90:91], v105, off
.LBB56_581:
	s_or_b64 exec, exec, s[20:21]
	v_mov_b32_e32 v91, v89
	v_mov_b32_e32 v0, v89
.LBB56_582:
	s_or_b64 exec, exec, s[18:19]
.LBB56_583:
	s_andn2_saveexec_b64 s[0:1], s[0:1]
; %bb.584:
	v_mov_b32_e32 v91, 27
	ds_write2_b64 v127, v[113:114], v[115:116] offset0:56 offset1:57
; %bb.585:
	s_or_b64 exec, exec, s[0:1]
	v_cmp_lt_i32_e32 vcc, 27, v91
	s_waitcnt vmcnt(0) lgkmcnt(0)
	s_barrier
	s_and_saveexec_b64 s[0:1], vcc
	s_cbranch_execz .LBB56_587
; %bb.586:
	v_mul_f64 v[89:90], v[117:118], v[3:4]
	v_mul_f64 v[3:4], v[119:120], v[3:4]
	ds_read2_b64 v[105:108], v127 offset0:56 offset1:57
	v_fma_f64 v[89:90], v[119:120], v[1:2], v[89:90]
	v_fma_f64 v[1:2], v[117:118], v[1:2], -v[3:4]
	s_waitcnt lgkmcnt(0)
	v_mul_f64 v[3:4], v[107:108], v[89:90]
	v_fma_f64 v[3:4], v[105:106], v[1:2], -v[3:4]
	v_mul_f64 v[105:106], v[105:106], v[89:90]
	v_add_f64 v[113:114], v[113:114], -v[3:4]
	v_fma_f64 v[105:106], v[107:108], v[1:2], v[105:106]
	v_mov_b32_e32 v3, v89
	v_mov_b32_e32 v4, v90
	v_add_f64 v[115:116], v[115:116], -v[105:106]
.LBB56_587:
	s_or_b64 exec, exec, s[0:1]
	v_lshl_add_u32 v89, v91, 4, v127
	s_barrier
	ds_write2_b64 v89, v[113:114], v[115:116] offset1:1
	s_waitcnt lgkmcnt(0)
	s_barrier
	ds_read2_b64 v[117:120], v127 offset0:56 offset1:57
	s_cmp_lt_i32 s3, 30
	v_mov_b32_e32 v89, 28
	s_cbranch_scc1 .LBB56_590
; %bb.588:
	v_add_u32_e32 v90, 0x1d0, v127
	s_mov_b32 s0, 29
	v_mov_b32_e32 v89, 28
.LBB56_589:                             ; =>This Inner Loop Header: Depth=1
	s_waitcnt lgkmcnt(0)
	v_cmp_gt_f64_e32 vcc, 0, v[117:118]
	v_xor_b32_e32 v109, 0x80000000, v118
	ds_read2_b64 v[105:108], v90 offset1:1
	v_xor_b32_e32 v121, 0x80000000, v120
	v_add_u32_e32 v90, 16, v90
	s_waitcnt lgkmcnt(0)
	v_xor_b32_e32 v123, 0x80000000, v108
	v_cndmask_b32_e32 v110, v118, v109, vcc
	v_cmp_gt_f64_e32 vcc, 0, v[119:120]
	v_mov_b32_e32 v109, v117
	v_cndmask_b32_e32 v122, v120, v121, vcc
	v_cmp_gt_f64_e32 vcc, 0, v[105:106]
	v_mov_b32_e32 v121, v119
	v_add_f64 v[109:110], v[109:110], v[121:122]
	v_xor_b32_e32 v121, 0x80000000, v106
	v_cndmask_b32_e32 v122, v106, v121, vcc
	v_cmp_gt_f64_e32 vcc, 0, v[107:108]
	v_mov_b32_e32 v121, v105
	v_cndmask_b32_e32 v124, v108, v123, vcc
	v_mov_b32_e32 v123, v107
	v_add_f64 v[121:122], v[121:122], v[123:124]
	v_cmp_lt_f64_e32 vcc, v[109:110], v[121:122]
	v_cndmask_b32_e32 v117, v117, v105, vcc
	v_mov_b32_e32 v105, s0
	s_add_i32 s0, s0, 1
	v_cndmask_b32_e32 v118, v118, v106, vcc
	v_cndmask_b32_e32 v120, v120, v108, vcc
	;; [unrolled: 1-line block ×4, first 2 shown]
	s_cmp_lg_u32 s3, s0
	s_cbranch_scc1 .LBB56_589
.LBB56_590:
	s_waitcnt lgkmcnt(0)
	v_cmp_eq_f64_e32 vcc, 0, v[117:118]
	v_cmp_eq_f64_e64 s[0:1], 0, v[119:120]
	s_and_b64 s[0:1], vcc, s[0:1]
	s_and_saveexec_b64 s[18:19], s[0:1]
	s_xor_b64 s[0:1], exec, s[18:19]
; %bb.591:
	v_cmp_ne_u32_e32 vcc, 0, v92
	v_cndmask_b32_e32 v92, 29, v92, vcc
; %bb.592:
	s_andn2_saveexec_b64 s[0:1], s[0:1]
	s_cbranch_execz .LBB56_598
; %bb.593:
	v_cmp_ngt_f64_e64 s[18:19], |v[117:118]|, |v[119:120]|
	s_and_saveexec_b64 s[20:21], s[18:19]
	s_xor_b64 s[18:19], exec, s[20:21]
	s_cbranch_execz .LBB56_595
; %bb.594:
	v_div_scale_f64 v[105:106], s[20:21], v[119:120], v[119:120], v[117:118]
	v_rcp_f64_e32 v[107:108], v[105:106]
	v_fma_f64 v[109:110], -v[105:106], v[107:108], 1.0
	v_fma_f64 v[107:108], v[107:108], v[109:110], v[107:108]
	v_div_scale_f64 v[109:110], vcc, v[117:118], v[119:120], v[117:118]
	v_fma_f64 v[121:122], -v[105:106], v[107:108], 1.0
	v_fma_f64 v[107:108], v[107:108], v[121:122], v[107:108]
	v_mul_f64 v[121:122], v[109:110], v[107:108]
	v_fma_f64 v[105:106], -v[105:106], v[121:122], v[109:110]
	v_div_fmas_f64 v[105:106], v[105:106], v[107:108], v[121:122]
	v_div_fixup_f64 v[105:106], v[105:106], v[119:120], v[117:118]
	v_fma_f64 v[107:108], v[117:118], v[105:106], v[119:120]
	v_div_scale_f64 v[109:110], s[20:21], v[107:108], v[107:108], 1.0
	v_div_scale_f64 v[121:122], vcc, 1.0, v[107:108], 1.0
	v_rcp_f64_e32 v[117:118], v[109:110]
	v_fma_f64 v[119:120], -v[109:110], v[117:118], 1.0
	v_fma_f64 v[117:118], v[117:118], v[119:120], v[117:118]
	v_fma_f64 v[119:120], -v[109:110], v[117:118], 1.0
	v_fma_f64 v[117:118], v[117:118], v[119:120], v[117:118]
	v_mul_f64 v[119:120], v[121:122], v[117:118]
	v_fma_f64 v[109:110], -v[109:110], v[119:120], v[121:122]
	v_div_fmas_f64 v[109:110], v[109:110], v[117:118], v[119:120]
	v_div_fixup_f64 v[119:120], v[109:110], v[107:108], 1.0
	v_mul_f64 v[117:118], v[105:106], v[119:120]
	v_xor_b32_e32 v120, 0x80000000, v120
.LBB56_595:
	s_andn2_saveexec_b64 s[18:19], s[18:19]
	s_cbranch_execz .LBB56_597
; %bb.596:
	v_div_scale_f64 v[105:106], s[20:21], v[117:118], v[117:118], v[119:120]
	v_rcp_f64_e32 v[107:108], v[105:106]
	v_fma_f64 v[109:110], -v[105:106], v[107:108], 1.0
	v_fma_f64 v[107:108], v[107:108], v[109:110], v[107:108]
	v_div_scale_f64 v[109:110], vcc, v[119:120], v[117:118], v[119:120]
	v_fma_f64 v[121:122], -v[105:106], v[107:108], 1.0
	v_fma_f64 v[107:108], v[107:108], v[121:122], v[107:108]
	v_mul_f64 v[121:122], v[109:110], v[107:108]
	v_fma_f64 v[105:106], -v[105:106], v[121:122], v[109:110]
	v_div_fmas_f64 v[105:106], v[105:106], v[107:108], v[121:122]
	v_div_fixup_f64 v[105:106], v[105:106], v[117:118], v[119:120]
	v_fma_f64 v[107:108], v[119:120], v[105:106], v[117:118]
	v_div_scale_f64 v[109:110], s[20:21], v[107:108], v[107:108], 1.0
	v_div_scale_f64 v[121:122], vcc, 1.0, v[107:108], 1.0
	v_rcp_f64_e32 v[117:118], v[109:110]
	v_fma_f64 v[119:120], -v[109:110], v[117:118], 1.0
	v_fma_f64 v[117:118], v[117:118], v[119:120], v[117:118]
	v_fma_f64 v[119:120], -v[109:110], v[117:118], 1.0
	v_fma_f64 v[117:118], v[117:118], v[119:120], v[117:118]
	v_mul_f64 v[119:120], v[121:122], v[117:118]
	v_fma_f64 v[109:110], -v[109:110], v[119:120], v[121:122]
	v_div_fmas_f64 v[109:110], v[109:110], v[117:118], v[119:120]
	v_div_fixup_f64 v[117:118], v[109:110], v[107:108], 1.0
	v_mul_f64 v[119:120], v[105:106], -v[117:118]
.LBB56_597:
	s_or_b64 exec, exec, s[18:19]
.LBB56_598:
	s_or_b64 exec, exec, s[0:1]
	v_cmp_ne_u32_e32 vcc, v91, v89
	v_mov_b32_e32 v90, 28
	s_and_saveexec_b64 s[0:1], vcc
	s_cbranch_execz .LBB56_604
; %bb.599:
	v_cmp_eq_u32_e32 vcc, 28, v91
	s_and_saveexec_b64 s[18:19], vcc
	s_cbranch_execz .LBB56_603
; %bb.600:
	v_cmp_ne_u32_e32 vcc, 28, v89
	s_xor_b64 s[6:7], s[6:7], -1
	s_and_b64 s[20:21], s[6:7], vcc
	s_and_saveexec_b64 s[6:7], s[20:21]
	s_cbranch_execz .LBB56_602
; %bb.601:
	buffer_load_dword v106, off, s[24:27], 0 offset:32 ; 4-byte Folded Reload
	buffer_load_dword v107, off, s[24:27], 0 offset:36 ; 4-byte Folded Reload
	v_ashrrev_i32_e32 v90, 31, v89
	v_lshlrev_b64 v[90:91], 2, v[89:90]
	s_waitcnt vmcnt(1)
	v_add_co_u32_e32 v90, vcc, v106, v90
	s_waitcnt vmcnt(0)
	v_addc_co_u32_e32 v91, vcc, v107, v91, vcc
	global_load_dword v0, v[90:91], off
	global_load_dword v105, v[106:107], off offset:112
	s_waitcnt vmcnt(1)
	global_store_dword v[106:107], v0, off offset:112
	s_waitcnt vmcnt(1)
	global_store_dword v[90:91], v105, off
.LBB56_602:
	s_or_b64 exec, exec, s[6:7]
	v_mov_b32_e32 v91, v89
	v_mov_b32_e32 v0, v89
.LBB56_603:
	s_or_b64 exec, exec, s[18:19]
	v_mov_b32_e32 v90, v91
.LBB56_604:
	s_or_b64 exec, exec, s[0:1]
	v_cmp_gt_i32_e32 vcc, 29, v90
	v_ashrrev_i32_e32 v91, 31, v90
	s_waitcnt vmcnt(0)
	s_barrier
	s_barrier
	s_and_saveexec_b64 s[0:1], vcc
	s_cbranch_execz .LBB56_606
; %bb.605:
	buffer_load_dword v105, off, s[24:27], 0 offset:56 ; 4-byte Folded Reload
	buffer_load_dword v106, off, s[24:27], 0 offset:60 ; 4-byte Folded Reload
	v_add3_u32 v0, v0, s17, 1
	s_waitcnt vmcnt(1)
	v_mul_lo_u32 v89, s15, v105
	s_waitcnt vmcnt(0)
	v_mul_lo_u32 v107, s14, v106
	v_mad_u64_u32 v[105:106], s[6:7], s14, v105, 0
	s_lshl_b64 s[6:7], s[12:13], 2
	v_add3_u32 v106, v106, v107, v89
	v_lshlrev_b64 v[105:106], 2, v[105:106]
	v_mov_b32_e32 v89, s11
	v_add_co_u32_e32 v105, vcc, s10, v105
	v_addc_co_u32_e32 v89, vcc, v89, v106, vcc
	v_mov_b32_e32 v106, s7
	v_add_co_u32_e32 v107, vcc, s6, v105
	v_addc_co_u32_e32 v89, vcc, v89, v106, vcc
	v_lshlrev_b64 v[105:106], 2, v[90:91]
	v_add_co_u32_e32 v105, vcc, v107, v105
	v_addc_co_u32_e32 v106, vcc, v89, v106, vcc
	global_store_dword v[105:106], v0, off
.LBB56_606:
	s_or_b64 exec, exec, s[0:1]
	v_cmp_eq_u32_e32 vcc, 0, v90
	s_and_saveexec_b64 s[6:7], vcc
	s_cbranch_execz .LBB56_609
; %bb.607:
	buffer_load_dword v105, off, s[24:27], 0 offset:56 ; 4-byte Folded Reload
	buffer_load_dword v106, off, s[24:27], 0 offset:60 ; 4-byte Folded Reload
	v_mov_b32_e32 v0, s5
	v_cmp_ne_u32_e64 s[0:1], 0, v92
	s_waitcnt vmcnt(0)
	v_lshlrev_b64 v[105:106], 2, v[105:106]
	v_add_co_u32_e32 v109, vcc, s4, v105
	v_addc_co_u32_e32 v110, vcc, v0, v106, vcc
	global_load_dword v0, v[109:110], off
	s_waitcnt vmcnt(0)
	v_cmp_eq_u32_e32 vcc, 0, v0
	s_and_b64 s[0:1], vcc, s[0:1]
	s_and_b64 exec, exec, s[0:1]
	s_cbranch_execz .LBB56_609
; %bb.608:
	v_add_u32_e32 v0, s17, v92
	global_store_dword v[109:110], v0, off
.LBB56_609:
	s_or_b64 exec, exec, s[6:7]
	v_mul_f64 v[105:106], v[117:118], v[115:116]
	v_mul_f64 v[107:108], v[119:120], v[115:116]
	v_cmp_lt_i32_e32 vcc, 28, v90
	v_lshlrev_b64 v[91:92], 4, v[90:91]
	v_mov_b32_e32 v0, s9
	v_add_u32_e32 v89, s16, v90
	v_ashrrev_i32_e32 v90, 31, v89
	v_fma_f64 v[105:106], v[119:120], v[113:114], v[105:106]
	v_fma_f64 v[107:108], v[117:118], v[113:114], -v[107:108]
	v_cndmask_b32_e32 v116, v116, v106, vcc
	v_cndmask_b32_e32 v115, v115, v105, vcc
	;; [unrolled: 1-line block ×4, first 2 shown]
	buffer_load_dword v105, off, s[24:27], 0 offset:40 ; 4-byte Folded Reload
	buffer_load_dword v106, off, s[24:27], 0 offset:44 ; 4-byte Folded Reload
	;; [unrolled: 1-line block ×4, first 2 shown]
	v_add_co_u32_e32 v91, vcc, v111, v91
	v_addc_co_u32_e32 v92, vcc, v112, v92, vcc
	s_waitcnt vmcnt(0)
	global_store_dwordx4 v[91:92], v[105:108], off
	buffer_load_dword v105, off, s[24:27], 0 offset:16 ; 4-byte Folded Reload
	s_nop 0
	buffer_load_dword v106, off, s[24:27], 0 offset:20 ; 4-byte Folded Reload
	buffer_load_dword v107, off, s[24:27], 0 offset:24 ; 4-byte Folded Reload
	;; [unrolled: 1-line block ×3, first 2 shown]
	v_add_co_u32_e32 v91, vcc, s8, v91
	v_addc_co_u32_e32 v92, vcc, v92, v0, vcc
	s_waitcnt vmcnt(0)
	global_store_dwordx4 v[91:92], v[105:108], off
	buffer_load_dword v105, off, s[24:27], 0 ; 4-byte Folded Reload
	s_nop 0
	buffer_load_dword v106, off, s[24:27], 0 offset:4 ; 4-byte Folded Reload
	buffer_load_dword v107, off, s[24:27], 0 offset:8 ; 4-byte Folded Reload
	;; [unrolled: 1-line block ×3, first 2 shown]
	v_lshlrev_b64 v[90:91], 4, v[89:90]
	v_add_u32_e32 v89, s2, v89
	v_add_co_u32_e32 v90, vcc, v111, v90
	v_addc_co_u32_e32 v91, vcc, v112, v91, vcc
	s_waitcnt vmcnt(0)
	global_store_dwordx4 v[90:91], v[105:108], off
	v_ashrrev_i32_e32 v90, 31, v89
	v_lshlrev_b64 v[90:91], 4, v[89:90]
	v_add_u32_e32 v89, s2, v89
	v_add_co_u32_e32 v90, vcc, v111, v90
	v_addc_co_u32_e32 v91, vcc, v112, v91, vcc
	global_store_dwordx4 v[90:91], v[101:104], off
	v_ashrrev_i32_e32 v90, 31, v89
	v_lshlrev_b64 v[90:91], 4, v[89:90]
	v_add_u32_e32 v89, s2, v89
	v_add_co_u32_e32 v90, vcc, v111, v90
	v_addc_co_u32_e32 v91, vcc, v112, v91, vcc
	;; [unrolled: 6-line block ×3, first 2 shown]
	global_store_dwordx4 v[90:91], v[93:96], off
	v_ashrrev_i32_e32 v90, 31, v89
	v_lshlrev_b64 v[90:91], 4, v[89:90]
	v_add_co_u32_e32 v90, vcc, v111, v90
	v_addc_co_u32_e32 v91, vcc, v112, v91, vcc
	global_store_dwordx4 v[90:91], v[85:88], off
	s_nop 0
	v_add_u32_e32 v85, s2, v89
	v_ashrrev_i32_e32 v86, 31, v85
	v_lshlrev_b64 v[86:87], 4, v[85:86]
	v_add_co_u32_e32 v86, vcc, v111, v86
	v_addc_co_u32_e32 v87, vcc, v112, v87, vcc
	global_store_dwordx4 v[86:87], v[81:84], off
	s_nop 0
	v_add_u32_e32 v81, s2, v85
	;; [unrolled: 7-line block ×21, first 2 shown]
	v_ashrrev_i32_e32 v6, 31, v5
	v_lshlrev_b64 v[6:7], 4, v[5:6]
	v_add_u32_e32 v0, s2, v5
	v_add_co_u32_e32 v6, vcc, v111, v6
	v_addc_co_u32_e32 v7, vcc, v112, v7, vcc
	global_store_dwordx4 v[6:7], v[1:4], off
	s_nop 0
	v_ashrrev_i32_e32 v1, 31, v0
	v_lshlrev_b64 v[0:1], 4, v[0:1]
	v_add_co_u32_e32 v0, vcc, v111, v0
	v_addc_co_u32_e32 v1, vcc, v112, v1, vcc
	global_store_dwordx4 v[0:1], v[113:116], off
.LBB56_610:
	s_endpgm
	.section	.rodata,"a",@progbits
	.p2align	6, 0x0
	.amdhsa_kernel _ZN9rocsolver6v33100L18getf2_small_kernelILi29E19rocblas_complex_numIdEiiPS3_EEvT1_T3_lS5_lPS5_llPT2_S5_S5_S7_l
		.amdhsa_group_segment_fixed_size 0
		.amdhsa_private_segment_fixed_size 68
		.amdhsa_kernarg_size 352
		.amdhsa_user_sgpr_count 6
		.amdhsa_user_sgpr_private_segment_buffer 1
		.amdhsa_user_sgpr_dispatch_ptr 0
		.amdhsa_user_sgpr_queue_ptr 0
		.amdhsa_user_sgpr_kernarg_segment_ptr 1
		.amdhsa_user_sgpr_dispatch_id 0
		.amdhsa_user_sgpr_flat_scratch_init 0
		.amdhsa_user_sgpr_private_segment_size 0
		.amdhsa_uses_dynamic_stack 0
		.amdhsa_system_sgpr_private_segment_wavefront_offset 1
		.amdhsa_system_sgpr_workgroup_id_x 1
		.amdhsa_system_sgpr_workgroup_id_y 1
		.amdhsa_system_sgpr_workgroup_id_z 0
		.amdhsa_system_sgpr_workgroup_info 0
		.amdhsa_system_vgpr_workitem_id 1
		.amdhsa_next_free_vgpr 128
		.amdhsa_next_free_sgpr 28
		.amdhsa_reserve_vcc 1
		.amdhsa_reserve_flat_scratch 0
		.amdhsa_float_round_mode_32 0
		.amdhsa_float_round_mode_16_64 0
		.amdhsa_float_denorm_mode_32 3
		.amdhsa_float_denorm_mode_16_64 3
		.amdhsa_dx10_clamp 1
		.amdhsa_ieee_mode 1
		.amdhsa_fp16_overflow 0
		.amdhsa_exception_fp_ieee_invalid_op 0
		.amdhsa_exception_fp_denorm_src 0
		.amdhsa_exception_fp_ieee_div_zero 0
		.amdhsa_exception_fp_ieee_overflow 0
		.amdhsa_exception_fp_ieee_underflow 0
		.amdhsa_exception_fp_ieee_inexact 0
		.amdhsa_exception_int_div_zero 0
	.end_amdhsa_kernel
	.section	.text._ZN9rocsolver6v33100L18getf2_small_kernelILi29E19rocblas_complex_numIdEiiPS3_EEvT1_T3_lS5_lPS5_llPT2_S5_S5_S7_l,"axG",@progbits,_ZN9rocsolver6v33100L18getf2_small_kernelILi29E19rocblas_complex_numIdEiiPS3_EEvT1_T3_lS5_lPS5_llPT2_S5_S5_S7_l,comdat
.Lfunc_end56:
	.size	_ZN9rocsolver6v33100L18getf2_small_kernelILi29E19rocblas_complex_numIdEiiPS3_EEvT1_T3_lS5_lPS5_llPT2_S5_S5_S7_l, .Lfunc_end56-_ZN9rocsolver6v33100L18getf2_small_kernelILi29E19rocblas_complex_numIdEiiPS3_EEvT1_T3_lS5_lPS5_llPT2_S5_S5_S7_l
                                        ; -- End function
	.set _ZN9rocsolver6v33100L18getf2_small_kernelILi29E19rocblas_complex_numIdEiiPS3_EEvT1_T3_lS5_lPS5_llPT2_S5_S5_S7_l.num_vgpr, 128
	.set _ZN9rocsolver6v33100L18getf2_small_kernelILi29E19rocblas_complex_numIdEiiPS3_EEvT1_T3_lS5_lPS5_llPT2_S5_S5_S7_l.num_agpr, 0
	.set _ZN9rocsolver6v33100L18getf2_small_kernelILi29E19rocblas_complex_numIdEiiPS3_EEvT1_T3_lS5_lPS5_llPT2_S5_S5_S7_l.numbered_sgpr, 28
	.set _ZN9rocsolver6v33100L18getf2_small_kernelILi29E19rocblas_complex_numIdEiiPS3_EEvT1_T3_lS5_lPS5_llPT2_S5_S5_S7_l.num_named_barrier, 0
	.set _ZN9rocsolver6v33100L18getf2_small_kernelILi29E19rocblas_complex_numIdEiiPS3_EEvT1_T3_lS5_lPS5_llPT2_S5_S5_S7_l.private_seg_size, 68
	.set _ZN9rocsolver6v33100L18getf2_small_kernelILi29E19rocblas_complex_numIdEiiPS3_EEvT1_T3_lS5_lPS5_llPT2_S5_S5_S7_l.uses_vcc, 1
	.set _ZN9rocsolver6v33100L18getf2_small_kernelILi29E19rocblas_complex_numIdEiiPS3_EEvT1_T3_lS5_lPS5_llPT2_S5_S5_S7_l.uses_flat_scratch, 0
	.set _ZN9rocsolver6v33100L18getf2_small_kernelILi29E19rocblas_complex_numIdEiiPS3_EEvT1_T3_lS5_lPS5_llPT2_S5_S5_S7_l.has_dyn_sized_stack, 0
	.set _ZN9rocsolver6v33100L18getf2_small_kernelILi29E19rocblas_complex_numIdEiiPS3_EEvT1_T3_lS5_lPS5_llPT2_S5_S5_S7_l.has_recursion, 0
	.set _ZN9rocsolver6v33100L18getf2_small_kernelILi29E19rocblas_complex_numIdEiiPS3_EEvT1_T3_lS5_lPS5_llPT2_S5_S5_S7_l.has_indirect_call, 0
	.section	.AMDGPU.csdata,"",@progbits
; Kernel info:
; codeLenInByte = 57188
; TotalNumSgprs: 32
; NumVgprs: 128
; ScratchSize: 68
; MemoryBound: 0
; FloatMode: 240
; IeeeMode: 1
; LDSByteSize: 0 bytes/workgroup (compile time only)
; SGPRBlocks: 3
; VGPRBlocks: 31
; NumSGPRsForWavesPerEU: 32
; NumVGPRsForWavesPerEU: 128
; Occupancy: 2
; WaveLimiterHint : 0
; COMPUTE_PGM_RSRC2:SCRATCH_EN: 1
; COMPUTE_PGM_RSRC2:USER_SGPR: 6
; COMPUTE_PGM_RSRC2:TRAP_HANDLER: 0
; COMPUTE_PGM_RSRC2:TGID_X_EN: 1
; COMPUTE_PGM_RSRC2:TGID_Y_EN: 1
; COMPUTE_PGM_RSRC2:TGID_Z_EN: 0
; COMPUTE_PGM_RSRC2:TIDIG_COMP_CNT: 1
	.section	.text._ZN9rocsolver6v33100L23getf2_npvt_small_kernelILi29E19rocblas_complex_numIdEiiPS3_EEvT1_T3_lS5_lPT2_S5_S5_,"axG",@progbits,_ZN9rocsolver6v33100L23getf2_npvt_small_kernelILi29E19rocblas_complex_numIdEiiPS3_EEvT1_T3_lS5_lPT2_S5_S5_,comdat
	.globl	_ZN9rocsolver6v33100L23getf2_npvt_small_kernelILi29E19rocblas_complex_numIdEiiPS3_EEvT1_T3_lS5_lPT2_S5_S5_ ; -- Begin function _ZN9rocsolver6v33100L23getf2_npvt_small_kernelILi29E19rocblas_complex_numIdEiiPS3_EEvT1_T3_lS5_lPT2_S5_S5_
	.p2align	8
	.type	_ZN9rocsolver6v33100L23getf2_npvt_small_kernelILi29E19rocblas_complex_numIdEiiPS3_EEvT1_T3_lS5_lPT2_S5_S5_,@function
_ZN9rocsolver6v33100L23getf2_npvt_small_kernelILi29E19rocblas_complex_numIdEiiPS3_EEvT1_T3_lS5_lPT2_S5_S5_: ; @_ZN9rocsolver6v33100L23getf2_npvt_small_kernelILi29E19rocblas_complex_numIdEiiPS3_EEvT1_T3_lS5_lPT2_S5_S5_
; %bb.0:
	s_mov_b64 s[22:23], s[2:3]
	s_mov_b64 s[20:21], s[0:1]
	s_load_dword s0, s[4:5], 0x44
	s_load_dwordx2 s[12:13], s[4:5], 0x30
	s_add_u32 s20, s20, s8
	s_addc_u32 s21, s21, 0
	s_waitcnt lgkmcnt(0)
	s_lshr_b32 s2, s0, 16
	s_mul_i32 s7, s7, s2
	v_add_u32_e32 v2, s7, v1
	v_cmp_gt_i32_e32 vcc, s12, v2
	s_and_saveexec_b64 s[0:1], vcc
	s_cbranch_execz .LBB57_264
; %bb.1:
	s_load_dwordx4 s[8:11], s[4:5], 0x20
	s_load_dwordx4 s[16:19], s[4:5], 0x8
	v_ashrrev_i32_e32 v3, 31, v2
	s_mulk_i32 s2, 0x1d0
	s_waitcnt lgkmcnt(0)
	v_mul_lo_u32 v4, s9, v2
	v_mul_lo_u32 v5, s8, v3
	buffer_store_dword v2, off, s[20:23], 0 offset:696 ; 4-byte Folded Spill
	s_nop 0
	buffer_store_dword v3, off, s[20:23], 0 offset:700 ; 4-byte Folded Spill
	v_mov_b32_e32 v6, s17
	v_mad_u64_u32 v[2:3], s[0:1], s8, v2, 0
	s_load_dword s0, s[4:5], 0x18
	s_lshl_b64 s[4:5], s[18:19], 4
	v_add3_u32 v3, v3, v5, v4
	v_lshlrev_b64 v[2:3], 4, v[2:3]
	v_mov_b32_e32 v4, s5
	v_add_co_u32_e32 v2, vcc, s16, v2
	v_addc_co_u32_e32 v3, vcc, v6, v3, vcc
	v_add_co_u32_e32 v2, vcc, s4, v2
	s_waitcnt lgkmcnt(0)
	s_add_i32 s1, s0, s0
	v_addc_co_u32_e32 v3, vcc, v3, v4, vcc
	v_add_u32_e32 v4, s1, v0
	v_ashrrev_i32_e32 v5, 31, v4
	v_lshlrev_b64 v[5:6], 4, v[4:5]
	v_add_u32_e32 v4, s0, v4
	v_add_co_u32_e32 v119, vcc, v2, v5
	v_ashrrev_i32_e32 v5, 31, v4
	v_addc_co_u32_e32 v120, vcc, v3, v6, vcc
	v_lshlrev_b64 v[5:6], 4, v[4:5]
	v_add_u32_e32 v4, s0, v4
	v_add_co_u32_e32 v7, vcc, v2, v5
	v_ashrrev_i32_e32 v5, 31, v4
	v_addc_co_u32_e32 v8, vcc, v3, v6, vcc
	;; [unrolled: 5-line block ×25, first 2 shown]
	v_lshlrev_b64 v[5:6], 4, v[4:5]
	v_add_u32_e32 v4, s0, v4
	v_add_co_u32_e32 v101, vcc, v2, v5
	v_ashrrev_i32_e32 v5, 31, v4
	v_lshlrev_b64 v[4:5], 4, v[4:5]
	v_addc_co_u32_e32 v102, vcc, v3, v6, vcc
	v_add_co_u32_e32 v103, vcc, v2, v4
	v_addc_co_u32_e32 v104, vcc, v3, v5, vcc
	v_lshlrev_b32_e32 v4, 4, v0
	v_add_co_u32_e32 v4, vcc, v2, v4
	s_ashr_i32 s1, s0, 31
	v_addc_co_u32_e32 v5, vcc, 0, v3, vcc
	s_lshl_b64 s[0:1], s[0:1], 4
	v_mov_b32_e32 v2, s1
	v_add_co_u32_e32 v35, vcc, s0, v4
	v_addc_co_u32_e32 v36, vcc, v5, v2, vcc
	buffer_store_dword v4, off, s[20:23], 0 offset:312 ; 4-byte Folded Spill
	s_nop 0
	buffer_store_dword v5, off, s[20:23], 0 offset:316 ; 4-byte Folded Spill
	s_movk_i32 s0, 0x1d0
	s_add_i32 s1, s2, 0
	v_mad_u32_u24 v125, v1, s0, 0
	v_lshl_add_u32 v127, v1, 4, s1
	v_cmp_ne_u32_e64 s[2:3], 0, v0
	v_cmp_eq_u32_e64 s[0:1], 0, v0
	global_load_dwordx4 v[1:4], v[4:5], off
	s_waitcnt vmcnt(0)
	buffer_store_dword v1, off, s[20:23], 0 offset:96 ; 4-byte Folded Spill
	s_nop 0
	buffer_store_dword v2, off, s[20:23], 0 offset:100 ; 4-byte Folded Spill
	buffer_store_dword v3, off, s[20:23], 0 offset:104 ; 4-byte Folded Spill
	;; [unrolled: 1-line block ×4, first 2 shown]
	s_nop 0
	buffer_store_dword v36, off, s[20:23], 0 offset:324 ; 4-byte Folded Spill
	global_load_dwordx4 v[1:4], v[35:36], off
	s_waitcnt vmcnt(0)
	buffer_store_dword v1, off, s[20:23], 0 offset:80 ; 4-byte Folded Spill
	s_nop 0
	buffer_store_dword v2, off, s[20:23], 0 offset:84 ; 4-byte Folded Spill
	buffer_store_dword v3, off, s[20:23], 0 offset:88 ; 4-byte Folded Spill
	;; [unrolled: 1-line block ×3, first 2 shown]
	global_load_dwordx4 v[1:4], v[119:120], off
	s_waitcnt vmcnt(0)
	buffer_store_dword v1, off, s[20:23], 0 offset:64 ; 4-byte Folded Spill
	s_nop 0
	buffer_store_dword v2, off, s[20:23], 0 offset:68 ; 4-byte Folded Spill
	buffer_store_dword v3, off, s[20:23], 0 offset:72 ; 4-byte Folded Spill
	;; [unrolled: 1-line block ×4, first 2 shown]
	s_nop 0
	buffer_store_dword v8, off, s[20:23], 0 offset:116 ; 4-byte Folded Spill
	global_load_dwordx4 v[1:4], v[7:8], off
	s_waitcnt vmcnt(0)
	buffer_store_dword v1, off, s[20:23], 0 offset:48 ; 4-byte Folded Spill
	s_nop 0
	buffer_store_dword v2, off, s[20:23], 0 offset:52 ; 4-byte Folded Spill
	buffer_store_dword v3, off, s[20:23], 0 offset:56 ; 4-byte Folded Spill
	buffer_store_dword v4, off, s[20:23], 0 offset:60 ; 4-byte Folded Spill
	global_load_dwordx4 v[1:4], v[91:92], off
	s_waitcnt vmcnt(0)
	buffer_store_dword v1, off, s[20:23], 0 offset:32 ; 4-byte Folded Spill
	s_nop 0
	buffer_store_dword v2, off, s[20:23], 0 offset:36 ; 4-byte Folded Spill
	buffer_store_dword v3, off, s[20:23], 0 offset:40 ; 4-byte Folded Spill
	;; [unrolled: 7-line block ×3, first 2 shown]
	buffer_store_dword v4, off, s[20:23], 0 offset:28 ; 4-byte Folded Spill
	buffer_store_dword v9, off, s[20:23], 0 offset:120 ; 4-byte Folded Spill
	s_nop 0
	buffer_store_dword v10, off, s[20:23], 0 offset:124 ; 4-byte Folded Spill
	global_load_dwordx4 v[1:4], v[9:10], off
	s_waitcnt vmcnt(0)
	buffer_store_dword v1, off, s[20:23], 0 ; 4-byte Folded Spill
	s_nop 0
	buffer_store_dword v2, off, s[20:23], 0 offset:4 ; 4-byte Folded Spill
	buffer_store_dword v3, off, s[20:23], 0 offset:8 ; 4-byte Folded Spill
	buffer_store_dword v4, off, s[20:23], 0 offset:12 ; 4-byte Folded Spill
	global_load_dwordx4 v[1:4], v[81:82], off
	s_nop 0
	buffer_store_dword v11, off, s[20:23], 0 offset:128 ; 4-byte Folded Spill
	s_nop 0
	buffer_store_dword v12, off, s[20:23], 0 offset:132 ; 4-byte Folded Spill
	global_load_dwordx4 v[77:80], v[11:12], off
	s_nop 0
	buffer_store_dword v13, off, s[20:23], 0 offset:136 ; 4-byte Folded Spill
	s_nop 0
	buffer_store_dword v14, off, s[20:23], 0 offset:140 ; 4-byte Folded Spill
	;; [unrolled: 5-line block ×15, first 2 shown]
	s_waitcnt vmcnt(44)
	v_mov_b32_e32 v86, v4
	v_mov_b32_e32 v85, v3
	;; [unrolled: 1-line block ×4, first 2 shown]
	global_load_dwordx4 v[21:24], v[89:90], off
	s_nop 0
	buffer_store_dword v93, off, s[20:23], 0 offset:248 ; 4-byte Folded Spill
	s_nop 0
	buffer_store_dword v94, off, s[20:23], 0 offset:252 ; 4-byte Folded Spill
	global_load_dwordx4 v[17:20], v[93:94], off
	s_nop 0
	buffer_store_dword v95, off, s[20:23], 0 offset:256 ; 4-byte Folded Spill
	s_nop 0
	buffer_store_dword v96, off, s[20:23], 0 offset:260 ; 4-byte Folded Spill
	;; [unrolled: 5-line block ×6, first 2 shown]
	global_load_dwordx4 v[93:96], v[103:104], off
	s_and_saveexec_b64 s[6:7], s[0:1]
	s_cbranch_execz .LBB57_8
; %bb.2:
	buffer_load_dword v97, off, s[20:23], 0 offset:96 ; 4-byte Folded Reload
	buffer_load_dword v98, off, s[20:23], 0 offset:100 ; 4-byte Folded Reload
	;; [unrolled: 1-line block ×4, first 2 shown]
	s_waitcnt vmcnt(0)
	ds_write2_b64 v127, v[97:98], v[99:100] offset1:1
	buffer_load_dword v97, off, s[20:23], 0 offset:80 ; 4-byte Folded Reload
	buffer_load_dword v98, off, s[20:23], 0 offset:84 ; 4-byte Folded Reload
	buffer_load_dword v99, off, s[20:23], 0 offset:88 ; 4-byte Folded Reload
	buffer_load_dword v100, off, s[20:23], 0 offset:92 ; 4-byte Folded Reload
	s_waitcnt vmcnt(0)
	ds_write2_b64 v125, v[97:98], v[99:100] offset0:2 offset1:3
	buffer_load_dword v97, off, s[20:23], 0 offset:64 ; 4-byte Folded Reload
	buffer_load_dword v98, off, s[20:23], 0 offset:68 ; 4-byte Folded Reload
	buffer_load_dword v99, off, s[20:23], 0 offset:72 ; 4-byte Folded Reload
	buffer_load_dword v100, off, s[20:23], 0 offset:76 ; 4-byte Folded Reload
	s_waitcnt vmcnt(0)
	ds_write2_b64 v125, v[97:98], v[99:100] offset0:4 offset1:5
	;; [unrolled: 6-line block ×5, first 2 shown]
	buffer_load_dword v97, off, s[20:23], 0 ; 4-byte Folded Reload
	buffer_load_dword v98, off, s[20:23], 0 offset:4 ; 4-byte Folded Reload
	buffer_load_dword v99, off, s[20:23], 0 offset:8 ; 4-byte Folded Reload
	;; [unrolled: 1-line block ×3, first 2 shown]
	s_waitcnt vmcnt(0)
	ds_write2_b64 v125, v[97:98], v[99:100] offset0:12 offset1:13
	ds_write2_b64 v125, v[83:84], v[85:86] offset0:14 offset1:15
	;; [unrolled: 1-line block ×23, first 2 shown]
	ds_read2_b64 v[97:100], v127 offset1:1
	s_waitcnt lgkmcnt(0)
	v_cmp_neq_f64_e32 vcc, 0, v[97:98]
	v_cmp_neq_f64_e64 s[4:5], 0, v[99:100]
	s_or_b64 s[4:5], vcc, s[4:5]
	s_and_b64 exec, exec, s[4:5]
	s_cbranch_execz .LBB57_8
; %bb.3:
	v_cmp_ngt_f64_e64 s[4:5], |v[97:98]|, |v[99:100]|
                                        ; implicit-def: $vgpr101_vgpr102
	s_and_saveexec_b64 s[8:9], s[4:5]
	s_xor_b64 s[4:5], exec, s[8:9]
                                        ; implicit-def: $vgpr103_vgpr104
	s_cbranch_execz .LBB57_5
; %bb.4:
	v_div_scale_f64 v[101:102], s[8:9], v[99:100], v[99:100], v[97:98]
	v_rcp_f64_e32 v[103:104], v[101:102]
	v_fma_f64 v[105:106], -v[101:102], v[103:104], 1.0
	v_fma_f64 v[103:104], v[103:104], v[105:106], v[103:104]
	v_div_scale_f64 v[105:106], vcc, v[97:98], v[99:100], v[97:98]
	v_fma_f64 v[107:108], -v[101:102], v[103:104], 1.0
	v_fma_f64 v[103:104], v[103:104], v[107:108], v[103:104]
	v_mul_f64 v[107:108], v[105:106], v[103:104]
	v_fma_f64 v[101:102], -v[101:102], v[107:108], v[105:106]
	v_div_fmas_f64 v[101:102], v[101:102], v[103:104], v[107:108]
	v_div_fixup_f64 v[101:102], v[101:102], v[99:100], v[97:98]
	v_fma_f64 v[97:98], v[97:98], v[101:102], v[99:100]
	v_div_scale_f64 v[99:100], s[8:9], v[97:98], v[97:98], 1.0
	v_div_scale_f64 v[107:108], vcc, 1.0, v[97:98], 1.0
	v_rcp_f64_e32 v[103:104], v[99:100]
	v_fma_f64 v[105:106], -v[99:100], v[103:104], 1.0
	v_fma_f64 v[103:104], v[103:104], v[105:106], v[103:104]
	v_fma_f64 v[105:106], -v[99:100], v[103:104], 1.0
	v_fma_f64 v[103:104], v[103:104], v[105:106], v[103:104]
	v_mul_f64 v[105:106], v[107:108], v[103:104]
	v_fma_f64 v[99:100], -v[99:100], v[105:106], v[107:108]
	v_div_fmas_f64 v[99:100], v[99:100], v[103:104], v[105:106]
	v_div_fixup_f64 v[103:104], v[99:100], v[97:98], 1.0
                                        ; implicit-def: $vgpr97_vgpr98
	v_mul_f64 v[101:102], v[101:102], v[103:104]
	v_xor_b32_e32 v104, 0x80000000, v104
.LBB57_5:
	s_andn2_saveexec_b64 s[4:5], s[4:5]
	s_cbranch_execz .LBB57_7
; %bb.6:
	v_div_scale_f64 v[101:102], s[8:9], v[97:98], v[97:98], v[99:100]
	v_rcp_f64_e32 v[103:104], v[101:102]
	v_fma_f64 v[105:106], -v[101:102], v[103:104], 1.0
	v_fma_f64 v[103:104], v[103:104], v[105:106], v[103:104]
	v_div_scale_f64 v[105:106], vcc, v[99:100], v[97:98], v[99:100]
	v_fma_f64 v[107:108], -v[101:102], v[103:104], 1.0
	v_fma_f64 v[103:104], v[103:104], v[107:108], v[103:104]
	v_mul_f64 v[107:108], v[105:106], v[103:104]
	v_fma_f64 v[101:102], -v[101:102], v[107:108], v[105:106]
	v_div_fmas_f64 v[101:102], v[101:102], v[103:104], v[107:108]
	v_div_fixup_f64 v[103:104], v[101:102], v[97:98], v[99:100]
	v_fma_f64 v[97:98], v[99:100], v[103:104], v[97:98]
	v_div_scale_f64 v[99:100], s[8:9], v[97:98], v[97:98], 1.0
	v_div_scale_f64 v[107:108], vcc, 1.0, v[97:98], 1.0
	v_rcp_f64_e32 v[101:102], v[99:100]
	v_fma_f64 v[105:106], -v[99:100], v[101:102], 1.0
	v_fma_f64 v[101:102], v[101:102], v[105:106], v[101:102]
	v_fma_f64 v[105:106], -v[99:100], v[101:102], 1.0
	v_fma_f64 v[101:102], v[101:102], v[105:106], v[101:102]
	v_mul_f64 v[105:106], v[107:108], v[101:102]
	v_fma_f64 v[99:100], -v[99:100], v[105:106], v[107:108]
	v_div_fmas_f64 v[99:100], v[99:100], v[101:102], v[105:106]
	v_div_fixup_f64 v[101:102], v[99:100], v[97:98], 1.0
	v_mul_f64 v[103:104], v[103:104], -v[101:102]
.LBB57_7:
	s_or_b64 exec, exec, s[4:5]
	ds_write2_b64 v127, v[101:102], v[103:104] offset1:1
.LBB57_8:
	s_or_b64 exec, exec, s[6:7]
	s_waitcnt vmcnt(0) lgkmcnt(0)
	s_barrier
	ds_read2_b64 v[97:100], v127 offset1:1
	s_waitcnt lgkmcnt(0)
	buffer_store_dword v97, off, s[20:23], 0 offset:328 ; 4-byte Folded Spill
	s_nop 0
	buffer_store_dword v98, off, s[20:23], 0 offset:332 ; 4-byte Folded Spill
	buffer_store_dword v99, off, s[20:23], 0 offset:336 ; 4-byte Folded Spill
	;; [unrolled: 1-line block ×3, first 2 shown]
	s_and_saveexec_b64 s[4:5], s[2:3]
	s_cbranch_execz .LBB57_10
; %bb.9:
	buffer_load_dword v107, off, s[20:23], 0 offset:96 ; 4-byte Folded Reload
	buffer_load_dword v108, off, s[20:23], 0 offset:100 ; 4-byte Folded Reload
	;; [unrolled: 1-line block ×8, first 2 shown]
	s_waitcnt vmcnt(0)
	v_mul_f64 v[97:98], v[101:102], v[109:110]
	v_fma_f64 v[97:98], v[99:100], v[107:108], -v[97:98]
	v_mul_f64 v[99:100], v[99:100], v[109:110]
	v_fma_f64 v[109:110], v[101:102], v[107:108], v[99:100]
	ds_read2_b64 v[99:102], v125 offset0:2 offset1:3
	buffer_load_dword v105, off, s[20:23], 0 offset:80 ; 4-byte Folded Reload
	buffer_load_dword v106, off, s[20:23], 0 offset:84 ; 4-byte Folded Reload
	buffer_load_dword v107, off, s[20:23], 0 offset:88 ; 4-byte Folded Reload
	buffer_load_dword v108, off, s[20:23], 0 offset:92 ; 4-byte Folded Reload
	s_waitcnt lgkmcnt(0)
	v_mul_f64 v[103:104], v[101:102], v[109:110]
	v_fma_f64 v[103:104], v[99:100], v[97:98], -v[103:104]
	v_mul_f64 v[99:100], v[99:100], v[109:110]
	v_fma_f64 v[99:100], v[101:102], v[97:98], v[99:100]
	s_waitcnt vmcnt(2)
	v_add_f64 v[105:106], v[105:106], -v[103:104]
	s_waitcnt vmcnt(0)
	v_add_f64 v[107:108], v[107:108], -v[99:100]
	buffer_store_dword v105, off, s[20:23], 0 offset:80 ; 4-byte Folded Spill
	s_nop 0
	buffer_store_dword v106, off, s[20:23], 0 offset:84 ; 4-byte Folded Spill
	buffer_store_dword v107, off, s[20:23], 0 offset:88 ; 4-byte Folded Spill
	buffer_store_dword v108, off, s[20:23], 0 offset:92 ; 4-byte Folded Spill
	ds_read2_b64 v[99:102], v125 offset0:4 offset1:5
	buffer_load_dword v105, off, s[20:23], 0 offset:64 ; 4-byte Folded Reload
	buffer_load_dword v106, off, s[20:23], 0 offset:68 ; 4-byte Folded Reload
	buffer_load_dword v107, off, s[20:23], 0 offset:72 ; 4-byte Folded Reload
	buffer_load_dword v108, off, s[20:23], 0 offset:76 ; 4-byte Folded Reload
	s_waitcnt lgkmcnt(0)
	v_mul_f64 v[103:104], v[101:102], v[109:110]
	v_fma_f64 v[103:104], v[99:100], v[97:98], -v[103:104]
	v_mul_f64 v[99:100], v[99:100], v[109:110]
	v_fma_f64 v[99:100], v[101:102], v[97:98], v[99:100]
	s_waitcnt vmcnt(2)
	v_add_f64 v[105:106], v[105:106], -v[103:104]
	s_waitcnt vmcnt(0)
	v_add_f64 v[107:108], v[107:108], -v[99:100]
	buffer_store_dword v105, off, s[20:23], 0 offset:64 ; 4-byte Folded Spill
	s_nop 0
	buffer_store_dword v106, off, s[20:23], 0 offset:68 ; 4-byte Folded Spill
	buffer_store_dword v107, off, s[20:23], 0 offset:72 ; 4-byte Folded Spill
	buffer_store_dword v108, off, s[20:23], 0 offset:76 ; 4-byte Folded Spill
	;; [unrolled: 19-line block ×5, first 2 shown]
	ds_read2_b64 v[99:102], v125 offset0:12 offset1:13
	buffer_load_dword v105, off, s[20:23], 0 ; 4-byte Folded Reload
	buffer_load_dword v106, off, s[20:23], 0 offset:4 ; 4-byte Folded Reload
	buffer_load_dword v107, off, s[20:23], 0 offset:8 ; 4-byte Folded Reload
	;; [unrolled: 1-line block ×3, first 2 shown]
	s_waitcnt lgkmcnt(0)
	v_mul_f64 v[103:104], v[101:102], v[109:110]
	v_fma_f64 v[103:104], v[99:100], v[97:98], -v[103:104]
	v_mul_f64 v[99:100], v[99:100], v[109:110]
	v_fma_f64 v[99:100], v[101:102], v[97:98], v[99:100]
	s_waitcnt vmcnt(2)
	v_add_f64 v[105:106], v[105:106], -v[103:104]
	s_waitcnt vmcnt(0)
	v_add_f64 v[107:108], v[107:108], -v[99:100]
	buffer_store_dword v105, off, s[20:23], 0 ; 4-byte Folded Spill
	s_nop 0
	buffer_store_dword v106, off, s[20:23], 0 offset:4 ; 4-byte Folded Spill
	buffer_store_dword v107, off, s[20:23], 0 offset:8 ; 4-byte Folded Spill
	;; [unrolled: 1-line block ×3, first 2 shown]
	ds_read2_b64 v[99:102], v125 offset0:14 offset1:15
	v_mov_b32_e32 v108, v98
	v_mov_b32_e32 v107, v97
	s_waitcnt lgkmcnt(0)
	v_mul_f64 v[103:104], v[101:102], v[109:110]
	v_fma_f64 v[103:104], v[99:100], v[97:98], -v[103:104]
	v_mul_f64 v[99:100], v[99:100], v[109:110]
	v_add_f64 v[83:84], v[83:84], -v[103:104]
	v_fma_f64 v[99:100], v[101:102], v[97:98], v[99:100]
	v_add_f64 v[85:86], v[85:86], -v[99:100]
	ds_read2_b64 v[99:102], v125 offset0:16 offset1:17
	s_waitcnt lgkmcnt(0)
	v_mul_f64 v[103:104], v[101:102], v[109:110]
	v_fma_f64 v[103:104], v[99:100], v[97:98], -v[103:104]
	v_mul_f64 v[99:100], v[99:100], v[109:110]
	v_add_f64 v[77:78], v[77:78], -v[103:104]
	v_fma_f64 v[99:100], v[101:102], v[97:98], v[99:100]
	v_add_f64 v[79:80], v[79:80], -v[99:100]
	ds_read2_b64 v[99:102], v125 offset0:18 offset1:19
	;; [unrolled: 8-line block ×21, first 2 shown]
	s_waitcnt lgkmcnt(0)
	v_mul_f64 v[103:104], v[101:102], v[109:110]
	v_fma_f64 v[103:104], v[99:100], v[97:98], -v[103:104]
	v_mul_f64 v[99:100], v[99:100], v[109:110]
	buffer_store_dword v107, off, s[20:23], 0 offset:96 ; 4-byte Folded Spill
	s_nop 0
	buffer_store_dword v108, off, s[20:23], 0 offset:100 ; 4-byte Folded Spill
	buffer_store_dword v109, off, s[20:23], 0 offset:104 ; 4-byte Folded Spill
	;; [unrolled: 1-line block ×3, first 2 shown]
	v_add_f64 v[93:94], v[93:94], -v[103:104]
	v_fma_f64 v[99:100], v[101:102], v[97:98], v[99:100]
	v_add_f64 v[95:96], v[95:96], -v[99:100]
.LBB57_10:
	s_or_b64 exec, exec, s[4:5]
	v_cmp_eq_u32_e32 vcc, 1, v0
	s_waitcnt vmcnt(0)
	s_barrier
	s_and_saveexec_b64 s[4:5], vcc
	s_cbranch_execz .LBB57_17
; %bb.11:
	buffer_load_dword v97, off, s[20:23], 0 offset:80 ; 4-byte Folded Reload
	buffer_load_dword v98, off, s[20:23], 0 offset:84 ; 4-byte Folded Reload
	;; [unrolled: 1-line block ×4, first 2 shown]
	s_waitcnt vmcnt(0)
	ds_write2_b64 v127, v[97:98], v[99:100] offset1:1
	buffer_load_dword v97, off, s[20:23], 0 offset:64 ; 4-byte Folded Reload
	buffer_load_dword v98, off, s[20:23], 0 offset:68 ; 4-byte Folded Reload
	buffer_load_dword v99, off, s[20:23], 0 offset:72 ; 4-byte Folded Reload
	buffer_load_dword v100, off, s[20:23], 0 offset:76 ; 4-byte Folded Reload
	s_waitcnt vmcnt(0)
	ds_write2_b64 v125, v[97:98], v[99:100] offset0:4 offset1:5
	buffer_load_dword v97, off, s[20:23], 0 offset:48 ; 4-byte Folded Reload
	buffer_load_dword v98, off, s[20:23], 0 offset:52 ; 4-byte Folded Reload
	buffer_load_dword v99, off, s[20:23], 0 offset:56 ; 4-byte Folded Reload
	buffer_load_dword v100, off, s[20:23], 0 offset:60 ; 4-byte Folded Reload
	s_waitcnt vmcnt(0)
	ds_write2_b64 v125, v[97:98], v[99:100] offset0:6 offset1:7
	;; [unrolled: 6-line block ×4, first 2 shown]
	buffer_load_dword v97, off, s[20:23], 0 ; 4-byte Folded Reload
	buffer_load_dword v98, off, s[20:23], 0 offset:4 ; 4-byte Folded Reload
	buffer_load_dword v99, off, s[20:23], 0 offset:8 ; 4-byte Folded Reload
	;; [unrolled: 1-line block ×3, first 2 shown]
	s_waitcnt vmcnt(0)
	ds_write2_b64 v125, v[97:98], v[99:100] offset0:12 offset1:13
	ds_write2_b64 v125, v[83:84], v[85:86] offset0:14 offset1:15
	;; [unrolled: 1-line block ×23, first 2 shown]
	ds_read2_b64 v[97:100], v127 offset1:1
	s_waitcnt lgkmcnt(0)
	v_cmp_neq_f64_e32 vcc, 0, v[97:98]
	v_cmp_neq_f64_e64 s[2:3], 0, v[99:100]
	s_or_b64 s[2:3], vcc, s[2:3]
	s_and_b64 exec, exec, s[2:3]
	s_cbranch_execz .LBB57_17
; %bb.12:
	v_cmp_ngt_f64_e64 s[2:3], |v[97:98]|, |v[99:100]|
                                        ; implicit-def: $vgpr101_vgpr102
	s_and_saveexec_b64 s[6:7], s[2:3]
	s_xor_b64 s[2:3], exec, s[6:7]
                                        ; implicit-def: $vgpr103_vgpr104
	s_cbranch_execz .LBB57_14
; %bb.13:
	v_div_scale_f64 v[101:102], s[6:7], v[99:100], v[99:100], v[97:98]
	v_rcp_f64_e32 v[103:104], v[101:102]
	v_fma_f64 v[105:106], -v[101:102], v[103:104], 1.0
	v_fma_f64 v[103:104], v[103:104], v[105:106], v[103:104]
	v_div_scale_f64 v[105:106], vcc, v[97:98], v[99:100], v[97:98]
	v_fma_f64 v[107:108], -v[101:102], v[103:104], 1.0
	v_fma_f64 v[103:104], v[103:104], v[107:108], v[103:104]
	v_mul_f64 v[107:108], v[105:106], v[103:104]
	v_fma_f64 v[101:102], -v[101:102], v[107:108], v[105:106]
	v_div_fmas_f64 v[101:102], v[101:102], v[103:104], v[107:108]
	v_div_fixup_f64 v[101:102], v[101:102], v[99:100], v[97:98]
	v_fma_f64 v[97:98], v[97:98], v[101:102], v[99:100]
	v_div_scale_f64 v[99:100], s[6:7], v[97:98], v[97:98], 1.0
	v_div_scale_f64 v[107:108], vcc, 1.0, v[97:98], 1.0
	v_rcp_f64_e32 v[103:104], v[99:100]
	v_fma_f64 v[105:106], -v[99:100], v[103:104], 1.0
	v_fma_f64 v[103:104], v[103:104], v[105:106], v[103:104]
	v_fma_f64 v[105:106], -v[99:100], v[103:104], 1.0
	v_fma_f64 v[103:104], v[103:104], v[105:106], v[103:104]
	v_mul_f64 v[105:106], v[107:108], v[103:104]
	v_fma_f64 v[99:100], -v[99:100], v[105:106], v[107:108]
	v_div_fmas_f64 v[99:100], v[99:100], v[103:104], v[105:106]
	v_div_fixup_f64 v[103:104], v[99:100], v[97:98], 1.0
                                        ; implicit-def: $vgpr97_vgpr98
	v_mul_f64 v[101:102], v[101:102], v[103:104]
	v_xor_b32_e32 v104, 0x80000000, v104
.LBB57_14:
	s_andn2_saveexec_b64 s[2:3], s[2:3]
	s_cbranch_execz .LBB57_16
; %bb.15:
	v_div_scale_f64 v[101:102], s[6:7], v[97:98], v[97:98], v[99:100]
	v_rcp_f64_e32 v[103:104], v[101:102]
	v_fma_f64 v[105:106], -v[101:102], v[103:104], 1.0
	v_fma_f64 v[103:104], v[103:104], v[105:106], v[103:104]
	v_div_scale_f64 v[105:106], vcc, v[99:100], v[97:98], v[99:100]
	v_fma_f64 v[107:108], -v[101:102], v[103:104], 1.0
	v_fma_f64 v[103:104], v[103:104], v[107:108], v[103:104]
	v_mul_f64 v[107:108], v[105:106], v[103:104]
	v_fma_f64 v[101:102], -v[101:102], v[107:108], v[105:106]
	v_div_fmas_f64 v[101:102], v[101:102], v[103:104], v[107:108]
	v_div_fixup_f64 v[103:104], v[101:102], v[97:98], v[99:100]
	v_fma_f64 v[97:98], v[99:100], v[103:104], v[97:98]
	v_div_scale_f64 v[99:100], s[6:7], v[97:98], v[97:98], 1.0
	v_div_scale_f64 v[107:108], vcc, 1.0, v[97:98], 1.0
	v_rcp_f64_e32 v[101:102], v[99:100]
	v_fma_f64 v[105:106], -v[99:100], v[101:102], 1.0
	v_fma_f64 v[101:102], v[101:102], v[105:106], v[101:102]
	v_fma_f64 v[105:106], -v[99:100], v[101:102], 1.0
	v_fma_f64 v[101:102], v[101:102], v[105:106], v[101:102]
	v_mul_f64 v[105:106], v[107:108], v[101:102]
	v_fma_f64 v[99:100], -v[99:100], v[105:106], v[107:108]
	v_div_fmas_f64 v[99:100], v[99:100], v[101:102], v[105:106]
	v_div_fixup_f64 v[101:102], v[99:100], v[97:98], 1.0
	v_mul_f64 v[103:104], v[103:104], -v[101:102]
.LBB57_16:
	s_or_b64 exec, exec, s[2:3]
	ds_write2_b64 v127, v[101:102], v[103:104] offset1:1
.LBB57_17:
	s_or_b64 exec, exec, s[4:5]
	s_waitcnt lgkmcnt(0)
	s_barrier
	ds_read2_b64 v[97:100], v127 offset1:1
	v_cmp_lt_u32_e32 vcc, 1, v0
	s_waitcnt lgkmcnt(0)
	buffer_store_dword v97, off, s[20:23], 0 offset:344 ; 4-byte Folded Spill
	s_nop 0
	buffer_store_dword v98, off, s[20:23], 0 offset:348 ; 4-byte Folded Spill
	buffer_store_dword v99, off, s[20:23], 0 offset:352 ; 4-byte Folded Spill
	;; [unrolled: 1-line block ×3, first 2 shown]
	s_and_saveexec_b64 s[2:3], vcc
	s_cbranch_execz .LBB57_19
; %bb.18:
	buffer_load_dword v107, off, s[20:23], 0 offset:80 ; 4-byte Folded Reload
	buffer_load_dword v108, off, s[20:23], 0 offset:84 ; 4-byte Folded Reload
	;; [unrolled: 1-line block ×8, first 2 shown]
	s_waitcnt vmcnt(0)
	v_mul_f64 v[97:98], v[101:102], v[109:110]
	v_fma_f64 v[97:98], v[99:100], v[107:108], -v[97:98]
	v_mul_f64 v[99:100], v[99:100], v[109:110]
	v_fma_f64 v[109:110], v[101:102], v[107:108], v[99:100]
	ds_read2_b64 v[99:102], v125 offset0:4 offset1:5
	buffer_load_dword v105, off, s[20:23], 0 offset:64 ; 4-byte Folded Reload
	buffer_load_dword v106, off, s[20:23], 0 offset:68 ; 4-byte Folded Reload
	buffer_load_dword v107, off, s[20:23], 0 offset:72 ; 4-byte Folded Reload
	buffer_load_dword v108, off, s[20:23], 0 offset:76 ; 4-byte Folded Reload
	s_waitcnt lgkmcnt(0)
	v_mul_f64 v[103:104], v[101:102], v[109:110]
	v_fma_f64 v[103:104], v[99:100], v[97:98], -v[103:104]
	v_mul_f64 v[99:100], v[99:100], v[109:110]
	v_fma_f64 v[99:100], v[101:102], v[97:98], v[99:100]
	s_waitcnt vmcnt(2)
	v_add_f64 v[105:106], v[105:106], -v[103:104]
	s_waitcnt vmcnt(0)
	v_add_f64 v[107:108], v[107:108], -v[99:100]
	buffer_store_dword v105, off, s[20:23], 0 offset:64 ; 4-byte Folded Spill
	s_nop 0
	buffer_store_dword v106, off, s[20:23], 0 offset:68 ; 4-byte Folded Spill
	buffer_store_dword v107, off, s[20:23], 0 offset:72 ; 4-byte Folded Spill
	buffer_store_dword v108, off, s[20:23], 0 offset:76 ; 4-byte Folded Spill
	ds_read2_b64 v[99:102], v125 offset0:6 offset1:7
	buffer_load_dword v105, off, s[20:23], 0 offset:48 ; 4-byte Folded Reload
	buffer_load_dword v106, off, s[20:23], 0 offset:52 ; 4-byte Folded Reload
	buffer_load_dword v107, off, s[20:23], 0 offset:56 ; 4-byte Folded Reload
	buffer_load_dword v108, off, s[20:23], 0 offset:60 ; 4-byte Folded Reload
	s_waitcnt lgkmcnt(0)
	v_mul_f64 v[103:104], v[101:102], v[109:110]
	v_fma_f64 v[103:104], v[99:100], v[97:98], -v[103:104]
	v_mul_f64 v[99:100], v[99:100], v[109:110]
	v_fma_f64 v[99:100], v[101:102], v[97:98], v[99:100]
	s_waitcnt vmcnt(2)
	v_add_f64 v[105:106], v[105:106], -v[103:104]
	s_waitcnt vmcnt(0)
	v_add_f64 v[107:108], v[107:108], -v[99:100]
	buffer_store_dword v105, off, s[20:23], 0 offset:48 ; 4-byte Folded Spill
	s_nop 0
	buffer_store_dword v106, off, s[20:23], 0 offset:52 ; 4-byte Folded Spill
	buffer_store_dword v107, off, s[20:23], 0 offset:56 ; 4-byte Folded Spill
	buffer_store_dword v108, off, s[20:23], 0 offset:60 ; 4-byte Folded Spill
	ds_read2_b64 v[99:102], v125 offset0:8 offset1:9
	buffer_load_dword v105, off, s[20:23], 0 offset:32 ; 4-byte Folded Reload
	buffer_load_dword v106, off, s[20:23], 0 offset:36 ; 4-byte Folded Reload
	buffer_load_dword v107, off, s[20:23], 0 offset:40 ; 4-byte Folded Reload
	buffer_load_dword v108, off, s[20:23], 0 offset:44 ; 4-byte Folded Reload
	s_waitcnt lgkmcnt(0)
	v_mul_f64 v[103:104], v[101:102], v[109:110]
	v_fma_f64 v[103:104], v[99:100], v[97:98], -v[103:104]
	v_mul_f64 v[99:100], v[99:100], v[109:110]
	v_fma_f64 v[99:100], v[101:102], v[97:98], v[99:100]
	s_waitcnt vmcnt(2)
	v_add_f64 v[105:106], v[105:106], -v[103:104]
	s_waitcnt vmcnt(0)
	v_add_f64 v[107:108], v[107:108], -v[99:100]
	buffer_store_dword v105, off, s[20:23], 0 offset:32 ; 4-byte Folded Spill
	s_nop 0
	buffer_store_dword v106, off, s[20:23], 0 offset:36 ; 4-byte Folded Spill
	buffer_store_dword v107, off, s[20:23], 0 offset:40 ; 4-byte Folded Spill
	buffer_store_dword v108, off, s[20:23], 0 offset:44 ; 4-byte Folded Spill
	ds_read2_b64 v[99:102], v125 offset0:10 offset1:11
	buffer_load_dword v105, off, s[20:23], 0 offset:16 ; 4-byte Folded Reload
	buffer_load_dword v106, off, s[20:23], 0 offset:20 ; 4-byte Folded Reload
	buffer_load_dword v107, off, s[20:23], 0 offset:24 ; 4-byte Folded Reload
	buffer_load_dword v108, off, s[20:23], 0 offset:28 ; 4-byte Folded Reload
	s_waitcnt lgkmcnt(0)
	v_mul_f64 v[103:104], v[101:102], v[109:110]
	v_fma_f64 v[103:104], v[99:100], v[97:98], -v[103:104]
	v_mul_f64 v[99:100], v[99:100], v[109:110]
	v_fma_f64 v[99:100], v[101:102], v[97:98], v[99:100]
	s_waitcnt vmcnt(2)
	v_add_f64 v[105:106], v[105:106], -v[103:104]
	s_waitcnt vmcnt(0)
	v_add_f64 v[107:108], v[107:108], -v[99:100]
	buffer_store_dword v105, off, s[20:23], 0 offset:16 ; 4-byte Folded Spill
	s_nop 0
	buffer_store_dword v106, off, s[20:23], 0 offset:20 ; 4-byte Folded Spill
	buffer_store_dword v107, off, s[20:23], 0 offset:24 ; 4-byte Folded Spill
	buffer_store_dword v108, off, s[20:23], 0 offset:28 ; 4-byte Folded Spill
	ds_read2_b64 v[99:102], v125 offset0:12 offset1:13
	buffer_load_dword v105, off, s[20:23], 0 ; 4-byte Folded Reload
	buffer_load_dword v106, off, s[20:23], 0 offset:4 ; 4-byte Folded Reload
	buffer_load_dword v107, off, s[20:23], 0 offset:8 ; 4-byte Folded Reload
	;; [unrolled: 1-line block ×3, first 2 shown]
	s_waitcnt lgkmcnt(0)
	v_mul_f64 v[103:104], v[101:102], v[109:110]
	v_fma_f64 v[103:104], v[99:100], v[97:98], -v[103:104]
	v_mul_f64 v[99:100], v[99:100], v[109:110]
	v_fma_f64 v[99:100], v[101:102], v[97:98], v[99:100]
	s_waitcnt vmcnt(2)
	v_add_f64 v[105:106], v[105:106], -v[103:104]
	s_waitcnt vmcnt(0)
	v_add_f64 v[107:108], v[107:108], -v[99:100]
	buffer_store_dword v105, off, s[20:23], 0 ; 4-byte Folded Spill
	s_nop 0
	buffer_store_dword v106, off, s[20:23], 0 offset:4 ; 4-byte Folded Spill
	buffer_store_dword v107, off, s[20:23], 0 offset:8 ; 4-byte Folded Spill
	;; [unrolled: 1-line block ×3, first 2 shown]
	ds_read2_b64 v[99:102], v125 offset0:14 offset1:15
	v_mov_b32_e32 v108, v98
	v_mov_b32_e32 v107, v97
	s_waitcnt lgkmcnt(0)
	v_mul_f64 v[103:104], v[101:102], v[109:110]
	v_fma_f64 v[103:104], v[99:100], v[97:98], -v[103:104]
	v_mul_f64 v[99:100], v[99:100], v[109:110]
	v_add_f64 v[83:84], v[83:84], -v[103:104]
	v_fma_f64 v[99:100], v[101:102], v[97:98], v[99:100]
	v_add_f64 v[85:86], v[85:86], -v[99:100]
	ds_read2_b64 v[99:102], v125 offset0:16 offset1:17
	s_waitcnt lgkmcnt(0)
	v_mul_f64 v[103:104], v[101:102], v[109:110]
	v_fma_f64 v[103:104], v[99:100], v[97:98], -v[103:104]
	v_mul_f64 v[99:100], v[99:100], v[109:110]
	v_add_f64 v[77:78], v[77:78], -v[103:104]
	v_fma_f64 v[99:100], v[101:102], v[97:98], v[99:100]
	v_add_f64 v[79:80], v[79:80], -v[99:100]
	ds_read2_b64 v[99:102], v125 offset0:18 offset1:19
	;; [unrolled: 8-line block ×21, first 2 shown]
	s_waitcnt lgkmcnt(0)
	v_mul_f64 v[103:104], v[101:102], v[109:110]
	v_fma_f64 v[103:104], v[99:100], v[97:98], -v[103:104]
	v_mul_f64 v[99:100], v[99:100], v[109:110]
	buffer_store_dword v107, off, s[20:23], 0 offset:80 ; 4-byte Folded Spill
	s_nop 0
	buffer_store_dword v108, off, s[20:23], 0 offset:84 ; 4-byte Folded Spill
	buffer_store_dword v109, off, s[20:23], 0 offset:88 ; 4-byte Folded Spill
	;; [unrolled: 1-line block ×3, first 2 shown]
	v_add_f64 v[93:94], v[93:94], -v[103:104]
	v_fma_f64 v[99:100], v[101:102], v[97:98], v[99:100]
	v_add_f64 v[95:96], v[95:96], -v[99:100]
.LBB57_19:
	s_or_b64 exec, exec, s[2:3]
	v_cmp_eq_u32_e32 vcc, 2, v0
	s_waitcnt vmcnt(0)
	s_barrier
	s_and_saveexec_b64 s[4:5], vcc
	s_cbranch_execz .LBB57_26
; %bb.20:
	buffer_load_dword v97, off, s[20:23], 0 offset:64 ; 4-byte Folded Reload
	buffer_load_dword v98, off, s[20:23], 0 offset:68 ; 4-byte Folded Reload
	;; [unrolled: 1-line block ×4, first 2 shown]
	s_waitcnt vmcnt(0)
	ds_write2_b64 v127, v[97:98], v[99:100] offset1:1
	buffer_load_dword v97, off, s[20:23], 0 offset:48 ; 4-byte Folded Reload
	buffer_load_dword v98, off, s[20:23], 0 offset:52 ; 4-byte Folded Reload
	buffer_load_dword v99, off, s[20:23], 0 offset:56 ; 4-byte Folded Reload
	buffer_load_dword v100, off, s[20:23], 0 offset:60 ; 4-byte Folded Reload
	s_waitcnt vmcnt(0)
	ds_write2_b64 v125, v[97:98], v[99:100] offset0:6 offset1:7
	buffer_load_dword v97, off, s[20:23], 0 offset:32 ; 4-byte Folded Reload
	buffer_load_dword v98, off, s[20:23], 0 offset:36 ; 4-byte Folded Reload
	buffer_load_dword v99, off, s[20:23], 0 offset:40 ; 4-byte Folded Reload
	buffer_load_dword v100, off, s[20:23], 0 offset:44 ; 4-byte Folded Reload
	s_waitcnt vmcnt(0)
	ds_write2_b64 v125, v[97:98], v[99:100] offset0:8 offset1:9
	;; [unrolled: 6-line block ×3, first 2 shown]
	buffer_load_dword v97, off, s[20:23], 0 ; 4-byte Folded Reload
	buffer_load_dword v98, off, s[20:23], 0 offset:4 ; 4-byte Folded Reload
	buffer_load_dword v99, off, s[20:23], 0 offset:8 ; 4-byte Folded Reload
	;; [unrolled: 1-line block ×3, first 2 shown]
	s_waitcnt vmcnt(0)
	ds_write2_b64 v125, v[97:98], v[99:100] offset0:12 offset1:13
	ds_write2_b64 v125, v[83:84], v[85:86] offset0:14 offset1:15
	;; [unrolled: 1-line block ×23, first 2 shown]
	ds_read2_b64 v[97:100], v127 offset1:1
	s_waitcnt lgkmcnt(0)
	v_cmp_neq_f64_e32 vcc, 0, v[97:98]
	v_cmp_neq_f64_e64 s[2:3], 0, v[99:100]
	s_or_b64 s[2:3], vcc, s[2:3]
	s_and_b64 exec, exec, s[2:3]
	s_cbranch_execz .LBB57_26
; %bb.21:
	v_cmp_ngt_f64_e64 s[2:3], |v[97:98]|, |v[99:100]|
                                        ; implicit-def: $vgpr101_vgpr102
	s_and_saveexec_b64 s[6:7], s[2:3]
	s_xor_b64 s[2:3], exec, s[6:7]
                                        ; implicit-def: $vgpr103_vgpr104
	s_cbranch_execz .LBB57_23
; %bb.22:
	v_div_scale_f64 v[101:102], s[6:7], v[99:100], v[99:100], v[97:98]
	v_rcp_f64_e32 v[103:104], v[101:102]
	v_fma_f64 v[105:106], -v[101:102], v[103:104], 1.0
	v_fma_f64 v[103:104], v[103:104], v[105:106], v[103:104]
	v_div_scale_f64 v[105:106], vcc, v[97:98], v[99:100], v[97:98]
	v_fma_f64 v[107:108], -v[101:102], v[103:104], 1.0
	v_fma_f64 v[103:104], v[103:104], v[107:108], v[103:104]
	v_mul_f64 v[107:108], v[105:106], v[103:104]
	v_fma_f64 v[101:102], -v[101:102], v[107:108], v[105:106]
	v_div_fmas_f64 v[101:102], v[101:102], v[103:104], v[107:108]
	v_div_fixup_f64 v[101:102], v[101:102], v[99:100], v[97:98]
	v_fma_f64 v[97:98], v[97:98], v[101:102], v[99:100]
	v_div_scale_f64 v[99:100], s[6:7], v[97:98], v[97:98], 1.0
	v_div_scale_f64 v[107:108], vcc, 1.0, v[97:98], 1.0
	v_rcp_f64_e32 v[103:104], v[99:100]
	v_fma_f64 v[105:106], -v[99:100], v[103:104], 1.0
	v_fma_f64 v[103:104], v[103:104], v[105:106], v[103:104]
	v_fma_f64 v[105:106], -v[99:100], v[103:104], 1.0
	v_fma_f64 v[103:104], v[103:104], v[105:106], v[103:104]
	v_mul_f64 v[105:106], v[107:108], v[103:104]
	v_fma_f64 v[99:100], -v[99:100], v[105:106], v[107:108]
	v_div_fmas_f64 v[99:100], v[99:100], v[103:104], v[105:106]
	v_div_fixup_f64 v[103:104], v[99:100], v[97:98], 1.0
                                        ; implicit-def: $vgpr97_vgpr98
	v_mul_f64 v[101:102], v[101:102], v[103:104]
	v_xor_b32_e32 v104, 0x80000000, v104
.LBB57_23:
	s_andn2_saveexec_b64 s[2:3], s[2:3]
	s_cbranch_execz .LBB57_25
; %bb.24:
	v_div_scale_f64 v[101:102], s[6:7], v[97:98], v[97:98], v[99:100]
	v_rcp_f64_e32 v[103:104], v[101:102]
	v_fma_f64 v[105:106], -v[101:102], v[103:104], 1.0
	v_fma_f64 v[103:104], v[103:104], v[105:106], v[103:104]
	v_div_scale_f64 v[105:106], vcc, v[99:100], v[97:98], v[99:100]
	v_fma_f64 v[107:108], -v[101:102], v[103:104], 1.0
	v_fma_f64 v[103:104], v[103:104], v[107:108], v[103:104]
	v_mul_f64 v[107:108], v[105:106], v[103:104]
	v_fma_f64 v[101:102], -v[101:102], v[107:108], v[105:106]
	v_div_fmas_f64 v[101:102], v[101:102], v[103:104], v[107:108]
	v_div_fixup_f64 v[103:104], v[101:102], v[97:98], v[99:100]
	v_fma_f64 v[97:98], v[99:100], v[103:104], v[97:98]
	v_div_scale_f64 v[99:100], s[6:7], v[97:98], v[97:98], 1.0
	v_div_scale_f64 v[107:108], vcc, 1.0, v[97:98], 1.0
	v_rcp_f64_e32 v[101:102], v[99:100]
	v_fma_f64 v[105:106], -v[99:100], v[101:102], 1.0
	v_fma_f64 v[101:102], v[101:102], v[105:106], v[101:102]
	v_fma_f64 v[105:106], -v[99:100], v[101:102], 1.0
	v_fma_f64 v[101:102], v[101:102], v[105:106], v[101:102]
	v_mul_f64 v[105:106], v[107:108], v[101:102]
	v_fma_f64 v[99:100], -v[99:100], v[105:106], v[107:108]
	v_div_fmas_f64 v[99:100], v[99:100], v[101:102], v[105:106]
	v_div_fixup_f64 v[101:102], v[99:100], v[97:98], 1.0
	v_mul_f64 v[103:104], v[103:104], -v[101:102]
.LBB57_25:
	s_or_b64 exec, exec, s[2:3]
	ds_write2_b64 v127, v[101:102], v[103:104] offset1:1
.LBB57_26:
	s_or_b64 exec, exec, s[4:5]
	s_waitcnt lgkmcnt(0)
	s_barrier
	ds_read2_b64 v[97:100], v127 offset1:1
	v_cmp_lt_u32_e32 vcc, 2, v0
	s_waitcnt lgkmcnt(0)
	buffer_store_dword v97, off, s[20:23], 0 offset:360 ; 4-byte Folded Spill
	s_nop 0
	buffer_store_dword v98, off, s[20:23], 0 offset:364 ; 4-byte Folded Spill
	buffer_store_dword v99, off, s[20:23], 0 offset:368 ; 4-byte Folded Spill
	;; [unrolled: 1-line block ×3, first 2 shown]
	s_and_saveexec_b64 s[2:3], vcc
	s_cbranch_execz .LBB57_28
; %bb.27:
	buffer_load_dword v107, off, s[20:23], 0 offset:64 ; 4-byte Folded Reload
	buffer_load_dword v108, off, s[20:23], 0 offset:68 ; 4-byte Folded Reload
	;; [unrolled: 1-line block ×8, first 2 shown]
	s_waitcnt vmcnt(0)
	v_mul_f64 v[97:98], v[101:102], v[109:110]
	v_fma_f64 v[97:98], v[99:100], v[107:108], -v[97:98]
	v_mul_f64 v[99:100], v[99:100], v[109:110]
	v_fma_f64 v[109:110], v[101:102], v[107:108], v[99:100]
	ds_read2_b64 v[99:102], v125 offset0:6 offset1:7
	buffer_load_dword v105, off, s[20:23], 0 offset:48 ; 4-byte Folded Reload
	buffer_load_dword v106, off, s[20:23], 0 offset:52 ; 4-byte Folded Reload
	buffer_load_dword v107, off, s[20:23], 0 offset:56 ; 4-byte Folded Reload
	buffer_load_dword v108, off, s[20:23], 0 offset:60 ; 4-byte Folded Reload
	s_waitcnt lgkmcnt(0)
	v_mul_f64 v[103:104], v[101:102], v[109:110]
	v_fma_f64 v[103:104], v[99:100], v[97:98], -v[103:104]
	v_mul_f64 v[99:100], v[99:100], v[109:110]
	v_fma_f64 v[99:100], v[101:102], v[97:98], v[99:100]
	s_waitcnt vmcnt(2)
	v_add_f64 v[105:106], v[105:106], -v[103:104]
	s_waitcnt vmcnt(0)
	v_add_f64 v[107:108], v[107:108], -v[99:100]
	buffer_store_dword v105, off, s[20:23], 0 offset:48 ; 4-byte Folded Spill
	s_nop 0
	buffer_store_dword v106, off, s[20:23], 0 offset:52 ; 4-byte Folded Spill
	buffer_store_dword v107, off, s[20:23], 0 offset:56 ; 4-byte Folded Spill
	buffer_store_dword v108, off, s[20:23], 0 offset:60 ; 4-byte Folded Spill
	ds_read2_b64 v[99:102], v125 offset0:8 offset1:9
	buffer_load_dword v105, off, s[20:23], 0 offset:32 ; 4-byte Folded Reload
	buffer_load_dword v106, off, s[20:23], 0 offset:36 ; 4-byte Folded Reload
	buffer_load_dword v107, off, s[20:23], 0 offset:40 ; 4-byte Folded Reload
	buffer_load_dword v108, off, s[20:23], 0 offset:44 ; 4-byte Folded Reload
	s_waitcnt lgkmcnt(0)
	v_mul_f64 v[103:104], v[101:102], v[109:110]
	v_fma_f64 v[103:104], v[99:100], v[97:98], -v[103:104]
	v_mul_f64 v[99:100], v[99:100], v[109:110]
	v_fma_f64 v[99:100], v[101:102], v[97:98], v[99:100]
	s_waitcnt vmcnt(2)
	v_add_f64 v[105:106], v[105:106], -v[103:104]
	s_waitcnt vmcnt(0)
	v_add_f64 v[107:108], v[107:108], -v[99:100]
	buffer_store_dword v105, off, s[20:23], 0 offset:32 ; 4-byte Folded Spill
	s_nop 0
	buffer_store_dword v106, off, s[20:23], 0 offset:36 ; 4-byte Folded Spill
	buffer_store_dword v107, off, s[20:23], 0 offset:40 ; 4-byte Folded Spill
	buffer_store_dword v108, off, s[20:23], 0 offset:44 ; 4-byte Folded Spill
	;; [unrolled: 19-line block ×3, first 2 shown]
	ds_read2_b64 v[99:102], v125 offset0:12 offset1:13
	buffer_load_dword v105, off, s[20:23], 0 ; 4-byte Folded Reload
	buffer_load_dword v106, off, s[20:23], 0 offset:4 ; 4-byte Folded Reload
	buffer_load_dword v107, off, s[20:23], 0 offset:8 ; 4-byte Folded Reload
	;; [unrolled: 1-line block ×3, first 2 shown]
	s_waitcnt lgkmcnt(0)
	v_mul_f64 v[103:104], v[101:102], v[109:110]
	v_fma_f64 v[103:104], v[99:100], v[97:98], -v[103:104]
	v_mul_f64 v[99:100], v[99:100], v[109:110]
	v_fma_f64 v[99:100], v[101:102], v[97:98], v[99:100]
	s_waitcnt vmcnt(2)
	v_add_f64 v[105:106], v[105:106], -v[103:104]
	s_waitcnt vmcnt(0)
	v_add_f64 v[107:108], v[107:108], -v[99:100]
	buffer_store_dword v105, off, s[20:23], 0 ; 4-byte Folded Spill
	s_nop 0
	buffer_store_dword v106, off, s[20:23], 0 offset:4 ; 4-byte Folded Spill
	buffer_store_dword v107, off, s[20:23], 0 offset:8 ; 4-byte Folded Spill
	;; [unrolled: 1-line block ×3, first 2 shown]
	ds_read2_b64 v[99:102], v125 offset0:14 offset1:15
	v_mov_b32_e32 v108, v98
	v_mov_b32_e32 v107, v97
	s_waitcnt lgkmcnt(0)
	v_mul_f64 v[103:104], v[101:102], v[109:110]
	v_fma_f64 v[103:104], v[99:100], v[97:98], -v[103:104]
	v_mul_f64 v[99:100], v[99:100], v[109:110]
	v_add_f64 v[83:84], v[83:84], -v[103:104]
	v_fma_f64 v[99:100], v[101:102], v[97:98], v[99:100]
	v_add_f64 v[85:86], v[85:86], -v[99:100]
	ds_read2_b64 v[99:102], v125 offset0:16 offset1:17
	s_waitcnt lgkmcnt(0)
	v_mul_f64 v[103:104], v[101:102], v[109:110]
	v_fma_f64 v[103:104], v[99:100], v[97:98], -v[103:104]
	v_mul_f64 v[99:100], v[99:100], v[109:110]
	v_add_f64 v[77:78], v[77:78], -v[103:104]
	v_fma_f64 v[99:100], v[101:102], v[97:98], v[99:100]
	v_add_f64 v[79:80], v[79:80], -v[99:100]
	ds_read2_b64 v[99:102], v125 offset0:18 offset1:19
	;; [unrolled: 8-line block ×21, first 2 shown]
	s_waitcnt lgkmcnt(0)
	v_mul_f64 v[103:104], v[101:102], v[109:110]
	v_fma_f64 v[103:104], v[99:100], v[97:98], -v[103:104]
	v_mul_f64 v[99:100], v[99:100], v[109:110]
	buffer_store_dword v107, off, s[20:23], 0 offset:64 ; 4-byte Folded Spill
	s_nop 0
	buffer_store_dword v108, off, s[20:23], 0 offset:68 ; 4-byte Folded Spill
	buffer_store_dword v109, off, s[20:23], 0 offset:72 ; 4-byte Folded Spill
	;; [unrolled: 1-line block ×3, first 2 shown]
	v_add_f64 v[93:94], v[93:94], -v[103:104]
	v_fma_f64 v[99:100], v[101:102], v[97:98], v[99:100]
	v_add_f64 v[95:96], v[95:96], -v[99:100]
.LBB57_28:
	s_or_b64 exec, exec, s[2:3]
	v_cmp_eq_u32_e32 vcc, 3, v0
	s_waitcnt vmcnt(0)
	s_barrier
	s_and_saveexec_b64 s[4:5], vcc
	s_cbranch_execz .LBB57_35
; %bb.29:
	buffer_load_dword v97, off, s[20:23], 0 offset:48 ; 4-byte Folded Reload
	buffer_load_dword v98, off, s[20:23], 0 offset:52 ; 4-byte Folded Reload
	;; [unrolled: 1-line block ×4, first 2 shown]
	s_waitcnt vmcnt(0)
	ds_write2_b64 v127, v[97:98], v[99:100] offset1:1
	buffer_load_dword v97, off, s[20:23], 0 offset:32 ; 4-byte Folded Reload
	buffer_load_dword v98, off, s[20:23], 0 offset:36 ; 4-byte Folded Reload
	;; [unrolled: 1-line block ×4, first 2 shown]
	s_waitcnt vmcnt(0)
	ds_write2_b64 v125, v[97:98], v[99:100] offset0:8 offset1:9
	buffer_load_dword v97, off, s[20:23], 0 offset:16 ; 4-byte Folded Reload
	buffer_load_dword v98, off, s[20:23], 0 offset:20 ; 4-byte Folded Reload
	;; [unrolled: 1-line block ×4, first 2 shown]
	s_waitcnt vmcnt(0)
	ds_write2_b64 v125, v[97:98], v[99:100] offset0:10 offset1:11
	buffer_load_dword v97, off, s[20:23], 0 ; 4-byte Folded Reload
	buffer_load_dword v98, off, s[20:23], 0 offset:4 ; 4-byte Folded Reload
	buffer_load_dword v99, off, s[20:23], 0 offset:8 ; 4-byte Folded Reload
	;; [unrolled: 1-line block ×3, first 2 shown]
	s_waitcnt vmcnt(0)
	ds_write2_b64 v125, v[97:98], v[99:100] offset0:12 offset1:13
	ds_write2_b64 v125, v[83:84], v[85:86] offset0:14 offset1:15
	;; [unrolled: 1-line block ×23, first 2 shown]
	ds_read2_b64 v[97:100], v127 offset1:1
	s_waitcnt lgkmcnt(0)
	v_cmp_neq_f64_e32 vcc, 0, v[97:98]
	v_cmp_neq_f64_e64 s[2:3], 0, v[99:100]
	s_or_b64 s[2:3], vcc, s[2:3]
	s_and_b64 exec, exec, s[2:3]
	s_cbranch_execz .LBB57_35
; %bb.30:
	v_cmp_ngt_f64_e64 s[2:3], |v[97:98]|, |v[99:100]|
                                        ; implicit-def: $vgpr101_vgpr102
	s_and_saveexec_b64 s[6:7], s[2:3]
	s_xor_b64 s[2:3], exec, s[6:7]
                                        ; implicit-def: $vgpr103_vgpr104
	s_cbranch_execz .LBB57_32
; %bb.31:
	v_div_scale_f64 v[101:102], s[6:7], v[99:100], v[99:100], v[97:98]
	v_rcp_f64_e32 v[103:104], v[101:102]
	v_fma_f64 v[105:106], -v[101:102], v[103:104], 1.0
	v_fma_f64 v[103:104], v[103:104], v[105:106], v[103:104]
	v_div_scale_f64 v[105:106], vcc, v[97:98], v[99:100], v[97:98]
	v_fma_f64 v[107:108], -v[101:102], v[103:104], 1.0
	v_fma_f64 v[103:104], v[103:104], v[107:108], v[103:104]
	v_mul_f64 v[107:108], v[105:106], v[103:104]
	v_fma_f64 v[101:102], -v[101:102], v[107:108], v[105:106]
	v_div_fmas_f64 v[101:102], v[101:102], v[103:104], v[107:108]
	v_div_fixup_f64 v[101:102], v[101:102], v[99:100], v[97:98]
	v_fma_f64 v[97:98], v[97:98], v[101:102], v[99:100]
	v_div_scale_f64 v[99:100], s[6:7], v[97:98], v[97:98], 1.0
	v_div_scale_f64 v[107:108], vcc, 1.0, v[97:98], 1.0
	v_rcp_f64_e32 v[103:104], v[99:100]
	v_fma_f64 v[105:106], -v[99:100], v[103:104], 1.0
	v_fma_f64 v[103:104], v[103:104], v[105:106], v[103:104]
	v_fma_f64 v[105:106], -v[99:100], v[103:104], 1.0
	v_fma_f64 v[103:104], v[103:104], v[105:106], v[103:104]
	v_mul_f64 v[105:106], v[107:108], v[103:104]
	v_fma_f64 v[99:100], -v[99:100], v[105:106], v[107:108]
	v_div_fmas_f64 v[99:100], v[99:100], v[103:104], v[105:106]
	v_div_fixup_f64 v[103:104], v[99:100], v[97:98], 1.0
                                        ; implicit-def: $vgpr97_vgpr98
	v_mul_f64 v[101:102], v[101:102], v[103:104]
	v_xor_b32_e32 v104, 0x80000000, v104
.LBB57_32:
	s_andn2_saveexec_b64 s[2:3], s[2:3]
	s_cbranch_execz .LBB57_34
; %bb.33:
	v_div_scale_f64 v[101:102], s[6:7], v[97:98], v[97:98], v[99:100]
	v_rcp_f64_e32 v[103:104], v[101:102]
	v_fma_f64 v[105:106], -v[101:102], v[103:104], 1.0
	v_fma_f64 v[103:104], v[103:104], v[105:106], v[103:104]
	v_div_scale_f64 v[105:106], vcc, v[99:100], v[97:98], v[99:100]
	v_fma_f64 v[107:108], -v[101:102], v[103:104], 1.0
	v_fma_f64 v[103:104], v[103:104], v[107:108], v[103:104]
	v_mul_f64 v[107:108], v[105:106], v[103:104]
	v_fma_f64 v[101:102], -v[101:102], v[107:108], v[105:106]
	v_div_fmas_f64 v[101:102], v[101:102], v[103:104], v[107:108]
	v_div_fixup_f64 v[103:104], v[101:102], v[97:98], v[99:100]
	v_fma_f64 v[97:98], v[99:100], v[103:104], v[97:98]
	v_div_scale_f64 v[99:100], s[6:7], v[97:98], v[97:98], 1.0
	v_div_scale_f64 v[107:108], vcc, 1.0, v[97:98], 1.0
	v_rcp_f64_e32 v[101:102], v[99:100]
	v_fma_f64 v[105:106], -v[99:100], v[101:102], 1.0
	v_fma_f64 v[101:102], v[101:102], v[105:106], v[101:102]
	v_fma_f64 v[105:106], -v[99:100], v[101:102], 1.0
	v_fma_f64 v[101:102], v[101:102], v[105:106], v[101:102]
	v_mul_f64 v[105:106], v[107:108], v[101:102]
	v_fma_f64 v[99:100], -v[99:100], v[105:106], v[107:108]
	v_div_fmas_f64 v[99:100], v[99:100], v[101:102], v[105:106]
	v_div_fixup_f64 v[101:102], v[99:100], v[97:98], 1.0
	v_mul_f64 v[103:104], v[103:104], -v[101:102]
.LBB57_34:
	s_or_b64 exec, exec, s[2:3]
	ds_write2_b64 v127, v[101:102], v[103:104] offset1:1
.LBB57_35:
	s_or_b64 exec, exec, s[4:5]
	s_waitcnt lgkmcnt(0)
	s_barrier
	ds_read2_b64 v[97:100], v127 offset1:1
	v_cmp_lt_u32_e32 vcc, 3, v0
	s_waitcnt lgkmcnt(0)
	buffer_store_dword v97, off, s[20:23], 0 offset:376 ; 4-byte Folded Spill
	s_nop 0
	buffer_store_dword v98, off, s[20:23], 0 offset:380 ; 4-byte Folded Spill
	buffer_store_dword v99, off, s[20:23], 0 offset:384 ; 4-byte Folded Spill
	;; [unrolled: 1-line block ×3, first 2 shown]
	s_and_saveexec_b64 s[2:3], vcc
	s_cbranch_execz .LBB57_37
; %bb.36:
	buffer_load_dword v107, off, s[20:23], 0 offset:48 ; 4-byte Folded Reload
	buffer_load_dword v108, off, s[20:23], 0 offset:52 ; 4-byte Folded Reload
	;; [unrolled: 1-line block ×8, first 2 shown]
	s_waitcnt vmcnt(0)
	v_mul_f64 v[97:98], v[101:102], v[109:110]
	v_fma_f64 v[97:98], v[99:100], v[107:108], -v[97:98]
	v_mul_f64 v[99:100], v[99:100], v[109:110]
	v_fma_f64 v[109:110], v[101:102], v[107:108], v[99:100]
	ds_read2_b64 v[99:102], v125 offset0:8 offset1:9
	buffer_load_dword v105, off, s[20:23], 0 offset:32 ; 4-byte Folded Reload
	buffer_load_dword v106, off, s[20:23], 0 offset:36 ; 4-byte Folded Reload
	;; [unrolled: 1-line block ×4, first 2 shown]
	s_waitcnt lgkmcnt(0)
	v_mul_f64 v[103:104], v[101:102], v[109:110]
	v_fma_f64 v[103:104], v[99:100], v[97:98], -v[103:104]
	v_mul_f64 v[99:100], v[99:100], v[109:110]
	v_fma_f64 v[99:100], v[101:102], v[97:98], v[99:100]
	s_waitcnt vmcnt(2)
	v_add_f64 v[105:106], v[105:106], -v[103:104]
	s_waitcnt vmcnt(0)
	v_add_f64 v[107:108], v[107:108], -v[99:100]
	buffer_store_dword v105, off, s[20:23], 0 offset:32 ; 4-byte Folded Spill
	s_nop 0
	buffer_store_dword v106, off, s[20:23], 0 offset:36 ; 4-byte Folded Spill
	buffer_store_dword v107, off, s[20:23], 0 offset:40 ; 4-byte Folded Spill
	;; [unrolled: 1-line block ×3, first 2 shown]
	ds_read2_b64 v[99:102], v125 offset0:10 offset1:11
	buffer_load_dword v105, off, s[20:23], 0 offset:16 ; 4-byte Folded Reload
	buffer_load_dword v106, off, s[20:23], 0 offset:20 ; 4-byte Folded Reload
	;; [unrolled: 1-line block ×4, first 2 shown]
	s_waitcnt lgkmcnt(0)
	v_mul_f64 v[103:104], v[101:102], v[109:110]
	v_fma_f64 v[103:104], v[99:100], v[97:98], -v[103:104]
	v_mul_f64 v[99:100], v[99:100], v[109:110]
	v_fma_f64 v[99:100], v[101:102], v[97:98], v[99:100]
	s_waitcnt vmcnt(2)
	v_add_f64 v[105:106], v[105:106], -v[103:104]
	s_waitcnt vmcnt(0)
	v_add_f64 v[107:108], v[107:108], -v[99:100]
	buffer_store_dword v105, off, s[20:23], 0 offset:16 ; 4-byte Folded Spill
	s_nop 0
	buffer_store_dword v106, off, s[20:23], 0 offset:20 ; 4-byte Folded Spill
	buffer_store_dword v107, off, s[20:23], 0 offset:24 ; 4-byte Folded Spill
	;; [unrolled: 1-line block ×3, first 2 shown]
	ds_read2_b64 v[99:102], v125 offset0:12 offset1:13
	buffer_load_dword v105, off, s[20:23], 0 ; 4-byte Folded Reload
	buffer_load_dword v106, off, s[20:23], 0 offset:4 ; 4-byte Folded Reload
	buffer_load_dword v107, off, s[20:23], 0 offset:8 ; 4-byte Folded Reload
	;; [unrolled: 1-line block ×3, first 2 shown]
	s_waitcnt lgkmcnt(0)
	v_mul_f64 v[103:104], v[101:102], v[109:110]
	v_fma_f64 v[103:104], v[99:100], v[97:98], -v[103:104]
	v_mul_f64 v[99:100], v[99:100], v[109:110]
	v_fma_f64 v[99:100], v[101:102], v[97:98], v[99:100]
	s_waitcnt vmcnt(2)
	v_add_f64 v[105:106], v[105:106], -v[103:104]
	s_waitcnt vmcnt(0)
	v_add_f64 v[107:108], v[107:108], -v[99:100]
	buffer_store_dword v105, off, s[20:23], 0 ; 4-byte Folded Spill
	s_nop 0
	buffer_store_dword v106, off, s[20:23], 0 offset:4 ; 4-byte Folded Spill
	buffer_store_dword v107, off, s[20:23], 0 offset:8 ; 4-byte Folded Spill
	buffer_store_dword v108, off, s[20:23], 0 offset:12 ; 4-byte Folded Spill
	ds_read2_b64 v[99:102], v125 offset0:14 offset1:15
	v_mov_b32_e32 v108, v98
	v_mov_b32_e32 v107, v97
	s_waitcnt lgkmcnt(0)
	v_mul_f64 v[103:104], v[101:102], v[109:110]
	v_fma_f64 v[103:104], v[99:100], v[97:98], -v[103:104]
	v_mul_f64 v[99:100], v[99:100], v[109:110]
	v_add_f64 v[83:84], v[83:84], -v[103:104]
	v_fma_f64 v[99:100], v[101:102], v[97:98], v[99:100]
	v_add_f64 v[85:86], v[85:86], -v[99:100]
	ds_read2_b64 v[99:102], v125 offset0:16 offset1:17
	s_waitcnt lgkmcnt(0)
	v_mul_f64 v[103:104], v[101:102], v[109:110]
	v_fma_f64 v[103:104], v[99:100], v[97:98], -v[103:104]
	v_mul_f64 v[99:100], v[99:100], v[109:110]
	v_add_f64 v[77:78], v[77:78], -v[103:104]
	v_fma_f64 v[99:100], v[101:102], v[97:98], v[99:100]
	v_add_f64 v[79:80], v[79:80], -v[99:100]
	ds_read2_b64 v[99:102], v125 offset0:18 offset1:19
	;; [unrolled: 8-line block ×21, first 2 shown]
	s_waitcnt lgkmcnt(0)
	v_mul_f64 v[103:104], v[101:102], v[109:110]
	v_fma_f64 v[103:104], v[99:100], v[97:98], -v[103:104]
	v_mul_f64 v[99:100], v[99:100], v[109:110]
	buffer_store_dword v107, off, s[20:23], 0 offset:48 ; 4-byte Folded Spill
	s_nop 0
	buffer_store_dword v108, off, s[20:23], 0 offset:52 ; 4-byte Folded Spill
	buffer_store_dword v109, off, s[20:23], 0 offset:56 ; 4-byte Folded Spill
	;; [unrolled: 1-line block ×3, first 2 shown]
	v_add_f64 v[93:94], v[93:94], -v[103:104]
	v_fma_f64 v[99:100], v[101:102], v[97:98], v[99:100]
	v_add_f64 v[95:96], v[95:96], -v[99:100]
.LBB57_37:
	s_or_b64 exec, exec, s[2:3]
	v_cmp_eq_u32_e32 vcc, 4, v0
	s_waitcnt vmcnt(0)
	s_barrier
	s_and_saveexec_b64 s[4:5], vcc
	s_cbranch_execz .LBB57_44
; %bb.38:
	buffer_load_dword v97, off, s[20:23], 0 offset:32 ; 4-byte Folded Reload
	buffer_load_dword v98, off, s[20:23], 0 offset:36 ; 4-byte Folded Reload
	;; [unrolled: 1-line block ×4, first 2 shown]
	s_waitcnt vmcnt(0)
	ds_write2_b64 v127, v[97:98], v[99:100] offset1:1
	buffer_load_dword v97, off, s[20:23], 0 offset:16 ; 4-byte Folded Reload
	buffer_load_dword v98, off, s[20:23], 0 offset:20 ; 4-byte Folded Reload
	;; [unrolled: 1-line block ×4, first 2 shown]
	s_waitcnt vmcnt(0)
	ds_write2_b64 v125, v[97:98], v[99:100] offset0:10 offset1:11
	buffer_load_dword v97, off, s[20:23], 0 ; 4-byte Folded Reload
	buffer_load_dword v98, off, s[20:23], 0 offset:4 ; 4-byte Folded Reload
	buffer_load_dword v99, off, s[20:23], 0 offset:8 ; 4-byte Folded Reload
	buffer_load_dword v100, off, s[20:23], 0 offset:12 ; 4-byte Folded Reload
	s_waitcnt vmcnt(0)
	ds_write2_b64 v125, v[97:98], v[99:100] offset0:12 offset1:13
	ds_write2_b64 v125, v[83:84], v[85:86] offset0:14 offset1:15
	;; [unrolled: 1-line block ×23, first 2 shown]
	ds_read2_b64 v[97:100], v127 offset1:1
	s_waitcnt lgkmcnt(0)
	v_cmp_neq_f64_e32 vcc, 0, v[97:98]
	v_cmp_neq_f64_e64 s[2:3], 0, v[99:100]
	s_or_b64 s[2:3], vcc, s[2:3]
	s_and_b64 exec, exec, s[2:3]
	s_cbranch_execz .LBB57_44
; %bb.39:
	v_cmp_ngt_f64_e64 s[2:3], |v[97:98]|, |v[99:100]|
                                        ; implicit-def: $vgpr101_vgpr102
	s_and_saveexec_b64 s[6:7], s[2:3]
	s_xor_b64 s[2:3], exec, s[6:7]
                                        ; implicit-def: $vgpr103_vgpr104
	s_cbranch_execz .LBB57_41
; %bb.40:
	v_div_scale_f64 v[101:102], s[6:7], v[99:100], v[99:100], v[97:98]
	v_rcp_f64_e32 v[103:104], v[101:102]
	v_fma_f64 v[105:106], -v[101:102], v[103:104], 1.0
	v_fma_f64 v[103:104], v[103:104], v[105:106], v[103:104]
	v_div_scale_f64 v[105:106], vcc, v[97:98], v[99:100], v[97:98]
	v_fma_f64 v[107:108], -v[101:102], v[103:104], 1.0
	v_fma_f64 v[103:104], v[103:104], v[107:108], v[103:104]
	v_mul_f64 v[107:108], v[105:106], v[103:104]
	v_fma_f64 v[101:102], -v[101:102], v[107:108], v[105:106]
	v_div_fmas_f64 v[101:102], v[101:102], v[103:104], v[107:108]
	v_div_fixup_f64 v[101:102], v[101:102], v[99:100], v[97:98]
	v_fma_f64 v[97:98], v[97:98], v[101:102], v[99:100]
	v_div_scale_f64 v[99:100], s[6:7], v[97:98], v[97:98], 1.0
	v_div_scale_f64 v[107:108], vcc, 1.0, v[97:98], 1.0
	v_rcp_f64_e32 v[103:104], v[99:100]
	v_fma_f64 v[105:106], -v[99:100], v[103:104], 1.0
	v_fma_f64 v[103:104], v[103:104], v[105:106], v[103:104]
	v_fma_f64 v[105:106], -v[99:100], v[103:104], 1.0
	v_fma_f64 v[103:104], v[103:104], v[105:106], v[103:104]
	v_mul_f64 v[105:106], v[107:108], v[103:104]
	v_fma_f64 v[99:100], -v[99:100], v[105:106], v[107:108]
	v_div_fmas_f64 v[99:100], v[99:100], v[103:104], v[105:106]
	v_div_fixup_f64 v[103:104], v[99:100], v[97:98], 1.0
                                        ; implicit-def: $vgpr97_vgpr98
	v_mul_f64 v[101:102], v[101:102], v[103:104]
	v_xor_b32_e32 v104, 0x80000000, v104
.LBB57_41:
	s_andn2_saveexec_b64 s[2:3], s[2:3]
	s_cbranch_execz .LBB57_43
; %bb.42:
	v_div_scale_f64 v[101:102], s[6:7], v[97:98], v[97:98], v[99:100]
	v_rcp_f64_e32 v[103:104], v[101:102]
	v_fma_f64 v[105:106], -v[101:102], v[103:104], 1.0
	v_fma_f64 v[103:104], v[103:104], v[105:106], v[103:104]
	v_div_scale_f64 v[105:106], vcc, v[99:100], v[97:98], v[99:100]
	v_fma_f64 v[107:108], -v[101:102], v[103:104], 1.0
	v_fma_f64 v[103:104], v[103:104], v[107:108], v[103:104]
	v_mul_f64 v[107:108], v[105:106], v[103:104]
	v_fma_f64 v[101:102], -v[101:102], v[107:108], v[105:106]
	v_div_fmas_f64 v[101:102], v[101:102], v[103:104], v[107:108]
	v_div_fixup_f64 v[103:104], v[101:102], v[97:98], v[99:100]
	v_fma_f64 v[97:98], v[99:100], v[103:104], v[97:98]
	v_div_scale_f64 v[99:100], s[6:7], v[97:98], v[97:98], 1.0
	v_div_scale_f64 v[107:108], vcc, 1.0, v[97:98], 1.0
	v_rcp_f64_e32 v[101:102], v[99:100]
	v_fma_f64 v[105:106], -v[99:100], v[101:102], 1.0
	v_fma_f64 v[101:102], v[101:102], v[105:106], v[101:102]
	v_fma_f64 v[105:106], -v[99:100], v[101:102], 1.0
	v_fma_f64 v[101:102], v[101:102], v[105:106], v[101:102]
	v_mul_f64 v[105:106], v[107:108], v[101:102]
	v_fma_f64 v[99:100], -v[99:100], v[105:106], v[107:108]
	v_div_fmas_f64 v[99:100], v[99:100], v[101:102], v[105:106]
	v_div_fixup_f64 v[101:102], v[99:100], v[97:98], 1.0
	v_mul_f64 v[103:104], v[103:104], -v[101:102]
.LBB57_43:
	s_or_b64 exec, exec, s[2:3]
	ds_write2_b64 v127, v[101:102], v[103:104] offset1:1
.LBB57_44:
	s_or_b64 exec, exec, s[4:5]
	s_waitcnt lgkmcnt(0)
	s_barrier
	ds_read2_b64 v[97:100], v127 offset1:1
	v_cmp_lt_u32_e32 vcc, 4, v0
	s_waitcnt lgkmcnt(0)
	buffer_store_dword v97, off, s[20:23], 0 offset:392 ; 4-byte Folded Spill
	s_nop 0
	buffer_store_dword v98, off, s[20:23], 0 offset:396 ; 4-byte Folded Spill
	buffer_store_dword v99, off, s[20:23], 0 offset:400 ; 4-byte Folded Spill
	;; [unrolled: 1-line block ×3, first 2 shown]
	s_and_saveexec_b64 s[2:3], vcc
	s_cbranch_execz .LBB57_46
; %bb.45:
	buffer_load_dword v107, off, s[20:23], 0 offset:32 ; 4-byte Folded Reload
	buffer_load_dword v108, off, s[20:23], 0 offset:36 ; 4-byte Folded Reload
	;; [unrolled: 1-line block ×8, first 2 shown]
	s_waitcnt vmcnt(0)
	v_mul_f64 v[97:98], v[101:102], v[109:110]
	v_fma_f64 v[97:98], v[99:100], v[107:108], -v[97:98]
	v_mul_f64 v[99:100], v[99:100], v[109:110]
	v_fma_f64 v[109:110], v[101:102], v[107:108], v[99:100]
	ds_read2_b64 v[99:102], v125 offset0:10 offset1:11
	buffer_load_dword v105, off, s[20:23], 0 offset:16 ; 4-byte Folded Reload
	buffer_load_dword v106, off, s[20:23], 0 offset:20 ; 4-byte Folded Reload
	;; [unrolled: 1-line block ×4, first 2 shown]
	s_waitcnt lgkmcnt(0)
	v_mul_f64 v[103:104], v[101:102], v[109:110]
	v_fma_f64 v[103:104], v[99:100], v[97:98], -v[103:104]
	v_mul_f64 v[99:100], v[99:100], v[109:110]
	v_fma_f64 v[99:100], v[101:102], v[97:98], v[99:100]
	s_waitcnt vmcnt(2)
	v_add_f64 v[105:106], v[105:106], -v[103:104]
	s_waitcnt vmcnt(0)
	v_add_f64 v[107:108], v[107:108], -v[99:100]
	buffer_store_dword v105, off, s[20:23], 0 offset:16 ; 4-byte Folded Spill
	s_nop 0
	buffer_store_dword v106, off, s[20:23], 0 offset:20 ; 4-byte Folded Spill
	buffer_store_dword v107, off, s[20:23], 0 offset:24 ; 4-byte Folded Spill
	;; [unrolled: 1-line block ×3, first 2 shown]
	ds_read2_b64 v[99:102], v125 offset0:12 offset1:13
	buffer_load_dword v105, off, s[20:23], 0 ; 4-byte Folded Reload
	buffer_load_dword v106, off, s[20:23], 0 offset:4 ; 4-byte Folded Reload
	buffer_load_dword v107, off, s[20:23], 0 offset:8 ; 4-byte Folded Reload
	;; [unrolled: 1-line block ×3, first 2 shown]
	s_waitcnt lgkmcnt(0)
	v_mul_f64 v[103:104], v[101:102], v[109:110]
	v_fma_f64 v[103:104], v[99:100], v[97:98], -v[103:104]
	v_mul_f64 v[99:100], v[99:100], v[109:110]
	v_fma_f64 v[99:100], v[101:102], v[97:98], v[99:100]
	s_waitcnt vmcnt(2)
	v_add_f64 v[105:106], v[105:106], -v[103:104]
	s_waitcnt vmcnt(0)
	v_add_f64 v[107:108], v[107:108], -v[99:100]
	buffer_store_dword v105, off, s[20:23], 0 ; 4-byte Folded Spill
	s_nop 0
	buffer_store_dword v106, off, s[20:23], 0 offset:4 ; 4-byte Folded Spill
	buffer_store_dword v107, off, s[20:23], 0 offset:8 ; 4-byte Folded Spill
	;; [unrolled: 1-line block ×3, first 2 shown]
	ds_read2_b64 v[99:102], v125 offset0:14 offset1:15
	v_mov_b32_e32 v108, v98
	v_mov_b32_e32 v107, v97
	s_waitcnt lgkmcnt(0)
	v_mul_f64 v[103:104], v[101:102], v[109:110]
	v_fma_f64 v[103:104], v[99:100], v[97:98], -v[103:104]
	v_mul_f64 v[99:100], v[99:100], v[109:110]
	v_add_f64 v[83:84], v[83:84], -v[103:104]
	v_fma_f64 v[99:100], v[101:102], v[97:98], v[99:100]
	v_add_f64 v[85:86], v[85:86], -v[99:100]
	ds_read2_b64 v[99:102], v125 offset0:16 offset1:17
	s_waitcnt lgkmcnt(0)
	v_mul_f64 v[103:104], v[101:102], v[109:110]
	v_fma_f64 v[103:104], v[99:100], v[97:98], -v[103:104]
	v_mul_f64 v[99:100], v[99:100], v[109:110]
	v_add_f64 v[77:78], v[77:78], -v[103:104]
	v_fma_f64 v[99:100], v[101:102], v[97:98], v[99:100]
	v_add_f64 v[79:80], v[79:80], -v[99:100]
	ds_read2_b64 v[99:102], v125 offset0:18 offset1:19
	s_waitcnt lgkmcnt(0)
	v_mul_f64 v[103:104], v[101:102], v[109:110]
	v_fma_f64 v[103:104], v[99:100], v[97:98], -v[103:104]
	v_mul_f64 v[99:100], v[99:100], v[109:110]
	v_add_f64 v[73:74], v[73:74], -v[103:104]
	v_fma_f64 v[99:100], v[101:102], v[97:98], v[99:100]
	v_add_f64 v[75:76], v[75:76], -v[99:100]
	ds_read2_b64 v[99:102], v125 offset0:20 offset1:21
	s_waitcnt lgkmcnt(0)
	v_mul_f64 v[103:104], v[101:102], v[109:110]
	v_fma_f64 v[103:104], v[99:100], v[97:98], -v[103:104]
	v_mul_f64 v[99:100], v[99:100], v[109:110]
	v_add_f64 v[69:70], v[69:70], -v[103:104]
	v_fma_f64 v[99:100], v[101:102], v[97:98], v[99:100]
	v_add_f64 v[71:72], v[71:72], -v[99:100]
	ds_read2_b64 v[99:102], v125 offset0:22 offset1:23
	s_waitcnt lgkmcnt(0)
	v_mul_f64 v[103:104], v[101:102], v[109:110]
	v_fma_f64 v[103:104], v[99:100], v[97:98], -v[103:104]
	v_mul_f64 v[99:100], v[99:100], v[109:110]
	v_add_f64 v[65:66], v[65:66], -v[103:104]
	v_fma_f64 v[99:100], v[101:102], v[97:98], v[99:100]
	v_add_f64 v[67:68], v[67:68], -v[99:100]
	ds_read2_b64 v[99:102], v125 offset0:24 offset1:25
	s_waitcnt lgkmcnt(0)
	v_mul_f64 v[103:104], v[101:102], v[109:110]
	v_fma_f64 v[103:104], v[99:100], v[97:98], -v[103:104]
	v_mul_f64 v[99:100], v[99:100], v[109:110]
	v_add_f64 v[61:62], v[61:62], -v[103:104]
	v_fma_f64 v[99:100], v[101:102], v[97:98], v[99:100]
	v_add_f64 v[63:64], v[63:64], -v[99:100]
	ds_read2_b64 v[99:102], v125 offset0:26 offset1:27
	s_waitcnt lgkmcnt(0)
	v_mul_f64 v[103:104], v[101:102], v[109:110]
	v_fma_f64 v[103:104], v[99:100], v[97:98], -v[103:104]
	v_mul_f64 v[99:100], v[99:100], v[109:110]
	v_add_f64 v[57:58], v[57:58], -v[103:104]
	v_fma_f64 v[99:100], v[101:102], v[97:98], v[99:100]
	v_add_f64 v[59:60], v[59:60], -v[99:100]
	ds_read2_b64 v[99:102], v125 offset0:28 offset1:29
	s_waitcnt lgkmcnt(0)
	v_mul_f64 v[103:104], v[101:102], v[109:110]
	v_fma_f64 v[103:104], v[99:100], v[97:98], -v[103:104]
	v_mul_f64 v[99:100], v[99:100], v[109:110]
	v_add_f64 v[53:54], v[53:54], -v[103:104]
	v_fma_f64 v[99:100], v[101:102], v[97:98], v[99:100]
	v_add_f64 v[55:56], v[55:56], -v[99:100]
	ds_read2_b64 v[99:102], v125 offset0:30 offset1:31
	s_waitcnt lgkmcnt(0)
	v_mul_f64 v[103:104], v[101:102], v[109:110]
	v_fma_f64 v[103:104], v[99:100], v[97:98], -v[103:104]
	v_mul_f64 v[99:100], v[99:100], v[109:110]
	v_add_f64 v[49:50], v[49:50], -v[103:104]
	v_fma_f64 v[99:100], v[101:102], v[97:98], v[99:100]
	v_add_f64 v[51:52], v[51:52], -v[99:100]
	ds_read2_b64 v[99:102], v125 offset0:32 offset1:33
	s_waitcnt lgkmcnt(0)
	v_mul_f64 v[103:104], v[101:102], v[109:110]
	v_fma_f64 v[103:104], v[99:100], v[97:98], -v[103:104]
	v_mul_f64 v[99:100], v[99:100], v[109:110]
	v_add_f64 v[45:46], v[45:46], -v[103:104]
	v_fma_f64 v[99:100], v[101:102], v[97:98], v[99:100]
	v_add_f64 v[47:48], v[47:48], -v[99:100]
	ds_read2_b64 v[99:102], v125 offset0:34 offset1:35
	s_waitcnt lgkmcnt(0)
	v_mul_f64 v[103:104], v[101:102], v[109:110]
	v_fma_f64 v[103:104], v[99:100], v[97:98], -v[103:104]
	v_mul_f64 v[99:100], v[99:100], v[109:110]
	v_add_f64 v[41:42], v[41:42], -v[103:104]
	v_fma_f64 v[99:100], v[101:102], v[97:98], v[99:100]
	v_add_f64 v[43:44], v[43:44], -v[99:100]
	ds_read2_b64 v[99:102], v125 offset0:36 offset1:37
	s_waitcnt lgkmcnt(0)
	v_mul_f64 v[103:104], v[101:102], v[109:110]
	v_fma_f64 v[103:104], v[99:100], v[97:98], -v[103:104]
	v_mul_f64 v[99:100], v[99:100], v[109:110]
	v_add_f64 v[37:38], v[37:38], -v[103:104]
	v_fma_f64 v[99:100], v[101:102], v[97:98], v[99:100]
	v_add_f64 v[39:40], v[39:40], -v[99:100]
	ds_read2_b64 v[99:102], v125 offset0:38 offset1:39
	s_waitcnt lgkmcnt(0)
	v_mul_f64 v[103:104], v[101:102], v[109:110]
	v_fma_f64 v[103:104], v[99:100], v[97:98], -v[103:104]
	v_mul_f64 v[99:100], v[99:100], v[109:110]
	v_add_f64 v[33:34], v[33:34], -v[103:104]
	v_fma_f64 v[99:100], v[101:102], v[97:98], v[99:100]
	v_add_f64 v[35:36], v[35:36], -v[99:100]
	ds_read2_b64 v[99:102], v125 offset0:40 offset1:41
	s_waitcnt lgkmcnt(0)
	v_mul_f64 v[103:104], v[101:102], v[109:110]
	v_fma_f64 v[103:104], v[99:100], v[97:98], -v[103:104]
	v_mul_f64 v[99:100], v[99:100], v[109:110]
	v_add_f64 v[29:30], v[29:30], -v[103:104]
	v_fma_f64 v[99:100], v[101:102], v[97:98], v[99:100]
	v_add_f64 v[31:32], v[31:32], -v[99:100]
	ds_read2_b64 v[99:102], v125 offset0:42 offset1:43
	s_waitcnt lgkmcnt(0)
	v_mul_f64 v[103:104], v[101:102], v[109:110]
	v_fma_f64 v[103:104], v[99:100], v[97:98], -v[103:104]
	v_mul_f64 v[99:100], v[99:100], v[109:110]
	v_add_f64 v[25:26], v[25:26], -v[103:104]
	v_fma_f64 v[99:100], v[101:102], v[97:98], v[99:100]
	v_add_f64 v[27:28], v[27:28], -v[99:100]
	ds_read2_b64 v[99:102], v125 offset0:44 offset1:45
	s_waitcnt lgkmcnt(0)
	v_mul_f64 v[103:104], v[101:102], v[109:110]
	v_fma_f64 v[103:104], v[99:100], v[97:98], -v[103:104]
	v_mul_f64 v[99:100], v[99:100], v[109:110]
	v_add_f64 v[21:22], v[21:22], -v[103:104]
	v_fma_f64 v[99:100], v[101:102], v[97:98], v[99:100]
	v_add_f64 v[23:24], v[23:24], -v[99:100]
	ds_read2_b64 v[99:102], v125 offset0:46 offset1:47
	s_waitcnt lgkmcnt(0)
	v_mul_f64 v[103:104], v[101:102], v[109:110]
	v_fma_f64 v[103:104], v[99:100], v[97:98], -v[103:104]
	v_mul_f64 v[99:100], v[99:100], v[109:110]
	v_add_f64 v[17:18], v[17:18], -v[103:104]
	v_fma_f64 v[99:100], v[101:102], v[97:98], v[99:100]
	v_add_f64 v[19:20], v[19:20], -v[99:100]
	ds_read2_b64 v[99:102], v125 offset0:48 offset1:49
	s_waitcnt lgkmcnt(0)
	v_mul_f64 v[103:104], v[101:102], v[109:110]
	v_fma_f64 v[103:104], v[99:100], v[97:98], -v[103:104]
	v_mul_f64 v[99:100], v[99:100], v[109:110]
	v_add_f64 v[13:14], v[13:14], -v[103:104]
	v_fma_f64 v[99:100], v[101:102], v[97:98], v[99:100]
	v_add_f64 v[15:16], v[15:16], -v[99:100]
	ds_read2_b64 v[99:102], v125 offset0:50 offset1:51
	s_waitcnt lgkmcnt(0)
	v_mul_f64 v[103:104], v[101:102], v[109:110]
	v_fma_f64 v[103:104], v[99:100], v[97:98], -v[103:104]
	v_mul_f64 v[99:100], v[99:100], v[109:110]
	v_add_f64 v[9:10], v[9:10], -v[103:104]
	v_fma_f64 v[99:100], v[101:102], v[97:98], v[99:100]
	v_add_f64 v[11:12], v[11:12], -v[99:100]
	ds_read2_b64 v[99:102], v125 offset0:52 offset1:53
	s_waitcnt lgkmcnt(0)
	v_mul_f64 v[103:104], v[101:102], v[109:110]
	v_fma_f64 v[103:104], v[99:100], v[97:98], -v[103:104]
	v_mul_f64 v[99:100], v[99:100], v[109:110]
	v_add_f64 v[5:6], v[5:6], -v[103:104]
	v_fma_f64 v[99:100], v[101:102], v[97:98], v[99:100]
	v_add_f64 v[7:8], v[7:8], -v[99:100]
	ds_read2_b64 v[99:102], v125 offset0:54 offset1:55
	s_waitcnt lgkmcnt(0)
	v_mul_f64 v[103:104], v[101:102], v[109:110]
	v_fma_f64 v[103:104], v[99:100], v[97:98], -v[103:104]
	v_mul_f64 v[99:100], v[99:100], v[109:110]
	v_add_f64 v[1:2], v[1:2], -v[103:104]
	v_fma_f64 v[99:100], v[101:102], v[97:98], v[99:100]
	v_add_f64 v[3:4], v[3:4], -v[99:100]
	ds_read2_b64 v[99:102], v125 offset0:56 offset1:57
	s_waitcnt lgkmcnt(0)
	v_mul_f64 v[103:104], v[101:102], v[109:110]
	v_fma_f64 v[103:104], v[99:100], v[97:98], -v[103:104]
	v_mul_f64 v[99:100], v[99:100], v[109:110]
	buffer_store_dword v107, off, s[20:23], 0 offset:32 ; 4-byte Folded Spill
	s_nop 0
	buffer_store_dword v108, off, s[20:23], 0 offset:36 ; 4-byte Folded Spill
	buffer_store_dword v109, off, s[20:23], 0 offset:40 ; 4-byte Folded Spill
	;; [unrolled: 1-line block ×3, first 2 shown]
	v_add_f64 v[93:94], v[93:94], -v[103:104]
	v_fma_f64 v[99:100], v[101:102], v[97:98], v[99:100]
	v_add_f64 v[95:96], v[95:96], -v[99:100]
.LBB57_46:
	s_or_b64 exec, exec, s[2:3]
	v_cmp_eq_u32_e32 vcc, 5, v0
	s_waitcnt vmcnt(0)
	s_barrier
	s_and_saveexec_b64 s[4:5], vcc
	s_cbranch_execz .LBB57_53
; %bb.47:
	buffer_load_dword v97, off, s[20:23], 0 offset:16 ; 4-byte Folded Reload
	buffer_load_dword v98, off, s[20:23], 0 offset:20 ; 4-byte Folded Reload
	;; [unrolled: 1-line block ×4, first 2 shown]
	s_waitcnt vmcnt(0)
	ds_write2_b64 v127, v[97:98], v[99:100] offset1:1
	buffer_load_dword v97, off, s[20:23], 0 ; 4-byte Folded Reload
	buffer_load_dword v98, off, s[20:23], 0 offset:4 ; 4-byte Folded Reload
	buffer_load_dword v99, off, s[20:23], 0 offset:8 ; 4-byte Folded Reload
	;; [unrolled: 1-line block ×3, first 2 shown]
	s_waitcnt vmcnt(0)
	ds_write2_b64 v125, v[97:98], v[99:100] offset0:12 offset1:13
	ds_write2_b64 v125, v[83:84], v[85:86] offset0:14 offset1:15
	;; [unrolled: 1-line block ×23, first 2 shown]
	ds_read2_b64 v[97:100], v127 offset1:1
	s_waitcnt lgkmcnt(0)
	v_cmp_neq_f64_e32 vcc, 0, v[97:98]
	v_cmp_neq_f64_e64 s[2:3], 0, v[99:100]
	s_or_b64 s[2:3], vcc, s[2:3]
	s_and_b64 exec, exec, s[2:3]
	s_cbranch_execz .LBB57_53
; %bb.48:
	v_cmp_ngt_f64_e64 s[2:3], |v[97:98]|, |v[99:100]|
                                        ; implicit-def: $vgpr101_vgpr102
	s_and_saveexec_b64 s[6:7], s[2:3]
	s_xor_b64 s[2:3], exec, s[6:7]
                                        ; implicit-def: $vgpr103_vgpr104
	s_cbranch_execz .LBB57_50
; %bb.49:
	v_div_scale_f64 v[101:102], s[6:7], v[99:100], v[99:100], v[97:98]
	v_rcp_f64_e32 v[103:104], v[101:102]
	v_fma_f64 v[105:106], -v[101:102], v[103:104], 1.0
	v_fma_f64 v[103:104], v[103:104], v[105:106], v[103:104]
	v_div_scale_f64 v[105:106], vcc, v[97:98], v[99:100], v[97:98]
	v_fma_f64 v[107:108], -v[101:102], v[103:104], 1.0
	v_fma_f64 v[103:104], v[103:104], v[107:108], v[103:104]
	v_mul_f64 v[107:108], v[105:106], v[103:104]
	v_fma_f64 v[101:102], -v[101:102], v[107:108], v[105:106]
	v_div_fmas_f64 v[101:102], v[101:102], v[103:104], v[107:108]
	v_div_fixup_f64 v[101:102], v[101:102], v[99:100], v[97:98]
	v_fma_f64 v[97:98], v[97:98], v[101:102], v[99:100]
	v_div_scale_f64 v[99:100], s[6:7], v[97:98], v[97:98], 1.0
	v_div_scale_f64 v[107:108], vcc, 1.0, v[97:98], 1.0
	v_rcp_f64_e32 v[103:104], v[99:100]
	v_fma_f64 v[105:106], -v[99:100], v[103:104], 1.0
	v_fma_f64 v[103:104], v[103:104], v[105:106], v[103:104]
	v_fma_f64 v[105:106], -v[99:100], v[103:104], 1.0
	v_fma_f64 v[103:104], v[103:104], v[105:106], v[103:104]
	v_mul_f64 v[105:106], v[107:108], v[103:104]
	v_fma_f64 v[99:100], -v[99:100], v[105:106], v[107:108]
	v_div_fmas_f64 v[99:100], v[99:100], v[103:104], v[105:106]
	v_div_fixup_f64 v[103:104], v[99:100], v[97:98], 1.0
                                        ; implicit-def: $vgpr97_vgpr98
	v_mul_f64 v[101:102], v[101:102], v[103:104]
	v_xor_b32_e32 v104, 0x80000000, v104
.LBB57_50:
	s_andn2_saveexec_b64 s[2:3], s[2:3]
	s_cbranch_execz .LBB57_52
; %bb.51:
	v_div_scale_f64 v[101:102], s[6:7], v[97:98], v[97:98], v[99:100]
	v_rcp_f64_e32 v[103:104], v[101:102]
	v_fma_f64 v[105:106], -v[101:102], v[103:104], 1.0
	v_fma_f64 v[103:104], v[103:104], v[105:106], v[103:104]
	v_div_scale_f64 v[105:106], vcc, v[99:100], v[97:98], v[99:100]
	v_fma_f64 v[107:108], -v[101:102], v[103:104], 1.0
	v_fma_f64 v[103:104], v[103:104], v[107:108], v[103:104]
	v_mul_f64 v[107:108], v[105:106], v[103:104]
	v_fma_f64 v[101:102], -v[101:102], v[107:108], v[105:106]
	v_div_fmas_f64 v[101:102], v[101:102], v[103:104], v[107:108]
	v_div_fixup_f64 v[103:104], v[101:102], v[97:98], v[99:100]
	v_fma_f64 v[97:98], v[99:100], v[103:104], v[97:98]
	v_div_scale_f64 v[99:100], s[6:7], v[97:98], v[97:98], 1.0
	v_div_scale_f64 v[107:108], vcc, 1.0, v[97:98], 1.0
	v_rcp_f64_e32 v[101:102], v[99:100]
	v_fma_f64 v[105:106], -v[99:100], v[101:102], 1.0
	v_fma_f64 v[101:102], v[101:102], v[105:106], v[101:102]
	v_fma_f64 v[105:106], -v[99:100], v[101:102], 1.0
	v_fma_f64 v[101:102], v[101:102], v[105:106], v[101:102]
	v_mul_f64 v[105:106], v[107:108], v[101:102]
	v_fma_f64 v[99:100], -v[99:100], v[105:106], v[107:108]
	v_div_fmas_f64 v[99:100], v[99:100], v[101:102], v[105:106]
	v_div_fixup_f64 v[101:102], v[99:100], v[97:98], 1.0
	v_mul_f64 v[103:104], v[103:104], -v[101:102]
.LBB57_52:
	s_or_b64 exec, exec, s[2:3]
	ds_write2_b64 v127, v[101:102], v[103:104] offset1:1
.LBB57_53:
	s_or_b64 exec, exec, s[4:5]
	s_waitcnt lgkmcnt(0)
	s_barrier
	ds_read2_b64 v[97:100], v127 offset1:1
	v_cmp_lt_u32_e32 vcc, 5, v0
	s_waitcnt lgkmcnt(0)
	buffer_store_dword v97, off, s[20:23], 0 offset:408 ; 4-byte Folded Spill
	s_nop 0
	buffer_store_dword v98, off, s[20:23], 0 offset:412 ; 4-byte Folded Spill
	buffer_store_dword v99, off, s[20:23], 0 offset:416 ; 4-byte Folded Spill
	;; [unrolled: 1-line block ×3, first 2 shown]
	s_and_saveexec_b64 s[2:3], vcc
	s_cbranch_execz .LBB57_55
; %bb.54:
	buffer_load_dword v103, off, s[20:23], 0 offset:16 ; 4-byte Folded Reload
	buffer_load_dword v104, off, s[20:23], 0 offset:20 ; 4-byte Folded Reload
	;; [unrolled: 1-line block ×8, first 2 shown]
	v_mov_b32_e32 v102, v86
	v_mov_b32_e32 v101, v85
	;; [unrolled: 1-line block ×6, first 2 shown]
	s_waitcnt vmcnt(2)
	v_mul_f64 v[91:92], v[107:108], v[105:106]
	s_waitcnt vmcnt(0)
	v_mul_f64 v[97:98], v[109:110], v[105:106]
	v_fma_f64 v[105:106], v[109:110], v[103:104], v[91:92]
	v_mov_b32_e32 v92, v86
	v_mov_b32_e32 v91, v85
	;; [unrolled: 1-line block ×6, first 2 shown]
	ds_read2_b64 v[99:102], v125 offset0:12 offset1:13
	v_fma_f64 v[97:98], v[107:108], v[103:104], -v[97:98]
	s_waitcnt lgkmcnt(0)
	v_mul_f64 v[89:90], v[101:102], v[105:106]
	v_fma_f64 v[89:90], v[99:100], v[97:98], -v[89:90]
	v_mul_f64 v[99:100], v[99:100], v[105:106]
	v_fma_f64 v[99:100], v[101:102], v[97:98], v[99:100]
	buffer_load_dword v101, off, s[20:23], 0 ; 4-byte Folded Reload
	buffer_load_dword v102, off, s[20:23], 0 offset:4 ; 4-byte Folded Reload
	buffer_load_dword v103, off, s[20:23], 0 offset:8 ; 4-byte Folded Reload
	;; [unrolled: 1-line block ×3, first 2 shown]
	s_waitcnt vmcnt(2)
	v_add_f64 v[101:102], v[101:102], -v[89:90]
	s_waitcnt vmcnt(0)
	v_add_f64 v[103:104], v[103:104], -v[99:100]
	buffer_store_dword v101, off, s[20:23], 0 ; 4-byte Folded Spill
	s_nop 0
	buffer_store_dword v102, off, s[20:23], 0 offset:4 ; 4-byte Folded Spill
	buffer_store_dword v103, off, s[20:23], 0 offset:8 ; 4-byte Folded Spill
	;; [unrolled: 1-line block ×3, first 2 shown]
	ds_read2_b64 v[99:102], v125 offset0:14 offset1:15
	v_mov_b32_e32 v104, v98
	v_mov_b32_e32 v103, v97
	s_waitcnt lgkmcnt(0)
	v_mul_f64 v[89:90], v[101:102], v[105:106]
	v_fma_f64 v[89:90], v[99:100], v[97:98], -v[89:90]
	v_mul_f64 v[99:100], v[99:100], v[105:106]
	v_add_f64 v[83:84], v[83:84], -v[89:90]
	v_fma_f64 v[99:100], v[101:102], v[97:98], v[99:100]
	v_add_f64 v[85:86], v[85:86], -v[99:100]
	ds_read2_b64 v[99:102], v125 offset0:16 offset1:17
	s_waitcnt lgkmcnt(0)
	v_mul_f64 v[89:90], v[101:102], v[105:106]
	v_fma_f64 v[89:90], v[99:100], v[97:98], -v[89:90]
	v_mul_f64 v[99:100], v[99:100], v[105:106]
	v_add_f64 v[77:78], v[77:78], -v[89:90]
	v_fma_f64 v[99:100], v[101:102], v[97:98], v[99:100]
	v_add_f64 v[79:80], v[79:80], -v[99:100]
	ds_read2_b64 v[99:102], v125 offset0:18 offset1:19
	s_waitcnt lgkmcnt(0)
	v_mul_f64 v[89:90], v[101:102], v[105:106]
	v_fma_f64 v[89:90], v[99:100], v[97:98], -v[89:90]
	v_mul_f64 v[99:100], v[99:100], v[105:106]
	v_add_f64 v[73:74], v[73:74], -v[89:90]
	v_fma_f64 v[99:100], v[101:102], v[97:98], v[99:100]
	v_add_f64 v[75:76], v[75:76], -v[99:100]
	ds_read2_b64 v[99:102], v125 offset0:20 offset1:21
	s_waitcnt lgkmcnt(0)
	v_mul_f64 v[89:90], v[101:102], v[105:106]
	v_fma_f64 v[89:90], v[99:100], v[97:98], -v[89:90]
	v_mul_f64 v[99:100], v[99:100], v[105:106]
	v_add_f64 v[69:70], v[69:70], -v[89:90]
	v_fma_f64 v[99:100], v[101:102], v[97:98], v[99:100]
	v_add_f64 v[71:72], v[71:72], -v[99:100]
	ds_read2_b64 v[99:102], v125 offset0:22 offset1:23
	s_waitcnt lgkmcnt(0)
	v_mul_f64 v[89:90], v[101:102], v[105:106]
	v_fma_f64 v[89:90], v[99:100], v[97:98], -v[89:90]
	v_mul_f64 v[99:100], v[99:100], v[105:106]
	v_add_f64 v[65:66], v[65:66], -v[89:90]
	v_fma_f64 v[99:100], v[101:102], v[97:98], v[99:100]
	v_add_f64 v[67:68], v[67:68], -v[99:100]
	ds_read2_b64 v[99:102], v125 offset0:24 offset1:25
	s_waitcnt lgkmcnt(0)
	v_mul_f64 v[89:90], v[101:102], v[105:106]
	v_fma_f64 v[89:90], v[99:100], v[97:98], -v[89:90]
	v_mul_f64 v[99:100], v[99:100], v[105:106]
	v_add_f64 v[61:62], v[61:62], -v[89:90]
	v_fma_f64 v[99:100], v[101:102], v[97:98], v[99:100]
	v_add_f64 v[63:64], v[63:64], -v[99:100]
	ds_read2_b64 v[99:102], v125 offset0:26 offset1:27
	s_waitcnt lgkmcnt(0)
	v_mul_f64 v[89:90], v[101:102], v[105:106]
	v_fma_f64 v[89:90], v[99:100], v[97:98], -v[89:90]
	v_mul_f64 v[99:100], v[99:100], v[105:106]
	v_add_f64 v[57:58], v[57:58], -v[89:90]
	v_fma_f64 v[99:100], v[101:102], v[97:98], v[99:100]
	v_add_f64 v[59:60], v[59:60], -v[99:100]
	ds_read2_b64 v[99:102], v125 offset0:28 offset1:29
	s_waitcnt lgkmcnt(0)
	v_mul_f64 v[89:90], v[101:102], v[105:106]
	v_fma_f64 v[89:90], v[99:100], v[97:98], -v[89:90]
	v_mul_f64 v[99:100], v[99:100], v[105:106]
	v_add_f64 v[53:54], v[53:54], -v[89:90]
	v_fma_f64 v[99:100], v[101:102], v[97:98], v[99:100]
	v_add_f64 v[55:56], v[55:56], -v[99:100]
	ds_read2_b64 v[99:102], v125 offset0:30 offset1:31
	s_waitcnt lgkmcnt(0)
	v_mul_f64 v[89:90], v[101:102], v[105:106]
	v_fma_f64 v[89:90], v[99:100], v[97:98], -v[89:90]
	v_mul_f64 v[99:100], v[99:100], v[105:106]
	v_add_f64 v[49:50], v[49:50], -v[89:90]
	v_fma_f64 v[99:100], v[101:102], v[97:98], v[99:100]
	v_add_f64 v[51:52], v[51:52], -v[99:100]
	ds_read2_b64 v[99:102], v125 offset0:32 offset1:33
	s_waitcnt lgkmcnt(0)
	v_mul_f64 v[89:90], v[101:102], v[105:106]
	v_fma_f64 v[89:90], v[99:100], v[97:98], -v[89:90]
	v_mul_f64 v[99:100], v[99:100], v[105:106]
	v_add_f64 v[45:46], v[45:46], -v[89:90]
	v_fma_f64 v[99:100], v[101:102], v[97:98], v[99:100]
	v_add_f64 v[47:48], v[47:48], -v[99:100]
	ds_read2_b64 v[99:102], v125 offset0:34 offset1:35
	s_waitcnt lgkmcnt(0)
	v_mul_f64 v[89:90], v[101:102], v[105:106]
	v_fma_f64 v[89:90], v[99:100], v[97:98], -v[89:90]
	v_mul_f64 v[99:100], v[99:100], v[105:106]
	v_add_f64 v[41:42], v[41:42], -v[89:90]
	v_fma_f64 v[99:100], v[101:102], v[97:98], v[99:100]
	v_add_f64 v[43:44], v[43:44], -v[99:100]
	ds_read2_b64 v[99:102], v125 offset0:36 offset1:37
	s_waitcnt lgkmcnt(0)
	v_mul_f64 v[89:90], v[101:102], v[105:106]
	v_fma_f64 v[89:90], v[99:100], v[97:98], -v[89:90]
	v_mul_f64 v[99:100], v[99:100], v[105:106]
	v_add_f64 v[37:38], v[37:38], -v[89:90]
	v_fma_f64 v[99:100], v[101:102], v[97:98], v[99:100]
	v_add_f64 v[39:40], v[39:40], -v[99:100]
	ds_read2_b64 v[99:102], v125 offset0:38 offset1:39
	s_waitcnt lgkmcnt(0)
	v_mul_f64 v[89:90], v[101:102], v[105:106]
	v_fma_f64 v[89:90], v[99:100], v[97:98], -v[89:90]
	v_mul_f64 v[99:100], v[99:100], v[105:106]
	v_add_f64 v[33:34], v[33:34], -v[89:90]
	v_fma_f64 v[99:100], v[101:102], v[97:98], v[99:100]
	v_add_f64 v[35:36], v[35:36], -v[99:100]
	ds_read2_b64 v[99:102], v125 offset0:40 offset1:41
	s_waitcnt lgkmcnt(0)
	v_mul_f64 v[89:90], v[101:102], v[105:106]
	v_fma_f64 v[89:90], v[99:100], v[97:98], -v[89:90]
	v_mul_f64 v[99:100], v[99:100], v[105:106]
	v_add_f64 v[29:30], v[29:30], -v[89:90]
	v_fma_f64 v[99:100], v[101:102], v[97:98], v[99:100]
	v_add_f64 v[31:32], v[31:32], -v[99:100]
	ds_read2_b64 v[99:102], v125 offset0:42 offset1:43
	s_waitcnt lgkmcnt(0)
	v_mul_f64 v[89:90], v[101:102], v[105:106]
	v_fma_f64 v[89:90], v[99:100], v[97:98], -v[89:90]
	v_mul_f64 v[99:100], v[99:100], v[105:106]
	v_add_f64 v[25:26], v[25:26], -v[89:90]
	v_fma_f64 v[99:100], v[101:102], v[97:98], v[99:100]
	v_add_f64 v[27:28], v[27:28], -v[99:100]
	ds_read2_b64 v[99:102], v125 offset0:44 offset1:45
	s_waitcnt lgkmcnt(0)
	v_mul_f64 v[89:90], v[101:102], v[105:106]
	v_fma_f64 v[89:90], v[99:100], v[97:98], -v[89:90]
	v_mul_f64 v[99:100], v[99:100], v[105:106]
	v_add_f64 v[21:22], v[21:22], -v[89:90]
	v_fma_f64 v[99:100], v[101:102], v[97:98], v[99:100]
	v_add_f64 v[23:24], v[23:24], -v[99:100]
	ds_read2_b64 v[99:102], v125 offset0:46 offset1:47
	s_waitcnt lgkmcnt(0)
	v_mul_f64 v[89:90], v[101:102], v[105:106]
	v_fma_f64 v[89:90], v[99:100], v[97:98], -v[89:90]
	v_mul_f64 v[99:100], v[99:100], v[105:106]
	v_add_f64 v[17:18], v[17:18], -v[89:90]
	v_fma_f64 v[99:100], v[101:102], v[97:98], v[99:100]
	v_add_f64 v[19:20], v[19:20], -v[99:100]
	ds_read2_b64 v[99:102], v125 offset0:48 offset1:49
	s_waitcnt lgkmcnt(0)
	v_mul_f64 v[89:90], v[101:102], v[105:106]
	v_fma_f64 v[89:90], v[99:100], v[97:98], -v[89:90]
	v_mul_f64 v[99:100], v[99:100], v[105:106]
	v_add_f64 v[13:14], v[13:14], -v[89:90]
	v_fma_f64 v[99:100], v[101:102], v[97:98], v[99:100]
	v_add_f64 v[15:16], v[15:16], -v[99:100]
	ds_read2_b64 v[99:102], v125 offset0:50 offset1:51
	s_waitcnt lgkmcnt(0)
	v_mul_f64 v[89:90], v[101:102], v[105:106]
	v_fma_f64 v[89:90], v[99:100], v[97:98], -v[89:90]
	v_mul_f64 v[99:100], v[99:100], v[105:106]
	v_add_f64 v[9:10], v[9:10], -v[89:90]
	v_fma_f64 v[99:100], v[101:102], v[97:98], v[99:100]
	v_add_f64 v[11:12], v[11:12], -v[99:100]
	ds_read2_b64 v[99:102], v125 offset0:52 offset1:53
	s_waitcnt lgkmcnt(0)
	v_mul_f64 v[89:90], v[101:102], v[105:106]
	v_fma_f64 v[89:90], v[99:100], v[97:98], -v[89:90]
	v_mul_f64 v[99:100], v[99:100], v[105:106]
	v_add_f64 v[5:6], v[5:6], -v[89:90]
	v_fma_f64 v[99:100], v[101:102], v[97:98], v[99:100]
	v_add_f64 v[7:8], v[7:8], -v[99:100]
	ds_read2_b64 v[99:102], v125 offset0:54 offset1:55
	s_waitcnt lgkmcnt(0)
	v_mul_f64 v[89:90], v[101:102], v[105:106]
	v_fma_f64 v[89:90], v[99:100], v[97:98], -v[89:90]
	v_mul_f64 v[99:100], v[99:100], v[105:106]
	v_add_f64 v[1:2], v[1:2], -v[89:90]
	v_fma_f64 v[99:100], v[101:102], v[97:98], v[99:100]
	v_add_f64 v[3:4], v[3:4], -v[99:100]
	ds_read2_b64 v[99:102], v125 offset0:56 offset1:57
	s_waitcnt lgkmcnt(0)
	v_mul_f64 v[89:90], v[101:102], v[105:106]
	v_fma_f64 v[89:90], v[99:100], v[97:98], -v[89:90]
	v_mul_f64 v[99:100], v[99:100], v[105:106]
	buffer_store_dword v103, off, s[20:23], 0 offset:16 ; 4-byte Folded Spill
	s_nop 0
	buffer_store_dword v104, off, s[20:23], 0 offset:20 ; 4-byte Folded Spill
	buffer_store_dword v105, off, s[20:23], 0 offset:24 ; 4-byte Folded Spill
	;; [unrolled: 1-line block ×3, first 2 shown]
	v_add_f64 v[93:94], v[93:94], -v[89:90]
	v_fma_f64 v[99:100], v[101:102], v[97:98], v[99:100]
	v_add_f64 v[95:96], v[95:96], -v[99:100]
.LBB57_55:
	s_or_b64 exec, exec, s[2:3]
	v_cmp_eq_u32_e32 vcc, 6, v0
	s_waitcnt vmcnt(0)
	s_barrier
	s_and_saveexec_b64 s[4:5], vcc
	s_cbranch_execz .LBB57_62
; %bb.56:
	buffer_load_dword v97, off, s[20:23], 0 ; 4-byte Folded Reload
	buffer_load_dword v98, off, s[20:23], 0 offset:4 ; 4-byte Folded Reload
	buffer_load_dword v99, off, s[20:23], 0 offset:8 ; 4-byte Folded Reload
	;; [unrolled: 1-line block ×3, first 2 shown]
	s_waitcnt vmcnt(0)
	ds_write2_b64 v127, v[97:98], v[99:100] offset1:1
	ds_write2_b64 v125, v[83:84], v[85:86] offset0:14 offset1:15
	ds_write2_b64 v125, v[77:78], v[79:80] offset0:16 offset1:17
	;; [unrolled: 1-line block ×22, first 2 shown]
	ds_read2_b64 v[97:100], v127 offset1:1
	s_waitcnt lgkmcnt(0)
	v_cmp_neq_f64_e32 vcc, 0, v[97:98]
	v_cmp_neq_f64_e64 s[2:3], 0, v[99:100]
	s_or_b64 s[2:3], vcc, s[2:3]
	s_and_b64 exec, exec, s[2:3]
	s_cbranch_execz .LBB57_62
; %bb.57:
	v_cmp_ngt_f64_e64 s[2:3], |v[97:98]|, |v[99:100]|
                                        ; implicit-def: $vgpr101_vgpr102
	s_and_saveexec_b64 s[6:7], s[2:3]
	s_xor_b64 s[2:3], exec, s[6:7]
                                        ; implicit-def: $vgpr103_vgpr104
	s_cbranch_execz .LBB57_59
; %bb.58:
	v_div_scale_f64 v[101:102], s[6:7], v[99:100], v[99:100], v[97:98]
	v_rcp_f64_e32 v[103:104], v[101:102]
	v_fma_f64 v[105:106], -v[101:102], v[103:104], 1.0
	v_fma_f64 v[103:104], v[103:104], v[105:106], v[103:104]
	v_div_scale_f64 v[105:106], vcc, v[97:98], v[99:100], v[97:98]
	v_fma_f64 v[107:108], -v[101:102], v[103:104], 1.0
	v_fma_f64 v[103:104], v[103:104], v[107:108], v[103:104]
	v_mul_f64 v[107:108], v[105:106], v[103:104]
	v_fma_f64 v[101:102], -v[101:102], v[107:108], v[105:106]
	v_div_fmas_f64 v[101:102], v[101:102], v[103:104], v[107:108]
	v_div_fixup_f64 v[101:102], v[101:102], v[99:100], v[97:98]
	v_fma_f64 v[97:98], v[97:98], v[101:102], v[99:100]
	v_div_scale_f64 v[99:100], s[6:7], v[97:98], v[97:98], 1.0
	v_div_scale_f64 v[107:108], vcc, 1.0, v[97:98], 1.0
	v_rcp_f64_e32 v[103:104], v[99:100]
	v_fma_f64 v[105:106], -v[99:100], v[103:104], 1.0
	v_fma_f64 v[103:104], v[103:104], v[105:106], v[103:104]
	v_fma_f64 v[105:106], -v[99:100], v[103:104], 1.0
	v_fma_f64 v[103:104], v[103:104], v[105:106], v[103:104]
	v_mul_f64 v[105:106], v[107:108], v[103:104]
	v_fma_f64 v[99:100], -v[99:100], v[105:106], v[107:108]
	v_div_fmas_f64 v[99:100], v[99:100], v[103:104], v[105:106]
	v_div_fixup_f64 v[103:104], v[99:100], v[97:98], 1.0
                                        ; implicit-def: $vgpr97_vgpr98
	v_mul_f64 v[101:102], v[101:102], v[103:104]
	v_xor_b32_e32 v104, 0x80000000, v104
.LBB57_59:
	s_andn2_saveexec_b64 s[2:3], s[2:3]
	s_cbranch_execz .LBB57_61
; %bb.60:
	v_div_scale_f64 v[101:102], s[6:7], v[97:98], v[97:98], v[99:100]
	v_rcp_f64_e32 v[103:104], v[101:102]
	v_fma_f64 v[105:106], -v[101:102], v[103:104], 1.0
	v_fma_f64 v[103:104], v[103:104], v[105:106], v[103:104]
	v_div_scale_f64 v[105:106], vcc, v[99:100], v[97:98], v[99:100]
	v_fma_f64 v[107:108], -v[101:102], v[103:104], 1.0
	v_fma_f64 v[103:104], v[103:104], v[107:108], v[103:104]
	v_mul_f64 v[107:108], v[105:106], v[103:104]
	v_fma_f64 v[101:102], -v[101:102], v[107:108], v[105:106]
	v_div_fmas_f64 v[101:102], v[101:102], v[103:104], v[107:108]
	v_div_fixup_f64 v[103:104], v[101:102], v[97:98], v[99:100]
	v_fma_f64 v[97:98], v[99:100], v[103:104], v[97:98]
	v_div_scale_f64 v[99:100], s[6:7], v[97:98], v[97:98], 1.0
	v_div_scale_f64 v[107:108], vcc, 1.0, v[97:98], 1.0
	v_rcp_f64_e32 v[101:102], v[99:100]
	v_fma_f64 v[105:106], -v[99:100], v[101:102], 1.0
	v_fma_f64 v[101:102], v[101:102], v[105:106], v[101:102]
	v_fma_f64 v[105:106], -v[99:100], v[101:102], 1.0
	v_fma_f64 v[101:102], v[101:102], v[105:106], v[101:102]
	v_mul_f64 v[105:106], v[107:108], v[101:102]
	v_fma_f64 v[99:100], -v[99:100], v[105:106], v[107:108]
	v_div_fmas_f64 v[99:100], v[99:100], v[101:102], v[105:106]
	v_div_fixup_f64 v[101:102], v[99:100], v[97:98], 1.0
	v_mul_f64 v[103:104], v[103:104], -v[101:102]
.LBB57_61:
	s_or_b64 exec, exec, s[2:3]
	ds_write2_b64 v127, v[101:102], v[103:104] offset1:1
.LBB57_62:
	s_or_b64 exec, exec, s[4:5]
	s_waitcnt lgkmcnt(0)
	s_barrier
	ds_read2_b64 v[97:100], v127 offset1:1
	v_cmp_lt_u32_e32 vcc, 6, v0
	s_waitcnt lgkmcnt(0)
	buffer_store_dword v97, off, s[20:23], 0 offset:424 ; 4-byte Folded Spill
	s_nop 0
	buffer_store_dword v98, off, s[20:23], 0 offset:428 ; 4-byte Folded Spill
	buffer_store_dword v99, off, s[20:23], 0 offset:432 ; 4-byte Folded Spill
	;; [unrolled: 1-line block ×3, first 2 shown]
	s_and_saveexec_b64 s[2:3], vcc
	s_cbranch_execz .LBB57_64
; %bb.63:
	buffer_load_dword v107, off, s[20:23], 0 ; 4-byte Folded Reload
	buffer_load_dword v108, off, s[20:23], 0 offset:4 ; 4-byte Folded Reload
	buffer_load_dword v109, off, s[20:23], 0 offset:8 ; 4-byte Folded Reload
	;; [unrolled: 1-line block ×7, first 2 shown]
	v_mov_b32_e32 v106, v86
	v_mov_b32_e32 v105, v85
	;; [unrolled: 1-line block ×6, first 2 shown]
	s_waitcnt vmcnt(2)
	v_mul_f64 v[87:88], v[99:100], v[109:110]
	s_waitcnt vmcnt(0)
	v_mul_f64 v[97:98], v[101:102], v[109:110]
	v_fma_f64 v[109:110], v[101:102], v[107:108], v[87:88]
	v_mov_b32_e32 v88, v86
	v_fma_f64 v[97:98], v[99:100], v[107:108], -v[97:98]
	ds_read2_b64 v[99:102], v125 offset0:14 offset1:15
	v_mov_b32_e32 v87, v85
	s_waitcnt lgkmcnt(0)
	v_mul_f64 v[85:86], v[101:102], v[109:110]
	v_mov_b32_e32 v108, v98
	v_mov_b32_e32 v107, v97
	v_fma_f64 v[85:86], v[99:100], v[97:98], -v[85:86]
	v_mul_f64 v[99:100], v[99:100], v[109:110]
	v_add_f64 v[103:104], v[103:104], -v[85:86]
	v_fma_f64 v[99:100], v[101:102], v[97:98], v[99:100]
	v_add_f64 v[105:106], v[105:106], -v[99:100]
	ds_read2_b64 v[99:102], v125 offset0:16 offset1:17
	s_waitcnt lgkmcnt(0)
	v_mul_f64 v[85:86], v[101:102], v[109:110]
	v_fma_f64 v[85:86], v[99:100], v[97:98], -v[85:86]
	v_mul_f64 v[99:100], v[99:100], v[109:110]
	v_add_f64 v[77:78], v[77:78], -v[85:86]
	v_fma_f64 v[99:100], v[101:102], v[97:98], v[99:100]
	v_add_f64 v[79:80], v[79:80], -v[99:100]
	ds_read2_b64 v[99:102], v125 offset0:18 offset1:19
	s_waitcnt lgkmcnt(0)
	v_mul_f64 v[85:86], v[101:102], v[109:110]
	;; [unrolled: 8-line block ×21, first 2 shown]
	v_fma_f64 v[85:86], v[99:100], v[97:98], -v[85:86]
	v_mul_f64 v[99:100], v[99:100], v[109:110]
	buffer_store_dword v107, off, s[20:23], 0 ; 4-byte Folded Spill
	s_nop 0
	buffer_store_dword v108, off, s[20:23], 0 offset:4 ; 4-byte Folded Spill
	buffer_store_dword v109, off, s[20:23], 0 offset:8 ; 4-byte Folded Spill
	;; [unrolled: 1-line block ×3, first 2 shown]
	v_add_f64 v[93:94], v[93:94], -v[85:86]
	v_fma_f64 v[99:100], v[101:102], v[97:98], v[99:100]
	v_mov_b32_e32 v83, v103
	v_mov_b32_e32 v84, v104
	;; [unrolled: 1-line block ×4, first 2 shown]
	v_add_f64 v[95:96], v[95:96], -v[99:100]
.LBB57_64:
	s_or_b64 exec, exec, s[2:3]
	v_cmp_eq_u32_e32 vcc, 7, v0
	s_waitcnt vmcnt(0)
	s_barrier
	s_and_saveexec_b64 s[4:5], vcc
	s_cbranch_execz .LBB57_71
; %bb.65:
	ds_write2_b64 v127, v[83:84], v[85:86] offset1:1
	ds_write2_b64 v125, v[77:78], v[79:80] offset0:16 offset1:17
	ds_write2_b64 v125, v[73:74], v[75:76] offset0:18 offset1:19
	;; [unrolled: 1-line block ×21, first 2 shown]
	ds_read2_b64 v[97:100], v127 offset1:1
	s_waitcnt lgkmcnt(0)
	v_cmp_neq_f64_e32 vcc, 0, v[97:98]
	v_cmp_neq_f64_e64 s[2:3], 0, v[99:100]
	s_or_b64 s[2:3], vcc, s[2:3]
	s_and_b64 exec, exec, s[2:3]
	s_cbranch_execz .LBB57_71
; %bb.66:
	v_cmp_ngt_f64_e64 s[2:3], |v[97:98]|, |v[99:100]|
                                        ; implicit-def: $vgpr101_vgpr102
	s_and_saveexec_b64 s[6:7], s[2:3]
	s_xor_b64 s[2:3], exec, s[6:7]
                                        ; implicit-def: $vgpr103_vgpr104
	s_cbranch_execz .LBB57_68
; %bb.67:
	v_div_scale_f64 v[101:102], s[6:7], v[99:100], v[99:100], v[97:98]
	v_rcp_f64_e32 v[103:104], v[101:102]
	v_fma_f64 v[105:106], -v[101:102], v[103:104], 1.0
	v_fma_f64 v[103:104], v[103:104], v[105:106], v[103:104]
	v_div_scale_f64 v[105:106], vcc, v[97:98], v[99:100], v[97:98]
	v_fma_f64 v[107:108], -v[101:102], v[103:104], 1.0
	v_fma_f64 v[103:104], v[103:104], v[107:108], v[103:104]
	v_mul_f64 v[107:108], v[105:106], v[103:104]
	v_fma_f64 v[101:102], -v[101:102], v[107:108], v[105:106]
	v_div_fmas_f64 v[101:102], v[101:102], v[103:104], v[107:108]
	v_div_fixup_f64 v[101:102], v[101:102], v[99:100], v[97:98]
	v_fma_f64 v[97:98], v[97:98], v[101:102], v[99:100]
	v_div_scale_f64 v[99:100], s[6:7], v[97:98], v[97:98], 1.0
	v_div_scale_f64 v[107:108], vcc, 1.0, v[97:98], 1.0
	v_rcp_f64_e32 v[103:104], v[99:100]
	v_fma_f64 v[105:106], -v[99:100], v[103:104], 1.0
	v_fma_f64 v[103:104], v[103:104], v[105:106], v[103:104]
	v_fma_f64 v[105:106], -v[99:100], v[103:104], 1.0
	v_fma_f64 v[103:104], v[103:104], v[105:106], v[103:104]
	v_mul_f64 v[105:106], v[107:108], v[103:104]
	v_fma_f64 v[99:100], -v[99:100], v[105:106], v[107:108]
	v_div_fmas_f64 v[99:100], v[99:100], v[103:104], v[105:106]
	v_div_fixup_f64 v[103:104], v[99:100], v[97:98], 1.0
                                        ; implicit-def: $vgpr97_vgpr98
	v_mul_f64 v[101:102], v[101:102], v[103:104]
	v_xor_b32_e32 v104, 0x80000000, v104
.LBB57_68:
	s_andn2_saveexec_b64 s[2:3], s[2:3]
	s_cbranch_execz .LBB57_70
; %bb.69:
	v_div_scale_f64 v[101:102], s[6:7], v[97:98], v[97:98], v[99:100]
	v_rcp_f64_e32 v[103:104], v[101:102]
	v_fma_f64 v[105:106], -v[101:102], v[103:104], 1.0
	v_fma_f64 v[103:104], v[103:104], v[105:106], v[103:104]
	v_div_scale_f64 v[105:106], vcc, v[99:100], v[97:98], v[99:100]
	v_fma_f64 v[107:108], -v[101:102], v[103:104], 1.0
	v_fma_f64 v[103:104], v[103:104], v[107:108], v[103:104]
	v_mul_f64 v[107:108], v[105:106], v[103:104]
	v_fma_f64 v[101:102], -v[101:102], v[107:108], v[105:106]
	v_div_fmas_f64 v[101:102], v[101:102], v[103:104], v[107:108]
	v_div_fixup_f64 v[103:104], v[101:102], v[97:98], v[99:100]
	v_fma_f64 v[97:98], v[99:100], v[103:104], v[97:98]
	v_div_scale_f64 v[99:100], s[6:7], v[97:98], v[97:98], 1.0
	v_div_scale_f64 v[107:108], vcc, 1.0, v[97:98], 1.0
	v_rcp_f64_e32 v[101:102], v[99:100]
	v_fma_f64 v[105:106], -v[99:100], v[101:102], 1.0
	v_fma_f64 v[101:102], v[101:102], v[105:106], v[101:102]
	v_fma_f64 v[105:106], -v[99:100], v[101:102], 1.0
	v_fma_f64 v[101:102], v[101:102], v[105:106], v[101:102]
	v_mul_f64 v[105:106], v[107:108], v[101:102]
	v_fma_f64 v[99:100], -v[99:100], v[105:106], v[107:108]
	v_div_fmas_f64 v[99:100], v[99:100], v[101:102], v[105:106]
	v_div_fixup_f64 v[101:102], v[99:100], v[97:98], 1.0
	v_mul_f64 v[103:104], v[103:104], -v[101:102]
.LBB57_70:
	s_or_b64 exec, exec, s[2:3]
	ds_write2_b64 v127, v[101:102], v[103:104] offset1:1
.LBB57_71:
	s_or_b64 exec, exec, s[4:5]
	s_waitcnt lgkmcnt(0)
	s_barrier
	ds_read2_b64 v[97:100], v127 offset1:1
	v_cmp_lt_u32_e32 vcc, 7, v0
	s_waitcnt lgkmcnt(0)
	buffer_store_dword v97, off, s[20:23], 0 offset:440 ; 4-byte Folded Spill
	s_nop 0
	buffer_store_dword v98, off, s[20:23], 0 offset:444 ; 4-byte Folded Spill
	buffer_store_dword v99, off, s[20:23], 0 offset:448 ; 4-byte Folded Spill
	;; [unrolled: 1-line block ×3, first 2 shown]
	s_and_saveexec_b64 s[2:3], vcc
	s_cbranch_execz .LBB57_73
; %bb.72:
	buffer_load_dword v105, off, s[20:23], 0 offset:440 ; 4-byte Folded Reload
	buffer_load_dword v106, off, s[20:23], 0 offset:444 ; 4-byte Folded Reload
	buffer_load_dword v107, off, s[20:23], 0 offset:448 ; 4-byte Folded Reload
	buffer_load_dword v108, off, s[20:23], 0 offset:452 ; 4-byte Folded Reload
	v_mov_b32_e32 v104, v86
	v_mov_b32_e32 v103, v85
	;; [unrolled: 1-line block ×4, first 2 shown]
	s_waitcnt vmcnt(0)
	v_mul_f64 v[97:98], v[107:108], v[85:86]
	v_mov_b32_e32 v86, v82
	v_mov_b32_e32 v85, v81
	v_fma_f64 v[97:98], v[105:106], v[83:84], -v[97:98]
	v_mul_f64 v[83:84], v[105:106], v[103:104]
	v_fma_f64 v[103:104], v[107:108], v[101:102], v[83:84]
	ds_read2_b64 v[99:102], v125 offset0:16 offset1:17
	v_mov_b32_e32 v83, v97
	v_mov_b32_e32 v84, v98
	s_waitcnt lgkmcnt(0)
	v_mul_f64 v[81:82], v[101:102], v[103:104]
	v_fma_f64 v[81:82], v[99:100], v[97:98], -v[81:82]
	v_mul_f64 v[99:100], v[99:100], v[103:104]
	v_add_f64 v[77:78], v[77:78], -v[81:82]
	v_fma_f64 v[99:100], v[101:102], v[97:98], v[99:100]
	v_add_f64 v[79:80], v[79:80], -v[99:100]
	ds_read2_b64 v[99:102], v125 offset0:18 offset1:19
	s_waitcnt lgkmcnt(0)
	v_mul_f64 v[81:82], v[101:102], v[103:104]
	v_fma_f64 v[81:82], v[99:100], v[97:98], -v[81:82]
	v_mul_f64 v[99:100], v[99:100], v[103:104]
	v_add_f64 v[73:74], v[73:74], -v[81:82]
	v_fma_f64 v[99:100], v[101:102], v[97:98], v[99:100]
	v_add_f64 v[75:76], v[75:76], -v[99:100]
	ds_read2_b64 v[99:102], v125 offset0:20 offset1:21
	s_waitcnt lgkmcnt(0)
	v_mul_f64 v[81:82], v[101:102], v[103:104]
	v_fma_f64 v[81:82], v[99:100], v[97:98], -v[81:82]
	v_mul_f64 v[99:100], v[99:100], v[103:104]
	v_add_f64 v[69:70], v[69:70], -v[81:82]
	v_fma_f64 v[99:100], v[101:102], v[97:98], v[99:100]
	v_add_f64 v[71:72], v[71:72], -v[99:100]
	ds_read2_b64 v[99:102], v125 offset0:22 offset1:23
	s_waitcnt lgkmcnt(0)
	v_mul_f64 v[81:82], v[101:102], v[103:104]
	v_fma_f64 v[81:82], v[99:100], v[97:98], -v[81:82]
	v_mul_f64 v[99:100], v[99:100], v[103:104]
	v_add_f64 v[65:66], v[65:66], -v[81:82]
	v_fma_f64 v[99:100], v[101:102], v[97:98], v[99:100]
	v_add_f64 v[67:68], v[67:68], -v[99:100]
	ds_read2_b64 v[99:102], v125 offset0:24 offset1:25
	s_waitcnt lgkmcnt(0)
	v_mul_f64 v[81:82], v[101:102], v[103:104]
	v_fma_f64 v[81:82], v[99:100], v[97:98], -v[81:82]
	v_mul_f64 v[99:100], v[99:100], v[103:104]
	v_add_f64 v[61:62], v[61:62], -v[81:82]
	v_fma_f64 v[99:100], v[101:102], v[97:98], v[99:100]
	v_add_f64 v[63:64], v[63:64], -v[99:100]
	ds_read2_b64 v[99:102], v125 offset0:26 offset1:27
	s_waitcnt lgkmcnt(0)
	v_mul_f64 v[81:82], v[101:102], v[103:104]
	v_fma_f64 v[81:82], v[99:100], v[97:98], -v[81:82]
	v_mul_f64 v[99:100], v[99:100], v[103:104]
	v_add_f64 v[57:58], v[57:58], -v[81:82]
	v_fma_f64 v[99:100], v[101:102], v[97:98], v[99:100]
	v_add_f64 v[59:60], v[59:60], -v[99:100]
	ds_read2_b64 v[99:102], v125 offset0:28 offset1:29
	s_waitcnt lgkmcnt(0)
	v_mul_f64 v[81:82], v[101:102], v[103:104]
	v_fma_f64 v[81:82], v[99:100], v[97:98], -v[81:82]
	v_mul_f64 v[99:100], v[99:100], v[103:104]
	v_add_f64 v[53:54], v[53:54], -v[81:82]
	v_fma_f64 v[99:100], v[101:102], v[97:98], v[99:100]
	v_add_f64 v[55:56], v[55:56], -v[99:100]
	ds_read2_b64 v[99:102], v125 offset0:30 offset1:31
	s_waitcnt lgkmcnt(0)
	v_mul_f64 v[81:82], v[101:102], v[103:104]
	v_fma_f64 v[81:82], v[99:100], v[97:98], -v[81:82]
	v_mul_f64 v[99:100], v[99:100], v[103:104]
	v_add_f64 v[49:50], v[49:50], -v[81:82]
	v_fma_f64 v[99:100], v[101:102], v[97:98], v[99:100]
	v_add_f64 v[51:52], v[51:52], -v[99:100]
	ds_read2_b64 v[99:102], v125 offset0:32 offset1:33
	s_waitcnt lgkmcnt(0)
	v_mul_f64 v[81:82], v[101:102], v[103:104]
	v_fma_f64 v[81:82], v[99:100], v[97:98], -v[81:82]
	v_mul_f64 v[99:100], v[99:100], v[103:104]
	v_add_f64 v[45:46], v[45:46], -v[81:82]
	v_fma_f64 v[99:100], v[101:102], v[97:98], v[99:100]
	v_add_f64 v[47:48], v[47:48], -v[99:100]
	ds_read2_b64 v[99:102], v125 offset0:34 offset1:35
	s_waitcnt lgkmcnt(0)
	v_mul_f64 v[81:82], v[101:102], v[103:104]
	v_fma_f64 v[81:82], v[99:100], v[97:98], -v[81:82]
	v_mul_f64 v[99:100], v[99:100], v[103:104]
	v_add_f64 v[41:42], v[41:42], -v[81:82]
	v_fma_f64 v[99:100], v[101:102], v[97:98], v[99:100]
	v_add_f64 v[43:44], v[43:44], -v[99:100]
	ds_read2_b64 v[99:102], v125 offset0:36 offset1:37
	s_waitcnt lgkmcnt(0)
	v_mul_f64 v[81:82], v[101:102], v[103:104]
	v_fma_f64 v[81:82], v[99:100], v[97:98], -v[81:82]
	v_mul_f64 v[99:100], v[99:100], v[103:104]
	v_add_f64 v[37:38], v[37:38], -v[81:82]
	v_fma_f64 v[99:100], v[101:102], v[97:98], v[99:100]
	v_add_f64 v[39:40], v[39:40], -v[99:100]
	ds_read2_b64 v[99:102], v125 offset0:38 offset1:39
	s_waitcnt lgkmcnt(0)
	v_mul_f64 v[81:82], v[101:102], v[103:104]
	v_fma_f64 v[81:82], v[99:100], v[97:98], -v[81:82]
	v_mul_f64 v[99:100], v[99:100], v[103:104]
	v_add_f64 v[33:34], v[33:34], -v[81:82]
	v_fma_f64 v[99:100], v[101:102], v[97:98], v[99:100]
	v_add_f64 v[35:36], v[35:36], -v[99:100]
	ds_read2_b64 v[99:102], v125 offset0:40 offset1:41
	s_waitcnt lgkmcnt(0)
	v_mul_f64 v[81:82], v[101:102], v[103:104]
	v_fma_f64 v[81:82], v[99:100], v[97:98], -v[81:82]
	v_mul_f64 v[99:100], v[99:100], v[103:104]
	v_add_f64 v[29:30], v[29:30], -v[81:82]
	v_fma_f64 v[99:100], v[101:102], v[97:98], v[99:100]
	v_add_f64 v[31:32], v[31:32], -v[99:100]
	ds_read2_b64 v[99:102], v125 offset0:42 offset1:43
	s_waitcnt lgkmcnt(0)
	v_mul_f64 v[81:82], v[101:102], v[103:104]
	v_fma_f64 v[81:82], v[99:100], v[97:98], -v[81:82]
	v_mul_f64 v[99:100], v[99:100], v[103:104]
	v_add_f64 v[25:26], v[25:26], -v[81:82]
	v_fma_f64 v[99:100], v[101:102], v[97:98], v[99:100]
	v_add_f64 v[27:28], v[27:28], -v[99:100]
	ds_read2_b64 v[99:102], v125 offset0:44 offset1:45
	s_waitcnt lgkmcnt(0)
	v_mul_f64 v[81:82], v[101:102], v[103:104]
	v_fma_f64 v[81:82], v[99:100], v[97:98], -v[81:82]
	v_mul_f64 v[99:100], v[99:100], v[103:104]
	v_add_f64 v[21:22], v[21:22], -v[81:82]
	v_fma_f64 v[99:100], v[101:102], v[97:98], v[99:100]
	v_add_f64 v[23:24], v[23:24], -v[99:100]
	ds_read2_b64 v[99:102], v125 offset0:46 offset1:47
	s_waitcnt lgkmcnt(0)
	v_mul_f64 v[81:82], v[101:102], v[103:104]
	v_fma_f64 v[81:82], v[99:100], v[97:98], -v[81:82]
	v_mul_f64 v[99:100], v[99:100], v[103:104]
	v_add_f64 v[17:18], v[17:18], -v[81:82]
	v_fma_f64 v[99:100], v[101:102], v[97:98], v[99:100]
	v_add_f64 v[19:20], v[19:20], -v[99:100]
	ds_read2_b64 v[99:102], v125 offset0:48 offset1:49
	s_waitcnt lgkmcnt(0)
	v_mul_f64 v[81:82], v[101:102], v[103:104]
	v_fma_f64 v[81:82], v[99:100], v[97:98], -v[81:82]
	v_mul_f64 v[99:100], v[99:100], v[103:104]
	v_add_f64 v[13:14], v[13:14], -v[81:82]
	v_fma_f64 v[99:100], v[101:102], v[97:98], v[99:100]
	v_add_f64 v[15:16], v[15:16], -v[99:100]
	ds_read2_b64 v[99:102], v125 offset0:50 offset1:51
	s_waitcnt lgkmcnt(0)
	v_mul_f64 v[81:82], v[101:102], v[103:104]
	v_fma_f64 v[81:82], v[99:100], v[97:98], -v[81:82]
	v_mul_f64 v[99:100], v[99:100], v[103:104]
	v_add_f64 v[9:10], v[9:10], -v[81:82]
	v_fma_f64 v[99:100], v[101:102], v[97:98], v[99:100]
	v_add_f64 v[11:12], v[11:12], -v[99:100]
	ds_read2_b64 v[99:102], v125 offset0:52 offset1:53
	s_waitcnt lgkmcnt(0)
	v_mul_f64 v[81:82], v[101:102], v[103:104]
	v_fma_f64 v[81:82], v[99:100], v[97:98], -v[81:82]
	v_mul_f64 v[99:100], v[99:100], v[103:104]
	v_add_f64 v[5:6], v[5:6], -v[81:82]
	v_fma_f64 v[99:100], v[101:102], v[97:98], v[99:100]
	v_add_f64 v[7:8], v[7:8], -v[99:100]
	ds_read2_b64 v[99:102], v125 offset0:54 offset1:55
	s_waitcnt lgkmcnt(0)
	v_mul_f64 v[81:82], v[101:102], v[103:104]
	v_fma_f64 v[81:82], v[99:100], v[97:98], -v[81:82]
	v_mul_f64 v[99:100], v[99:100], v[103:104]
	v_add_f64 v[1:2], v[1:2], -v[81:82]
	v_fma_f64 v[99:100], v[101:102], v[97:98], v[99:100]
	v_add_f64 v[3:4], v[3:4], -v[99:100]
	ds_read2_b64 v[99:102], v125 offset0:56 offset1:57
	s_waitcnt lgkmcnt(0)
	v_mul_f64 v[81:82], v[101:102], v[103:104]
	v_fma_f64 v[81:82], v[99:100], v[97:98], -v[81:82]
	v_mul_f64 v[99:100], v[99:100], v[103:104]
	v_add_f64 v[93:94], v[93:94], -v[81:82]
	v_fma_f64 v[99:100], v[101:102], v[97:98], v[99:100]
	v_mov_b32_e32 v81, v85
	v_mov_b32_e32 v82, v86
	;; [unrolled: 1-line block ×4, first 2 shown]
	v_add_f64 v[95:96], v[95:96], -v[99:100]
.LBB57_73:
	s_or_b64 exec, exec, s[2:3]
	v_cmp_eq_u32_e32 vcc, 8, v0
	s_waitcnt vmcnt(0)
	s_barrier
	s_and_saveexec_b64 s[4:5], vcc
	s_cbranch_execz .LBB57_80
; %bb.74:
	ds_write2_b64 v127, v[77:78], v[79:80] offset1:1
	ds_write2_b64 v125, v[73:74], v[75:76] offset0:18 offset1:19
	ds_write2_b64 v125, v[69:70], v[71:72] offset0:20 offset1:21
	;; [unrolled: 1-line block ×20, first 2 shown]
	ds_read2_b64 v[97:100], v127 offset1:1
	s_waitcnt lgkmcnt(0)
	v_cmp_neq_f64_e32 vcc, 0, v[97:98]
	v_cmp_neq_f64_e64 s[2:3], 0, v[99:100]
	s_or_b64 s[2:3], vcc, s[2:3]
	s_and_b64 exec, exec, s[2:3]
	s_cbranch_execz .LBB57_80
; %bb.75:
	v_cmp_ngt_f64_e64 s[2:3], |v[97:98]|, |v[99:100]|
                                        ; implicit-def: $vgpr101_vgpr102
	s_and_saveexec_b64 s[6:7], s[2:3]
	s_xor_b64 s[2:3], exec, s[6:7]
                                        ; implicit-def: $vgpr103_vgpr104
	s_cbranch_execz .LBB57_77
; %bb.76:
	v_div_scale_f64 v[101:102], s[6:7], v[99:100], v[99:100], v[97:98]
	v_rcp_f64_e32 v[103:104], v[101:102]
	v_fma_f64 v[105:106], -v[101:102], v[103:104], 1.0
	v_fma_f64 v[103:104], v[103:104], v[105:106], v[103:104]
	v_div_scale_f64 v[105:106], vcc, v[97:98], v[99:100], v[97:98]
	v_fma_f64 v[107:108], -v[101:102], v[103:104], 1.0
	v_fma_f64 v[103:104], v[103:104], v[107:108], v[103:104]
	v_mul_f64 v[107:108], v[105:106], v[103:104]
	v_fma_f64 v[101:102], -v[101:102], v[107:108], v[105:106]
	v_div_fmas_f64 v[101:102], v[101:102], v[103:104], v[107:108]
	v_div_fixup_f64 v[101:102], v[101:102], v[99:100], v[97:98]
	v_fma_f64 v[97:98], v[97:98], v[101:102], v[99:100]
	v_div_scale_f64 v[99:100], s[6:7], v[97:98], v[97:98], 1.0
	v_div_scale_f64 v[107:108], vcc, 1.0, v[97:98], 1.0
	v_rcp_f64_e32 v[103:104], v[99:100]
	v_fma_f64 v[105:106], -v[99:100], v[103:104], 1.0
	v_fma_f64 v[103:104], v[103:104], v[105:106], v[103:104]
	v_fma_f64 v[105:106], -v[99:100], v[103:104], 1.0
	v_fma_f64 v[103:104], v[103:104], v[105:106], v[103:104]
	v_mul_f64 v[105:106], v[107:108], v[103:104]
	v_fma_f64 v[99:100], -v[99:100], v[105:106], v[107:108]
	v_div_fmas_f64 v[99:100], v[99:100], v[103:104], v[105:106]
	v_div_fixup_f64 v[103:104], v[99:100], v[97:98], 1.0
                                        ; implicit-def: $vgpr97_vgpr98
	v_mul_f64 v[101:102], v[101:102], v[103:104]
	v_xor_b32_e32 v104, 0x80000000, v104
.LBB57_77:
	s_andn2_saveexec_b64 s[2:3], s[2:3]
	s_cbranch_execz .LBB57_79
; %bb.78:
	v_div_scale_f64 v[101:102], s[6:7], v[97:98], v[97:98], v[99:100]
	v_rcp_f64_e32 v[103:104], v[101:102]
	v_fma_f64 v[105:106], -v[101:102], v[103:104], 1.0
	v_fma_f64 v[103:104], v[103:104], v[105:106], v[103:104]
	v_div_scale_f64 v[105:106], vcc, v[99:100], v[97:98], v[99:100]
	v_fma_f64 v[107:108], -v[101:102], v[103:104], 1.0
	v_fma_f64 v[103:104], v[103:104], v[107:108], v[103:104]
	v_mul_f64 v[107:108], v[105:106], v[103:104]
	v_fma_f64 v[101:102], -v[101:102], v[107:108], v[105:106]
	v_div_fmas_f64 v[101:102], v[101:102], v[103:104], v[107:108]
	v_div_fixup_f64 v[103:104], v[101:102], v[97:98], v[99:100]
	v_fma_f64 v[97:98], v[99:100], v[103:104], v[97:98]
	v_div_scale_f64 v[99:100], s[6:7], v[97:98], v[97:98], 1.0
	v_div_scale_f64 v[107:108], vcc, 1.0, v[97:98], 1.0
	v_rcp_f64_e32 v[101:102], v[99:100]
	v_fma_f64 v[105:106], -v[99:100], v[101:102], 1.0
	v_fma_f64 v[101:102], v[101:102], v[105:106], v[101:102]
	v_fma_f64 v[105:106], -v[99:100], v[101:102], 1.0
	v_fma_f64 v[101:102], v[101:102], v[105:106], v[101:102]
	v_mul_f64 v[105:106], v[107:108], v[101:102]
	v_fma_f64 v[99:100], -v[99:100], v[105:106], v[107:108]
	v_div_fmas_f64 v[99:100], v[99:100], v[101:102], v[105:106]
	v_div_fixup_f64 v[101:102], v[99:100], v[97:98], 1.0
	v_mul_f64 v[103:104], v[103:104], -v[101:102]
.LBB57_79:
	s_or_b64 exec, exec, s[2:3]
	ds_write2_b64 v127, v[101:102], v[103:104] offset1:1
.LBB57_80:
	s_or_b64 exec, exec, s[4:5]
	s_waitcnt lgkmcnt(0)
	s_barrier
	ds_read2_b64 v[97:100], v127 offset1:1
	v_cmp_lt_u32_e32 vcc, 8, v0
	s_waitcnt lgkmcnt(0)
	buffer_store_dword v97, off, s[20:23], 0 offset:456 ; 4-byte Folded Spill
	s_nop 0
	buffer_store_dword v98, off, s[20:23], 0 offset:460 ; 4-byte Folded Spill
	buffer_store_dword v99, off, s[20:23], 0 offset:464 ; 4-byte Folded Spill
	;; [unrolled: 1-line block ×3, first 2 shown]
	s_and_saveexec_b64 s[2:3], vcc
	s_cbranch_execz .LBB57_82
; %bb.81:
	buffer_load_dword v99, off, s[20:23], 0 offset:456 ; 4-byte Folded Reload
	buffer_load_dword v100, off, s[20:23], 0 offset:460 ; 4-byte Folded Reload
	;; [unrolled: 1-line block ×4, first 2 shown]
	s_waitcnt vmcnt(0)
	v_mul_f64 v[97:98], v[101:102], v[79:80]
	v_mul_f64 v[79:80], v[99:100], v[79:80]
	v_fma_f64 v[97:98], v[99:100], v[77:78], -v[97:98]
	v_fma_f64 v[79:80], v[101:102], v[77:78], v[79:80]
	ds_read2_b64 v[99:102], v125 offset0:18 offset1:19
	s_waitcnt lgkmcnt(0)
	v_mul_f64 v[77:78], v[101:102], v[79:80]
	v_fma_f64 v[77:78], v[99:100], v[97:98], -v[77:78]
	v_mul_f64 v[99:100], v[99:100], v[79:80]
	v_add_f64 v[73:74], v[73:74], -v[77:78]
	v_fma_f64 v[99:100], v[101:102], v[97:98], v[99:100]
	v_add_f64 v[75:76], v[75:76], -v[99:100]
	ds_read2_b64 v[99:102], v125 offset0:20 offset1:21
	s_waitcnt lgkmcnt(0)
	v_mul_f64 v[77:78], v[101:102], v[79:80]
	v_fma_f64 v[77:78], v[99:100], v[97:98], -v[77:78]
	v_mul_f64 v[99:100], v[99:100], v[79:80]
	v_add_f64 v[69:70], v[69:70], -v[77:78]
	v_fma_f64 v[99:100], v[101:102], v[97:98], v[99:100]
	v_add_f64 v[71:72], v[71:72], -v[99:100]
	;; [unrolled: 8-line block ×19, first 2 shown]
	ds_read2_b64 v[99:102], v125 offset0:56 offset1:57
	s_waitcnt lgkmcnt(0)
	v_mul_f64 v[77:78], v[101:102], v[79:80]
	v_fma_f64 v[77:78], v[99:100], v[97:98], -v[77:78]
	v_mul_f64 v[99:100], v[99:100], v[79:80]
	v_add_f64 v[93:94], v[93:94], -v[77:78]
	v_fma_f64 v[99:100], v[101:102], v[97:98], v[99:100]
	v_mov_b32_e32 v77, v97
	v_mov_b32_e32 v78, v98
	v_add_f64 v[95:96], v[95:96], -v[99:100]
.LBB57_82:
	s_or_b64 exec, exec, s[2:3]
	v_cmp_eq_u32_e32 vcc, 9, v0
	s_waitcnt vmcnt(0)
	s_barrier
	s_and_saveexec_b64 s[4:5], vcc
	s_cbranch_execz .LBB57_89
; %bb.83:
	ds_write2_b64 v127, v[73:74], v[75:76] offset1:1
	ds_write2_b64 v125, v[69:70], v[71:72] offset0:20 offset1:21
	ds_write2_b64 v125, v[65:66], v[67:68] offset0:22 offset1:23
	;; [unrolled: 1-line block ×19, first 2 shown]
	ds_read2_b64 v[97:100], v127 offset1:1
	s_waitcnt lgkmcnt(0)
	v_cmp_neq_f64_e32 vcc, 0, v[97:98]
	v_cmp_neq_f64_e64 s[2:3], 0, v[99:100]
	s_or_b64 s[2:3], vcc, s[2:3]
	s_and_b64 exec, exec, s[2:3]
	s_cbranch_execz .LBB57_89
; %bb.84:
	v_cmp_ngt_f64_e64 s[2:3], |v[97:98]|, |v[99:100]|
                                        ; implicit-def: $vgpr101_vgpr102
	s_and_saveexec_b64 s[6:7], s[2:3]
	s_xor_b64 s[2:3], exec, s[6:7]
                                        ; implicit-def: $vgpr103_vgpr104
	s_cbranch_execz .LBB57_86
; %bb.85:
	v_div_scale_f64 v[101:102], s[6:7], v[99:100], v[99:100], v[97:98]
	v_rcp_f64_e32 v[103:104], v[101:102]
	v_fma_f64 v[105:106], -v[101:102], v[103:104], 1.0
	v_fma_f64 v[103:104], v[103:104], v[105:106], v[103:104]
	v_div_scale_f64 v[105:106], vcc, v[97:98], v[99:100], v[97:98]
	v_fma_f64 v[107:108], -v[101:102], v[103:104], 1.0
	v_fma_f64 v[103:104], v[103:104], v[107:108], v[103:104]
	v_mul_f64 v[107:108], v[105:106], v[103:104]
	v_fma_f64 v[101:102], -v[101:102], v[107:108], v[105:106]
	v_div_fmas_f64 v[101:102], v[101:102], v[103:104], v[107:108]
	v_div_fixup_f64 v[101:102], v[101:102], v[99:100], v[97:98]
	v_fma_f64 v[97:98], v[97:98], v[101:102], v[99:100]
	v_div_scale_f64 v[99:100], s[6:7], v[97:98], v[97:98], 1.0
	v_div_scale_f64 v[107:108], vcc, 1.0, v[97:98], 1.0
	v_rcp_f64_e32 v[103:104], v[99:100]
	v_fma_f64 v[105:106], -v[99:100], v[103:104], 1.0
	v_fma_f64 v[103:104], v[103:104], v[105:106], v[103:104]
	v_fma_f64 v[105:106], -v[99:100], v[103:104], 1.0
	v_fma_f64 v[103:104], v[103:104], v[105:106], v[103:104]
	v_mul_f64 v[105:106], v[107:108], v[103:104]
	v_fma_f64 v[99:100], -v[99:100], v[105:106], v[107:108]
	v_div_fmas_f64 v[99:100], v[99:100], v[103:104], v[105:106]
	v_div_fixup_f64 v[103:104], v[99:100], v[97:98], 1.0
                                        ; implicit-def: $vgpr97_vgpr98
	v_mul_f64 v[101:102], v[101:102], v[103:104]
	v_xor_b32_e32 v104, 0x80000000, v104
.LBB57_86:
	s_andn2_saveexec_b64 s[2:3], s[2:3]
	s_cbranch_execz .LBB57_88
; %bb.87:
	v_div_scale_f64 v[101:102], s[6:7], v[97:98], v[97:98], v[99:100]
	v_rcp_f64_e32 v[103:104], v[101:102]
	v_fma_f64 v[105:106], -v[101:102], v[103:104], 1.0
	v_fma_f64 v[103:104], v[103:104], v[105:106], v[103:104]
	v_div_scale_f64 v[105:106], vcc, v[99:100], v[97:98], v[99:100]
	v_fma_f64 v[107:108], -v[101:102], v[103:104], 1.0
	v_fma_f64 v[103:104], v[103:104], v[107:108], v[103:104]
	v_mul_f64 v[107:108], v[105:106], v[103:104]
	v_fma_f64 v[101:102], -v[101:102], v[107:108], v[105:106]
	v_div_fmas_f64 v[101:102], v[101:102], v[103:104], v[107:108]
	v_div_fixup_f64 v[103:104], v[101:102], v[97:98], v[99:100]
	v_fma_f64 v[97:98], v[99:100], v[103:104], v[97:98]
	v_div_scale_f64 v[99:100], s[6:7], v[97:98], v[97:98], 1.0
	v_div_scale_f64 v[107:108], vcc, 1.0, v[97:98], 1.0
	v_rcp_f64_e32 v[101:102], v[99:100]
	v_fma_f64 v[105:106], -v[99:100], v[101:102], 1.0
	v_fma_f64 v[101:102], v[101:102], v[105:106], v[101:102]
	v_fma_f64 v[105:106], -v[99:100], v[101:102], 1.0
	v_fma_f64 v[101:102], v[101:102], v[105:106], v[101:102]
	v_mul_f64 v[105:106], v[107:108], v[101:102]
	v_fma_f64 v[99:100], -v[99:100], v[105:106], v[107:108]
	v_div_fmas_f64 v[99:100], v[99:100], v[101:102], v[105:106]
	v_div_fixup_f64 v[101:102], v[99:100], v[97:98], 1.0
	v_mul_f64 v[103:104], v[103:104], -v[101:102]
.LBB57_88:
	s_or_b64 exec, exec, s[2:3]
	ds_write2_b64 v127, v[101:102], v[103:104] offset1:1
.LBB57_89:
	s_or_b64 exec, exec, s[4:5]
	s_waitcnt lgkmcnt(0)
	s_barrier
	ds_read2_b64 v[97:100], v127 offset1:1
	v_cmp_lt_u32_e32 vcc, 9, v0
	s_waitcnt lgkmcnt(0)
	buffer_store_dword v97, off, s[20:23], 0 offset:472 ; 4-byte Folded Spill
	s_nop 0
	buffer_store_dword v98, off, s[20:23], 0 offset:476 ; 4-byte Folded Spill
	buffer_store_dword v99, off, s[20:23], 0 offset:480 ; 4-byte Folded Spill
	;; [unrolled: 1-line block ×3, first 2 shown]
	s_and_saveexec_b64 s[2:3], vcc
	s_cbranch_execz .LBB57_91
; %bb.90:
	buffer_load_dword v99, off, s[20:23], 0 offset:472 ; 4-byte Folded Reload
	buffer_load_dword v100, off, s[20:23], 0 offset:476 ; 4-byte Folded Reload
	;; [unrolled: 1-line block ×4, first 2 shown]
	s_waitcnt vmcnt(0)
	v_mul_f64 v[97:98], v[101:102], v[75:76]
	v_mul_f64 v[75:76], v[99:100], v[75:76]
	v_fma_f64 v[97:98], v[99:100], v[73:74], -v[97:98]
	v_fma_f64 v[75:76], v[101:102], v[73:74], v[75:76]
	ds_read2_b64 v[99:102], v125 offset0:20 offset1:21
	s_waitcnt lgkmcnt(0)
	v_mul_f64 v[73:74], v[101:102], v[75:76]
	v_fma_f64 v[73:74], v[99:100], v[97:98], -v[73:74]
	v_mul_f64 v[99:100], v[99:100], v[75:76]
	v_add_f64 v[69:70], v[69:70], -v[73:74]
	v_fma_f64 v[99:100], v[101:102], v[97:98], v[99:100]
	v_add_f64 v[71:72], v[71:72], -v[99:100]
	ds_read2_b64 v[99:102], v125 offset0:22 offset1:23
	s_waitcnt lgkmcnt(0)
	v_mul_f64 v[73:74], v[101:102], v[75:76]
	v_fma_f64 v[73:74], v[99:100], v[97:98], -v[73:74]
	v_mul_f64 v[99:100], v[99:100], v[75:76]
	v_add_f64 v[65:66], v[65:66], -v[73:74]
	v_fma_f64 v[99:100], v[101:102], v[97:98], v[99:100]
	v_add_f64 v[67:68], v[67:68], -v[99:100]
	;; [unrolled: 8-line block ×18, first 2 shown]
	ds_read2_b64 v[99:102], v125 offset0:56 offset1:57
	s_waitcnt lgkmcnt(0)
	v_mul_f64 v[73:74], v[101:102], v[75:76]
	v_fma_f64 v[73:74], v[99:100], v[97:98], -v[73:74]
	v_mul_f64 v[99:100], v[99:100], v[75:76]
	v_add_f64 v[93:94], v[93:94], -v[73:74]
	v_fma_f64 v[99:100], v[101:102], v[97:98], v[99:100]
	v_mov_b32_e32 v73, v97
	v_mov_b32_e32 v74, v98
	v_add_f64 v[95:96], v[95:96], -v[99:100]
.LBB57_91:
	s_or_b64 exec, exec, s[2:3]
	v_cmp_eq_u32_e32 vcc, 10, v0
	s_waitcnt vmcnt(0)
	s_barrier
	s_and_saveexec_b64 s[4:5], vcc
	s_cbranch_execz .LBB57_98
; %bb.92:
	ds_write2_b64 v127, v[69:70], v[71:72] offset1:1
	ds_write2_b64 v125, v[65:66], v[67:68] offset0:22 offset1:23
	ds_write2_b64 v125, v[61:62], v[63:64] offset0:24 offset1:25
	;; [unrolled: 1-line block ×18, first 2 shown]
	ds_read2_b64 v[97:100], v127 offset1:1
	s_waitcnt lgkmcnt(0)
	v_cmp_neq_f64_e32 vcc, 0, v[97:98]
	v_cmp_neq_f64_e64 s[2:3], 0, v[99:100]
	s_or_b64 s[2:3], vcc, s[2:3]
	s_and_b64 exec, exec, s[2:3]
	s_cbranch_execz .LBB57_98
; %bb.93:
	v_cmp_ngt_f64_e64 s[2:3], |v[97:98]|, |v[99:100]|
                                        ; implicit-def: $vgpr101_vgpr102
	s_and_saveexec_b64 s[6:7], s[2:3]
	s_xor_b64 s[2:3], exec, s[6:7]
                                        ; implicit-def: $vgpr103_vgpr104
	s_cbranch_execz .LBB57_95
; %bb.94:
	v_div_scale_f64 v[101:102], s[6:7], v[99:100], v[99:100], v[97:98]
	v_rcp_f64_e32 v[103:104], v[101:102]
	v_fma_f64 v[105:106], -v[101:102], v[103:104], 1.0
	v_fma_f64 v[103:104], v[103:104], v[105:106], v[103:104]
	v_div_scale_f64 v[105:106], vcc, v[97:98], v[99:100], v[97:98]
	v_fma_f64 v[107:108], -v[101:102], v[103:104], 1.0
	v_fma_f64 v[103:104], v[103:104], v[107:108], v[103:104]
	v_mul_f64 v[107:108], v[105:106], v[103:104]
	v_fma_f64 v[101:102], -v[101:102], v[107:108], v[105:106]
	v_div_fmas_f64 v[101:102], v[101:102], v[103:104], v[107:108]
	v_div_fixup_f64 v[101:102], v[101:102], v[99:100], v[97:98]
	v_fma_f64 v[97:98], v[97:98], v[101:102], v[99:100]
	v_div_scale_f64 v[99:100], s[6:7], v[97:98], v[97:98], 1.0
	v_div_scale_f64 v[107:108], vcc, 1.0, v[97:98], 1.0
	v_rcp_f64_e32 v[103:104], v[99:100]
	v_fma_f64 v[105:106], -v[99:100], v[103:104], 1.0
	v_fma_f64 v[103:104], v[103:104], v[105:106], v[103:104]
	v_fma_f64 v[105:106], -v[99:100], v[103:104], 1.0
	v_fma_f64 v[103:104], v[103:104], v[105:106], v[103:104]
	v_mul_f64 v[105:106], v[107:108], v[103:104]
	v_fma_f64 v[99:100], -v[99:100], v[105:106], v[107:108]
	v_div_fmas_f64 v[99:100], v[99:100], v[103:104], v[105:106]
	v_div_fixup_f64 v[103:104], v[99:100], v[97:98], 1.0
                                        ; implicit-def: $vgpr97_vgpr98
	v_mul_f64 v[101:102], v[101:102], v[103:104]
	v_xor_b32_e32 v104, 0x80000000, v104
.LBB57_95:
	s_andn2_saveexec_b64 s[2:3], s[2:3]
	s_cbranch_execz .LBB57_97
; %bb.96:
	v_div_scale_f64 v[101:102], s[6:7], v[97:98], v[97:98], v[99:100]
	v_rcp_f64_e32 v[103:104], v[101:102]
	v_fma_f64 v[105:106], -v[101:102], v[103:104], 1.0
	v_fma_f64 v[103:104], v[103:104], v[105:106], v[103:104]
	v_div_scale_f64 v[105:106], vcc, v[99:100], v[97:98], v[99:100]
	v_fma_f64 v[107:108], -v[101:102], v[103:104], 1.0
	v_fma_f64 v[103:104], v[103:104], v[107:108], v[103:104]
	v_mul_f64 v[107:108], v[105:106], v[103:104]
	v_fma_f64 v[101:102], -v[101:102], v[107:108], v[105:106]
	v_div_fmas_f64 v[101:102], v[101:102], v[103:104], v[107:108]
	v_div_fixup_f64 v[103:104], v[101:102], v[97:98], v[99:100]
	v_fma_f64 v[97:98], v[99:100], v[103:104], v[97:98]
	v_div_scale_f64 v[99:100], s[6:7], v[97:98], v[97:98], 1.0
	v_div_scale_f64 v[107:108], vcc, 1.0, v[97:98], 1.0
	v_rcp_f64_e32 v[101:102], v[99:100]
	v_fma_f64 v[105:106], -v[99:100], v[101:102], 1.0
	v_fma_f64 v[101:102], v[101:102], v[105:106], v[101:102]
	v_fma_f64 v[105:106], -v[99:100], v[101:102], 1.0
	v_fma_f64 v[101:102], v[101:102], v[105:106], v[101:102]
	v_mul_f64 v[105:106], v[107:108], v[101:102]
	v_fma_f64 v[99:100], -v[99:100], v[105:106], v[107:108]
	v_div_fmas_f64 v[99:100], v[99:100], v[101:102], v[105:106]
	v_div_fixup_f64 v[101:102], v[99:100], v[97:98], 1.0
	v_mul_f64 v[103:104], v[103:104], -v[101:102]
.LBB57_97:
	s_or_b64 exec, exec, s[2:3]
	ds_write2_b64 v127, v[101:102], v[103:104] offset1:1
.LBB57_98:
	s_or_b64 exec, exec, s[4:5]
	s_waitcnt lgkmcnt(0)
	s_barrier
	ds_read2_b64 v[97:100], v127 offset1:1
	v_cmp_lt_u32_e32 vcc, 10, v0
	s_waitcnt lgkmcnt(0)
	buffer_store_dword v97, off, s[20:23], 0 offset:488 ; 4-byte Folded Spill
	s_nop 0
	buffer_store_dword v98, off, s[20:23], 0 offset:492 ; 4-byte Folded Spill
	buffer_store_dword v99, off, s[20:23], 0 offset:496 ; 4-byte Folded Spill
	;; [unrolled: 1-line block ×3, first 2 shown]
	s_and_saveexec_b64 s[2:3], vcc
	s_cbranch_execz .LBB57_100
; %bb.99:
	buffer_load_dword v99, off, s[20:23], 0 offset:488 ; 4-byte Folded Reload
	buffer_load_dword v100, off, s[20:23], 0 offset:492 ; 4-byte Folded Reload
	;; [unrolled: 1-line block ×4, first 2 shown]
	s_waitcnt vmcnt(0)
	v_mul_f64 v[97:98], v[101:102], v[71:72]
	v_mul_f64 v[71:72], v[99:100], v[71:72]
	v_fma_f64 v[97:98], v[99:100], v[69:70], -v[97:98]
	v_fma_f64 v[71:72], v[101:102], v[69:70], v[71:72]
	ds_read2_b64 v[99:102], v125 offset0:22 offset1:23
	s_waitcnt lgkmcnt(0)
	v_mul_f64 v[69:70], v[101:102], v[71:72]
	v_fma_f64 v[69:70], v[99:100], v[97:98], -v[69:70]
	v_mul_f64 v[99:100], v[99:100], v[71:72]
	v_add_f64 v[65:66], v[65:66], -v[69:70]
	v_fma_f64 v[99:100], v[101:102], v[97:98], v[99:100]
	v_add_f64 v[67:68], v[67:68], -v[99:100]
	ds_read2_b64 v[99:102], v125 offset0:24 offset1:25
	s_waitcnt lgkmcnt(0)
	v_mul_f64 v[69:70], v[101:102], v[71:72]
	v_fma_f64 v[69:70], v[99:100], v[97:98], -v[69:70]
	v_mul_f64 v[99:100], v[99:100], v[71:72]
	v_add_f64 v[61:62], v[61:62], -v[69:70]
	v_fma_f64 v[99:100], v[101:102], v[97:98], v[99:100]
	v_add_f64 v[63:64], v[63:64], -v[99:100]
	;; [unrolled: 8-line block ×17, first 2 shown]
	ds_read2_b64 v[99:102], v125 offset0:56 offset1:57
	s_waitcnt lgkmcnt(0)
	v_mul_f64 v[69:70], v[101:102], v[71:72]
	v_fma_f64 v[69:70], v[99:100], v[97:98], -v[69:70]
	v_mul_f64 v[99:100], v[99:100], v[71:72]
	v_add_f64 v[93:94], v[93:94], -v[69:70]
	v_fma_f64 v[99:100], v[101:102], v[97:98], v[99:100]
	v_mov_b32_e32 v69, v97
	v_mov_b32_e32 v70, v98
	v_add_f64 v[95:96], v[95:96], -v[99:100]
.LBB57_100:
	s_or_b64 exec, exec, s[2:3]
	v_cmp_eq_u32_e32 vcc, 11, v0
	s_waitcnt vmcnt(0)
	s_barrier
	s_and_saveexec_b64 s[4:5], vcc
	s_cbranch_execz .LBB57_107
; %bb.101:
	ds_write2_b64 v127, v[65:66], v[67:68] offset1:1
	ds_write2_b64 v125, v[61:62], v[63:64] offset0:24 offset1:25
	ds_write2_b64 v125, v[57:58], v[59:60] offset0:26 offset1:27
	ds_write2_b64 v125, v[53:54], v[55:56] offset0:28 offset1:29
	ds_write2_b64 v125, v[49:50], v[51:52] offset0:30 offset1:31
	ds_write2_b64 v125, v[45:46], v[47:48] offset0:32 offset1:33
	ds_write2_b64 v125, v[41:42], v[43:44] offset0:34 offset1:35
	ds_write2_b64 v125, v[37:38], v[39:40] offset0:36 offset1:37
	ds_write2_b64 v125, v[33:34], v[35:36] offset0:38 offset1:39
	ds_write2_b64 v125, v[29:30], v[31:32] offset0:40 offset1:41
	ds_write2_b64 v125, v[25:26], v[27:28] offset0:42 offset1:43
	ds_write2_b64 v125, v[21:22], v[23:24] offset0:44 offset1:45
	ds_write2_b64 v125, v[17:18], v[19:20] offset0:46 offset1:47
	ds_write2_b64 v125, v[13:14], v[15:16] offset0:48 offset1:49
	ds_write2_b64 v125, v[9:10], v[11:12] offset0:50 offset1:51
	ds_write2_b64 v125, v[5:6], v[7:8] offset0:52 offset1:53
	ds_write2_b64 v125, v[1:2], v[3:4] offset0:54 offset1:55
	ds_write2_b64 v125, v[93:94], v[95:96] offset0:56 offset1:57
	ds_read2_b64 v[97:100], v127 offset1:1
	s_waitcnt lgkmcnt(0)
	v_cmp_neq_f64_e32 vcc, 0, v[97:98]
	v_cmp_neq_f64_e64 s[2:3], 0, v[99:100]
	s_or_b64 s[2:3], vcc, s[2:3]
	s_and_b64 exec, exec, s[2:3]
	s_cbranch_execz .LBB57_107
; %bb.102:
	v_cmp_ngt_f64_e64 s[2:3], |v[97:98]|, |v[99:100]|
                                        ; implicit-def: $vgpr101_vgpr102
	s_and_saveexec_b64 s[6:7], s[2:3]
	s_xor_b64 s[2:3], exec, s[6:7]
                                        ; implicit-def: $vgpr103_vgpr104
	s_cbranch_execz .LBB57_104
; %bb.103:
	v_div_scale_f64 v[101:102], s[6:7], v[99:100], v[99:100], v[97:98]
	v_rcp_f64_e32 v[103:104], v[101:102]
	v_fma_f64 v[105:106], -v[101:102], v[103:104], 1.0
	v_fma_f64 v[103:104], v[103:104], v[105:106], v[103:104]
	v_div_scale_f64 v[105:106], vcc, v[97:98], v[99:100], v[97:98]
	v_fma_f64 v[107:108], -v[101:102], v[103:104], 1.0
	v_fma_f64 v[103:104], v[103:104], v[107:108], v[103:104]
	v_mul_f64 v[107:108], v[105:106], v[103:104]
	v_fma_f64 v[101:102], -v[101:102], v[107:108], v[105:106]
	v_div_fmas_f64 v[101:102], v[101:102], v[103:104], v[107:108]
	v_div_fixup_f64 v[101:102], v[101:102], v[99:100], v[97:98]
	v_fma_f64 v[97:98], v[97:98], v[101:102], v[99:100]
	v_div_scale_f64 v[99:100], s[6:7], v[97:98], v[97:98], 1.0
	v_div_scale_f64 v[107:108], vcc, 1.0, v[97:98], 1.0
	v_rcp_f64_e32 v[103:104], v[99:100]
	v_fma_f64 v[105:106], -v[99:100], v[103:104], 1.0
	v_fma_f64 v[103:104], v[103:104], v[105:106], v[103:104]
	v_fma_f64 v[105:106], -v[99:100], v[103:104], 1.0
	v_fma_f64 v[103:104], v[103:104], v[105:106], v[103:104]
	v_mul_f64 v[105:106], v[107:108], v[103:104]
	v_fma_f64 v[99:100], -v[99:100], v[105:106], v[107:108]
	v_div_fmas_f64 v[99:100], v[99:100], v[103:104], v[105:106]
	v_div_fixup_f64 v[103:104], v[99:100], v[97:98], 1.0
                                        ; implicit-def: $vgpr97_vgpr98
	v_mul_f64 v[101:102], v[101:102], v[103:104]
	v_xor_b32_e32 v104, 0x80000000, v104
.LBB57_104:
	s_andn2_saveexec_b64 s[2:3], s[2:3]
	s_cbranch_execz .LBB57_106
; %bb.105:
	v_div_scale_f64 v[101:102], s[6:7], v[97:98], v[97:98], v[99:100]
	v_rcp_f64_e32 v[103:104], v[101:102]
	v_fma_f64 v[105:106], -v[101:102], v[103:104], 1.0
	v_fma_f64 v[103:104], v[103:104], v[105:106], v[103:104]
	v_div_scale_f64 v[105:106], vcc, v[99:100], v[97:98], v[99:100]
	v_fma_f64 v[107:108], -v[101:102], v[103:104], 1.0
	v_fma_f64 v[103:104], v[103:104], v[107:108], v[103:104]
	v_mul_f64 v[107:108], v[105:106], v[103:104]
	v_fma_f64 v[101:102], -v[101:102], v[107:108], v[105:106]
	v_div_fmas_f64 v[101:102], v[101:102], v[103:104], v[107:108]
	v_div_fixup_f64 v[103:104], v[101:102], v[97:98], v[99:100]
	v_fma_f64 v[97:98], v[99:100], v[103:104], v[97:98]
	v_div_scale_f64 v[99:100], s[6:7], v[97:98], v[97:98], 1.0
	v_div_scale_f64 v[107:108], vcc, 1.0, v[97:98], 1.0
	v_rcp_f64_e32 v[101:102], v[99:100]
	v_fma_f64 v[105:106], -v[99:100], v[101:102], 1.0
	v_fma_f64 v[101:102], v[101:102], v[105:106], v[101:102]
	v_fma_f64 v[105:106], -v[99:100], v[101:102], 1.0
	v_fma_f64 v[101:102], v[101:102], v[105:106], v[101:102]
	v_mul_f64 v[105:106], v[107:108], v[101:102]
	v_fma_f64 v[99:100], -v[99:100], v[105:106], v[107:108]
	v_div_fmas_f64 v[99:100], v[99:100], v[101:102], v[105:106]
	v_div_fixup_f64 v[101:102], v[99:100], v[97:98], 1.0
	v_mul_f64 v[103:104], v[103:104], -v[101:102]
.LBB57_106:
	s_or_b64 exec, exec, s[2:3]
	ds_write2_b64 v127, v[101:102], v[103:104] offset1:1
.LBB57_107:
	s_or_b64 exec, exec, s[4:5]
	s_waitcnt lgkmcnt(0)
	s_barrier
	ds_read2_b64 v[97:100], v127 offset1:1
	v_cmp_lt_u32_e32 vcc, 11, v0
	s_waitcnt lgkmcnt(0)
	buffer_store_dword v97, off, s[20:23], 0 offset:504 ; 4-byte Folded Spill
	s_nop 0
	buffer_store_dword v98, off, s[20:23], 0 offset:508 ; 4-byte Folded Spill
	buffer_store_dword v99, off, s[20:23], 0 offset:512 ; 4-byte Folded Spill
	;; [unrolled: 1-line block ×3, first 2 shown]
	s_and_saveexec_b64 s[2:3], vcc
	s_cbranch_execz .LBB57_109
; %bb.108:
	buffer_load_dword v99, off, s[20:23], 0 offset:504 ; 4-byte Folded Reload
	buffer_load_dword v100, off, s[20:23], 0 offset:508 ; 4-byte Folded Reload
	;; [unrolled: 1-line block ×4, first 2 shown]
	s_waitcnt vmcnt(0)
	v_mul_f64 v[97:98], v[101:102], v[67:68]
	v_mul_f64 v[67:68], v[99:100], v[67:68]
	v_fma_f64 v[97:98], v[99:100], v[65:66], -v[97:98]
	v_fma_f64 v[67:68], v[101:102], v[65:66], v[67:68]
	ds_read2_b64 v[99:102], v125 offset0:24 offset1:25
	s_waitcnt lgkmcnt(0)
	v_mul_f64 v[65:66], v[101:102], v[67:68]
	v_fma_f64 v[65:66], v[99:100], v[97:98], -v[65:66]
	v_mul_f64 v[99:100], v[99:100], v[67:68]
	v_add_f64 v[61:62], v[61:62], -v[65:66]
	v_fma_f64 v[99:100], v[101:102], v[97:98], v[99:100]
	v_add_f64 v[63:64], v[63:64], -v[99:100]
	ds_read2_b64 v[99:102], v125 offset0:26 offset1:27
	s_waitcnt lgkmcnt(0)
	v_mul_f64 v[65:66], v[101:102], v[67:68]
	v_fma_f64 v[65:66], v[99:100], v[97:98], -v[65:66]
	v_mul_f64 v[99:100], v[99:100], v[67:68]
	v_add_f64 v[57:58], v[57:58], -v[65:66]
	v_fma_f64 v[99:100], v[101:102], v[97:98], v[99:100]
	v_add_f64 v[59:60], v[59:60], -v[99:100]
	;; [unrolled: 8-line block ×16, first 2 shown]
	ds_read2_b64 v[99:102], v125 offset0:56 offset1:57
	s_waitcnt lgkmcnt(0)
	v_mul_f64 v[65:66], v[101:102], v[67:68]
	v_fma_f64 v[65:66], v[99:100], v[97:98], -v[65:66]
	v_mul_f64 v[99:100], v[99:100], v[67:68]
	v_add_f64 v[93:94], v[93:94], -v[65:66]
	v_fma_f64 v[99:100], v[101:102], v[97:98], v[99:100]
	v_mov_b32_e32 v65, v97
	v_mov_b32_e32 v66, v98
	v_add_f64 v[95:96], v[95:96], -v[99:100]
.LBB57_109:
	s_or_b64 exec, exec, s[2:3]
	v_cmp_eq_u32_e32 vcc, 12, v0
	s_waitcnt vmcnt(0)
	s_barrier
	s_and_saveexec_b64 s[4:5], vcc
	s_cbranch_execz .LBB57_116
; %bb.110:
	ds_write2_b64 v127, v[61:62], v[63:64] offset1:1
	ds_write2_b64 v125, v[57:58], v[59:60] offset0:26 offset1:27
	ds_write2_b64 v125, v[53:54], v[55:56] offset0:28 offset1:29
	ds_write2_b64 v125, v[49:50], v[51:52] offset0:30 offset1:31
	ds_write2_b64 v125, v[45:46], v[47:48] offset0:32 offset1:33
	ds_write2_b64 v125, v[41:42], v[43:44] offset0:34 offset1:35
	ds_write2_b64 v125, v[37:38], v[39:40] offset0:36 offset1:37
	ds_write2_b64 v125, v[33:34], v[35:36] offset0:38 offset1:39
	ds_write2_b64 v125, v[29:30], v[31:32] offset0:40 offset1:41
	ds_write2_b64 v125, v[25:26], v[27:28] offset0:42 offset1:43
	ds_write2_b64 v125, v[21:22], v[23:24] offset0:44 offset1:45
	ds_write2_b64 v125, v[17:18], v[19:20] offset0:46 offset1:47
	ds_write2_b64 v125, v[13:14], v[15:16] offset0:48 offset1:49
	ds_write2_b64 v125, v[9:10], v[11:12] offset0:50 offset1:51
	ds_write2_b64 v125, v[5:6], v[7:8] offset0:52 offset1:53
	ds_write2_b64 v125, v[1:2], v[3:4] offset0:54 offset1:55
	ds_write2_b64 v125, v[93:94], v[95:96] offset0:56 offset1:57
	ds_read2_b64 v[97:100], v127 offset1:1
	s_waitcnt lgkmcnt(0)
	v_cmp_neq_f64_e32 vcc, 0, v[97:98]
	v_cmp_neq_f64_e64 s[2:3], 0, v[99:100]
	s_or_b64 s[2:3], vcc, s[2:3]
	s_and_b64 exec, exec, s[2:3]
	s_cbranch_execz .LBB57_116
; %bb.111:
	v_cmp_ngt_f64_e64 s[2:3], |v[97:98]|, |v[99:100]|
                                        ; implicit-def: $vgpr101_vgpr102
	s_and_saveexec_b64 s[6:7], s[2:3]
	s_xor_b64 s[2:3], exec, s[6:7]
                                        ; implicit-def: $vgpr103_vgpr104
	s_cbranch_execz .LBB57_113
; %bb.112:
	v_div_scale_f64 v[101:102], s[6:7], v[99:100], v[99:100], v[97:98]
	v_rcp_f64_e32 v[103:104], v[101:102]
	v_fma_f64 v[105:106], -v[101:102], v[103:104], 1.0
	v_fma_f64 v[103:104], v[103:104], v[105:106], v[103:104]
	v_div_scale_f64 v[105:106], vcc, v[97:98], v[99:100], v[97:98]
	v_fma_f64 v[107:108], -v[101:102], v[103:104], 1.0
	v_fma_f64 v[103:104], v[103:104], v[107:108], v[103:104]
	v_mul_f64 v[107:108], v[105:106], v[103:104]
	v_fma_f64 v[101:102], -v[101:102], v[107:108], v[105:106]
	v_div_fmas_f64 v[101:102], v[101:102], v[103:104], v[107:108]
	v_div_fixup_f64 v[101:102], v[101:102], v[99:100], v[97:98]
	v_fma_f64 v[97:98], v[97:98], v[101:102], v[99:100]
	v_div_scale_f64 v[99:100], s[6:7], v[97:98], v[97:98], 1.0
	v_div_scale_f64 v[107:108], vcc, 1.0, v[97:98], 1.0
	v_rcp_f64_e32 v[103:104], v[99:100]
	v_fma_f64 v[105:106], -v[99:100], v[103:104], 1.0
	v_fma_f64 v[103:104], v[103:104], v[105:106], v[103:104]
	v_fma_f64 v[105:106], -v[99:100], v[103:104], 1.0
	v_fma_f64 v[103:104], v[103:104], v[105:106], v[103:104]
	v_mul_f64 v[105:106], v[107:108], v[103:104]
	v_fma_f64 v[99:100], -v[99:100], v[105:106], v[107:108]
	v_div_fmas_f64 v[99:100], v[99:100], v[103:104], v[105:106]
	v_div_fixup_f64 v[103:104], v[99:100], v[97:98], 1.0
                                        ; implicit-def: $vgpr97_vgpr98
	v_mul_f64 v[101:102], v[101:102], v[103:104]
	v_xor_b32_e32 v104, 0x80000000, v104
.LBB57_113:
	s_andn2_saveexec_b64 s[2:3], s[2:3]
	s_cbranch_execz .LBB57_115
; %bb.114:
	v_div_scale_f64 v[101:102], s[6:7], v[97:98], v[97:98], v[99:100]
	v_rcp_f64_e32 v[103:104], v[101:102]
	v_fma_f64 v[105:106], -v[101:102], v[103:104], 1.0
	v_fma_f64 v[103:104], v[103:104], v[105:106], v[103:104]
	v_div_scale_f64 v[105:106], vcc, v[99:100], v[97:98], v[99:100]
	v_fma_f64 v[107:108], -v[101:102], v[103:104], 1.0
	v_fma_f64 v[103:104], v[103:104], v[107:108], v[103:104]
	v_mul_f64 v[107:108], v[105:106], v[103:104]
	v_fma_f64 v[101:102], -v[101:102], v[107:108], v[105:106]
	v_div_fmas_f64 v[101:102], v[101:102], v[103:104], v[107:108]
	v_div_fixup_f64 v[103:104], v[101:102], v[97:98], v[99:100]
	v_fma_f64 v[97:98], v[99:100], v[103:104], v[97:98]
	v_div_scale_f64 v[99:100], s[6:7], v[97:98], v[97:98], 1.0
	v_div_scale_f64 v[107:108], vcc, 1.0, v[97:98], 1.0
	v_rcp_f64_e32 v[101:102], v[99:100]
	v_fma_f64 v[105:106], -v[99:100], v[101:102], 1.0
	v_fma_f64 v[101:102], v[101:102], v[105:106], v[101:102]
	v_fma_f64 v[105:106], -v[99:100], v[101:102], 1.0
	v_fma_f64 v[101:102], v[101:102], v[105:106], v[101:102]
	v_mul_f64 v[105:106], v[107:108], v[101:102]
	v_fma_f64 v[99:100], -v[99:100], v[105:106], v[107:108]
	v_div_fmas_f64 v[99:100], v[99:100], v[101:102], v[105:106]
	v_div_fixup_f64 v[101:102], v[99:100], v[97:98], 1.0
	v_mul_f64 v[103:104], v[103:104], -v[101:102]
.LBB57_115:
	s_or_b64 exec, exec, s[2:3]
	ds_write2_b64 v127, v[101:102], v[103:104] offset1:1
.LBB57_116:
	s_or_b64 exec, exec, s[4:5]
	s_waitcnt lgkmcnt(0)
	s_barrier
	ds_read2_b64 v[97:100], v127 offset1:1
	v_cmp_lt_u32_e32 vcc, 12, v0
	s_waitcnt lgkmcnt(0)
	buffer_store_dword v97, off, s[20:23], 0 offset:520 ; 4-byte Folded Spill
	s_nop 0
	buffer_store_dword v98, off, s[20:23], 0 offset:524 ; 4-byte Folded Spill
	buffer_store_dword v99, off, s[20:23], 0 offset:528 ; 4-byte Folded Spill
	;; [unrolled: 1-line block ×3, first 2 shown]
	s_and_saveexec_b64 s[2:3], vcc
	s_cbranch_execz .LBB57_118
; %bb.117:
	buffer_load_dword v99, off, s[20:23], 0 offset:520 ; 4-byte Folded Reload
	buffer_load_dword v100, off, s[20:23], 0 offset:524 ; 4-byte Folded Reload
	;; [unrolled: 1-line block ×4, first 2 shown]
	s_waitcnt vmcnt(2)
	v_mul_f64 v[97:98], v[99:100], v[63:64]
	s_waitcnt vmcnt(0)
	v_mul_f64 v[63:64], v[101:102], v[63:64]
	v_fma_f64 v[97:98], v[101:102], v[61:62], v[97:98]
	v_fma_f64 v[61:62], v[99:100], v[61:62], -v[63:64]
	ds_read2_b64 v[99:102], v125 offset0:26 offset1:27
	s_waitcnt lgkmcnt(0)
	v_mul_f64 v[63:64], v[101:102], v[97:98]
	v_fma_f64 v[63:64], v[99:100], v[61:62], -v[63:64]
	v_mul_f64 v[99:100], v[99:100], v[97:98]
	v_add_f64 v[57:58], v[57:58], -v[63:64]
	v_fma_f64 v[99:100], v[101:102], v[61:62], v[99:100]
	v_add_f64 v[59:60], v[59:60], -v[99:100]
	ds_read2_b64 v[99:102], v125 offset0:28 offset1:29
	s_waitcnt lgkmcnt(0)
	v_mul_f64 v[63:64], v[101:102], v[97:98]
	v_fma_f64 v[63:64], v[99:100], v[61:62], -v[63:64]
	v_mul_f64 v[99:100], v[99:100], v[97:98]
	v_add_f64 v[53:54], v[53:54], -v[63:64]
	v_fma_f64 v[99:100], v[101:102], v[61:62], v[99:100]
	v_add_f64 v[55:56], v[55:56], -v[99:100]
	;; [unrolled: 8-line block ×15, first 2 shown]
	ds_read2_b64 v[99:102], v125 offset0:56 offset1:57
	s_waitcnt lgkmcnt(0)
	v_mul_f64 v[63:64], v[101:102], v[97:98]
	v_fma_f64 v[63:64], v[99:100], v[61:62], -v[63:64]
	v_mul_f64 v[99:100], v[99:100], v[97:98]
	v_add_f64 v[93:94], v[93:94], -v[63:64]
	v_fma_f64 v[99:100], v[101:102], v[61:62], v[99:100]
	v_mov_b32_e32 v63, v97
	v_mov_b32_e32 v64, v98
	v_add_f64 v[95:96], v[95:96], -v[99:100]
.LBB57_118:
	s_or_b64 exec, exec, s[2:3]
	v_cmp_eq_u32_e32 vcc, 13, v0
	s_waitcnt vmcnt(0)
	s_barrier
	s_and_saveexec_b64 s[4:5], vcc
	s_cbranch_execz .LBB57_125
; %bb.119:
	ds_write2_b64 v127, v[57:58], v[59:60] offset1:1
	ds_write2_b64 v125, v[53:54], v[55:56] offset0:28 offset1:29
	ds_write2_b64 v125, v[49:50], v[51:52] offset0:30 offset1:31
	ds_write2_b64 v125, v[45:46], v[47:48] offset0:32 offset1:33
	ds_write2_b64 v125, v[41:42], v[43:44] offset0:34 offset1:35
	ds_write2_b64 v125, v[37:38], v[39:40] offset0:36 offset1:37
	ds_write2_b64 v125, v[33:34], v[35:36] offset0:38 offset1:39
	ds_write2_b64 v125, v[29:30], v[31:32] offset0:40 offset1:41
	ds_write2_b64 v125, v[25:26], v[27:28] offset0:42 offset1:43
	ds_write2_b64 v125, v[21:22], v[23:24] offset0:44 offset1:45
	ds_write2_b64 v125, v[17:18], v[19:20] offset0:46 offset1:47
	ds_write2_b64 v125, v[13:14], v[15:16] offset0:48 offset1:49
	ds_write2_b64 v125, v[9:10], v[11:12] offset0:50 offset1:51
	ds_write2_b64 v125, v[5:6], v[7:8] offset0:52 offset1:53
	ds_write2_b64 v125, v[1:2], v[3:4] offset0:54 offset1:55
	ds_write2_b64 v125, v[93:94], v[95:96] offset0:56 offset1:57
	ds_read2_b64 v[97:100], v127 offset1:1
	s_waitcnt lgkmcnt(0)
	v_cmp_neq_f64_e32 vcc, 0, v[97:98]
	v_cmp_neq_f64_e64 s[2:3], 0, v[99:100]
	s_or_b64 s[2:3], vcc, s[2:3]
	s_and_b64 exec, exec, s[2:3]
	s_cbranch_execz .LBB57_125
; %bb.120:
	v_cmp_ngt_f64_e64 s[2:3], |v[97:98]|, |v[99:100]|
                                        ; implicit-def: $vgpr101_vgpr102
	s_and_saveexec_b64 s[6:7], s[2:3]
	s_xor_b64 s[2:3], exec, s[6:7]
                                        ; implicit-def: $vgpr103_vgpr104
	s_cbranch_execz .LBB57_122
; %bb.121:
	v_div_scale_f64 v[101:102], s[6:7], v[99:100], v[99:100], v[97:98]
	v_rcp_f64_e32 v[103:104], v[101:102]
	v_fma_f64 v[105:106], -v[101:102], v[103:104], 1.0
	v_fma_f64 v[103:104], v[103:104], v[105:106], v[103:104]
	v_div_scale_f64 v[105:106], vcc, v[97:98], v[99:100], v[97:98]
	v_fma_f64 v[107:108], -v[101:102], v[103:104], 1.0
	v_fma_f64 v[103:104], v[103:104], v[107:108], v[103:104]
	v_mul_f64 v[107:108], v[105:106], v[103:104]
	v_fma_f64 v[101:102], -v[101:102], v[107:108], v[105:106]
	v_div_fmas_f64 v[101:102], v[101:102], v[103:104], v[107:108]
	v_div_fixup_f64 v[101:102], v[101:102], v[99:100], v[97:98]
	v_fma_f64 v[97:98], v[97:98], v[101:102], v[99:100]
	v_div_scale_f64 v[99:100], s[6:7], v[97:98], v[97:98], 1.0
	v_div_scale_f64 v[107:108], vcc, 1.0, v[97:98], 1.0
	v_rcp_f64_e32 v[103:104], v[99:100]
	v_fma_f64 v[105:106], -v[99:100], v[103:104], 1.0
	v_fma_f64 v[103:104], v[103:104], v[105:106], v[103:104]
	v_fma_f64 v[105:106], -v[99:100], v[103:104], 1.0
	v_fma_f64 v[103:104], v[103:104], v[105:106], v[103:104]
	v_mul_f64 v[105:106], v[107:108], v[103:104]
	v_fma_f64 v[99:100], -v[99:100], v[105:106], v[107:108]
	v_div_fmas_f64 v[99:100], v[99:100], v[103:104], v[105:106]
	v_div_fixup_f64 v[103:104], v[99:100], v[97:98], 1.0
                                        ; implicit-def: $vgpr97_vgpr98
	v_mul_f64 v[101:102], v[101:102], v[103:104]
	v_xor_b32_e32 v104, 0x80000000, v104
.LBB57_122:
	s_andn2_saveexec_b64 s[2:3], s[2:3]
	s_cbranch_execz .LBB57_124
; %bb.123:
	v_div_scale_f64 v[101:102], s[6:7], v[97:98], v[97:98], v[99:100]
	v_rcp_f64_e32 v[103:104], v[101:102]
	v_fma_f64 v[105:106], -v[101:102], v[103:104], 1.0
	v_fma_f64 v[103:104], v[103:104], v[105:106], v[103:104]
	v_div_scale_f64 v[105:106], vcc, v[99:100], v[97:98], v[99:100]
	v_fma_f64 v[107:108], -v[101:102], v[103:104], 1.0
	v_fma_f64 v[103:104], v[103:104], v[107:108], v[103:104]
	v_mul_f64 v[107:108], v[105:106], v[103:104]
	v_fma_f64 v[101:102], -v[101:102], v[107:108], v[105:106]
	v_div_fmas_f64 v[101:102], v[101:102], v[103:104], v[107:108]
	v_div_fixup_f64 v[103:104], v[101:102], v[97:98], v[99:100]
	v_fma_f64 v[97:98], v[99:100], v[103:104], v[97:98]
	v_div_scale_f64 v[99:100], s[6:7], v[97:98], v[97:98], 1.0
	v_div_scale_f64 v[107:108], vcc, 1.0, v[97:98], 1.0
	v_rcp_f64_e32 v[101:102], v[99:100]
	v_fma_f64 v[105:106], -v[99:100], v[101:102], 1.0
	v_fma_f64 v[101:102], v[101:102], v[105:106], v[101:102]
	v_fma_f64 v[105:106], -v[99:100], v[101:102], 1.0
	v_fma_f64 v[101:102], v[101:102], v[105:106], v[101:102]
	v_mul_f64 v[105:106], v[107:108], v[101:102]
	v_fma_f64 v[99:100], -v[99:100], v[105:106], v[107:108]
	v_div_fmas_f64 v[99:100], v[99:100], v[101:102], v[105:106]
	v_div_fixup_f64 v[101:102], v[99:100], v[97:98], 1.0
	v_mul_f64 v[103:104], v[103:104], -v[101:102]
.LBB57_124:
	s_or_b64 exec, exec, s[2:3]
	ds_write2_b64 v127, v[101:102], v[103:104] offset1:1
.LBB57_125:
	s_or_b64 exec, exec, s[4:5]
	s_waitcnt lgkmcnt(0)
	s_barrier
	ds_read2_b64 v[97:100], v127 offset1:1
	v_cmp_lt_u32_e32 vcc, 13, v0
	s_waitcnt lgkmcnt(0)
	buffer_store_dword v97, off, s[20:23], 0 offset:536 ; 4-byte Folded Spill
	s_nop 0
	buffer_store_dword v98, off, s[20:23], 0 offset:540 ; 4-byte Folded Spill
	buffer_store_dword v99, off, s[20:23], 0 offset:544 ; 4-byte Folded Spill
	;; [unrolled: 1-line block ×3, first 2 shown]
	s_and_saveexec_b64 s[2:3], vcc
	s_cbranch_execz .LBB57_127
; %bb.126:
	buffer_load_dword v99, off, s[20:23], 0 offset:536 ; 4-byte Folded Reload
	buffer_load_dword v100, off, s[20:23], 0 offset:540 ; 4-byte Folded Reload
	;; [unrolled: 1-line block ×4, first 2 shown]
	s_waitcnt vmcnt(2)
	v_mul_f64 v[97:98], v[99:100], v[59:60]
	s_waitcnt vmcnt(0)
	v_mul_f64 v[59:60], v[101:102], v[59:60]
	v_fma_f64 v[97:98], v[101:102], v[57:58], v[97:98]
	v_fma_f64 v[57:58], v[99:100], v[57:58], -v[59:60]
	ds_read2_b64 v[99:102], v125 offset0:28 offset1:29
	s_waitcnt lgkmcnt(0)
	v_mul_f64 v[59:60], v[101:102], v[97:98]
	v_fma_f64 v[59:60], v[99:100], v[57:58], -v[59:60]
	v_mul_f64 v[99:100], v[99:100], v[97:98]
	v_add_f64 v[53:54], v[53:54], -v[59:60]
	v_fma_f64 v[99:100], v[101:102], v[57:58], v[99:100]
	v_add_f64 v[55:56], v[55:56], -v[99:100]
	ds_read2_b64 v[99:102], v125 offset0:30 offset1:31
	s_waitcnt lgkmcnt(0)
	v_mul_f64 v[59:60], v[101:102], v[97:98]
	v_fma_f64 v[59:60], v[99:100], v[57:58], -v[59:60]
	v_mul_f64 v[99:100], v[99:100], v[97:98]
	v_add_f64 v[49:50], v[49:50], -v[59:60]
	v_fma_f64 v[99:100], v[101:102], v[57:58], v[99:100]
	v_add_f64 v[51:52], v[51:52], -v[99:100]
	;; [unrolled: 8-line block ×14, first 2 shown]
	ds_read2_b64 v[99:102], v125 offset0:56 offset1:57
	s_waitcnt lgkmcnt(0)
	v_mul_f64 v[59:60], v[101:102], v[97:98]
	v_fma_f64 v[59:60], v[99:100], v[57:58], -v[59:60]
	v_mul_f64 v[99:100], v[99:100], v[97:98]
	v_add_f64 v[93:94], v[93:94], -v[59:60]
	v_fma_f64 v[99:100], v[101:102], v[57:58], v[99:100]
	v_mov_b32_e32 v59, v97
	v_mov_b32_e32 v60, v98
	v_add_f64 v[95:96], v[95:96], -v[99:100]
.LBB57_127:
	s_or_b64 exec, exec, s[2:3]
	v_cmp_eq_u32_e32 vcc, 14, v0
	s_waitcnt vmcnt(0)
	s_barrier
	s_and_saveexec_b64 s[4:5], vcc
	s_cbranch_execz .LBB57_134
; %bb.128:
	ds_write2_b64 v127, v[53:54], v[55:56] offset1:1
	ds_write2_b64 v125, v[49:50], v[51:52] offset0:30 offset1:31
	ds_write2_b64 v125, v[45:46], v[47:48] offset0:32 offset1:33
	;; [unrolled: 1-line block ×14, first 2 shown]
	ds_read2_b64 v[97:100], v127 offset1:1
	s_waitcnt lgkmcnt(0)
	v_cmp_neq_f64_e32 vcc, 0, v[97:98]
	v_cmp_neq_f64_e64 s[2:3], 0, v[99:100]
	s_or_b64 s[2:3], vcc, s[2:3]
	s_and_b64 exec, exec, s[2:3]
	s_cbranch_execz .LBB57_134
; %bb.129:
	v_cmp_ngt_f64_e64 s[2:3], |v[97:98]|, |v[99:100]|
                                        ; implicit-def: $vgpr101_vgpr102
	s_and_saveexec_b64 s[6:7], s[2:3]
	s_xor_b64 s[2:3], exec, s[6:7]
                                        ; implicit-def: $vgpr103_vgpr104
	s_cbranch_execz .LBB57_131
; %bb.130:
	v_div_scale_f64 v[101:102], s[6:7], v[99:100], v[99:100], v[97:98]
	v_rcp_f64_e32 v[103:104], v[101:102]
	v_fma_f64 v[105:106], -v[101:102], v[103:104], 1.0
	v_fma_f64 v[103:104], v[103:104], v[105:106], v[103:104]
	v_div_scale_f64 v[105:106], vcc, v[97:98], v[99:100], v[97:98]
	v_fma_f64 v[107:108], -v[101:102], v[103:104], 1.0
	v_fma_f64 v[103:104], v[103:104], v[107:108], v[103:104]
	v_mul_f64 v[107:108], v[105:106], v[103:104]
	v_fma_f64 v[101:102], -v[101:102], v[107:108], v[105:106]
	v_div_fmas_f64 v[101:102], v[101:102], v[103:104], v[107:108]
	v_div_fixup_f64 v[101:102], v[101:102], v[99:100], v[97:98]
	v_fma_f64 v[97:98], v[97:98], v[101:102], v[99:100]
	v_div_scale_f64 v[99:100], s[6:7], v[97:98], v[97:98], 1.0
	v_div_scale_f64 v[107:108], vcc, 1.0, v[97:98], 1.0
	v_rcp_f64_e32 v[103:104], v[99:100]
	v_fma_f64 v[105:106], -v[99:100], v[103:104], 1.0
	v_fma_f64 v[103:104], v[103:104], v[105:106], v[103:104]
	v_fma_f64 v[105:106], -v[99:100], v[103:104], 1.0
	v_fma_f64 v[103:104], v[103:104], v[105:106], v[103:104]
	v_mul_f64 v[105:106], v[107:108], v[103:104]
	v_fma_f64 v[99:100], -v[99:100], v[105:106], v[107:108]
	v_div_fmas_f64 v[99:100], v[99:100], v[103:104], v[105:106]
	v_div_fixup_f64 v[103:104], v[99:100], v[97:98], 1.0
                                        ; implicit-def: $vgpr97_vgpr98
	v_mul_f64 v[101:102], v[101:102], v[103:104]
	v_xor_b32_e32 v104, 0x80000000, v104
.LBB57_131:
	s_andn2_saveexec_b64 s[2:3], s[2:3]
	s_cbranch_execz .LBB57_133
; %bb.132:
	v_div_scale_f64 v[101:102], s[6:7], v[97:98], v[97:98], v[99:100]
	v_rcp_f64_e32 v[103:104], v[101:102]
	v_fma_f64 v[105:106], -v[101:102], v[103:104], 1.0
	v_fma_f64 v[103:104], v[103:104], v[105:106], v[103:104]
	v_div_scale_f64 v[105:106], vcc, v[99:100], v[97:98], v[99:100]
	v_fma_f64 v[107:108], -v[101:102], v[103:104], 1.0
	v_fma_f64 v[103:104], v[103:104], v[107:108], v[103:104]
	v_mul_f64 v[107:108], v[105:106], v[103:104]
	v_fma_f64 v[101:102], -v[101:102], v[107:108], v[105:106]
	v_div_fmas_f64 v[101:102], v[101:102], v[103:104], v[107:108]
	v_div_fixup_f64 v[103:104], v[101:102], v[97:98], v[99:100]
	v_fma_f64 v[97:98], v[99:100], v[103:104], v[97:98]
	v_div_scale_f64 v[99:100], s[6:7], v[97:98], v[97:98], 1.0
	v_div_scale_f64 v[107:108], vcc, 1.0, v[97:98], 1.0
	v_rcp_f64_e32 v[101:102], v[99:100]
	v_fma_f64 v[105:106], -v[99:100], v[101:102], 1.0
	v_fma_f64 v[101:102], v[101:102], v[105:106], v[101:102]
	v_fma_f64 v[105:106], -v[99:100], v[101:102], 1.0
	v_fma_f64 v[101:102], v[101:102], v[105:106], v[101:102]
	v_mul_f64 v[105:106], v[107:108], v[101:102]
	v_fma_f64 v[99:100], -v[99:100], v[105:106], v[107:108]
	v_div_fmas_f64 v[99:100], v[99:100], v[101:102], v[105:106]
	v_div_fixup_f64 v[101:102], v[99:100], v[97:98], 1.0
	v_mul_f64 v[103:104], v[103:104], -v[101:102]
.LBB57_133:
	s_or_b64 exec, exec, s[2:3]
	ds_write2_b64 v127, v[101:102], v[103:104] offset1:1
.LBB57_134:
	s_or_b64 exec, exec, s[4:5]
	s_waitcnt lgkmcnt(0)
	s_barrier
	ds_read2_b64 v[97:100], v127 offset1:1
	v_cmp_lt_u32_e32 vcc, 14, v0
	s_waitcnt lgkmcnt(0)
	buffer_store_dword v97, off, s[20:23], 0 offset:552 ; 4-byte Folded Spill
	s_nop 0
	buffer_store_dword v98, off, s[20:23], 0 offset:556 ; 4-byte Folded Spill
	buffer_store_dword v99, off, s[20:23], 0 offset:560 ; 4-byte Folded Spill
	;; [unrolled: 1-line block ×3, first 2 shown]
	s_and_saveexec_b64 s[2:3], vcc
	s_cbranch_execz .LBB57_136
; %bb.135:
	buffer_load_dword v99, off, s[20:23], 0 offset:552 ; 4-byte Folded Reload
	buffer_load_dword v100, off, s[20:23], 0 offset:556 ; 4-byte Folded Reload
	;; [unrolled: 1-line block ×4, first 2 shown]
	s_waitcnt vmcnt(2)
	v_mul_f64 v[97:98], v[99:100], v[55:56]
	s_waitcnt vmcnt(0)
	v_mul_f64 v[55:56], v[101:102], v[55:56]
	v_fma_f64 v[97:98], v[101:102], v[53:54], v[97:98]
	v_fma_f64 v[53:54], v[99:100], v[53:54], -v[55:56]
	ds_read2_b64 v[99:102], v125 offset0:30 offset1:31
	s_waitcnt lgkmcnt(0)
	v_mul_f64 v[55:56], v[101:102], v[97:98]
	v_fma_f64 v[55:56], v[99:100], v[53:54], -v[55:56]
	v_mul_f64 v[99:100], v[99:100], v[97:98]
	v_add_f64 v[49:50], v[49:50], -v[55:56]
	v_fma_f64 v[99:100], v[101:102], v[53:54], v[99:100]
	v_add_f64 v[51:52], v[51:52], -v[99:100]
	ds_read2_b64 v[99:102], v125 offset0:32 offset1:33
	s_waitcnt lgkmcnt(0)
	v_mul_f64 v[55:56], v[101:102], v[97:98]
	v_fma_f64 v[55:56], v[99:100], v[53:54], -v[55:56]
	v_mul_f64 v[99:100], v[99:100], v[97:98]
	v_add_f64 v[45:46], v[45:46], -v[55:56]
	v_fma_f64 v[99:100], v[101:102], v[53:54], v[99:100]
	v_add_f64 v[47:48], v[47:48], -v[99:100]
	;; [unrolled: 8-line block ×13, first 2 shown]
	ds_read2_b64 v[99:102], v125 offset0:56 offset1:57
	s_waitcnt lgkmcnt(0)
	v_mul_f64 v[55:56], v[101:102], v[97:98]
	v_fma_f64 v[55:56], v[99:100], v[53:54], -v[55:56]
	v_mul_f64 v[99:100], v[99:100], v[97:98]
	v_add_f64 v[93:94], v[93:94], -v[55:56]
	v_fma_f64 v[99:100], v[101:102], v[53:54], v[99:100]
	v_mov_b32_e32 v55, v97
	v_mov_b32_e32 v56, v98
	v_add_f64 v[95:96], v[95:96], -v[99:100]
.LBB57_136:
	s_or_b64 exec, exec, s[2:3]
	v_cmp_eq_u32_e32 vcc, 15, v0
	s_waitcnt vmcnt(0)
	s_barrier
	s_and_saveexec_b64 s[4:5], vcc
	s_cbranch_execz .LBB57_143
; %bb.137:
	ds_write2_b64 v127, v[49:50], v[51:52] offset1:1
	ds_write2_b64 v125, v[45:46], v[47:48] offset0:32 offset1:33
	ds_write2_b64 v125, v[41:42], v[43:44] offset0:34 offset1:35
	;; [unrolled: 1-line block ×13, first 2 shown]
	ds_read2_b64 v[97:100], v127 offset1:1
	s_waitcnt lgkmcnt(0)
	v_cmp_neq_f64_e32 vcc, 0, v[97:98]
	v_cmp_neq_f64_e64 s[2:3], 0, v[99:100]
	s_or_b64 s[2:3], vcc, s[2:3]
	s_and_b64 exec, exec, s[2:3]
	s_cbranch_execz .LBB57_143
; %bb.138:
	v_cmp_ngt_f64_e64 s[2:3], |v[97:98]|, |v[99:100]|
                                        ; implicit-def: $vgpr101_vgpr102
	s_and_saveexec_b64 s[6:7], s[2:3]
	s_xor_b64 s[2:3], exec, s[6:7]
                                        ; implicit-def: $vgpr103_vgpr104
	s_cbranch_execz .LBB57_140
; %bb.139:
	v_div_scale_f64 v[101:102], s[6:7], v[99:100], v[99:100], v[97:98]
	v_rcp_f64_e32 v[103:104], v[101:102]
	v_fma_f64 v[105:106], -v[101:102], v[103:104], 1.0
	v_fma_f64 v[103:104], v[103:104], v[105:106], v[103:104]
	v_div_scale_f64 v[105:106], vcc, v[97:98], v[99:100], v[97:98]
	v_fma_f64 v[107:108], -v[101:102], v[103:104], 1.0
	v_fma_f64 v[103:104], v[103:104], v[107:108], v[103:104]
	v_mul_f64 v[107:108], v[105:106], v[103:104]
	v_fma_f64 v[101:102], -v[101:102], v[107:108], v[105:106]
	v_div_fmas_f64 v[101:102], v[101:102], v[103:104], v[107:108]
	v_div_fixup_f64 v[101:102], v[101:102], v[99:100], v[97:98]
	v_fma_f64 v[97:98], v[97:98], v[101:102], v[99:100]
	v_div_scale_f64 v[99:100], s[6:7], v[97:98], v[97:98], 1.0
	v_div_scale_f64 v[107:108], vcc, 1.0, v[97:98], 1.0
	v_rcp_f64_e32 v[103:104], v[99:100]
	v_fma_f64 v[105:106], -v[99:100], v[103:104], 1.0
	v_fma_f64 v[103:104], v[103:104], v[105:106], v[103:104]
	v_fma_f64 v[105:106], -v[99:100], v[103:104], 1.0
	v_fma_f64 v[103:104], v[103:104], v[105:106], v[103:104]
	v_mul_f64 v[105:106], v[107:108], v[103:104]
	v_fma_f64 v[99:100], -v[99:100], v[105:106], v[107:108]
	v_div_fmas_f64 v[99:100], v[99:100], v[103:104], v[105:106]
	v_div_fixup_f64 v[103:104], v[99:100], v[97:98], 1.0
                                        ; implicit-def: $vgpr97_vgpr98
	v_mul_f64 v[101:102], v[101:102], v[103:104]
	v_xor_b32_e32 v104, 0x80000000, v104
.LBB57_140:
	s_andn2_saveexec_b64 s[2:3], s[2:3]
	s_cbranch_execz .LBB57_142
; %bb.141:
	v_div_scale_f64 v[101:102], s[6:7], v[97:98], v[97:98], v[99:100]
	v_rcp_f64_e32 v[103:104], v[101:102]
	v_fma_f64 v[105:106], -v[101:102], v[103:104], 1.0
	v_fma_f64 v[103:104], v[103:104], v[105:106], v[103:104]
	v_div_scale_f64 v[105:106], vcc, v[99:100], v[97:98], v[99:100]
	v_fma_f64 v[107:108], -v[101:102], v[103:104], 1.0
	v_fma_f64 v[103:104], v[103:104], v[107:108], v[103:104]
	v_mul_f64 v[107:108], v[105:106], v[103:104]
	v_fma_f64 v[101:102], -v[101:102], v[107:108], v[105:106]
	v_div_fmas_f64 v[101:102], v[101:102], v[103:104], v[107:108]
	v_div_fixup_f64 v[103:104], v[101:102], v[97:98], v[99:100]
	v_fma_f64 v[97:98], v[99:100], v[103:104], v[97:98]
	v_div_scale_f64 v[99:100], s[6:7], v[97:98], v[97:98], 1.0
	v_div_scale_f64 v[107:108], vcc, 1.0, v[97:98], 1.0
	v_rcp_f64_e32 v[101:102], v[99:100]
	v_fma_f64 v[105:106], -v[99:100], v[101:102], 1.0
	v_fma_f64 v[101:102], v[101:102], v[105:106], v[101:102]
	v_fma_f64 v[105:106], -v[99:100], v[101:102], 1.0
	v_fma_f64 v[101:102], v[101:102], v[105:106], v[101:102]
	v_mul_f64 v[105:106], v[107:108], v[101:102]
	v_fma_f64 v[99:100], -v[99:100], v[105:106], v[107:108]
	v_div_fmas_f64 v[99:100], v[99:100], v[101:102], v[105:106]
	v_div_fixup_f64 v[101:102], v[99:100], v[97:98], 1.0
	v_mul_f64 v[103:104], v[103:104], -v[101:102]
.LBB57_142:
	s_or_b64 exec, exec, s[2:3]
	ds_write2_b64 v127, v[101:102], v[103:104] offset1:1
.LBB57_143:
	s_or_b64 exec, exec, s[4:5]
	s_waitcnt lgkmcnt(0)
	s_barrier
	ds_read2_b64 v[97:100], v127 offset1:1
	v_cmp_lt_u32_e32 vcc, 15, v0
	s_waitcnt lgkmcnt(0)
	buffer_store_dword v97, off, s[20:23], 0 offset:568 ; 4-byte Folded Spill
	s_nop 0
	buffer_store_dword v98, off, s[20:23], 0 offset:572 ; 4-byte Folded Spill
	buffer_store_dword v99, off, s[20:23], 0 offset:576 ; 4-byte Folded Spill
	;; [unrolled: 1-line block ×3, first 2 shown]
	s_and_saveexec_b64 s[2:3], vcc
	s_cbranch_execz .LBB57_145
; %bb.144:
	buffer_load_dword v99, off, s[20:23], 0 offset:568 ; 4-byte Folded Reload
	buffer_load_dword v100, off, s[20:23], 0 offset:572 ; 4-byte Folded Reload
	;; [unrolled: 1-line block ×4, first 2 shown]
	s_waitcnt vmcnt(2)
	v_mul_f64 v[97:98], v[99:100], v[51:52]
	s_waitcnt vmcnt(0)
	v_mul_f64 v[51:52], v[101:102], v[51:52]
	v_fma_f64 v[97:98], v[101:102], v[49:50], v[97:98]
	v_fma_f64 v[49:50], v[99:100], v[49:50], -v[51:52]
	ds_read2_b64 v[99:102], v125 offset0:32 offset1:33
	s_waitcnt lgkmcnt(0)
	v_mul_f64 v[51:52], v[101:102], v[97:98]
	v_fma_f64 v[51:52], v[99:100], v[49:50], -v[51:52]
	v_mul_f64 v[99:100], v[99:100], v[97:98]
	v_add_f64 v[45:46], v[45:46], -v[51:52]
	v_fma_f64 v[99:100], v[101:102], v[49:50], v[99:100]
	v_add_f64 v[47:48], v[47:48], -v[99:100]
	ds_read2_b64 v[99:102], v125 offset0:34 offset1:35
	s_waitcnt lgkmcnt(0)
	v_mul_f64 v[51:52], v[101:102], v[97:98]
	v_fma_f64 v[51:52], v[99:100], v[49:50], -v[51:52]
	v_mul_f64 v[99:100], v[99:100], v[97:98]
	v_add_f64 v[41:42], v[41:42], -v[51:52]
	v_fma_f64 v[99:100], v[101:102], v[49:50], v[99:100]
	v_add_f64 v[43:44], v[43:44], -v[99:100]
	;; [unrolled: 8-line block ×12, first 2 shown]
	ds_read2_b64 v[99:102], v125 offset0:56 offset1:57
	s_waitcnt lgkmcnt(0)
	v_mul_f64 v[51:52], v[101:102], v[97:98]
	v_fma_f64 v[51:52], v[99:100], v[49:50], -v[51:52]
	v_mul_f64 v[99:100], v[99:100], v[97:98]
	v_add_f64 v[93:94], v[93:94], -v[51:52]
	v_fma_f64 v[99:100], v[101:102], v[49:50], v[99:100]
	v_mov_b32_e32 v51, v97
	v_mov_b32_e32 v52, v98
	v_add_f64 v[95:96], v[95:96], -v[99:100]
.LBB57_145:
	s_or_b64 exec, exec, s[2:3]
	v_cmp_eq_u32_e32 vcc, 16, v0
	s_waitcnt vmcnt(0)
	s_barrier
	s_and_saveexec_b64 s[4:5], vcc
	s_cbranch_execz .LBB57_152
; %bb.146:
	ds_write2_b64 v127, v[45:46], v[47:48] offset1:1
	ds_write2_b64 v125, v[41:42], v[43:44] offset0:34 offset1:35
	ds_write2_b64 v125, v[37:38], v[39:40] offset0:36 offset1:37
	;; [unrolled: 1-line block ×12, first 2 shown]
	ds_read2_b64 v[97:100], v127 offset1:1
	s_waitcnt lgkmcnt(0)
	v_cmp_neq_f64_e32 vcc, 0, v[97:98]
	v_cmp_neq_f64_e64 s[2:3], 0, v[99:100]
	s_or_b64 s[2:3], vcc, s[2:3]
	s_and_b64 exec, exec, s[2:3]
	s_cbranch_execz .LBB57_152
; %bb.147:
	v_cmp_ngt_f64_e64 s[2:3], |v[97:98]|, |v[99:100]|
                                        ; implicit-def: $vgpr101_vgpr102
	s_and_saveexec_b64 s[6:7], s[2:3]
	s_xor_b64 s[2:3], exec, s[6:7]
                                        ; implicit-def: $vgpr103_vgpr104
	s_cbranch_execz .LBB57_149
; %bb.148:
	v_div_scale_f64 v[101:102], s[6:7], v[99:100], v[99:100], v[97:98]
	v_rcp_f64_e32 v[103:104], v[101:102]
	v_fma_f64 v[105:106], -v[101:102], v[103:104], 1.0
	v_fma_f64 v[103:104], v[103:104], v[105:106], v[103:104]
	v_div_scale_f64 v[105:106], vcc, v[97:98], v[99:100], v[97:98]
	v_fma_f64 v[107:108], -v[101:102], v[103:104], 1.0
	v_fma_f64 v[103:104], v[103:104], v[107:108], v[103:104]
	v_mul_f64 v[107:108], v[105:106], v[103:104]
	v_fma_f64 v[101:102], -v[101:102], v[107:108], v[105:106]
	v_div_fmas_f64 v[101:102], v[101:102], v[103:104], v[107:108]
	v_div_fixup_f64 v[101:102], v[101:102], v[99:100], v[97:98]
	v_fma_f64 v[97:98], v[97:98], v[101:102], v[99:100]
	v_div_scale_f64 v[99:100], s[6:7], v[97:98], v[97:98], 1.0
	v_div_scale_f64 v[107:108], vcc, 1.0, v[97:98], 1.0
	v_rcp_f64_e32 v[103:104], v[99:100]
	v_fma_f64 v[105:106], -v[99:100], v[103:104], 1.0
	v_fma_f64 v[103:104], v[103:104], v[105:106], v[103:104]
	v_fma_f64 v[105:106], -v[99:100], v[103:104], 1.0
	v_fma_f64 v[103:104], v[103:104], v[105:106], v[103:104]
	v_mul_f64 v[105:106], v[107:108], v[103:104]
	v_fma_f64 v[99:100], -v[99:100], v[105:106], v[107:108]
	v_div_fmas_f64 v[99:100], v[99:100], v[103:104], v[105:106]
	v_div_fixup_f64 v[103:104], v[99:100], v[97:98], 1.0
                                        ; implicit-def: $vgpr97_vgpr98
	v_mul_f64 v[101:102], v[101:102], v[103:104]
	v_xor_b32_e32 v104, 0x80000000, v104
.LBB57_149:
	s_andn2_saveexec_b64 s[2:3], s[2:3]
	s_cbranch_execz .LBB57_151
; %bb.150:
	v_div_scale_f64 v[101:102], s[6:7], v[97:98], v[97:98], v[99:100]
	v_rcp_f64_e32 v[103:104], v[101:102]
	v_fma_f64 v[105:106], -v[101:102], v[103:104], 1.0
	v_fma_f64 v[103:104], v[103:104], v[105:106], v[103:104]
	v_div_scale_f64 v[105:106], vcc, v[99:100], v[97:98], v[99:100]
	v_fma_f64 v[107:108], -v[101:102], v[103:104], 1.0
	v_fma_f64 v[103:104], v[103:104], v[107:108], v[103:104]
	v_mul_f64 v[107:108], v[105:106], v[103:104]
	v_fma_f64 v[101:102], -v[101:102], v[107:108], v[105:106]
	v_div_fmas_f64 v[101:102], v[101:102], v[103:104], v[107:108]
	v_div_fixup_f64 v[103:104], v[101:102], v[97:98], v[99:100]
	v_fma_f64 v[97:98], v[99:100], v[103:104], v[97:98]
	v_div_scale_f64 v[99:100], s[6:7], v[97:98], v[97:98], 1.0
	v_div_scale_f64 v[107:108], vcc, 1.0, v[97:98], 1.0
	v_rcp_f64_e32 v[101:102], v[99:100]
	v_fma_f64 v[105:106], -v[99:100], v[101:102], 1.0
	v_fma_f64 v[101:102], v[101:102], v[105:106], v[101:102]
	v_fma_f64 v[105:106], -v[99:100], v[101:102], 1.0
	v_fma_f64 v[101:102], v[101:102], v[105:106], v[101:102]
	v_mul_f64 v[105:106], v[107:108], v[101:102]
	v_fma_f64 v[99:100], -v[99:100], v[105:106], v[107:108]
	v_div_fmas_f64 v[99:100], v[99:100], v[101:102], v[105:106]
	v_div_fixup_f64 v[101:102], v[99:100], v[97:98], 1.0
	v_mul_f64 v[103:104], v[103:104], -v[101:102]
.LBB57_151:
	s_or_b64 exec, exec, s[2:3]
	ds_write2_b64 v127, v[101:102], v[103:104] offset1:1
.LBB57_152:
	s_or_b64 exec, exec, s[4:5]
	s_waitcnt lgkmcnt(0)
	s_barrier
	ds_read2_b64 v[97:100], v127 offset1:1
	v_cmp_lt_u32_e32 vcc, 16, v0
	s_waitcnt lgkmcnt(0)
	buffer_store_dword v97, off, s[20:23], 0 offset:584 ; 4-byte Folded Spill
	s_nop 0
	buffer_store_dword v98, off, s[20:23], 0 offset:588 ; 4-byte Folded Spill
	buffer_store_dword v99, off, s[20:23], 0 offset:592 ; 4-byte Folded Spill
	;; [unrolled: 1-line block ×3, first 2 shown]
	s_and_saveexec_b64 s[2:3], vcc
	s_cbranch_execz .LBB57_154
; %bb.153:
	buffer_load_dword v99, off, s[20:23], 0 offset:584 ; 4-byte Folded Reload
	buffer_load_dword v100, off, s[20:23], 0 offset:588 ; 4-byte Folded Reload
	;; [unrolled: 1-line block ×4, first 2 shown]
	s_waitcnt vmcnt(2)
	v_mul_f64 v[97:98], v[99:100], v[47:48]
	s_waitcnt vmcnt(0)
	v_mul_f64 v[47:48], v[101:102], v[47:48]
	v_fma_f64 v[97:98], v[101:102], v[45:46], v[97:98]
	v_fma_f64 v[45:46], v[99:100], v[45:46], -v[47:48]
	ds_read2_b64 v[99:102], v125 offset0:34 offset1:35
	s_waitcnt lgkmcnt(0)
	v_mul_f64 v[47:48], v[101:102], v[97:98]
	v_fma_f64 v[47:48], v[99:100], v[45:46], -v[47:48]
	v_mul_f64 v[99:100], v[99:100], v[97:98]
	v_add_f64 v[41:42], v[41:42], -v[47:48]
	v_fma_f64 v[99:100], v[101:102], v[45:46], v[99:100]
	v_add_f64 v[43:44], v[43:44], -v[99:100]
	ds_read2_b64 v[99:102], v125 offset0:36 offset1:37
	s_waitcnt lgkmcnt(0)
	v_mul_f64 v[47:48], v[101:102], v[97:98]
	v_fma_f64 v[47:48], v[99:100], v[45:46], -v[47:48]
	v_mul_f64 v[99:100], v[99:100], v[97:98]
	v_add_f64 v[37:38], v[37:38], -v[47:48]
	v_fma_f64 v[99:100], v[101:102], v[45:46], v[99:100]
	v_add_f64 v[39:40], v[39:40], -v[99:100]
	;; [unrolled: 8-line block ×11, first 2 shown]
	ds_read2_b64 v[99:102], v125 offset0:56 offset1:57
	s_waitcnt lgkmcnt(0)
	v_mul_f64 v[47:48], v[101:102], v[97:98]
	v_fma_f64 v[47:48], v[99:100], v[45:46], -v[47:48]
	v_mul_f64 v[99:100], v[99:100], v[97:98]
	v_add_f64 v[93:94], v[93:94], -v[47:48]
	v_fma_f64 v[99:100], v[101:102], v[45:46], v[99:100]
	v_mov_b32_e32 v47, v97
	v_mov_b32_e32 v48, v98
	v_add_f64 v[95:96], v[95:96], -v[99:100]
.LBB57_154:
	s_or_b64 exec, exec, s[2:3]
	v_cmp_eq_u32_e32 vcc, 17, v0
	s_waitcnt vmcnt(0)
	s_barrier
	s_and_saveexec_b64 s[4:5], vcc
	s_cbranch_execz .LBB57_161
; %bb.155:
	ds_write2_b64 v127, v[41:42], v[43:44] offset1:1
	ds_write2_b64 v125, v[37:38], v[39:40] offset0:36 offset1:37
	ds_write2_b64 v125, v[33:34], v[35:36] offset0:38 offset1:39
	;; [unrolled: 1-line block ×11, first 2 shown]
	ds_read2_b64 v[97:100], v127 offset1:1
	s_waitcnt lgkmcnt(0)
	v_cmp_neq_f64_e32 vcc, 0, v[97:98]
	v_cmp_neq_f64_e64 s[2:3], 0, v[99:100]
	s_or_b64 s[2:3], vcc, s[2:3]
	s_and_b64 exec, exec, s[2:3]
	s_cbranch_execz .LBB57_161
; %bb.156:
	v_cmp_ngt_f64_e64 s[2:3], |v[97:98]|, |v[99:100]|
                                        ; implicit-def: $vgpr101_vgpr102
	s_and_saveexec_b64 s[6:7], s[2:3]
	s_xor_b64 s[2:3], exec, s[6:7]
                                        ; implicit-def: $vgpr103_vgpr104
	s_cbranch_execz .LBB57_158
; %bb.157:
	v_div_scale_f64 v[101:102], s[6:7], v[99:100], v[99:100], v[97:98]
	v_rcp_f64_e32 v[103:104], v[101:102]
	v_fma_f64 v[105:106], -v[101:102], v[103:104], 1.0
	v_fma_f64 v[103:104], v[103:104], v[105:106], v[103:104]
	v_div_scale_f64 v[105:106], vcc, v[97:98], v[99:100], v[97:98]
	v_fma_f64 v[107:108], -v[101:102], v[103:104], 1.0
	v_fma_f64 v[103:104], v[103:104], v[107:108], v[103:104]
	v_mul_f64 v[107:108], v[105:106], v[103:104]
	v_fma_f64 v[101:102], -v[101:102], v[107:108], v[105:106]
	v_div_fmas_f64 v[101:102], v[101:102], v[103:104], v[107:108]
	v_div_fixup_f64 v[101:102], v[101:102], v[99:100], v[97:98]
	v_fma_f64 v[97:98], v[97:98], v[101:102], v[99:100]
	v_div_scale_f64 v[99:100], s[6:7], v[97:98], v[97:98], 1.0
	v_div_scale_f64 v[107:108], vcc, 1.0, v[97:98], 1.0
	v_rcp_f64_e32 v[103:104], v[99:100]
	v_fma_f64 v[105:106], -v[99:100], v[103:104], 1.0
	v_fma_f64 v[103:104], v[103:104], v[105:106], v[103:104]
	v_fma_f64 v[105:106], -v[99:100], v[103:104], 1.0
	v_fma_f64 v[103:104], v[103:104], v[105:106], v[103:104]
	v_mul_f64 v[105:106], v[107:108], v[103:104]
	v_fma_f64 v[99:100], -v[99:100], v[105:106], v[107:108]
	v_div_fmas_f64 v[99:100], v[99:100], v[103:104], v[105:106]
	v_div_fixup_f64 v[103:104], v[99:100], v[97:98], 1.0
                                        ; implicit-def: $vgpr97_vgpr98
	v_mul_f64 v[101:102], v[101:102], v[103:104]
	v_xor_b32_e32 v104, 0x80000000, v104
.LBB57_158:
	s_andn2_saveexec_b64 s[2:3], s[2:3]
	s_cbranch_execz .LBB57_160
; %bb.159:
	v_div_scale_f64 v[101:102], s[6:7], v[97:98], v[97:98], v[99:100]
	v_rcp_f64_e32 v[103:104], v[101:102]
	v_fma_f64 v[105:106], -v[101:102], v[103:104], 1.0
	v_fma_f64 v[103:104], v[103:104], v[105:106], v[103:104]
	v_div_scale_f64 v[105:106], vcc, v[99:100], v[97:98], v[99:100]
	v_fma_f64 v[107:108], -v[101:102], v[103:104], 1.0
	v_fma_f64 v[103:104], v[103:104], v[107:108], v[103:104]
	v_mul_f64 v[107:108], v[105:106], v[103:104]
	v_fma_f64 v[101:102], -v[101:102], v[107:108], v[105:106]
	v_div_fmas_f64 v[101:102], v[101:102], v[103:104], v[107:108]
	v_div_fixup_f64 v[103:104], v[101:102], v[97:98], v[99:100]
	v_fma_f64 v[97:98], v[99:100], v[103:104], v[97:98]
	v_div_scale_f64 v[99:100], s[6:7], v[97:98], v[97:98], 1.0
	v_div_scale_f64 v[107:108], vcc, 1.0, v[97:98], 1.0
	v_rcp_f64_e32 v[101:102], v[99:100]
	v_fma_f64 v[105:106], -v[99:100], v[101:102], 1.0
	v_fma_f64 v[101:102], v[101:102], v[105:106], v[101:102]
	v_fma_f64 v[105:106], -v[99:100], v[101:102], 1.0
	v_fma_f64 v[101:102], v[101:102], v[105:106], v[101:102]
	v_mul_f64 v[105:106], v[107:108], v[101:102]
	v_fma_f64 v[99:100], -v[99:100], v[105:106], v[107:108]
	v_div_fmas_f64 v[99:100], v[99:100], v[101:102], v[105:106]
	v_div_fixup_f64 v[101:102], v[99:100], v[97:98], 1.0
	v_mul_f64 v[103:104], v[103:104], -v[101:102]
.LBB57_160:
	s_or_b64 exec, exec, s[2:3]
	ds_write2_b64 v127, v[101:102], v[103:104] offset1:1
.LBB57_161:
	s_or_b64 exec, exec, s[4:5]
	s_waitcnt lgkmcnt(0)
	s_barrier
	ds_read2_b64 v[97:100], v127 offset1:1
	v_cmp_lt_u32_e32 vcc, 17, v0
	s_waitcnt lgkmcnt(0)
	buffer_store_dword v97, off, s[20:23], 0 offset:600 ; 4-byte Folded Spill
	s_nop 0
	buffer_store_dword v98, off, s[20:23], 0 offset:604 ; 4-byte Folded Spill
	buffer_store_dword v99, off, s[20:23], 0 offset:608 ; 4-byte Folded Spill
	;; [unrolled: 1-line block ×3, first 2 shown]
	s_and_saveexec_b64 s[2:3], vcc
	s_cbranch_execz .LBB57_163
; %bb.162:
	buffer_load_dword v99, off, s[20:23], 0 offset:600 ; 4-byte Folded Reload
	buffer_load_dword v100, off, s[20:23], 0 offset:604 ; 4-byte Folded Reload
	;; [unrolled: 1-line block ×4, first 2 shown]
	s_waitcnt vmcnt(2)
	v_mul_f64 v[97:98], v[99:100], v[43:44]
	s_waitcnt vmcnt(0)
	v_mul_f64 v[43:44], v[101:102], v[43:44]
	v_fma_f64 v[97:98], v[101:102], v[41:42], v[97:98]
	v_fma_f64 v[41:42], v[99:100], v[41:42], -v[43:44]
	ds_read2_b64 v[99:102], v125 offset0:36 offset1:37
	s_waitcnt lgkmcnt(0)
	v_mul_f64 v[43:44], v[101:102], v[97:98]
	v_fma_f64 v[43:44], v[99:100], v[41:42], -v[43:44]
	v_mul_f64 v[99:100], v[99:100], v[97:98]
	v_add_f64 v[37:38], v[37:38], -v[43:44]
	v_fma_f64 v[99:100], v[101:102], v[41:42], v[99:100]
	v_add_f64 v[39:40], v[39:40], -v[99:100]
	ds_read2_b64 v[99:102], v125 offset0:38 offset1:39
	s_waitcnt lgkmcnt(0)
	v_mul_f64 v[43:44], v[101:102], v[97:98]
	v_fma_f64 v[43:44], v[99:100], v[41:42], -v[43:44]
	v_mul_f64 v[99:100], v[99:100], v[97:98]
	v_add_f64 v[33:34], v[33:34], -v[43:44]
	v_fma_f64 v[99:100], v[101:102], v[41:42], v[99:100]
	v_add_f64 v[35:36], v[35:36], -v[99:100]
	;; [unrolled: 8-line block ×10, first 2 shown]
	ds_read2_b64 v[99:102], v125 offset0:56 offset1:57
	s_waitcnt lgkmcnt(0)
	v_mul_f64 v[43:44], v[101:102], v[97:98]
	v_fma_f64 v[43:44], v[99:100], v[41:42], -v[43:44]
	v_mul_f64 v[99:100], v[99:100], v[97:98]
	v_add_f64 v[93:94], v[93:94], -v[43:44]
	v_fma_f64 v[99:100], v[101:102], v[41:42], v[99:100]
	v_mov_b32_e32 v43, v97
	v_mov_b32_e32 v44, v98
	v_add_f64 v[95:96], v[95:96], -v[99:100]
.LBB57_163:
	s_or_b64 exec, exec, s[2:3]
	v_cmp_eq_u32_e32 vcc, 18, v0
	s_waitcnt vmcnt(0)
	s_barrier
	s_and_saveexec_b64 s[4:5], vcc
	s_cbranch_execz .LBB57_170
; %bb.164:
	ds_write2_b64 v127, v[37:38], v[39:40] offset1:1
	ds_write2_b64 v125, v[33:34], v[35:36] offset0:38 offset1:39
	ds_write2_b64 v125, v[29:30], v[31:32] offset0:40 offset1:41
	;; [unrolled: 1-line block ×10, first 2 shown]
	ds_read2_b64 v[97:100], v127 offset1:1
	s_waitcnt lgkmcnt(0)
	v_cmp_neq_f64_e32 vcc, 0, v[97:98]
	v_cmp_neq_f64_e64 s[2:3], 0, v[99:100]
	s_or_b64 s[2:3], vcc, s[2:3]
	s_and_b64 exec, exec, s[2:3]
	s_cbranch_execz .LBB57_170
; %bb.165:
	v_cmp_ngt_f64_e64 s[2:3], |v[97:98]|, |v[99:100]|
                                        ; implicit-def: $vgpr101_vgpr102
	s_and_saveexec_b64 s[6:7], s[2:3]
	s_xor_b64 s[2:3], exec, s[6:7]
                                        ; implicit-def: $vgpr103_vgpr104
	s_cbranch_execz .LBB57_167
; %bb.166:
	v_div_scale_f64 v[101:102], s[6:7], v[99:100], v[99:100], v[97:98]
	v_rcp_f64_e32 v[103:104], v[101:102]
	v_fma_f64 v[105:106], -v[101:102], v[103:104], 1.0
	v_fma_f64 v[103:104], v[103:104], v[105:106], v[103:104]
	v_div_scale_f64 v[105:106], vcc, v[97:98], v[99:100], v[97:98]
	v_fma_f64 v[107:108], -v[101:102], v[103:104], 1.0
	v_fma_f64 v[103:104], v[103:104], v[107:108], v[103:104]
	v_mul_f64 v[107:108], v[105:106], v[103:104]
	v_fma_f64 v[101:102], -v[101:102], v[107:108], v[105:106]
	v_div_fmas_f64 v[101:102], v[101:102], v[103:104], v[107:108]
	v_div_fixup_f64 v[101:102], v[101:102], v[99:100], v[97:98]
	v_fma_f64 v[97:98], v[97:98], v[101:102], v[99:100]
	v_div_scale_f64 v[99:100], s[6:7], v[97:98], v[97:98], 1.0
	v_div_scale_f64 v[107:108], vcc, 1.0, v[97:98], 1.0
	v_rcp_f64_e32 v[103:104], v[99:100]
	v_fma_f64 v[105:106], -v[99:100], v[103:104], 1.0
	v_fma_f64 v[103:104], v[103:104], v[105:106], v[103:104]
	v_fma_f64 v[105:106], -v[99:100], v[103:104], 1.0
	v_fma_f64 v[103:104], v[103:104], v[105:106], v[103:104]
	v_mul_f64 v[105:106], v[107:108], v[103:104]
	v_fma_f64 v[99:100], -v[99:100], v[105:106], v[107:108]
	v_div_fmas_f64 v[99:100], v[99:100], v[103:104], v[105:106]
	v_div_fixup_f64 v[103:104], v[99:100], v[97:98], 1.0
                                        ; implicit-def: $vgpr97_vgpr98
	v_mul_f64 v[101:102], v[101:102], v[103:104]
	v_xor_b32_e32 v104, 0x80000000, v104
.LBB57_167:
	s_andn2_saveexec_b64 s[2:3], s[2:3]
	s_cbranch_execz .LBB57_169
; %bb.168:
	v_div_scale_f64 v[101:102], s[6:7], v[97:98], v[97:98], v[99:100]
	v_rcp_f64_e32 v[103:104], v[101:102]
	v_fma_f64 v[105:106], -v[101:102], v[103:104], 1.0
	v_fma_f64 v[103:104], v[103:104], v[105:106], v[103:104]
	v_div_scale_f64 v[105:106], vcc, v[99:100], v[97:98], v[99:100]
	v_fma_f64 v[107:108], -v[101:102], v[103:104], 1.0
	v_fma_f64 v[103:104], v[103:104], v[107:108], v[103:104]
	v_mul_f64 v[107:108], v[105:106], v[103:104]
	v_fma_f64 v[101:102], -v[101:102], v[107:108], v[105:106]
	v_div_fmas_f64 v[101:102], v[101:102], v[103:104], v[107:108]
	v_div_fixup_f64 v[103:104], v[101:102], v[97:98], v[99:100]
	v_fma_f64 v[97:98], v[99:100], v[103:104], v[97:98]
	v_div_scale_f64 v[99:100], s[6:7], v[97:98], v[97:98], 1.0
	v_div_scale_f64 v[107:108], vcc, 1.0, v[97:98], 1.0
	v_rcp_f64_e32 v[101:102], v[99:100]
	v_fma_f64 v[105:106], -v[99:100], v[101:102], 1.0
	v_fma_f64 v[101:102], v[101:102], v[105:106], v[101:102]
	v_fma_f64 v[105:106], -v[99:100], v[101:102], 1.0
	v_fma_f64 v[101:102], v[101:102], v[105:106], v[101:102]
	v_mul_f64 v[105:106], v[107:108], v[101:102]
	v_fma_f64 v[99:100], -v[99:100], v[105:106], v[107:108]
	v_div_fmas_f64 v[99:100], v[99:100], v[101:102], v[105:106]
	v_div_fixup_f64 v[101:102], v[99:100], v[97:98], 1.0
	v_mul_f64 v[103:104], v[103:104], -v[101:102]
.LBB57_169:
	s_or_b64 exec, exec, s[2:3]
	ds_write2_b64 v127, v[101:102], v[103:104] offset1:1
.LBB57_170:
	s_or_b64 exec, exec, s[4:5]
	s_waitcnt lgkmcnt(0)
	s_barrier
	ds_read2_b64 v[97:100], v127 offset1:1
	v_cmp_lt_u32_e32 vcc, 18, v0
	s_waitcnt lgkmcnt(0)
	buffer_store_dword v97, off, s[20:23], 0 offset:616 ; 4-byte Folded Spill
	s_nop 0
	buffer_store_dword v98, off, s[20:23], 0 offset:620 ; 4-byte Folded Spill
	buffer_store_dword v99, off, s[20:23], 0 offset:624 ; 4-byte Folded Spill
	;; [unrolled: 1-line block ×3, first 2 shown]
	s_and_saveexec_b64 s[2:3], vcc
	s_cbranch_execz .LBB57_172
; %bb.171:
	buffer_load_dword v99, off, s[20:23], 0 offset:616 ; 4-byte Folded Reload
	buffer_load_dword v100, off, s[20:23], 0 offset:620 ; 4-byte Folded Reload
	;; [unrolled: 1-line block ×4, first 2 shown]
	s_waitcnt vmcnt(2)
	v_mul_f64 v[97:98], v[99:100], v[39:40]
	s_waitcnt vmcnt(0)
	v_mul_f64 v[39:40], v[101:102], v[39:40]
	v_fma_f64 v[97:98], v[101:102], v[37:38], v[97:98]
	v_fma_f64 v[37:38], v[99:100], v[37:38], -v[39:40]
	ds_read2_b64 v[99:102], v125 offset0:38 offset1:39
	s_waitcnt lgkmcnt(0)
	v_mul_f64 v[39:40], v[101:102], v[97:98]
	v_fma_f64 v[39:40], v[99:100], v[37:38], -v[39:40]
	v_mul_f64 v[99:100], v[99:100], v[97:98]
	v_add_f64 v[33:34], v[33:34], -v[39:40]
	v_fma_f64 v[99:100], v[101:102], v[37:38], v[99:100]
	v_add_f64 v[35:36], v[35:36], -v[99:100]
	ds_read2_b64 v[99:102], v125 offset0:40 offset1:41
	s_waitcnt lgkmcnt(0)
	v_mul_f64 v[39:40], v[101:102], v[97:98]
	v_fma_f64 v[39:40], v[99:100], v[37:38], -v[39:40]
	v_mul_f64 v[99:100], v[99:100], v[97:98]
	v_add_f64 v[29:30], v[29:30], -v[39:40]
	v_fma_f64 v[99:100], v[101:102], v[37:38], v[99:100]
	v_add_f64 v[31:32], v[31:32], -v[99:100]
	;; [unrolled: 8-line block ×9, first 2 shown]
	ds_read2_b64 v[99:102], v125 offset0:56 offset1:57
	s_waitcnt lgkmcnt(0)
	v_mul_f64 v[39:40], v[101:102], v[97:98]
	v_fma_f64 v[39:40], v[99:100], v[37:38], -v[39:40]
	v_mul_f64 v[99:100], v[99:100], v[97:98]
	v_add_f64 v[93:94], v[93:94], -v[39:40]
	v_fma_f64 v[99:100], v[101:102], v[37:38], v[99:100]
	v_mov_b32_e32 v39, v97
	v_mov_b32_e32 v40, v98
	v_add_f64 v[95:96], v[95:96], -v[99:100]
.LBB57_172:
	s_or_b64 exec, exec, s[2:3]
	v_cmp_eq_u32_e32 vcc, 19, v0
	s_waitcnt vmcnt(0)
	s_barrier
	s_and_saveexec_b64 s[4:5], vcc
	s_cbranch_execz .LBB57_179
; %bb.173:
	ds_write2_b64 v127, v[33:34], v[35:36] offset1:1
	ds_write2_b64 v125, v[29:30], v[31:32] offset0:40 offset1:41
	ds_write2_b64 v125, v[25:26], v[27:28] offset0:42 offset1:43
	;; [unrolled: 1-line block ×9, first 2 shown]
	ds_read2_b64 v[97:100], v127 offset1:1
	s_waitcnt lgkmcnt(0)
	v_cmp_neq_f64_e32 vcc, 0, v[97:98]
	v_cmp_neq_f64_e64 s[2:3], 0, v[99:100]
	s_or_b64 s[2:3], vcc, s[2:3]
	s_and_b64 exec, exec, s[2:3]
	s_cbranch_execz .LBB57_179
; %bb.174:
	v_cmp_ngt_f64_e64 s[2:3], |v[97:98]|, |v[99:100]|
                                        ; implicit-def: $vgpr101_vgpr102
	s_and_saveexec_b64 s[6:7], s[2:3]
	s_xor_b64 s[2:3], exec, s[6:7]
                                        ; implicit-def: $vgpr103_vgpr104
	s_cbranch_execz .LBB57_176
; %bb.175:
	v_div_scale_f64 v[101:102], s[6:7], v[99:100], v[99:100], v[97:98]
	v_rcp_f64_e32 v[103:104], v[101:102]
	v_fma_f64 v[105:106], -v[101:102], v[103:104], 1.0
	v_fma_f64 v[103:104], v[103:104], v[105:106], v[103:104]
	v_div_scale_f64 v[105:106], vcc, v[97:98], v[99:100], v[97:98]
	v_fma_f64 v[107:108], -v[101:102], v[103:104], 1.0
	v_fma_f64 v[103:104], v[103:104], v[107:108], v[103:104]
	v_mul_f64 v[107:108], v[105:106], v[103:104]
	v_fma_f64 v[101:102], -v[101:102], v[107:108], v[105:106]
	v_div_fmas_f64 v[101:102], v[101:102], v[103:104], v[107:108]
	v_div_fixup_f64 v[101:102], v[101:102], v[99:100], v[97:98]
	v_fma_f64 v[97:98], v[97:98], v[101:102], v[99:100]
	v_div_scale_f64 v[99:100], s[6:7], v[97:98], v[97:98], 1.0
	v_div_scale_f64 v[107:108], vcc, 1.0, v[97:98], 1.0
	v_rcp_f64_e32 v[103:104], v[99:100]
	v_fma_f64 v[105:106], -v[99:100], v[103:104], 1.0
	v_fma_f64 v[103:104], v[103:104], v[105:106], v[103:104]
	v_fma_f64 v[105:106], -v[99:100], v[103:104], 1.0
	v_fma_f64 v[103:104], v[103:104], v[105:106], v[103:104]
	v_mul_f64 v[105:106], v[107:108], v[103:104]
	v_fma_f64 v[99:100], -v[99:100], v[105:106], v[107:108]
	v_div_fmas_f64 v[99:100], v[99:100], v[103:104], v[105:106]
	v_div_fixup_f64 v[103:104], v[99:100], v[97:98], 1.0
                                        ; implicit-def: $vgpr97_vgpr98
	v_mul_f64 v[101:102], v[101:102], v[103:104]
	v_xor_b32_e32 v104, 0x80000000, v104
.LBB57_176:
	s_andn2_saveexec_b64 s[2:3], s[2:3]
	s_cbranch_execz .LBB57_178
; %bb.177:
	v_div_scale_f64 v[101:102], s[6:7], v[97:98], v[97:98], v[99:100]
	v_rcp_f64_e32 v[103:104], v[101:102]
	v_fma_f64 v[105:106], -v[101:102], v[103:104], 1.0
	v_fma_f64 v[103:104], v[103:104], v[105:106], v[103:104]
	v_div_scale_f64 v[105:106], vcc, v[99:100], v[97:98], v[99:100]
	v_fma_f64 v[107:108], -v[101:102], v[103:104], 1.0
	v_fma_f64 v[103:104], v[103:104], v[107:108], v[103:104]
	v_mul_f64 v[107:108], v[105:106], v[103:104]
	v_fma_f64 v[101:102], -v[101:102], v[107:108], v[105:106]
	v_div_fmas_f64 v[101:102], v[101:102], v[103:104], v[107:108]
	v_div_fixup_f64 v[103:104], v[101:102], v[97:98], v[99:100]
	v_fma_f64 v[97:98], v[99:100], v[103:104], v[97:98]
	v_div_scale_f64 v[99:100], s[6:7], v[97:98], v[97:98], 1.0
	v_div_scale_f64 v[107:108], vcc, 1.0, v[97:98], 1.0
	v_rcp_f64_e32 v[101:102], v[99:100]
	v_fma_f64 v[105:106], -v[99:100], v[101:102], 1.0
	v_fma_f64 v[101:102], v[101:102], v[105:106], v[101:102]
	v_fma_f64 v[105:106], -v[99:100], v[101:102], 1.0
	v_fma_f64 v[101:102], v[101:102], v[105:106], v[101:102]
	v_mul_f64 v[105:106], v[107:108], v[101:102]
	v_fma_f64 v[99:100], -v[99:100], v[105:106], v[107:108]
	v_div_fmas_f64 v[99:100], v[99:100], v[101:102], v[105:106]
	v_div_fixup_f64 v[101:102], v[99:100], v[97:98], 1.0
	v_mul_f64 v[103:104], v[103:104], -v[101:102]
.LBB57_178:
	s_or_b64 exec, exec, s[2:3]
	ds_write2_b64 v127, v[101:102], v[103:104] offset1:1
.LBB57_179:
	s_or_b64 exec, exec, s[4:5]
	s_waitcnt lgkmcnt(0)
	s_barrier
	ds_read2_b64 v[97:100], v127 offset1:1
	v_cmp_lt_u32_e32 vcc, 19, v0
	s_waitcnt lgkmcnt(0)
	buffer_store_dword v97, off, s[20:23], 0 offset:632 ; 4-byte Folded Spill
	s_nop 0
	buffer_store_dword v98, off, s[20:23], 0 offset:636 ; 4-byte Folded Spill
	buffer_store_dword v99, off, s[20:23], 0 offset:640 ; 4-byte Folded Spill
	;; [unrolled: 1-line block ×3, first 2 shown]
	s_and_saveexec_b64 s[2:3], vcc
	s_cbranch_execz .LBB57_181
; %bb.180:
	buffer_load_dword v99, off, s[20:23], 0 offset:632 ; 4-byte Folded Reload
	buffer_load_dword v100, off, s[20:23], 0 offset:636 ; 4-byte Folded Reload
	;; [unrolled: 1-line block ×4, first 2 shown]
	s_waitcnt vmcnt(2)
	v_mul_f64 v[97:98], v[99:100], v[35:36]
	s_waitcnt vmcnt(0)
	v_mul_f64 v[35:36], v[101:102], v[35:36]
	v_fma_f64 v[97:98], v[101:102], v[33:34], v[97:98]
	v_fma_f64 v[33:34], v[99:100], v[33:34], -v[35:36]
	ds_read2_b64 v[99:102], v125 offset0:40 offset1:41
	s_waitcnt lgkmcnt(0)
	v_mul_f64 v[35:36], v[101:102], v[97:98]
	v_fma_f64 v[35:36], v[99:100], v[33:34], -v[35:36]
	v_mul_f64 v[99:100], v[99:100], v[97:98]
	v_add_f64 v[29:30], v[29:30], -v[35:36]
	v_fma_f64 v[99:100], v[101:102], v[33:34], v[99:100]
	v_add_f64 v[31:32], v[31:32], -v[99:100]
	ds_read2_b64 v[99:102], v125 offset0:42 offset1:43
	s_waitcnt lgkmcnt(0)
	v_mul_f64 v[35:36], v[101:102], v[97:98]
	v_fma_f64 v[35:36], v[99:100], v[33:34], -v[35:36]
	v_mul_f64 v[99:100], v[99:100], v[97:98]
	v_add_f64 v[25:26], v[25:26], -v[35:36]
	v_fma_f64 v[99:100], v[101:102], v[33:34], v[99:100]
	v_add_f64 v[27:28], v[27:28], -v[99:100]
	;; [unrolled: 8-line block ×8, first 2 shown]
	ds_read2_b64 v[99:102], v125 offset0:56 offset1:57
	s_waitcnt lgkmcnt(0)
	v_mul_f64 v[35:36], v[101:102], v[97:98]
	v_fma_f64 v[35:36], v[99:100], v[33:34], -v[35:36]
	v_mul_f64 v[99:100], v[99:100], v[97:98]
	v_add_f64 v[93:94], v[93:94], -v[35:36]
	v_fma_f64 v[99:100], v[101:102], v[33:34], v[99:100]
	v_mov_b32_e32 v35, v97
	v_mov_b32_e32 v36, v98
	v_add_f64 v[95:96], v[95:96], -v[99:100]
.LBB57_181:
	s_or_b64 exec, exec, s[2:3]
	v_cmp_eq_u32_e32 vcc, 20, v0
	s_waitcnt vmcnt(0)
	s_barrier
	s_and_saveexec_b64 s[4:5], vcc
	s_cbranch_execz .LBB57_188
; %bb.182:
	ds_write2_b64 v127, v[29:30], v[31:32] offset1:1
	ds_write2_b64 v125, v[25:26], v[27:28] offset0:42 offset1:43
	ds_write2_b64 v125, v[21:22], v[23:24] offset0:44 offset1:45
	;; [unrolled: 1-line block ×8, first 2 shown]
	ds_read2_b64 v[97:100], v127 offset1:1
	s_waitcnt lgkmcnt(0)
	v_cmp_neq_f64_e32 vcc, 0, v[97:98]
	v_cmp_neq_f64_e64 s[2:3], 0, v[99:100]
	s_or_b64 s[2:3], vcc, s[2:3]
	s_and_b64 exec, exec, s[2:3]
	s_cbranch_execz .LBB57_188
; %bb.183:
	v_cmp_ngt_f64_e64 s[2:3], |v[97:98]|, |v[99:100]|
                                        ; implicit-def: $vgpr101_vgpr102
	s_and_saveexec_b64 s[6:7], s[2:3]
	s_xor_b64 s[2:3], exec, s[6:7]
                                        ; implicit-def: $vgpr103_vgpr104
	s_cbranch_execz .LBB57_185
; %bb.184:
	v_div_scale_f64 v[101:102], s[6:7], v[99:100], v[99:100], v[97:98]
	v_rcp_f64_e32 v[103:104], v[101:102]
	v_fma_f64 v[105:106], -v[101:102], v[103:104], 1.0
	v_fma_f64 v[103:104], v[103:104], v[105:106], v[103:104]
	v_div_scale_f64 v[105:106], vcc, v[97:98], v[99:100], v[97:98]
	v_fma_f64 v[107:108], -v[101:102], v[103:104], 1.0
	v_fma_f64 v[103:104], v[103:104], v[107:108], v[103:104]
	v_mul_f64 v[107:108], v[105:106], v[103:104]
	v_fma_f64 v[101:102], -v[101:102], v[107:108], v[105:106]
	v_div_fmas_f64 v[101:102], v[101:102], v[103:104], v[107:108]
	v_div_fixup_f64 v[101:102], v[101:102], v[99:100], v[97:98]
	v_fma_f64 v[97:98], v[97:98], v[101:102], v[99:100]
	v_div_scale_f64 v[99:100], s[6:7], v[97:98], v[97:98], 1.0
	v_div_scale_f64 v[107:108], vcc, 1.0, v[97:98], 1.0
	v_rcp_f64_e32 v[103:104], v[99:100]
	v_fma_f64 v[105:106], -v[99:100], v[103:104], 1.0
	v_fma_f64 v[103:104], v[103:104], v[105:106], v[103:104]
	v_fma_f64 v[105:106], -v[99:100], v[103:104], 1.0
	v_fma_f64 v[103:104], v[103:104], v[105:106], v[103:104]
	v_mul_f64 v[105:106], v[107:108], v[103:104]
	v_fma_f64 v[99:100], -v[99:100], v[105:106], v[107:108]
	v_div_fmas_f64 v[99:100], v[99:100], v[103:104], v[105:106]
	v_div_fixup_f64 v[103:104], v[99:100], v[97:98], 1.0
                                        ; implicit-def: $vgpr97_vgpr98
	v_mul_f64 v[101:102], v[101:102], v[103:104]
	v_xor_b32_e32 v104, 0x80000000, v104
.LBB57_185:
	s_andn2_saveexec_b64 s[2:3], s[2:3]
	s_cbranch_execz .LBB57_187
; %bb.186:
	v_div_scale_f64 v[101:102], s[6:7], v[97:98], v[97:98], v[99:100]
	v_rcp_f64_e32 v[103:104], v[101:102]
	v_fma_f64 v[105:106], -v[101:102], v[103:104], 1.0
	v_fma_f64 v[103:104], v[103:104], v[105:106], v[103:104]
	v_div_scale_f64 v[105:106], vcc, v[99:100], v[97:98], v[99:100]
	v_fma_f64 v[107:108], -v[101:102], v[103:104], 1.0
	v_fma_f64 v[103:104], v[103:104], v[107:108], v[103:104]
	v_mul_f64 v[107:108], v[105:106], v[103:104]
	v_fma_f64 v[101:102], -v[101:102], v[107:108], v[105:106]
	v_div_fmas_f64 v[101:102], v[101:102], v[103:104], v[107:108]
	v_div_fixup_f64 v[103:104], v[101:102], v[97:98], v[99:100]
	v_fma_f64 v[97:98], v[99:100], v[103:104], v[97:98]
	v_div_scale_f64 v[99:100], s[6:7], v[97:98], v[97:98], 1.0
	v_div_scale_f64 v[107:108], vcc, 1.0, v[97:98], 1.0
	v_rcp_f64_e32 v[101:102], v[99:100]
	v_fma_f64 v[105:106], -v[99:100], v[101:102], 1.0
	v_fma_f64 v[101:102], v[101:102], v[105:106], v[101:102]
	v_fma_f64 v[105:106], -v[99:100], v[101:102], 1.0
	v_fma_f64 v[101:102], v[101:102], v[105:106], v[101:102]
	v_mul_f64 v[105:106], v[107:108], v[101:102]
	v_fma_f64 v[99:100], -v[99:100], v[105:106], v[107:108]
	v_div_fmas_f64 v[99:100], v[99:100], v[101:102], v[105:106]
	v_div_fixup_f64 v[101:102], v[99:100], v[97:98], 1.0
	v_mul_f64 v[103:104], v[103:104], -v[101:102]
.LBB57_187:
	s_or_b64 exec, exec, s[2:3]
	ds_write2_b64 v127, v[101:102], v[103:104] offset1:1
.LBB57_188:
	s_or_b64 exec, exec, s[4:5]
	s_waitcnt lgkmcnt(0)
	s_barrier
	ds_read2_b64 v[97:100], v127 offset1:1
	v_cmp_lt_u32_e32 vcc, 20, v0
	s_waitcnt lgkmcnt(0)
	buffer_store_dword v97, off, s[20:23], 0 offset:648 ; 4-byte Folded Spill
	s_nop 0
	buffer_store_dword v98, off, s[20:23], 0 offset:652 ; 4-byte Folded Spill
	buffer_store_dword v99, off, s[20:23], 0 offset:656 ; 4-byte Folded Spill
	;; [unrolled: 1-line block ×3, first 2 shown]
	s_and_saveexec_b64 s[2:3], vcc
	s_cbranch_execz .LBB57_190
; %bb.189:
	buffer_load_dword v99, off, s[20:23], 0 offset:648 ; 4-byte Folded Reload
	buffer_load_dword v100, off, s[20:23], 0 offset:652 ; 4-byte Folded Reload
	;; [unrolled: 1-line block ×4, first 2 shown]
	s_waitcnt vmcnt(2)
	v_mul_f64 v[97:98], v[99:100], v[31:32]
	s_waitcnt vmcnt(0)
	v_mul_f64 v[31:32], v[101:102], v[31:32]
	v_fma_f64 v[97:98], v[101:102], v[29:30], v[97:98]
	v_fma_f64 v[29:30], v[99:100], v[29:30], -v[31:32]
	ds_read2_b64 v[99:102], v125 offset0:42 offset1:43
	s_waitcnt lgkmcnt(0)
	v_mul_f64 v[31:32], v[101:102], v[97:98]
	v_fma_f64 v[31:32], v[99:100], v[29:30], -v[31:32]
	v_mul_f64 v[99:100], v[99:100], v[97:98]
	v_add_f64 v[25:26], v[25:26], -v[31:32]
	v_fma_f64 v[99:100], v[101:102], v[29:30], v[99:100]
	v_add_f64 v[27:28], v[27:28], -v[99:100]
	ds_read2_b64 v[99:102], v125 offset0:44 offset1:45
	s_waitcnt lgkmcnt(0)
	v_mul_f64 v[31:32], v[101:102], v[97:98]
	v_fma_f64 v[31:32], v[99:100], v[29:30], -v[31:32]
	v_mul_f64 v[99:100], v[99:100], v[97:98]
	v_add_f64 v[21:22], v[21:22], -v[31:32]
	v_fma_f64 v[99:100], v[101:102], v[29:30], v[99:100]
	v_add_f64 v[23:24], v[23:24], -v[99:100]
	;; [unrolled: 8-line block ×7, first 2 shown]
	ds_read2_b64 v[99:102], v125 offset0:56 offset1:57
	s_waitcnt lgkmcnt(0)
	v_mul_f64 v[31:32], v[101:102], v[97:98]
	v_fma_f64 v[31:32], v[99:100], v[29:30], -v[31:32]
	v_mul_f64 v[99:100], v[99:100], v[97:98]
	v_add_f64 v[93:94], v[93:94], -v[31:32]
	v_fma_f64 v[99:100], v[101:102], v[29:30], v[99:100]
	v_mov_b32_e32 v31, v97
	v_mov_b32_e32 v32, v98
	v_add_f64 v[95:96], v[95:96], -v[99:100]
.LBB57_190:
	s_or_b64 exec, exec, s[2:3]
	v_cmp_eq_u32_e32 vcc, 21, v0
	s_waitcnt vmcnt(0)
	s_barrier
	s_and_saveexec_b64 s[4:5], vcc
	s_cbranch_execz .LBB57_197
; %bb.191:
	ds_write2_b64 v127, v[25:26], v[27:28] offset1:1
	ds_write2_b64 v125, v[21:22], v[23:24] offset0:44 offset1:45
	ds_write2_b64 v125, v[17:18], v[19:20] offset0:46 offset1:47
	;; [unrolled: 1-line block ×7, first 2 shown]
	ds_read2_b64 v[97:100], v127 offset1:1
	s_waitcnt lgkmcnt(0)
	v_cmp_neq_f64_e32 vcc, 0, v[97:98]
	v_cmp_neq_f64_e64 s[2:3], 0, v[99:100]
	s_or_b64 s[2:3], vcc, s[2:3]
	s_and_b64 exec, exec, s[2:3]
	s_cbranch_execz .LBB57_197
; %bb.192:
	v_cmp_ngt_f64_e64 s[2:3], |v[97:98]|, |v[99:100]|
                                        ; implicit-def: $vgpr101_vgpr102
	s_and_saveexec_b64 s[6:7], s[2:3]
	s_xor_b64 s[2:3], exec, s[6:7]
                                        ; implicit-def: $vgpr103_vgpr104
	s_cbranch_execz .LBB57_194
; %bb.193:
	v_div_scale_f64 v[101:102], s[6:7], v[99:100], v[99:100], v[97:98]
	v_rcp_f64_e32 v[103:104], v[101:102]
	v_fma_f64 v[105:106], -v[101:102], v[103:104], 1.0
	v_fma_f64 v[103:104], v[103:104], v[105:106], v[103:104]
	v_div_scale_f64 v[105:106], vcc, v[97:98], v[99:100], v[97:98]
	v_fma_f64 v[107:108], -v[101:102], v[103:104], 1.0
	v_fma_f64 v[103:104], v[103:104], v[107:108], v[103:104]
	v_mul_f64 v[107:108], v[105:106], v[103:104]
	v_fma_f64 v[101:102], -v[101:102], v[107:108], v[105:106]
	v_div_fmas_f64 v[101:102], v[101:102], v[103:104], v[107:108]
	v_div_fixup_f64 v[101:102], v[101:102], v[99:100], v[97:98]
	v_fma_f64 v[97:98], v[97:98], v[101:102], v[99:100]
	v_div_scale_f64 v[99:100], s[6:7], v[97:98], v[97:98], 1.0
	v_div_scale_f64 v[107:108], vcc, 1.0, v[97:98], 1.0
	v_rcp_f64_e32 v[103:104], v[99:100]
	v_fma_f64 v[105:106], -v[99:100], v[103:104], 1.0
	v_fma_f64 v[103:104], v[103:104], v[105:106], v[103:104]
	v_fma_f64 v[105:106], -v[99:100], v[103:104], 1.0
	v_fma_f64 v[103:104], v[103:104], v[105:106], v[103:104]
	v_mul_f64 v[105:106], v[107:108], v[103:104]
	v_fma_f64 v[99:100], -v[99:100], v[105:106], v[107:108]
	v_div_fmas_f64 v[99:100], v[99:100], v[103:104], v[105:106]
	v_div_fixup_f64 v[103:104], v[99:100], v[97:98], 1.0
                                        ; implicit-def: $vgpr97_vgpr98
	v_mul_f64 v[101:102], v[101:102], v[103:104]
	v_xor_b32_e32 v104, 0x80000000, v104
.LBB57_194:
	s_andn2_saveexec_b64 s[2:3], s[2:3]
	s_cbranch_execz .LBB57_196
; %bb.195:
	v_div_scale_f64 v[101:102], s[6:7], v[97:98], v[97:98], v[99:100]
	v_rcp_f64_e32 v[103:104], v[101:102]
	v_fma_f64 v[105:106], -v[101:102], v[103:104], 1.0
	v_fma_f64 v[103:104], v[103:104], v[105:106], v[103:104]
	v_div_scale_f64 v[105:106], vcc, v[99:100], v[97:98], v[99:100]
	v_fma_f64 v[107:108], -v[101:102], v[103:104], 1.0
	v_fma_f64 v[103:104], v[103:104], v[107:108], v[103:104]
	v_mul_f64 v[107:108], v[105:106], v[103:104]
	v_fma_f64 v[101:102], -v[101:102], v[107:108], v[105:106]
	v_div_fmas_f64 v[101:102], v[101:102], v[103:104], v[107:108]
	v_div_fixup_f64 v[103:104], v[101:102], v[97:98], v[99:100]
	v_fma_f64 v[97:98], v[99:100], v[103:104], v[97:98]
	v_div_scale_f64 v[99:100], s[6:7], v[97:98], v[97:98], 1.0
	v_div_scale_f64 v[107:108], vcc, 1.0, v[97:98], 1.0
	v_rcp_f64_e32 v[101:102], v[99:100]
	v_fma_f64 v[105:106], -v[99:100], v[101:102], 1.0
	v_fma_f64 v[101:102], v[101:102], v[105:106], v[101:102]
	v_fma_f64 v[105:106], -v[99:100], v[101:102], 1.0
	v_fma_f64 v[101:102], v[101:102], v[105:106], v[101:102]
	v_mul_f64 v[105:106], v[107:108], v[101:102]
	v_fma_f64 v[99:100], -v[99:100], v[105:106], v[107:108]
	v_div_fmas_f64 v[99:100], v[99:100], v[101:102], v[105:106]
	v_div_fixup_f64 v[101:102], v[99:100], v[97:98], 1.0
	v_mul_f64 v[103:104], v[103:104], -v[101:102]
.LBB57_196:
	s_or_b64 exec, exec, s[2:3]
	ds_write2_b64 v127, v[101:102], v[103:104] offset1:1
.LBB57_197:
	s_or_b64 exec, exec, s[4:5]
	s_waitcnt lgkmcnt(0)
	s_barrier
	ds_read2_b64 v[97:100], v127 offset1:1
	v_cmp_lt_u32_e32 vcc, 21, v0
	s_waitcnt lgkmcnt(0)
	buffer_store_dword v97, off, s[20:23], 0 offset:664 ; 4-byte Folded Spill
	s_nop 0
	buffer_store_dword v98, off, s[20:23], 0 offset:668 ; 4-byte Folded Spill
	buffer_store_dword v99, off, s[20:23], 0 offset:672 ; 4-byte Folded Spill
	;; [unrolled: 1-line block ×3, first 2 shown]
	s_and_saveexec_b64 s[2:3], vcc
	s_cbranch_execz .LBB57_199
; %bb.198:
	buffer_load_dword v99, off, s[20:23], 0 offset:664 ; 4-byte Folded Reload
	buffer_load_dword v100, off, s[20:23], 0 offset:668 ; 4-byte Folded Reload
	buffer_load_dword v101, off, s[20:23], 0 offset:672 ; 4-byte Folded Reload
	buffer_load_dword v102, off, s[20:23], 0 offset:676 ; 4-byte Folded Reload
	s_waitcnt vmcnt(2)
	v_mul_f64 v[97:98], v[99:100], v[27:28]
	s_waitcnt vmcnt(0)
	v_mul_f64 v[27:28], v[101:102], v[27:28]
	v_fma_f64 v[97:98], v[101:102], v[25:26], v[97:98]
	v_fma_f64 v[25:26], v[99:100], v[25:26], -v[27:28]
	ds_read2_b64 v[99:102], v125 offset0:44 offset1:45
	s_waitcnt lgkmcnt(0)
	v_mul_f64 v[27:28], v[101:102], v[97:98]
	v_fma_f64 v[27:28], v[99:100], v[25:26], -v[27:28]
	v_mul_f64 v[99:100], v[99:100], v[97:98]
	v_add_f64 v[21:22], v[21:22], -v[27:28]
	v_fma_f64 v[99:100], v[101:102], v[25:26], v[99:100]
	v_add_f64 v[23:24], v[23:24], -v[99:100]
	ds_read2_b64 v[99:102], v125 offset0:46 offset1:47
	s_waitcnt lgkmcnt(0)
	v_mul_f64 v[27:28], v[101:102], v[97:98]
	v_fma_f64 v[27:28], v[99:100], v[25:26], -v[27:28]
	v_mul_f64 v[99:100], v[99:100], v[97:98]
	v_add_f64 v[17:18], v[17:18], -v[27:28]
	v_fma_f64 v[99:100], v[101:102], v[25:26], v[99:100]
	v_add_f64 v[19:20], v[19:20], -v[99:100]
	;; [unrolled: 8-line block ×6, first 2 shown]
	ds_read2_b64 v[99:102], v125 offset0:56 offset1:57
	s_waitcnt lgkmcnt(0)
	v_mul_f64 v[27:28], v[101:102], v[97:98]
	v_fma_f64 v[27:28], v[99:100], v[25:26], -v[27:28]
	v_mul_f64 v[99:100], v[99:100], v[97:98]
	v_add_f64 v[93:94], v[93:94], -v[27:28]
	v_fma_f64 v[99:100], v[101:102], v[25:26], v[99:100]
	v_mov_b32_e32 v27, v97
	v_mov_b32_e32 v28, v98
	v_add_f64 v[95:96], v[95:96], -v[99:100]
.LBB57_199:
	s_or_b64 exec, exec, s[2:3]
	v_cmp_eq_u32_e32 vcc, 22, v0
	s_waitcnt vmcnt(0)
	s_barrier
	s_and_saveexec_b64 s[4:5], vcc
	s_cbranch_execz .LBB57_206
; %bb.200:
	ds_write2_b64 v127, v[21:22], v[23:24] offset1:1
	ds_write2_b64 v125, v[17:18], v[19:20] offset0:46 offset1:47
	ds_write2_b64 v125, v[13:14], v[15:16] offset0:48 offset1:49
	;; [unrolled: 1-line block ×6, first 2 shown]
	ds_read2_b64 v[97:100], v127 offset1:1
	s_waitcnt lgkmcnt(0)
	v_cmp_neq_f64_e32 vcc, 0, v[97:98]
	v_cmp_neq_f64_e64 s[2:3], 0, v[99:100]
	s_or_b64 s[2:3], vcc, s[2:3]
	s_and_b64 exec, exec, s[2:3]
	s_cbranch_execz .LBB57_206
; %bb.201:
	v_cmp_ngt_f64_e64 s[2:3], |v[97:98]|, |v[99:100]|
                                        ; implicit-def: $vgpr101_vgpr102
	s_and_saveexec_b64 s[6:7], s[2:3]
	s_xor_b64 s[2:3], exec, s[6:7]
                                        ; implicit-def: $vgpr103_vgpr104
	s_cbranch_execz .LBB57_203
; %bb.202:
	v_div_scale_f64 v[101:102], s[6:7], v[99:100], v[99:100], v[97:98]
	v_rcp_f64_e32 v[103:104], v[101:102]
	v_fma_f64 v[105:106], -v[101:102], v[103:104], 1.0
	v_fma_f64 v[103:104], v[103:104], v[105:106], v[103:104]
	v_div_scale_f64 v[105:106], vcc, v[97:98], v[99:100], v[97:98]
	v_fma_f64 v[107:108], -v[101:102], v[103:104], 1.0
	v_fma_f64 v[103:104], v[103:104], v[107:108], v[103:104]
	v_mul_f64 v[107:108], v[105:106], v[103:104]
	v_fma_f64 v[101:102], -v[101:102], v[107:108], v[105:106]
	v_div_fmas_f64 v[101:102], v[101:102], v[103:104], v[107:108]
	v_div_fixup_f64 v[101:102], v[101:102], v[99:100], v[97:98]
	v_fma_f64 v[97:98], v[97:98], v[101:102], v[99:100]
	v_div_scale_f64 v[99:100], s[6:7], v[97:98], v[97:98], 1.0
	v_div_scale_f64 v[107:108], vcc, 1.0, v[97:98], 1.0
	v_rcp_f64_e32 v[103:104], v[99:100]
	v_fma_f64 v[105:106], -v[99:100], v[103:104], 1.0
	v_fma_f64 v[103:104], v[103:104], v[105:106], v[103:104]
	v_fma_f64 v[105:106], -v[99:100], v[103:104], 1.0
	v_fma_f64 v[103:104], v[103:104], v[105:106], v[103:104]
	v_mul_f64 v[105:106], v[107:108], v[103:104]
	v_fma_f64 v[99:100], -v[99:100], v[105:106], v[107:108]
	v_div_fmas_f64 v[99:100], v[99:100], v[103:104], v[105:106]
	v_div_fixup_f64 v[103:104], v[99:100], v[97:98], 1.0
                                        ; implicit-def: $vgpr97_vgpr98
	v_mul_f64 v[101:102], v[101:102], v[103:104]
	v_xor_b32_e32 v104, 0x80000000, v104
.LBB57_203:
	s_andn2_saveexec_b64 s[2:3], s[2:3]
	s_cbranch_execz .LBB57_205
; %bb.204:
	v_div_scale_f64 v[101:102], s[6:7], v[97:98], v[97:98], v[99:100]
	v_rcp_f64_e32 v[103:104], v[101:102]
	v_fma_f64 v[105:106], -v[101:102], v[103:104], 1.0
	v_fma_f64 v[103:104], v[103:104], v[105:106], v[103:104]
	v_div_scale_f64 v[105:106], vcc, v[99:100], v[97:98], v[99:100]
	v_fma_f64 v[107:108], -v[101:102], v[103:104], 1.0
	v_fma_f64 v[103:104], v[103:104], v[107:108], v[103:104]
	v_mul_f64 v[107:108], v[105:106], v[103:104]
	v_fma_f64 v[101:102], -v[101:102], v[107:108], v[105:106]
	v_div_fmas_f64 v[101:102], v[101:102], v[103:104], v[107:108]
	v_div_fixup_f64 v[103:104], v[101:102], v[97:98], v[99:100]
	v_fma_f64 v[97:98], v[99:100], v[103:104], v[97:98]
	v_div_scale_f64 v[99:100], s[6:7], v[97:98], v[97:98], 1.0
	v_div_scale_f64 v[107:108], vcc, 1.0, v[97:98], 1.0
	v_rcp_f64_e32 v[101:102], v[99:100]
	v_fma_f64 v[105:106], -v[99:100], v[101:102], 1.0
	v_fma_f64 v[101:102], v[101:102], v[105:106], v[101:102]
	v_fma_f64 v[105:106], -v[99:100], v[101:102], 1.0
	v_fma_f64 v[101:102], v[101:102], v[105:106], v[101:102]
	v_mul_f64 v[105:106], v[107:108], v[101:102]
	v_fma_f64 v[99:100], -v[99:100], v[105:106], v[107:108]
	v_div_fmas_f64 v[99:100], v[99:100], v[101:102], v[105:106]
	v_div_fixup_f64 v[101:102], v[99:100], v[97:98], 1.0
	v_mul_f64 v[103:104], v[103:104], -v[101:102]
.LBB57_205:
	s_or_b64 exec, exec, s[2:3]
	ds_write2_b64 v127, v[101:102], v[103:104] offset1:1
.LBB57_206:
	s_or_b64 exec, exec, s[4:5]
	s_waitcnt lgkmcnt(0)
	s_barrier
	ds_read2_b64 v[97:100], v127 offset1:1
	v_cmp_lt_u32_e32 vcc, 22, v0
	s_waitcnt lgkmcnt(0)
	buffer_store_dword v97, off, s[20:23], 0 offset:680 ; 4-byte Folded Spill
	s_nop 0
	buffer_store_dword v98, off, s[20:23], 0 offset:684 ; 4-byte Folded Spill
	buffer_store_dword v99, off, s[20:23], 0 offset:688 ; 4-byte Folded Spill
	;; [unrolled: 1-line block ×3, first 2 shown]
	s_and_saveexec_b64 s[2:3], vcc
	s_cbranch_execz .LBB57_208
; %bb.207:
	buffer_load_dword v99, off, s[20:23], 0 offset:680 ; 4-byte Folded Reload
	buffer_load_dword v100, off, s[20:23], 0 offset:684 ; 4-byte Folded Reload
	;; [unrolled: 1-line block ×4, first 2 shown]
	s_waitcnt vmcnt(2)
	v_mul_f64 v[97:98], v[99:100], v[23:24]
	s_waitcnt vmcnt(0)
	v_mul_f64 v[23:24], v[101:102], v[23:24]
	v_fma_f64 v[97:98], v[101:102], v[21:22], v[97:98]
	v_fma_f64 v[21:22], v[99:100], v[21:22], -v[23:24]
	ds_read2_b64 v[99:102], v125 offset0:46 offset1:47
	s_waitcnt lgkmcnt(0)
	v_mul_f64 v[23:24], v[101:102], v[97:98]
	v_fma_f64 v[23:24], v[99:100], v[21:22], -v[23:24]
	v_mul_f64 v[99:100], v[99:100], v[97:98]
	v_add_f64 v[17:18], v[17:18], -v[23:24]
	v_fma_f64 v[99:100], v[101:102], v[21:22], v[99:100]
	v_add_f64 v[19:20], v[19:20], -v[99:100]
	ds_read2_b64 v[99:102], v125 offset0:48 offset1:49
	s_waitcnt lgkmcnt(0)
	v_mul_f64 v[23:24], v[101:102], v[97:98]
	v_fma_f64 v[23:24], v[99:100], v[21:22], -v[23:24]
	v_mul_f64 v[99:100], v[99:100], v[97:98]
	v_add_f64 v[13:14], v[13:14], -v[23:24]
	v_fma_f64 v[99:100], v[101:102], v[21:22], v[99:100]
	v_add_f64 v[15:16], v[15:16], -v[99:100]
	;; [unrolled: 8-line block ×5, first 2 shown]
	ds_read2_b64 v[99:102], v125 offset0:56 offset1:57
	s_waitcnt lgkmcnt(0)
	v_mul_f64 v[23:24], v[101:102], v[97:98]
	v_fma_f64 v[23:24], v[99:100], v[21:22], -v[23:24]
	v_mul_f64 v[99:100], v[99:100], v[97:98]
	v_add_f64 v[93:94], v[93:94], -v[23:24]
	v_fma_f64 v[99:100], v[101:102], v[21:22], v[99:100]
	v_mov_b32_e32 v23, v97
	v_mov_b32_e32 v24, v98
	v_add_f64 v[95:96], v[95:96], -v[99:100]
.LBB57_208:
	s_or_b64 exec, exec, s[2:3]
	v_cmp_eq_u32_e32 vcc, 23, v0
	s_waitcnt vmcnt(0)
	s_barrier
	s_and_saveexec_b64 s[4:5], vcc
	s_cbranch_execz .LBB57_215
; %bb.209:
	ds_write2_b64 v127, v[17:18], v[19:20] offset1:1
	ds_write2_b64 v125, v[13:14], v[15:16] offset0:48 offset1:49
	ds_write2_b64 v125, v[9:10], v[11:12] offset0:50 offset1:51
	;; [unrolled: 1-line block ×5, first 2 shown]
	ds_read2_b64 v[97:100], v127 offset1:1
	s_waitcnt lgkmcnt(0)
	v_cmp_neq_f64_e32 vcc, 0, v[97:98]
	v_cmp_neq_f64_e64 s[2:3], 0, v[99:100]
	s_or_b64 s[2:3], vcc, s[2:3]
	s_and_b64 exec, exec, s[2:3]
	s_cbranch_execz .LBB57_215
; %bb.210:
	v_cmp_ngt_f64_e64 s[2:3], |v[97:98]|, |v[99:100]|
                                        ; implicit-def: $vgpr101_vgpr102
	s_and_saveexec_b64 s[6:7], s[2:3]
	s_xor_b64 s[2:3], exec, s[6:7]
                                        ; implicit-def: $vgpr103_vgpr104
	s_cbranch_execz .LBB57_212
; %bb.211:
	v_div_scale_f64 v[101:102], s[6:7], v[99:100], v[99:100], v[97:98]
	v_rcp_f64_e32 v[103:104], v[101:102]
	v_fma_f64 v[105:106], -v[101:102], v[103:104], 1.0
	v_fma_f64 v[103:104], v[103:104], v[105:106], v[103:104]
	v_div_scale_f64 v[105:106], vcc, v[97:98], v[99:100], v[97:98]
	v_fma_f64 v[107:108], -v[101:102], v[103:104], 1.0
	v_fma_f64 v[103:104], v[103:104], v[107:108], v[103:104]
	v_mul_f64 v[107:108], v[105:106], v[103:104]
	v_fma_f64 v[101:102], -v[101:102], v[107:108], v[105:106]
	v_div_fmas_f64 v[101:102], v[101:102], v[103:104], v[107:108]
	v_div_fixup_f64 v[101:102], v[101:102], v[99:100], v[97:98]
	v_fma_f64 v[97:98], v[97:98], v[101:102], v[99:100]
	v_div_scale_f64 v[99:100], s[6:7], v[97:98], v[97:98], 1.0
	v_div_scale_f64 v[107:108], vcc, 1.0, v[97:98], 1.0
	v_rcp_f64_e32 v[103:104], v[99:100]
	v_fma_f64 v[105:106], -v[99:100], v[103:104], 1.0
	v_fma_f64 v[103:104], v[103:104], v[105:106], v[103:104]
	v_fma_f64 v[105:106], -v[99:100], v[103:104], 1.0
	v_fma_f64 v[103:104], v[103:104], v[105:106], v[103:104]
	v_mul_f64 v[105:106], v[107:108], v[103:104]
	v_fma_f64 v[99:100], -v[99:100], v[105:106], v[107:108]
	v_div_fmas_f64 v[99:100], v[99:100], v[103:104], v[105:106]
	v_div_fixup_f64 v[103:104], v[99:100], v[97:98], 1.0
                                        ; implicit-def: $vgpr97_vgpr98
	v_mul_f64 v[101:102], v[101:102], v[103:104]
	v_xor_b32_e32 v104, 0x80000000, v104
.LBB57_212:
	s_andn2_saveexec_b64 s[2:3], s[2:3]
	s_cbranch_execz .LBB57_214
; %bb.213:
	v_div_scale_f64 v[101:102], s[6:7], v[97:98], v[97:98], v[99:100]
	v_rcp_f64_e32 v[103:104], v[101:102]
	v_fma_f64 v[105:106], -v[101:102], v[103:104], 1.0
	v_fma_f64 v[103:104], v[103:104], v[105:106], v[103:104]
	v_div_scale_f64 v[105:106], vcc, v[99:100], v[97:98], v[99:100]
	v_fma_f64 v[107:108], -v[101:102], v[103:104], 1.0
	v_fma_f64 v[103:104], v[103:104], v[107:108], v[103:104]
	v_mul_f64 v[107:108], v[105:106], v[103:104]
	v_fma_f64 v[101:102], -v[101:102], v[107:108], v[105:106]
	v_div_fmas_f64 v[101:102], v[101:102], v[103:104], v[107:108]
	v_div_fixup_f64 v[103:104], v[101:102], v[97:98], v[99:100]
	v_fma_f64 v[97:98], v[99:100], v[103:104], v[97:98]
	v_div_scale_f64 v[99:100], s[6:7], v[97:98], v[97:98], 1.0
	v_div_scale_f64 v[107:108], vcc, 1.0, v[97:98], 1.0
	v_rcp_f64_e32 v[101:102], v[99:100]
	v_fma_f64 v[105:106], -v[99:100], v[101:102], 1.0
	v_fma_f64 v[101:102], v[101:102], v[105:106], v[101:102]
	v_fma_f64 v[105:106], -v[99:100], v[101:102], 1.0
	v_fma_f64 v[101:102], v[101:102], v[105:106], v[101:102]
	v_mul_f64 v[105:106], v[107:108], v[101:102]
	v_fma_f64 v[99:100], -v[99:100], v[105:106], v[107:108]
	v_div_fmas_f64 v[99:100], v[99:100], v[101:102], v[105:106]
	v_div_fixup_f64 v[101:102], v[99:100], v[97:98], 1.0
	v_mul_f64 v[103:104], v[103:104], -v[101:102]
.LBB57_214:
	s_or_b64 exec, exec, s[2:3]
	ds_write2_b64 v127, v[101:102], v[103:104] offset1:1
.LBB57_215:
	s_or_b64 exec, exec, s[4:5]
	s_waitcnt lgkmcnt(0)
	s_barrier
	ds_read2_b64 v[121:124], v127 offset1:1
	v_cmp_lt_u32_e32 vcc, 23, v0
	s_and_saveexec_b64 s[2:3], vcc
	s_cbranch_execz .LBB57_217
; %bb.216:
	s_waitcnt lgkmcnt(0)
	v_mul_f64 v[97:98], v[121:122], v[19:20]
	v_mul_f64 v[19:20], v[123:124], v[19:20]
	v_fma_f64 v[101:102], v[123:124], v[17:18], v[97:98]
	ds_read2_b64 v[97:100], v125 offset0:48 offset1:49
	v_fma_f64 v[17:18], v[121:122], v[17:18], -v[19:20]
	s_waitcnt lgkmcnt(0)
	v_mul_f64 v[19:20], v[99:100], v[101:102]
	v_fma_f64 v[19:20], v[97:98], v[17:18], -v[19:20]
	v_mul_f64 v[97:98], v[97:98], v[101:102]
	v_add_f64 v[13:14], v[13:14], -v[19:20]
	v_fma_f64 v[97:98], v[99:100], v[17:18], v[97:98]
	v_add_f64 v[15:16], v[15:16], -v[97:98]
	ds_read2_b64 v[97:100], v125 offset0:50 offset1:51
	s_waitcnt lgkmcnt(0)
	v_mul_f64 v[19:20], v[99:100], v[101:102]
	v_fma_f64 v[19:20], v[97:98], v[17:18], -v[19:20]
	v_mul_f64 v[97:98], v[97:98], v[101:102]
	v_add_f64 v[9:10], v[9:10], -v[19:20]
	v_fma_f64 v[97:98], v[99:100], v[17:18], v[97:98]
	v_add_f64 v[11:12], v[11:12], -v[97:98]
	ds_read2_b64 v[97:100], v125 offset0:52 offset1:53
	;; [unrolled: 8-line block ×4, first 2 shown]
	s_waitcnt lgkmcnt(0)
	v_mul_f64 v[19:20], v[99:100], v[101:102]
	v_fma_f64 v[19:20], v[97:98], v[17:18], -v[19:20]
	v_mul_f64 v[97:98], v[97:98], v[101:102]
	v_add_f64 v[93:94], v[93:94], -v[19:20]
	v_fma_f64 v[97:98], v[99:100], v[17:18], v[97:98]
	v_mov_b32_e32 v19, v101
	v_mov_b32_e32 v20, v102
	v_add_f64 v[95:96], v[95:96], -v[97:98]
.LBB57_217:
	s_or_b64 exec, exec, s[2:3]
	v_cmp_eq_u32_e32 vcc, 24, v0
	s_waitcnt lgkmcnt(0)
	s_barrier
	s_and_saveexec_b64 s[4:5], vcc
	s_cbranch_execz .LBB57_224
; %bb.218:
	ds_write2_b64 v127, v[13:14], v[15:16] offset1:1
	ds_write2_b64 v125, v[9:10], v[11:12] offset0:50 offset1:51
	ds_write2_b64 v125, v[5:6], v[7:8] offset0:52 offset1:53
	;; [unrolled: 1-line block ×4, first 2 shown]
	ds_read2_b64 v[97:100], v127 offset1:1
	s_waitcnt lgkmcnt(0)
	v_cmp_neq_f64_e32 vcc, 0, v[97:98]
	v_cmp_neq_f64_e64 s[2:3], 0, v[99:100]
	s_or_b64 s[2:3], vcc, s[2:3]
	s_and_b64 exec, exec, s[2:3]
	s_cbranch_execz .LBB57_224
; %bb.219:
	v_cmp_ngt_f64_e64 s[2:3], |v[97:98]|, |v[99:100]|
                                        ; implicit-def: $vgpr101_vgpr102
	s_and_saveexec_b64 s[6:7], s[2:3]
	s_xor_b64 s[2:3], exec, s[6:7]
                                        ; implicit-def: $vgpr103_vgpr104
	s_cbranch_execz .LBB57_221
; %bb.220:
	v_div_scale_f64 v[101:102], s[6:7], v[99:100], v[99:100], v[97:98]
	v_rcp_f64_e32 v[103:104], v[101:102]
	v_fma_f64 v[105:106], -v[101:102], v[103:104], 1.0
	v_fma_f64 v[103:104], v[103:104], v[105:106], v[103:104]
	v_div_scale_f64 v[105:106], vcc, v[97:98], v[99:100], v[97:98]
	v_fma_f64 v[107:108], -v[101:102], v[103:104], 1.0
	v_fma_f64 v[103:104], v[103:104], v[107:108], v[103:104]
	v_mul_f64 v[107:108], v[105:106], v[103:104]
	v_fma_f64 v[101:102], -v[101:102], v[107:108], v[105:106]
	v_div_fmas_f64 v[101:102], v[101:102], v[103:104], v[107:108]
	v_div_fixup_f64 v[101:102], v[101:102], v[99:100], v[97:98]
	v_fma_f64 v[97:98], v[97:98], v[101:102], v[99:100]
	v_div_scale_f64 v[99:100], s[6:7], v[97:98], v[97:98], 1.0
	v_div_scale_f64 v[107:108], vcc, 1.0, v[97:98], 1.0
	v_rcp_f64_e32 v[103:104], v[99:100]
	v_fma_f64 v[105:106], -v[99:100], v[103:104], 1.0
	v_fma_f64 v[103:104], v[103:104], v[105:106], v[103:104]
	v_fma_f64 v[105:106], -v[99:100], v[103:104], 1.0
	v_fma_f64 v[103:104], v[103:104], v[105:106], v[103:104]
	v_mul_f64 v[105:106], v[107:108], v[103:104]
	v_fma_f64 v[99:100], -v[99:100], v[105:106], v[107:108]
	v_div_fmas_f64 v[99:100], v[99:100], v[103:104], v[105:106]
	v_div_fixup_f64 v[103:104], v[99:100], v[97:98], 1.0
                                        ; implicit-def: $vgpr97_vgpr98
	v_mul_f64 v[101:102], v[101:102], v[103:104]
	v_xor_b32_e32 v104, 0x80000000, v104
.LBB57_221:
	s_andn2_saveexec_b64 s[2:3], s[2:3]
	s_cbranch_execz .LBB57_223
; %bb.222:
	v_div_scale_f64 v[101:102], s[6:7], v[97:98], v[97:98], v[99:100]
	v_rcp_f64_e32 v[103:104], v[101:102]
	v_fma_f64 v[105:106], -v[101:102], v[103:104], 1.0
	v_fma_f64 v[103:104], v[103:104], v[105:106], v[103:104]
	v_div_scale_f64 v[105:106], vcc, v[99:100], v[97:98], v[99:100]
	v_fma_f64 v[107:108], -v[101:102], v[103:104], 1.0
	v_fma_f64 v[103:104], v[103:104], v[107:108], v[103:104]
	v_mul_f64 v[107:108], v[105:106], v[103:104]
	v_fma_f64 v[101:102], -v[101:102], v[107:108], v[105:106]
	v_div_fmas_f64 v[101:102], v[101:102], v[103:104], v[107:108]
	v_div_fixup_f64 v[103:104], v[101:102], v[97:98], v[99:100]
	v_fma_f64 v[97:98], v[99:100], v[103:104], v[97:98]
	v_div_scale_f64 v[99:100], s[6:7], v[97:98], v[97:98], 1.0
	v_div_scale_f64 v[107:108], vcc, 1.0, v[97:98], 1.0
	v_rcp_f64_e32 v[101:102], v[99:100]
	v_fma_f64 v[105:106], -v[99:100], v[101:102], 1.0
	v_fma_f64 v[101:102], v[101:102], v[105:106], v[101:102]
	v_fma_f64 v[105:106], -v[99:100], v[101:102], 1.0
	v_fma_f64 v[101:102], v[101:102], v[105:106], v[101:102]
	v_mul_f64 v[105:106], v[107:108], v[101:102]
	v_fma_f64 v[99:100], -v[99:100], v[105:106], v[107:108]
	v_div_fmas_f64 v[99:100], v[99:100], v[101:102], v[105:106]
	v_div_fixup_f64 v[101:102], v[99:100], v[97:98], 1.0
	v_mul_f64 v[103:104], v[103:104], -v[101:102]
.LBB57_223:
	s_or_b64 exec, exec, s[2:3]
	ds_write2_b64 v127, v[101:102], v[103:104] offset1:1
.LBB57_224:
	s_or_b64 exec, exec, s[4:5]
	s_waitcnt lgkmcnt(0)
	s_barrier
	ds_read2_b64 v[113:116], v127 offset1:1
	v_cmp_lt_u32_e32 vcc, 24, v0
	s_and_saveexec_b64 s[2:3], vcc
	s_cbranch_execz .LBB57_226
; %bb.225:
	s_waitcnt lgkmcnt(0)
	v_mul_f64 v[97:98], v[113:114], v[15:16]
	v_mul_f64 v[15:16], v[115:116], v[15:16]
	v_fma_f64 v[101:102], v[115:116], v[13:14], v[97:98]
	ds_read2_b64 v[97:100], v125 offset0:50 offset1:51
	v_fma_f64 v[13:14], v[113:114], v[13:14], -v[15:16]
	s_waitcnt lgkmcnt(0)
	v_mul_f64 v[15:16], v[99:100], v[101:102]
	v_fma_f64 v[15:16], v[97:98], v[13:14], -v[15:16]
	v_mul_f64 v[97:98], v[97:98], v[101:102]
	v_add_f64 v[9:10], v[9:10], -v[15:16]
	v_fma_f64 v[97:98], v[99:100], v[13:14], v[97:98]
	v_add_f64 v[11:12], v[11:12], -v[97:98]
	ds_read2_b64 v[97:100], v125 offset0:52 offset1:53
	s_waitcnt lgkmcnt(0)
	v_mul_f64 v[15:16], v[99:100], v[101:102]
	v_fma_f64 v[15:16], v[97:98], v[13:14], -v[15:16]
	v_mul_f64 v[97:98], v[97:98], v[101:102]
	v_add_f64 v[5:6], v[5:6], -v[15:16]
	v_fma_f64 v[97:98], v[99:100], v[13:14], v[97:98]
	v_add_f64 v[7:8], v[7:8], -v[97:98]
	ds_read2_b64 v[97:100], v125 offset0:54 offset1:55
	;; [unrolled: 8-line block ×3, first 2 shown]
	s_waitcnt lgkmcnt(0)
	v_mul_f64 v[15:16], v[99:100], v[101:102]
	v_fma_f64 v[15:16], v[97:98], v[13:14], -v[15:16]
	v_mul_f64 v[97:98], v[97:98], v[101:102]
	v_add_f64 v[93:94], v[93:94], -v[15:16]
	v_fma_f64 v[97:98], v[99:100], v[13:14], v[97:98]
	v_mov_b32_e32 v15, v101
	v_mov_b32_e32 v16, v102
	v_add_f64 v[95:96], v[95:96], -v[97:98]
.LBB57_226:
	s_or_b64 exec, exec, s[2:3]
	v_cmp_eq_u32_e32 vcc, 25, v0
	s_waitcnt lgkmcnt(0)
	s_barrier
	s_and_saveexec_b64 s[4:5], vcc
	s_cbranch_execz .LBB57_233
; %bb.227:
	ds_write2_b64 v127, v[9:10], v[11:12] offset1:1
	ds_write2_b64 v125, v[5:6], v[7:8] offset0:52 offset1:53
	ds_write2_b64 v125, v[1:2], v[3:4] offset0:54 offset1:55
	;; [unrolled: 1-line block ×3, first 2 shown]
	ds_read2_b64 v[97:100], v127 offset1:1
	s_waitcnt lgkmcnt(0)
	v_cmp_neq_f64_e32 vcc, 0, v[97:98]
	v_cmp_neq_f64_e64 s[2:3], 0, v[99:100]
	s_or_b64 s[2:3], vcc, s[2:3]
	s_and_b64 exec, exec, s[2:3]
	s_cbranch_execz .LBB57_233
; %bb.228:
	v_cmp_ngt_f64_e64 s[2:3], |v[97:98]|, |v[99:100]|
                                        ; implicit-def: $vgpr101_vgpr102
	s_and_saveexec_b64 s[6:7], s[2:3]
	s_xor_b64 s[2:3], exec, s[6:7]
                                        ; implicit-def: $vgpr103_vgpr104
	s_cbranch_execz .LBB57_230
; %bb.229:
	v_div_scale_f64 v[101:102], s[6:7], v[99:100], v[99:100], v[97:98]
	v_rcp_f64_e32 v[103:104], v[101:102]
	v_fma_f64 v[105:106], -v[101:102], v[103:104], 1.0
	v_fma_f64 v[103:104], v[103:104], v[105:106], v[103:104]
	v_div_scale_f64 v[105:106], vcc, v[97:98], v[99:100], v[97:98]
	v_fma_f64 v[107:108], -v[101:102], v[103:104], 1.0
	v_fma_f64 v[103:104], v[103:104], v[107:108], v[103:104]
	v_mul_f64 v[107:108], v[105:106], v[103:104]
	v_fma_f64 v[101:102], -v[101:102], v[107:108], v[105:106]
	v_div_fmas_f64 v[101:102], v[101:102], v[103:104], v[107:108]
	v_div_fixup_f64 v[101:102], v[101:102], v[99:100], v[97:98]
	v_fma_f64 v[97:98], v[97:98], v[101:102], v[99:100]
	v_div_scale_f64 v[99:100], s[6:7], v[97:98], v[97:98], 1.0
	v_div_scale_f64 v[107:108], vcc, 1.0, v[97:98], 1.0
	v_rcp_f64_e32 v[103:104], v[99:100]
	v_fma_f64 v[105:106], -v[99:100], v[103:104], 1.0
	v_fma_f64 v[103:104], v[103:104], v[105:106], v[103:104]
	v_fma_f64 v[105:106], -v[99:100], v[103:104], 1.0
	v_fma_f64 v[103:104], v[103:104], v[105:106], v[103:104]
	v_mul_f64 v[105:106], v[107:108], v[103:104]
	v_fma_f64 v[99:100], -v[99:100], v[105:106], v[107:108]
	v_div_fmas_f64 v[99:100], v[99:100], v[103:104], v[105:106]
	v_div_fixup_f64 v[103:104], v[99:100], v[97:98], 1.0
                                        ; implicit-def: $vgpr97_vgpr98
	v_mul_f64 v[101:102], v[101:102], v[103:104]
	v_xor_b32_e32 v104, 0x80000000, v104
.LBB57_230:
	s_andn2_saveexec_b64 s[2:3], s[2:3]
	s_cbranch_execz .LBB57_232
; %bb.231:
	v_div_scale_f64 v[101:102], s[6:7], v[97:98], v[97:98], v[99:100]
	v_rcp_f64_e32 v[103:104], v[101:102]
	v_fma_f64 v[105:106], -v[101:102], v[103:104], 1.0
	v_fma_f64 v[103:104], v[103:104], v[105:106], v[103:104]
	v_div_scale_f64 v[105:106], vcc, v[99:100], v[97:98], v[99:100]
	v_fma_f64 v[107:108], -v[101:102], v[103:104], 1.0
	v_fma_f64 v[103:104], v[103:104], v[107:108], v[103:104]
	v_mul_f64 v[107:108], v[105:106], v[103:104]
	v_fma_f64 v[101:102], -v[101:102], v[107:108], v[105:106]
	v_div_fmas_f64 v[101:102], v[101:102], v[103:104], v[107:108]
	v_div_fixup_f64 v[103:104], v[101:102], v[97:98], v[99:100]
	v_fma_f64 v[97:98], v[99:100], v[103:104], v[97:98]
	v_div_scale_f64 v[99:100], s[6:7], v[97:98], v[97:98], 1.0
	v_div_scale_f64 v[107:108], vcc, 1.0, v[97:98], 1.0
	v_rcp_f64_e32 v[101:102], v[99:100]
	v_fma_f64 v[105:106], -v[99:100], v[101:102], 1.0
	v_fma_f64 v[101:102], v[101:102], v[105:106], v[101:102]
	v_fma_f64 v[105:106], -v[99:100], v[101:102], 1.0
	v_fma_f64 v[101:102], v[101:102], v[105:106], v[101:102]
	v_mul_f64 v[105:106], v[107:108], v[101:102]
	v_fma_f64 v[99:100], -v[99:100], v[105:106], v[107:108]
	v_div_fmas_f64 v[99:100], v[99:100], v[101:102], v[105:106]
	v_div_fixup_f64 v[101:102], v[99:100], v[97:98], 1.0
	v_mul_f64 v[103:104], v[103:104], -v[101:102]
.LBB57_232:
	s_or_b64 exec, exec, s[2:3]
	ds_write2_b64 v127, v[101:102], v[103:104] offset1:1
.LBB57_233:
	s_or_b64 exec, exec, s[4:5]
	s_waitcnt lgkmcnt(0)
	s_barrier
	ds_read2_b64 v[109:112], v127 offset1:1
	v_cmp_lt_u32_e32 vcc, 25, v0
	s_and_saveexec_b64 s[2:3], vcc
	s_cbranch_execz .LBB57_235
; %bb.234:
	s_waitcnt lgkmcnt(0)
	v_mul_f64 v[97:98], v[109:110], v[11:12]
	v_mul_f64 v[11:12], v[111:112], v[11:12]
	v_fma_f64 v[101:102], v[111:112], v[9:10], v[97:98]
	ds_read2_b64 v[97:100], v125 offset0:52 offset1:53
	v_fma_f64 v[9:10], v[109:110], v[9:10], -v[11:12]
	s_waitcnt lgkmcnt(0)
	v_mul_f64 v[11:12], v[99:100], v[101:102]
	v_fma_f64 v[11:12], v[97:98], v[9:10], -v[11:12]
	v_mul_f64 v[97:98], v[97:98], v[101:102]
	v_add_f64 v[5:6], v[5:6], -v[11:12]
	v_fma_f64 v[97:98], v[99:100], v[9:10], v[97:98]
	v_add_f64 v[7:8], v[7:8], -v[97:98]
	ds_read2_b64 v[97:100], v125 offset0:54 offset1:55
	s_waitcnt lgkmcnt(0)
	v_mul_f64 v[11:12], v[99:100], v[101:102]
	v_fma_f64 v[11:12], v[97:98], v[9:10], -v[11:12]
	v_mul_f64 v[97:98], v[97:98], v[101:102]
	v_add_f64 v[1:2], v[1:2], -v[11:12]
	v_fma_f64 v[97:98], v[99:100], v[9:10], v[97:98]
	v_add_f64 v[3:4], v[3:4], -v[97:98]
	ds_read2_b64 v[97:100], v125 offset0:56 offset1:57
	s_waitcnt lgkmcnt(0)
	v_mul_f64 v[11:12], v[99:100], v[101:102]
	v_fma_f64 v[11:12], v[97:98], v[9:10], -v[11:12]
	v_mul_f64 v[97:98], v[97:98], v[101:102]
	v_add_f64 v[93:94], v[93:94], -v[11:12]
	v_fma_f64 v[97:98], v[99:100], v[9:10], v[97:98]
	v_mov_b32_e32 v11, v101
	v_mov_b32_e32 v12, v102
	v_add_f64 v[95:96], v[95:96], -v[97:98]
.LBB57_235:
	s_or_b64 exec, exec, s[2:3]
	v_cmp_eq_u32_e32 vcc, 26, v0
	s_waitcnt lgkmcnt(0)
	s_barrier
	s_and_saveexec_b64 s[4:5], vcc
	s_cbranch_execz .LBB57_242
; %bb.236:
	ds_write2_b64 v127, v[5:6], v[7:8] offset1:1
	ds_write2_b64 v125, v[1:2], v[3:4] offset0:54 offset1:55
	ds_write2_b64 v125, v[93:94], v[95:96] offset0:56 offset1:57
	ds_read2_b64 v[97:100], v127 offset1:1
	s_waitcnt lgkmcnt(0)
	v_cmp_neq_f64_e32 vcc, 0, v[97:98]
	v_cmp_neq_f64_e64 s[2:3], 0, v[99:100]
	s_or_b64 s[2:3], vcc, s[2:3]
	s_and_b64 exec, exec, s[2:3]
	s_cbranch_execz .LBB57_242
; %bb.237:
	v_cmp_ngt_f64_e64 s[2:3], |v[97:98]|, |v[99:100]|
                                        ; implicit-def: $vgpr101_vgpr102
	s_and_saveexec_b64 s[6:7], s[2:3]
	s_xor_b64 s[2:3], exec, s[6:7]
                                        ; implicit-def: $vgpr103_vgpr104
	s_cbranch_execz .LBB57_239
; %bb.238:
	v_div_scale_f64 v[101:102], s[6:7], v[99:100], v[99:100], v[97:98]
	v_rcp_f64_e32 v[103:104], v[101:102]
	v_fma_f64 v[105:106], -v[101:102], v[103:104], 1.0
	v_fma_f64 v[103:104], v[103:104], v[105:106], v[103:104]
	v_div_scale_f64 v[105:106], vcc, v[97:98], v[99:100], v[97:98]
	v_fma_f64 v[107:108], -v[101:102], v[103:104], 1.0
	v_fma_f64 v[103:104], v[103:104], v[107:108], v[103:104]
	v_mul_f64 v[107:108], v[105:106], v[103:104]
	v_fma_f64 v[101:102], -v[101:102], v[107:108], v[105:106]
	v_div_fmas_f64 v[101:102], v[101:102], v[103:104], v[107:108]
	v_div_fixup_f64 v[101:102], v[101:102], v[99:100], v[97:98]
	v_fma_f64 v[97:98], v[97:98], v[101:102], v[99:100]
	v_div_scale_f64 v[99:100], s[6:7], v[97:98], v[97:98], 1.0
	v_div_scale_f64 v[107:108], vcc, 1.0, v[97:98], 1.0
	v_rcp_f64_e32 v[103:104], v[99:100]
	v_fma_f64 v[105:106], -v[99:100], v[103:104], 1.0
	v_fma_f64 v[103:104], v[103:104], v[105:106], v[103:104]
	v_fma_f64 v[105:106], -v[99:100], v[103:104], 1.0
	v_fma_f64 v[103:104], v[103:104], v[105:106], v[103:104]
	v_mul_f64 v[105:106], v[107:108], v[103:104]
	v_fma_f64 v[99:100], -v[99:100], v[105:106], v[107:108]
	v_div_fmas_f64 v[99:100], v[99:100], v[103:104], v[105:106]
	v_div_fixup_f64 v[103:104], v[99:100], v[97:98], 1.0
                                        ; implicit-def: $vgpr97_vgpr98
	v_mul_f64 v[101:102], v[101:102], v[103:104]
	v_xor_b32_e32 v104, 0x80000000, v104
.LBB57_239:
	s_andn2_saveexec_b64 s[2:3], s[2:3]
	s_cbranch_execz .LBB57_241
; %bb.240:
	v_div_scale_f64 v[101:102], s[6:7], v[97:98], v[97:98], v[99:100]
	v_rcp_f64_e32 v[103:104], v[101:102]
	v_fma_f64 v[105:106], -v[101:102], v[103:104], 1.0
	v_fma_f64 v[103:104], v[103:104], v[105:106], v[103:104]
	v_div_scale_f64 v[105:106], vcc, v[99:100], v[97:98], v[99:100]
	v_fma_f64 v[107:108], -v[101:102], v[103:104], 1.0
	v_fma_f64 v[103:104], v[103:104], v[107:108], v[103:104]
	v_mul_f64 v[107:108], v[105:106], v[103:104]
	v_fma_f64 v[101:102], -v[101:102], v[107:108], v[105:106]
	v_div_fmas_f64 v[101:102], v[101:102], v[103:104], v[107:108]
	v_div_fixup_f64 v[103:104], v[101:102], v[97:98], v[99:100]
	v_fma_f64 v[97:98], v[99:100], v[103:104], v[97:98]
	v_div_scale_f64 v[99:100], s[6:7], v[97:98], v[97:98], 1.0
	v_div_scale_f64 v[107:108], vcc, 1.0, v[97:98], 1.0
	v_rcp_f64_e32 v[101:102], v[99:100]
	v_fma_f64 v[105:106], -v[99:100], v[101:102], 1.0
	v_fma_f64 v[101:102], v[101:102], v[105:106], v[101:102]
	v_fma_f64 v[105:106], -v[99:100], v[101:102], 1.0
	v_fma_f64 v[101:102], v[101:102], v[105:106], v[101:102]
	v_mul_f64 v[105:106], v[107:108], v[101:102]
	v_fma_f64 v[99:100], -v[99:100], v[105:106], v[107:108]
	v_div_fmas_f64 v[99:100], v[99:100], v[101:102], v[105:106]
	v_div_fixup_f64 v[101:102], v[99:100], v[97:98], 1.0
	v_mul_f64 v[103:104], v[103:104], -v[101:102]
.LBB57_241:
	s_or_b64 exec, exec, s[2:3]
	ds_write2_b64 v127, v[101:102], v[103:104] offset1:1
.LBB57_242:
	s_or_b64 exec, exec, s[4:5]
	s_waitcnt lgkmcnt(0)
	s_barrier
	ds_read2_b64 v[101:104], v127 offset1:1
	v_cmp_lt_u32_e32 vcc, 26, v0
	s_and_saveexec_b64 s[2:3], vcc
	s_cbranch_execz .LBB57_244
; %bb.243:
	s_waitcnt lgkmcnt(0)
	v_mul_f64 v[97:98], v[101:102], v[7:8]
	v_mul_f64 v[7:8], v[103:104], v[7:8]
	v_fma_f64 v[105:106], v[103:104], v[5:6], v[97:98]
	ds_read2_b64 v[97:100], v125 offset0:54 offset1:55
	v_fma_f64 v[5:6], v[101:102], v[5:6], -v[7:8]
	s_waitcnt lgkmcnt(0)
	v_mul_f64 v[7:8], v[99:100], v[105:106]
	v_fma_f64 v[7:8], v[97:98], v[5:6], -v[7:8]
	v_mul_f64 v[97:98], v[97:98], v[105:106]
	v_add_f64 v[1:2], v[1:2], -v[7:8]
	v_fma_f64 v[97:98], v[99:100], v[5:6], v[97:98]
	v_add_f64 v[3:4], v[3:4], -v[97:98]
	ds_read2_b64 v[97:100], v125 offset0:56 offset1:57
	s_waitcnt lgkmcnt(0)
	v_mul_f64 v[7:8], v[99:100], v[105:106]
	v_fma_f64 v[7:8], v[97:98], v[5:6], -v[7:8]
	v_mul_f64 v[97:98], v[97:98], v[105:106]
	v_add_f64 v[93:94], v[93:94], -v[7:8]
	v_fma_f64 v[97:98], v[99:100], v[5:6], v[97:98]
	v_mov_b32_e32 v7, v105
	v_mov_b32_e32 v8, v106
	v_add_f64 v[95:96], v[95:96], -v[97:98]
.LBB57_244:
	s_or_b64 exec, exec, s[2:3]
	s_waitcnt lgkmcnt(0)
	s_barrier
	v_cmp_eq_u32_e32 vcc, 27, v0
	s_mov_b64 s[4:5], exec
	s_and_b64 s[2:3], s[4:5], vcc
	buffer_store_dword v83, off, s[20:23], 0 offset:296 ; 4-byte Folded Spill
	s_nop 0
	buffer_store_dword v84, off, s[20:23], 0 offset:300 ; 4-byte Folded Spill
	buffer_store_dword v85, off, s[20:23], 0 offset:304 ; 4-byte Folded Spill
	;; [unrolled: 1-line block ×3, first 2 shown]
	s_mov_b64 exec, s[2:3]
	s_cbranch_execz .LBB57_251
; %bb.245:
	ds_write2_b64 v127, v[1:2], v[3:4] offset1:1
	ds_write2_b64 v125, v[93:94], v[95:96] offset0:56 offset1:57
	ds_read2_b64 v[97:100], v127 offset1:1
	s_waitcnt lgkmcnt(0)
	v_cmp_neq_f64_e32 vcc, 0, v[97:98]
	v_cmp_neq_f64_e64 s[2:3], 0, v[99:100]
	s_or_b64 s[2:3], vcc, s[2:3]
	s_and_b64 exec, exec, s[2:3]
	s_cbranch_execz .LBB57_251
; %bb.246:
	v_cmp_ngt_f64_e64 s[2:3], |v[97:98]|, |v[99:100]|
                                        ; implicit-def: $vgpr105_vgpr106
	s_and_saveexec_b64 s[6:7], s[2:3]
	s_xor_b64 s[2:3], exec, s[6:7]
                                        ; implicit-def: $vgpr107_vgpr108
	s_cbranch_execz .LBB57_248
; %bb.247:
	v_div_scale_f64 v[105:106], s[6:7], v[99:100], v[99:100], v[97:98]
	v_mov_b32_e32 v85, v119
	v_mov_b32_e32 v86, v120
	v_rcp_f64_e32 v[107:108], v[105:106]
	v_fma_f64 v[117:118], -v[105:106], v[107:108], 1.0
	v_fma_f64 v[107:108], v[107:108], v[117:118], v[107:108]
	v_div_scale_f64 v[117:118], vcc, v[97:98], v[99:100], v[97:98]
	v_fma_f64 v[119:120], -v[105:106], v[107:108], 1.0
	v_fma_f64 v[107:108], v[107:108], v[119:120], v[107:108]
	v_mul_f64 v[119:120], v[117:118], v[107:108]
	v_fma_f64 v[105:106], -v[105:106], v[119:120], v[117:118]
	v_div_fmas_f64 v[105:106], v[105:106], v[107:108], v[119:120]
	v_div_fixup_f64 v[105:106], v[105:106], v[99:100], v[97:98]
	v_fma_f64 v[97:98], v[97:98], v[105:106], v[99:100]
	v_div_scale_f64 v[99:100], s[6:7], v[97:98], v[97:98], 1.0
	v_div_scale_f64 v[119:120], vcc, 1.0, v[97:98], 1.0
	v_rcp_f64_e32 v[107:108], v[99:100]
	v_fma_f64 v[117:118], -v[99:100], v[107:108], 1.0
	v_fma_f64 v[107:108], v[107:108], v[117:118], v[107:108]
	v_fma_f64 v[117:118], -v[99:100], v[107:108], 1.0
	v_fma_f64 v[107:108], v[107:108], v[117:118], v[107:108]
	v_mul_f64 v[117:118], v[119:120], v[107:108]
	v_fma_f64 v[99:100], -v[99:100], v[117:118], v[119:120]
	v_mov_b32_e32 v120, v86
	v_mov_b32_e32 v119, v85
	v_div_fmas_f64 v[99:100], v[99:100], v[107:108], v[117:118]
	v_div_fixup_f64 v[107:108], v[99:100], v[97:98], 1.0
                                        ; implicit-def: $vgpr97_vgpr98
	v_mul_f64 v[105:106], v[105:106], v[107:108]
	v_xor_b32_e32 v108, 0x80000000, v108
.LBB57_248:
	s_andn2_saveexec_b64 s[2:3], s[2:3]
	s_cbranch_execz .LBB57_250
; %bb.249:
	v_div_scale_f64 v[105:106], s[6:7], v[97:98], v[97:98], v[99:100]
	v_mov_b32_e32 v85, v119
	v_mov_b32_e32 v86, v120
	v_rcp_f64_e32 v[107:108], v[105:106]
	v_fma_f64 v[117:118], -v[105:106], v[107:108], 1.0
	v_fma_f64 v[107:108], v[107:108], v[117:118], v[107:108]
	v_div_scale_f64 v[117:118], vcc, v[99:100], v[97:98], v[99:100]
	v_fma_f64 v[119:120], -v[105:106], v[107:108], 1.0
	v_fma_f64 v[107:108], v[107:108], v[119:120], v[107:108]
	v_mul_f64 v[119:120], v[117:118], v[107:108]
	v_fma_f64 v[105:106], -v[105:106], v[119:120], v[117:118]
	v_div_fmas_f64 v[105:106], v[105:106], v[107:108], v[119:120]
	v_div_fixup_f64 v[107:108], v[105:106], v[97:98], v[99:100]
	v_fma_f64 v[97:98], v[99:100], v[107:108], v[97:98]
	v_div_scale_f64 v[99:100], s[6:7], v[97:98], v[97:98], 1.0
	v_div_scale_f64 v[119:120], vcc, 1.0, v[97:98], 1.0
	v_rcp_f64_e32 v[105:106], v[99:100]
	v_fma_f64 v[117:118], -v[99:100], v[105:106], 1.0
	v_fma_f64 v[105:106], v[105:106], v[117:118], v[105:106]
	v_fma_f64 v[117:118], -v[99:100], v[105:106], 1.0
	v_fma_f64 v[105:106], v[105:106], v[117:118], v[105:106]
	v_mul_f64 v[117:118], v[119:120], v[105:106]
	v_fma_f64 v[99:100], -v[99:100], v[117:118], v[119:120]
	v_mov_b32_e32 v120, v86
	v_mov_b32_e32 v119, v85
	v_div_fmas_f64 v[99:100], v[99:100], v[105:106], v[117:118]
	v_div_fixup_f64 v[105:106], v[99:100], v[97:98], 1.0
	v_mul_f64 v[107:108], v[107:108], -v[105:106]
.LBB57_250:
	s_or_b64 exec, exec, s[2:3]
	ds_write2_b64 v127, v[105:106], v[107:108] offset1:1
.LBB57_251:
	s_or_b64 exec, exec, s[4:5]
	s_waitcnt vmcnt(0) lgkmcnt(0)
	s_barrier
	ds_read2_b64 v[97:100], v127 offset1:1
	v_cmp_lt_u32_e32 vcc, 27, v0
	s_and_saveexec_b64 s[2:3], vcc
	s_cbranch_execz .LBB57_253
; %bb.252:
	s_waitcnt lgkmcnt(0)
	v_mul_f64 v[105:106], v[97:98], v[3:4]
	v_mul_f64 v[3:4], v[99:100], v[3:4]
	v_fma_f64 v[117:118], v[99:100], v[1:2], v[105:106]
	ds_read2_b64 v[105:108], v125 offset0:56 offset1:57
	v_fma_f64 v[1:2], v[97:98], v[1:2], -v[3:4]
	s_waitcnt lgkmcnt(0)
	v_mul_f64 v[3:4], v[107:108], v[117:118]
	v_fma_f64 v[3:4], v[105:106], v[1:2], -v[3:4]
	v_mul_f64 v[105:106], v[105:106], v[117:118]
	v_add_f64 v[93:94], v[93:94], -v[3:4]
	v_fma_f64 v[105:106], v[107:108], v[1:2], v[105:106]
	v_mov_b32_e32 v3, v117
	v_mov_b32_e32 v4, v118
	v_add_f64 v[95:96], v[95:96], -v[105:106]
.LBB57_253:
	s_or_b64 exec, exec, s[2:3]
	v_cmp_eq_u32_e32 vcc, 28, v0
	s_waitcnt lgkmcnt(0)
	s_barrier
	s_and_saveexec_b64 s[4:5], vcc
	s_cbranch_execz .LBB57_260
; %bb.254:
	v_cmp_neq_f64_e32 vcc, 0, v[93:94]
	v_cmp_neq_f64_e64 s[2:3], 0, v[95:96]
	ds_write2_b64 v127, v[93:94], v[95:96] offset1:1
	s_or_b64 s[2:3], vcc, s[2:3]
	s_and_b64 exec, exec, s[2:3]
	s_cbranch_execz .LBB57_260
; %bb.255:
	v_cmp_ngt_f64_e64 s[2:3], |v[93:94]|, |v[95:96]|
                                        ; implicit-def: $vgpr105_vgpr106
	s_and_saveexec_b64 s[6:7], s[2:3]
	s_xor_b64 s[2:3], exec, s[6:7]
                                        ; implicit-def: $vgpr107_vgpr108
	s_cbranch_execz .LBB57_257
; %bb.256:
	v_div_scale_f64 v[105:106], s[6:7], v[95:96], v[95:96], v[93:94]
	v_mov_b32_e32 v85, v119
	v_mov_b32_e32 v86, v120
	;; [unrolled: 1-line block ×8, first 2 shown]
	v_rcp_f64_e32 v[107:108], v[105:106]
	v_fma_f64 v[117:118], -v[105:106], v[107:108], 1.0
	v_fma_f64 v[107:108], v[107:108], v[117:118], v[107:108]
	v_div_scale_f64 v[117:118], vcc, v[93:94], v[95:96], v[93:94]
	v_fma_f64 v[119:120], -v[105:106], v[107:108], 1.0
	v_fma_f64 v[107:108], v[107:108], v[119:120], v[107:108]
	v_mul_f64 v[119:120], v[117:118], v[107:108]
	v_fma_f64 v[105:106], -v[105:106], v[119:120], v[117:118]
	v_div_fmas_f64 v[105:106], v[105:106], v[107:108], v[119:120]
	v_div_fixup_f64 v[105:106], v[105:106], v[95:96], v[93:94]
	v_fma_f64 v[107:108], v[93:94], v[105:106], v[95:96]
	v_div_scale_f64 v[117:118], s[6:7], v[107:108], v[107:108], 1.0
	v_div_scale_f64 v[89:90], vcc, 1.0, v[107:108], 1.0
	v_rcp_f64_e32 v[119:120], v[117:118]
	v_fma_f64 v[125:126], -v[117:118], v[119:120], 1.0
	v_fma_f64 v[119:120], v[119:120], v[125:126], v[119:120]
	v_fma_f64 v[125:126], -v[117:118], v[119:120], 1.0
	v_fma_f64 v[91:92], v[119:120], v[125:126], v[119:120]
	v_mul_f64 v[119:120], v[89:90], v[91:92]
	v_fma_f64 v[89:90], -v[117:118], v[119:120], v[89:90]
	v_div_fmas_f64 v[89:90], v[89:90], v[91:92], v[119:120]
	v_mov_b32_e32 v92, v88
	v_mov_b32_e32 v91, v87
	;; [unrolled: 1-line block ×8, first 2 shown]
	v_div_fixup_f64 v[107:108], v[89:90], v[107:108], 1.0
	v_mul_f64 v[105:106], v[105:106], v[107:108]
	v_xor_b32_e32 v108, 0x80000000, v108
.LBB57_257:
	s_andn2_saveexec_b64 s[2:3], s[2:3]
	s_cbranch_execz .LBB57_259
; %bb.258:
	v_div_scale_f64 v[89:90], s[6:7], v[93:94], v[93:94], v[95:96]
	v_mov_b32_e32 v126, v92
	v_mov_b32_e32 v125, v91
	;; [unrolled: 1-line block ×4, first 2 shown]
	v_rcp_f64_e32 v[91:92], v[89:90]
	v_fma_f64 v[105:106], -v[89:90], v[91:92], 1.0
	v_fma_f64 v[91:92], v[91:92], v[105:106], v[91:92]
	v_div_scale_f64 v[105:106], vcc, v[95:96], v[93:94], v[95:96]
	v_fma_f64 v[107:108], -v[89:90], v[91:92], 1.0
	v_fma_f64 v[91:92], v[91:92], v[107:108], v[91:92]
	v_mul_f64 v[107:108], v[105:106], v[91:92]
	v_fma_f64 v[89:90], -v[89:90], v[107:108], v[105:106]
	v_div_fmas_f64 v[89:90], v[89:90], v[91:92], v[107:108]
	v_div_fixup_f64 v[89:90], v[89:90], v[93:94], v[95:96]
	v_fma_f64 v[91:92], v[95:96], v[89:90], v[93:94]
	v_div_scale_f64 v[105:106], s[6:7], v[91:92], v[91:92], 1.0
	v_div_scale_f64 v[119:120], vcc, 1.0, v[91:92], 1.0
	v_rcp_f64_e32 v[107:108], v[105:106]
	v_fma_f64 v[117:118], -v[105:106], v[107:108], 1.0
	v_fma_f64 v[107:108], v[107:108], v[117:118], v[107:108]
	v_fma_f64 v[117:118], -v[105:106], v[107:108], 1.0
	v_fma_f64 v[107:108], v[107:108], v[117:118], v[107:108]
	v_mul_f64 v[117:118], v[119:120], v[107:108]
	v_fma_f64 v[105:106], -v[105:106], v[117:118], v[119:120]
	v_mov_b32_e32 v120, v86
	v_mov_b32_e32 v119, v85
	v_div_fmas_f64 v[105:106], v[105:106], v[107:108], v[117:118]
	v_div_fixup_f64 v[105:106], v[105:106], v[91:92], 1.0
	v_mov_b32_e32 v91, v125
	v_mov_b32_e32 v92, v126
	v_mul_f64 v[107:108], v[89:90], -v[105:106]
.LBB57_259:
	s_or_b64 exec, exec, s[2:3]
	ds_write2_b64 v127, v[105:106], v[107:108] offset1:1
.LBB57_260:
	s_or_b64 exec, exec, s[4:5]
	s_waitcnt lgkmcnt(0)
	s_barrier
	ds_read2_b64 v[105:108], v127 offset1:1
	s_waitcnt lgkmcnt(0)
	s_barrier
	s_and_saveexec_b64 s[2:3], s[0:1]
	s_cbranch_execz .LBB57_263
; %bb.261:
	buffer_load_dword v83, off, s[20:23], 0 offset:328 ; 4-byte Folded Reload
	buffer_load_dword v84, off, s[20:23], 0 offset:332 ; 4-byte Folded Reload
	;; [unrolled: 1-line block ×4, first 2 shown]
	s_waitcnt vmcnt(2)
	v_cmp_eq_f64_e32 vcc, 0, v[83:84]
	s_waitcnt vmcnt(0)
	v_cmp_eq_f64_e64 s[0:1], 0, v[85:86]
	buffer_load_dword v83, off, s[20:23], 0 offset:344 ; 4-byte Folded Reload
	buffer_load_dword v84, off, s[20:23], 0 offset:348 ; 4-byte Folded Reload
	;; [unrolled: 1-line block ×4, first 2 shown]
	s_and_b64 s[4:5], vcc, s[0:1]
	v_cndmask_b32_e64 v89, 0, 1, s[4:5]
	s_waitcnt vmcnt(2)
	v_cmp_neq_f64_e32 vcc, 0, v[83:84]
	s_waitcnt vmcnt(0)
	v_cmp_neq_f64_e64 s[0:1], 0, v[85:86]
	buffer_load_dword v83, off, s[20:23], 0 offset:360 ; 4-byte Folded Reload
	buffer_load_dword v84, off, s[20:23], 0 offset:364 ; 4-byte Folded Reload
	;; [unrolled: 1-line block ×4, first 2 shown]
	s_or_b64 s[0:1], vcc, s[0:1]
	s_or_b64 vcc, s[0:1], s[4:5]
	v_cndmask_b32_e32 v89, 2, v89, vcc
	s_waitcnt vmcnt(2)
	v_cmp_eq_f64_e32 vcc, 0, v[83:84]
	s_waitcnt vmcnt(0)
	v_cmp_eq_f64_e64 s[0:1], 0, v[85:86]
	buffer_load_dword v83, off, s[20:23], 0 offset:376 ; 4-byte Folded Reload
	buffer_load_dword v84, off, s[20:23], 0 offset:380 ; 4-byte Folded Reload
	buffer_load_dword v85, off, s[20:23], 0 offset:384 ; 4-byte Folded Reload
	buffer_load_dword v86, off, s[20:23], 0 offset:388 ; 4-byte Folded Reload
	s_and_b64 s[0:1], vcc, s[0:1]
	v_cmp_eq_u32_e32 vcc, 0, v89
	s_and_b64 s[0:1], s[0:1], vcc
	v_cndmask_b32_e64 v89, v89, 3, s[0:1]
	s_waitcnt vmcnt(2)
	v_cmp_eq_f64_e32 vcc, 0, v[83:84]
	s_waitcnt vmcnt(0)
	v_cmp_eq_f64_e64 s[0:1], 0, v[85:86]
	buffer_load_dword v83, off, s[20:23], 0 offset:392 ; 4-byte Folded Reload
	buffer_load_dword v84, off, s[20:23], 0 offset:396 ; 4-byte Folded Reload
	buffer_load_dword v85, off, s[20:23], 0 offset:400 ; 4-byte Folded Reload
	buffer_load_dword v86, off, s[20:23], 0 offset:404 ; 4-byte Folded Reload
	s_and_b64 s[0:1], vcc, s[0:1]
	v_cmp_eq_u32_e32 vcc, 0, v89
	s_and_b64 s[0:1], s[0:1], vcc
	v_cndmask_b32_e64 v89, v89, 4, s[0:1]
	;; [unrolled: 12-line block ×20, first 2 shown]
	s_waitcnt vmcnt(2)
	v_cmp_eq_f64_e32 vcc, 0, v[83:84]
	buffer_load_dword v83, off, s[20:23], 0 offset:696 ; 4-byte Folded Reload
	buffer_load_dword v84, off, s[20:23], 0 offset:700 ; 4-byte Folded Reload
	s_waitcnt vmcnt(2)
	v_cmp_eq_f64_e64 s[0:1], 0, v[85:86]
	s_and_b64 s[0:1], vcc, s[0:1]
	v_cmp_eq_u32_e32 vcc, 0, v89
	s_and_b64 s[0:1], s[0:1], vcc
	v_cndmask_b32_e64 v89, v89, 23, s[0:1]
	v_cmp_eq_f64_e32 vcc, 0, v[121:122]
	v_cmp_eq_f64_e64 s[0:1], 0, v[123:124]
	s_and_b64 s[0:1], vcc, s[0:1]
	v_cmp_eq_u32_e32 vcc, 0, v89
	s_and_b64 s[0:1], s[0:1], vcc
	v_cndmask_b32_e64 v89, v89, 24, s[0:1]
	v_cmp_eq_f64_e32 vcc, 0, v[113:114]
	;; [unrolled: 6-line block ×6, first 2 shown]
	v_cmp_eq_f64_e64 s[0:1], 0, v[107:108]
	s_and_b64 s[0:1], vcc, s[0:1]
	v_cmp_eq_u32_e32 vcc, 0, v89
	s_and_b64 s[0:1], s[0:1], vcc
	v_cndmask_b32_e64 v99, v89, 29, s[0:1]
	s_waitcnt vmcnt(0)
	v_lshlrev_b64 v[89:90], 2, v[83:84]
	v_cmp_ne_u32_e64 s[0:1], 0, v99
	v_add_co_u32_e32 v97, vcc, s10, v89
	v_mov_b32_e32 v89, s11
	v_addc_co_u32_e32 v98, vcc, v89, v90, vcc
	global_load_dword v89, v[97:98], off
	s_waitcnt vmcnt(0)
	v_cmp_eq_u32_e32 vcc, 0, v89
	s_and_b64 s[0:1], vcc, s[0:1]
	s_and_b64 exec, exec, s[0:1]
	s_cbranch_execz .LBB57_263
; %bb.262:
	v_add_u32_e32 v89, s13, v99
	global_store_dword v[97:98], v89, off
.LBB57_263:
	s_or_b64 exec, exec, s[2:3]
	buffer_load_dword v83, off, s[20:23], 0 offset:312 ; 4-byte Folded Reload
	buffer_load_dword v84, off, s[20:23], 0 offset:316 ; 4-byte Folded Reload
	;; [unrolled: 1-line block ×6, first 2 shown]
	v_cmp_lt_u32_e32 vcc, 28, v0
	s_waitcnt vmcnt(0)
	global_store_dwordx4 v[83:84], v[97:100], off
	buffer_load_dword v83, off, s[20:23], 0 offset:320 ; 4-byte Folded Reload
	s_nop 0
	buffer_load_dword v84, off, s[20:23], 0 offset:324 ; 4-byte Folded Reload
	buffer_load_dword v97, off, s[20:23], 0 offset:80 ; 4-byte Folded Reload
	;; [unrolled: 1-line block ×5, first 2 shown]
	s_waitcnt vmcnt(0)
	global_store_dwordx4 v[83:84], v[97:100], off
	buffer_load_dword v83, off, s[20:23], 0 offset:64 ; 4-byte Folded Reload
	s_nop 0
	buffer_load_dword v84, off, s[20:23], 0 offset:68 ; 4-byte Folded Reload
	buffer_load_dword v85, off, s[20:23], 0 offset:72 ; 4-byte Folded Reload
	;; [unrolled: 1-line block ×3, first 2 shown]
	s_waitcnt vmcnt(0)
	global_store_dwordx4 v[119:120], v[83:86], off
	buffer_load_dword v85, off, s[20:23], 0 offset:112 ; 4-byte Folded Reload
	s_nop 0
	buffer_load_dword v86, off, s[20:23], 0 offset:116 ; 4-byte Folded Reload
	buffer_load_dword v97, off, s[20:23], 0 offset:48 ; 4-byte Folded Reload
	;; [unrolled: 1-line block ×5, first 2 shown]
	s_waitcnt vmcnt(0)
	global_store_dwordx4 v[85:86], v[97:100], off
	buffer_load_dword v83, off, s[20:23], 0 offset:32 ; 4-byte Folded Reload
	s_nop 0
	buffer_load_dword v84, off, s[20:23], 0 offset:36 ; 4-byte Folded Reload
	buffer_load_dword v85, off, s[20:23], 0 offset:40 ; 4-byte Folded Reload
	;; [unrolled: 1-line block ×3, first 2 shown]
	s_waitcnt vmcnt(0)
	global_store_dwordx4 v[91:92], v[83:86], off
	buffer_load_dword v83, off, s[20:23], 0 offset:16 ; 4-byte Folded Reload
	s_nop 0
	buffer_load_dword v84, off, s[20:23], 0 offset:20 ; 4-byte Folded Reload
	buffer_load_dword v85, off, s[20:23], 0 offset:24 ; 4-byte Folded Reload
	;; [unrolled: 1-line block ×3, first 2 shown]
	s_waitcnt vmcnt(0)
	global_store_dwordx4 v[87:88], v[83:86], off
	buffer_load_dword v83, off, s[20:23], 0 offset:120 ; 4-byte Folded Reload
	s_nop 0
	buffer_load_dword v84, off, s[20:23], 0 offset:124 ; 4-byte Folded Reload
	buffer_load_dword v85, off, s[20:23], 0 ; 4-byte Folded Reload
	buffer_load_dword v86, off, s[20:23], 0 offset:4 ; 4-byte Folded Reload
	buffer_load_dword v87, off, s[20:23], 0 offset:8 ; 4-byte Folded Reload
	;; [unrolled: 1-line block ×3, first 2 shown]
	s_waitcnt vmcnt(0)
	global_store_dwordx4 v[83:84], v[85:88], off
	buffer_load_dword v83, off, s[20:23], 0 offset:296 ; 4-byte Folded Reload
	s_nop 0
	buffer_load_dword v84, off, s[20:23], 0 offset:300 ; 4-byte Folded Reload
	buffer_load_dword v85, off, s[20:23], 0 offset:304 ; 4-byte Folded Reload
	;; [unrolled: 1-line block ×3, first 2 shown]
	s_waitcnt vmcnt(0)
	global_store_dwordx4 v[81:82], v[83:86], off
	v_mul_f64 v[81:82], v[105:106], v[95:96]
	v_mul_f64 v[83:84], v[107:108], v[95:96]
	v_fma_f64 v[81:82], v[107:108], v[93:94], v[81:82]
	v_fma_f64 v[85:86], v[105:106], v[93:94], -v[83:84]
	v_cndmask_b32_e32 v84, v96, v82, vcc
	v_cndmask_b32_e32 v83, v95, v81, vcc
	;; [unrolled: 1-line block ×4, first 2 shown]
	buffer_load_dword v85, off, s[20:23], 0 offset:128 ; 4-byte Folded Reload
	buffer_load_dword v86, off, s[20:23], 0 offset:132 ; 4-byte Folded Reload
	s_waitcnt vmcnt(0)
	global_store_dwordx4 v[85:86], v[77:80], off
	buffer_load_dword v77, off, s[20:23], 0 offset:136 ; 4-byte Folded Reload
	s_nop 0
	buffer_load_dword v78, off, s[20:23], 0 offset:140 ; 4-byte Folded Reload
	s_waitcnt vmcnt(0)
	global_store_dwordx4 v[77:78], v[73:76], off
	buffer_load_dword v73, off, s[20:23], 0 offset:144 ; 4-byte Folded Reload
	s_nop 0
	;; [unrolled: 5-line block ×20, first 2 shown]
	buffer_load_dword v1, off, s[20:23], 0 offset:292 ; 4-byte Folded Reload
	s_waitcnt vmcnt(0)
	global_store_dwordx4 v[0:1], v[81:84], off
.LBB57_264:
	s_endpgm
	.section	.rodata,"a",@progbits
	.p2align	6, 0x0
	.amdhsa_kernel _ZN9rocsolver6v33100L23getf2_npvt_small_kernelILi29E19rocblas_complex_numIdEiiPS3_EEvT1_T3_lS5_lPT2_S5_S5_
		.amdhsa_group_segment_fixed_size 0
		.amdhsa_private_segment_fixed_size 708
		.amdhsa_kernarg_size 312
		.amdhsa_user_sgpr_count 6
		.amdhsa_user_sgpr_private_segment_buffer 1
		.amdhsa_user_sgpr_dispatch_ptr 0
		.amdhsa_user_sgpr_queue_ptr 0
		.amdhsa_user_sgpr_kernarg_segment_ptr 1
		.amdhsa_user_sgpr_dispatch_id 0
		.amdhsa_user_sgpr_flat_scratch_init 0
		.amdhsa_user_sgpr_private_segment_size 0
		.amdhsa_uses_dynamic_stack 0
		.amdhsa_system_sgpr_private_segment_wavefront_offset 1
		.amdhsa_system_sgpr_workgroup_id_x 1
		.amdhsa_system_sgpr_workgroup_id_y 1
		.amdhsa_system_sgpr_workgroup_id_z 0
		.amdhsa_system_sgpr_workgroup_info 0
		.amdhsa_system_vgpr_workitem_id 1
		.amdhsa_next_free_vgpr 128
		.amdhsa_next_free_sgpr 24
		.amdhsa_reserve_vcc 1
		.amdhsa_reserve_flat_scratch 0
		.amdhsa_float_round_mode_32 0
		.amdhsa_float_round_mode_16_64 0
		.amdhsa_float_denorm_mode_32 3
		.amdhsa_float_denorm_mode_16_64 3
		.amdhsa_dx10_clamp 1
		.amdhsa_ieee_mode 1
		.amdhsa_fp16_overflow 0
		.amdhsa_exception_fp_ieee_invalid_op 0
		.amdhsa_exception_fp_denorm_src 0
		.amdhsa_exception_fp_ieee_div_zero 0
		.amdhsa_exception_fp_ieee_overflow 0
		.amdhsa_exception_fp_ieee_underflow 0
		.amdhsa_exception_fp_ieee_inexact 0
		.amdhsa_exception_int_div_zero 0
	.end_amdhsa_kernel
	.section	.text._ZN9rocsolver6v33100L23getf2_npvt_small_kernelILi29E19rocblas_complex_numIdEiiPS3_EEvT1_T3_lS5_lPT2_S5_S5_,"axG",@progbits,_ZN9rocsolver6v33100L23getf2_npvt_small_kernelILi29E19rocblas_complex_numIdEiiPS3_EEvT1_T3_lS5_lPT2_S5_S5_,comdat
.Lfunc_end57:
	.size	_ZN9rocsolver6v33100L23getf2_npvt_small_kernelILi29E19rocblas_complex_numIdEiiPS3_EEvT1_T3_lS5_lPT2_S5_S5_, .Lfunc_end57-_ZN9rocsolver6v33100L23getf2_npvt_small_kernelILi29E19rocblas_complex_numIdEiiPS3_EEvT1_T3_lS5_lPT2_S5_S5_
                                        ; -- End function
	.set _ZN9rocsolver6v33100L23getf2_npvt_small_kernelILi29E19rocblas_complex_numIdEiiPS3_EEvT1_T3_lS5_lPT2_S5_S5_.num_vgpr, 128
	.set _ZN9rocsolver6v33100L23getf2_npvt_small_kernelILi29E19rocblas_complex_numIdEiiPS3_EEvT1_T3_lS5_lPT2_S5_S5_.num_agpr, 0
	.set _ZN9rocsolver6v33100L23getf2_npvt_small_kernelILi29E19rocblas_complex_numIdEiiPS3_EEvT1_T3_lS5_lPT2_S5_S5_.numbered_sgpr, 24
	.set _ZN9rocsolver6v33100L23getf2_npvt_small_kernelILi29E19rocblas_complex_numIdEiiPS3_EEvT1_T3_lS5_lPT2_S5_S5_.num_named_barrier, 0
	.set _ZN9rocsolver6v33100L23getf2_npvt_small_kernelILi29E19rocblas_complex_numIdEiiPS3_EEvT1_T3_lS5_lPT2_S5_S5_.private_seg_size, 708
	.set _ZN9rocsolver6v33100L23getf2_npvt_small_kernelILi29E19rocblas_complex_numIdEiiPS3_EEvT1_T3_lS5_lPT2_S5_S5_.uses_vcc, 1
	.set _ZN9rocsolver6v33100L23getf2_npvt_small_kernelILi29E19rocblas_complex_numIdEiiPS3_EEvT1_T3_lS5_lPT2_S5_S5_.uses_flat_scratch, 0
	.set _ZN9rocsolver6v33100L23getf2_npvt_small_kernelILi29E19rocblas_complex_numIdEiiPS3_EEvT1_T3_lS5_lPT2_S5_S5_.has_dyn_sized_stack, 0
	.set _ZN9rocsolver6v33100L23getf2_npvt_small_kernelILi29E19rocblas_complex_numIdEiiPS3_EEvT1_T3_lS5_lPT2_S5_S5_.has_recursion, 0
	.set _ZN9rocsolver6v33100L23getf2_npvt_small_kernelILi29E19rocblas_complex_numIdEiiPS3_EEvT1_T3_lS5_lPT2_S5_S5_.has_indirect_call, 0
	.section	.AMDGPU.csdata,"",@progbits
; Kernel info:
; codeLenInByte = 53992
; TotalNumSgprs: 28
; NumVgprs: 128
; ScratchSize: 708
; MemoryBound: 1
; FloatMode: 240
; IeeeMode: 1
; LDSByteSize: 0 bytes/workgroup (compile time only)
; SGPRBlocks: 3
; VGPRBlocks: 31
; NumSGPRsForWavesPerEU: 28
; NumVGPRsForWavesPerEU: 128
; Occupancy: 2
; WaveLimiterHint : 0
; COMPUTE_PGM_RSRC2:SCRATCH_EN: 1
; COMPUTE_PGM_RSRC2:USER_SGPR: 6
; COMPUTE_PGM_RSRC2:TRAP_HANDLER: 0
; COMPUTE_PGM_RSRC2:TGID_X_EN: 1
; COMPUTE_PGM_RSRC2:TGID_Y_EN: 1
; COMPUTE_PGM_RSRC2:TGID_Z_EN: 0
; COMPUTE_PGM_RSRC2:TIDIG_COMP_CNT: 1
	.section	.text._ZN9rocsolver6v33100L18getf2_small_kernelILi30E19rocblas_complex_numIdEiiPS3_EEvT1_T3_lS5_lPS5_llPT2_S5_S5_S7_l,"axG",@progbits,_ZN9rocsolver6v33100L18getf2_small_kernelILi30E19rocblas_complex_numIdEiiPS3_EEvT1_T3_lS5_lPS5_llPT2_S5_S5_S7_l,comdat
	.globl	_ZN9rocsolver6v33100L18getf2_small_kernelILi30E19rocblas_complex_numIdEiiPS3_EEvT1_T3_lS5_lPS5_llPT2_S5_S5_S7_l ; -- Begin function _ZN9rocsolver6v33100L18getf2_small_kernelILi30E19rocblas_complex_numIdEiiPS3_EEvT1_T3_lS5_lPS5_llPT2_S5_S5_S7_l
	.p2align	8
	.type	_ZN9rocsolver6v33100L18getf2_small_kernelILi30E19rocblas_complex_numIdEiiPS3_EEvT1_T3_lS5_lPS5_llPT2_S5_S5_S7_l,@function
_ZN9rocsolver6v33100L18getf2_small_kernelILi30E19rocblas_complex_numIdEiiPS3_EEvT1_T3_lS5_lPS5_llPT2_S5_S5_S7_l: ; @_ZN9rocsolver6v33100L18getf2_small_kernelILi30E19rocblas_complex_numIdEiiPS3_EEvT1_T3_lS5_lPS5_llPT2_S5_S5_S7_l
; %bb.0:
	s_mov_b64 s[26:27], s[2:3]
	s_mov_b64 s[24:25], s[0:1]
	s_load_dword s0, s[4:5], 0x6c
	s_load_dwordx2 s[16:17], s[4:5], 0x48
	s_add_u32 s24, s24, s8
	s_addc_u32 s25, s25, 0
	s_waitcnt lgkmcnt(0)
	s_lshr_b32 s0, s0, 16
	s_mul_i32 s7, s7, s0
	v_add_u32_e32 v6, s7, v1
	v_cmp_gt_i32_e32 vcc, s16, v6
	s_and_saveexec_b64 s[0:1], vcc
	s_cbranch_execz .LBB58_631
; %bb.1:
	s_load_dwordx4 s[0:3], s[4:5], 0x50
	v_mov_b32_e32 v2, 0
	v_ashrrev_i32_e32 v7, 31, v6
	v_mov_b32_e32 v3, 0
	buffer_store_dword v2, off, s[24:27], 0 offset:80 ; 4-byte Folded Spill
	s_nop 0
	buffer_store_dword v3, off, s[24:27], 0 offset:84 ; 4-byte Folded Spill
	s_waitcnt lgkmcnt(0)
	s_cmp_eq_u64 s[0:1], 0
	s_cselect_b64 s[6:7], -1, 0
	s_and_b64 vcc, exec, s[6:7]
	s_cbranch_vccnz .LBB58_3
; %bb.2:
	v_mul_lo_u32 v4, s3, v6
	v_mul_lo_u32 v5, s2, v7
	v_mad_u64_u32 v[2:3], s[2:3], s2, v6, 0
	v_add3_u32 v3, v3, v5, v4
	v_lshlrev_b64 v[2:3], 2, v[2:3]
	v_mov_b32_e32 v4, s1
	v_add_co_u32_e32 v2, vcc, s0, v2
	v_addc_co_u32_e32 v3, vcc, v4, v3, vcc
	buffer_store_dword v2, off, s[24:27], 0 offset:80 ; 4-byte Folded Spill
	s_nop 0
	buffer_store_dword v3, off, s[24:27], 0 offset:84 ; 4-byte Folded Spill
.LBB58_3:
	s_load_dwordx8 s[8:15], s[4:5], 0x20
	s_load_dwordx4 s[20:23], s[4:5], 0x8
	s_load_dword s2, s[4:5], 0x18
	v_lshlrev_b32_e32 v42, 4, v0
	s_waitcnt lgkmcnt(0)
	v_mul_lo_u32 v4, s9, v6
	v_mul_lo_u32 v5, s8, v7
	buffer_store_dword v6, off, s[24:27], 0 offset:104 ; 4-byte Folded Spill
	s_nop 0
	buffer_store_dword v7, off, s[24:27], 0 offset:108 ; 4-byte Folded Spill
	s_add_i32 s16, s2, s2
	s_ashr_i32 s3, s2, 31
	v_mad_u64_u32 v[2:3], s[0:1], s8, v6, 0
	v_mov_b32_e32 v6, s21
	s_lshl_b64 s[0:1], s[22:23], 4
	v_add3_u32 v3, v3, v5, v4
	v_lshlrev_b64 v[2:3], 4, v[2:3]
	v_mov_b32_e32 v4, s1
	v_add_co_u32_e32 v2, vcc, s20, v2
	v_addc_co_u32_e32 v3, vcc, v6, v3, vcc
	v_add_co_u32_e32 v111, vcc, s0, v2
	v_addc_co_u32_e32 v112, vcc, v3, v4, vcc
	v_add_u32_e32 v4, s16, v0
	v_ashrrev_i32_e32 v5, 31, v4
	v_lshlrev_b64 v[2:3], 4, v[4:5]
	v_add_u32_e32 v6, s2, v4
	v_ashrrev_i32_e32 v7, 31, v6
	v_add_co_u32_e32 v2, vcc, v111, v2
	v_lshlrev_b64 v[4:5], 4, v[6:7]
	v_add_u32_e32 v8, s2, v6
	v_addc_co_u32_e32 v3, vcc, v112, v3, vcc
	v_ashrrev_i32_e32 v9, 31, v8
	v_add_co_u32_e32 v4, vcc, v111, v4
	v_lshlrev_b64 v[6:7], 4, v[8:9]
	v_add_u32_e32 v10, s2, v8
	v_addc_co_u32_e32 v5, vcc, v112, v5, vcc
	;; [unrolled: 5-line block ×17, first 2 shown]
	v_ashrrev_i32_e32 v39, 31, v38
	v_add_co_u32_e32 v36, vcc, v111, v36
	v_lshlrev_b64 v[39:40], 4, v[38:39]
	v_addc_co_u32_e32 v37, vcc, v112, v37, vcc
	v_add_u32_e32 v38, s2, v38
	v_add_co_u32_e32 v117, vcc, v111, v39
	v_ashrrev_i32_e32 v39, 31, v38
	v_addc_co_u32_e32 v118, vcc, v112, v40, vcc
	v_lshlrev_b64 v[39:40], 4, v[38:39]
	v_add_u32_e32 v38, s2, v38
	v_add_co_u32_e32 v119, vcc, v111, v39
	v_ashrrev_i32_e32 v39, 31, v38
	v_addc_co_u32_e32 v120, vcc, v112, v40, vcc
	v_lshlrev_b64 v[39:40], 4, v[38:39]
	;; [unrolled: 5-line block ×7, first 2 shown]
	v_add_u32_e32 v38, s2, v38
	v_add_co_u32_e32 v113, vcc, v111, v39
	v_ashrrev_i32_e32 v39, 31, v38
	s_lshl_b64 s[8:9], s[2:3], 4
	s_load_dword s3, s[4:5], 0x0
	v_addc_co_u32_e32 v114, vcc, v112, v40, vcc
	v_lshlrev_b64 v[39:40], 4, v[38:39]
	v_add_u32_e32 v38, s2, v38
	v_add_co_u32_e32 v115, vcc, v111, v39
	v_ashrrev_i32_e32 v39, 31, v38
	v_lshlrev_b64 v[38:39], 4, v[38:39]
	v_addc_co_u32_e32 v116, vcc, v112, v40, vcc
	s_waitcnt lgkmcnt(0)
	s_max_i32 s0, s3, 30
	v_add_co_u32_e32 v109, vcc, v111, v38
	v_mul_lo_u32 v105, s0, v1
	v_addc_co_u32_e32 v110, vcc, v112, v39, vcc
	v_add_co_u32_e32 v40, vcc, v111, v42
	v_addc_co_u32_e32 v41, vcc, 0, v112, vcc
	v_mov_b32_e32 v39, s9
	v_add_co_u32_e32 v38, vcc, s8, v40
	v_lshl_add_u32 v127, v105, 4, 0
	v_addc_co_u32_e32 v39, vcc, v41, v39, vcc
	v_add_u32_e32 v1, v127, v42
	global_load_dwordx4 v[40:43], v[40:41], off
	s_nop 0
	global_load_dwordx4 v[44:47], v[38:39], off
	s_waitcnt vmcnt(0)
	buffer_store_dword v44, off, s[24:27], 0 offset:64 ; 4-byte Folded Spill
	s_nop 0
	buffer_store_dword v45, off, s[24:27], 0 offset:68 ; 4-byte Folded Spill
	buffer_store_dword v46, off, s[24:27], 0 offset:72 ; 4-byte Folded Spill
	;; [unrolled: 1-line block ×4, first 2 shown]
	s_nop 0
	buffer_store_dword v41, off, s[24:27], 0 offset:92 ; 4-byte Folded Spill
	buffer_store_dword v42, off, s[24:27], 0 offset:96 ; 4-byte Folded Spill
	;; [unrolled: 1-line block ×3, first 2 shown]
	s_load_dwordx2 s[4:5], s[4:5], 0x40
	s_cmp_lt_i32 s3, 2
	ds_write2_b64 v1, v[40:41], v[42:43] offset1:1
	global_load_dwordx4 v[38:41], v[2:3], off
	s_waitcnt vmcnt(0)
	buffer_store_dword v38, off, s[24:27], 0 offset:48 ; 4-byte Folded Spill
	s_nop 0
	buffer_store_dword v39, off, s[24:27], 0 offset:52 ; 4-byte Folded Spill
	buffer_store_dword v40, off, s[24:27], 0 offset:56 ; 4-byte Folded Spill
	buffer_store_dword v41, off, s[24:27], 0 offset:60 ; 4-byte Folded Spill
	global_load_dwordx4 v[1:4], v[4:5], off
	s_waitcnt vmcnt(0)
	buffer_store_dword v1, off, s[24:27], 0 offset:32 ; 4-byte Folded Spill
	s_nop 0
	buffer_store_dword v2, off, s[24:27], 0 offset:36 ; 4-byte Folded Spill
	buffer_store_dword v3, off, s[24:27], 0 offset:40 ; 4-byte Folded Spill
	buffer_store_dword v4, off, s[24:27], 0 offset:44 ; 4-byte Folded Spill
	;; [unrolled: 7-line block ×3, first 2 shown]
	global_load_dwordx4 v[1:4], v[8:9], off
	s_waitcnt vmcnt(0)
	buffer_store_dword v1, off, s[24:27], 0 ; 4-byte Folded Spill
	s_nop 0
	buffer_store_dword v2, off, s[24:27], 0 offset:4 ; 4-byte Folded Spill
	buffer_store_dword v3, off, s[24:27], 0 offset:8 ; 4-byte Folded Spill
	;; [unrolled: 1-line block ×3, first 2 shown]
	global_load_dwordx4 v[93:96], v[10:11], off
	global_load_dwordx4 v[89:92], v[12:13], off
	;; [unrolled: 1-line block ×13, first 2 shown]
	s_nop 0
	global_load_dwordx4 v[37:40], v[36:37], off
	s_nop 0
	global_load_dwordx4 v[33:36], v[117:118], off
	global_load_dwordx4 v[29:32], v[119:120], off
	global_load_dwordx4 v[25:28], v[121:122], off
	global_load_dwordx4 v[21:24], v[123:124], off
	global_load_dwordx4 v[17:20], v[125:126], off
	global_load_dwordx4 v[13:16], v[77:78], off
	global_load_dwordx4 v[9:12], v[79:80], off
	global_load_dwordx4 v[5:8], v[113:114], off
	global_load_dwordx4 v[1:4], v[115:116], off
	global_load_dwordx4 v[117:120], v[109:110], off
	s_waitcnt vmcnt(0) lgkmcnt(0)
	s_barrier
	ds_read2_b64 v[121:124], v127 offset1:1
	v_lshlrev_b32_e32 v109, 4, v105
	v_mov_b32_e32 v77, 0
	s_cbranch_scc1 .LBB58_6
; %bb.4:
	v_add3_u32 v78, v109, 0, 16
	s_mov_b32 s0, 1
	v_mov_b32_e32 v77, 0
.LBB58_5:                               ; =>This Inner Loop Header: Depth=1
	s_waitcnt lgkmcnt(0)
	v_cmp_gt_f64_e32 vcc, 0, v[121:122]
	v_xor_b32_e32 v79, 0x80000000, v122
	ds_read2_b64 v[105:108], v78 offset1:1
	v_xor_b32_e32 v110, 0x80000000, v124
	v_mov_b32_e32 v113, v123
	v_add_u32_e32 v78, 16, v78
	s_waitcnt lgkmcnt(0)
	v_mov_b32_e32 v115, v107
	v_cndmask_b32_e32 v80, v122, v79, vcc
	v_cmp_gt_f64_e32 vcc, 0, v[123:124]
	v_mov_b32_e32 v79, v121
	v_cndmask_b32_e32 v114, v124, v110, vcc
	v_cmp_gt_f64_e32 vcc, 0, v[105:106]
	v_xor_b32_e32 v110, 0x80000000, v106
	v_add_f64 v[79:80], v[79:80], v[113:114]
	v_mov_b32_e32 v113, v105
	v_cndmask_b32_e32 v114, v106, v110, vcc
	v_cmp_gt_f64_e32 vcc, 0, v[107:108]
	v_xor_b32_e32 v110, 0x80000000, v108
	v_cndmask_b32_e32 v116, v108, v110, vcc
	v_add_f64 v[113:114], v[113:114], v[115:116]
	v_cmp_lt_f64_e32 vcc, v[79:80], v[113:114]
	v_mov_b32_e32 v79, s0
	s_add_i32 s0, s0, 1
	s_cmp_eq_u32 s3, s0
	v_cndmask_b32_e32 v122, v122, v106, vcc
	v_cndmask_b32_e32 v121, v121, v105, vcc
	;; [unrolled: 1-line block ×5, first 2 shown]
	s_cbranch_scc0 .LBB58_5
.LBB58_6:
	s_waitcnt lgkmcnt(0)
	v_cmp_neq_f64_e32 vcc, 0, v[121:122]
	v_cmp_neq_f64_e64 s[0:1], 0, v[123:124]
	v_mov_b32_e32 v80, 1
	v_mov_b32_e32 v110, 1
	s_or_b64 s[18:19], vcc, s[0:1]
	s_and_saveexec_b64 s[0:1], s[18:19]
	s_cbranch_execz .LBB58_12
; %bb.7:
	v_cmp_ngt_f64_e64 s[18:19], |v[121:122]|, |v[123:124]|
	s_and_saveexec_b64 s[20:21], s[18:19]
	s_xor_b64 s[18:19], exec, s[20:21]
	s_cbranch_execz .LBB58_9
; %bb.8:
	v_div_scale_f64 v[78:79], s[20:21], v[123:124], v[123:124], v[121:122]
	v_rcp_f64_e32 v[105:106], v[78:79]
	v_fma_f64 v[107:108], -v[78:79], v[105:106], 1.0
	v_fma_f64 v[105:106], v[105:106], v[107:108], v[105:106]
	v_div_scale_f64 v[107:108], vcc, v[121:122], v[123:124], v[121:122]
	v_fma_f64 v[113:114], -v[78:79], v[105:106], 1.0
	v_fma_f64 v[105:106], v[105:106], v[113:114], v[105:106]
	v_mul_f64 v[113:114], v[107:108], v[105:106]
	v_fma_f64 v[78:79], -v[78:79], v[113:114], v[107:108]
	v_div_fmas_f64 v[78:79], v[78:79], v[105:106], v[113:114]
	v_div_fixup_f64 v[78:79], v[78:79], v[123:124], v[121:122]
	v_fma_f64 v[105:106], v[121:122], v[78:79], v[123:124]
	v_div_scale_f64 v[107:108], s[20:21], v[105:106], v[105:106], 1.0
	v_div_scale_f64 v[121:122], vcc, 1.0, v[105:106], 1.0
	v_rcp_f64_e32 v[113:114], v[107:108]
	v_fma_f64 v[115:116], -v[107:108], v[113:114], 1.0
	v_fma_f64 v[113:114], v[113:114], v[115:116], v[113:114]
	v_fma_f64 v[115:116], -v[107:108], v[113:114], 1.0
	v_fma_f64 v[113:114], v[113:114], v[115:116], v[113:114]
	v_mul_f64 v[115:116], v[121:122], v[113:114]
	v_fma_f64 v[107:108], -v[107:108], v[115:116], v[121:122]
	v_div_fmas_f64 v[107:108], v[107:108], v[113:114], v[115:116]
	v_div_fixup_f64 v[123:124], v[107:108], v[105:106], 1.0
	v_mul_f64 v[121:122], v[78:79], v[123:124]
	v_xor_b32_e32 v124, 0x80000000, v124
.LBB58_9:
	s_andn2_saveexec_b64 s[18:19], s[18:19]
	s_cbranch_execz .LBB58_11
; %bb.10:
	v_div_scale_f64 v[78:79], s[20:21], v[121:122], v[121:122], v[123:124]
	v_rcp_f64_e32 v[105:106], v[78:79]
	v_fma_f64 v[107:108], -v[78:79], v[105:106], 1.0
	v_fma_f64 v[105:106], v[105:106], v[107:108], v[105:106]
	v_div_scale_f64 v[107:108], vcc, v[123:124], v[121:122], v[123:124]
	v_fma_f64 v[113:114], -v[78:79], v[105:106], 1.0
	v_fma_f64 v[105:106], v[105:106], v[113:114], v[105:106]
	v_mul_f64 v[113:114], v[107:108], v[105:106]
	v_fma_f64 v[78:79], -v[78:79], v[113:114], v[107:108]
	v_div_fmas_f64 v[78:79], v[78:79], v[105:106], v[113:114]
	v_div_fixup_f64 v[78:79], v[78:79], v[121:122], v[123:124]
	v_fma_f64 v[105:106], v[123:124], v[78:79], v[121:122]
	v_div_scale_f64 v[107:108], s[20:21], v[105:106], v[105:106], 1.0
	v_div_scale_f64 v[121:122], vcc, 1.0, v[105:106], 1.0
	v_rcp_f64_e32 v[113:114], v[107:108]
	v_fma_f64 v[115:116], -v[107:108], v[113:114], 1.0
	v_fma_f64 v[113:114], v[113:114], v[115:116], v[113:114]
	v_fma_f64 v[115:116], -v[107:108], v[113:114], 1.0
	v_fma_f64 v[113:114], v[113:114], v[115:116], v[113:114]
	v_mul_f64 v[115:116], v[121:122], v[113:114]
	v_fma_f64 v[107:108], -v[107:108], v[115:116], v[121:122]
	v_div_fmas_f64 v[107:108], v[107:108], v[113:114], v[115:116]
	v_div_fixup_f64 v[121:122], v[107:108], v[105:106], 1.0
	v_mul_f64 v[123:124], v[78:79], -v[121:122]
.LBB58_11:
	s_or_b64 exec, exec, s[18:19]
	v_mov_b32_e32 v110, 0
	v_mov_b32_e32 v80, 2
.LBB58_12:
	s_or_b64 exec, exec, s[0:1]
	v_cmp_ne_u32_e32 vcc, v0, v77
	s_and_saveexec_b64 s[0:1], vcc
	s_xor_b64 s[0:1], exec, s[0:1]
	s_cbranch_execz .LBB58_18
; %bb.13:
	v_cmp_eq_u32_e32 vcc, 0, v0
	s_and_saveexec_b64 s[18:19], vcc
	s_cbranch_execz .LBB58_17
; %bb.14:
	v_cmp_ne_u32_e32 vcc, 0, v77
	s_xor_b64 s[20:21], s[6:7], -1
	s_and_b64 s[22:23], s[20:21], vcc
	s_and_saveexec_b64 s[20:21], s[22:23]
	s_cbranch_execz .LBB58_16
; %bb.15:
	buffer_load_dword v106, off, s[24:27], 0 offset:80 ; 4-byte Folded Reload
	buffer_load_dword v107, off, s[24:27], 0 offset:84 ; 4-byte Folded Reload
	v_ashrrev_i32_e32 v78, 31, v77
	v_lshlrev_b64 v[78:79], 2, v[77:78]
	s_waitcnt vmcnt(1)
	v_add_co_u32_e32 v78, vcc, v106, v78
	s_waitcnt vmcnt(0)
	v_addc_co_u32_e32 v79, vcc, v107, v79, vcc
	global_load_dword v0, v[78:79], off
	global_load_dword v105, v[106:107], off
	s_waitcnt vmcnt(1)
	global_store_dword v[106:107], v0, off
	s_waitcnt vmcnt(1)
	global_store_dword v[78:79], v105, off
.LBB58_16:
	s_or_b64 exec, exec, s[20:21]
	v_mov_b32_e32 v0, v77
.LBB58_17:
	s_or_b64 exec, exec, s[18:19]
.LBB58_18:
	s_or_saveexec_b64 s[0:1], s[0:1]
	v_mov_b32_e32 v79, v0
	s_xor_b64 exec, exec, s[0:1]
	s_cbranch_execz .LBB58_20
; %bb.19:
	buffer_load_dword v97, off, s[24:27], 0 offset:64 ; 4-byte Folded Reload
	buffer_load_dword v98, off, s[24:27], 0 offset:68 ; 4-byte Folded Reload
	;; [unrolled: 1-line block ×4, first 2 shown]
	v_mov_b32_e32 v79, 0
	s_waitcnt vmcnt(0)
	ds_write2_b64 v127, v[97:98], v[99:100] offset0:2 offset1:3
	buffer_load_dword v101, off, s[24:27], 0 offset:48 ; 4-byte Folded Reload
	buffer_load_dword v102, off, s[24:27], 0 offset:52 ; 4-byte Folded Reload
	buffer_load_dword v103, off, s[24:27], 0 offset:56 ; 4-byte Folded Reload
	buffer_load_dword v104, off, s[24:27], 0 offset:60 ; 4-byte Folded Reload
	s_waitcnt vmcnt(0)
	ds_write2_b64 v127, v[101:102], v[103:104] offset0:4 offset1:5
	buffer_load_dword v105, off, s[24:27], 0 offset:32 ; 4-byte Folded Reload
	buffer_load_dword v106, off, s[24:27], 0 offset:36 ; 4-byte Folded Reload
	buffer_load_dword v107, off, s[24:27], 0 offset:40 ; 4-byte Folded Reload
	buffer_load_dword v108, off, s[24:27], 0 offset:44 ; 4-byte Folded Reload
	;; [unrolled: 6-line block ×3, first 2 shown]
	s_waitcnt vmcnt(0)
	ds_write2_b64 v127, v[101:102], v[103:104] offset0:8 offset1:9
	buffer_load_dword v97, off, s[24:27], 0 ; 4-byte Folded Reload
	buffer_load_dword v98, off, s[24:27], 0 offset:4 ; 4-byte Folded Reload
	buffer_load_dword v99, off, s[24:27], 0 offset:8 ; 4-byte Folded Reload
	;; [unrolled: 1-line block ×3, first 2 shown]
	s_waitcnt vmcnt(0)
	ds_write2_b64 v127, v[97:98], v[99:100] offset0:10 offset1:11
	ds_write2_b64 v127, v[93:94], v[95:96] offset0:12 offset1:13
	;; [unrolled: 1-line block ×25, first 2 shown]
.LBB58_20:
	s_or_b64 exec, exec, s[0:1]
	v_cmp_lt_i32_e32 vcc, 0, v79
	s_waitcnt vmcnt(0) lgkmcnt(0)
	s_barrier
	s_and_saveexec_b64 s[0:1], vcc
	s_cbranch_execz .LBB58_22
; %bb.21:
	buffer_load_dword v113, off, s[24:27], 0 offset:88 ; 4-byte Folded Reload
	buffer_load_dword v114, off, s[24:27], 0 offset:92 ; 4-byte Folded Reload
	;; [unrolled: 1-line block ×4, first 2 shown]
	ds_read2_b64 v[105:108], v127 offset0:2 offset1:3
	buffer_load_dword v97, off, s[24:27], 0 offset:64 ; 4-byte Folded Reload
	buffer_load_dword v98, off, s[24:27], 0 offset:68 ; 4-byte Folded Reload
	;; [unrolled: 1-line block ×4, first 2 shown]
	s_waitcnt vmcnt(4)
	v_mul_f64 v[77:78], v[123:124], v[115:116]
	v_fma_f64 v[125:126], v[121:122], v[113:114], -v[77:78]
	v_mul_f64 v[77:78], v[121:122], v[115:116]
	v_fma_f64 v[115:116], v[123:124], v[113:114], v[77:78]
	v_mov_b32_e32 v113, v125
	v_mov_b32_e32 v114, v126
	s_waitcnt lgkmcnt(0)
	v_mul_f64 v[77:78], v[107:108], v[115:116]
	v_fma_f64 v[77:78], v[105:106], v[125:126], -v[77:78]
	v_mul_f64 v[105:106], v[105:106], v[115:116]
	s_waitcnt vmcnt(2)
	v_add_f64 v[97:98], v[97:98], -v[77:78]
	v_fma_f64 v[105:106], v[107:108], v[125:126], v[105:106]
	s_waitcnt vmcnt(0)
	v_add_f64 v[99:100], v[99:100], -v[105:106]
	buffer_store_dword v97, off, s[24:27], 0 offset:64 ; 4-byte Folded Spill
	s_nop 0
	buffer_store_dword v98, off, s[24:27], 0 offset:68 ; 4-byte Folded Spill
	buffer_store_dword v99, off, s[24:27], 0 offset:72 ; 4-byte Folded Spill
	buffer_store_dword v100, off, s[24:27], 0 offset:76 ; 4-byte Folded Spill
	ds_read2_b64 v[105:108], v127 offset0:4 offset1:5
	buffer_load_dword v101, off, s[24:27], 0 offset:48 ; 4-byte Folded Reload
	buffer_load_dword v102, off, s[24:27], 0 offset:52 ; 4-byte Folded Reload
	buffer_load_dword v103, off, s[24:27], 0 offset:56 ; 4-byte Folded Reload
	buffer_load_dword v104, off, s[24:27], 0 offset:60 ; 4-byte Folded Reload
	s_waitcnt lgkmcnt(0)
	v_mul_f64 v[77:78], v[107:108], v[115:116]
	v_fma_f64 v[77:78], v[105:106], v[125:126], -v[77:78]
	v_mul_f64 v[105:106], v[105:106], v[115:116]
	v_fma_f64 v[105:106], v[107:108], v[125:126], v[105:106]
	s_waitcnt vmcnt(2)
	v_add_f64 v[101:102], v[101:102], -v[77:78]
	s_waitcnt vmcnt(0)
	v_add_f64 v[103:104], v[103:104], -v[105:106]
	buffer_store_dword v101, off, s[24:27], 0 offset:48 ; 4-byte Folded Spill
	s_nop 0
	buffer_store_dword v102, off, s[24:27], 0 offset:52 ; 4-byte Folded Spill
	buffer_store_dword v103, off, s[24:27], 0 offset:56 ; 4-byte Folded Spill
	buffer_store_dword v104, off, s[24:27], 0 offset:60 ; 4-byte Folded Spill
	ds_read2_b64 v[105:108], v127 offset0:6 offset1:7
	buffer_load_dword v121, off, s[24:27], 0 offset:32 ; 4-byte Folded Reload
	buffer_load_dword v122, off, s[24:27], 0 offset:36 ; 4-byte Folded Reload
	buffer_load_dword v123, off, s[24:27], 0 offset:40 ; 4-byte Folded Reload
	buffer_load_dword v124, off, s[24:27], 0 offset:44 ; 4-byte Folded Reload
	s_waitcnt lgkmcnt(0)
	v_mul_f64 v[77:78], v[107:108], v[115:116]
	v_fma_f64 v[77:78], v[105:106], v[125:126], -v[77:78]
	v_mul_f64 v[105:106], v[105:106], v[115:116]
	v_fma_f64 v[105:106], v[107:108], v[125:126], v[105:106]
	s_waitcnt vmcnt(2)
	v_add_f64 v[121:122], v[121:122], -v[77:78]
	;; [unrolled: 19-line block ×3, first 2 shown]
	s_waitcnt vmcnt(0)
	v_add_f64 v[103:104], v[103:104], -v[105:106]
	buffer_store_dword v101, off, s[24:27], 0 offset:16 ; 4-byte Folded Spill
	s_nop 0
	buffer_store_dword v102, off, s[24:27], 0 offset:20 ; 4-byte Folded Spill
	buffer_store_dword v103, off, s[24:27], 0 offset:24 ; 4-byte Folded Spill
	buffer_store_dword v104, off, s[24:27], 0 offset:28 ; 4-byte Folded Spill
	ds_read2_b64 v[105:108], v127 offset0:10 offset1:11
	buffer_load_dword v97, off, s[24:27], 0 ; 4-byte Folded Reload
	buffer_load_dword v98, off, s[24:27], 0 offset:4 ; 4-byte Folded Reload
	buffer_load_dword v99, off, s[24:27], 0 offset:8 ; 4-byte Folded Reload
	;; [unrolled: 1-line block ×3, first 2 shown]
	s_waitcnt lgkmcnt(0)
	v_mul_f64 v[77:78], v[107:108], v[115:116]
	v_fma_f64 v[77:78], v[105:106], v[125:126], -v[77:78]
	v_mul_f64 v[105:106], v[105:106], v[115:116]
	v_fma_f64 v[105:106], v[107:108], v[125:126], v[105:106]
	s_waitcnt vmcnt(2)
	v_add_f64 v[97:98], v[97:98], -v[77:78]
	s_waitcnt vmcnt(0)
	v_add_f64 v[99:100], v[99:100], -v[105:106]
	buffer_store_dword v97, off, s[24:27], 0 ; 4-byte Folded Spill
	s_nop 0
	buffer_store_dword v98, off, s[24:27], 0 offset:4 ; 4-byte Folded Spill
	buffer_store_dword v99, off, s[24:27], 0 offset:8 ; 4-byte Folded Spill
	;; [unrolled: 1-line block ×3, first 2 shown]
	ds_read2_b64 v[105:108], v127 offset0:12 offset1:13
	s_waitcnt lgkmcnt(0)
	v_mul_f64 v[77:78], v[107:108], v[115:116]
	v_fma_f64 v[77:78], v[105:106], v[125:126], -v[77:78]
	v_mul_f64 v[105:106], v[105:106], v[115:116]
	v_add_f64 v[93:94], v[93:94], -v[77:78]
	v_fma_f64 v[105:106], v[107:108], v[125:126], v[105:106]
	v_add_f64 v[95:96], v[95:96], -v[105:106]
	ds_read2_b64 v[105:108], v127 offset0:14 offset1:15
	s_waitcnt lgkmcnt(0)
	v_mul_f64 v[77:78], v[107:108], v[115:116]
	v_fma_f64 v[77:78], v[105:106], v[125:126], -v[77:78]
	v_mul_f64 v[105:106], v[105:106], v[115:116]
	v_add_f64 v[89:90], v[89:90], -v[77:78]
	v_fma_f64 v[105:106], v[107:108], v[125:126], v[105:106]
	v_add_f64 v[91:92], v[91:92], -v[105:106]
	;; [unrolled: 8-line block ×23, first 2 shown]
	ds_read2_b64 v[105:108], v127 offset0:58 offset1:59
	s_waitcnt lgkmcnt(0)
	v_mul_f64 v[77:78], v[107:108], v[115:116]
	v_fma_f64 v[77:78], v[105:106], v[125:126], -v[77:78]
	v_mul_f64 v[105:106], v[105:106], v[115:116]
	buffer_store_dword v113, off, s[24:27], 0 offset:88 ; 4-byte Folded Spill
	s_nop 0
	buffer_store_dword v114, off, s[24:27], 0 offset:92 ; 4-byte Folded Spill
	buffer_store_dword v115, off, s[24:27], 0 offset:96 ; 4-byte Folded Spill
	;; [unrolled: 1-line block ×3, first 2 shown]
	v_add_f64 v[117:118], v[117:118], -v[77:78]
	v_fma_f64 v[105:106], v[107:108], v[125:126], v[105:106]
	v_add_f64 v[119:120], v[119:120], -v[105:106]
.LBB58_22:
	s_or_b64 exec, exec, s[0:1]
	s_waitcnt vmcnt(0)
	s_barrier
	buffer_load_dword v97, off, s[24:27], 0 offset:64 ; 4-byte Folded Reload
	buffer_load_dword v98, off, s[24:27], 0 offset:68 ; 4-byte Folded Reload
	buffer_load_dword v99, off, s[24:27], 0 offset:72 ; 4-byte Folded Reload
	buffer_load_dword v100, off, s[24:27], 0 offset:76 ; 4-byte Folded Reload
	v_lshl_add_u32 v77, v79, 4, v127
	s_cmp_lt_i32 s3, 3
	s_waitcnt vmcnt(0)
	ds_write2_b64 v77, v[97:98], v[99:100] offset1:1
	s_waitcnt lgkmcnt(0)
	s_barrier
	ds_read2_b64 v[121:124], v127 offset0:2 offset1:3
	v_mov_b32_e32 v77, 1
	s_cbranch_scc1 .LBB58_25
; %bb.23:
	v_add3_u32 v78, v109, 0, 32
	s_mov_b32 s0, 2
	v_mov_b32_e32 v77, 1
.LBB58_24:                              ; =>This Inner Loop Header: Depth=1
	s_waitcnt lgkmcnt(0)
	v_cmp_gt_f64_e32 vcc, 0, v[121:122]
	v_xor_b32_e32 v113, 0x80000000, v122
	ds_read2_b64 v[105:108], v78 offset1:1
	v_xor_b32_e32 v115, 0x80000000, v124
	v_add_u32_e32 v78, 16, v78
	s_waitcnt lgkmcnt(0)
	v_xor_b32_e32 v125, 0x80000000, v108
	v_cndmask_b32_e32 v114, v122, v113, vcc
	v_cmp_gt_f64_e32 vcc, 0, v[123:124]
	v_mov_b32_e32 v113, v121
	v_cndmask_b32_e32 v116, v124, v115, vcc
	v_cmp_gt_f64_e32 vcc, 0, v[105:106]
	v_mov_b32_e32 v115, v123
	v_add_f64 v[113:114], v[113:114], v[115:116]
	v_xor_b32_e32 v115, 0x80000000, v106
	v_cndmask_b32_e32 v116, v106, v115, vcc
	v_cmp_gt_f64_e32 vcc, 0, v[107:108]
	v_mov_b32_e32 v115, v105
	v_cndmask_b32_e32 v126, v108, v125, vcc
	v_mov_b32_e32 v125, v107
	v_add_f64 v[115:116], v[115:116], v[125:126]
	v_cmp_lt_f64_e32 vcc, v[113:114], v[115:116]
	v_cndmask_b32_e32 v121, v121, v105, vcc
	v_mov_b32_e32 v105, s0
	s_add_i32 s0, s0, 1
	v_cndmask_b32_e32 v122, v122, v106, vcc
	v_cndmask_b32_e32 v124, v124, v108, vcc
	;; [unrolled: 1-line block ×4, first 2 shown]
	s_cmp_lg_u32 s3, s0
	s_cbranch_scc1 .LBB58_24
.LBB58_25:
	s_waitcnt lgkmcnt(0)
	v_cmp_neq_f64_e32 vcc, 0, v[121:122]
	v_cmp_neq_f64_e64 s[0:1], 0, v[123:124]
	s_or_b64 s[18:19], vcc, s[0:1]
	s_and_saveexec_b64 s[0:1], s[18:19]
	s_cbranch_execz .LBB58_31
; %bb.26:
	v_cmp_ngt_f64_e64 s[18:19], |v[121:122]|, |v[123:124]|
	s_and_saveexec_b64 s[20:21], s[18:19]
	s_xor_b64 s[18:19], exec, s[20:21]
	s_cbranch_execz .LBB58_28
; %bb.27:
	v_div_scale_f64 v[105:106], s[20:21], v[123:124], v[123:124], v[121:122]
	v_rcp_f64_e32 v[107:108], v[105:106]
	v_fma_f64 v[113:114], -v[105:106], v[107:108], 1.0
	v_fma_f64 v[107:108], v[107:108], v[113:114], v[107:108]
	v_div_scale_f64 v[113:114], vcc, v[121:122], v[123:124], v[121:122]
	v_fma_f64 v[115:116], -v[105:106], v[107:108], 1.0
	v_fma_f64 v[107:108], v[107:108], v[115:116], v[107:108]
	v_mul_f64 v[115:116], v[113:114], v[107:108]
	v_fma_f64 v[105:106], -v[105:106], v[115:116], v[113:114]
	v_div_fmas_f64 v[105:106], v[105:106], v[107:108], v[115:116]
	v_div_fixup_f64 v[105:106], v[105:106], v[123:124], v[121:122]
	v_fma_f64 v[107:108], v[121:122], v[105:106], v[123:124]
	v_div_scale_f64 v[113:114], s[20:21], v[107:108], v[107:108], 1.0
	v_div_scale_f64 v[123:124], vcc, 1.0, v[107:108], 1.0
	v_rcp_f64_e32 v[115:116], v[113:114]
	v_fma_f64 v[121:122], -v[113:114], v[115:116], 1.0
	v_fma_f64 v[115:116], v[115:116], v[121:122], v[115:116]
	v_fma_f64 v[121:122], -v[113:114], v[115:116], 1.0
	v_fma_f64 v[115:116], v[115:116], v[121:122], v[115:116]
	v_mul_f64 v[121:122], v[123:124], v[115:116]
	v_fma_f64 v[113:114], -v[113:114], v[121:122], v[123:124]
	v_div_fmas_f64 v[113:114], v[113:114], v[115:116], v[121:122]
	v_div_fixup_f64 v[123:124], v[113:114], v[107:108], 1.0
	v_mul_f64 v[121:122], v[105:106], v[123:124]
	v_xor_b32_e32 v124, 0x80000000, v124
.LBB58_28:
	s_andn2_saveexec_b64 s[18:19], s[18:19]
	s_cbranch_execz .LBB58_30
; %bb.29:
	v_div_scale_f64 v[105:106], s[20:21], v[121:122], v[121:122], v[123:124]
	v_rcp_f64_e32 v[107:108], v[105:106]
	v_fma_f64 v[113:114], -v[105:106], v[107:108], 1.0
	v_fma_f64 v[107:108], v[107:108], v[113:114], v[107:108]
	v_div_scale_f64 v[113:114], vcc, v[123:124], v[121:122], v[123:124]
	v_fma_f64 v[115:116], -v[105:106], v[107:108], 1.0
	v_fma_f64 v[107:108], v[107:108], v[115:116], v[107:108]
	v_mul_f64 v[115:116], v[113:114], v[107:108]
	v_fma_f64 v[105:106], -v[105:106], v[115:116], v[113:114]
	v_div_fmas_f64 v[105:106], v[105:106], v[107:108], v[115:116]
	v_div_fixup_f64 v[105:106], v[105:106], v[121:122], v[123:124]
	v_fma_f64 v[107:108], v[123:124], v[105:106], v[121:122]
	v_div_scale_f64 v[113:114], s[20:21], v[107:108], v[107:108], 1.0
	v_div_scale_f64 v[123:124], vcc, 1.0, v[107:108], 1.0
	v_rcp_f64_e32 v[115:116], v[113:114]
	v_fma_f64 v[121:122], -v[113:114], v[115:116], 1.0
	v_fma_f64 v[115:116], v[115:116], v[121:122], v[115:116]
	v_fma_f64 v[121:122], -v[113:114], v[115:116], 1.0
	v_fma_f64 v[115:116], v[115:116], v[121:122], v[115:116]
	v_mul_f64 v[121:122], v[123:124], v[115:116]
	v_fma_f64 v[113:114], -v[113:114], v[121:122], v[123:124]
	v_div_fmas_f64 v[113:114], v[113:114], v[115:116], v[121:122]
	v_div_fixup_f64 v[121:122], v[113:114], v[107:108], 1.0
	v_mul_f64 v[123:124], v[105:106], -v[121:122]
.LBB58_30:
	s_or_b64 exec, exec, s[18:19]
	v_mov_b32_e32 v80, v110
.LBB58_31:
	s_or_b64 exec, exec, s[0:1]
	v_cmp_ne_u32_e32 vcc, v79, v77
	s_and_saveexec_b64 s[0:1], vcc
	s_xor_b64 s[0:1], exec, s[0:1]
	s_cbranch_execz .LBB58_37
; %bb.32:
	v_cmp_eq_u32_e32 vcc, 1, v79
	s_and_saveexec_b64 s[18:19], vcc
	s_cbranch_execz .LBB58_36
; %bb.33:
	v_cmp_ne_u32_e32 vcc, 1, v77
	s_xor_b64 s[20:21], s[6:7], -1
	s_and_b64 s[22:23], s[20:21], vcc
	s_and_saveexec_b64 s[20:21], s[22:23]
	s_cbranch_execz .LBB58_35
; %bb.34:
	buffer_load_dword v106, off, s[24:27], 0 offset:80 ; 4-byte Folded Reload
	buffer_load_dword v107, off, s[24:27], 0 offset:84 ; 4-byte Folded Reload
	v_ashrrev_i32_e32 v78, 31, v77
	v_lshlrev_b64 v[78:79], 2, v[77:78]
	s_waitcnt vmcnt(1)
	v_add_co_u32_e32 v78, vcc, v106, v78
	s_waitcnt vmcnt(0)
	v_addc_co_u32_e32 v79, vcc, v107, v79, vcc
	global_load_dword v0, v[78:79], off
	global_load_dword v105, v[106:107], off offset:4
	s_waitcnt vmcnt(1)
	global_store_dword v[106:107], v0, off offset:4
	s_waitcnt vmcnt(1)
	global_store_dword v[78:79], v105, off
.LBB58_35:
	s_or_b64 exec, exec, s[20:21]
	v_mov_b32_e32 v79, v77
	v_mov_b32_e32 v0, v77
.LBB58_36:
	s_or_b64 exec, exec, s[18:19]
.LBB58_37:
	s_andn2_saveexec_b64 s[0:1], s[0:1]
	s_cbranch_execz .LBB58_39
; %bb.38:
	buffer_load_dword v101, off, s[24:27], 0 offset:48 ; 4-byte Folded Reload
	buffer_load_dword v102, off, s[24:27], 0 offset:52 ; 4-byte Folded Reload
	;; [unrolled: 1-line block ×4, first 2 shown]
	v_mov_b32_e32 v79, 1
	s_waitcnt vmcnt(0)
	ds_write2_b64 v127, v[101:102], v[103:104] offset0:4 offset1:5
	buffer_load_dword v105, off, s[24:27], 0 offset:32 ; 4-byte Folded Reload
	buffer_load_dword v106, off, s[24:27], 0 offset:36 ; 4-byte Folded Reload
	;; [unrolled: 1-line block ×4, first 2 shown]
	s_waitcnt vmcnt(0)
	ds_write2_b64 v127, v[105:106], v[107:108] offset0:6 offset1:7
	buffer_load_dword v101, off, s[24:27], 0 offset:16 ; 4-byte Folded Reload
	buffer_load_dword v102, off, s[24:27], 0 offset:20 ; 4-byte Folded Reload
	;; [unrolled: 1-line block ×4, first 2 shown]
	s_waitcnt vmcnt(0)
	ds_write2_b64 v127, v[101:102], v[103:104] offset0:8 offset1:9
	buffer_load_dword v97, off, s[24:27], 0 ; 4-byte Folded Reload
	buffer_load_dword v98, off, s[24:27], 0 offset:4 ; 4-byte Folded Reload
	buffer_load_dword v99, off, s[24:27], 0 offset:8 ; 4-byte Folded Reload
	;; [unrolled: 1-line block ×3, first 2 shown]
	s_waitcnt vmcnt(0)
	ds_write2_b64 v127, v[97:98], v[99:100] offset0:10 offset1:11
	ds_write2_b64 v127, v[93:94], v[95:96] offset0:12 offset1:13
	;; [unrolled: 1-line block ×25, first 2 shown]
.LBB58_39:
	s_or_b64 exec, exec, s[0:1]
	v_cmp_lt_i32_e32 vcc, 1, v79
	s_waitcnt vmcnt(0) lgkmcnt(0)
	s_barrier
	s_and_saveexec_b64 s[0:1], vcc
	s_cbranch_execz .LBB58_41
; %bb.40:
	buffer_load_dword v97, off, s[24:27], 0 offset:64 ; 4-byte Folded Reload
	buffer_load_dword v98, off, s[24:27], 0 offset:68 ; 4-byte Folded Reload
	;; [unrolled: 1-line block ×4, first 2 shown]
	ds_read2_b64 v[105:108], v127 offset0:4 offset1:5
	buffer_load_dword v101, off, s[24:27], 0 offset:48 ; 4-byte Folded Reload
	buffer_load_dword v102, off, s[24:27], 0 offset:52 ; 4-byte Folded Reload
	;; [unrolled: 1-line block ×4, first 2 shown]
	s_waitcnt vmcnt(4)
	v_mul_f64 v[77:78], v[123:124], v[99:100]
	v_fma_f64 v[125:126], v[121:122], v[97:98], -v[77:78]
	v_mul_f64 v[77:78], v[121:122], v[99:100]
	v_fma_f64 v[99:100], v[123:124], v[97:98], v[77:78]
	v_mov_b32_e32 v97, v125
	v_mov_b32_e32 v98, v126
	s_waitcnt lgkmcnt(0)
	v_mul_f64 v[77:78], v[107:108], v[99:100]
	v_fma_f64 v[77:78], v[105:106], v[125:126], -v[77:78]
	v_mul_f64 v[105:106], v[105:106], v[99:100]
	s_waitcnt vmcnt(2)
	v_add_f64 v[101:102], v[101:102], -v[77:78]
	v_fma_f64 v[105:106], v[107:108], v[125:126], v[105:106]
	s_waitcnt vmcnt(0)
	v_add_f64 v[103:104], v[103:104], -v[105:106]
	buffer_store_dword v101, off, s[24:27], 0 offset:48 ; 4-byte Folded Spill
	s_nop 0
	buffer_store_dword v102, off, s[24:27], 0 offset:52 ; 4-byte Folded Spill
	buffer_store_dword v103, off, s[24:27], 0 offset:56 ; 4-byte Folded Spill
	buffer_store_dword v104, off, s[24:27], 0 offset:60 ; 4-byte Folded Spill
	ds_read2_b64 v[105:108], v127 offset0:6 offset1:7
	buffer_load_dword v113, off, s[24:27], 0 offset:32 ; 4-byte Folded Reload
	buffer_load_dword v114, off, s[24:27], 0 offset:36 ; 4-byte Folded Reload
	;; [unrolled: 1-line block ×4, first 2 shown]
	s_waitcnt lgkmcnt(0)
	v_mul_f64 v[77:78], v[107:108], v[99:100]
	v_fma_f64 v[77:78], v[105:106], v[125:126], -v[77:78]
	v_mul_f64 v[105:106], v[105:106], v[99:100]
	v_fma_f64 v[105:106], v[107:108], v[125:126], v[105:106]
	s_waitcnt vmcnt(2)
	v_add_f64 v[113:114], v[113:114], -v[77:78]
	s_waitcnt vmcnt(0)
	v_add_f64 v[115:116], v[115:116], -v[105:106]
	buffer_store_dword v113, off, s[24:27], 0 offset:32 ; 4-byte Folded Spill
	s_nop 0
	buffer_store_dword v114, off, s[24:27], 0 offset:36 ; 4-byte Folded Spill
	buffer_store_dword v115, off, s[24:27], 0 offset:40 ; 4-byte Folded Spill
	buffer_store_dword v116, off, s[24:27], 0 offset:44 ; 4-byte Folded Spill
	ds_read2_b64 v[105:108], v127 offset0:8 offset1:9
	buffer_load_dword v101, off, s[24:27], 0 offset:16 ; 4-byte Folded Reload
	buffer_load_dword v102, off, s[24:27], 0 offset:20 ; 4-byte Folded Reload
	buffer_load_dword v103, off, s[24:27], 0 offset:24 ; 4-byte Folded Reload
	buffer_load_dword v104, off, s[24:27], 0 offset:28 ; 4-byte Folded Reload
	s_waitcnt lgkmcnt(0)
	v_mul_f64 v[77:78], v[107:108], v[99:100]
	v_fma_f64 v[77:78], v[105:106], v[125:126], -v[77:78]
	v_mul_f64 v[105:106], v[105:106], v[99:100]
	v_fma_f64 v[105:106], v[107:108], v[125:126], v[105:106]
	s_waitcnt vmcnt(2)
	v_add_f64 v[101:102], v[101:102], -v[77:78]
	s_waitcnt vmcnt(0)
	v_add_f64 v[103:104], v[103:104], -v[105:106]
	buffer_store_dword v101, off, s[24:27], 0 offset:16 ; 4-byte Folded Spill
	s_nop 0
	buffer_store_dword v102, off, s[24:27], 0 offset:20 ; 4-byte Folded Spill
	buffer_store_dword v103, off, s[24:27], 0 offset:24 ; 4-byte Folded Spill
	;; [unrolled: 1-line block ×3, first 2 shown]
	ds_read2_b64 v[105:108], v127 offset0:10 offset1:11
	buffer_load_dword v101, off, s[24:27], 0 ; 4-byte Folded Reload
	buffer_load_dword v102, off, s[24:27], 0 offset:4 ; 4-byte Folded Reload
	buffer_load_dword v103, off, s[24:27], 0 offset:8 ; 4-byte Folded Reload
	;; [unrolled: 1-line block ×3, first 2 shown]
	s_waitcnt lgkmcnt(0)
	v_mul_f64 v[77:78], v[107:108], v[99:100]
	v_fma_f64 v[77:78], v[105:106], v[125:126], -v[77:78]
	v_mul_f64 v[105:106], v[105:106], v[99:100]
	v_fma_f64 v[105:106], v[107:108], v[125:126], v[105:106]
	s_waitcnt vmcnt(2)
	v_add_f64 v[101:102], v[101:102], -v[77:78]
	s_waitcnt vmcnt(0)
	v_add_f64 v[103:104], v[103:104], -v[105:106]
	buffer_store_dword v101, off, s[24:27], 0 ; 4-byte Folded Spill
	s_nop 0
	buffer_store_dword v102, off, s[24:27], 0 offset:4 ; 4-byte Folded Spill
	buffer_store_dword v103, off, s[24:27], 0 offset:8 ; 4-byte Folded Spill
	buffer_store_dword v104, off, s[24:27], 0 offset:12 ; 4-byte Folded Spill
	ds_read2_b64 v[105:108], v127 offset0:12 offset1:13
	s_waitcnt lgkmcnt(0)
	v_mul_f64 v[77:78], v[107:108], v[99:100]
	v_fma_f64 v[77:78], v[105:106], v[125:126], -v[77:78]
	v_mul_f64 v[105:106], v[105:106], v[99:100]
	v_add_f64 v[93:94], v[93:94], -v[77:78]
	v_fma_f64 v[105:106], v[107:108], v[125:126], v[105:106]
	v_add_f64 v[95:96], v[95:96], -v[105:106]
	ds_read2_b64 v[105:108], v127 offset0:14 offset1:15
	s_waitcnt lgkmcnt(0)
	v_mul_f64 v[77:78], v[107:108], v[99:100]
	v_fma_f64 v[77:78], v[105:106], v[125:126], -v[77:78]
	v_mul_f64 v[105:106], v[105:106], v[99:100]
	v_add_f64 v[89:90], v[89:90], -v[77:78]
	v_fma_f64 v[105:106], v[107:108], v[125:126], v[105:106]
	v_add_f64 v[91:92], v[91:92], -v[105:106]
	;; [unrolled: 8-line block ×23, first 2 shown]
	ds_read2_b64 v[105:108], v127 offset0:58 offset1:59
	s_waitcnt lgkmcnt(0)
	v_mul_f64 v[77:78], v[107:108], v[99:100]
	v_fma_f64 v[77:78], v[105:106], v[125:126], -v[77:78]
	v_mul_f64 v[105:106], v[105:106], v[99:100]
	buffer_store_dword v97, off, s[24:27], 0 offset:64 ; 4-byte Folded Spill
	s_nop 0
	buffer_store_dword v98, off, s[24:27], 0 offset:68 ; 4-byte Folded Spill
	buffer_store_dword v99, off, s[24:27], 0 offset:72 ; 4-byte Folded Spill
	;; [unrolled: 1-line block ×3, first 2 shown]
	v_add_f64 v[117:118], v[117:118], -v[77:78]
	v_fma_f64 v[105:106], v[107:108], v[125:126], v[105:106]
	v_add_f64 v[119:120], v[119:120], -v[105:106]
.LBB58_41:
	s_or_b64 exec, exec, s[0:1]
	s_waitcnt vmcnt(0)
	s_barrier
	buffer_load_dword v101, off, s[24:27], 0 offset:48 ; 4-byte Folded Reload
	buffer_load_dword v102, off, s[24:27], 0 offset:52 ; 4-byte Folded Reload
	;; [unrolled: 1-line block ×4, first 2 shown]
	v_lshl_add_u32 v77, v79, 4, v127
	s_cmp_lt_i32 s3, 4
	s_waitcnt vmcnt(0)
	ds_write2_b64 v77, v[101:102], v[103:104] offset1:1
	s_waitcnt lgkmcnt(0)
	s_barrier
	ds_read2_b64 v[121:124], v127 offset0:4 offset1:5
	v_mov_b32_e32 v77, 2
	s_cbranch_scc1 .LBB58_44
; %bb.42:
	v_add3_u32 v78, v109, 0, 48
	s_mov_b32 s0, 3
	v_mov_b32_e32 v77, 2
.LBB58_43:                              ; =>This Inner Loop Header: Depth=1
	s_waitcnt lgkmcnt(0)
	v_cmp_gt_f64_e32 vcc, 0, v[121:122]
	v_xor_b32_e32 v110, 0x80000000, v122
	ds_read2_b64 v[105:108], v78 offset1:1
	v_mov_b32_e32 v113, v121
	v_mov_b32_e32 v115, v123
	v_add_u32_e32 v78, 16, v78
	s_waitcnt lgkmcnt(0)
	v_mov_b32_e32 v125, v107
	v_cndmask_b32_e32 v114, v122, v110, vcc
	v_cmp_gt_f64_e32 vcc, 0, v[123:124]
	v_xor_b32_e32 v110, 0x80000000, v124
	v_cndmask_b32_e32 v116, v124, v110, vcc
	v_cmp_gt_f64_e32 vcc, 0, v[105:106]
	v_xor_b32_e32 v110, 0x80000000, v106
	v_add_f64 v[113:114], v[113:114], v[115:116]
	v_mov_b32_e32 v115, v105
	v_cndmask_b32_e32 v116, v106, v110, vcc
	v_cmp_gt_f64_e32 vcc, 0, v[107:108]
	v_xor_b32_e32 v110, 0x80000000, v108
	v_cndmask_b32_e32 v126, v108, v110, vcc
	v_add_f64 v[115:116], v[115:116], v[125:126]
	v_cmp_lt_f64_e32 vcc, v[113:114], v[115:116]
	v_cndmask_b32_e32 v121, v121, v105, vcc
	v_mov_b32_e32 v105, s0
	s_add_i32 s0, s0, 1
	v_cndmask_b32_e32 v122, v122, v106, vcc
	v_cndmask_b32_e32 v124, v124, v108, vcc
	;; [unrolled: 1-line block ×4, first 2 shown]
	s_cmp_lg_u32 s3, s0
	s_cbranch_scc1 .LBB58_43
.LBB58_44:
	s_waitcnt lgkmcnt(0)
	v_cmp_eq_f64_e32 vcc, 0, v[121:122]
	v_cmp_eq_f64_e64 s[0:1], 0, v[123:124]
	s_and_b64 s[0:1], vcc, s[0:1]
	s_and_saveexec_b64 s[18:19], s[0:1]
	s_xor_b64 s[0:1], exec, s[18:19]
; %bb.45:
	v_cmp_ne_u32_e32 vcc, 0, v80
	v_cndmask_b32_e32 v80, 3, v80, vcc
; %bb.46:
	s_andn2_saveexec_b64 s[0:1], s[0:1]
	s_cbranch_execz .LBB58_52
; %bb.47:
	v_cmp_ngt_f64_e64 s[18:19], |v[121:122]|, |v[123:124]|
	s_and_saveexec_b64 s[20:21], s[18:19]
	s_xor_b64 s[18:19], exec, s[20:21]
	s_cbranch_execz .LBB58_49
; %bb.48:
	v_div_scale_f64 v[105:106], s[20:21], v[123:124], v[123:124], v[121:122]
	v_rcp_f64_e32 v[107:108], v[105:106]
	v_fma_f64 v[113:114], -v[105:106], v[107:108], 1.0
	v_fma_f64 v[107:108], v[107:108], v[113:114], v[107:108]
	v_div_scale_f64 v[113:114], vcc, v[121:122], v[123:124], v[121:122]
	v_fma_f64 v[115:116], -v[105:106], v[107:108], 1.0
	v_fma_f64 v[107:108], v[107:108], v[115:116], v[107:108]
	v_mul_f64 v[115:116], v[113:114], v[107:108]
	v_fma_f64 v[105:106], -v[105:106], v[115:116], v[113:114]
	v_div_fmas_f64 v[105:106], v[105:106], v[107:108], v[115:116]
	v_div_fixup_f64 v[105:106], v[105:106], v[123:124], v[121:122]
	v_fma_f64 v[107:108], v[121:122], v[105:106], v[123:124]
	v_div_scale_f64 v[113:114], s[20:21], v[107:108], v[107:108], 1.0
	v_div_scale_f64 v[123:124], vcc, 1.0, v[107:108], 1.0
	v_rcp_f64_e32 v[115:116], v[113:114]
	v_fma_f64 v[121:122], -v[113:114], v[115:116], 1.0
	v_fma_f64 v[115:116], v[115:116], v[121:122], v[115:116]
	v_fma_f64 v[121:122], -v[113:114], v[115:116], 1.0
	v_fma_f64 v[115:116], v[115:116], v[121:122], v[115:116]
	v_mul_f64 v[121:122], v[123:124], v[115:116]
	v_fma_f64 v[113:114], -v[113:114], v[121:122], v[123:124]
	v_div_fmas_f64 v[113:114], v[113:114], v[115:116], v[121:122]
	v_div_fixup_f64 v[123:124], v[113:114], v[107:108], 1.0
	v_mul_f64 v[121:122], v[105:106], v[123:124]
	v_xor_b32_e32 v124, 0x80000000, v124
.LBB58_49:
	s_andn2_saveexec_b64 s[18:19], s[18:19]
	s_cbranch_execz .LBB58_51
; %bb.50:
	v_div_scale_f64 v[105:106], s[20:21], v[121:122], v[121:122], v[123:124]
	v_rcp_f64_e32 v[107:108], v[105:106]
	v_fma_f64 v[113:114], -v[105:106], v[107:108], 1.0
	v_fma_f64 v[107:108], v[107:108], v[113:114], v[107:108]
	v_div_scale_f64 v[113:114], vcc, v[123:124], v[121:122], v[123:124]
	v_fma_f64 v[115:116], -v[105:106], v[107:108], 1.0
	v_fma_f64 v[107:108], v[107:108], v[115:116], v[107:108]
	v_mul_f64 v[115:116], v[113:114], v[107:108]
	v_fma_f64 v[105:106], -v[105:106], v[115:116], v[113:114]
	v_div_fmas_f64 v[105:106], v[105:106], v[107:108], v[115:116]
	v_div_fixup_f64 v[105:106], v[105:106], v[121:122], v[123:124]
	v_fma_f64 v[107:108], v[123:124], v[105:106], v[121:122]
	v_div_scale_f64 v[113:114], s[20:21], v[107:108], v[107:108], 1.0
	v_div_scale_f64 v[123:124], vcc, 1.0, v[107:108], 1.0
	v_rcp_f64_e32 v[115:116], v[113:114]
	v_fma_f64 v[121:122], -v[113:114], v[115:116], 1.0
	v_fma_f64 v[115:116], v[115:116], v[121:122], v[115:116]
	v_fma_f64 v[121:122], -v[113:114], v[115:116], 1.0
	v_fma_f64 v[115:116], v[115:116], v[121:122], v[115:116]
	v_mul_f64 v[121:122], v[123:124], v[115:116]
	v_fma_f64 v[113:114], -v[113:114], v[121:122], v[123:124]
	v_div_fmas_f64 v[113:114], v[113:114], v[115:116], v[121:122]
	v_div_fixup_f64 v[121:122], v[113:114], v[107:108], 1.0
	v_mul_f64 v[123:124], v[105:106], -v[121:122]
.LBB58_51:
	s_or_b64 exec, exec, s[18:19]
.LBB58_52:
	s_or_b64 exec, exec, s[0:1]
	v_cmp_ne_u32_e32 vcc, v79, v77
	s_and_saveexec_b64 s[0:1], vcc
	s_xor_b64 s[0:1], exec, s[0:1]
	s_cbranch_execz .LBB58_58
; %bb.53:
	v_cmp_eq_u32_e32 vcc, 2, v79
	s_and_saveexec_b64 s[18:19], vcc
	s_cbranch_execz .LBB58_57
; %bb.54:
	v_cmp_ne_u32_e32 vcc, 2, v77
	s_xor_b64 s[20:21], s[6:7], -1
	s_and_b64 s[22:23], s[20:21], vcc
	s_and_saveexec_b64 s[20:21], s[22:23]
	s_cbranch_execz .LBB58_56
; %bb.55:
	buffer_load_dword v106, off, s[24:27], 0 offset:80 ; 4-byte Folded Reload
	buffer_load_dword v107, off, s[24:27], 0 offset:84 ; 4-byte Folded Reload
	v_ashrrev_i32_e32 v78, 31, v77
	v_lshlrev_b64 v[78:79], 2, v[77:78]
	s_waitcnt vmcnt(1)
	v_add_co_u32_e32 v78, vcc, v106, v78
	s_waitcnt vmcnt(0)
	v_addc_co_u32_e32 v79, vcc, v107, v79, vcc
	global_load_dword v0, v[78:79], off
	global_load_dword v105, v[106:107], off offset:8
	s_waitcnt vmcnt(1)
	global_store_dword v[106:107], v0, off offset:8
	s_waitcnt vmcnt(1)
	global_store_dword v[78:79], v105, off
.LBB58_56:
	s_or_b64 exec, exec, s[20:21]
	v_mov_b32_e32 v79, v77
	v_mov_b32_e32 v0, v77
.LBB58_57:
	s_or_b64 exec, exec, s[18:19]
.LBB58_58:
	s_andn2_saveexec_b64 s[0:1], s[0:1]
	s_cbranch_execz .LBB58_60
; %bb.59:
	buffer_load_dword v105, off, s[24:27], 0 offset:32 ; 4-byte Folded Reload
	buffer_load_dword v106, off, s[24:27], 0 offset:36 ; 4-byte Folded Reload
	;; [unrolled: 1-line block ×4, first 2 shown]
	v_mov_b32_e32 v79, 2
	s_waitcnt vmcnt(0)
	ds_write2_b64 v127, v[105:106], v[107:108] offset0:6 offset1:7
	buffer_load_dword v101, off, s[24:27], 0 offset:16 ; 4-byte Folded Reload
	buffer_load_dword v102, off, s[24:27], 0 offset:20 ; 4-byte Folded Reload
	;; [unrolled: 1-line block ×4, first 2 shown]
	s_waitcnt vmcnt(0)
	ds_write2_b64 v127, v[101:102], v[103:104] offset0:8 offset1:9
	buffer_load_dword v97, off, s[24:27], 0 ; 4-byte Folded Reload
	buffer_load_dword v98, off, s[24:27], 0 offset:4 ; 4-byte Folded Reload
	buffer_load_dword v99, off, s[24:27], 0 offset:8 ; 4-byte Folded Reload
	buffer_load_dword v100, off, s[24:27], 0 offset:12 ; 4-byte Folded Reload
	s_waitcnt vmcnt(0)
	ds_write2_b64 v127, v[97:98], v[99:100] offset0:10 offset1:11
	ds_write2_b64 v127, v[93:94], v[95:96] offset0:12 offset1:13
	;; [unrolled: 1-line block ×25, first 2 shown]
.LBB58_60:
	s_or_b64 exec, exec, s[0:1]
	v_cmp_lt_i32_e32 vcc, 2, v79
	s_waitcnt vmcnt(0) lgkmcnt(0)
	s_barrier
	s_and_saveexec_b64 s[0:1], vcc
	s_cbranch_execz .LBB58_62
; %bb.61:
	buffer_load_dword v101, off, s[24:27], 0 offset:48 ; 4-byte Folded Reload
	buffer_load_dword v102, off, s[24:27], 0 offset:52 ; 4-byte Folded Reload
	;; [unrolled: 1-line block ×4, first 2 shown]
	ds_read2_b64 v[105:108], v127 offset0:6 offset1:7
	buffer_load_dword v113, off, s[24:27], 0 offset:32 ; 4-byte Folded Reload
	buffer_load_dword v114, off, s[24:27], 0 offset:36 ; 4-byte Folded Reload
	;; [unrolled: 1-line block ×4, first 2 shown]
	s_waitcnt vmcnt(4)
	v_mul_f64 v[77:78], v[123:124], v[103:104]
	v_fma_f64 v[125:126], v[121:122], v[101:102], -v[77:78]
	v_mul_f64 v[77:78], v[121:122], v[103:104]
	v_fma_f64 v[103:104], v[123:124], v[101:102], v[77:78]
	v_mov_b32_e32 v101, v125
	v_mov_b32_e32 v102, v126
	s_waitcnt lgkmcnt(0)
	v_mul_f64 v[77:78], v[107:108], v[103:104]
	v_fma_f64 v[77:78], v[105:106], v[125:126], -v[77:78]
	v_mul_f64 v[105:106], v[105:106], v[103:104]
	s_waitcnt vmcnt(2)
	v_add_f64 v[113:114], v[113:114], -v[77:78]
	v_fma_f64 v[105:106], v[107:108], v[125:126], v[105:106]
	s_waitcnt vmcnt(0)
	v_add_f64 v[115:116], v[115:116], -v[105:106]
	buffer_store_dword v113, off, s[24:27], 0 offset:32 ; 4-byte Folded Spill
	s_nop 0
	buffer_store_dword v114, off, s[24:27], 0 offset:36 ; 4-byte Folded Spill
	buffer_store_dword v115, off, s[24:27], 0 offset:40 ; 4-byte Folded Spill
	;; [unrolled: 1-line block ×3, first 2 shown]
	ds_read2_b64 v[105:108], v127 offset0:8 offset1:9
	buffer_load_dword v113, off, s[24:27], 0 offset:16 ; 4-byte Folded Reload
	buffer_load_dword v114, off, s[24:27], 0 offset:20 ; 4-byte Folded Reload
	;; [unrolled: 1-line block ×4, first 2 shown]
	s_waitcnt lgkmcnt(0)
	v_mul_f64 v[77:78], v[107:108], v[103:104]
	v_fma_f64 v[77:78], v[105:106], v[125:126], -v[77:78]
	v_mul_f64 v[105:106], v[105:106], v[103:104]
	v_fma_f64 v[105:106], v[107:108], v[125:126], v[105:106]
	s_waitcnt vmcnt(2)
	v_add_f64 v[113:114], v[113:114], -v[77:78]
	s_waitcnt vmcnt(0)
	v_add_f64 v[115:116], v[115:116], -v[105:106]
	buffer_store_dword v113, off, s[24:27], 0 offset:16 ; 4-byte Folded Spill
	s_nop 0
	buffer_store_dword v114, off, s[24:27], 0 offset:20 ; 4-byte Folded Spill
	buffer_store_dword v115, off, s[24:27], 0 offset:24 ; 4-byte Folded Spill
	;; [unrolled: 1-line block ×3, first 2 shown]
	ds_read2_b64 v[105:108], v127 offset0:10 offset1:11
	buffer_load_dword v97, off, s[24:27], 0 ; 4-byte Folded Reload
	buffer_load_dword v98, off, s[24:27], 0 offset:4 ; 4-byte Folded Reload
	buffer_load_dword v99, off, s[24:27], 0 offset:8 ; 4-byte Folded Reload
	;; [unrolled: 1-line block ×3, first 2 shown]
	s_waitcnt lgkmcnt(0)
	v_mul_f64 v[77:78], v[107:108], v[103:104]
	v_fma_f64 v[77:78], v[105:106], v[125:126], -v[77:78]
	v_mul_f64 v[105:106], v[105:106], v[103:104]
	v_fma_f64 v[105:106], v[107:108], v[125:126], v[105:106]
	s_waitcnt vmcnt(2)
	v_add_f64 v[97:98], v[97:98], -v[77:78]
	s_waitcnt vmcnt(0)
	v_add_f64 v[99:100], v[99:100], -v[105:106]
	buffer_store_dword v97, off, s[24:27], 0 ; 4-byte Folded Spill
	s_nop 0
	buffer_store_dword v98, off, s[24:27], 0 offset:4 ; 4-byte Folded Spill
	buffer_store_dword v99, off, s[24:27], 0 offset:8 ; 4-byte Folded Spill
	;; [unrolled: 1-line block ×3, first 2 shown]
	ds_read2_b64 v[105:108], v127 offset0:12 offset1:13
	s_waitcnt lgkmcnt(0)
	v_mul_f64 v[77:78], v[107:108], v[103:104]
	v_fma_f64 v[77:78], v[105:106], v[125:126], -v[77:78]
	v_mul_f64 v[105:106], v[105:106], v[103:104]
	v_add_f64 v[93:94], v[93:94], -v[77:78]
	v_fma_f64 v[105:106], v[107:108], v[125:126], v[105:106]
	v_add_f64 v[95:96], v[95:96], -v[105:106]
	ds_read2_b64 v[105:108], v127 offset0:14 offset1:15
	s_waitcnt lgkmcnt(0)
	v_mul_f64 v[77:78], v[107:108], v[103:104]
	v_fma_f64 v[77:78], v[105:106], v[125:126], -v[77:78]
	v_mul_f64 v[105:106], v[105:106], v[103:104]
	v_add_f64 v[89:90], v[89:90], -v[77:78]
	v_fma_f64 v[105:106], v[107:108], v[125:126], v[105:106]
	v_add_f64 v[91:92], v[91:92], -v[105:106]
	;; [unrolled: 8-line block ×23, first 2 shown]
	ds_read2_b64 v[105:108], v127 offset0:58 offset1:59
	s_waitcnt lgkmcnt(0)
	v_mul_f64 v[77:78], v[107:108], v[103:104]
	v_fma_f64 v[77:78], v[105:106], v[125:126], -v[77:78]
	v_mul_f64 v[105:106], v[105:106], v[103:104]
	buffer_store_dword v101, off, s[24:27], 0 offset:48 ; 4-byte Folded Spill
	s_nop 0
	buffer_store_dword v102, off, s[24:27], 0 offset:52 ; 4-byte Folded Spill
	buffer_store_dword v103, off, s[24:27], 0 offset:56 ; 4-byte Folded Spill
	;; [unrolled: 1-line block ×3, first 2 shown]
	v_add_f64 v[117:118], v[117:118], -v[77:78]
	v_fma_f64 v[105:106], v[107:108], v[125:126], v[105:106]
	v_add_f64 v[119:120], v[119:120], -v[105:106]
.LBB58_62:
	s_or_b64 exec, exec, s[0:1]
	s_waitcnt vmcnt(0)
	s_barrier
	buffer_load_dword v105, off, s[24:27], 0 offset:32 ; 4-byte Folded Reload
	buffer_load_dword v106, off, s[24:27], 0 offset:36 ; 4-byte Folded Reload
	;; [unrolled: 1-line block ×4, first 2 shown]
	v_lshl_add_u32 v77, v79, 4, v127
	s_mov_b32 s0, 4
	s_cmp_lt_i32 s3, 5
	s_waitcnt vmcnt(0)
	ds_write2_b64 v77, v[105:106], v[107:108] offset1:1
	s_waitcnt lgkmcnt(0)
	s_barrier
	ds_read2_b64 v[121:124], v127 offset0:6 offset1:7
	v_mov_b32_e32 v77, 3
	s_cbranch_scc1 .LBB58_65
; %bb.63:
	v_add3_u32 v78, v109, 0, 64
	v_mov_b32_e32 v77, 3
.LBB58_64:                              ; =>This Inner Loop Header: Depth=1
	s_waitcnt lgkmcnt(0)
	v_cmp_gt_f64_e32 vcc, 0, v[121:122]
	v_xor_b32_e32 v109, 0x80000000, v122
	ds_read2_b64 v[105:108], v78 offset1:1
	v_xor_b32_e32 v113, 0x80000000, v124
	v_add_u32_e32 v78, 16, v78
	s_waitcnt lgkmcnt(0)
	v_xor_b32_e32 v115, 0x80000000, v108
	v_cndmask_b32_e32 v110, v122, v109, vcc
	v_cmp_gt_f64_e32 vcc, 0, v[123:124]
	v_mov_b32_e32 v109, v121
	v_cndmask_b32_e32 v114, v124, v113, vcc
	v_cmp_gt_f64_e32 vcc, 0, v[105:106]
	v_mov_b32_e32 v113, v123
	v_add_f64 v[109:110], v[109:110], v[113:114]
	v_xor_b32_e32 v113, 0x80000000, v106
	v_cndmask_b32_e32 v114, v106, v113, vcc
	v_cmp_gt_f64_e32 vcc, 0, v[107:108]
	v_mov_b32_e32 v113, v105
	v_cndmask_b32_e32 v116, v108, v115, vcc
	v_mov_b32_e32 v115, v107
	v_add_f64 v[113:114], v[113:114], v[115:116]
	v_cmp_lt_f64_e32 vcc, v[109:110], v[113:114]
	v_cndmask_b32_e32 v121, v121, v105, vcc
	v_mov_b32_e32 v105, s0
	s_add_i32 s0, s0, 1
	v_cndmask_b32_e32 v122, v122, v106, vcc
	v_cndmask_b32_e32 v124, v124, v108, vcc
	;; [unrolled: 1-line block ×4, first 2 shown]
	s_cmp_lg_u32 s3, s0
	s_cbranch_scc1 .LBB58_64
.LBB58_65:
	s_waitcnt lgkmcnt(0)
	v_cmp_eq_f64_e32 vcc, 0, v[121:122]
	v_cmp_eq_f64_e64 s[0:1], 0, v[123:124]
	s_and_b64 s[0:1], vcc, s[0:1]
	s_and_saveexec_b64 s[18:19], s[0:1]
	s_xor_b64 s[0:1], exec, s[18:19]
; %bb.66:
	v_cmp_ne_u32_e32 vcc, 0, v80
	v_cndmask_b32_e32 v80, 4, v80, vcc
; %bb.67:
	s_andn2_saveexec_b64 s[0:1], s[0:1]
	s_cbranch_execz .LBB58_73
; %bb.68:
	v_cmp_ngt_f64_e64 s[18:19], |v[121:122]|, |v[123:124]|
	s_and_saveexec_b64 s[20:21], s[18:19]
	s_xor_b64 s[18:19], exec, s[20:21]
	s_cbranch_execz .LBB58_70
; %bb.69:
	v_div_scale_f64 v[105:106], s[20:21], v[123:124], v[123:124], v[121:122]
	v_rcp_f64_e32 v[107:108], v[105:106]
	v_fma_f64 v[109:110], -v[105:106], v[107:108], 1.0
	v_fma_f64 v[107:108], v[107:108], v[109:110], v[107:108]
	v_div_scale_f64 v[109:110], vcc, v[121:122], v[123:124], v[121:122]
	v_fma_f64 v[113:114], -v[105:106], v[107:108], 1.0
	v_fma_f64 v[107:108], v[107:108], v[113:114], v[107:108]
	v_mul_f64 v[113:114], v[109:110], v[107:108]
	v_fma_f64 v[105:106], -v[105:106], v[113:114], v[109:110]
	v_div_fmas_f64 v[105:106], v[105:106], v[107:108], v[113:114]
	v_div_fixup_f64 v[105:106], v[105:106], v[123:124], v[121:122]
	v_fma_f64 v[107:108], v[121:122], v[105:106], v[123:124]
	v_div_scale_f64 v[109:110], s[20:21], v[107:108], v[107:108], 1.0
	v_div_scale_f64 v[121:122], vcc, 1.0, v[107:108], 1.0
	v_rcp_f64_e32 v[113:114], v[109:110]
	v_fma_f64 v[115:116], -v[109:110], v[113:114], 1.0
	v_fma_f64 v[113:114], v[113:114], v[115:116], v[113:114]
	v_fma_f64 v[115:116], -v[109:110], v[113:114], 1.0
	v_fma_f64 v[113:114], v[113:114], v[115:116], v[113:114]
	v_mul_f64 v[115:116], v[121:122], v[113:114]
	v_fma_f64 v[109:110], -v[109:110], v[115:116], v[121:122]
	v_div_fmas_f64 v[109:110], v[109:110], v[113:114], v[115:116]
	v_div_fixup_f64 v[123:124], v[109:110], v[107:108], 1.0
	v_mul_f64 v[121:122], v[105:106], v[123:124]
	v_xor_b32_e32 v124, 0x80000000, v124
.LBB58_70:
	s_andn2_saveexec_b64 s[18:19], s[18:19]
	s_cbranch_execz .LBB58_72
; %bb.71:
	v_div_scale_f64 v[105:106], s[20:21], v[121:122], v[121:122], v[123:124]
	v_rcp_f64_e32 v[107:108], v[105:106]
	v_fma_f64 v[109:110], -v[105:106], v[107:108], 1.0
	v_fma_f64 v[107:108], v[107:108], v[109:110], v[107:108]
	v_div_scale_f64 v[109:110], vcc, v[123:124], v[121:122], v[123:124]
	v_fma_f64 v[113:114], -v[105:106], v[107:108], 1.0
	v_fma_f64 v[107:108], v[107:108], v[113:114], v[107:108]
	v_mul_f64 v[113:114], v[109:110], v[107:108]
	v_fma_f64 v[105:106], -v[105:106], v[113:114], v[109:110]
	v_div_fmas_f64 v[105:106], v[105:106], v[107:108], v[113:114]
	v_div_fixup_f64 v[105:106], v[105:106], v[121:122], v[123:124]
	v_fma_f64 v[107:108], v[123:124], v[105:106], v[121:122]
	v_div_scale_f64 v[109:110], s[20:21], v[107:108], v[107:108], 1.0
	v_div_scale_f64 v[121:122], vcc, 1.0, v[107:108], 1.0
	v_rcp_f64_e32 v[113:114], v[109:110]
	v_fma_f64 v[115:116], -v[109:110], v[113:114], 1.0
	v_fma_f64 v[113:114], v[113:114], v[115:116], v[113:114]
	v_fma_f64 v[115:116], -v[109:110], v[113:114], 1.0
	v_fma_f64 v[113:114], v[113:114], v[115:116], v[113:114]
	v_mul_f64 v[115:116], v[121:122], v[113:114]
	v_fma_f64 v[109:110], -v[109:110], v[115:116], v[121:122]
	v_div_fmas_f64 v[109:110], v[109:110], v[113:114], v[115:116]
	v_div_fixup_f64 v[121:122], v[109:110], v[107:108], 1.0
	v_mul_f64 v[123:124], v[105:106], -v[121:122]
.LBB58_72:
	s_or_b64 exec, exec, s[18:19]
.LBB58_73:
	s_or_b64 exec, exec, s[0:1]
	v_cmp_ne_u32_e32 vcc, v79, v77
	s_and_saveexec_b64 s[0:1], vcc
	s_xor_b64 s[0:1], exec, s[0:1]
	s_cbranch_execz .LBB58_79
; %bb.74:
	v_cmp_eq_u32_e32 vcc, 3, v79
	s_and_saveexec_b64 s[18:19], vcc
	s_cbranch_execz .LBB58_78
; %bb.75:
	v_cmp_ne_u32_e32 vcc, 3, v77
	s_xor_b64 s[20:21], s[6:7], -1
	s_and_b64 s[22:23], s[20:21], vcc
	s_and_saveexec_b64 s[20:21], s[22:23]
	s_cbranch_execz .LBB58_77
; %bb.76:
	buffer_load_dword v106, off, s[24:27], 0 offset:80 ; 4-byte Folded Reload
	buffer_load_dword v107, off, s[24:27], 0 offset:84 ; 4-byte Folded Reload
	v_ashrrev_i32_e32 v78, 31, v77
	v_lshlrev_b64 v[78:79], 2, v[77:78]
	s_waitcnt vmcnt(1)
	v_add_co_u32_e32 v78, vcc, v106, v78
	s_waitcnt vmcnt(0)
	v_addc_co_u32_e32 v79, vcc, v107, v79, vcc
	global_load_dword v0, v[78:79], off
	global_load_dword v105, v[106:107], off offset:12
	s_waitcnt vmcnt(1)
	global_store_dword v[106:107], v0, off offset:12
	s_waitcnt vmcnt(1)
	global_store_dword v[78:79], v105, off
.LBB58_77:
	s_or_b64 exec, exec, s[20:21]
	v_mov_b32_e32 v79, v77
	v_mov_b32_e32 v0, v77
.LBB58_78:
	s_or_b64 exec, exec, s[18:19]
.LBB58_79:
	s_andn2_saveexec_b64 s[0:1], s[0:1]
	s_cbranch_execz .LBB58_81
; %bb.80:
	buffer_load_dword v101, off, s[24:27], 0 offset:16 ; 4-byte Folded Reload
	buffer_load_dword v102, off, s[24:27], 0 offset:20 ; 4-byte Folded Reload
	;; [unrolled: 1-line block ×4, first 2 shown]
	v_mov_b32_e32 v79, 3
	s_waitcnt vmcnt(0)
	ds_write2_b64 v127, v[101:102], v[103:104] offset0:8 offset1:9
	buffer_load_dword v97, off, s[24:27], 0 ; 4-byte Folded Reload
	buffer_load_dword v98, off, s[24:27], 0 offset:4 ; 4-byte Folded Reload
	buffer_load_dword v99, off, s[24:27], 0 offset:8 ; 4-byte Folded Reload
	;; [unrolled: 1-line block ×3, first 2 shown]
	s_waitcnt vmcnt(0)
	ds_write2_b64 v127, v[97:98], v[99:100] offset0:10 offset1:11
	ds_write2_b64 v127, v[93:94], v[95:96] offset0:12 offset1:13
	ds_write2_b64 v127, v[89:90], v[91:92] offset0:14 offset1:15
	ds_write2_b64 v127, v[85:86], v[87:88] offset0:16 offset1:17
	ds_write2_b64 v127, v[81:82], v[83:84] offset0:18 offset1:19
	ds_write2_b64 v127, v[73:74], v[75:76] offset0:20 offset1:21
	ds_write2_b64 v127, v[69:70], v[71:72] offset0:22 offset1:23
	ds_write2_b64 v127, v[65:66], v[67:68] offset0:24 offset1:25
	ds_write2_b64 v127, v[61:62], v[63:64] offset0:26 offset1:27
	ds_write2_b64 v127, v[57:58], v[59:60] offset0:28 offset1:29
	ds_write2_b64 v127, v[53:54], v[55:56] offset0:30 offset1:31
	ds_write2_b64 v127, v[49:50], v[51:52] offset0:32 offset1:33
	ds_write2_b64 v127, v[45:46], v[47:48] offset0:34 offset1:35
	ds_write2_b64 v127, v[41:42], v[43:44] offset0:36 offset1:37
	ds_write2_b64 v127, v[37:38], v[39:40] offset0:38 offset1:39
	ds_write2_b64 v127, v[33:34], v[35:36] offset0:40 offset1:41
	ds_write2_b64 v127, v[29:30], v[31:32] offset0:42 offset1:43
	ds_write2_b64 v127, v[25:26], v[27:28] offset0:44 offset1:45
	ds_write2_b64 v127, v[21:22], v[23:24] offset0:46 offset1:47
	ds_write2_b64 v127, v[17:18], v[19:20] offset0:48 offset1:49
	ds_write2_b64 v127, v[13:14], v[15:16] offset0:50 offset1:51
	ds_write2_b64 v127, v[9:10], v[11:12] offset0:52 offset1:53
	ds_write2_b64 v127, v[5:6], v[7:8] offset0:54 offset1:55
	ds_write2_b64 v127, v[1:2], v[3:4] offset0:56 offset1:57
	ds_write2_b64 v127, v[117:118], v[119:120] offset0:58 offset1:59
.LBB58_81:
	s_or_b64 exec, exec, s[0:1]
	v_cmp_lt_i32_e32 vcc, 3, v79
	s_waitcnt vmcnt(0) lgkmcnt(0)
	s_barrier
	s_and_saveexec_b64 s[0:1], vcc
	s_cbranch_execz .LBB58_83
; %bb.82:
	buffer_load_dword v107, off, s[24:27], 0 offset:32 ; 4-byte Folded Reload
	buffer_load_dword v108, off, s[24:27], 0 offset:36 ; 4-byte Folded Reload
	;; [unrolled: 1-line block ×4, first 2 shown]
	s_waitcnt vmcnt(0)
	v_mul_f64 v[77:78], v[123:124], v[109:110]
	v_fma_f64 v[125:126], v[121:122], v[107:108], -v[77:78]
	v_mul_f64 v[77:78], v[121:122], v[109:110]
	v_fma_f64 v[109:110], v[123:124], v[107:108], v[77:78]
	ds_read2_b64 v[105:108], v127 offset0:8 offset1:9
	buffer_load_dword v101, off, s[24:27], 0 offset:16 ; 4-byte Folded Reload
	buffer_load_dword v102, off, s[24:27], 0 offset:20 ; 4-byte Folded Reload
	buffer_load_dword v103, off, s[24:27], 0 offset:24 ; 4-byte Folded Reload
	buffer_load_dword v104, off, s[24:27], 0 offset:28 ; 4-byte Folded Reload
	s_waitcnt lgkmcnt(0)
	v_mul_f64 v[77:78], v[107:108], v[109:110]
	v_fma_f64 v[77:78], v[105:106], v[125:126], -v[77:78]
	v_mul_f64 v[105:106], v[105:106], v[109:110]
	v_fma_f64 v[105:106], v[107:108], v[125:126], v[105:106]
	s_waitcnt vmcnt(2)
	v_add_f64 v[101:102], v[101:102], -v[77:78]
	s_waitcnt vmcnt(0)
	v_add_f64 v[103:104], v[103:104], -v[105:106]
	buffer_store_dword v101, off, s[24:27], 0 offset:16 ; 4-byte Folded Spill
	s_nop 0
	buffer_store_dword v102, off, s[24:27], 0 offset:20 ; 4-byte Folded Spill
	buffer_store_dword v103, off, s[24:27], 0 offset:24 ; 4-byte Folded Spill
	;; [unrolled: 1-line block ×3, first 2 shown]
	ds_read2_b64 v[105:108], v127 offset0:10 offset1:11
	buffer_load_dword v97, off, s[24:27], 0 ; 4-byte Folded Reload
	buffer_load_dword v98, off, s[24:27], 0 offset:4 ; 4-byte Folded Reload
	buffer_load_dword v99, off, s[24:27], 0 offset:8 ; 4-byte Folded Reload
	;; [unrolled: 1-line block ×3, first 2 shown]
	s_waitcnt lgkmcnt(0)
	v_mul_f64 v[77:78], v[107:108], v[109:110]
	v_fma_f64 v[77:78], v[105:106], v[125:126], -v[77:78]
	v_mul_f64 v[105:106], v[105:106], v[109:110]
	v_fma_f64 v[105:106], v[107:108], v[125:126], v[105:106]
	s_waitcnt vmcnt(2)
	v_add_f64 v[97:98], v[97:98], -v[77:78]
	s_waitcnt vmcnt(0)
	v_add_f64 v[99:100], v[99:100], -v[105:106]
	buffer_store_dword v97, off, s[24:27], 0 ; 4-byte Folded Spill
	s_nop 0
	buffer_store_dword v98, off, s[24:27], 0 offset:4 ; 4-byte Folded Spill
	buffer_store_dword v99, off, s[24:27], 0 offset:8 ; 4-byte Folded Spill
	;; [unrolled: 1-line block ×3, first 2 shown]
	ds_read2_b64 v[105:108], v127 offset0:12 offset1:13
	s_waitcnt lgkmcnt(0)
	v_mul_f64 v[77:78], v[107:108], v[109:110]
	v_fma_f64 v[77:78], v[105:106], v[125:126], -v[77:78]
	v_mul_f64 v[105:106], v[105:106], v[109:110]
	v_add_f64 v[93:94], v[93:94], -v[77:78]
	v_fma_f64 v[105:106], v[107:108], v[125:126], v[105:106]
	v_add_f64 v[95:96], v[95:96], -v[105:106]
	ds_read2_b64 v[105:108], v127 offset0:14 offset1:15
	s_waitcnt lgkmcnt(0)
	v_mul_f64 v[77:78], v[107:108], v[109:110]
	v_fma_f64 v[77:78], v[105:106], v[125:126], -v[77:78]
	v_mul_f64 v[105:106], v[105:106], v[109:110]
	v_add_f64 v[89:90], v[89:90], -v[77:78]
	v_fma_f64 v[105:106], v[107:108], v[125:126], v[105:106]
	v_add_f64 v[91:92], v[91:92], -v[105:106]
	;; [unrolled: 8-line block ×23, first 2 shown]
	ds_read2_b64 v[105:108], v127 offset0:58 offset1:59
	s_waitcnt lgkmcnt(0)
	v_mul_f64 v[77:78], v[107:108], v[109:110]
	v_fma_f64 v[77:78], v[105:106], v[125:126], -v[77:78]
	v_mul_f64 v[105:106], v[105:106], v[109:110]
	v_add_f64 v[117:118], v[117:118], -v[77:78]
	v_fma_f64 v[105:106], v[107:108], v[125:126], v[105:106]
	v_mov_b32_e32 v107, v125
	v_mov_b32_e32 v108, v126
	buffer_store_dword v107, off, s[24:27], 0 offset:32 ; 4-byte Folded Spill
	s_nop 0
	buffer_store_dword v108, off, s[24:27], 0 offset:36 ; 4-byte Folded Spill
	buffer_store_dword v109, off, s[24:27], 0 offset:40 ; 4-byte Folded Spill
	;; [unrolled: 1-line block ×3, first 2 shown]
	v_add_f64 v[119:120], v[119:120], -v[105:106]
.LBB58_83:
	s_or_b64 exec, exec, s[0:1]
	s_waitcnt vmcnt(0)
	s_barrier
	buffer_load_dword v101, off, s[24:27], 0 offset:16 ; 4-byte Folded Reload
	buffer_load_dword v102, off, s[24:27], 0 offset:20 ; 4-byte Folded Reload
	;; [unrolled: 1-line block ×4, first 2 shown]
	v_lshl_add_u32 v77, v79, 4, v127
	s_cmp_lt_i32 s3, 6
	s_waitcnt vmcnt(0)
	ds_write2_b64 v77, v[101:102], v[103:104] offset1:1
	s_waitcnt lgkmcnt(0)
	s_barrier
	ds_read2_b64 v[121:124], v127 offset0:8 offset1:9
	v_mov_b32_e32 v77, 4
	s_cbranch_scc1 .LBB58_86
; %bb.84:
	v_mov_b32_e32 v77, 4
	v_add_u32_e32 v78, 0x50, v127
	s_mov_b32 s0, 5
.LBB58_85:                              ; =>This Inner Loop Header: Depth=1
	s_waitcnt lgkmcnt(0)
	v_cmp_gt_f64_e32 vcc, 0, v[121:122]
	v_xor_b32_e32 v109, 0x80000000, v122
	ds_read2_b64 v[105:108], v78 offset1:1
	v_xor_b32_e32 v113, 0x80000000, v124
	v_add_u32_e32 v78, 16, v78
	s_waitcnt lgkmcnt(0)
	v_xor_b32_e32 v115, 0x80000000, v108
	v_cndmask_b32_e32 v110, v122, v109, vcc
	v_cmp_gt_f64_e32 vcc, 0, v[123:124]
	v_mov_b32_e32 v109, v121
	v_cndmask_b32_e32 v114, v124, v113, vcc
	v_cmp_gt_f64_e32 vcc, 0, v[105:106]
	v_mov_b32_e32 v113, v123
	v_add_f64 v[109:110], v[109:110], v[113:114]
	v_xor_b32_e32 v113, 0x80000000, v106
	v_cndmask_b32_e32 v114, v106, v113, vcc
	v_cmp_gt_f64_e32 vcc, 0, v[107:108]
	v_mov_b32_e32 v113, v105
	v_cndmask_b32_e32 v116, v108, v115, vcc
	v_mov_b32_e32 v115, v107
	v_add_f64 v[113:114], v[113:114], v[115:116]
	v_cmp_lt_f64_e32 vcc, v[109:110], v[113:114]
	v_cndmask_b32_e32 v121, v121, v105, vcc
	v_mov_b32_e32 v105, s0
	s_add_i32 s0, s0, 1
	v_cndmask_b32_e32 v122, v122, v106, vcc
	v_cndmask_b32_e32 v124, v124, v108, vcc
	;; [unrolled: 1-line block ×4, first 2 shown]
	s_cmp_lg_u32 s3, s0
	s_cbranch_scc1 .LBB58_85
.LBB58_86:
	s_waitcnt lgkmcnt(0)
	v_cmp_eq_f64_e32 vcc, 0, v[121:122]
	v_cmp_eq_f64_e64 s[0:1], 0, v[123:124]
	s_and_b64 s[0:1], vcc, s[0:1]
	s_and_saveexec_b64 s[18:19], s[0:1]
	s_xor_b64 s[0:1], exec, s[18:19]
; %bb.87:
	v_cmp_ne_u32_e32 vcc, 0, v80
	v_cndmask_b32_e32 v80, 5, v80, vcc
; %bb.88:
	s_andn2_saveexec_b64 s[0:1], s[0:1]
	s_cbranch_execz .LBB58_94
; %bb.89:
	v_cmp_ngt_f64_e64 s[18:19], |v[121:122]|, |v[123:124]|
	s_and_saveexec_b64 s[20:21], s[18:19]
	s_xor_b64 s[18:19], exec, s[20:21]
	s_cbranch_execz .LBB58_91
; %bb.90:
	v_div_scale_f64 v[105:106], s[20:21], v[123:124], v[123:124], v[121:122]
	v_rcp_f64_e32 v[107:108], v[105:106]
	v_fma_f64 v[109:110], -v[105:106], v[107:108], 1.0
	v_fma_f64 v[107:108], v[107:108], v[109:110], v[107:108]
	v_div_scale_f64 v[109:110], vcc, v[121:122], v[123:124], v[121:122]
	v_fma_f64 v[113:114], -v[105:106], v[107:108], 1.0
	v_fma_f64 v[107:108], v[107:108], v[113:114], v[107:108]
	v_mul_f64 v[113:114], v[109:110], v[107:108]
	v_fma_f64 v[105:106], -v[105:106], v[113:114], v[109:110]
	v_div_fmas_f64 v[105:106], v[105:106], v[107:108], v[113:114]
	v_div_fixup_f64 v[105:106], v[105:106], v[123:124], v[121:122]
	v_fma_f64 v[107:108], v[121:122], v[105:106], v[123:124]
	v_div_scale_f64 v[109:110], s[20:21], v[107:108], v[107:108], 1.0
	v_div_scale_f64 v[121:122], vcc, 1.0, v[107:108], 1.0
	v_rcp_f64_e32 v[113:114], v[109:110]
	v_fma_f64 v[115:116], -v[109:110], v[113:114], 1.0
	v_fma_f64 v[113:114], v[113:114], v[115:116], v[113:114]
	v_fma_f64 v[115:116], -v[109:110], v[113:114], 1.0
	v_fma_f64 v[113:114], v[113:114], v[115:116], v[113:114]
	v_mul_f64 v[115:116], v[121:122], v[113:114]
	v_fma_f64 v[109:110], -v[109:110], v[115:116], v[121:122]
	v_div_fmas_f64 v[109:110], v[109:110], v[113:114], v[115:116]
	v_div_fixup_f64 v[123:124], v[109:110], v[107:108], 1.0
	v_mul_f64 v[121:122], v[105:106], v[123:124]
	v_xor_b32_e32 v124, 0x80000000, v124
.LBB58_91:
	s_andn2_saveexec_b64 s[18:19], s[18:19]
	s_cbranch_execz .LBB58_93
; %bb.92:
	v_div_scale_f64 v[105:106], s[20:21], v[121:122], v[121:122], v[123:124]
	v_rcp_f64_e32 v[107:108], v[105:106]
	v_fma_f64 v[109:110], -v[105:106], v[107:108], 1.0
	v_fma_f64 v[107:108], v[107:108], v[109:110], v[107:108]
	v_div_scale_f64 v[109:110], vcc, v[123:124], v[121:122], v[123:124]
	v_fma_f64 v[113:114], -v[105:106], v[107:108], 1.0
	v_fma_f64 v[107:108], v[107:108], v[113:114], v[107:108]
	v_mul_f64 v[113:114], v[109:110], v[107:108]
	v_fma_f64 v[105:106], -v[105:106], v[113:114], v[109:110]
	v_div_fmas_f64 v[105:106], v[105:106], v[107:108], v[113:114]
	v_div_fixup_f64 v[105:106], v[105:106], v[121:122], v[123:124]
	v_fma_f64 v[107:108], v[123:124], v[105:106], v[121:122]
	v_div_scale_f64 v[109:110], s[20:21], v[107:108], v[107:108], 1.0
	v_div_scale_f64 v[121:122], vcc, 1.0, v[107:108], 1.0
	v_rcp_f64_e32 v[113:114], v[109:110]
	v_fma_f64 v[115:116], -v[109:110], v[113:114], 1.0
	v_fma_f64 v[113:114], v[113:114], v[115:116], v[113:114]
	v_fma_f64 v[115:116], -v[109:110], v[113:114], 1.0
	v_fma_f64 v[113:114], v[113:114], v[115:116], v[113:114]
	v_mul_f64 v[115:116], v[121:122], v[113:114]
	v_fma_f64 v[109:110], -v[109:110], v[115:116], v[121:122]
	v_div_fmas_f64 v[109:110], v[109:110], v[113:114], v[115:116]
	v_div_fixup_f64 v[121:122], v[109:110], v[107:108], 1.0
	v_mul_f64 v[123:124], v[105:106], -v[121:122]
.LBB58_93:
	s_or_b64 exec, exec, s[18:19]
.LBB58_94:
	s_or_b64 exec, exec, s[0:1]
	v_cmp_ne_u32_e32 vcc, v79, v77
	s_and_saveexec_b64 s[0:1], vcc
	s_xor_b64 s[0:1], exec, s[0:1]
	s_cbranch_execz .LBB58_100
; %bb.95:
	v_cmp_eq_u32_e32 vcc, 4, v79
	s_and_saveexec_b64 s[18:19], vcc
	s_cbranch_execz .LBB58_99
; %bb.96:
	v_cmp_ne_u32_e32 vcc, 4, v77
	s_xor_b64 s[20:21], s[6:7], -1
	s_and_b64 s[22:23], s[20:21], vcc
	s_and_saveexec_b64 s[20:21], s[22:23]
	s_cbranch_execz .LBB58_98
; %bb.97:
	buffer_load_dword v106, off, s[24:27], 0 offset:80 ; 4-byte Folded Reload
	buffer_load_dword v107, off, s[24:27], 0 offset:84 ; 4-byte Folded Reload
	v_ashrrev_i32_e32 v78, 31, v77
	v_lshlrev_b64 v[78:79], 2, v[77:78]
	s_waitcnt vmcnt(1)
	v_add_co_u32_e32 v78, vcc, v106, v78
	s_waitcnt vmcnt(0)
	v_addc_co_u32_e32 v79, vcc, v107, v79, vcc
	global_load_dword v0, v[78:79], off
	global_load_dword v105, v[106:107], off offset:16
	s_waitcnt vmcnt(1)
	global_store_dword v[106:107], v0, off offset:16
	s_waitcnt vmcnt(1)
	global_store_dword v[78:79], v105, off
.LBB58_98:
	s_or_b64 exec, exec, s[20:21]
	v_mov_b32_e32 v79, v77
	v_mov_b32_e32 v0, v77
.LBB58_99:
	s_or_b64 exec, exec, s[18:19]
.LBB58_100:
	s_andn2_saveexec_b64 s[0:1], s[0:1]
	s_cbranch_execz .LBB58_102
; %bb.101:
	buffer_load_dword v97, off, s[24:27], 0 ; 4-byte Folded Reload
	buffer_load_dword v98, off, s[24:27], 0 offset:4 ; 4-byte Folded Reload
	buffer_load_dword v99, off, s[24:27], 0 offset:8 ; 4-byte Folded Reload
	;; [unrolled: 1-line block ×3, first 2 shown]
	v_mov_b32_e32 v79, 4
	s_waitcnt vmcnt(0)
	ds_write2_b64 v127, v[97:98], v[99:100] offset0:10 offset1:11
	ds_write2_b64 v127, v[93:94], v[95:96] offset0:12 offset1:13
	ds_write2_b64 v127, v[89:90], v[91:92] offset0:14 offset1:15
	ds_write2_b64 v127, v[85:86], v[87:88] offset0:16 offset1:17
	ds_write2_b64 v127, v[81:82], v[83:84] offset0:18 offset1:19
	ds_write2_b64 v127, v[73:74], v[75:76] offset0:20 offset1:21
	ds_write2_b64 v127, v[69:70], v[71:72] offset0:22 offset1:23
	ds_write2_b64 v127, v[65:66], v[67:68] offset0:24 offset1:25
	ds_write2_b64 v127, v[61:62], v[63:64] offset0:26 offset1:27
	ds_write2_b64 v127, v[57:58], v[59:60] offset0:28 offset1:29
	ds_write2_b64 v127, v[53:54], v[55:56] offset0:30 offset1:31
	ds_write2_b64 v127, v[49:50], v[51:52] offset0:32 offset1:33
	ds_write2_b64 v127, v[45:46], v[47:48] offset0:34 offset1:35
	ds_write2_b64 v127, v[41:42], v[43:44] offset0:36 offset1:37
	ds_write2_b64 v127, v[37:38], v[39:40] offset0:38 offset1:39
	ds_write2_b64 v127, v[33:34], v[35:36] offset0:40 offset1:41
	ds_write2_b64 v127, v[29:30], v[31:32] offset0:42 offset1:43
	ds_write2_b64 v127, v[25:26], v[27:28] offset0:44 offset1:45
	ds_write2_b64 v127, v[21:22], v[23:24] offset0:46 offset1:47
	ds_write2_b64 v127, v[17:18], v[19:20] offset0:48 offset1:49
	ds_write2_b64 v127, v[13:14], v[15:16] offset0:50 offset1:51
	ds_write2_b64 v127, v[9:10], v[11:12] offset0:52 offset1:53
	ds_write2_b64 v127, v[5:6], v[7:8] offset0:54 offset1:55
	ds_write2_b64 v127, v[1:2], v[3:4] offset0:56 offset1:57
	ds_write2_b64 v127, v[117:118], v[119:120] offset0:58 offset1:59
.LBB58_102:
	s_or_b64 exec, exec, s[0:1]
	v_cmp_lt_i32_e32 vcc, 4, v79
	s_waitcnt vmcnt(0) lgkmcnt(0)
	s_barrier
	s_and_saveexec_b64 s[0:1], vcc
	s_cbranch_execz .LBB58_104
; %bb.103:
	buffer_load_dword v101, off, s[24:27], 0 offset:16 ; 4-byte Folded Reload
	buffer_load_dword v102, off, s[24:27], 0 offset:20 ; 4-byte Folded Reload
	;; [unrolled: 1-line block ×4, first 2 shown]
	ds_read2_b64 v[105:108], v127 offset0:10 offset1:11
	buffer_load_dword v97, off, s[24:27], 0 ; 4-byte Folded Reload
	buffer_load_dword v98, off, s[24:27], 0 offset:4 ; 4-byte Folded Reload
	buffer_load_dword v99, off, s[24:27], 0 offset:8 ; 4-byte Folded Reload
	;; [unrolled: 1-line block ×3, first 2 shown]
	s_waitcnt vmcnt(4)
	v_mul_f64 v[77:78], v[123:124], v[103:104]
	v_fma_f64 v[125:126], v[121:122], v[101:102], -v[77:78]
	v_mul_f64 v[77:78], v[121:122], v[103:104]
	v_fma_f64 v[103:104], v[123:124], v[101:102], v[77:78]
	s_waitcnt lgkmcnt(0)
	v_mul_f64 v[77:78], v[107:108], v[103:104]
	v_mul_f64 v[101:102], v[105:106], v[103:104]
	v_fma_f64 v[77:78], v[105:106], v[125:126], -v[77:78]
	v_fma_f64 v[101:102], v[107:108], v[125:126], v[101:102]
	s_waitcnt vmcnt(2)
	v_add_f64 v[97:98], v[97:98], -v[77:78]
	s_waitcnt vmcnt(0)
	v_add_f64 v[99:100], v[99:100], -v[101:102]
	buffer_store_dword v97, off, s[24:27], 0 ; 4-byte Folded Spill
	s_nop 0
	buffer_store_dword v98, off, s[24:27], 0 offset:4 ; 4-byte Folded Spill
	buffer_store_dword v99, off, s[24:27], 0 offset:8 ; 4-byte Folded Spill
	buffer_store_dword v100, off, s[24:27], 0 offset:12 ; 4-byte Folded Spill
	ds_read2_b64 v[105:108], v127 offset0:12 offset1:13
	s_waitcnt lgkmcnt(0)
	v_mul_f64 v[77:78], v[107:108], v[103:104]
	v_mul_f64 v[101:102], v[105:106], v[103:104]
	v_fma_f64 v[77:78], v[105:106], v[125:126], -v[77:78]
	v_fma_f64 v[101:102], v[107:108], v[125:126], v[101:102]
	ds_read2_b64 v[105:108], v127 offset0:14 offset1:15
	v_add_f64 v[93:94], v[93:94], -v[77:78]
	v_add_f64 v[95:96], v[95:96], -v[101:102]
	s_waitcnt lgkmcnt(0)
	v_mul_f64 v[77:78], v[107:108], v[103:104]
	v_mul_f64 v[101:102], v[105:106], v[103:104]
	v_fma_f64 v[77:78], v[105:106], v[125:126], -v[77:78]
	v_fma_f64 v[101:102], v[107:108], v[125:126], v[101:102]
	ds_read2_b64 v[105:108], v127 offset0:16 offset1:17
	v_add_f64 v[89:90], v[89:90], -v[77:78]
	v_add_f64 v[91:92], v[91:92], -v[101:102]
	s_waitcnt lgkmcnt(0)
	v_mul_f64 v[77:78], v[107:108], v[103:104]
	v_mul_f64 v[101:102], v[105:106], v[103:104]
	v_fma_f64 v[77:78], v[105:106], v[125:126], -v[77:78]
	v_fma_f64 v[101:102], v[107:108], v[125:126], v[101:102]
	ds_read2_b64 v[105:108], v127 offset0:18 offset1:19
	v_add_f64 v[85:86], v[85:86], -v[77:78]
	v_add_f64 v[87:88], v[87:88], -v[101:102]
	s_waitcnt lgkmcnt(0)
	v_mul_f64 v[77:78], v[107:108], v[103:104]
	v_mul_f64 v[101:102], v[105:106], v[103:104]
	v_fma_f64 v[77:78], v[105:106], v[125:126], -v[77:78]
	v_fma_f64 v[101:102], v[107:108], v[125:126], v[101:102]
	ds_read2_b64 v[105:108], v127 offset0:20 offset1:21
	v_add_f64 v[81:82], v[81:82], -v[77:78]
	v_add_f64 v[83:84], v[83:84], -v[101:102]
	s_waitcnt lgkmcnt(0)
	v_mul_f64 v[77:78], v[107:108], v[103:104]
	v_mul_f64 v[101:102], v[105:106], v[103:104]
	v_fma_f64 v[77:78], v[105:106], v[125:126], -v[77:78]
	v_fma_f64 v[101:102], v[107:108], v[125:126], v[101:102]
	ds_read2_b64 v[105:108], v127 offset0:22 offset1:23
	v_add_f64 v[73:74], v[73:74], -v[77:78]
	v_add_f64 v[75:76], v[75:76], -v[101:102]
	s_waitcnt lgkmcnt(0)
	v_mul_f64 v[77:78], v[107:108], v[103:104]
	v_mul_f64 v[101:102], v[105:106], v[103:104]
	v_fma_f64 v[77:78], v[105:106], v[125:126], -v[77:78]
	v_fma_f64 v[101:102], v[107:108], v[125:126], v[101:102]
	ds_read2_b64 v[105:108], v127 offset0:24 offset1:25
	v_add_f64 v[69:70], v[69:70], -v[77:78]
	v_add_f64 v[71:72], v[71:72], -v[101:102]
	s_waitcnt lgkmcnt(0)
	v_mul_f64 v[77:78], v[107:108], v[103:104]
	v_mul_f64 v[101:102], v[105:106], v[103:104]
	v_fma_f64 v[77:78], v[105:106], v[125:126], -v[77:78]
	v_fma_f64 v[101:102], v[107:108], v[125:126], v[101:102]
	ds_read2_b64 v[105:108], v127 offset0:26 offset1:27
	v_add_f64 v[65:66], v[65:66], -v[77:78]
	v_add_f64 v[67:68], v[67:68], -v[101:102]
	s_waitcnt lgkmcnt(0)
	v_mul_f64 v[77:78], v[107:108], v[103:104]
	v_mul_f64 v[101:102], v[105:106], v[103:104]
	v_fma_f64 v[77:78], v[105:106], v[125:126], -v[77:78]
	v_fma_f64 v[101:102], v[107:108], v[125:126], v[101:102]
	ds_read2_b64 v[105:108], v127 offset0:28 offset1:29
	v_add_f64 v[61:62], v[61:62], -v[77:78]
	v_add_f64 v[63:64], v[63:64], -v[101:102]
	s_waitcnt lgkmcnt(0)
	v_mul_f64 v[77:78], v[107:108], v[103:104]
	v_mul_f64 v[101:102], v[105:106], v[103:104]
	v_fma_f64 v[77:78], v[105:106], v[125:126], -v[77:78]
	v_fma_f64 v[101:102], v[107:108], v[125:126], v[101:102]
	ds_read2_b64 v[105:108], v127 offset0:30 offset1:31
	v_add_f64 v[57:58], v[57:58], -v[77:78]
	v_add_f64 v[59:60], v[59:60], -v[101:102]
	s_waitcnt lgkmcnt(0)
	v_mul_f64 v[77:78], v[107:108], v[103:104]
	v_mul_f64 v[101:102], v[105:106], v[103:104]
	v_fma_f64 v[77:78], v[105:106], v[125:126], -v[77:78]
	v_fma_f64 v[101:102], v[107:108], v[125:126], v[101:102]
	ds_read2_b64 v[105:108], v127 offset0:32 offset1:33
	v_add_f64 v[53:54], v[53:54], -v[77:78]
	v_add_f64 v[55:56], v[55:56], -v[101:102]
	s_waitcnt lgkmcnt(0)
	v_mul_f64 v[77:78], v[107:108], v[103:104]
	v_mul_f64 v[101:102], v[105:106], v[103:104]
	v_fma_f64 v[77:78], v[105:106], v[125:126], -v[77:78]
	v_fma_f64 v[101:102], v[107:108], v[125:126], v[101:102]
	ds_read2_b64 v[105:108], v127 offset0:34 offset1:35
	v_add_f64 v[49:50], v[49:50], -v[77:78]
	v_add_f64 v[51:52], v[51:52], -v[101:102]
	s_waitcnt lgkmcnt(0)
	v_mul_f64 v[77:78], v[107:108], v[103:104]
	v_mul_f64 v[101:102], v[105:106], v[103:104]
	v_fma_f64 v[77:78], v[105:106], v[125:126], -v[77:78]
	v_fma_f64 v[101:102], v[107:108], v[125:126], v[101:102]
	ds_read2_b64 v[105:108], v127 offset0:36 offset1:37
	v_add_f64 v[45:46], v[45:46], -v[77:78]
	v_add_f64 v[47:48], v[47:48], -v[101:102]
	s_waitcnt lgkmcnt(0)
	v_mul_f64 v[77:78], v[107:108], v[103:104]
	v_mul_f64 v[101:102], v[105:106], v[103:104]
	v_fma_f64 v[77:78], v[105:106], v[125:126], -v[77:78]
	v_fma_f64 v[101:102], v[107:108], v[125:126], v[101:102]
	ds_read2_b64 v[105:108], v127 offset0:38 offset1:39
	v_add_f64 v[41:42], v[41:42], -v[77:78]
	v_add_f64 v[43:44], v[43:44], -v[101:102]
	s_waitcnt lgkmcnt(0)
	v_mul_f64 v[77:78], v[107:108], v[103:104]
	v_mul_f64 v[101:102], v[105:106], v[103:104]
	v_fma_f64 v[77:78], v[105:106], v[125:126], -v[77:78]
	v_fma_f64 v[101:102], v[107:108], v[125:126], v[101:102]
	ds_read2_b64 v[105:108], v127 offset0:40 offset1:41
	v_add_f64 v[37:38], v[37:38], -v[77:78]
	v_add_f64 v[39:40], v[39:40], -v[101:102]
	s_waitcnt lgkmcnt(0)
	v_mul_f64 v[77:78], v[107:108], v[103:104]
	v_mul_f64 v[101:102], v[105:106], v[103:104]
	v_fma_f64 v[77:78], v[105:106], v[125:126], -v[77:78]
	v_fma_f64 v[101:102], v[107:108], v[125:126], v[101:102]
	ds_read2_b64 v[105:108], v127 offset0:42 offset1:43
	v_add_f64 v[33:34], v[33:34], -v[77:78]
	v_add_f64 v[35:36], v[35:36], -v[101:102]
	s_waitcnt lgkmcnt(0)
	v_mul_f64 v[77:78], v[107:108], v[103:104]
	v_mul_f64 v[101:102], v[105:106], v[103:104]
	v_fma_f64 v[77:78], v[105:106], v[125:126], -v[77:78]
	v_fma_f64 v[101:102], v[107:108], v[125:126], v[101:102]
	ds_read2_b64 v[105:108], v127 offset0:44 offset1:45
	v_add_f64 v[29:30], v[29:30], -v[77:78]
	v_add_f64 v[31:32], v[31:32], -v[101:102]
	s_waitcnt lgkmcnt(0)
	v_mul_f64 v[77:78], v[107:108], v[103:104]
	v_mul_f64 v[101:102], v[105:106], v[103:104]
	v_fma_f64 v[77:78], v[105:106], v[125:126], -v[77:78]
	v_fma_f64 v[101:102], v[107:108], v[125:126], v[101:102]
	ds_read2_b64 v[105:108], v127 offset0:46 offset1:47
	v_add_f64 v[25:26], v[25:26], -v[77:78]
	v_add_f64 v[27:28], v[27:28], -v[101:102]
	s_waitcnt lgkmcnt(0)
	v_mul_f64 v[77:78], v[107:108], v[103:104]
	v_mul_f64 v[101:102], v[105:106], v[103:104]
	v_fma_f64 v[77:78], v[105:106], v[125:126], -v[77:78]
	v_fma_f64 v[101:102], v[107:108], v[125:126], v[101:102]
	ds_read2_b64 v[105:108], v127 offset0:48 offset1:49
	v_add_f64 v[21:22], v[21:22], -v[77:78]
	v_add_f64 v[23:24], v[23:24], -v[101:102]
	s_waitcnt lgkmcnt(0)
	v_mul_f64 v[77:78], v[107:108], v[103:104]
	v_mul_f64 v[101:102], v[105:106], v[103:104]
	v_fma_f64 v[77:78], v[105:106], v[125:126], -v[77:78]
	v_fma_f64 v[101:102], v[107:108], v[125:126], v[101:102]
	ds_read2_b64 v[105:108], v127 offset0:50 offset1:51
	v_add_f64 v[17:18], v[17:18], -v[77:78]
	v_add_f64 v[19:20], v[19:20], -v[101:102]
	s_waitcnt lgkmcnt(0)
	v_mul_f64 v[77:78], v[107:108], v[103:104]
	v_mul_f64 v[101:102], v[105:106], v[103:104]
	v_fma_f64 v[77:78], v[105:106], v[125:126], -v[77:78]
	v_fma_f64 v[101:102], v[107:108], v[125:126], v[101:102]
	ds_read2_b64 v[105:108], v127 offset0:52 offset1:53
	v_add_f64 v[13:14], v[13:14], -v[77:78]
	v_add_f64 v[15:16], v[15:16], -v[101:102]
	s_waitcnt lgkmcnt(0)
	v_mul_f64 v[77:78], v[107:108], v[103:104]
	v_mul_f64 v[101:102], v[105:106], v[103:104]
	v_fma_f64 v[77:78], v[105:106], v[125:126], -v[77:78]
	v_fma_f64 v[101:102], v[107:108], v[125:126], v[101:102]
	ds_read2_b64 v[105:108], v127 offset0:54 offset1:55
	v_add_f64 v[9:10], v[9:10], -v[77:78]
	v_add_f64 v[11:12], v[11:12], -v[101:102]
	s_waitcnt lgkmcnt(0)
	v_mul_f64 v[77:78], v[107:108], v[103:104]
	v_mul_f64 v[101:102], v[105:106], v[103:104]
	v_fma_f64 v[77:78], v[105:106], v[125:126], -v[77:78]
	v_fma_f64 v[101:102], v[107:108], v[125:126], v[101:102]
	ds_read2_b64 v[105:108], v127 offset0:56 offset1:57
	v_add_f64 v[5:6], v[5:6], -v[77:78]
	v_add_f64 v[7:8], v[7:8], -v[101:102]
	s_waitcnt lgkmcnt(0)
	v_mul_f64 v[77:78], v[107:108], v[103:104]
	v_mul_f64 v[101:102], v[105:106], v[103:104]
	v_fma_f64 v[77:78], v[105:106], v[125:126], -v[77:78]
	v_fma_f64 v[101:102], v[107:108], v[125:126], v[101:102]
	ds_read2_b64 v[105:108], v127 offset0:58 offset1:59
	v_add_f64 v[1:2], v[1:2], -v[77:78]
	v_add_f64 v[3:4], v[3:4], -v[101:102]
	s_waitcnt lgkmcnt(0)
	v_mul_f64 v[77:78], v[107:108], v[103:104]
	v_mul_f64 v[101:102], v[105:106], v[103:104]
	v_fma_f64 v[77:78], v[105:106], v[125:126], -v[77:78]
	v_fma_f64 v[101:102], v[107:108], v[125:126], v[101:102]
	v_add_f64 v[117:118], v[117:118], -v[77:78]
	v_add_f64 v[119:120], v[119:120], -v[101:102]
	v_mov_b32_e32 v101, v125
	v_mov_b32_e32 v102, v126
	buffer_store_dword v101, off, s[24:27], 0 offset:16 ; 4-byte Folded Spill
	s_nop 0
	buffer_store_dword v102, off, s[24:27], 0 offset:20 ; 4-byte Folded Spill
	buffer_store_dword v103, off, s[24:27], 0 offset:24 ; 4-byte Folded Spill
	buffer_store_dword v104, off, s[24:27], 0 offset:28 ; 4-byte Folded Spill
.LBB58_104:
	s_or_b64 exec, exec, s[0:1]
	s_waitcnt vmcnt(0)
	s_barrier
	buffer_load_dword v97, off, s[24:27], 0 ; 4-byte Folded Reload
	buffer_load_dword v98, off, s[24:27], 0 offset:4 ; 4-byte Folded Reload
	buffer_load_dword v99, off, s[24:27], 0 offset:8 ; 4-byte Folded Reload
	;; [unrolled: 1-line block ×3, first 2 shown]
	v_lshl_add_u32 v77, v79, 4, v127
	s_cmp_lt_i32 s3, 7
	s_waitcnt vmcnt(0)
	ds_write2_b64 v77, v[97:98], v[99:100] offset1:1
	s_waitcnt lgkmcnt(0)
	s_barrier
	ds_read2_b64 v[121:124], v127 offset0:10 offset1:11
	v_mov_b32_e32 v77, 5
	s_cbranch_scc1 .LBB58_107
; %bb.105:
	v_add_u32_e32 v78, 0x60, v127
	s_mov_b32 s0, 6
	v_mov_b32_e32 v77, 5
.LBB58_106:                             ; =>This Inner Loop Header: Depth=1
	s_waitcnt lgkmcnt(0)
	v_cmp_gt_f64_e32 vcc, 0, v[121:122]
	v_xor_b32_e32 v109, 0x80000000, v122
	ds_read2_b64 v[105:108], v78 offset1:1
	v_xor_b32_e32 v113, 0x80000000, v124
	v_add_u32_e32 v78, 16, v78
	s_waitcnt lgkmcnt(0)
	v_xor_b32_e32 v115, 0x80000000, v108
	v_cndmask_b32_e32 v110, v122, v109, vcc
	v_cmp_gt_f64_e32 vcc, 0, v[123:124]
	v_mov_b32_e32 v109, v121
	v_cndmask_b32_e32 v114, v124, v113, vcc
	v_cmp_gt_f64_e32 vcc, 0, v[105:106]
	v_mov_b32_e32 v113, v123
	v_add_f64 v[109:110], v[109:110], v[113:114]
	v_xor_b32_e32 v113, 0x80000000, v106
	v_cndmask_b32_e32 v114, v106, v113, vcc
	v_cmp_gt_f64_e32 vcc, 0, v[107:108]
	v_mov_b32_e32 v113, v105
	v_cndmask_b32_e32 v116, v108, v115, vcc
	v_mov_b32_e32 v115, v107
	v_add_f64 v[113:114], v[113:114], v[115:116]
	v_cmp_lt_f64_e32 vcc, v[109:110], v[113:114]
	v_cndmask_b32_e32 v121, v121, v105, vcc
	v_mov_b32_e32 v105, s0
	s_add_i32 s0, s0, 1
	v_cndmask_b32_e32 v122, v122, v106, vcc
	v_cndmask_b32_e32 v124, v124, v108, vcc
	;; [unrolled: 1-line block ×4, first 2 shown]
	s_cmp_lg_u32 s3, s0
	s_cbranch_scc1 .LBB58_106
.LBB58_107:
	s_waitcnt lgkmcnt(0)
	v_cmp_eq_f64_e32 vcc, 0, v[121:122]
	v_cmp_eq_f64_e64 s[0:1], 0, v[123:124]
	s_and_b64 s[0:1], vcc, s[0:1]
	s_and_saveexec_b64 s[18:19], s[0:1]
	s_xor_b64 s[0:1], exec, s[18:19]
; %bb.108:
	v_cmp_ne_u32_e32 vcc, 0, v80
	v_cndmask_b32_e32 v80, 6, v80, vcc
; %bb.109:
	s_andn2_saveexec_b64 s[0:1], s[0:1]
	s_cbranch_execz .LBB58_115
; %bb.110:
	v_cmp_ngt_f64_e64 s[18:19], |v[121:122]|, |v[123:124]|
	s_and_saveexec_b64 s[20:21], s[18:19]
	s_xor_b64 s[18:19], exec, s[20:21]
	s_cbranch_execz .LBB58_112
; %bb.111:
	v_div_scale_f64 v[105:106], s[20:21], v[123:124], v[123:124], v[121:122]
	v_rcp_f64_e32 v[107:108], v[105:106]
	v_fma_f64 v[109:110], -v[105:106], v[107:108], 1.0
	v_fma_f64 v[107:108], v[107:108], v[109:110], v[107:108]
	v_div_scale_f64 v[109:110], vcc, v[121:122], v[123:124], v[121:122]
	v_fma_f64 v[113:114], -v[105:106], v[107:108], 1.0
	v_fma_f64 v[107:108], v[107:108], v[113:114], v[107:108]
	v_mul_f64 v[113:114], v[109:110], v[107:108]
	v_fma_f64 v[105:106], -v[105:106], v[113:114], v[109:110]
	v_div_fmas_f64 v[105:106], v[105:106], v[107:108], v[113:114]
	v_div_fixup_f64 v[105:106], v[105:106], v[123:124], v[121:122]
	v_fma_f64 v[107:108], v[121:122], v[105:106], v[123:124]
	v_div_scale_f64 v[109:110], s[20:21], v[107:108], v[107:108], 1.0
	v_div_scale_f64 v[121:122], vcc, 1.0, v[107:108], 1.0
	v_rcp_f64_e32 v[113:114], v[109:110]
	v_fma_f64 v[115:116], -v[109:110], v[113:114], 1.0
	v_fma_f64 v[113:114], v[113:114], v[115:116], v[113:114]
	v_fma_f64 v[115:116], -v[109:110], v[113:114], 1.0
	v_fma_f64 v[113:114], v[113:114], v[115:116], v[113:114]
	v_mul_f64 v[115:116], v[121:122], v[113:114]
	v_fma_f64 v[109:110], -v[109:110], v[115:116], v[121:122]
	v_div_fmas_f64 v[109:110], v[109:110], v[113:114], v[115:116]
	v_div_fixup_f64 v[123:124], v[109:110], v[107:108], 1.0
	v_mul_f64 v[121:122], v[105:106], v[123:124]
	v_xor_b32_e32 v124, 0x80000000, v124
.LBB58_112:
	s_andn2_saveexec_b64 s[18:19], s[18:19]
	s_cbranch_execz .LBB58_114
; %bb.113:
	v_div_scale_f64 v[105:106], s[20:21], v[121:122], v[121:122], v[123:124]
	v_rcp_f64_e32 v[107:108], v[105:106]
	v_fma_f64 v[109:110], -v[105:106], v[107:108], 1.0
	v_fma_f64 v[107:108], v[107:108], v[109:110], v[107:108]
	v_div_scale_f64 v[109:110], vcc, v[123:124], v[121:122], v[123:124]
	v_fma_f64 v[113:114], -v[105:106], v[107:108], 1.0
	v_fma_f64 v[107:108], v[107:108], v[113:114], v[107:108]
	v_mul_f64 v[113:114], v[109:110], v[107:108]
	v_fma_f64 v[105:106], -v[105:106], v[113:114], v[109:110]
	v_div_fmas_f64 v[105:106], v[105:106], v[107:108], v[113:114]
	v_div_fixup_f64 v[105:106], v[105:106], v[121:122], v[123:124]
	v_fma_f64 v[107:108], v[123:124], v[105:106], v[121:122]
	v_div_scale_f64 v[109:110], s[20:21], v[107:108], v[107:108], 1.0
	v_div_scale_f64 v[121:122], vcc, 1.0, v[107:108], 1.0
	v_rcp_f64_e32 v[113:114], v[109:110]
	v_fma_f64 v[115:116], -v[109:110], v[113:114], 1.0
	v_fma_f64 v[113:114], v[113:114], v[115:116], v[113:114]
	v_fma_f64 v[115:116], -v[109:110], v[113:114], 1.0
	v_fma_f64 v[113:114], v[113:114], v[115:116], v[113:114]
	v_mul_f64 v[115:116], v[121:122], v[113:114]
	v_fma_f64 v[109:110], -v[109:110], v[115:116], v[121:122]
	v_div_fmas_f64 v[109:110], v[109:110], v[113:114], v[115:116]
	v_div_fixup_f64 v[121:122], v[109:110], v[107:108], 1.0
	v_mul_f64 v[123:124], v[105:106], -v[121:122]
.LBB58_114:
	s_or_b64 exec, exec, s[18:19]
.LBB58_115:
	s_or_b64 exec, exec, s[0:1]
	v_cmp_ne_u32_e32 vcc, v79, v77
	s_and_saveexec_b64 s[0:1], vcc
	s_xor_b64 s[0:1], exec, s[0:1]
	s_cbranch_execz .LBB58_121
; %bb.116:
	v_cmp_eq_u32_e32 vcc, 5, v79
	s_and_saveexec_b64 s[18:19], vcc
	s_cbranch_execz .LBB58_120
; %bb.117:
	v_cmp_ne_u32_e32 vcc, 5, v77
	s_xor_b64 s[20:21], s[6:7], -1
	s_and_b64 s[22:23], s[20:21], vcc
	s_and_saveexec_b64 s[20:21], s[22:23]
	s_cbranch_execz .LBB58_119
; %bb.118:
	buffer_load_dword v106, off, s[24:27], 0 offset:80 ; 4-byte Folded Reload
	buffer_load_dword v107, off, s[24:27], 0 offset:84 ; 4-byte Folded Reload
	v_ashrrev_i32_e32 v78, 31, v77
	v_lshlrev_b64 v[78:79], 2, v[77:78]
	s_waitcnt vmcnt(1)
	v_add_co_u32_e32 v78, vcc, v106, v78
	s_waitcnt vmcnt(0)
	v_addc_co_u32_e32 v79, vcc, v107, v79, vcc
	global_load_dword v0, v[78:79], off
	global_load_dword v105, v[106:107], off offset:20
	s_waitcnt vmcnt(1)
	global_store_dword v[106:107], v0, off offset:20
	s_waitcnt vmcnt(1)
	global_store_dword v[78:79], v105, off
.LBB58_119:
	s_or_b64 exec, exec, s[20:21]
	v_mov_b32_e32 v79, v77
	v_mov_b32_e32 v0, v77
.LBB58_120:
	s_or_b64 exec, exec, s[18:19]
.LBB58_121:
	s_andn2_saveexec_b64 s[0:1], s[0:1]
	s_cbranch_execz .LBB58_123
; %bb.122:
	v_mov_b32_e32 v79, 5
	ds_write2_b64 v127, v[93:94], v[95:96] offset0:12 offset1:13
	ds_write2_b64 v127, v[89:90], v[91:92] offset0:14 offset1:15
	;; [unrolled: 1-line block ×24, first 2 shown]
.LBB58_123:
	s_or_b64 exec, exec, s[0:1]
	v_cmp_lt_i32_e32 vcc, 5, v79
	s_waitcnt vmcnt(0) lgkmcnt(0)
	s_barrier
	s_and_saveexec_b64 s[0:1], vcc
	s_cbranch_execz .LBB58_125
; %bb.124:
	buffer_load_dword v97, off, s[24:27], 0 ; 4-byte Folded Reload
	buffer_load_dword v98, off, s[24:27], 0 offset:4 ; 4-byte Folded Reload
	buffer_load_dword v99, off, s[24:27], 0 offset:8 ; 4-byte Folded Reload
	;; [unrolled: 1-line block ×3, first 2 shown]
	ds_read2_b64 v[105:108], v127 offset0:12 offset1:13
	s_waitcnt vmcnt(0)
	v_mul_f64 v[77:78], v[123:124], v[99:100]
	v_fma_f64 v[125:126], v[121:122], v[97:98], -v[77:78]
	v_mul_f64 v[77:78], v[121:122], v[99:100]
	v_fma_f64 v[99:100], v[123:124], v[97:98], v[77:78]
	s_waitcnt lgkmcnt(0)
	v_mul_f64 v[77:78], v[107:108], v[99:100]
	v_mul_f64 v[97:98], v[105:106], v[99:100]
	v_fma_f64 v[77:78], v[105:106], v[125:126], -v[77:78]
	v_fma_f64 v[97:98], v[107:108], v[125:126], v[97:98]
	ds_read2_b64 v[105:108], v127 offset0:14 offset1:15
	v_add_f64 v[93:94], v[93:94], -v[77:78]
	v_add_f64 v[95:96], v[95:96], -v[97:98]
	s_waitcnt lgkmcnt(0)
	v_mul_f64 v[77:78], v[107:108], v[99:100]
	v_mul_f64 v[97:98], v[105:106], v[99:100]
	v_fma_f64 v[77:78], v[105:106], v[125:126], -v[77:78]
	v_fma_f64 v[97:98], v[107:108], v[125:126], v[97:98]
	ds_read2_b64 v[105:108], v127 offset0:16 offset1:17
	v_add_f64 v[89:90], v[89:90], -v[77:78]
	v_add_f64 v[91:92], v[91:92], -v[97:98]
	;; [unrolled: 8-line block ×23, first 2 shown]
	s_waitcnt lgkmcnt(0)
	v_mul_f64 v[77:78], v[107:108], v[99:100]
	v_mul_f64 v[97:98], v[105:106], v[99:100]
	v_fma_f64 v[77:78], v[105:106], v[125:126], -v[77:78]
	v_fma_f64 v[97:98], v[107:108], v[125:126], v[97:98]
	v_add_f64 v[117:118], v[117:118], -v[77:78]
	v_add_f64 v[119:120], v[119:120], -v[97:98]
	v_mov_b32_e32 v97, v125
	v_mov_b32_e32 v98, v126
	buffer_store_dword v97, off, s[24:27], 0 ; 4-byte Folded Spill
	s_nop 0
	buffer_store_dword v98, off, s[24:27], 0 offset:4 ; 4-byte Folded Spill
	buffer_store_dword v99, off, s[24:27], 0 offset:8 ; 4-byte Folded Spill
	;; [unrolled: 1-line block ×3, first 2 shown]
.LBB58_125:
	s_or_b64 exec, exec, s[0:1]
	v_lshl_add_u32 v77, v79, 4, v127
	s_waitcnt vmcnt(0)
	s_barrier
	ds_write2_b64 v77, v[93:94], v[95:96] offset1:1
	s_waitcnt lgkmcnt(0)
	s_barrier
	ds_read2_b64 v[121:124], v127 offset0:12 offset1:13
	s_cmp_lt_i32 s3, 8
	v_mov_b32_e32 v77, 6
	s_cbranch_scc1 .LBB58_128
; %bb.126:
	v_add_u32_e32 v78, 0x70, v127
	s_mov_b32 s0, 7
	v_mov_b32_e32 v77, 6
.LBB58_127:                             ; =>This Inner Loop Header: Depth=1
	s_waitcnt lgkmcnt(0)
	v_cmp_gt_f64_e32 vcc, 0, v[121:122]
	v_xor_b32_e32 v109, 0x80000000, v122
	ds_read2_b64 v[105:108], v78 offset1:1
	v_xor_b32_e32 v113, 0x80000000, v124
	v_add_u32_e32 v78, 16, v78
	s_waitcnt lgkmcnt(0)
	v_xor_b32_e32 v115, 0x80000000, v108
	v_cndmask_b32_e32 v110, v122, v109, vcc
	v_cmp_gt_f64_e32 vcc, 0, v[123:124]
	v_mov_b32_e32 v109, v121
	v_cndmask_b32_e32 v114, v124, v113, vcc
	v_cmp_gt_f64_e32 vcc, 0, v[105:106]
	v_mov_b32_e32 v113, v123
	v_add_f64 v[109:110], v[109:110], v[113:114]
	v_xor_b32_e32 v113, 0x80000000, v106
	v_cndmask_b32_e32 v114, v106, v113, vcc
	v_cmp_gt_f64_e32 vcc, 0, v[107:108]
	v_mov_b32_e32 v113, v105
	v_cndmask_b32_e32 v116, v108, v115, vcc
	v_mov_b32_e32 v115, v107
	v_add_f64 v[113:114], v[113:114], v[115:116]
	v_cmp_lt_f64_e32 vcc, v[109:110], v[113:114]
	v_cndmask_b32_e32 v121, v121, v105, vcc
	v_mov_b32_e32 v105, s0
	s_add_i32 s0, s0, 1
	v_cndmask_b32_e32 v122, v122, v106, vcc
	v_cndmask_b32_e32 v124, v124, v108, vcc
	;; [unrolled: 1-line block ×4, first 2 shown]
	s_cmp_lg_u32 s3, s0
	s_cbranch_scc1 .LBB58_127
.LBB58_128:
	s_waitcnt lgkmcnt(0)
	v_cmp_eq_f64_e32 vcc, 0, v[121:122]
	v_cmp_eq_f64_e64 s[0:1], 0, v[123:124]
	s_and_b64 s[0:1], vcc, s[0:1]
	s_and_saveexec_b64 s[18:19], s[0:1]
	s_xor_b64 s[0:1], exec, s[18:19]
; %bb.129:
	v_cmp_ne_u32_e32 vcc, 0, v80
	v_cndmask_b32_e32 v80, 7, v80, vcc
; %bb.130:
	s_andn2_saveexec_b64 s[0:1], s[0:1]
	s_cbranch_execz .LBB58_136
; %bb.131:
	v_cmp_ngt_f64_e64 s[18:19], |v[121:122]|, |v[123:124]|
	s_and_saveexec_b64 s[20:21], s[18:19]
	s_xor_b64 s[18:19], exec, s[20:21]
	s_cbranch_execz .LBB58_133
; %bb.132:
	v_div_scale_f64 v[105:106], s[20:21], v[123:124], v[123:124], v[121:122]
	v_rcp_f64_e32 v[107:108], v[105:106]
	v_fma_f64 v[109:110], -v[105:106], v[107:108], 1.0
	v_fma_f64 v[107:108], v[107:108], v[109:110], v[107:108]
	v_div_scale_f64 v[109:110], vcc, v[121:122], v[123:124], v[121:122]
	v_fma_f64 v[113:114], -v[105:106], v[107:108], 1.0
	v_fma_f64 v[107:108], v[107:108], v[113:114], v[107:108]
	v_mul_f64 v[113:114], v[109:110], v[107:108]
	v_fma_f64 v[105:106], -v[105:106], v[113:114], v[109:110]
	v_div_fmas_f64 v[105:106], v[105:106], v[107:108], v[113:114]
	v_div_fixup_f64 v[105:106], v[105:106], v[123:124], v[121:122]
	v_fma_f64 v[107:108], v[121:122], v[105:106], v[123:124]
	v_div_scale_f64 v[109:110], s[20:21], v[107:108], v[107:108], 1.0
	v_div_scale_f64 v[121:122], vcc, 1.0, v[107:108], 1.0
	v_rcp_f64_e32 v[113:114], v[109:110]
	v_fma_f64 v[115:116], -v[109:110], v[113:114], 1.0
	v_fma_f64 v[113:114], v[113:114], v[115:116], v[113:114]
	v_fma_f64 v[115:116], -v[109:110], v[113:114], 1.0
	v_fma_f64 v[113:114], v[113:114], v[115:116], v[113:114]
	v_mul_f64 v[115:116], v[121:122], v[113:114]
	v_fma_f64 v[109:110], -v[109:110], v[115:116], v[121:122]
	v_div_fmas_f64 v[109:110], v[109:110], v[113:114], v[115:116]
	v_div_fixup_f64 v[123:124], v[109:110], v[107:108], 1.0
	v_mul_f64 v[121:122], v[105:106], v[123:124]
	v_xor_b32_e32 v124, 0x80000000, v124
.LBB58_133:
	s_andn2_saveexec_b64 s[18:19], s[18:19]
	s_cbranch_execz .LBB58_135
; %bb.134:
	v_div_scale_f64 v[105:106], s[20:21], v[121:122], v[121:122], v[123:124]
	v_rcp_f64_e32 v[107:108], v[105:106]
	v_fma_f64 v[109:110], -v[105:106], v[107:108], 1.0
	v_fma_f64 v[107:108], v[107:108], v[109:110], v[107:108]
	v_div_scale_f64 v[109:110], vcc, v[123:124], v[121:122], v[123:124]
	v_fma_f64 v[113:114], -v[105:106], v[107:108], 1.0
	v_fma_f64 v[107:108], v[107:108], v[113:114], v[107:108]
	v_mul_f64 v[113:114], v[109:110], v[107:108]
	v_fma_f64 v[105:106], -v[105:106], v[113:114], v[109:110]
	v_div_fmas_f64 v[105:106], v[105:106], v[107:108], v[113:114]
	v_div_fixup_f64 v[105:106], v[105:106], v[121:122], v[123:124]
	v_fma_f64 v[107:108], v[123:124], v[105:106], v[121:122]
	v_div_scale_f64 v[109:110], s[20:21], v[107:108], v[107:108], 1.0
	v_div_scale_f64 v[121:122], vcc, 1.0, v[107:108], 1.0
	v_rcp_f64_e32 v[113:114], v[109:110]
	v_fma_f64 v[115:116], -v[109:110], v[113:114], 1.0
	v_fma_f64 v[113:114], v[113:114], v[115:116], v[113:114]
	v_fma_f64 v[115:116], -v[109:110], v[113:114], 1.0
	v_fma_f64 v[113:114], v[113:114], v[115:116], v[113:114]
	v_mul_f64 v[115:116], v[121:122], v[113:114]
	v_fma_f64 v[109:110], -v[109:110], v[115:116], v[121:122]
	v_div_fmas_f64 v[109:110], v[109:110], v[113:114], v[115:116]
	v_div_fixup_f64 v[121:122], v[109:110], v[107:108], 1.0
	v_mul_f64 v[123:124], v[105:106], -v[121:122]
.LBB58_135:
	s_or_b64 exec, exec, s[18:19]
.LBB58_136:
	s_or_b64 exec, exec, s[0:1]
	v_cmp_ne_u32_e32 vcc, v79, v77
	s_and_saveexec_b64 s[0:1], vcc
	s_xor_b64 s[0:1], exec, s[0:1]
	s_cbranch_execz .LBB58_142
; %bb.137:
	v_cmp_eq_u32_e32 vcc, 6, v79
	s_and_saveexec_b64 s[18:19], vcc
	s_cbranch_execz .LBB58_141
; %bb.138:
	v_cmp_ne_u32_e32 vcc, 6, v77
	s_xor_b64 s[20:21], s[6:7], -1
	s_and_b64 s[22:23], s[20:21], vcc
	s_and_saveexec_b64 s[20:21], s[22:23]
	s_cbranch_execz .LBB58_140
; %bb.139:
	buffer_load_dword v106, off, s[24:27], 0 offset:80 ; 4-byte Folded Reload
	buffer_load_dword v107, off, s[24:27], 0 offset:84 ; 4-byte Folded Reload
	v_ashrrev_i32_e32 v78, 31, v77
	v_lshlrev_b64 v[78:79], 2, v[77:78]
	s_waitcnt vmcnt(1)
	v_add_co_u32_e32 v78, vcc, v106, v78
	s_waitcnt vmcnt(0)
	v_addc_co_u32_e32 v79, vcc, v107, v79, vcc
	global_load_dword v0, v[78:79], off
	global_load_dword v105, v[106:107], off offset:24
	s_waitcnt vmcnt(1)
	global_store_dword v[106:107], v0, off offset:24
	s_waitcnt vmcnt(1)
	global_store_dword v[78:79], v105, off
.LBB58_140:
	s_or_b64 exec, exec, s[20:21]
	v_mov_b32_e32 v79, v77
	v_mov_b32_e32 v0, v77
.LBB58_141:
	s_or_b64 exec, exec, s[18:19]
.LBB58_142:
	s_andn2_saveexec_b64 s[0:1], s[0:1]
	s_cbranch_execz .LBB58_144
; %bb.143:
	v_mov_b32_e32 v79, 6
	ds_write2_b64 v127, v[89:90], v[91:92] offset0:14 offset1:15
	ds_write2_b64 v127, v[85:86], v[87:88] offset0:16 offset1:17
	;; [unrolled: 1-line block ×23, first 2 shown]
.LBB58_144:
	s_or_b64 exec, exec, s[0:1]
	v_cmp_lt_i32_e32 vcc, 6, v79
	s_waitcnt vmcnt(0) lgkmcnt(0)
	s_barrier
	s_and_saveexec_b64 s[0:1], vcc
	s_cbranch_execz .LBB58_146
; %bb.145:
	v_mul_f64 v[77:78], v[123:124], v[95:96]
	ds_read2_b64 v[105:108], v127 offset0:14 offset1:15
	v_fma_f64 v[125:126], v[121:122], v[93:94], -v[77:78]
	v_mul_f64 v[77:78], v[121:122], v[95:96]
	v_fma_f64 v[95:96], v[123:124], v[93:94], v[77:78]
	s_waitcnt lgkmcnt(0)
	v_mul_f64 v[77:78], v[107:108], v[95:96]
	v_mul_f64 v[93:94], v[105:106], v[95:96]
	v_fma_f64 v[77:78], v[105:106], v[125:126], -v[77:78]
	v_fma_f64 v[93:94], v[107:108], v[125:126], v[93:94]
	ds_read2_b64 v[105:108], v127 offset0:16 offset1:17
	v_add_f64 v[89:90], v[89:90], -v[77:78]
	v_add_f64 v[91:92], v[91:92], -v[93:94]
	s_waitcnt lgkmcnt(0)
	v_mul_f64 v[77:78], v[107:108], v[95:96]
	v_mul_f64 v[93:94], v[105:106], v[95:96]
	v_fma_f64 v[77:78], v[105:106], v[125:126], -v[77:78]
	v_fma_f64 v[93:94], v[107:108], v[125:126], v[93:94]
	ds_read2_b64 v[105:108], v127 offset0:18 offset1:19
	v_add_f64 v[85:86], v[85:86], -v[77:78]
	v_add_f64 v[87:88], v[87:88], -v[93:94]
	;; [unrolled: 8-line block ×22, first 2 shown]
	s_waitcnt lgkmcnt(0)
	v_mul_f64 v[77:78], v[107:108], v[95:96]
	v_mul_f64 v[93:94], v[105:106], v[95:96]
	v_fma_f64 v[77:78], v[105:106], v[125:126], -v[77:78]
	v_fma_f64 v[93:94], v[107:108], v[125:126], v[93:94]
	v_add_f64 v[117:118], v[117:118], -v[77:78]
	v_add_f64 v[119:120], v[119:120], -v[93:94]
	v_mov_b32_e32 v93, v125
	v_mov_b32_e32 v94, v126
.LBB58_146:
	s_or_b64 exec, exec, s[0:1]
	v_lshl_add_u32 v77, v79, 4, v127
	s_barrier
	ds_write2_b64 v77, v[89:90], v[91:92] offset1:1
	s_waitcnt lgkmcnt(0)
	s_barrier
	ds_read2_b64 v[121:124], v127 offset0:14 offset1:15
	s_cmp_lt_i32 s3, 9
	v_mov_b32_e32 v77, 7
	s_cbranch_scc1 .LBB58_149
; %bb.147:
	v_add_u32_e32 v78, 0x80, v127
	s_mov_b32 s0, 8
	v_mov_b32_e32 v77, 7
.LBB58_148:                             ; =>This Inner Loop Header: Depth=1
	s_waitcnt lgkmcnt(0)
	v_cmp_gt_f64_e32 vcc, 0, v[121:122]
	v_xor_b32_e32 v109, 0x80000000, v122
	ds_read2_b64 v[105:108], v78 offset1:1
	v_xor_b32_e32 v113, 0x80000000, v124
	v_add_u32_e32 v78, 16, v78
	s_waitcnt lgkmcnt(0)
	v_xor_b32_e32 v115, 0x80000000, v108
	v_cndmask_b32_e32 v110, v122, v109, vcc
	v_cmp_gt_f64_e32 vcc, 0, v[123:124]
	v_mov_b32_e32 v109, v121
	v_cndmask_b32_e32 v114, v124, v113, vcc
	v_cmp_gt_f64_e32 vcc, 0, v[105:106]
	v_mov_b32_e32 v113, v123
	v_add_f64 v[109:110], v[109:110], v[113:114]
	v_xor_b32_e32 v113, 0x80000000, v106
	v_cndmask_b32_e32 v114, v106, v113, vcc
	v_cmp_gt_f64_e32 vcc, 0, v[107:108]
	v_mov_b32_e32 v113, v105
	v_cndmask_b32_e32 v116, v108, v115, vcc
	v_mov_b32_e32 v115, v107
	v_add_f64 v[113:114], v[113:114], v[115:116]
	v_cmp_lt_f64_e32 vcc, v[109:110], v[113:114]
	v_cndmask_b32_e32 v121, v121, v105, vcc
	v_mov_b32_e32 v105, s0
	s_add_i32 s0, s0, 1
	v_cndmask_b32_e32 v122, v122, v106, vcc
	v_cndmask_b32_e32 v124, v124, v108, vcc
	;; [unrolled: 1-line block ×4, first 2 shown]
	s_cmp_lg_u32 s3, s0
	s_cbranch_scc1 .LBB58_148
.LBB58_149:
	s_waitcnt lgkmcnt(0)
	v_cmp_eq_f64_e32 vcc, 0, v[121:122]
	v_cmp_eq_f64_e64 s[0:1], 0, v[123:124]
	s_and_b64 s[0:1], vcc, s[0:1]
	s_and_saveexec_b64 s[18:19], s[0:1]
	s_xor_b64 s[0:1], exec, s[18:19]
; %bb.150:
	v_cmp_ne_u32_e32 vcc, 0, v80
	v_cndmask_b32_e32 v80, 8, v80, vcc
; %bb.151:
	s_andn2_saveexec_b64 s[0:1], s[0:1]
	s_cbranch_execz .LBB58_157
; %bb.152:
	v_cmp_ngt_f64_e64 s[18:19], |v[121:122]|, |v[123:124]|
	s_and_saveexec_b64 s[20:21], s[18:19]
	s_xor_b64 s[18:19], exec, s[20:21]
	s_cbranch_execz .LBB58_154
; %bb.153:
	v_div_scale_f64 v[105:106], s[20:21], v[123:124], v[123:124], v[121:122]
	v_rcp_f64_e32 v[107:108], v[105:106]
	v_fma_f64 v[109:110], -v[105:106], v[107:108], 1.0
	v_fma_f64 v[107:108], v[107:108], v[109:110], v[107:108]
	v_div_scale_f64 v[109:110], vcc, v[121:122], v[123:124], v[121:122]
	v_fma_f64 v[113:114], -v[105:106], v[107:108], 1.0
	v_fma_f64 v[107:108], v[107:108], v[113:114], v[107:108]
	v_mul_f64 v[113:114], v[109:110], v[107:108]
	v_fma_f64 v[105:106], -v[105:106], v[113:114], v[109:110]
	v_div_fmas_f64 v[105:106], v[105:106], v[107:108], v[113:114]
	v_div_fixup_f64 v[105:106], v[105:106], v[123:124], v[121:122]
	v_fma_f64 v[107:108], v[121:122], v[105:106], v[123:124]
	v_div_scale_f64 v[109:110], s[20:21], v[107:108], v[107:108], 1.0
	v_div_scale_f64 v[121:122], vcc, 1.0, v[107:108], 1.0
	v_rcp_f64_e32 v[113:114], v[109:110]
	v_fma_f64 v[115:116], -v[109:110], v[113:114], 1.0
	v_fma_f64 v[113:114], v[113:114], v[115:116], v[113:114]
	v_fma_f64 v[115:116], -v[109:110], v[113:114], 1.0
	v_fma_f64 v[113:114], v[113:114], v[115:116], v[113:114]
	v_mul_f64 v[115:116], v[121:122], v[113:114]
	v_fma_f64 v[109:110], -v[109:110], v[115:116], v[121:122]
	v_div_fmas_f64 v[109:110], v[109:110], v[113:114], v[115:116]
	v_div_fixup_f64 v[123:124], v[109:110], v[107:108], 1.0
	v_mul_f64 v[121:122], v[105:106], v[123:124]
	v_xor_b32_e32 v124, 0x80000000, v124
.LBB58_154:
	s_andn2_saveexec_b64 s[18:19], s[18:19]
	s_cbranch_execz .LBB58_156
; %bb.155:
	v_div_scale_f64 v[105:106], s[20:21], v[121:122], v[121:122], v[123:124]
	v_rcp_f64_e32 v[107:108], v[105:106]
	v_fma_f64 v[109:110], -v[105:106], v[107:108], 1.0
	v_fma_f64 v[107:108], v[107:108], v[109:110], v[107:108]
	v_div_scale_f64 v[109:110], vcc, v[123:124], v[121:122], v[123:124]
	v_fma_f64 v[113:114], -v[105:106], v[107:108], 1.0
	v_fma_f64 v[107:108], v[107:108], v[113:114], v[107:108]
	v_mul_f64 v[113:114], v[109:110], v[107:108]
	v_fma_f64 v[105:106], -v[105:106], v[113:114], v[109:110]
	v_div_fmas_f64 v[105:106], v[105:106], v[107:108], v[113:114]
	v_div_fixup_f64 v[105:106], v[105:106], v[121:122], v[123:124]
	v_fma_f64 v[107:108], v[123:124], v[105:106], v[121:122]
	v_div_scale_f64 v[109:110], s[20:21], v[107:108], v[107:108], 1.0
	v_div_scale_f64 v[121:122], vcc, 1.0, v[107:108], 1.0
	v_rcp_f64_e32 v[113:114], v[109:110]
	v_fma_f64 v[115:116], -v[109:110], v[113:114], 1.0
	v_fma_f64 v[113:114], v[113:114], v[115:116], v[113:114]
	v_fma_f64 v[115:116], -v[109:110], v[113:114], 1.0
	v_fma_f64 v[113:114], v[113:114], v[115:116], v[113:114]
	v_mul_f64 v[115:116], v[121:122], v[113:114]
	v_fma_f64 v[109:110], -v[109:110], v[115:116], v[121:122]
	v_div_fmas_f64 v[109:110], v[109:110], v[113:114], v[115:116]
	v_div_fixup_f64 v[121:122], v[109:110], v[107:108], 1.0
	v_mul_f64 v[123:124], v[105:106], -v[121:122]
.LBB58_156:
	s_or_b64 exec, exec, s[18:19]
.LBB58_157:
	s_or_b64 exec, exec, s[0:1]
	v_cmp_ne_u32_e32 vcc, v79, v77
	s_and_saveexec_b64 s[0:1], vcc
	s_xor_b64 s[0:1], exec, s[0:1]
	s_cbranch_execz .LBB58_163
; %bb.158:
	v_cmp_eq_u32_e32 vcc, 7, v79
	s_and_saveexec_b64 s[18:19], vcc
	s_cbranch_execz .LBB58_162
; %bb.159:
	v_cmp_ne_u32_e32 vcc, 7, v77
	s_xor_b64 s[20:21], s[6:7], -1
	s_and_b64 s[22:23], s[20:21], vcc
	s_and_saveexec_b64 s[20:21], s[22:23]
	s_cbranch_execz .LBB58_161
; %bb.160:
	buffer_load_dword v106, off, s[24:27], 0 offset:80 ; 4-byte Folded Reload
	buffer_load_dword v107, off, s[24:27], 0 offset:84 ; 4-byte Folded Reload
	v_ashrrev_i32_e32 v78, 31, v77
	v_lshlrev_b64 v[78:79], 2, v[77:78]
	s_waitcnt vmcnt(1)
	v_add_co_u32_e32 v78, vcc, v106, v78
	s_waitcnt vmcnt(0)
	v_addc_co_u32_e32 v79, vcc, v107, v79, vcc
	global_load_dword v0, v[78:79], off
	global_load_dword v105, v[106:107], off offset:28
	s_waitcnt vmcnt(1)
	global_store_dword v[106:107], v0, off offset:28
	s_waitcnt vmcnt(1)
	global_store_dword v[78:79], v105, off
.LBB58_161:
	s_or_b64 exec, exec, s[20:21]
	v_mov_b32_e32 v79, v77
	v_mov_b32_e32 v0, v77
.LBB58_162:
	s_or_b64 exec, exec, s[18:19]
.LBB58_163:
	s_andn2_saveexec_b64 s[0:1], s[0:1]
	s_cbranch_execz .LBB58_165
; %bb.164:
	v_mov_b32_e32 v79, 7
	ds_write2_b64 v127, v[85:86], v[87:88] offset0:16 offset1:17
	ds_write2_b64 v127, v[81:82], v[83:84] offset0:18 offset1:19
	;; [unrolled: 1-line block ×22, first 2 shown]
.LBB58_165:
	s_or_b64 exec, exec, s[0:1]
	v_cmp_lt_i32_e32 vcc, 7, v79
	s_waitcnt vmcnt(0) lgkmcnt(0)
	s_barrier
	s_and_saveexec_b64 s[0:1], vcc
	s_cbranch_execz .LBB58_167
; %bb.166:
	v_mul_f64 v[77:78], v[123:124], v[91:92]
	ds_read2_b64 v[105:108], v127 offset0:16 offset1:17
	v_fma_f64 v[125:126], v[121:122], v[89:90], -v[77:78]
	v_mul_f64 v[77:78], v[121:122], v[91:92]
	v_fma_f64 v[91:92], v[123:124], v[89:90], v[77:78]
	s_waitcnt lgkmcnt(0)
	v_mul_f64 v[77:78], v[107:108], v[91:92]
	v_mul_f64 v[89:90], v[105:106], v[91:92]
	v_fma_f64 v[77:78], v[105:106], v[125:126], -v[77:78]
	v_fma_f64 v[89:90], v[107:108], v[125:126], v[89:90]
	ds_read2_b64 v[105:108], v127 offset0:18 offset1:19
	v_add_f64 v[85:86], v[85:86], -v[77:78]
	v_add_f64 v[87:88], v[87:88], -v[89:90]
	s_waitcnt lgkmcnt(0)
	v_mul_f64 v[77:78], v[107:108], v[91:92]
	v_mul_f64 v[89:90], v[105:106], v[91:92]
	v_fma_f64 v[77:78], v[105:106], v[125:126], -v[77:78]
	v_fma_f64 v[89:90], v[107:108], v[125:126], v[89:90]
	ds_read2_b64 v[105:108], v127 offset0:20 offset1:21
	v_add_f64 v[81:82], v[81:82], -v[77:78]
	v_add_f64 v[83:84], v[83:84], -v[89:90]
	;; [unrolled: 8-line block ×21, first 2 shown]
	s_waitcnt lgkmcnt(0)
	v_mul_f64 v[77:78], v[107:108], v[91:92]
	v_mul_f64 v[89:90], v[105:106], v[91:92]
	v_fma_f64 v[77:78], v[105:106], v[125:126], -v[77:78]
	v_fma_f64 v[89:90], v[107:108], v[125:126], v[89:90]
	v_add_f64 v[117:118], v[117:118], -v[77:78]
	v_add_f64 v[119:120], v[119:120], -v[89:90]
	v_mov_b32_e32 v89, v125
	v_mov_b32_e32 v90, v126
.LBB58_167:
	s_or_b64 exec, exec, s[0:1]
	v_lshl_add_u32 v77, v79, 4, v127
	s_barrier
	ds_write2_b64 v77, v[85:86], v[87:88] offset1:1
	s_waitcnt lgkmcnt(0)
	s_barrier
	ds_read2_b64 v[121:124], v127 offset0:16 offset1:17
	s_cmp_lt_i32 s3, 10
	v_mov_b32_e32 v77, 8
	s_cbranch_scc1 .LBB58_170
; %bb.168:
	v_add_u32_e32 v78, 0x90, v127
	s_mov_b32 s0, 9
	v_mov_b32_e32 v77, 8
.LBB58_169:                             ; =>This Inner Loop Header: Depth=1
	s_waitcnt lgkmcnt(0)
	v_cmp_gt_f64_e32 vcc, 0, v[121:122]
	v_xor_b32_e32 v109, 0x80000000, v122
	ds_read2_b64 v[105:108], v78 offset1:1
	v_xor_b32_e32 v113, 0x80000000, v124
	v_add_u32_e32 v78, 16, v78
	s_waitcnt lgkmcnt(0)
	v_xor_b32_e32 v115, 0x80000000, v108
	v_cndmask_b32_e32 v110, v122, v109, vcc
	v_cmp_gt_f64_e32 vcc, 0, v[123:124]
	v_mov_b32_e32 v109, v121
	v_cndmask_b32_e32 v114, v124, v113, vcc
	v_cmp_gt_f64_e32 vcc, 0, v[105:106]
	v_mov_b32_e32 v113, v123
	v_add_f64 v[109:110], v[109:110], v[113:114]
	v_xor_b32_e32 v113, 0x80000000, v106
	v_cndmask_b32_e32 v114, v106, v113, vcc
	v_cmp_gt_f64_e32 vcc, 0, v[107:108]
	v_mov_b32_e32 v113, v105
	v_cndmask_b32_e32 v116, v108, v115, vcc
	v_mov_b32_e32 v115, v107
	v_add_f64 v[113:114], v[113:114], v[115:116]
	v_cmp_lt_f64_e32 vcc, v[109:110], v[113:114]
	v_cndmask_b32_e32 v121, v121, v105, vcc
	v_mov_b32_e32 v105, s0
	s_add_i32 s0, s0, 1
	v_cndmask_b32_e32 v122, v122, v106, vcc
	v_cndmask_b32_e32 v124, v124, v108, vcc
	;; [unrolled: 1-line block ×4, first 2 shown]
	s_cmp_lg_u32 s3, s0
	s_cbranch_scc1 .LBB58_169
.LBB58_170:
	s_waitcnt lgkmcnt(0)
	v_cmp_eq_f64_e32 vcc, 0, v[121:122]
	v_cmp_eq_f64_e64 s[0:1], 0, v[123:124]
	s_and_b64 s[0:1], vcc, s[0:1]
	s_and_saveexec_b64 s[18:19], s[0:1]
	s_xor_b64 s[0:1], exec, s[18:19]
; %bb.171:
	v_cmp_ne_u32_e32 vcc, 0, v80
	v_cndmask_b32_e32 v80, 9, v80, vcc
; %bb.172:
	s_andn2_saveexec_b64 s[0:1], s[0:1]
	s_cbranch_execz .LBB58_178
; %bb.173:
	v_cmp_ngt_f64_e64 s[18:19], |v[121:122]|, |v[123:124]|
	s_and_saveexec_b64 s[20:21], s[18:19]
	s_xor_b64 s[18:19], exec, s[20:21]
	s_cbranch_execz .LBB58_175
; %bb.174:
	v_div_scale_f64 v[105:106], s[20:21], v[123:124], v[123:124], v[121:122]
	v_rcp_f64_e32 v[107:108], v[105:106]
	v_fma_f64 v[109:110], -v[105:106], v[107:108], 1.0
	v_fma_f64 v[107:108], v[107:108], v[109:110], v[107:108]
	v_div_scale_f64 v[109:110], vcc, v[121:122], v[123:124], v[121:122]
	v_fma_f64 v[113:114], -v[105:106], v[107:108], 1.0
	v_fma_f64 v[107:108], v[107:108], v[113:114], v[107:108]
	v_mul_f64 v[113:114], v[109:110], v[107:108]
	v_fma_f64 v[105:106], -v[105:106], v[113:114], v[109:110]
	v_div_fmas_f64 v[105:106], v[105:106], v[107:108], v[113:114]
	v_div_fixup_f64 v[105:106], v[105:106], v[123:124], v[121:122]
	v_fma_f64 v[107:108], v[121:122], v[105:106], v[123:124]
	v_div_scale_f64 v[109:110], s[20:21], v[107:108], v[107:108], 1.0
	v_div_scale_f64 v[121:122], vcc, 1.0, v[107:108], 1.0
	v_rcp_f64_e32 v[113:114], v[109:110]
	v_fma_f64 v[115:116], -v[109:110], v[113:114], 1.0
	v_fma_f64 v[113:114], v[113:114], v[115:116], v[113:114]
	v_fma_f64 v[115:116], -v[109:110], v[113:114], 1.0
	v_fma_f64 v[113:114], v[113:114], v[115:116], v[113:114]
	v_mul_f64 v[115:116], v[121:122], v[113:114]
	v_fma_f64 v[109:110], -v[109:110], v[115:116], v[121:122]
	v_div_fmas_f64 v[109:110], v[109:110], v[113:114], v[115:116]
	v_div_fixup_f64 v[123:124], v[109:110], v[107:108], 1.0
	v_mul_f64 v[121:122], v[105:106], v[123:124]
	v_xor_b32_e32 v124, 0x80000000, v124
.LBB58_175:
	s_andn2_saveexec_b64 s[18:19], s[18:19]
	s_cbranch_execz .LBB58_177
; %bb.176:
	v_div_scale_f64 v[105:106], s[20:21], v[121:122], v[121:122], v[123:124]
	v_rcp_f64_e32 v[107:108], v[105:106]
	v_fma_f64 v[109:110], -v[105:106], v[107:108], 1.0
	v_fma_f64 v[107:108], v[107:108], v[109:110], v[107:108]
	v_div_scale_f64 v[109:110], vcc, v[123:124], v[121:122], v[123:124]
	v_fma_f64 v[113:114], -v[105:106], v[107:108], 1.0
	v_fma_f64 v[107:108], v[107:108], v[113:114], v[107:108]
	v_mul_f64 v[113:114], v[109:110], v[107:108]
	v_fma_f64 v[105:106], -v[105:106], v[113:114], v[109:110]
	v_div_fmas_f64 v[105:106], v[105:106], v[107:108], v[113:114]
	v_div_fixup_f64 v[105:106], v[105:106], v[121:122], v[123:124]
	v_fma_f64 v[107:108], v[123:124], v[105:106], v[121:122]
	v_div_scale_f64 v[109:110], s[20:21], v[107:108], v[107:108], 1.0
	v_div_scale_f64 v[121:122], vcc, 1.0, v[107:108], 1.0
	v_rcp_f64_e32 v[113:114], v[109:110]
	v_fma_f64 v[115:116], -v[109:110], v[113:114], 1.0
	v_fma_f64 v[113:114], v[113:114], v[115:116], v[113:114]
	v_fma_f64 v[115:116], -v[109:110], v[113:114], 1.0
	v_fma_f64 v[113:114], v[113:114], v[115:116], v[113:114]
	v_mul_f64 v[115:116], v[121:122], v[113:114]
	v_fma_f64 v[109:110], -v[109:110], v[115:116], v[121:122]
	v_div_fmas_f64 v[109:110], v[109:110], v[113:114], v[115:116]
	v_div_fixup_f64 v[121:122], v[109:110], v[107:108], 1.0
	v_mul_f64 v[123:124], v[105:106], -v[121:122]
.LBB58_177:
	s_or_b64 exec, exec, s[18:19]
.LBB58_178:
	s_or_b64 exec, exec, s[0:1]
	v_cmp_ne_u32_e32 vcc, v79, v77
	s_and_saveexec_b64 s[0:1], vcc
	s_xor_b64 s[0:1], exec, s[0:1]
	s_cbranch_execz .LBB58_184
; %bb.179:
	v_cmp_eq_u32_e32 vcc, 8, v79
	s_and_saveexec_b64 s[18:19], vcc
	s_cbranch_execz .LBB58_183
; %bb.180:
	v_cmp_ne_u32_e32 vcc, 8, v77
	s_xor_b64 s[20:21], s[6:7], -1
	s_and_b64 s[22:23], s[20:21], vcc
	s_and_saveexec_b64 s[20:21], s[22:23]
	s_cbranch_execz .LBB58_182
; %bb.181:
	buffer_load_dword v106, off, s[24:27], 0 offset:80 ; 4-byte Folded Reload
	buffer_load_dword v107, off, s[24:27], 0 offset:84 ; 4-byte Folded Reload
	v_ashrrev_i32_e32 v78, 31, v77
	v_lshlrev_b64 v[78:79], 2, v[77:78]
	s_waitcnt vmcnt(1)
	v_add_co_u32_e32 v78, vcc, v106, v78
	s_waitcnt vmcnt(0)
	v_addc_co_u32_e32 v79, vcc, v107, v79, vcc
	global_load_dword v0, v[78:79], off
	global_load_dword v105, v[106:107], off offset:32
	s_waitcnt vmcnt(1)
	global_store_dword v[106:107], v0, off offset:32
	s_waitcnt vmcnt(1)
	global_store_dword v[78:79], v105, off
.LBB58_182:
	s_or_b64 exec, exec, s[20:21]
	v_mov_b32_e32 v79, v77
	v_mov_b32_e32 v0, v77
.LBB58_183:
	s_or_b64 exec, exec, s[18:19]
.LBB58_184:
	s_andn2_saveexec_b64 s[0:1], s[0:1]
	s_cbranch_execz .LBB58_186
; %bb.185:
	v_mov_b32_e32 v79, 8
	ds_write2_b64 v127, v[81:82], v[83:84] offset0:18 offset1:19
	ds_write2_b64 v127, v[73:74], v[75:76] offset0:20 offset1:21
	ds_write2_b64 v127, v[69:70], v[71:72] offset0:22 offset1:23
	ds_write2_b64 v127, v[65:66], v[67:68] offset0:24 offset1:25
	ds_write2_b64 v127, v[61:62], v[63:64] offset0:26 offset1:27
	ds_write2_b64 v127, v[57:58], v[59:60] offset0:28 offset1:29
	ds_write2_b64 v127, v[53:54], v[55:56] offset0:30 offset1:31
	ds_write2_b64 v127, v[49:50], v[51:52] offset0:32 offset1:33
	ds_write2_b64 v127, v[45:46], v[47:48] offset0:34 offset1:35
	ds_write2_b64 v127, v[41:42], v[43:44] offset0:36 offset1:37
	ds_write2_b64 v127, v[37:38], v[39:40] offset0:38 offset1:39
	ds_write2_b64 v127, v[33:34], v[35:36] offset0:40 offset1:41
	ds_write2_b64 v127, v[29:30], v[31:32] offset0:42 offset1:43
	ds_write2_b64 v127, v[25:26], v[27:28] offset0:44 offset1:45
	ds_write2_b64 v127, v[21:22], v[23:24] offset0:46 offset1:47
	ds_write2_b64 v127, v[17:18], v[19:20] offset0:48 offset1:49
	ds_write2_b64 v127, v[13:14], v[15:16] offset0:50 offset1:51
	ds_write2_b64 v127, v[9:10], v[11:12] offset0:52 offset1:53
	ds_write2_b64 v127, v[5:6], v[7:8] offset0:54 offset1:55
	ds_write2_b64 v127, v[1:2], v[3:4] offset0:56 offset1:57
	ds_write2_b64 v127, v[117:118], v[119:120] offset0:58 offset1:59
.LBB58_186:
	s_or_b64 exec, exec, s[0:1]
	v_cmp_lt_i32_e32 vcc, 8, v79
	s_waitcnt vmcnt(0) lgkmcnt(0)
	s_barrier
	s_and_saveexec_b64 s[0:1], vcc
	s_cbranch_execz .LBB58_188
; %bb.187:
	v_mul_f64 v[77:78], v[123:124], v[87:88]
	ds_read2_b64 v[105:108], v127 offset0:18 offset1:19
	v_fma_f64 v[125:126], v[121:122], v[85:86], -v[77:78]
	v_mul_f64 v[77:78], v[121:122], v[87:88]
	v_fma_f64 v[87:88], v[123:124], v[85:86], v[77:78]
	s_waitcnt lgkmcnt(0)
	v_mul_f64 v[77:78], v[107:108], v[87:88]
	v_mul_f64 v[85:86], v[105:106], v[87:88]
	v_fma_f64 v[77:78], v[105:106], v[125:126], -v[77:78]
	v_fma_f64 v[85:86], v[107:108], v[125:126], v[85:86]
	ds_read2_b64 v[105:108], v127 offset0:20 offset1:21
	v_add_f64 v[81:82], v[81:82], -v[77:78]
	v_add_f64 v[83:84], v[83:84], -v[85:86]
	s_waitcnt lgkmcnt(0)
	v_mul_f64 v[77:78], v[107:108], v[87:88]
	v_mul_f64 v[85:86], v[105:106], v[87:88]
	v_fma_f64 v[77:78], v[105:106], v[125:126], -v[77:78]
	v_fma_f64 v[85:86], v[107:108], v[125:126], v[85:86]
	ds_read2_b64 v[105:108], v127 offset0:22 offset1:23
	v_add_f64 v[73:74], v[73:74], -v[77:78]
	v_add_f64 v[75:76], v[75:76], -v[85:86]
	;; [unrolled: 8-line block ×20, first 2 shown]
	s_waitcnt lgkmcnt(0)
	v_mul_f64 v[77:78], v[107:108], v[87:88]
	v_mul_f64 v[85:86], v[105:106], v[87:88]
	v_fma_f64 v[77:78], v[105:106], v[125:126], -v[77:78]
	v_fma_f64 v[85:86], v[107:108], v[125:126], v[85:86]
	v_add_f64 v[117:118], v[117:118], -v[77:78]
	v_add_f64 v[119:120], v[119:120], -v[85:86]
	v_mov_b32_e32 v85, v125
	v_mov_b32_e32 v86, v126
.LBB58_188:
	s_or_b64 exec, exec, s[0:1]
	v_lshl_add_u32 v77, v79, 4, v127
	s_barrier
	ds_write2_b64 v77, v[81:82], v[83:84] offset1:1
	s_waitcnt lgkmcnt(0)
	s_barrier
	ds_read2_b64 v[121:124], v127 offset0:18 offset1:19
	s_cmp_lt_i32 s3, 11
	v_mov_b32_e32 v77, 9
	s_cbranch_scc1 .LBB58_191
; %bb.189:
	v_add_u32_e32 v78, 0xa0, v127
	s_mov_b32 s0, 10
	v_mov_b32_e32 v77, 9
.LBB58_190:                             ; =>This Inner Loop Header: Depth=1
	s_waitcnt lgkmcnt(0)
	v_cmp_gt_f64_e32 vcc, 0, v[121:122]
	v_xor_b32_e32 v109, 0x80000000, v122
	ds_read2_b64 v[105:108], v78 offset1:1
	v_xor_b32_e32 v113, 0x80000000, v124
	v_add_u32_e32 v78, 16, v78
	s_waitcnt lgkmcnt(0)
	v_xor_b32_e32 v115, 0x80000000, v108
	v_cndmask_b32_e32 v110, v122, v109, vcc
	v_cmp_gt_f64_e32 vcc, 0, v[123:124]
	v_mov_b32_e32 v109, v121
	v_cndmask_b32_e32 v114, v124, v113, vcc
	v_cmp_gt_f64_e32 vcc, 0, v[105:106]
	v_mov_b32_e32 v113, v123
	v_add_f64 v[109:110], v[109:110], v[113:114]
	v_xor_b32_e32 v113, 0x80000000, v106
	v_cndmask_b32_e32 v114, v106, v113, vcc
	v_cmp_gt_f64_e32 vcc, 0, v[107:108]
	v_mov_b32_e32 v113, v105
	v_cndmask_b32_e32 v116, v108, v115, vcc
	v_mov_b32_e32 v115, v107
	v_add_f64 v[113:114], v[113:114], v[115:116]
	v_cmp_lt_f64_e32 vcc, v[109:110], v[113:114]
	v_cndmask_b32_e32 v121, v121, v105, vcc
	v_mov_b32_e32 v105, s0
	s_add_i32 s0, s0, 1
	v_cndmask_b32_e32 v122, v122, v106, vcc
	v_cndmask_b32_e32 v124, v124, v108, vcc
	;; [unrolled: 1-line block ×4, first 2 shown]
	s_cmp_lg_u32 s3, s0
	s_cbranch_scc1 .LBB58_190
.LBB58_191:
	s_waitcnt lgkmcnt(0)
	v_cmp_eq_f64_e32 vcc, 0, v[121:122]
	v_cmp_eq_f64_e64 s[0:1], 0, v[123:124]
	s_and_b64 s[0:1], vcc, s[0:1]
	s_and_saveexec_b64 s[18:19], s[0:1]
	s_xor_b64 s[0:1], exec, s[18:19]
; %bb.192:
	v_cmp_ne_u32_e32 vcc, 0, v80
	v_cndmask_b32_e32 v80, 10, v80, vcc
; %bb.193:
	s_andn2_saveexec_b64 s[0:1], s[0:1]
	s_cbranch_execz .LBB58_199
; %bb.194:
	v_cmp_ngt_f64_e64 s[18:19], |v[121:122]|, |v[123:124]|
	s_and_saveexec_b64 s[20:21], s[18:19]
	s_xor_b64 s[18:19], exec, s[20:21]
	s_cbranch_execz .LBB58_196
; %bb.195:
	v_div_scale_f64 v[105:106], s[20:21], v[123:124], v[123:124], v[121:122]
	v_rcp_f64_e32 v[107:108], v[105:106]
	v_fma_f64 v[109:110], -v[105:106], v[107:108], 1.0
	v_fma_f64 v[107:108], v[107:108], v[109:110], v[107:108]
	v_div_scale_f64 v[109:110], vcc, v[121:122], v[123:124], v[121:122]
	v_fma_f64 v[113:114], -v[105:106], v[107:108], 1.0
	v_fma_f64 v[107:108], v[107:108], v[113:114], v[107:108]
	v_mul_f64 v[113:114], v[109:110], v[107:108]
	v_fma_f64 v[105:106], -v[105:106], v[113:114], v[109:110]
	v_div_fmas_f64 v[105:106], v[105:106], v[107:108], v[113:114]
	v_div_fixup_f64 v[105:106], v[105:106], v[123:124], v[121:122]
	v_fma_f64 v[107:108], v[121:122], v[105:106], v[123:124]
	v_div_scale_f64 v[109:110], s[20:21], v[107:108], v[107:108], 1.0
	v_div_scale_f64 v[121:122], vcc, 1.0, v[107:108], 1.0
	v_rcp_f64_e32 v[113:114], v[109:110]
	v_fma_f64 v[115:116], -v[109:110], v[113:114], 1.0
	v_fma_f64 v[113:114], v[113:114], v[115:116], v[113:114]
	v_fma_f64 v[115:116], -v[109:110], v[113:114], 1.0
	v_fma_f64 v[113:114], v[113:114], v[115:116], v[113:114]
	v_mul_f64 v[115:116], v[121:122], v[113:114]
	v_fma_f64 v[109:110], -v[109:110], v[115:116], v[121:122]
	v_div_fmas_f64 v[109:110], v[109:110], v[113:114], v[115:116]
	v_div_fixup_f64 v[123:124], v[109:110], v[107:108], 1.0
	v_mul_f64 v[121:122], v[105:106], v[123:124]
	v_xor_b32_e32 v124, 0x80000000, v124
.LBB58_196:
	s_andn2_saveexec_b64 s[18:19], s[18:19]
	s_cbranch_execz .LBB58_198
; %bb.197:
	v_div_scale_f64 v[105:106], s[20:21], v[121:122], v[121:122], v[123:124]
	v_rcp_f64_e32 v[107:108], v[105:106]
	v_fma_f64 v[109:110], -v[105:106], v[107:108], 1.0
	v_fma_f64 v[107:108], v[107:108], v[109:110], v[107:108]
	v_div_scale_f64 v[109:110], vcc, v[123:124], v[121:122], v[123:124]
	v_fma_f64 v[113:114], -v[105:106], v[107:108], 1.0
	v_fma_f64 v[107:108], v[107:108], v[113:114], v[107:108]
	v_mul_f64 v[113:114], v[109:110], v[107:108]
	v_fma_f64 v[105:106], -v[105:106], v[113:114], v[109:110]
	v_div_fmas_f64 v[105:106], v[105:106], v[107:108], v[113:114]
	v_div_fixup_f64 v[105:106], v[105:106], v[121:122], v[123:124]
	v_fma_f64 v[107:108], v[123:124], v[105:106], v[121:122]
	v_div_scale_f64 v[109:110], s[20:21], v[107:108], v[107:108], 1.0
	v_div_scale_f64 v[121:122], vcc, 1.0, v[107:108], 1.0
	v_rcp_f64_e32 v[113:114], v[109:110]
	v_fma_f64 v[115:116], -v[109:110], v[113:114], 1.0
	v_fma_f64 v[113:114], v[113:114], v[115:116], v[113:114]
	v_fma_f64 v[115:116], -v[109:110], v[113:114], 1.0
	v_fma_f64 v[113:114], v[113:114], v[115:116], v[113:114]
	v_mul_f64 v[115:116], v[121:122], v[113:114]
	v_fma_f64 v[109:110], -v[109:110], v[115:116], v[121:122]
	v_div_fmas_f64 v[109:110], v[109:110], v[113:114], v[115:116]
	v_div_fixup_f64 v[121:122], v[109:110], v[107:108], 1.0
	v_mul_f64 v[123:124], v[105:106], -v[121:122]
.LBB58_198:
	s_or_b64 exec, exec, s[18:19]
.LBB58_199:
	s_or_b64 exec, exec, s[0:1]
	v_cmp_ne_u32_e32 vcc, v79, v77
	s_and_saveexec_b64 s[0:1], vcc
	s_xor_b64 s[0:1], exec, s[0:1]
	s_cbranch_execz .LBB58_205
; %bb.200:
	v_cmp_eq_u32_e32 vcc, 9, v79
	s_and_saveexec_b64 s[18:19], vcc
	s_cbranch_execz .LBB58_204
; %bb.201:
	v_cmp_ne_u32_e32 vcc, 9, v77
	s_xor_b64 s[20:21], s[6:7], -1
	s_and_b64 s[22:23], s[20:21], vcc
	s_and_saveexec_b64 s[20:21], s[22:23]
	s_cbranch_execz .LBB58_203
; %bb.202:
	buffer_load_dword v106, off, s[24:27], 0 offset:80 ; 4-byte Folded Reload
	buffer_load_dword v107, off, s[24:27], 0 offset:84 ; 4-byte Folded Reload
	v_ashrrev_i32_e32 v78, 31, v77
	v_lshlrev_b64 v[78:79], 2, v[77:78]
	s_waitcnt vmcnt(1)
	v_add_co_u32_e32 v78, vcc, v106, v78
	s_waitcnt vmcnt(0)
	v_addc_co_u32_e32 v79, vcc, v107, v79, vcc
	global_load_dword v0, v[78:79], off
	global_load_dword v105, v[106:107], off offset:36
	s_waitcnt vmcnt(1)
	global_store_dword v[106:107], v0, off offset:36
	s_waitcnt vmcnt(1)
	global_store_dword v[78:79], v105, off
.LBB58_203:
	s_or_b64 exec, exec, s[20:21]
	v_mov_b32_e32 v79, v77
	v_mov_b32_e32 v0, v77
.LBB58_204:
	s_or_b64 exec, exec, s[18:19]
.LBB58_205:
	s_andn2_saveexec_b64 s[0:1], s[0:1]
	s_cbranch_execz .LBB58_207
; %bb.206:
	v_mov_b32_e32 v79, 9
	ds_write2_b64 v127, v[73:74], v[75:76] offset0:20 offset1:21
	ds_write2_b64 v127, v[69:70], v[71:72] offset0:22 offset1:23
	;; [unrolled: 1-line block ×20, first 2 shown]
.LBB58_207:
	s_or_b64 exec, exec, s[0:1]
	v_cmp_lt_i32_e32 vcc, 9, v79
	s_waitcnt vmcnt(0) lgkmcnt(0)
	s_barrier
	s_and_saveexec_b64 s[0:1], vcc
	s_cbranch_execz .LBB58_209
; %bb.208:
	v_mul_f64 v[77:78], v[123:124], v[83:84]
	ds_read2_b64 v[105:108], v127 offset0:20 offset1:21
	v_fma_f64 v[125:126], v[121:122], v[81:82], -v[77:78]
	v_mul_f64 v[77:78], v[121:122], v[83:84]
	v_fma_f64 v[83:84], v[123:124], v[81:82], v[77:78]
	s_waitcnt lgkmcnt(0)
	v_mul_f64 v[77:78], v[107:108], v[83:84]
	v_mul_f64 v[81:82], v[105:106], v[83:84]
	v_fma_f64 v[77:78], v[105:106], v[125:126], -v[77:78]
	v_fma_f64 v[81:82], v[107:108], v[125:126], v[81:82]
	ds_read2_b64 v[105:108], v127 offset0:22 offset1:23
	v_add_f64 v[73:74], v[73:74], -v[77:78]
	v_add_f64 v[75:76], v[75:76], -v[81:82]
	s_waitcnt lgkmcnt(0)
	v_mul_f64 v[77:78], v[107:108], v[83:84]
	v_mul_f64 v[81:82], v[105:106], v[83:84]
	v_fma_f64 v[77:78], v[105:106], v[125:126], -v[77:78]
	v_fma_f64 v[81:82], v[107:108], v[125:126], v[81:82]
	ds_read2_b64 v[105:108], v127 offset0:24 offset1:25
	v_add_f64 v[69:70], v[69:70], -v[77:78]
	v_add_f64 v[71:72], v[71:72], -v[81:82]
	;; [unrolled: 8-line block ×19, first 2 shown]
	s_waitcnt lgkmcnt(0)
	v_mul_f64 v[77:78], v[107:108], v[83:84]
	v_mul_f64 v[81:82], v[105:106], v[83:84]
	v_fma_f64 v[77:78], v[105:106], v[125:126], -v[77:78]
	v_fma_f64 v[81:82], v[107:108], v[125:126], v[81:82]
	v_add_f64 v[117:118], v[117:118], -v[77:78]
	v_add_f64 v[119:120], v[119:120], -v[81:82]
	v_mov_b32_e32 v81, v125
	v_mov_b32_e32 v82, v126
.LBB58_209:
	s_or_b64 exec, exec, s[0:1]
	v_lshl_add_u32 v77, v79, 4, v127
	s_barrier
	ds_write2_b64 v77, v[73:74], v[75:76] offset1:1
	s_waitcnt lgkmcnt(0)
	s_barrier
	ds_read2_b64 v[121:124], v127 offset0:20 offset1:21
	s_cmp_lt_i32 s3, 12
	v_mov_b32_e32 v77, 10
	s_cbranch_scc1 .LBB58_212
; %bb.210:
	v_add_u32_e32 v78, 0xb0, v127
	s_mov_b32 s0, 11
	v_mov_b32_e32 v77, 10
.LBB58_211:                             ; =>This Inner Loop Header: Depth=1
	s_waitcnt lgkmcnt(0)
	v_cmp_gt_f64_e32 vcc, 0, v[121:122]
	v_xor_b32_e32 v109, 0x80000000, v122
	ds_read2_b64 v[105:108], v78 offset1:1
	v_xor_b32_e32 v113, 0x80000000, v124
	v_add_u32_e32 v78, 16, v78
	s_waitcnt lgkmcnt(0)
	v_xor_b32_e32 v115, 0x80000000, v108
	v_cndmask_b32_e32 v110, v122, v109, vcc
	v_cmp_gt_f64_e32 vcc, 0, v[123:124]
	v_mov_b32_e32 v109, v121
	v_cndmask_b32_e32 v114, v124, v113, vcc
	v_cmp_gt_f64_e32 vcc, 0, v[105:106]
	v_mov_b32_e32 v113, v123
	v_add_f64 v[109:110], v[109:110], v[113:114]
	v_xor_b32_e32 v113, 0x80000000, v106
	v_cndmask_b32_e32 v114, v106, v113, vcc
	v_cmp_gt_f64_e32 vcc, 0, v[107:108]
	v_mov_b32_e32 v113, v105
	v_cndmask_b32_e32 v116, v108, v115, vcc
	v_mov_b32_e32 v115, v107
	v_add_f64 v[113:114], v[113:114], v[115:116]
	v_cmp_lt_f64_e32 vcc, v[109:110], v[113:114]
	v_cndmask_b32_e32 v121, v121, v105, vcc
	v_mov_b32_e32 v105, s0
	s_add_i32 s0, s0, 1
	v_cndmask_b32_e32 v122, v122, v106, vcc
	v_cndmask_b32_e32 v124, v124, v108, vcc
	;; [unrolled: 1-line block ×4, first 2 shown]
	s_cmp_lg_u32 s3, s0
	s_cbranch_scc1 .LBB58_211
.LBB58_212:
	s_waitcnt lgkmcnt(0)
	v_cmp_eq_f64_e32 vcc, 0, v[121:122]
	v_cmp_eq_f64_e64 s[0:1], 0, v[123:124]
	s_and_b64 s[0:1], vcc, s[0:1]
	s_and_saveexec_b64 s[18:19], s[0:1]
	s_xor_b64 s[0:1], exec, s[18:19]
; %bb.213:
	v_cmp_ne_u32_e32 vcc, 0, v80
	v_cndmask_b32_e32 v80, 11, v80, vcc
; %bb.214:
	s_andn2_saveexec_b64 s[0:1], s[0:1]
	s_cbranch_execz .LBB58_220
; %bb.215:
	v_cmp_ngt_f64_e64 s[18:19], |v[121:122]|, |v[123:124]|
	s_and_saveexec_b64 s[20:21], s[18:19]
	s_xor_b64 s[18:19], exec, s[20:21]
	s_cbranch_execz .LBB58_217
; %bb.216:
	v_div_scale_f64 v[105:106], s[20:21], v[123:124], v[123:124], v[121:122]
	v_rcp_f64_e32 v[107:108], v[105:106]
	v_fma_f64 v[109:110], -v[105:106], v[107:108], 1.0
	v_fma_f64 v[107:108], v[107:108], v[109:110], v[107:108]
	v_div_scale_f64 v[109:110], vcc, v[121:122], v[123:124], v[121:122]
	v_fma_f64 v[113:114], -v[105:106], v[107:108], 1.0
	v_fma_f64 v[107:108], v[107:108], v[113:114], v[107:108]
	v_mul_f64 v[113:114], v[109:110], v[107:108]
	v_fma_f64 v[105:106], -v[105:106], v[113:114], v[109:110]
	v_div_fmas_f64 v[105:106], v[105:106], v[107:108], v[113:114]
	v_div_fixup_f64 v[105:106], v[105:106], v[123:124], v[121:122]
	v_fma_f64 v[107:108], v[121:122], v[105:106], v[123:124]
	v_div_scale_f64 v[109:110], s[20:21], v[107:108], v[107:108], 1.0
	v_div_scale_f64 v[121:122], vcc, 1.0, v[107:108], 1.0
	v_rcp_f64_e32 v[113:114], v[109:110]
	v_fma_f64 v[115:116], -v[109:110], v[113:114], 1.0
	v_fma_f64 v[113:114], v[113:114], v[115:116], v[113:114]
	v_fma_f64 v[115:116], -v[109:110], v[113:114], 1.0
	v_fma_f64 v[113:114], v[113:114], v[115:116], v[113:114]
	v_mul_f64 v[115:116], v[121:122], v[113:114]
	v_fma_f64 v[109:110], -v[109:110], v[115:116], v[121:122]
	v_div_fmas_f64 v[109:110], v[109:110], v[113:114], v[115:116]
	v_div_fixup_f64 v[123:124], v[109:110], v[107:108], 1.0
	v_mul_f64 v[121:122], v[105:106], v[123:124]
	v_xor_b32_e32 v124, 0x80000000, v124
.LBB58_217:
	s_andn2_saveexec_b64 s[18:19], s[18:19]
	s_cbranch_execz .LBB58_219
; %bb.218:
	v_div_scale_f64 v[105:106], s[20:21], v[121:122], v[121:122], v[123:124]
	v_rcp_f64_e32 v[107:108], v[105:106]
	v_fma_f64 v[109:110], -v[105:106], v[107:108], 1.0
	v_fma_f64 v[107:108], v[107:108], v[109:110], v[107:108]
	v_div_scale_f64 v[109:110], vcc, v[123:124], v[121:122], v[123:124]
	v_fma_f64 v[113:114], -v[105:106], v[107:108], 1.0
	v_fma_f64 v[107:108], v[107:108], v[113:114], v[107:108]
	v_mul_f64 v[113:114], v[109:110], v[107:108]
	v_fma_f64 v[105:106], -v[105:106], v[113:114], v[109:110]
	v_div_fmas_f64 v[105:106], v[105:106], v[107:108], v[113:114]
	v_div_fixup_f64 v[105:106], v[105:106], v[121:122], v[123:124]
	v_fma_f64 v[107:108], v[123:124], v[105:106], v[121:122]
	v_div_scale_f64 v[109:110], s[20:21], v[107:108], v[107:108], 1.0
	v_div_scale_f64 v[121:122], vcc, 1.0, v[107:108], 1.0
	v_rcp_f64_e32 v[113:114], v[109:110]
	v_fma_f64 v[115:116], -v[109:110], v[113:114], 1.0
	v_fma_f64 v[113:114], v[113:114], v[115:116], v[113:114]
	v_fma_f64 v[115:116], -v[109:110], v[113:114], 1.0
	v_fma_f64 v[113:114], v[113:114], v[115:116], v[113:114]
	v_mul_f64 v[115:116], v[121:122], v[113:114]
	v_fma_f64 v[109:110], -v[109:110], v[115:116], v[121:122]
	v_div_fmas_f64 v[109:110], v[109:110], v[113:114], v[115:116]
	v_div_fixup_f64 v[121:122], v[109:110], v[107:108], 1.0
	v_mul_f64 v[123:124], v[105:106], -v[121:122]
.LBB58_219:
	s_or_b64 exec, exec, s[18:19]
.LBB58_220:
	s_or_b64 exec, exec, s[0:1]
	v_cmp_ne_u32_e32 vcc, v79, v77
	s_and_saveexec_b64 s[0:1], vcc
	s_xor_b64 s[0:1], exec, s[0:1]
	s_cbranch_execz .LBB58_226
; %bb.221:
	v_cmp_eq_u32_e32 vcc, 10, v79
	s_and_saveexec_b64 s[18:19], vcc
	s_cbranch_execz .LBB58_225
; %bb.222:
	v_cmp_ne_u32_e32 vcc, 10, v77
	s_xor_b64 s[20:21], s[6:7], -1
	s_and_b64 s[22:23], s[20:21], vcc
	s_and_saveexec_b64 s[20:21], s[22:23]
	s_cbranch_execz .LBB58_224
; %bb.223:
	buffer_load_dword v106, off, s[24:27], 0 offset:80 ; 4-byte Folded Reload
	buffer_load_dword v107, off, s[24:27], 0 offset:84 ; 4-byte Folded Reload
	v_ashrrev_i32_e32 v78, 31, v77
	v_lshlrev_b64 v[78:79], 2, v[77:78]
	s_waitcnt vmcnt(1)
	v_add_co_u32_e32 v78, vcc, v106, v78
	s_waitcnt vmcnt(0)
	v_addc_co_u32_e32 v79, vcc, v107, v79, vcc
	global_load_dword v0, v[78:79], off
	global_load_dword v105, v[106:107], off offset:40
	s_waitcnt vmcnt(1)
	global_store_dword v[106:107], v0, off offset:40
	s_waitcnt vmcnt(1)
	global_store_dword v[78:79], v105, off
.LBB58_224:
	s_or_b64 exec, exec, s[20:21]
	v_mov_b32_e32 v79, v77
	v_mov_b32_e32 v0, v77
.LBB58_225:
	s_or_b64 exec, exec, s[18:19]
.LBB58_226:
	s_andn2_saveexec_b64 s[0:1], s[0:1]
	s_cbranch_execz .LBB58_228
; %bb.227:
	v_mov_b32_e32 v79, 10
	ds_write2_b64 v127, v[69:70], v[71:72] offset0:22 offset1:23
	ds_write2_b64 v127, v[65:66], v[67:68] offset0:24 offset1:25
	;; [unrolled: 1-line block ×19, first 2 shown]
.LBB58_228:
	s_or_b64 exec, exec, s[0:1]
	v_cmp_lt_i32_e32 vcc, 10, v79
	s_waitcnt vmcnt(0) lgkmcnt(0)
	s_barrier
	s_and_saveexec_b64 s[0:1], vcc
	s_cbranch_execz .LBB58_230
; %bb.229:
	v_mul_f64 v[77:78], v[123:124], v[75:76]
	v_mul_f64 v[75:76], v[121:122], v[75:76]
	ds_read2_b64 v[105:108], v127 offset0:22 offset1:23
	v_fma_f64 v[125:126], v[121:122], v[73:74], -v[77:78]
	v_fma_f64 v[75:76], v[123:124], v[73:74], v[75:76]
	s_waitcnt lgkmcnt(0)
	v_mul_f64 v[73:74], v[107:108], v[75:76]
	v_mul_f64 v[77:78], v[105:106], v[75:76]
	v_fma_f64 v[73:74], v[105:106], v[125:126], -v[73:74]
	v_fma_f64 v[77:78], v[107:108], v[125:126], v[77:78]
	ds_read2_b64 v[105:108], v127 offset0:24 offset1:25
	v_add_f64 v[69:70], v[69:70], -v[73:74]
	v_add_f64 v[71:72], v[71:72], -v[77:78]
	s_waitcnt lgkmcnt(0)
	v_mul_f64 v[73:74], v[107:108], v[75:76]
	v_mul_f64 v[77:78], v[105:106], v[75:76]
	v_fma_f64 v[73:74], v[105:106], v[125:126], -v[73:74]
	v_fma_f64 v[77:78], v[107:108], v[125:126], v[77:78]
	ds_read2_b64 v[105:108], v127 offset0:26 offset1:27
	v_add_f64 v[65:66], v[65:66], -v[73:74]
	v_add_f64 v[67:68], v[67:68], -v[77:78]
	;; [unrolled: 8-line block ×18, first 2 shown]
	s_waitcnt lgkmcnt(0)
	v_mul_f64 v[73:74], v[107:108], v[75:76]
	v_mul_f64 v[77:78], v[105:106], v[75:76]
	v_fma_f64 v[73:74], v[105:106], v[125:126], -v[73:74]
	v_fma_f64 v[77:78], v[107:108], v[125:126], v[77:78]
	v_add_f64 v[117:118], v[117:118], -v[73:74]
	v_add_f64 v[119:120], v[119:120], -v[77:78]
	v_mov_b32_e32 v73, v125
	v_mov_b32_e32 v74, v126
.LBB58_230:
	s_or_b64 exec, exec, s[0:1]
	v_lshl_add_u32 v77, v79, 4, v127
	s_barrier
	ds_write2_b64 v77, v[69:70], v[71:72] offset1:1
	s_waitcnt lgkmcnt(0)
	s_barrier
	ds_read2_b64 v[121:124], v127 offset0:22 offset1:23
	s_cmp_lt_i32 s3, 13
	v_mov_b32_e32 v77, 11
	s_cbranch_scc1 .LBB58_233
; %bb.231:
	v_add_u32_e32 v78, 0xc0, v127
	s_mov_b32 s0, 12
	v_mov_b32_e32 v77, 11
.LBB58_232:                             ; =>This Inner Loop Header: Depth=1
	s_waitcnt lgkmcnt(0)
	v_cmp_gt_f64_e32 vcc, 0, v[121:122]
	v_xor_b32_e32 v109, 0x80000000, v122
	ds_read2_b64 v[105:108], v78 offset1:1
	v_xor_b32_e32 v113, 0x80000000, v124
	v_add_u32_e32 v78, 16, v78
	s_waitcnt lgkmcnt(0)
	v_xor_b32_e32 v115, 0x80000000, v108
	v_cndmask_b32_e32 v110, v122, v109, vcc
	v_cmp_gt_f64_e32 vcc, 0, v[123:124]
	v_mov_b32_e32 v109, v121
	v_cndmask_b32_e32 v114, v124, v113, vcc
	v_cmp_gt_f64_e32 vcc, 0, v[105:106]
	v_mov_b32_e32 v113, v123
	v_add_f64 v[109:110], v[109:110], v[113:114]
	v_xor_b32_e32 v113, 0x80000000, v106
	v_cndmask_b32_e32 v114, v106, v113, vcc
	v_cmp_gt_f64_e32 vcc, 0, v[107:108]
	v_mov_b32_e32 v113, v105
	v_cndmask_b32_e32 v116, v108, v115, vcc
	v_mov_b32_e32 v115, v107
	v_add_f64 v[113:114], v[113:114], v[115:116]
	v_cmp_lt_f64_e32 vcc, v[109:110], v[113:114]
	v_cndmask_b32_e32 v121, v121, v105, vcc
	v_mov_b32_e32 v105, s0
	s_add_i32 s0, s0, 1
	v_cndmask_b32_e32 v122, v122, v106, vcc
	v_cndmask_b32_e32 v124, v124, v108, vcc
	;; [unrolled: 1-line block ×4, first 2 shown]
	s_cmp_lg_u32 s3, s0
	s_cbranch_scc1 .LBB58_232
.LBB58_233:
	s_waitcnt lgkmcnt(0)
	v_cmp_eq_f64_e32 vcc, 0, v[121:122]
	v_cmp_eq_f64_e64 s[0:1], 0, v[123:124]
	s_and_b64 s[0:1], vcc, s[0:1]
	s_and_saveexec_b64 s[18:19], s[0:1]
	s_xor_b64 s[0:1], exec, s[18:19]
; %bb.234:
	v_cmp_ne_u32_e32 vcc, 0, v80
	v_cndmask_b32_e32 v80, 12, v80, vcc
; %bb.235:
	s_andn2_saveexec_b64 s[0:1], s[0:1]
	s_cbranch_execz .LBB58_241
; %bb.236:
	v_cmp_ngt_f64_e64 s[18:19], |v[121:122]|, |v[123:124]|
	s_and_saveexec_b64 s[20:21], s[18:19]
	s_xor_b64 s[18:19], exec, s[20:21]
	s_cbranch_execz .LBB58_238
; %bb.237:
	v_div_scale_f64 v[105:106], s[20:21], v[123:124], v[123:124], v[121:122]
	v_rcp_f64_e32 v[107:108], v[105:106]
	v_fma_f64 v[109:110], -v[105:106], v[107:108], 1.0
	v_fma_f64 v[107:108], v[107:108], v[109:110], v[107:108]
	v_div_scale_f64 v[109:110], vcc, v[121:122], v[123:124], v[121:122]
	v_fma_f64 v[113:114], -v[105:106], v[107:108], 1.0
	v_fma_f64 v[107:108], v[107:108], v[113:114], v[107:108]
	v_mul_f64 v[113:114], v[109:110], v[107:108]
	v_fma_f64 v[105:106], -v[105:106], v[113:114], v[109:110]
	v_div_fmas_f64 v[105:106], v[105:106], v[107:108], v[113:114]
	v_div_fixup_f64 v[105:106], v[105:106], v[123:124], v[121:122]
	v_fma_f64 v[107:108], v[121:122], v[105:106], v[123:124]
	v_div_scale_f64 v[109:110], s[20:21], v[107:108], v[107:108], 1.0
	v_div_scale_f64 v[121:122], vcc, 1.0, v[107:108], 1.0
	v_rcp_f64_e32 v[113:114], v[109:110]
	v_fma_f64 v[115:116], -v[109:110], v[113:114], 1.0
	v_fma_f64 v[113:114], v[113:114], v[115:116], v[113:114]
	v_fma_f64 v[115:116], -v[109:110], v[113:114], 1.0
	v_fma_f64 v[113:114], v[113:114], v[115:116], v[113:114]
	v_mul_f64 v[115:116], v[121:122], v[113:114]
	v_fma_f64 v[109:110], -v[109:110], v[115:116], v[121:122]
	v_div_fmas_f64 v[109:110], v[109:110], v[113:114], v[115:116]
	v_div_fixup_f64 v[123:124], v[109:110], v[107:108], 1.0
	v_mul_f64 v[121:122], v[105:106], v[123:124]
	v_xor_b32_e32 v124, 0x80000000, v124
.LBB58_238:
	s_andn2_saveexec_b64 s[18:19], s[18:19]
	s_cbranch_execz .LBB58_240
; %bb.239:
	v_div_scale_f64 v[105:106], s[20:21], v[121:122], v[121:122], v[123:124]
	v_rcp_f64_e32 v[107:108], v[105:106]
	v_fma_f64 v[109:110], -v[105:106], v[107:108], 1.0
	v_fma_f64 v[107:108], v[107:108], v[109:110], v[107:108]
	v_div_scale_f64 v[109:110], vcc, v[123:124], v[121:122], v[123:124]
	v_fma_f64 v[113:114], -v[105:106], v[107:108], 1.0
	v_fma_f64 v[107:108], v[107:108], v[113:114], v[107:108]
	v_mul_f64 v[113:114], v[109:110], v[107:108]
	v_fma_f64 v[105:106], -v[105:106], v[113:114], v[109:110]
	v_div_fmas_f64 v[105:106], v[105:106], v[107:108], v[113:114]
	v_div_fixup_f64 v[105:106], v[105:106], v[121:122], v[123:124]
	v_fma_f64 v[107:108], v[123:124], v[105:106], v[121:122]
	v_div_scale_f64 v[109:110], s[20:21], v[107:108], v[107:108], 1.0
	v_div_scale_f64 v[121:122], vcc, 1.0, v[107:108], 1.0
	v_rcp_f64_e32 v[113:114], v[109:110]
	v_fma_f64 v[115:116], -v[109:110], v[113:114], 1.0
	v_fma_f64 v[113:114], v[113:114], v[115:116], v[113:114]
	v_fma_f64 v[115:116], -v[109:110], v[113:114], 1.0
	v_fma_f64 v[113:114], v[113:114], v[115:116], v[113:114]
	v_mul_f64 v[115:116], v[121:122], v[113:114]
	v_fma_f64 v[109:110], -v[109:110], v[115:116], v[121:122]
	v_div_fmas_f64 v[109:110], v[109:110], v[113:114], v[115:116]
	v_div_fixup_f64 v[121:122], v[109:110], v[107:108], 1.0
	v_mul_f64 v[123:124], v[105:106], -v[121:122]
.LBB58_240:
	s_or_b64 exec, exec, s[18:19]
.LBB58_241:
	s_or_b64 exec, exec, s[0:1]
	v_cmp_ne_u32_e32 vcc, v79, v77
	s_and_saveexec_b64 s[0:1], vcc
	s_xor_b64 s[0:1], exec, s[0:1]
	s_cbranch_execz .LBB58_247
; %bb.242:
	v_cmp_eq_u32_e32 vcc, 11, v79
	s_and_saveexec_b64 s[18:19], vcc
	s_cbranch_execz .LBB58_246
; %bb.243:
	v_cmp_ne_u32_e32 vcc, 11, v77
	s_xor_b64 s[20:21], s[6:7], -1
	s_and_b64 s[22:23], s[20:21], vcc
	s_and_saveexec_b64 s[20:21], s[22:23]
	s_cbranch_execz .LBB58_245
; %bb.244:
	buffer_load_dword v106, off, s[24:27], 0 offset:80 ; 4-byte Folded Reload
	buffer_load_dword v107, off, s[24:27], 0 offset:84 ; 4-byte Folded Reload
	v_ashrrev_i32_e32 v78, 31, v77
	v_lshlrev_b64 v[78:79], 2, v[77:78]
	s_waitcnt vmcnt(1)
	v_add_co_u32_e32 v78, vcc, v106, v78
	s_waitcnt vmcnt(0)
	v_addc_co_u32_e32 v79, vcc, v107, v79, vcc
	global_load_dword v0, v[78:79], off
	global_load_dword v105, v[106:107], off offset:44
	s_waitcnt vmcnt(1)
	global_store_dword v[106:107], v0, off offset:44
	s_waitcnt vmcnt(1)
	global_store_dword v[78:79], v105, off
.LBB58_245:
	s_or_b64 exec, exec, s[20:21]
	v_mov_b32_e32 v79, v77
	v_mov_b32_e32 v0, v77
.LBB58_246:
	s_or_b64 exec, exec, s[18:19]
.LBB58_247:
	s_andn2_saveexec_b64 s[0:1], s[0:1]
	s_cbranch_execz .LBB58_249
; %bb.248:
	v_mov_b32_e32 v79, 11
	ds_write2_b64 v127, v[65:66], v[67:68] offset0:24 offset1:25
	ds_write2_b64 v127, v[61:62], v[63:64] offset0:26 offset1:27
	;; [unrolled: 1-line block ×18, first 2 shown]
.LBB58_249:
	s_or_b64 exec, exec, s[0:1]
	v_cmp_lt_i32_e32 vcc, 11, v79
	s_waitcnt vmcnt(0) lgkmcnt(0)
	s_barrier
	s_and_saveexec_b64 s[0:1], vcc
	s_cbranch_execz .LBB58_251
; %bb.250:
	v_mul_f64 v[77:78], v[123:124], v[71:72]
	v_mul_f64 v[71:72], v[121:122], v[71:72]
	ds_read2_b64 v[105:108], v127 offset0:24 offset1:25
	v_fma_f64 v[125:126], v[121:122], v[69:70], -v[77:78]
	v_fma_f64 v[71:72], v[123:124], v[69:70], v[71:72]
	s_waitcnt lgkmcnt(0)
	v_mul_f64 v[69:70], v[107:108], v[71:72]
	v_mul_f64 v[77:78], v[105:106], v[71:72]
	v_fma_f64 v[69:70], v[105:106], v[125:126], -v[69:70]
	v_fma_f64 v[77:78], v[107:108], v[125:126], v[77:78]
	ds_read2_b64 v[105:108], v127 offset0:26 offset1:27
	v_add_f64 v[65:66], v[65:66], -v[69:70]
	v_add_f64 v[67:68], v[67:68], -v[77:78]
	s_waitcnt lgkmcnt(0)
	v_mul_f64 v[69:70], v[107:108], v[71:72]
	v_mul_f64 v[77:78], v[105:106], v[71:72]
	v_fma_f64 v[69:70], v[105:106], v[125:126], -v[69:70]
	v_fma_f64 v[77:78], v[107:108], v[125:126], v[77:78]
	ds_read2_b64 v[105:108], v127 offset0:28 offset1:29
	v_add_f64 v[61:62], v[61:62], -v[69:70]
	v_add_f64 v[63:64], v[63:64], -v[77:78]
	;; [unrolled: 8-line block ×17, first 2 shown]
	s_waitcnt lgkmcnt(0)
	v_mul_f64 v[69:70], v[107:108], v[71:72]
	v_mul_f64 v[77:78], v[105:106], v[71:72]
	v_fma_f64 v[69:70], v[105:106], v[125:126], -v[69:70]
	v_fma_f64 v[77:78], v[107:108], v[125:126], v[77:78]
	v_add_f64 v[117:118], v[117:118], -v[69:70]
	v_add_f64 v[119:120], v[119:120], -v[77:78]
	v_mov_b32_e32 v69, v125
	v_mov_b32_e32 v70, v126
.LBB58_251:
	s_or_b64 exec, exec, s[0:1]
	v_lshl_add_u32 v77, v79, 4, v127
	s_barrier
	ds_write2_b64 v77, v[65:66], v[67:68] offset1:1
	s_waitcnt lgkmcnt(0)
	s_barrier
	ds_read2_b64 v[121:124], v127 offset0:24 offset1:25
	s_cmp_lt_i32 s3, 14
	v_mov_b32_e32 v77, 12
	s_cbranch_scc1 .LBB58_254
; %bb.252:
	v_add_u32_e32 v78, 0xd0, v127
	s_mov_b32 s0, 13
	v_mov_b32_e32 v77, 12
.LBB58_253:                             ; =>This Inner Loop Header: Depth=1
	s_waitcnt lgkmcnt(0)
	v_cmp_gt_f64_e32 vcc, 0, v[121:122]
	v_xor_b32_e32 v109, 0x80000000, v122
	ds_read2_b64 v[105:108], v78 offset1:1
	v_xor_b32_e32 v113, 0x80000000, v124
	v_add_u32_e32 v78, 16, v78
	s_waitcnt lgkmcnt(0)
	v_xor_b32_e32 v115, 0x80000000, v108
	v_cndmask_b32_e32 v110, v122, v109, vcc
	v_cmp_gt_f64_e32 vcc, 0, v[123:124]
	v_mov_b32_e32 v109, v121
	v_cndmask_b32_e32 v114, v124, v113, vcc
	v_cmp_gt_f64_e32 vcc, 0, v[105:106]
	v_mov_b32_e32 v113, v123
	v_add_f64 v[109:110], v[109:110], v[113:114]
	v_xor_b32_e32 v113, 0x80000000, v106
	v_cndmask_b32_e32 v114, v106, v113, vcc
	v_cmp_gt_f64_e32 vcc, 0, v[107:108]
	v_mov_b32_e32 v113, v105
	v_cndmask_b32_e32 v116, v108, v115, vcc
	v_mov_b32_e32 v115, v107
	v_add_f64 v[113:114], v[113:114], v[115:116]
	v_cmp_lt_f64_e32 vcc, v[109:110], v[113:114]
	v_cndmask_b32_e32 v121, v121, v105, vcc
	v_mov_b32_e32 v105, s0
	s_add_i32 s0, s0, 1
	v_cndmask_b32_e32 v122, v122, v106, vcc
	v_cndmask_b32_e32 v124, v124, v108, vcc
	;; [unrolled: 1-line block ×4, first 2 shown]
	s_cmp_lg_u32 s3, s0
	s_cbranch_scc1 .LBB58_253
.LBB58_254:
	s_waitcnt lgkmcnt(0)
	v_cmp_eq_f64_e32 vcc, 0, v[121:122]
	v_cmp_eq_f64_e64 s[0:1], 0, v[123:124]
	s_and_b64 s[0:1], vcc, s[0:1]
	s_and_saveexec_b64 s[18:19], s[0:1]
	s_xor_b64 s[0:1], exec, s[18:19]
; %bb.255:
	v_cmp_ne_u32_e32 vcc, 0, v80
	v_cndmask_b32_e32 v80, 13, v80, vcc
; %bb.256:
	s_andn2_saveexec_b64 s[0:1], s[0:1]
	s_cbranch_execz .LBB58_262
; %bb.257:
	v_cmp_ngt_f64_e64 s[18:19], |v[121:122]|, |v[123:124]|
	s_and_saveexec_b64 s[20:21], s[18:19]
	s_xor_b64 s[18:19], exec, s[20:21]
	s_cbranch_execz .LBB58_259
; %bb.258:
	v_div_scale_f64 v[105:106], s[20:21], v[123:124], v[123:124], v[121:122]
	v_rcp_f64_e32 v[107:108], v[105:106]
	v_fma_f64 v[109:110], -v[105:106], v[107:108], 1.0
	v_fma_f64 v[107:108], v[107:108], v[109:110], v[107:108]
	v_div_scale_f64 v[109:110], vcc, v[121:122], v[123:124], v[121:122]
	v_fma_f64 v[113:114], -v[105:106], v[107:108], 1.0
	v_fma_f64 v[107:108], v[107:108], v[113:114], v[107:108]
	v_mul_f64 v[113:114], v[109:110], v[107:108]
	v_fma_f64 v[105:106], -v[105:106], v[113:114], v[109:110]
	v_div_fmas_f64 v[105:106], v[105:106], v[107:108], v[113:114]
	v_div_fixup_f64 v[105:106], v[105:106], v[123:124], v[121:122]
	v_fma_f64 v[107:108], v[121:122], v[105:106], v[123:124]
	v_div_scale_f64 v[109:110], s[20:21], v[107:108], v[107:108], 1.0
	v_div_scale_f64 v[121:122], vcc, 1.0, v[107:108], 1.0
	v_rcp_f64_e32 v[113:114], v[109:110]
	v_fma_f64 v[115:116], -v[109:110], v[113:114], 1.0
	v_fma_f64 v[113:114], v[113:114], v[115:116], v[113:114]
	v_fma_f64 v[115:116], -v[109:110], v[113:114], 1.0
	v_fma_f64 v[113:114], v[113:114], v[115:116], v[113:114]
	v_mul_f64 v[115:116], v[121:122], v[113:114]
	v_fma_f64 v[109:110], -v[109:110], v[115:116], v[121:122]
	v_div_fmas_f64 v[109:110], v[109:110], v[113:114], v[115:116]
	v_div_fixup_f64 v[123:124], v[109:110], v[107:108], 1.0
	v_mul_f64 v[121:122], v[105:106], v[123:124]
	v_xor_b32_e32 v124, 0x80000000, v124
.LBB58_259:
	s_andn2_saveexec_b64 s[18:19], s[18:19]
	s_cbranch_execz .LBB58_261
; %bb.260:
	v_div_scale_f64 v[105:106], s[20:21], v[121:122], v[121:122], v[123:124]
	v_rcp_f64_e32 v[107:108], v[105:106]
	v_fma_f64 v[109:110], -v[105:106], v[107:108], 1.0
	v_fma_f64 v[107:108], v[107:108], v[109:110], v[107:108]
	v_div_scale_f64 v[109:110], vcc, v[123:124], v[121:122], v[123:124]
	v_fma_f64 v[113:114], -v[105:106], v[107:108], 1.0
	v_fma_f64 v[107:108], v[107:108], v[113:114], v[107:108]
	v_mul_f64 v[113:114], v[109:110], v[107:108]
	v_fma_f64 v[105:106], -v[105:106], v[113:114], v[109:110]
	v_div_fmas_f64 v[105:106], v[105:106], v[107:108], v[113:114]
	v_div_fixup_f64 v[105:106], v[105:106], v[121:122], v[123:124]
	v_fma_f64 v[107:108], v[123:124], v[105:106], v[121:122]
	v_div_scale_f64 v[109:110], s[20:21], v[107:108], v[107:108], 1.0
	v_div_scale_f64 v[121:122], vcc, 1.0, v[107:108], 1.0
	v_rcp_f64_e32 v[113:114], v[109:110]
	v_fma_f64 v[115:116], -v[109:110], v[113:114], 1.0
	v_fma_f64 v[113:114], v[113:114], v[115:116], v[113:114]
	v_fma_f64 v[115:116], -v[109:110], v[113:114], 1.0
	v_fma_f64 v[113:114], v[113:114], v[115:116], v[113:114]
	v_mul_f64 v[115:116], v[121:122], v[113:114]
	v_fma_f64 v[109:110], -v[109:110], v[115:116], v[121:122]
	v_div_fmas_f64 v[109:110], v[109:110], v[113:114], v[115:116]
	v_div_fixup_f64 v[121:122], v[109:110], v[107:108], 1.0
	v_mul_f64 v[123:124], v[105:106], -v[121:122]
.LBB58_261:
	s_or_b64 exec, exec, s[18:19]
.LBB58_262:
	s_or_b64 exec, exec, s[0:1]
	v_cmp_ne_u32_e32 vcc, v79, v77
	s_and_saveexec_b64 s[0:1], vcc
	s_xor_b64 s[0:1], exec, s[0:1]
	s_cbranch_execz .LBB58_268
; %bb.263:
	v_cmp_eq_u32_e32 vcc, 12, v79
	s_and_saveexec_b64 s[18:19], vcc
	s_cbranch_execz .LBB58_267
; %bb.264:
	v_cmp_ne_u32_e32 vcc, 12, v77
	s_xor_b64 s[20:21], s[6:7], -1
	s_and_b64 s[22:23], s[20:21], vcc
	s_and_saveexec_b64 s[20:21], s[22:23]
	s_cbranch_execz .LBB58_266
; %bb.265:
	buffer_load_dword v106, off, s[24:27], 0 offset:80 ; 4-byte Folded Reload
	buffer_load_dword v107, off, s[24:27], 0 offset:84 ; 4-byte Folded Reload
	v_ashrrev_i32_e32 v78, 31, v77
	v_lshlrev_b64 v[78:79], 2, v[77:78]
	s_waitcnt vmcnt(1)
	v_add_co_u32_e32 v78, vcc, v106, v78
	s_waitcnt vmcnt(0)
	v_addc_co_u32_e32 v79, vcc, v107, v79, vcc
	global_load_dword v0, v[78:79], off
	global_load_dword v105, v[106:107], off offset:48
	s_waitcnt vmcnt(1)
	global_store_dword v[106:107], v0, off offset:48
	s_waitcnt vmcnt(1)
	global_store_dword v[78:79], v105, off
.LBB58_266:
	s_or_b64 exec, exec, s[20:21]
	v_mov_b32_e32 v79, v77
	v_mov_b32_e32 v0, v77
.LBB58_267:
	s_or_b64 exec, exec, s[18:19]
.LBB58_268:
	s_andn2_saveexec_b64 s[0:1], s[0:1]
	s_cbranch_execz .LBB58_270
; %bb.269:
	v_mov_b32_e32 v79, 12
	ds_write2_b64 v127, v[61:62], v[63:64] offset0:26 offset1:27
	ds_write2_b64 v127, v[57:58], v[59:60] offset0:28 offset1:29
	;; [unrolled: 1-line block ×17, first 2 shown]
.LBB58_270:
	s_or_b64 exec, exec, s[0:1]
	v_cmp_lt_i32_e32 vcc, 12, v79
	s_waitcnt vmcnt(0) lgkmcnt(0)
	s_barrier
	s_and_saveexec_b64 s[0:1], vcc
	s_cbranch_execz .LBB58_272
; %bb.271:
	v_mul_f64 v[77:78], v[123:124], v[67:68]
	v_mul_f64 v[67:68], v[121:122], v[67:68]
	ds_read2_b64 v[105:108], v127 offset0:26 offset1:27
	v_fma_f64 v[125:126], v[121:122], v[65:66], -v[77:78]
	v_fma_f64 v[67:68], v[123:124], v[65:66], v[67:68]
	s_waitcnt lgkmcnt(0)
	v_mul_f64 v[65:66], v[107:108], v[67:68]
	v_mul_f64 v[77:78], v[105:106], v[67:68]
	v_fma_f64 v[65:66], v[105:106], v[125:126], -v[65:66]
	v_fma_f64 v[77:78], v[107:108], v[125:126], v[77:78]
	ds_read2_b64 v[105:108], v127 offset0:28 offset1:29
	v_add_f64 v[61:62], v[61:62], -v[65:66]
	v_add_f64 v[63:64], v[63:64], -v[77:78]
	s_waitcnt lgkmcnt(0)
	v_mul_f64 v[65:66], v[107:108], v[67:68]
	v_mul_f64 v[77:78], v[105:106], v[67:68]
	v_fma_f64 v[65:66], v[105:106], v[125:126], -v[65:66]
	v_fma_f64 v[77:78], v[107:108], v[125:126], v[77:78]
	ds_read2_b64 v[105:108], v127 offset0:30 offset1:31
	v_add_f64 v[57:58], v[57:58], -v[65:66]
	v_add_f64 v[59:60], v[59:60], -v[77:78]
	;; [unrolled: 8-line block ×16, first 2 shown]
	s_waitcnt lgkmcnt(0)
	v_mul_f64 v[65:66], v[107:108], v[67:68]
	v_mul_f64 v[77:78], v[105:106], v[67:68]
	v_fma_f64 v[65:66], v[105:106], v[125:126], -v[65:66]
	v_fma_f64 v[77:78], v[107:108], v[125:126], v[77:78]
	v_add_f64 v[117:118], v[117:118], -v[65:66]
	v_add_f64 v[119:120], v[119:120], -v[77:78]
	v_mov_b32_e32 v65, v125
	v_mov_b32_e32 v66, v126
.LBB58_272:
	s_or_b64 exec, exec, s[0:1]
	v_lshl_add_u32 v77, v79, 4, v127
	s_barrier
	ds_write2_b64 v77, v[61:62], v[63:64] offset1:1
	s_waitcnt lgkmcnt(0)
	s_barrier
	ds_read2_b64 v[121:124], v127 offset0:26 offset1:27
	s_cmp_lt_i32 s3, 15
	v_mov_b32_e32 v77, 13
	s_cbranch_scc1 .LBB58_275
; %bb.273:
	v_add_u32_e32 v78, 0xe0, v127
	s_mov_b32 s0, 14
	v_mov_b32_e32 v77, 13
.LBB58_274:                             ; =>This Inner Loop Header: Depth=1
	s_waitcnt lgkmcnt(0)
	v_cmp_gt_f64_e32 vcc, 0, v[121:122]
	v_xor_b32_e32 v109, 0x80000000, v122
	ds_read2_b64 v[105:108], v78 offset1:1
	v_xor_b32_e32 v113, 0x80000000, v124
	v_add_u32_e32 v78, 16, v78
	s_waitcnt lgkmcnt(0)
	v_xor_b32_e32 v115, 0x80000000, v108
	v_cndmask_b32_e32 v110, v122, v109, vcc
	v_cmp_gt_f64_e32 vcc, 0, v[123:124]
	v_mov_b32_e32 v109, v121
	v_cndmask_b32_e32 v114, v124, v113, vcc
	v_cmp_gt_f64_e32 vcc, 0, v[105:106]
	v_mov_b32_e32 v113, v123
	v_add_f64 v[109:110], v[109:110], v[113:114]
	v_xor_b32_e32 v113, 0x80000000, v106
	v_cndmask_b32_e32 v114, v106, v113, vcc
	v_cmp_gt_f64_e32 vcc, 0, v[107:108]
	v_mov_b32_e32 v113, v105
	v_cndmask_b32_e32 v116, v108, v115, vcc
	v_mov_b32_e32 v115, v107
	v_add_f64 v[113:114], v[113:114], v[115:116]
	v_cmp_lt_f64_e32 vcc, v[109:110], v[113:114]
	v_cndmask_b32_e32 v121, v121, v105, vcc
	v_mov_b32_e32 v105, s0
	s_add_i32 s0, s0, 1
	v_cndmask_b32_e32 v122, v122, v106, vcc
	v_cndmask_b32_e32 v124, v124, v108, vcc
	;; [unrolled: 1-line block ×4, first 2 shown]
	s_cmp_lg_u32 s3, s0
	s_cbranch_scc1 .LBB58_274
.LBB58_275:
	s_waitcnt lgkmcnt(0)
	v_cmp_eq_f64_e32 vcc, 0, v[121:122]
	v_cmp_eq_f64_e64 s[0:1], 0, v[123:124]
	s_and_b64 s[0:1], vcc, s[0:1]
	s_and_saveexec_b64 s[18:19], s[0:1]
	s_xor_b64 s[0:1], exec, s[18:19]
; %bb.276:
	v_cmp_ne_u32_e32 vcc, 0, v80
	v_cndmask_b32_e32 v80, 14, v80, vcc
; %bb.277:
	s_andn2_saveexec_b64 s[0:1], s[0:1]
	s_cbranch_execz .LBB58_283
; %bb.278:
	v_cmp_ngt_f64_e64 s[18:19], |v[121:122]|, |v[123:124]|
	s_and_saveexec_b64 s[20:21], s[18:19]
	s_xor_b64 s[18:19], exec, s[20:21]
	s_cbranch_execz .LBB58_280
; %bb.279:
	v_div_scale_f64 v[105:106], s[20:21], v[123:124], v[123:124], v[121:122]
	v_rcp_f64_e32 v[107:108], v[105:106]
	v_fma_f64 v[109:110], -v[105:106], v[107:108], 1.0
	v_fma_f64 v[107:108], v[107:108], v[109:110], v[107:108]
	v_div_scale_f64 v[109:110], vcc, v[121:122], v[123:124], v[121:122]
	v_fma_f64 v[113:114], -v[105:106], v[107:108], 1.0
	v_fma_f64 v[107:108], v[107:108], v[113:114], v[107:108]
	v_mul_f64 v[113:114], v[109:110], v[107:108]
	v_fma_f64 v[105:106], -v[105:106], v[113:114], v[109:110]
	v_div_fmas_f64 v[105:106], v[105:106], v[107:108], v[113:114]
	v_div_fixup_f64 v[105:106], v[105:106], v[123:124], v[121:122]
	v_fma_f64 v[107:108], v[121:122], v[105:106], v[123:124]
	v_div_scale_f64 v[109:110], s[20:21], v[107:108], v[107:108], 1.0
	v_div_scale_f64 v[121:122], vcc, 1.0, v[107:108], 1.0
	v_rcp_f64_e32 v[113:114], v[109:110]
	v_fma_f64 v[115:116], -v[109:110], v[113:114], 1.0
	v_fma_f64 v[113:114], v[113:114], v[115:116], v[113:114]
	v_fma_f64 v[115:116], -v[109:110], v[113:114], 1.0
	v_fma_f64 v[113:114], v[113:114], v[115:116], v[113:114]
	v_mul_f64 v[115:116], v[121:122], v[113:114]
	v_fma_f64 v[109:110], -v[109:110], v[115:116], v[121:122]
	v_div_fmas_f64 v[109:110], v[109:110], v[113:114], v[115:116]
	v_div_fixup_f64 v[123:124], v[109:110], v[107:108], 1.0
	v_mul_f64 v[121:122], v[105:106], v[123:124]
	v_xor_b32_e32 v124, 0x80000000, v124
.LBB58_280:
	s_andn2_saveexec_b64 s[18:19], s[18:19]
	s_cbranch_execz .LBB58_282
; %bb.281:
	v_div_scale_f64 v[105:106], s[20:21], v[121:122], v[121:122], v[123:124]
	v_rcp_f64_e32 v[107:108], v[105:106]
	v_fma_f64 v[109:110], -v[105:106], v[107:108], 1.0
	v_fma_f64 v[107:108], v[107:108], v[109:110], v[107:108]
	v_div_scale_f64 v[109:110], vcc, v[123:124], v[121:122], v[123:124]
	v_fma_f64 v[113:114], -v[105:106], v[107:108], 1.0
	v_fma_f64 v[107:108], v[107:108], v[113:114], v[107:108]
	v_mul_f64 v[113:114], v[109:110], v[107:108]
	v_fma_f64 v[105:106], -v[105:106], v[113:114], v[109:110]
	v_div_fmas_f64 v[105:106], v[105:106], v[107:108], v[113:114]
	v_div_fixup_f64 v[105:106], v[105:106], v[121:122], v[123:124]
	v_fma_f64 v[107:108], v[123:124], v[105:106], v[121:122]
	v_div_scale_f64 v[109:110], s[20:21], v[107:108], v[107:108], 1.0
	v_div_scale_f64 v[121:122], vcc, 1.0, v[107:108], 1.0
	v_rcp_f64_e32 v[113:114], v[109:110]
	v_fma_f64 v[115:116], -v[109:110], v[113:114], 1.0
	v_fma_f64 v[113:114], v[113:114], v[115:116], v[113:114]
	v_fma_f64 v[115:116], -v[109:110], v[113:114], 1.0
	v_fma_f64 v[113:114], v[113:114], v[115:116], v[113:114]
	v_mul_f64 v[115:116], v[121:122], v[113:114]
	v_fma_f64 v[109:110], -v[109:110], v[115:116], v[121:122]
	v_div_fmas_f64 v[109:110], v[109:110], v[113:114], v[115:116]
	v_div_fixup_f64 v[121:122], v[109:110], v[107:108], 1.0
	v_mul_f64 v[123:124], v[105:106], -v[121:122]
.LBB58_282:
	s_or_b64 exec, exec, s[18:19]
.LBB58_283:
	s_or_b64 exec, exec, s[0:1]
	v_cmp_ne_u32_e32 vcc, v79, v77
	s_and_saveexec_b64 s[0:1], vcc
	s_xor_b64 s[0:1], exec, s[0:1]
	s_cbranch_execz .LBB58_289
; %bb.284:
	v_cmp_eq_u32_e32 vcc, 13, v79
	s_and_saveexec_b64 s[18:19], vcc
	s_cbranch_execz .LBB58_288
; %bb.285:
	v_cmp_ne_u32_e32 vcc, 13, v77
	s_xor_b64 s[20:21], s[6:7], -1
	s_and_b64 s[22:23], s[20:21], vcc
	s_and_saveexec_b64 s[20:21], s[22:23]
	s_cbranch_execz .LBB58_287
; %bb.286:
	buffer_load_dword v106, off, s[24:27], 0 offset:80 ; 4-byte Folded Reload
	buffer_load_dword v107, off, s[24:27], 0 offset:84 ; 4-byte Folded Reload
	v_ashrrev_i32_e32 v78, 31, v77
	v_lshlrev_b64 v[78:79], 2, v[77:78]
	s_waitcnt vmcnt(1)
	v_add_co_u32_e32 v78, vcc, v106, v78
	s_waitcnt vmcnt(0)
	v_addc_co_u32_e32 v79, vcc, v107, v79, vcc
	global_load_dword v0, v[78:79], off
	global_load_dword v105, v[106:107], off offset:52
	s_waitcnt vmcnt(1)
	global_store_dword v[106:107], v0, off offset:52
	s_waitcnt vmcnt(1)
	global_store_dword v[78:79], v105, off
.LBB58_287:
	s_or_b64 exec, exec, s[20:21]
	v_mov_b32_e32 v79, v77
	v_mov_b32_e32 v0, v77
.LBB58_288:
	s_or_b64 exec, exec, s[18:19]
.LBB58_289:
	s_andn2_saveexec_b64 s[0:1], s[0:1]
	s_cbranch_execz .LBB58_291
; %bb.290:
	v_mov_b32_e32 v79, 13
	ds_write2_b64 v127, v[57:58], v[59:60] offset0:28 offset1:29
	ds_write2_b64 v127, v[53:54], v[55:56] offset0:30 offset1:31
	ds_write2_b64 v127, v[49:50], v[51:52] offset0:32 offset1:33
	ds_write2_b64 v127, v[45:46], v[47:48] offset0:34 offset1:35
	ds_write2_b64 v127, v[41:42], v[43:44] offset0:36 offset1:37
	ds_write2_b64 v127, v[37:38], v[39:40] offset0:38 offset1:39
	ds_write2_b64 v127, v[33:34], v[35:36] offset0:40 offset1:41
	ds_write2_b64 v127, v[29:30], v[31:32] offset0:42 offset1:43
	ds_write2_b64 v127, v[25:26], v[27:28] offset0:44 offset1:45
	ds_write2_b64 v127, v[21:22], v[23:24] offset0:46 offset1:47
	ds_write2_b64 v127, v[17:18], v[19:20] offset0:48 offset1:49
	ds_write2_b64 v127, v[13:14], v[15:16] offset0:50 offset1:51
	ds_write2_b64 v127, v[9:10], v[11:12] offset0:52 offset1:53
	ds_write2_b64 v127, v[5:6], v[7:8] offset0:54 offset1:55
	ds_write2_b64 v127, v[1:2], v[3:4] offset0:56 offset1:57
	ds_write2_b64 v127, v[117:118], v[119:120] offset0:58 offset1:59
.LBB58_291:
	s_or_b64 exec, exec, s[0:1]
	v_cmp_lt_i32_e32 vcc, 13, v79
	s_waitcnt vmcnt(0) lgkmcnt(0)
	s_barrier
	s_and_saveexec_b64 s[0:1], vcc
	s_cbranch_execz .LBB58_293
; %bb.292:
	v_mul_f64 v[77:78], v[121:122], v[63:64]
	v_mul_f64 v[63:64], v[123:124], v[63:64]
	ds_read2_b64 v[105:108], v127 offset0:28 offset1:29
	v_fma_f64 v[125:126], v[123:124], v[61:62], v[77:78]
	v_fma_f64 v[61:62], v[121:122], v[61:62], -v[63:64]
	s_waitcnt lgkmcnt(0)
	v_mul_f64 v[63:64], v[107:108], v[125:126]
	v_mul_f64 v[77:78], v[105:106], v[125:126]
	v_fma_f64 v[63:64], v[105:106], v[61:62], -v[63:64]
	v_fma_f64 v[77:78], v[107:108], v[61:62], v[77:78]
	ds_read2_b64 v[105:108], v127 offset0:30 offset1:31
	v_add_f64 v[57:58], v[57:58], -v[63:64]
	v_add_f64 v[59:60], v[59:60], -v[77:78]
	s_waitcnt lgkmcnt(0)
	v_mul_f64 v[63:64], v[107:108], v[125:126]
	v_mul_f64 v[77:78], v[105:106], v[125:126]
	v_fma_f64 v[63:64], v[105:106], v[61:62], -v[63:64]
	v_fma_f64 v[77:78], v[107:108], v[61:62], v[77:78]
	ds_read2_b64 v[105:108], v127 offset0:32 offset1:33
	v_add_f64 v[53:54], v[53:54], -v[63:64]
	v_add_f64 v[55:56], v[55:56], -v[77:78]
	;; [unrolled: 8-line block ×15, first 2 shown]
	s_waitcnt lgkmcnt(0)
	v_mul_f64 v[63:64], v[107:108], v[125:126]
	v_mul_f64 v[77:78], v[105:106], v[125:126]
	v_fma_f64 v[63:64], v[105:106], v[61:62], -v[63:64]
	v_fma_f64 v[77:78], v[107:108], v[61:62], v[77:78]
	v_add_f64 v[117:118], v[117:118], -v[63:64]
	v_add_f64 v[119:120], v[119:120], -v[77:78]
	v_mov_b32_e32 v63, v125
	v_mov_b32_e32 v64, v126
.LBB58_293:
	s_or_b64 exec, exec, s[0:1]
	v_lshl_add_u32 v77, v79, 4, v127
	s_barrier
	ds_write2_b64 v77, v[57:58], v[59:60] offset1:1
	s_waitcnt lgkmcnt(0)
	s_barrier
	ds_read2_b64 v[121:124], v127 offset0:28 offset1:29
	s_cmp_lt_i32 s3, 16
	v_mov_b32_e32 v77, 14
	s_cbranch_scc1 .LBB58_296
; %bb.294:
	v_add_u32_e32 v78, 0xf0, v127
	s_mov_b32 s0, 15
	v_mov_b32_e32 v77, 14
.LBB58_295:                             ; =>This Inner Loop Header: Depth=1
	s_waitcnt lgkmcnt(0)
	v_cmp_gt_f64_e32 vcc, 0, v[121:122]
	v_xor_b32_e32 v109, 0x80000000, v122
	ds_read2_b64 v[105:108], v78 offset1:1
	v_xor_b32_e32 v113, 0x80000000, v124
	v_add_u32_e32 v78, 16, v78
	s_waitcnt lgkmcnt(0)
	v_xor_b32_e32 v115, 0x80000000, v108
	v_cndmask_b32_e32 v110, v122, v109, vcc
	v_cmp_gt_f64_e32 vcc, 0, v[123:124]
	v_mov_b32_e32 v109, v121
	v_cndmask_b32_e32 v114, v124, v113, vcc
	v_cmp_gt_f64_e32 vcc, 0, v[105:106]
	v_mov_b32_e32 v113, v123
	v_add_f64 v[109:110], v[109:110], v[113:114]
	v_xor_b32_e32 v113, 0x80000000, v106
	v_cndmask_b32_e32 v114, v106, v113, vcc
	v_cmp_gt_f64_e32 vcc, 0, v[107:108]
	v_mov_b32_e32 v113, v105
	v_cndmask_b32_e32 v116, v108, v115, vcc
	v_mov_b32_e32 v115, v107
	v_add_f64 v[113:114], v[113:114], v[115:116]
	v_cmp_lt_f64_e32 vcc, v[109:110], v[113:114]
	v_cndmask_b32_e32 v121, v121, v105, vcc
	v_mov_b32_e32 v105, s0
	s_add_i32 s0, s0, 1
	v_cndmask_b32_e32 v122, v122, v106, vcc
	v_cndmask_b32_e32 v124, v124, v108, vcc
	;; [unrolled: 1-line block ×4, first 2 shown]
	s_cmp_lg_u32 s3, s0
	s_cbranch_scc1 .LBB58_295
.LBB58_296:
	s_waitcnt lgkmcnt(0)
	v_cmp_eq_f64_e32 vcc, 0, v[121:122]
	v_cmp_eq_f64_e64 s[0:1], 0, v[123:124]
	s_and_b64 s[0:1], vcc, s[0:1]
	s_and_saveexec_b64 s[18:19], s[0:1]
	s_xor_b64 s[0:1], exec, s[18:19]
; %bb.297:
	v_cmp_ne_u32_e32 vcc, 0, v80
	v_cndmask_b32_e32 v80, 15, v80, vcc
; %bb.298:
	s_andn2_saveexec_b64 s[0:1], s[0:1]
	s_cbranch_execz .LBB58_304
; %bb.299:
	v_cmp_ngt_f64_e64 s[18:19], |v[121:122]|, |v[123:124]|
	s_and_saveexec_b64 s[20:21], s[18:19]
	s_xor_b64 s[18:19], exec, s[20:21]
	s_cbranch_execz .LBB58_301
; %bb.300:
	v_div_scale_f64 v[105:106], s[20:21], v[123:124], v[123:124], v[121:122]
	v_rcp_f64_e32 v[107:108], v[105:106]
	v_fma_f64 v[109:110], -v[105:106], v[107:108], 1.0
	v_fma_f64 v[107:108], v[107:108], v[109:110], v[107:108]
	v_div_scale_f64 v[109:110], vcc, v[121:122], v[123:124], v[121:122]
	v_fma_f64 v[113:114], -v[105:106], v[107:108], 1.0
	v_fma_f64 v[107:108], v[107:108], v[113:114], v[107:108]
	v_mul_f64 v[113:114], v[109:110], v[107:108]
	v_fma_f64 v[105:106], -v[105:106], v[113:114], v[109:110]
	v_div_fmas_f64 v[105:106], v[105:106], v[107:108], v[113:114]
	v_div_fixup_f64 v[105:106], v[105:106], v[123:124], v[121:122]
	v_fma_f64 v[107:108], v[121:122], v[105:106], v[123:124]
	v_div_scale_f64 v[109:110], s[20:21], v[107:108], v[107:108], 1.0
	v_div_scale_f64 v[121:122], vcc, 1.0, v[107:108], 1.0
	v_rcp_f64_e32 v[113:114], v[109:110]
	v_fma_f64 v[115:116], -v[109:110], v[113:114], 1.0
	v_fma_f64 v[113:114], v[113:114], v[115:116], v[113:114]
	v_fma_f64 v[115:116], -v[109:110], v[113:114], 1.0
	v_fma_f64 v[113:114], v[113:114], v[115:116], v[113:114]
	v_mul_f64 v[115:116], v[121:122], v[113:114]
	v_fma_f64 v[109:110], -v[109:110], v[115:116], v[121:122]
	v_div_fmas_f64 v[109:110], v[109:110], v[113:114], v[115:116]
	v_div_fixup_f64 v[123:124], v[109:110], v[107:108], 1.0
	v_mul_f64 v[121:122], v[105:106], v[123:124]
	v_xor_b32_e32 v124, 0x80000000, v124
.LBB58_301:
	s_andn2_saveexec_b64 s[18:19], s[18:19]
	s_cbranch_execz .LBB58_303
; %bb.302:
	v_div_scale_f64 v[105:106], s[20:21], v[121:122], v[121:122], v[123:124]
	v_rcp_f64_e32 v[107:108], v[105:106]
	v_fma_f64 v[109:110], -v[105:106], v[107:108], 1.0
	v_fma_f64 v[107:108], v[107:108], v[109:110], v[107:108]
	v_div_scale_f64 v[109:110], vcc, v[123:124], v[121:122], v[123:124]
	v_fma_f64 v[113:114], -v[105:106], v[107:108], 1.0
	v_fma_f64 v[107:108], v[107:108], v[113:114], v[107:108]
	v_mul_f64 v[113:114], v[109:110], v[107:108]
	v_fma_f64 v[105:106], -v[105:106], v[113:114], v[109:110]
	v_div_fmas_f64 v[105:106], v[105:106], v[107:108], v[113:114]
	v_div_fixup_f64 v[105:106], v[105:106], v[121:122], v[123:124]
	v_fma_f64 v[107:108], v[123:124], v[105:106], v[121:122]
	v_div_scale_f64 v[109:110], s[20:21], v[107:108], v[107:108], 1.0
	v_div_scale_f64 v[121:122], vcc, 1.0, v[107:108], 1.0
	v_rcp_f64_e32 v[113:114], v[109:110]
	v_fma_f64 v[115:116], -v[109:110], v[113:114], 1.0
	v_fma_f64 v[113:114], v[113:114], v[115:116], v[113:114]
	v_fma_f64 v[115:116], -v[109:110], v[113:114], 1.0
	v_fma_f64 v[113:114], v[113:114], v[115:116], v[113:114]
	v_mul_f64 v[115:116], v[121:122], v[113:114]
	v_fma_f64 v[109:110], -v[109:110], v[115:116], v[121:122]
	v_div_fmas_f64 v[109:110], v[109:110], v[113:114], v[115:116]
	v_div_fixup_f64 v[121:122], v[109:110], v[107:108], 1.0
	v_mul_f64 v[123:124], v[105:106], -v[121:122]
.LBB58_303:
	s_or_b64 exec, exec, s[18:19]
.LBB58_304:
	s_or_b64 exec, exec, s[0:1]
	v_cmp_ne_u32_e32 vcc, v79, v77
	s_and_saveexec_b64 s[0:1], vcc
	s_xor_b64 s[0:1], exec, s[0:1]
	s_cbranch_execz .LBB58_310
; %bb.305:
	v_cmp_eq_u32_e32 vcc, 14, v79
	s_and_saveexec_b64 s[18:19], vcc
	s_cbranch_execz .LBB58_309
; %bb.306:
	v_cmp_ne_u32_e32 vcc, 14, v77
	s_xor_b64 s[20:21], s[6:7], -1
	s_and_b64 s[22:23], s[20:21], vcc
	s_and_saveexec_b64 s[20:21], s[22:23]
	s_cbranch_execz .LBB58_308
; %bb.307:
	buffer_load_dword v106, off, s[24:27], 0 offset:80 ; 4-byte Folded Reload
	buffer_load_dword v107, off, s[24:27], 0 offset:84 ; 4-byte Folded Reload
	v_ashrrev_i32_e32 v78, 31, v77
	v_lshlrev_b64 v[78:79], 2, v[77:78]
	s_waitcnt vmcnt(1)
	v_add_co_u32_e32 v78, vcc, v106, v78
	s_waitcnt vmcnt(0)
	v_addc_co_u32_e32 v79, vcc, v107, v79, vcc
	global_load_dword v0, v[78:79], off
	global_load_dword v105, v[106:107], off offset:56
	s_waitcnt vmcnt(1)
	global_store_dword v[106:107], v0, off offset:56
	s_waitcnt vmcnt(1)
	global_store_dword v[78:79], v105, off
.LBB58_308:
	s_or_b64 exec, exec, s[20:21]
	v_mov_b32_e32 v79, v77
	v_mov_b32_e32 v0, v77
.LBB58_309:
	s_or_b64 exec, exec, s[18:19]
.LBB58_310:
	s_andn2_saveexec_b64 s[0:1], s[0:1]
	s_cbranch_execz .LBB58_312
; %bb.311:
	v_mov_b32_e32 v79, 14
	ds_write2_b64 v127, v[53:54], v[55:56] offset0:30 offset1:31
	ds_write2_b64 v127, v[49:50], v[51:52] offset0:32 offset1:33
	;; [unrolled: 1-line block ×15, first 2 shown]
.LBB58_312:
	s_or_b64 exec, exec, s[0:1]
	v_cmp_lt_i32_e32 vcc, 14, v79
	s_waitcnt vmcnt(0) lgkmcnt(0)
	s_barrier
	s_and_saveexec_b64 s[0:1], vcc
	s_cbranch_execz .LBB58_314
; %bb.313:
	v_mul_f64 v[77:78], v[121:122], v[59:60]
	v_mul_f64 v[59:60], v[123:124], v[59:60]
	ds_read2_b64 v[105:108], v127 offset0:30 offset1:31
	v_fma_f64 v[125:126], v[123:124], v[57:58], v[77:78]
	v_fma_f64 v[57:58], v[121:122], v[57:58], -v[59:60]
	s_waitcnt lgkmcnt(0)
	v_mul_f64 v[59:60], v[107:108], v[125:126]
	v_mul_f64 v[77:78], v[105:106], v[125:126]
	v_fma_f64 v[59:60], v[105:106], v[57:58], -v[59:60]
	v_fma_f64 v[77:78], v[107:108], v[57:58], v[77:78]
	ds_read2_b64 v[105:108], v127 offset0:32 offset1:33
	v_add_f64 v[53:54], v[53:54], -v[59:60]
	v_add_f64 v[55:56], v[55:56], -v[77:78]
	s_waitcnt lgkmcnt(0)
	v_mul_f64 v[59:60], v[107:108], v[125:126]
	v_mul_f64 v[77:78], v[105:106], v[125:126]
	v_fma_f64 v[59:60], v[105:106], v[57:58], -v[59:60]
	v_fma_f64 v[77:78], v[107:108], v[57:58], v[77:78]
	ds_read2_b64 v[105:108], v127 offset0:34 offset1:35
	v_add_f64 v[49:50], v[49:50], -v[59:60]
	v_add_f64 v[51:52], v[51:52], -v[77:78]
	;; [unrolled: 8-line block ×14, first 2 shown]
	s_waitcnt lgkmcnt(0)
	v_mul_f64 v[59:60], v[107:108], v[125:126]
	v_mul_f64 v[77:78], v[105:106], v[125:126]
	v_fma_f64 v[59:60], v[105:106], v[57:58], -v[59:60]
	v_fma_f64 v[77:78], v[107:108], v[57:58], v[77:78]
	v_add_f64 v[117:118], v[117:118], -v[59:60]
	v_add_f64 v[119:120], v[119:120], -v[77:78]
	v_mov_b32_e32 v59, v125
	v_mov_b32_e32 v60, v126
.LBB58_314:
	s_or_b64 exec, exec, s[0:1]
	v_lshl_add_u32 v77, v79, 4, v127
	s_barrier
	ds_write2_b64 v77, v[53:54], v[55:56] offset1:1
	s_waitcnt lgkmcnt(0)
	s_barrier
	ds_read2_b64 v[121:124], v127 offset0:30 offset1:31
	s_cmp_lt_i32 s3, 17
	v_mov_b32_e32 v77, 15
	s_cbranch_scc1 .LBB58_317
; %bb.315:
	v_add_u32_e32 v78, 0x100, v127
	s_mov_b32 s0, 16
	v_mov_b32_e32 v77, 15
.LBB58_316:                             ; =>This Inner Loop Header: Depth=1
	s_waitcnt lgkmcnt(0)
	v_cmp_gt_f64_e32 vcc, 0, v[121:122]
	v_xor_b32_e32 v109, 0x80000000, v122
	ds_read2_b64 v[105:108], v78 offset1:1
	v_xor_b32_e32 v113, 0x80000000, v124
	v_add_u32_e32 v78, 16, v78
	s_waitcnt lgkmcnt(0)
	v_xor_b32_e32 v115, 0x80000000, v108
	v_cndmask_b32_e32 v110, v122, v109, vcc
	v_cmp_gt_f64_e32 vcc, 0, v[123:124]
	v_mov_b32_e32 v109, v121
	v_cndmask_b32_e32 v114, v124, v113, vcc
	v_cmp_gt_f64_e32 vcc, 0, v[105:106]
	v_mov_b32_e32 v113, v123
	v_add_f64 v[109:110], v[109:110], v[113:114]
	v_xor_b32_e32 v113, 0x80000000, v106
	v_cndmask_b32_e32 v114, v106, v113, vcc
	v_cmp_gt_f64_e32 vcc, 0, v[107:108]
	v_mov_b32_e32 v113, v105
	v_cndmask_b32_e32 v116, v108, v115, vcc
	v_mov_b32_e32 v115, v107
	v_add_f64 v[113:114], v[113:114], v[115:116]
	v_cmp_lt_f64_e32 vcc, v[109:110], v[113:114]
	v_cndmask_b32_e32 v121, v121, v105, vcc
	v_mov_b32_e32 v105, s0
	s_add_i32 s0, s0, 1
	v_cndmask_b32_e32 v122, v122, v106, vcc
	v_cndmask_b32_e32 v124, v124, v108, vcc
	v_cndmask_b32_e32 v123, v123, v107, vcc
	v_cndmask_b32_e32 v77, v77, v105, vcc
	s_cmp_lg_u32 s3, s0
	s_cbranch_scc1 .LBB58_316
.LBB58_317:
	s_waitcnt lgkmcnt(0)
	v_cmp_eq_f64_e32 vcc, 0, v[121:122]
	v_cmp_eq_f64_e64 s[0:1], 0, v[123:124]
	s_and_b64 s[0:1], vcc, s[0:1]
	s_and_saveexec_b64 s[18:19], s[0:1]
	s_xor_b64 s[0:1], exec, s[18:19]
; %bb.318:
	v_cmp_ne_u32_e32 vcc, 0, v80
	v_cndmask_b32_e32 v80, 16, v80, vcc
; %bb.319:
	s_andn2_saveexec_b64 s[0:1], s[0:1]
	s_cbranch_execz .LBB58_325
; %bb.320:
	v_cmp_ngt_f64_e64 s[18:19], |v[121:122]|, |v[123:124]|
	s_and_saveexec_b64 s[20:21], s[18:19]
	s_xor_b64 s[18:19], exec, s[20:21]
	s_cbranch_execz .LBB58_322
; %bb.321:
	v_div_scale_f64 v[105:106], s[20:21], v[123:124], v[123:124], v[121:122]
	v_rcp_f64_e32 v[107:108], v[105:106]
	v_fma_f64 v[109:110], -v[105:106], v[107:108], 1.0
	v_fma_f64 v[107:108], v[107:108], v[109:110], v[107:108]
	v_div_scale_f64 v[109:110], vcc, v[121:122], v[123:124], v[121:122]
	v_fma_f64 v[113:114], -v[105:106], v[107:108], 1.0
	v_fma_f64 v[107:108], v[107:108], v[113:114], v[107:108]
	v_mul_f64 v[113:114], v[109:110], v[107:108]
	v_fma_f64 v[105:106], -v[105:106], v[113:114], v[109:110]
	v_div_fmas_f64 v[105:106], v[105:106], v[107:108], v[113:114]
	v_div_fixup_f64 v[105:106], v[105:106], v[123:124], v[121:122]
	v_fma_f64 v[107:108], v[121:122], v[105:106], v[123:124]
	v_div_scale_f64 v[109:110], s[20:21], v[107:108], v[107:108], 1.0
	v_div_scale_f64 v[121:122], vcc, 1.0, v[107:108], 1.0
	v_rcp_f64_e32 v[113:114], v[109:110]
	v_fma_f64 v[115:116], -v[109:110], v[113:114], 1.0
	v_fma_f64 v[113:114], v[113:114], v[115:116], v[113:114]
	v_fma_f64 v[115:116], -v[109:110], v[113:114], 1.0
	v_fma_f64 v[113:114], v[113:114], v[115:116], v[113:114]
	v_mul_f64 v[115:116], v[121:122], v[113:114]
	v_fma_f64 v[109:110], -v[109:110], v[115:116], v[121:122]
	v_div_fmas_f64 v[109:110], v[109:110], v[113:114], v[115:116]
	v_div_fixup_f64 v[123:124], v[109:110], v[107:108], 1.0
	v_mul_f64 v[121:122], v[105:106], v[123:124]
	v_xor_b32_e32 v124, 0x80000000, v124
.LBB58_322:
	s_andn2_saveexec_b64 s[18:19], s[18:19]
	s_cbranch_execz .LBB58_324
; %bb.323:
	v_div_scale_f64 v[105:106], s[20:21], v[121:122], v[121:122], v[123:124]
	v_rcp_f64_e32 v[107:108], v[105:106]
	v_fma_f64 v[109:110], -v[105:106], v[107:108], 1.0
	v_fma_f64 v[107:108], v[107:108], v[109:110], v[107:108]
	v_div_scale_f64 v[109:110], vcc, v[123:124], v[121:122], v[123:124]
	v_fma_f64 v[113:114], -v[105:106], v[107:108], 1.0
	v_fma_f64 v[107:108], v[107:108], v[113:114], v[107:108]
	v_mul_f64 v[113:114], v[109:110], v[107:108]
	v_fma_f64 v[105:106], -v[105:106], v[113:114], v[109:110]
	v_div_fmas_f64 v[105:106], v[105:106], v[107:108], v[113:114]
	v_div_fixup_f64 v[105:106], v[105:106], v[121:122], v[123:124]
	v_fma_f64 v[107:108], v[123:124], v[105:106], v[121:122]
	v_div_scale_f64 v[109:110], s[20:21], v[107:108], v[107:108], 1.0
	v_div_scale_f64 v[121:122], vcc, 1.0, v[107:108], 1.0
	v_rcp_f64_e32 v[113:114], v[109:110]
	v_fma_f64 v[115:116], -v[109:110], v[113:114], 1.0
	v_fma_f64 v[113:114], v[113:114], v[115:116], v[113:114]
	v_fma_f64 v[115:116], -v[109:110], v[113:114], 1.0
	v_fma_f64 v[113:114], v[113:114], v[115:116], v[113:114]
	v_mul_f64 v[115:116], v[121:122], v[113:114]
	v_fma_f64 v[109:110], -v[109:110], v[115:116], v[121:122]
	v_div_fmas_f64 v[109:110], v[109:110], v[113:114], v[115:116]
	v_div_fixup_f64 v[121:122], v[109:110], v[107:108], 1.0
	v_mul_f64 v[123:124], v[105:106], -v[121:122]
.LBB58_324:
	s_or_b64 exec, exec, s[18:19]
.LBB58_325:
	s_or_b64 exec, exec, s[0:1]
	v_cmp_ne_u32_e32 vcc, v79, v77
	s_and_saveexec_b64 s[0:1], vcc
	s_xor_b64 s[0:1], exec, s[0:1]
	s_cbranch_execz .LBB58_331
; %bb.326:
	v_cmp_eq_u32_e32 vcc, 15, v79
	s_and_saveexec_b64 s[18:19], vcc
	s_cbranch_execz .LBB58_330
; %bb.327:
	v_cmp_ne_u32_e32 vcc, 15, v77
	s_xor_b64 s[20:21], s[6:7], -1
	s_and_b64 s[22:23], s[20:21], vcc
	s_and_saveexec_b64 s[20:21], s[22:23]
	s_cbranch_execz .LBB58_329
; %bb.328:
	buffer_load_dword v106, off, s[24:27], 0 offset:80 ; 4-byte Folded Reload
	buffer_load_dword v107, off, s[24:27], 0 offset:84 ; 4-byte Folded Reload
	v_ashrrev_i32_e32 v78, 31, v77
	v_lshlrev_b64 v[78:79], 2, v[77:78]
	s_waitcnt vmcnt(1)
	v_add_co_u32_e32 v78, vcc, v106, v78
	s_waitcnt vmcnt(0)
	v_addc_co_u32_e32 v79, vcc, v107, v79, vcc
	global_load_dword v0, v[78:79], off
	global_load_dword v105, v[106:107], off offset:60
	s_waitcnt vmcnt(1)
	global_store_dword v[106:107], v0, off offset:60
	s_waitcnt vmcnt(1)
	global_store_dword v[78:79], v105, off
.LBB58_329:
	s_or_b64 exec, exec, s[20:21]
	v_mov_b32_e32 v79, v77
	v_mov_b32_e32 v0, v77
.LBB58_330:
	s_or_b64 exec, exec, s[18:19]
.LBB58_331:
	s_andn2_saveexec_b64 s[0:1], s[0:1]
	s_cbranch_execz .LBB58_333
; %bb.332:
	v_mov_b32_e32 v79, 15
	ds_write2_b64 v127, v[49:50], v[51:52] offset0:32 offset1:33
	ds_write2_b64 v127, v[45:46], v[47:48] offset0:34 offset1:35
	;; [unrolled: 1-line block ×14, first 2 shown]
.LBB58_333:
	s_or_b64 exec, exec, s[0:1]
	v_cmp_lt_i32_e32 vcc, 15, v79
	s_waitcnt vmcnt(0) lgkmcnt(0)
	s_barrier
	s_and_saveexec_b64 s[0:1], vcc
	s_cbranch_execz .LBB58_335
; %bb.334:
	v_mul_f64 v[77:78], v[121:122], v[55:56]
	v_mul_f64 v[55:56], v[123:124], v[55:56]
	ds_read2_b64 v[105:108], v127 offset0:32 offset1:33
	v_fma_f64 v[77:78], v[123:124], v[53:54], v[77:78]
	v_fma_f64 v[53:54], v[121:122], v[53:54], -v[55:56]
	s_waitcnt lgkmcnt(0)
	v_mul_f64 v[55:56], v[107:108], v[77:78]
	v_fma_f64 v[55:56], v[105:106], v[53:54], -v[55:56]
	v_mul_f64 v[105:106], v[105:106], v[77:78]
	v_add_f64 v[49:50], v[49:50], -v[55:56]
	v_fma_f64 v[105:106], v[107:108], v[53:54], v[105:106]
	v_add_f64 v[51:52], v[51:52], -v[105:106]
	ds_read2_b64 v[105:108], v127 offset0:34 offset1:35
	s_waitcnt lgkmcnt(0)
	v_mul_f64 v[55:56], v[107:108], v[77:78]
	v_fma_f64 v[55:56], v[105:106], v[53:54], -v[55:56]
	v_mul_f64 v[105:106], v[105:106], v[77:78]
	v_add_f64 v[45:46], v[45:46], -v[55:56]
	v_fma_f64 v[105:106], v[107:108], v[53:54], v[105:106]
	v_add_f64 v[47:48], v[47:48], -v[105:106]
	ds_read2_b64 v[105:108], v127 offset0:36 offset1:37
	s_waitcnt lgkmcnt(0)
	v_mul_f64 v[55:56], v[107:108], v[77:78]
	v_fma_f64 v[55:56], v[105:106], v[53:54], -v[55:56]
	v_mul_f64 v[105:106], v[105:106], v[77:78]
	v_add_f64 v[41:42], v[41:42], -v[55:56]
	v_fma_f64 v[105:106], v[107:108], v[53:54], v[105:106]
	v_add_f64 v[43:44], v[43:44], -v[105:106]
	ds_read2_b64 v[105:108], v127 offset0:38 offset1:39
	s_waitcnt lgkmcnt(0)
	v_mul_f64 v[55:56], v[107:108], v[77:78]
	v_fma_f64 v[55:56], v[105:106], v[53:54], -v[55:56]
	v_mul_f64 v[105:106], v[105:106], v[77:78]
	v_add_f64 v[37:38], v[37:38], -v[55:56]
	v_fma_f64 v[105:106], v[107:108], v[53:54], v[105:106]
	v_add_f64 v[39:40], v[39:40], -v[105:106]
	ds_read2_b64 v[105:108], v127 offset0:40 offset1:41
	s_waitcnt lgkmcnt(0)
	v_mul_f64 v[55:56], v[107:108], v[77:78]
	v_fma_f64 v[55:56], v[105:106], v[53:54], -v[55:56]
	v_mul_f64 v[105:106], v[105:106], v[77:78]
	v_add_f64 v[33:34], v[33:34], -v[55:56]
	v_fma_f64 v[105:106], v[107:108], v[53:54], v[105:106]
	v_add_f64 v[35:36], v[35:36], -v[105:106]
	ds_read2_b64 v[105:108], v127 offset0:42 offset1:43
	s_waitcnt lgkmcnt(0)
	v_mul_f64 v[55:56], v[107:108], v[77:78]
	v_fma_f64 v[55:56], v[105:106], v[53:54], -v[55:56]
	v_mul_f64 v[105:106], v[105:106], v[77:78]
	v_add_f64 v[29:30], v[29:30], -v[55:56]
	v_fma_f64 v[105:106], v[107:108], v[53:54], v[105:106]
	v_add_f64 v[31:32], v[31:32], -v[105:106]
	ds_read2_b64 v[105:108], v127 offset0:44 offset1:45
	s_waitcnt lgkmcnt(0)
	v_mul_f64 v[55:56], v[107:108], v[77:78]
	v_fma_f64 v[55:56], v[105:106], v[53:54], -v[55:56]
	v_mul_f64 v[105:106], v[105:106], v[77:78]
	v_add_f64 v[25:26], v[25:26], -v[55:56]
	v_fma_f64 v[105:106], v[107:108], v[53:54], v[105:106]
	v_add_f64 v[27:28], v[27:28], -v[105:106]
	ds_read2_b64 v[105:108], v127 offset0:46 offset1:47
	s_waitcnt lgkmcnt(0)
	v_mul_f64 v[55:56], v[107:108], v[77:78]
	v_fma_f64 v[55:56], v[105:106], v[53:54], -v[55:56]
	v_mul_f64 v[105:106], v[105:106], v[77:78]
	v_add_f64 v[21:22], v[21:22], -v[55:56]
	v_fma_f64 v[105:106], v[107:108], v[53:54], v[105:106]
	v_add_f64 v[23:24], v[23:24], -v[105:106]
	ds_read2_b64 v[105:108], v127 offset0:48 offset1:49
	s_waitcnt lgkmcnt(0)
	v_mul_f64 v[55:56], v[107:108], v[77:78]
	v_fma_f64 v[55:56], v[105:106], v[53:54], -v[55:56]
	v_mul_f64 v[105:106], v[105:106], v[77:78]
	v_add_f64 v[17:18], v[17:18], -v[55:56]
	v_fma_f64 v[105:106], v[107:108], v[53:54], v[105:106]
	v_add_f64 v[19:20], v[19:20], -v[105:106]
	ds_read2_b64 v[105:108], v127 offset0:50 offset1:51
	s_waitcnt lgkmcnt(0)
	v_mul_f64 v[55:56], v[107:108], v[77:78]
	v_fma_f64 v[55:56], v[105:106], v[53:54], -v[55:56]
	v_mul_f64 v[105:106], v[105:106], v[77:78]
	v_add_f64 v[13:14], v[13:14], -v[55:56]
	v_fma_f64 v[105:106], v[107:108], v[53:54], v[105:106]
	v_add_f64 v[15:16], v[15:16], -v[105:106]
	ds_read2_b64 v[105:108], v127 offset0:52 offset1:53
	s_waitcnt lgkmcnt(0)
	v_mul_f64 v[55:56], v[107:108], v[77:78]
	v_fma_f64 v[55:56], v[105:106], v[53:54], -v[55:56]
	v_mul_f64 v[105:106], v[105:106], v[77:78]
	v_add_f64 v[9:10], v[9:10], -v[55:56]
	v_fma_f64 v[105:106], v[107:108], v[53:54], v[105:106]
	v_add_f64 v[11:12], v[11:12], -v[105:106]
	ds_read2_b64 v[105:108], v127 offset0:54 offset1:55
	s_waitcnt lgkmcnt(0)
	v_mul_f64 v[55:56], v[107:108], v[77:78]
	v_fma_f64 v[55:56], v[105:106], v[53:54], -v[55:56]
	v_mul_f64 v[105:106], v[105:106], v[77:78]
	v_add_f64 v[5:6], v[5:6], -v[55:56]
	v_fma_f64 v[105:106], v[107:108], v[53:54], v[105:106]
	v_add_f64 v[7:8], v[7:8], -v[105:106]
	ds_read2_b64 v[105:108], v127 offset0:56 offset1:57
	s_waitcnt lgkmcnt(0)
	v_mul_f64 v[55:56], v[107:108], v[77:78]
	v_fma_f64 v[55:56], v[105:106], v[53:54], -v[55:56]
	v_mul_f64 v[105:106], v[105:106], v[77:78]
	v_add_f64 v[1:2], v[1:2], -v[55:56]
	v_fma_f64 v[105:106], v[107:108], v[53:54], v[105:106]
	v_add_f64 v[3:4], v[3:4], -v[105:106]
	ds_read2_b64 v[105:108], v127 offset0:58 offset1:59
	s_waitcnt lgkmcnt(0)
	v_mul_f64 v[55:56], v[107:108], v[77:78]
	v_fma_f64 v[55:56], v[105:106], v[53:54], -v[55:56]
	v_mul_f64 v[105:106], v[105:106], v[77:78]
	v_add_f64 v[117:118], v[117:118], -v[55:56]
	v_fma_f64 v[105:106], v[107:108], v[53:54], v[105:106]
	v_mov_b32_e32 v55, v77
	v_mov_b32_e32 v56, v78
	v_add_f64 v[119:120], v[119:120], -v[105:106]
.LBB58_335:
	s_or_b64 exec, exec, s[0:1]
	v_lshl_add_u32 v77, v79, 4, v127
	s_barrier
	ds_write2_b64 v77, v[49:50], v[51:52] offset1:1
	s_waitcnt lgkmcnt(0)
	s_barrier
	ds_read2_b64 v[121:124], v127 offset0:32 offset1:33
	s_cmp_lt_i32 s3, 18
	v_mov_b32_e32 v77, 16
	s_cbranch_scc1 .LBB58_338
; %bb.336:
	v_add_u32_e32 v78, 0x110, v127
	s_mov_b32 s0, 17
	v_mov_b32_e32 v77, 16
.LBB58_337:                             ; =>This Inner Loop Header: Depth=1
	s_waitcnt lgkmcnt(0)
	v_cmp_gt_f64_e32 vcc, 0, v[121:122]
	v_xor_b32_e32 v109, 0x80000000, v122
	ds_read2_b64 v[105:108], v78 offset1:1
	v_xor_b32_e32 v113, 0x80000000, v124
	v_add_u32_e32 v78, 16, v78
	s_waitcnt lgkmcnt(0)
	v_xor_b32_e32 v115, 0x80000000, v108
	v_cndmask_b32_e32 v110, v122, v109, vcc
	v_cmp_gt_f64_e32 vcc, 0, v[123:124]
	v_mov_b32_e32 v109, v121
	v_cndmask_b32_e32 v114, v124, v113, vcc
	v_cmp_gt_f64_e32 vcc, 0, v[105:106]
	v_mov_b32_e32 v113, v123
	v_add_f64 v[109:110], v[109:110], v[113:114]
	v_xor_b32_e32 v113, 0x80000000, v106
	v_cndmask_b32_e32 v114, v106, v113, vcc
	v_cmp_gt_f64_e32 vcc, 0, v[107:108]
	v_mov_b32_e32 v113, v105
	v_cndmask_b32_e32 v116, v108, v115, vcc
	v_mov_b32_e32 v115, v107
	v_add_f64 v[113:114], v[113:114], v[115:116]
	v_cmp_lt_f64_e32 vcc, v[109:110], v[113:114]
	v_cndmask_b32_e32 v121, v121, v105, vcc
	v_mov_b32_e32 v105, s0
	s_add_i32 s0, s0, 1
	v_cndmask_b32_e32 v122, v122, v106, vcc
	v_cndmask_b32_e32 v124, v124, v108, vcc
	;; [unrolled: 1-line block ×4, first 2 shown]
	s_cmp_lg_u32 s3, s0
	s_cbranch_scc1 .LBB58_337
.LBB58_338:
	s_waitcnt lgkmcnt(0)
	v_cmp_eq_f64_e32 vcc, 0, v[121:122]
	v_cmp_eq_f64_e64 s[0:1], 0, v[123:124]
	s_and_b64 s[0:1], vcc, s[0:1]
	s_and_saveexec_b64 s[18:19], s[0:1]
	s_xor_b64 s[0:1], exec, s[18:19]
; %bb.339:
	v_cmp_ne_u32_e32 vcc, 0, v80
	v_cndmask_b32_e32 v80, 17, v80, vcc
; %bb.340:
	s_andn2_saveexec_b64 s[0:1], s[0:1]
	s_cbranch_execz .LBB58_346
; %bb.341:
	v_cmp_ngt_f64_e64 s[18:19], |v[121:122]|, |v[123:124]|
	s_and_saveexec_b64 s[20:21], s[18:19]
	s_xor_b64 s[18:19], exec, s[20:21]
	s_cbranch_execz .LBB58_343
; %bb.342:
	v_div_scale_f64 v[105:106], s[20:21], v[123:124], v[123:124], v[121:122]
	v_rcp_f64_e32 v[107:108], v[105:106]
	v_fma_f64 v[109:110], -v[105:106], v[107:108], 1.0
	v_fma_f64 v[107:108], v[107:108], v[109:110], v[107:108]
	v_div_scale_f64 v[109:110], vcc, v[121:122], v[123:124], v[121:122]
	v_fma_f64 v[113:114], -v[105:106], v[107:108], 1.0
	v_fma_f64 v[107:108], v[107:108], v[113:114], v[107:108]
	v_mul_f64 v[113:114], v[109:110], v[107:108]
	v_fma_f64 v[105:106], -v[105:106], v[113:114], v[109:110]
	v_div_fmas_f64 v[105:106], v[105:106], v[107:108], v[113:114]
	v_div_fixup_f64 v[105:106], v[105:106], v[123:124], v[121:122]
	v_fma_f64 v[107:108], v[121:122], v[105:106], v[123:124]
	v_div_scale_f64 v[109:110], s[20:21], v[107:108], v[107:108], 1.0
	v_div_scale_f64 v[121:122], vcc, 1.0, v[107:108], 1.0
	v_rcp_f64_e32 v[113:114], v[109:110]
	v_fma_f64 v[115:116], -v[109:110], v[113:114], 1.0
	v_fma_f64 v[113:114], v[113:114], v[115:116], v[113:114]
	v_fma_f64 v[115:116], -v[109:110], v[113:114], 1.0
	v_fma_f64 v[113:114], v[113:114], v[115:116], v[113:114]
	v_mul_f64 v[115:116], v[121:122], v[113:114]
	v_fma_f64 v[109:110], -v[109:110], v[115:116], v[121:122]
	v_div_fmas_f64 v[109:110], v[109:110], v[113:114], v[115:116]
	v_div_fixup_f64 v[123:124], v[109:110], v[107:108], 1.0
	v_mul_f64 v[121:122], v[105:106], v[123:124]
	v_xor_b32_e32 v124, 0x80000000, v124
.LBB58_343:
	s_andn2_saveexec_b64 s[18:19], s[18:19]
	s_cbranch_execz .LBB58_345
; %bb.344:
	v_div_scale_f64 v[105:106], s[20:21], v[121:122], v[121:122], v[123:124]
	v_rcp_f64_e32 v[107:108], v[105:106]
	v_fma_f64 v[109:110], -v[105:106], v[107:108], 1.0
	v_fma_f64 v[107:108], v[107:108], v[109:110], v[107:108]
	v_div_scale_f64 v[109:110], vcc, v[123:124], v[121:122], v[123:124]
	v_fma_f64 v[113:114], -v[105:106], v[107:108], 1.0
	v_fma_f64 v[107:108], v[107:108], v[113:114], v[107:108]
	v_mul_f64 v[113:114], v[109:110], v[107:108]
	v_fma_f64 v[105:106], -v[105:106], v[113:114], v[109:110]
	v_div_fmas_f64 v[105:106], v[105:106], v[107:108], v[113:114]
	v_div_fixup_f64 v[105:106], v[105:106], v[121:122], v[123:124]
	v_fma_f64 v[107:108], v[123:124], v[105:106], v[121:122]
	v_div_scale_f64 v[109:110], s[20:21], v[107:108], v[107:108], 1.0
	v_div_scale_f64 v[121:122], vcc, 1.0, v[107:108], 1.0
	v_rcp_f64_e32 v[113:114], v[109:110]
	v_fma_f64 v[115:116], -v[109:110], v[113:114], 1.0
	v_fma_f64 v[113:114], v[113:114], v[115:116], v[113:114]
	v_fma_f64 v[115:116], -v[109:110], v[113:114], 1.0
	v_fma_f64 v[113:114], v[113:114], v[115:116], v[113:114]
	v_mul_f64 v[115:116], v[121:122], v[113:114]
	v_fma_f64 v[109:110], -v[109:110], v[115:116], v[121:122]
	v_div_fmas_f64 v[109:110], v[109:110], v[113:114], v[115:116]
	v_div_fixup_f64 v[121:122], v[109:110], v[107:108], 1.0
	v_mul_f64 v[123:124], v[105:106], -v[121:122]
.LBB58_345:
	s_or_b64 exec, exec, s[18:19]
.LBB58_346:
	s_or_b64 exec, exec, s[0:1]
	v_cmp_ne_u32_e32 vcc, v79, v77
	s_and_saveexec_b64 s[0:1], vcc
	s_xor_b64 s[0:1], exec, s[0:1]
	s_cbranch_execz .LBB58_352
; %bb.347:
	v_cmp_eq_u32_e32 vcc, 16, v79
	s_and_saveexec_b64 s[18:19], vcc
	s_cbranch_execz .LBB58_351
; %bb.348:
	v_cmp_ne_u32_e32 vcc, 16, v77
	s_xor_b64 s[20:21], s[6:7], -1
	s_and_b64 s[22:23], s[20:21], vcc
	s_and_saveexec_b64 s[20:21], s[22:23]
	s_cbranch_execz .LBB58_350
; %bb.349:
	buffer_load_dword v106, off, s[24:27], 0 offset:80 ; 4-byte Folded Reload
	buffer_load_dword v107, off, s[24:27], 0 offset:84 ; 4-byte Folded Reload
	v_ashrrev_i32_e32 v78, 31, v77
	v_lshlrev_b64 v[78:79], 2, v[77:78]
	s_waitcnt vmcnt(1)
	v_add_co_u32_e32 v78, vcc, v106, v78
	s_waitcnt vmcnt(0)
	v_addc_co_u32_e32 v79, vcc, v107, v79, vcc
	global_load_dword v0, v[78:79], off
	global_load_dword v105, v[106:107], off offset:64
	s_waitcnt vmcnt(1)
	global_store_dword v[106:107], v0, off offset:64
	s_waitcnt vmcnt(1)
	global_store_dword v[78:79], v105, off
.LBB58_350:
	s_or_b64 exec, exec, s[20:21]
	v_mov_b32_e32 v79, v77
	v_mov_b32_e32 v0, v77
.LBB58_351:
	s_or_b64 exec, exec, s[18:19]
.LBB58_352:
	s_andn2_saveexec_b64 s[0:1], s[0:1]
	s_cbranch_execz .LBB58_354
; %bb.353:
	v_mov_b32_e32 v79, 16
	ds_write2_b64 v127, v[45:46], v[47:48] offset0:34 offset1:35
	ds_write2_b64 v127, v[41:42], v[43:44] offset0:36 offset1:37
	;; [unrolled: 1-line block ×13, first 2 shown]
.LBB58_354:
	s_or_b64 exec, exec, s[0:1]
	v_cmp_lt_i32_e32 vcc, 16, v79
	s_waitcnt vmcnt(0) lgkmcnt(0)
	s_barrier
	s_and_saveexec_b64 s[0:1], vcc
	s_cbranch_execz .LBB58_356
; %bb.355:
	v_mul_f64 v[77:78], v[121:122], v[51:52]
	v_mul_f64 v[51:52], v[123:124], v[51:52]
	ds_read2_b64 v[105:108], v127 offset0:34 offset1:35
	v_fma_f64 v[77:78], v[123:124], v[49:50], v[77:78]
	v_fma_f64 v[49:50], v[121:122], v[49:50], -v[51:52]
	s_waitcnt lgkmcnt(0)
	v_mul_f64 v[51:52], v[107:108], v[77:78]
	v_fma_f64 v[51:52], v[105:106], v[49:50], -v[51:52]
	v_mul_f64 v[105:106], v[105:106], v[77:78]
	v_add_f64 v[45:46], v[45:46], -v[51:52]
	v_fma_f64 v[105:106], v[107:108], v[49:50], v[105:106]
	v_add_f64 v[47:48], v[47:48], -v[105:106]
	ds_read2_b64 v[105:108], v127 offset0:36 offset1:37
	s_waitcnt lgkmcnt(0)
	v_mul_f64 v[51:52], v[107:108], v[77:78]
	v_fma_f64 v[51:52], v[105:106], v[49:50], -v[51:52]
	v_mul_f64 v[105:106], v[105:106], v[77:78]
	v_add_f64 v[41:42], v[41:42], -v[51:52]
	v_fma_f64 v[105:106], v[107:108], v[49:50], v[105:106]
	v_add_f64 v[43:44], v[43:44], -v[105:106]
	ds_read2_b64 v[105:108], v127 offset0:38 offset1:39
	;; [unrolled: 8-line block ×12, first 2 shown]
	s_waitcnt lgkmcnt(0)
	v_mul_f64 v[51:52], v[107:108], v[77:78]
	v_fma_f64 v[51:52], v[105:106], v[49:50], -v[51:52]
	v_mul_f64 v[105:106], v[105:106], v[77:78]
	v_add_f64 v[117:118], v[117:118], -v[51:52]
	v_fma_f64 v[105:106], v[107:108], v[49:50], v[105:106]
	v_mov_b32_e32 v51, v77
	v_mov_b32_e32 v52, v78
	v_add_f64 v[119:120], v[119:120], -v[105:106]
.LBB58_356:
	s_or_b64 exec, exec, s[0:1]
	v_lshl_add_u32 v77, v79, 4, v127
	s_barrier
	ds_write2_b64 v77, v[45:46], v[47:48] offset1:1
	s_waitcnt lgkmcnt(0)
	s_barrier
	ds_read2_b64 v[121:124], v127 offset0:34 offset1:35
	s_cmp_lt_i32 s3, 19
	v_mov_b32_e32 v77, 17
	s_cbranch_scc1 .LBB58_359
; %bb.357:
	v_add_u32_e32 v78, 0x120, v127
	s_mov_b32 s0, 18
	v_mov_b32_e32 v77, 17
.LBB58_358:                             ; =>This Inner Loop Header: Depth=1
	s_waitcnt lgkmcnt(0)
	v_cmp_gt_f64_e32 vcc, 0, v[121:122]
	v_xor_b32_e32 v109, 0x80000000, v122
	ds_read2_b64 v[105:108], v78 offset1:1
	v_xor_b32_e32 v113, 0x80000000, v124
	v_add_u32_e32 v78, 16, v78
	s_waitcnt lgkmcnt(0)
	v_xor_b32_e32 v115, 0x80000000, v108
	v_cndmask_b32_e32 v110, v122, v109, vcc
	v_cmp_gt_f64_e32 vcc, 0, v[123:124]
	v_mov_b32_e32 v109, v121
	v_cndmask_b32_e32 v114, v124, v113, vcc
	v_cmp_gt_f64_e32 vcc, 0, v[105:106]
	v_mov_b32_e32 v113, v123
	v_add_f64 v[109:110], v[109:110], v[113:114]
	v_xor_b32_e32 v113, 0x80000000, v106
	v_cndmask_b32_e32 v114, v106, v113, vcc
	v_cmp_gt_f64_e32 vcc, 0, v[107:108]
	v_mov_b32_e32 v113, v105
	v_cndmask_b32_e32 v116, v108, v115, vcc
	v_mov_b32_e32 v115, v107
	v_add_f64 v[113:114], v[113:114], v[115:116]
	v_cmp_lt_f64_e32 vcc, v[109:110], v[113:114]
	v_cndmask_b32_e32 v121, v121, v105, vcc
	v_mov_b32_e32 v105, s0
	s_add_i32 s0, s0, 1
	v_cndmask_b32_e32 v122, v122, v106, vcc
	v_cndmask_b32_e32 v124, v124, v108, vcc
	;; [unrolled: 1-line block ×4, first 2 shown]
	s_cmp_lg_u32 s3, s0
	s_cbranch_scc1 .LBB58_358
.LBB58_359:
	s_waitcnt lgkmcnt(0)
	v_cmp_eq_f64_e32 vcc, 0, v[121:122]
	v_cmp_eq_f64_e64 s[0:1], 0, v[123:124]
	s_and_b64 s[0:1], vcc, s[0:1]
	s_and_saveexec_b64 s[18:19], s[0:1]
	s_xor_b64 s[0:1], exec, s[18:19]
; %bb.360:
	v_cmp_ne_u32_e32 vcc, 0, v80
	v_cndmask_b32_e32 v80, 18, v80, vcc
; %bb.361:
	s_andn2_saveexec_b64 s[0:1], s[0:1]
	s_cbranch_execz .LBB58_367
; %bb.362:
	v_cmp_ngt_f64_e64 s[18:19], |v[121:122]|, |v[123:124]|
	s_and_saveexec_b64 s[20:21], s[18:19]
	s_xor_b64 s[18:19], exec, s[20:21]
	s_cbranch_execz .LBB58_364
; %bb.363:
	v_div_scale_f64 v[105:106], s[20:21], v[123:124], v[123:124], v[121:122]
	v_rcp_f64_e32 v[107:108], v[105:106]
	v_fma_f64 v[109:110], -v[105:106], v[107:108], 1.0
	v_fma_f64 v[107:108], v[107:108], v[109:110], v[107:108]
	v_div_scale_f64 v[109:110], vcc, v[121:122], v[123:124], v[121:122]
	v_fma_f64 v[113:114], -v[105:106], v[107:108], 1.0
	v_fma_f64 v[107:108], v[107:108], v[113:114], v[107:108]
	v_mul_f64 v[113:114], v[109:110], v[107:108]
	v_fma_f64 v[105:106], -v[105:106], v[113:114], v[109:110]
	v_div_fmas_f64 v[105:106], v[105:106], v[107:108], v[113:114]
	v_div_fixup_f64 v[105:106], v[105:106], v[123:124], v[121:122]
	v_fma_f64 v[107:108], v[121:122], v[105:106], v[123:124]
	v_div_scale_f64 v[109:110], s[20:21], v[107:108], v[107:108], 1.0
	v_div_scale_f64 v[121:122], vcc, 1.0, v[107:108], 1.0
	v_rcp_f64_e32 v[113:114], v[109:110]
	v_fma_f64 v[115:116], -v[109:110], v[113:114], 1.0
	v_fma_f64 v[113:114], v[113:114], v[115:116], v[113:114]
	v_fma_f64 v[115:116], -v[109:110], v[113:114], 1.0
	v_fma_f64 v[113:114], v[113:114], v[115:116], v[113:114]
	v_mul_f64 v[115:116], v[121:122], v[113:114]
	v_fma_f64 v[109:110], -v[109:110], v[115:116], v[121:122]
	v_div_fmas_f64 v[109:110], v[109:110], v[113:114], v[115:116]
	v_div_fixup_f64 v[123:124], v[109:110], v[107:108], 1.0
	v_mul_f64 v[121:122], v[105:106], v[123:124]
	v_xor_b32_e32 v124, 0x80000000, v124
.LBB58_364:
	s_andn2_saveexec_b64 s[18:19], s[18:19]
	s_cbranch_execz .LBB58_366
; %bb.365:
	v_div_scale_f64 v[105:106], s[20:21], v[121:122], v[121:122], v[123:124]
	v_rcp_f64_e32 v[107:108], v[105:106]
	v_fma_f64 v[109:110], -v[105:106], v[107:108], 1.0
	v_fma_f64 v[107:108], v[107:108], v[109:110], v[107:108]
	v_div_scale_f64 v[109:110], vcc, v[123:124], v[121:122], v[123:124]
	v_fma_f64 v[113:114], -v[105:106], v[107:108], 1.0
	v_fma_f64 v[107:108], v[107:108], v[113:114], v[107:108]
	v_mul_f64 v[113:114], v[109:110], v[107:108]
	v_fma_f64 v[105:106], -v[105:106], v[113:114], v[109:110]
	v_div_fmas_f64 v[105:106], v[105:106], v[107:108], v[113:114]
	v_div_fixup_f64 v[105:106], v[105:106], v[121:122], v[123:124]
	v_fma_f64 v[107:108], v[123:124], v[105:106], v[121:122]
	v_div_scale_f64 v[109:110], s[20:21], v[107:108], v[107:108], 1.0
	v_div_scale_f64 v[121:122], vcc, 1.0, v[107:108], 1.0
	v_rcp_f64_e32 v[113:114], v[109:110]
	v_fma_f64 v[115:116], -v[109:110], v[113:114], 1.0
	v_fma_f64 v[113:114], v[113:114], v[115:116], v[113:114]
	v_fma_f64 v[115:116], -v[109:110], v[113:114], 1.0
	v_fma_f64 v[113:114], v[113:114], v[115:116], v[113:114]
	v_mul_f64 v[115:116], v[121:122], v[113:114]
	v_fma_f64 v[109:110], -v[109:110], v[115:116], v[121:122]
	v_div_fmas_f64 v[109:110], v[109:110], v[113:114], v[115:116]
	v_div_fixup_f64 v[121:122], v[109:110], v[107:108], 1.0
	v_mul_f64 v[123:124], v[105:106], -v[121:122]
.LBB58_366:
	s_or_b64 exec, exec, s[18:19]
.LBB58_367:
	s_or_b64 exec, exec, s[0:1]
	v_cmp_ne_u32_e32 vcc, v79, v77
	s_and_saveexec_b64 s[0:1], vcc
	s_xor_b64 s[0:1], exec, s[0:1]
	s_cbranch_execz .LBB58_373
; %bb.368:
	v_cmp_eq_u32_e32 vcc, 17, v79
	s_and_saveexec_b64 s[18:19], vcc
	s_cbranch_execz .LBB58_372
; %bb.369:
	v_cmp_ne_u32_e32 vcc, 17, v77
	s_xor_b64 s[20:21], s[6:7], -1
	s_and_b64 s[22:23], s[20:21], vcc
	s_and_saveexec_b64 s[20:21], s[22:23]
	s_cbranch_execz .LBB58_371
; %bb.370:
	buffer_load_dword v106, off, s[24:27], 0 offset:80 ; 4-byte Folded Reload
	buffer_load_dword v107, off, s[24:27], 0 offset:84 ; 4-byte Folded Reload
	v_ashrrev_i32_e32 v78, 31, v77
	v_lshlrev_b64 v[78:79], 2, v[77:78]
	s_waitcnt vmcnt(1)
	v_add_co_u32_e32 v78, vcc, v106, v78
	s_waitcnt vmcnt(0)
	v_addc_co_u32_e32 v79, vcc, v107, v79, vcc
	global_load_dword v0, v[78:79], off
	global_load_dword v105, v[106:107], off offset:68
	s_waitcnt vmcnt(1)
	global_store_dword v[106:107], v0, off offset:68
	s_waitcnt vmcnt(1)
	global_store_dword v[78:79], v105, off
.LBB58_371:
	s_or_b64 exec, exec, s[20:21]
	v_mov_b32_e32 v79, v77
	v_mov_b32_e32 v0, v77
.LBB58_372:
	s_or_b64 exec, exec, s[18:19]
.LBB58_373:
	s_andn2_saveexec_b64 s[0:1], s[0:1]
	s_cbranch_execz .LBB58_375
; %bb.374:
	v_mov_b32_e32 v79, 17
	ds_write2_b64 v127, v[41:42], v[43:44] offset0:36 offset1:37
	ds_write2_b64 v127, v[37:38], v[39:40] offset0:38 offset1:39
	;; [unrolled: 1-line block ×12, first 2 shown]
.LBB58_375:
	s_or_b64 exec, exec, s[0:1]
	v_cmp_lt_i32_e32 vcc, 17, v79
	s_waitcnt vmcnt(0) lgkmcnt(0)
	s_barrier
	s_and_saveexec_b64 s[0:1], vcc
	s_cbranch_execz .LBB58_377
; %bb.376:
	v_mul_f64 v[77:78], v[121:122], v[47:48]
	v_mul_f64 v[47:48], v[123:124], v[47:48]
	ds_read2_b64 v[105:108], v127 offset0:36 offset1:37
	v_fma_f64 v[77:78], v[123:124], v[45:46], v[77:78]
	v_fma_f64 v[45:46], v[121:122], v[45:46], -v[47:48]
	s_waitcnt lgkmcnt(0)
	v_mul_f64 v[47:48], v[107:108], v[77:78]
	v_fma_f64 v[47:48], v[105:106], v[45:46], -v[47:48]
	v_mul_f64 v[105:106], v[105:106], v[77:78]
	v_add_f64 v[41:42], v[41:42], -v[47:48]
	v_fma_f64 v[105:106], v[107:108], v[45:46], v[105:106]
	v_add_f64 v[43:44], v[43:44], -v[105:106]
	ds_read2_b64 v[105:108], v127 offset0:38 offset1:39
	s_waitcnt lgkmcnt(0)
	v_mul_f64 v[47:48], v[107:108], v[77:78]
	v_fma_f64 v[47:48], v[105:106], v[45:46], -v[47:48]
	v_mul_f64 v[105:106], v[105:106], v[77:78]
	v_add_f64 v[37:38], v[37:38], -v[47:48]
	v_fma_f64 v[105:106], v[107:108], v[45:46], v[105:106]
	v_add_f64 v[39:40], v[39:40], -v[105:106]
	ds_read2_b64 v[105:108], v127 offset0:40 offset1:41
	;; [unrolled: 8-line block ×11, first 2 shown]
	s_waitcnt lgkmcnt(0)
	v_mul_f64 v[47:48], v[107:108], v[77:78]
	v_fma_f64 v[47:48], v[105:106], v[45:46], -v[47:48]
	v_mul_f64 v[105:106], v[105:106], v[77:78]
	v_add_f64 v[117:118], v[117:118], -v[47:48]
	v_fma_f64 v[105:106], v[107:108], v[45:46], v[105:106]
	v_mov_b32_e32 v47, v77
	v_mov_b32_e32 v48, v78
	v_add_f64 v[119:120], v[119:120], -v[105:106]
.LBB58_377:
	s_or_b64 exec, exec, s[0:1]
	v_lshl_add_u32 v77, v79, 4, v127
	s_barrier
	ds_write2_b64 v77, v[41:42], v[43:44] offset1:1
	s_waitcnt lgkmcnt(0)
	s_barrier
	ds_read2_b64 v[121:124], v127 offset0:36 offset1:37
	s_cmp_lt_i32 s3, 20
	v_mov_b32_e32 v77, 18
	s_cbranch_scc1 .LBB58_380
; %bb.378:
	v_add_u32_e32 v78, 0x130, v127
	s_mov_b32 s0, 19
	v_mov_b32_e32 v77, 18
.LBB58_379:                             ; =>This Inner Loop Header: Depth=1
	s_waitcnt lgkmcnt(0)
	v_cmp_gt_f64_e32 vcc, 0, v[121:122]
	v_xor_b32_e32 v109, 0x80000000, v122
	ds_read2_b64 v[105:108], v78 offset1:1
	v_xor_b32_e32 v113, 0x80000000, v124
	v_add_u32_e32 v78, 16, v78
	s_waitcnt lgkmcnt(0)
	v_xor_b32_e32 v115, 0x80000000, v108
	v_cndmask_b32_e32 v110, v122, v109, vcc
	v_cmp_gt_f64_e32 vcc, 0, v[123:124]
	v_mov_b32_e32 v109, v121
	v_cndmask_b32_e32 v114, v124, v113, vcc
	v_cmp_gt_f64_e32 vcc, 0, v[105:106]
	v_mov_b32_e32 v113, v123
	v_add_f64 v[109:110], v[109:110], v[113:114]
	v_xor_b32_e32 v113, 0x80000000, v106
	v_cndmask_b32_e32 v114, v106, v113, vcc
	v_cmp_gt_f64_e32 vcc, 0, v[107:108]
	v_mov_b32_e32 v113, v105
	v_cndmask_b32_e32 v116, v108, v115, vcc
	v_mov_b32_e32 v115, v107
	v_add_f64 v[113:114], v[113:114], v[115:116]
	v_cmp_lt_f64_e32 vcc, v[109:110], v[113:114]
	v_cndmask_b32_e32 v121, v121, v105, vcc
	v_mov_b32_e32 v105, s0
	s_add_i32 s0, s0, 1
	v_cndmask_b32_e32 v122, v122, v106, vcc
	v_cndmask_b32_e32 v124, v124, v108, vcc
	;; [unrolled: 1-line block ×4, first 2 shown]
	s_cmp_lg_u32 s3, s0
	s_cbranch_scc1 .LBB58_379
.LBB58_380:
	s_waitcnt lgkmcnt(0)
	v_cmp_eq_f64_e32 vcc, 0, v[121:122]
	v_cmp_eq_f64_e64 s[0:1], 0, v[123:124]
	s_and_b64 s[0:1], vcc, s[0:1]
	s_and_saveexec_b64 s[18:19], s[0:1]
	s_xor_b64 s[0:1], exec, s[18:19]
; %bb.381:
	v_cmp_ne_u32_e32 vcc, 0, v80
	v_cndmask_b32_e32 v80, 19, v80, vcc
; %bb.382:
	s_andn2_saveexec_b64 s[0:1], s[0:1]
	s_cbranch_execz .LBB58_388
; %bb.383:
	v_cmp_ngt_f64_e64 s[18:19], |v[121:122]|, |v[123:124]|
	s_and_saveexec_b64 s[20:21], s[18:19]
	s_xor_b64 s[18:19], exec, s[20:21]
	s_cbranch_execz .LBB58_385
; %bb.384:
	v_div_scale_f64 v[105:106], s[20:21], v[123:124], v[123:124], v[121:122]
	v_rcp_f64_e32 v[107:108], v[105:106]
	v_fma_f64 v[109:110], -v[105:106], v[107:108], 1.0
	v_fma_f64 v[107:108], v[107:108], v[109:110], v[107:108]
	v_div_scale_f64 v[109:110], vcc, v[121:122], v[123:124], v[121:122]
	v_fma_f64 v[113:114], -v[105:106], v[107:108], 1.0
	v_fma_f64 v[107:108], v[107:108], v[113:114], v[107:108]
	v_mul_f64 v[113:114], v[109:110], v[107:108]
	v_fma_f64 v[105:106], -v[105:106], v[113:114], v[109:110]
	v_div_fmas_f64 v[105:106], v[105:106], v[107:108], v[113:114]
	v_div_fixup_f64 v[105:106], v[105:106], v[123:124], v[121:122]
	v_fma_f64 v[107:108], v[121:122], v[105:106], v[123:124]
	v_div_scale_f64 v[109:110], s[20:21], v[107:108], v[107:108], 1.0
	v_div_scale_f64 v[121:122], vcc, 1.0, v[107:108], 1.0
	v_rcp_f64_e32 v[113:114], v[109:110]
	v_fma_f64 v[115:116], -v[109:110], v[113:114], 1.0
	v_fma_f64 v[113:114], v[113:114], v[115:116], v[113:114]
	v_fma_f64 v[115:116], -v[109:110], v[113:114], 1.0
	v_fma_f64 v[113:114], v[113:114], v[115:116], v[113:114]
	v_mul_f64 v[115:116], v[121:122], v[113:114]
	v_fma_f64 v[109:110], -v[109:110], v[115:116], v[121:122]
	v_div_fmas_f64 v[109:110], v[109:110], v[113:114], v[115:116]
	v_div_fixup_f64 v[123:124], v[109:110], v[107:108], 1.0
	v_mul_f64 v[121:122], v[105:106], v[123:124]
	v_xor_b32_e32 v124, 0x80000000, v124
.LBB58_385:
	s_andn2_saveexec_b64 s[18:19], s[18:19]
	s_cbranch_execz .LBB58_387
; %bb.386:
	v_div_scale_f64 v[105:106], s[20:21], v[121:122], v[121:122], v[123:124]
	v_rcp_f64_e32 v[107:108], v[105:106]
	v_fma_f64 v[109:110], -v[105:106], v[107:108], 1.0
	v_fma_f64 v[107:108], v[107:108], v[109:110], v[107:108]
	v_div_scale_f64 v[109:110], vcc, v[123:124], v[121:122], v[123:124]
	v_fma_f64 v[113:114], -v[105:106], v[107:108], 1.0
	v_fma_f64 v[107:108], v[107:108], v[113:114], v[107:108]
	v_mul_f64 v[113:114], v[109:110], v[107:108]
	v_fma_f64 v[105:106], -v[105:106], v[113:114], v[109:110]
	v_div_fmas_f64 v[105:106], v[105:106], v[107:108], v[113:114]
	v_div_fixup_f64 v[105:106], v[105:106], v[121:122], v[123:124]
	v_fma_f64 v[107:108], v[123:124], v[105:106], v[121:122]
	v_div_scale_f64 v[109:110], s[20:21], v[107:108], v[107:108], 1.0
	v_div_scale_f64 v[121:122], vcc, 1.0, v[107:108], 1.0
	v_rcp_f64_e32 v[113:114], v[109:110]
	v_fma_f64 v[115:116], -v[109:110], v[113:114], 1.0
	v_fma_f64 v[113:114], v[113:114], v[115:116], v[113:114]
	v_fma_f64 v[115:116], -v[109:110], v[113:114], 1.0
	v_fma_f64 v[113:114], v[113:114], v[115:116], v[113:114]
	v_mul_f64 v[115:116], v[121:122], v[113:114]
	v_fma_f64 v[109:110], -v[109:110], v[115:116], v[121:122]
	v_div_fmas_f64 v[109:110], v[109:110], v[113:114], v[115:116]
	v_div_fixup_f64 v[121:122], v[109:110], v[107:108], 1.0
	v_mul_f64 v[123:124], v[105:106], -v[121:122]
.LBB58_387:
	s_or_b64 exec, exec, s[18:19]
.LBB58_388:
	s_or_b64 exec, exec, s[0:1]
	v_cmp_ne_u32_e32 vcc, v79, v77
	s_and_saveexec_b64 s[0:1], vcc
	s_xor_b64 s[0:1], exec, s[0:1]
	s_cbranch_execz .LBB58_394
; %bb.389:
	v_cmp_eq_u32_e32 vcc, 18, v79
	s_and_saveexec_b64 s[18:19], vcc
	s_cbranch_execz .LBB58_393
; %bb.390:
	v_cmp_ne_u32_e32 vcc, 18, v77
	s_xor_b64 s[20:21], s[6:7], -1
	s_and_b64 s[22:23], s[20:21], vcc
	s_and_saveexec_b64 s[20:21], s[22:23]
	s_cbranch_execz .LBB58_392
; %bb.391:
	buffer_load_dword v106, off, s[24:27], 0 offset:80 ; 4-byte Folded Reload
	buffer_load_dword v107, off, s[24:27], 0 offset:84 ; 4-byte Folded Reload
	v_ashrrev_i32_e32 v78, 31, v77
	v_lshlrev_b64 v[78:79], 2, v[77:78]
	s_waitcnt vmcnt(1)
	v_add_co_u32_e32 v78, vcc, v106, v78
	s_waitcnt vmcnt(0)
	v_addc_co_u32_e32 v79, vcc, v107, v79, vcc
	global_load_dword v0, v[78:79], off
	global_load_dword v105, v[106:107], off offset:72
	s_waitcnt vmcnt(1)
	global_store_dword v[106:107], v0, off offset:72
	s_waitcnt vmcnt(1)
	global_store_dword v[78:79], v105, off
.LBB58_392:
	s_or_b64 exec, exec, s[20:21]
	v_mov_b32_e32 v79, v77
	v_mov_b32_e32 v0, v77
.LBB58_393:
	s_or_b64 exec, exec, s[18:19]
.LBB58_394:
	s_andn2_saveexec_b64 s[0:1], s[0:1]
	s_cbranch_execz .LBB58_396
; %bb.395:
	v_mov_b32_e32 v79, 18
	ds_write2_b64 v127, v[37:38], v[39:40] offset0:38 offset1:39
	ds_write2_b64 v127, v[33:34], v[35:36] offset0:40 offset1:41
	ds_write2_b64 v127, v[29:30], v[31:32] offset0:42 offset1:43
	ds_write2_b64 v127, v[25:26], v[27:28] offset0:44 offset1:45
	ds_write2_b64 v127, v[21:22], v[23:24] offset0:46 offset1:47
	ds_write2_b64 v127, v[17:18], v[19:20] offset0:48 offset1:49
	ds_write2_b64 v127, v[13:14], v[15:16] offset0:50 offset1:51
	ds_write2_b64 v127, v[9:10], v[11:12] offset0:52 offset1:53
	ds_write2_b64 v127, v[5:6], v[7:8] offset0:54 offset1:55
	ds_write2_b64 v127, v[1:2], v[3:4] offset0:56 offset1:57
	ds_write2_b64 v127, v[117:118], v[119:120] offset0:58 offset1:59
.LBB58_396:
	s_or_b64 exec, exec, s[0:1]
	v_cmp_lt_i32_e32 vcc, 18, v79
	s_waitcnt vmcnt(0) lgkmcnt(0)
	s_barrier
	s_and_saveexec_b64 s[0:1], vcc
	s_cbranch_execz .LBB58_398
; %bb.397:
	v_mul_f64 v[77:78], v[121:122], v[43:44]
	v_mul_f64 v[43:44], v[123:124], v[43:44]
	ds_read2_b64 v[105:108], v127 offset0:38 offset1:39
	v_fma_f64 v[77:78], v[123:124], v[41:42], v[77:78]
	v_fma_f64 v[41:42], v[121:122], v[41:42], -v[43:44]
	s_waitcnt lgkmcnt(0)
	v_mul_f64 v[43:44], v[107:108], v[77:78]
	v_fma_f64 v[43:44], v[105:106], v[41:42], -v[43:44]
	v_mul_f64 v[105:106], v[105:106], v[77:78]
	v_add_f64 v[37:38], v[37:38], -v[43:44]
	v_fma_f64 v[105:106], v[107:108], v[41:42], v[105:106]
	v_add_f64 v[39:40], v[39:40], -v[105:106]
	ds_read2_b64 v[105:108], v127 offset0:40 offset1:41
	s_waitcnt lgkmcnt(0)
	v_mul_f64 v[43:44], v[107:108], v[77:78]
	v_fma_f64 v[43:44], v[105:106], v[41:42], -v[43:44]
	v_mul_f64 v[105:106], v[105:106], v[77:78]
	v_add_f64 v[33:34], v[33:34], -v[43:44]
	v_fma_f64 v[105:106], v[107:108], v[41:42], v[105:106]
	v_add_f64 v[35:36], v[35:36], -v[105:106]
	ds_read2_b64 v[105:108], v127 offset0:42 offset1:43
	;; [unrolled: 8-line block ×10, first 2 shown]
	s_waitcnt lgkmcnt(0)
	v_mul_f64 v[43:44], v[107:108], v[77:78]
	v_fma_f64 v[43:44], v[105:106], v[41:42], -v[43:44]
	v_mul_f64 v[105:106], v[105:106], v[77:78]
	v_add_f64 v[117:118], v[117:118], -v[43:44]
	v_fma_f64 v[105:106], v[107:108], v[41:42], v[105:106]
	v_mov_b32_e32 v43, v77
	v_mov_b32_e32 v44, v78
	v_add_f64 v[119:120], v[119:120], -v[105:106]
.LBB58_398:
	s_or_b64 exec, exec, s[0:1]
	v_lshl_add_u32 v77, v79, 4, v127
	s_barrier
	ds_write2_b64 v77, v[37:38], v[39:40] offset1:1
	s_waitcnt lgkmcnt(0)
	s_barrier
	ds_read2_b64 v[121:124], v127 offset0:38 offset1:39
	s_cmp_lt_i32 s3, 21
	v_mov_b32_e32 v77, 19
	s_cbranch_scc1 .LBB58_401
; %bb.399:
	v_add_u32_e32 v78, 0x140, v127
	s_mov_b32 s0, 20
	v_mov_b32_e32 v77, 19
.LBB58_400:                             ; =>This Inner Loop Header: Depth=1
	s_waitcnt lgkmcnt(0)
	v_cmp_gt_f64_e32 vcc, 0, v[121:122]
	v_xor_b32_e32 v109, 0x80000000, v122
	ds_read2_b64 v[105:108], v78 offset1:1
	v_xor_b32_e32 v113, 0x80000000, v124
	v_add_u32_e32 v78, 16, v78
	s_waitcnt lgkmcnt(0)
	v_xor_b32_e32 v115, 0x80000000, v108
	v_cndmask_b32_e32 v110, v122, v109, vcc
	v_cmp_gt_f64_e32 vcc, 0, v[123:124]
	v_mov_b32_e32 v109, v121
	v_cndmask_b32_e32 v114, v124, v113, vcc
	v_cmp_gt_f64_e32 vcc, 0, v[105:106]
	v_mov_b32_e32 v113, v123
	v_add_f64 v[109:110], v[109:110], v[113:114]
	v_xor_b32_e32 v113, 0x80000000, v106
	v_cndmask_b32_e32 v114, v106, v113, vcc
	v_cmp_gt_f64_e32 vcc, 0, v[107:108]
	v_mov_b32_e32 v113, v105
	v_cndmask_b32_e32 v116, v108, v115, vcc
	v_mov_b32_e32 v115, v107
	v_add_f64 v[113:114], v[113:114], v[115:116]
	v_cmp_lt_f64_e32 vcc, v[109:110], v[113:114]
	v_cndmask_b32_e32 v121, v121, v105, vcc
	v_mov_b32_e32 v105, s0
	s_add_i32 s0, s0, 1
	v_cndmask_b32_e32 v122, v122, v106, vcc
	v_cndmask_b32_e32 v124, v124, v108, vcc
	;; [unrolled: 1-line block ×4, first 2 shown]
	s_cmp_lg_u32 s3, s0
	s_cbranch_scc1 .LBB58_400
.LBB58_401:
	s_waitcnt lgkmcnt(0)
	v_cmp_eq_f64_e32 vcc, 0, v[121:122]
	v_cmp_eq_f64_e64 s[0:1], 0, v[123:124]
	s_and_b64 s[0:1], vcc, s[0:1]
	s_and_saveexec_b64 s[18:19], s[0:1]
	s_xor_b64 s[0:1], exec, s[18:19]
; %bb.402:
	v_cmp_ne_u32_e32 vcc, 0, v80
	v_cndmask_b32_e32 v80, 20, v80, vcc
; %bb.403:
	s_andn2_saveexec_b64 s[0:1], s[0:1]
	s_cbranch_execz .LBB58_409
; %bb.404:
	v_cmp_ngt_f64_e64 s[18:19], |v[121:122]|, |v[123:124]|
	s_and_saveexec_b64 s[20:21], s[18:19]
	s_xor_b64 s[18:19], exec, s[20:21]
	s_cbranch_execz .LBB58_406
; %bb.405:
	v_div_scale_f64 v[105:106], s[20:21], v[123:124], v[123:124], v[121:122]
	v_rcp_f64_e32 v[107:108], v[105:106]
	v_fma_f64 v[109:110], -v[105:106], v[107:108], 1.0
	v_fma_f64 v[107:108], v[107:108], v[109:110], v[107:108]
	v_div_scale_f64 v[109:110], vcc, v[121:122], v[123:124], v[121:122]
	v_fma_f64 v[113:114], -v[105:106], v[107:108], 1.0
	v_fma_f64 v[107:108], v[107:108], v[113:114], v[107:108]
	v_mul_f64 v[113:114], v[109:110], v[107:108]
	v_fma_f64 v[105:106], -v[105:106], v[113:114], v[109:110]
	v_div_fmas_f64 v[105:106], v[105:106], v[107:108], v[113:114]
	v_div_fixup_f64 v[105:106], v[105:106], v[123:124], v[121:122]
	v_fma_f64 v[107:108], v[121:122], v[105:106], v[123:124]
	v_div_scale_f64 v[109:110], s[20:21], v[107:108], v[107:108], 1.0
	v_div_scale_f64 v[121:122], vcc, 1.0, v[107:108], 1.0
	v_rcp_f64_e32 v[113:114], v[109:110]
	v_fma_f64 v[115:116], -v[109:110], v[113:114], 1.0
	v_fma_f64 v[113:114], v[113:114], v[115:116], v[113:114]
	v_fma_f64 v[115:116], -v[109:110], v[113:114], 1.0
	v_fma_f64 v[113:114], v[113:114], v[115:116], v[113:114]
	v_mul_f64 v[115:116], v[121:122], v[113:114]
	v_fma_f64 v[109:110], -v[109:110], v[115:116], v[121:122]
	v_div_fmas_f64 v[109:110], v[109:110], v[113:114], v[115:116]
	v_div_fixup_f64 v[123:124], v[109:110], v[107:108], 1.0
	v_mul_f64 v[121:122], v[105:106], v[123:124]
	v_xor_b32_e32 v124, 0x80000000, v124
.LBB58_406:
	s_andn2_saveexec_b64 s[18:19], s[18:19]
	s_cbranch_execz .LBB58_408
; %bb.407:
	v_div_scale_f64 v[105:106], s[20:21], v[121:122], v[121:122], v[123:124]
	v_rcp_f64_e32 v[107:108], v[105:106]
	v_fma_f64 v[109:110], -v[105:106], v[107:108], 1.0
	v_fma_f64 v[107:108], v[107:108], v[109:110], v[107:108]
	v_div_scale_f64 v[109:110], vcc, v[123:124], v[121:122], v[123:124]
	v_fma_f64 v[113:114], -v[105:106], v[107:108], 1.0
	v_fma_f64 v[107:108], v[107:108], v[113:114], v[107:108]
	v_mul_f64 v[113:114], v[109:110], v[107:108]
	v_fma_f64 v[105:106], -v[105:106], v[113:114], v[109:110]
	v_div_fmas_f64 v[105:106], v[105:106], v[107:108], v[113:114]
	v_div_fixup_f64 v[105:106], v[105:106], v[121:122], v[123:124]
	v_fma_f64 v[107:108], v[123:124], v[105:106], v[121:122]
	v_div_scale_f64 v[109:110], s[20:21], v[107:108], v[107:108], 1.0
	v_div_scale_f64 v[121:122], vcc, 1.0, v[107:108], 1.0
	v_rcp_f64_e32 v[113:114], v[109:110]
	v_fma_f64 v[115:116], -v[109:110], v[113:114], 1.0
	v_fma_f64 v[113:114], v[113:114], v[115:116], v[113:114]
	v_fma_f64 v[115:116], -v[109:110], v[113:114], 1.0
	v_fma_f64 v[113:114], v[113:114], v[115:116], v[113:114]
	v_mul_f64 v[115:116], v[121:122], v[113:114]
	v_fma_f64 v[109:110], -v[109:110], v[115:116], v[121:122]
	v_div_fmas_f64 v[109:110], v[109:110], v[113:114], v[115:116]
	v_div_fixup_f64 v[121:122], v[109:110], v[107:108], 1.0
	v_mul_f64 v[123:124], v[105:106], -v[121:122]
.LBB58_408:
	s_or_b64 exec, exec, s[18:19]
.LBB58_409:
	s_or_b64 exec, exec, s[0:1]
	v_cmp_ne_u32_e32 vcc, v79, v77
	s_and_saveexec_b64 s[0:1], vcc
	s_xor_b64 s[0:1], exec, s[0:1]
	s_cbranch_execz .LBB58_415
; %bb.410:
	v_cmp_eq_u32_e32 vcc, 19, v79
	s_and_saveexec_b64 s[18:19], vcc
	s_cbranch_execz .LBB58_414
; %bb.411:
	v_cmp_ne_u32_e32 vcc, 19, v77
	s_xor_b64 s[20:21], s[6:7], -1
	s_and_b64 s[22:23], s[20:21], vcc
	s_and_saveexec_b64 s[20:21], s[22:23]
	s_cbranch_execz .LBB58_413
; %bb.412:
	buffer_load_dword v106, off, s[24:27], 0 offset:80 ; 4-byte Folded Reload
	buffer_load_dword v107, off, s[24:27], 0 offset:84 ; 4-byte Folded Reload
	v_ashrrev_i32_e32 v78, 31, v77
	v_lshlrev_b64 v[78:79], 2, v[77:78]
	s_waitcnt vmcnt(1)
	v_add_co_u32_e32 v78, vcc, v106, v78
	s_waitcnt vmcnt(0)
	v_addc_co_u32_e32 v79, vcc, v107, v79, vcc
	global_load_dword v0, v[78:79], off
	global_load_dword v105, v[106:107], off offset:76
	s_waitcnt vmcnt(1)
	global_store_dword v[106:107], v0, off offset:76
	s_waitcnt vmcnt(1)
	global_store_dword v[78:79], v105, off
.LBB58_413:
	s_or_b64 exec, exec, s[20:21]
	v_mov_b32_e32 v79, v77
	v_mov_b32_e32 v0, v77
.LBB58_414:
	s_or_b64 exec, exec, s[18:19]
.LBB58_415:
	s_andn2_saveexec_b64 s[0:1], s[0:1]
	s_cbranch_execz .LBB58_417
; %bb.416:
	v_mov_b32_e32 v79, 19
	ds_write2_b64 v127, v[33:34], v[35:36] offset0:40 offset1:41
	ds_write2_b64 v127, v[29:30], v[31:32] offset0:42 offset1:43
	;; [unrolled: 1-line block ×10, first 2 shown]
.LBB58_417:
	s_or_b64 exec, exec, s[0:1]
	v_cmp_lt_i32_e32 vcc, 19, v79
	s_waitcnt vmcnt(0) lgkmcnt(0)
	s_barrier
	s_and_saveexec_b64 s[0:1], vcc
	s_cbranch_execz .LBB58_419
; %bb.418:
	v_mul_f64 v[77:78], v[121:122], v[39:40]
	v_mul_f64 v[39:40], v[123:124], v[39:40]
	ds_read2_b64 v[105:108], v127 offset0:40 offset1:41
	v_fma_f64 v[77:78], v[123:124], v[37:38], v[77:78]
	v_fma_f64 v[37:38], v[121:122], v[37:38], -v[39:40]
	s_waitcnt lgkmcnt(0)
	v_mul_f64 v[39:40], v[107:108], v[77:78]
	v_fma_f64 v[39:40], v[105:106], v[37:38], -v[39:40]
	v_mul_f64 v[105:106], v[105:106], v[77:78]
	v_add_f64 v[33:34], v[33:34], -v[39:40]
	v_fma_f64 v[105:106], v[107:108], v[37:38], v[105:106]
	v_add_f64 v[35:36], v[35:36], -v[105:106]
	ds_read2_b64 v[105:108], v127 offset0:42 offset1:43
	s_waitcnt lgkmcnt(0)
	v_mul_f64 v[39:40], v[107:108], v[77:78]
	v_fma_f64 v[39:40], v[105:106], v[37:38], -v[39:40]
	v_mul_f64 v[105:106], v[105:106], v[77:78]
	v_add_f64 v[29:30], v[29:30], -v[39:40]
	v_fma_f64 v[105:106], v[107:108], v[37:38], v[105:106]
	v_add_f64 v[31:32], v[31:32], -v[105:106]
	ds_read2_b64 v[105:108], v127 offset0:44 offset1:45
	;; [unrolled: 8-line block ×9, first 2 shown]
	s_waitcnt lgkmcnt(0)
	v_mul_f64 v[39:40], v[107:108], v[77:78]
	v_fma_f64 v[39:40], v[105:106], v[37:38], -v[39:40]
	v_mul_f64 v[105:106], v[105:106], v[77:78]
	v_add_f64 v[117:118], v[117:118], -v[39:40]
	v_fma_f64 v[105:106], v[107:108], v[37:38], v[105:106]
	v_mov_b32_e32 v39, v77
	v_mov_b32_e32 v40, v78
	v_add_f64 v[119:120], v[119:120], -v[105:106]
.LBB58_419:
	s_or_b64 exec, exec, s[0:1]
	v_lshl_add_u32 v77, v79, 4, v127
	s_barrier
	ds_write2_b64 v77, v[33:34], v[35:36] offset1:1
	s_waitcnt lgkmcnt(0)
	s_barrier
	ds_read2_b64 v[121:124], v127 offset0:40 offset1:41
	s_cmp_lt_i32 s3, 22
	v_mov_b32_e32 v77, 20
	s_cbranch_scc1 .LBB58_422
; %bb.420:
	v_add_u32_e32 v78, 0x150, v127
	s_mov_b32 s0, 21
	v_mov_b32_e32 v77, 20
.LBB58_421:                             ; =>This Inner Loop Header: Depth=1
	s_waitcnt lgkmcnt(0)
	v_cmp_gt_f64_e32 vcc, 0, v[121:122]
	v_xor_b32_e32 v109, 0x80000000, v122
	ds_read2_b64 v[105:108], v78 offset1:1
	v_xor_b32_e32 v113, 0x80000000, v124
	v_add_u32_e32 v78, 16, v78
	s_waitcnt lgkmcnt(0)
	v_xor_b32_e32 v115, 0x80000000, v108
	v_cndmask_b32_e32 v110, v122, v109, vcc
	v_cmp_gt_f64_e32 vcc, 0, v[123:124]
	v_mov_b32_e32 v109, v121
	v_cndmask_b32_e32 v114, v124, v113, vcc
	v_cmp_gt_f64_e32 vcc, 0, v[105:106]
	v_mov_b32_e32 v113, v123
	v_add_f64 v[109:110], v[109:110], v[113:114]
	v_xor_b32_e32 v113, 0x80000000, v106
	v_cndmask_b32_e32 v114, v106, v113, vcc
	v_cmp_gt_f64_e32 vcc, 0, v[107:108]
	v_mov_b32_e32 v113, v105
	v_cndmask_b32_e32 v116, v108, v115, vcc
	v_mov_b32_e32 v115, v107
	v_add_f64 v[113:114], v[113:114], v[115:116]
	v_cmp_lt_f64_e32 vcc, v[109:110], v[113:114]
	v_cndmask_b32_e32 v121, v121, v105, vcc
	v_mov_b32_e32 v105, s0
	s_add_i32 s0, s0, 1
	v_cndmask_b32_e32 v122, v122, v106, vcc
	v_cndmask_b32_e32 v124, v124, v108, vcc
	;; [unrolled: 1-line block ×4, first 2 shown]
	s_cmp_lg_u32 s3, s0
	s_cbranch_scc1 .LBB58_421
.LBB58_422:
	s_waitcnt lgkmcnt(0)
	v_cmp_eq_f64_e32 vcc, 0, v[121:122]
	v_cmp_eq_f64_e64 s[0:1], 0, v[123:124]
	s_and_b64 s[0:1], vcc, s[0:1]
	s_and_saveexec_b64 s[18:19], s[0:1]
	s_xor_b64 s[0:1], exec, s[18:19]
; %bb.423:
	v_cmp_ne_u32_e32 vcc, 0, v80
	v_cndmask_b32_e32 v80, 21, v80, vcc
; %bb.424:
	s_andn2_saveexec_b64 s[0:1], s[0:1]
	s_cbranch_execz .LBB58_430
; %bb.425:
	v_cmp_ngt_f64_e64 s[18:19], |v[121:122]|, |v[123:124]|
	s_and_saveexec_b64 s[20:21], s[18:19]
	s_xor_b64 s[18:19], exec, s[20:21]
	s_cbranch_execz .LBB58_427
; %bb.426:
	v_div_scale_f64 v[105:106], s[20:21], v[123:124], v[123:124], v[121:122]
	v_rcp_f64_e32 v[107:108], v[105:106]
	v_fma_f64 v[109:110], -v[105:106], v[107:108], 1.0
	v_fma_f64 v[107:108], v[107:108], v[109:110], v[107:108]
	v_div_scale_f64 v[109:110], vcc, v[121:122], v[123:124], v[121:122]
	v_fma_f64 v[113:114], -v[105:106], v[107:108], 1.0
	v_fma_f64 v[107:108], v[107:108], v[113:114], v[107:108]
	v_mul_f64 v[113:114], v[109:110], v[107:108]
	v_fma_f64 v[105:106], -v[105:106], v[113:114], v[109:110]
	v_div_fmas_f64 v[105:106], v[105:106], v[107:108], v[113:114]
	v_div_fixup_f64 v[105:106], v[105:106], v[123:124], v[121:122]
	v_fma_f64 v[107:108], v[121:122], v[105:106], v[123:124]
	v_div_scale_f64 v[109:110], s[20:21], v[107:108], v[107:108], 1.0
	v_div_scale_f64 v[121:122], vcc, 1.0, v[107:108], 1.0
	v_rcp_f64_e32 v[113:114], v[109:110]
	v_fma_f64 v[115:116], -v[109:110], v[113:114], 1.0
	v_fma_f64 v[113:114], v[113:114], v[115:116], v[113:114]
	v_fma_f64 v[115:116], -v[109:110], v[113:114], 1.0
	v_fma_f64 v[113:114], v[113:114], v[115:116], v[113:114]
	v_mul_f64 v[115:116], v[121:122], v[113:114]
	v_fma_f64 v[109:110], -v[109:110], v[115:116], v[121:122]
	v_div_fmas_f64 v[109:110], v[109:110], v[113:114], v[115:116]
	v_div_fixup_f64 v[123:124], v[109:110], v[107:108], 1.0
	v_mul_f64 v[121:122], v[105:106], v[123:124]
	v_xor_b32_e32 v124, 0x80000000, v124
.LBB58_427:
	s_andn2_saveexec_b64 s[18:19], s[18:19]
	s_cbranch_execz .LBB58_429
; %bb.428:
	v_div_scale_f64 v[105:106], s[20:21], v[121:122], v[121:122], v[123:124]
	v_rcp_f64_e32 v[107:108], v[105:106]
	v_fma_f64 v[109:110], -v[105:106], v[107:108], 1.0
	v_fma_f64 v[107:108], v[107:108], v[109:110], v[107:108]
	v_div_scale_f64 v[109:110], vcc, v[123:124], v[121:122], v[123:124]
	v_fma_f64 v[113:114], -v[105:106], v[107:108], 1.0
	v_fma_f64 v[107:108], v[107:108], v[113:114], v[107:108]
	v_mul_f64 v[113:114], v[109:110], v[107:108]
	v_fma_f64 v[105:106], -v[105:106], v[113:114], v[109:110]
	v_div_fmas_f64 v[105:106], v[105:106], v[107:108], v[113:114]
	v_div_fixup_f64 v[105:106], v[105:106], v[121:122], v[123:124]
	v_fma_f64 v[107:108], v[123:124], v[105:106], v[121:122]
	v_div_scale_f64 v[109:110], s[20:21], v[107:108], v[107:108], 1.0
	v_div_scale_f64 v[121:122], vcc, 1.0, v[107:108], 1.0
	v_rcp_f64_e32 v[113:114], v[109:110]
	v_fma_f64 v[115:116], -v[109:110], v[113:114], 1.0
	v_fma_f64 v[113:114], v[113:114], v[115:116], v[113:114]
	v_fma_f64 v[115:116], -v[109:110], v[113:114], 1.0
	v_fma_f64 v[113:114], v[113:114], v[115:116], v[113:114]
	v_mul_f64 v[115:116], v[121:122], v[113:114]
	v_fma_f64 v[109:110], -v[109:110], v[115:116], v[121:122]
	v_div_fmas_f64 v[109:110], v[109:110], v[113:114], v[115:116]
	v_div_fixup_f64 v[121:122], v[109:110], v[107:108], 1.0
	v_mul_f64 v[123:124], v[105:106], -v[121:122]
.LBB58_429:
	s_or_b64 exec, exec, s[18:19]
.LBB58_430:
	s_or_b64 exec, exec, s[0:1]
	v_cmp_ne_u32_e32 vcc, v79, v77
	s_and_saveexec_b64 s[0:1], vcc
	s_xor_b64 s[0:1], exec, s[0:1]
	s_cbranch_execz .LBB58_436
; %bb.431:
	v_cmp_eq_u32_e32 vcc, 20, v79
	s_and_saveexec_b64 s[18:19], vcc
	s_cbranch_execz .LBB58_435
; %bb.432:
	v_cmp_ne_u32_e32 vcc, 20, v77
	s_xor_b64 s[20:21], s[6:7], -1
	s_and_b64 s[22:23], s[20:21], vcc
	s_and_saveexec_b64 s[20:21], s[22:23]
	s_cbranch_execz .LBB58_434
; %bb.433:
	buffer_load_dword v106, off, s[24:27], 0 offset:80 ; 4-byte Folded Reload
	buffer_load_dword v107, off, s[24:27], 0 offset:84 ; 4-byte Folded Reload
	v_ashrrev_i32_e32 v78, 31, v77
	v_lshlrev_b64 v[78:79], 2, v[77:78]
	s_waitcnt vmcnt(1)
	v_add_co_u32_e32 v78, vcc, v106, v78
	s_waitcnt vmcnt(0)
	v_addc_co_u32_e32 v79, vcc, v107, v79, vcc
	global_load_dword v0, v[78:79], off
	global_load_dword v105, v[106:107], off offset:80
	s_waitcnt vmcnt(1)
	global_store_dword v[106:107], v0, off offset:80
	s_waitcnt vmcnt(1)
	global_store_dword v[78:79], v105, off
.LBB58_434:
	s_or_b64 exec, exec, s[20:21]
	v_mov_b32_e32 v79, v77
	v_mov_b32_e32 v0, v77
.LBB58_435:
	s_or_b64 exec, exec, s[18:19]
.LBB58_436:
	s_andn2_saveexec_b64 s[0:1], s[0:1]
	s_cbranch_execz .LBB58_438
; %bb.437:
	v_mov_b32_e32 v79, 20
	ds_write2_b64 v127, v[29:30], v[31:32] offset0:42 offset1:43
	ds_write2_b64 v127, v[25:26], v[27:28] offset0:44 offset1:45
	;; [unrolled: 1-line block ×9, first 2 shown]
.LBB58_438:
	s_or_b64 exec, exec, s[0:1]
	v_cmp_lt_i32_e32 vcc, 20, v79
	s_waitcnt vmcnt(0) lgkmcnt(0)
	s_barrier
	s_and_saveexec_b64 s[0:1], vcc
	s_cbranch_execz .LBB58_440
; %bb.439:
	v_mul_f64 v[77:78], v[121:122], v[35:36]
	v_mul_f64 v[35:36], v[123:124], v[35:36]
	ds_read2_b64 v[105:108], v127 offset0:42 offset1:43
	v_fma_f64 v[77:78], v[123:124], v[33:34], v[77:78]
	v_fma_f64 v[33:34], v[121:122], v[33:34], -v[35:36]
	s_waitcnt lgkmcnt(0)
	v_mul_f64 v[35:36], v[107:108], v[77:78]
	v_fma_f64 v[35:36], v[105:106], v[33:34], -v[35:36]
	v_mul_f64 v[105:106], v[105:106], v[77:78]
	v_add_f64 v[29:30], v[29:30], -v[35:36]
	v_fma_f64 v[105:106], v[107:108], v[33:34], v[105:106]
	v_add_f64 v[31:32], v[31:32], -v[105:106]
	ds_read2_b64 v[105:108], v127 offset0:44 offset1:45
	s_waitcnt lgkmcnt(0)
	v_mul_f64 v[35:36], v[107:108], v[77:78]
	v_fma_f64 v[35:36], v[105:106], v[33:34], -v[35:36]
	v_mul_f64 v[105:106], v[105:106], v[77:78]
	v_add_f64 v[25:26], v[25:26], -v[35:36]
	v_fma_f64 v[105:106], v[107:108], v[33:34], v[105:106]
	v_add_f64 v[27:28], v[27:28], -v[105:106]
	ds_read2_b64 v[105:108], v127 offset0:46 offset1:47
	;; [unrolled: 8-line block ×8, first 2 shown]
	s_waitcnt lgkmcnt(0)
	v_mul_f64 v[35:36], v[107:108], v[77:78]
	v_fma_f64 v[35:36], v[105:106], v[33:34], -v[35:36]
	v_mul_f64 v[105:106], v[105:106], v[77:78]
	v_add_f64 v[117:118], v[117:118], -v[35:36]
	v_fma_f64 v[105:106], v[107:108], v[33:34], v[105:106]
	v_mov_b32_e32 v35, v77
	v_mov_b32_e32 v36, v78
	v_add_f64 v[119:120], v[119:120], -v[105:106]
.LBB58_440:
	s_or_b64 exec, exec, s[0:1]
	v_lshl_add_u32 v77, v79, 4, v127
	s_barrier
	ds_write2_b64 v77, v[29:30], v[31:32] offset1:1
	s_waitcnt lgkmcnt(0)
	s_barrier
	ds_read2_b64 v[121:124], v127 offset0:42 offset1:43
	s_cmp_lt_i32 s3, 23
	v_mov_b32_e32 v77, 21
	s_cbranch_scc1 .LBB58_443
; %bb.441:
	v_add_u32_e32 v78, 0x160, v127
	s_mov_b32 s0, 22
	v_mov_b32_e32 v77, 21
.LBB58_442:                             ; =>This Inner Loop Header: Depth=1
	s_waitcnt lgkmcnt(0)
	v_cmp_gt_f64_e32 vcc, 0, v[121:122]
	v_xor_b32_e32 v109, 0x80000000, v122
	ds_read2_b64 v[105:108], v78 offset1:1
	v_xor_b32_e32 v113, 0x80000000, v124
	v_add_u32_e32 v78, 16, v78
	s_waitcnt lgkmcnt(0)
	v_xor_b32_e32 v115, 0x80000000, v108
	v_cndmask_b32_e32 v110, v122, v109, vcc
	v_cmp_gt_f64_e32 vcc, 0, v[123:124]
	v_mov_b32_e32 v109, v121
	v_cndmask_b32_e32 v114, v124, v113, vcc
	v_cmp_gt_f64_e32 vcc, 0, v[105:106]
	v_mov_b32_e32 v113, v123
	v_add_f64 v[109:110], v[109:110], v[113:114]
	v_xor_b32_e32 v113, 0x80000000, v106
	v_cndmask_b32_e32 v114, v106, v113, vcc
	v_cmp_gt_f64_e32 vcc, 0, v[107:108]
	v_mov_b32_e32 v113, v105
	v_cndmask_b32_e32 v116, v108, v115, vcc
	v_mov_b32_e32 v115, v107
	v_add_f64 v[113:114], v[113:114], v[115:116]
	v_cmp_lt_f64_e32 vcc, v[109:110], v[113:114]
	v_cndmask_b32_e32 v121, v121, v105, vcc
	v_mov_b32_e32 v105, s0
	s_add_i32 s0, s0, 1
	v_cndmask_b32_e32 v122, v122, v106, vcc
	v_cndmask_b32_e32 v124, v124, v108, vcc
	;; [unrolled: 1-line block ×4, first 2 shown]
	s_cmp_lg_u32 s3, s0
	s_cbranch_scc1 .LBB58_442
.LBB58_443:
	s_waitcnt lgkmcnt(0)
	v_cmp_eq_f64_e32 vcc, 0, v[121:122]
	v_cmp_eq_f64_e64 s[0:1], 0, v[123:124]
	s_and_b64 s[0:1], vcc, s[0:1]
	s_and_saveexec_b64 s[18:19], s[0:1]
	s_xor_b64 s[0:1], exec, s[18:19]
; %bb.444:
	v_cmp_ne_u32_e32 vcc, 0, v80
	v_cndmask_b32_e32 v80, 22, v80, vcc
; %bb.445:
	s_andn2_saveexec_b64 s[0:1], s[0:1]
	s_cbranch_execz .LBB58_451
; %bb.446:
	v_cmp_ngt_f64_e64 s[18:19], |v[121:122]|, |v[123:124]|
	s_and_saveexec_b64 s[20:21], s[18:19]
	s_xor_b64 s[18:19], exec, s[20:21]
	s_cbranch_execz .LBB58_448
; %bb.447:
	v_div_scale_f64 v[105:106], s[20:21], v[123:124], v[123:124], v[121:122]
	v_rcp_f64_e32 v[107:108], v[105:106]
	v_fma_f64 v[109:110], -v[105:106], v[107:108], 1.0
	v_fma_f64 v[107:108], v[107:108], v[109:110], v[107:108]
	v_div_scale_f64 v[109:110], vcc, v[121:122], v[123:124], v[121:122]
	v_fma_f64 v[113:114], -v[105:106], v[107:108], 1.0
	v_fma_f64 v[107:108], v[107:108], v[113:114], v[107:108]
	v_mul_f64 v[113:114], v[109:110], v[107:108]
	v_fma_f64 v[105:106], -v[105:106], v[113:114], v[109:110]
	v_div_fmas_f64 v[105:106], v[105:106], v[107:108], v[113:114]
	v_div_fixup_f64 v[105:106], v[105:106], v[123:124], v[121:122]
	v_fma_f64 v[107:108], v[121:122], v[105:106], v[123:124]
	v_div_scale_f64 v[109:110], s[20:21], v[107:108], v[107:108], 1.0
	v_div_scale_f64 v[121:122], vcc, 1.0, v[107:108], 1.0
	v_rcp_f64_e32 v[113:114], v[109:110]
	v_fma_f64 v[115:116], -v[109:110], v[113:114], 1.0
	v_fma_f64 v[113:114], v[113:114], v[115:116], v[113:114]
	v_fma_f64 v[115:116], -v[109:110], v[113:114], 1.0
	v_fma_f64 v[113:114], v[113:114], v[115:116], v[113:114]
	v_mul_f64 v[115:116], v[121:122], v[113:114]
	v_fma_f64 v[109:110], -v[109:110], v[115:116], v[121:122]
	v_div_fmas_f64 v[109:110], v[109:110], v[113:114], v[115:116]
	v_div_fixup_f64 v[123:124], v[109:110], v[107:108], 1.0
	v_mul_f64 v[121:122], v[105:106], v[123:124]
	v_xor_b32_e32 v124, 0x80000000, v124
.LBB58_448:
	s_andn2_saveexec_b64 s[18:19], s[18:19]
	s_cbranch_execz .LBB58_450
; %bb.449:
	v_div_scale_f64 v[105:106], s[20:21], v[121:122], v[121:122], v[123:124]
	v_rcp_f64_e32 v[107:108], v[105:106]
	v_fma_f64 v[109:110], -v[105:106], v[107:108], 1.0
	v_fma_f64 v[107:108], v[107:108], v[109:110], v[107:108]
	v_div_scale_f64 v[109:110], vcc, v[123:124], v[121:122], v[123:124]
	v_fma_f64 v[113:114], -v[105:106], v[107:108], 1.0
	v_fma_f64 v[107:108], v[107:108], v[113:114], v[107:108]
	v_mul_f64 v[113:114], v[109:110], v[107:108]
	v_fma_f64 v[105:106], -v[105:106], v[113:114], v[109:110]
	v_div_fmas_f64 v[105:106], v[105:106], v[107:108], v[113:114]
	v_div_fixup_f64 v[105:106], v[105:106], v[121:122], v[123:124]
	v_fma_f64 v[107:108], v[123:124], v[105:106], v[121:122]
	v_div_scale_f64 v[109:110], s[20:21], v[107:108], v[107:108], 1.0
	v_div_scale_f64 v[121:122], vcc, 1.0, v[107:108], 1.0
	v_rcp_f64_e32 v[113:114], v[109:110]
	v_fma_f64 v[115:116], -v[109:110], v[113:114], 1.0
	v_fma_f64 v[113:114], v[113:114], v[115:116], v[113:114]
	v_fma_f64 v[115:116], -v[109:110], v[113:114], 1.0
	v_fma_f64 v[113:114], v[113:114], v[115:116], v[113:114]
	v_mul_f64 v[115:116], v[121:122], v[113:114]
	v_fma_f64 v[109:110], -v[109:110], v[115:116], v[121:122]
	v_div_fmas_f64 v[109:110], v[109:110], v[113:114], v[115:116]
	v_div_fixup_f64 v[121:122], v[109:110], v[107:108], 1.0
	v_mul_f64 v[123:124], v[105:106], -v[121:122]
.LBB58_450:
	s_or_b64 exec, exec, s[18:19]
.LBB58_451:
	s_or_b64 exec, exec, s[0:1]
	v_cmp_ne_u32_e32 vcc, v79, v77
	s_and_saveexec_b64 s[0:1], vcc
	s_xor_b64 s[0:1], exec, s[0:1]
	s_cbranch_execz .LBB58_457
; %bb.452:
	v_cmp_eq_u32_e32 vcc, 21, v79
	s_and_saveexec_b64 s[18:19], vcc
	s_cbranch_execz .LBB58_456
; %bb.453:
	v_cmp_ne_u32_e32 vcc, 21, v77
	s_xor_b64 s[20:21], s[6:7], -1
	s_and_b64 s[22:23], s[20:21], vcc
	s_and_saveexec_b64 s[20:21], s[22:23]
	s_cbranch_execz .LBB58_455
; %bb.454:
	buffer_load_dword v106, off, s[24:27], 0 offset:80 ; 4-byte Folded Reload
	buffer_load_dword v107, off, s[24:27], 0 offset:84 ; 4-byte Folded Reload
	v_ashrrev_i32_e32 v78, 31, v77
	v_lshlrev_b64 v[78:79], 2, v[77:78]
	s_waitcnt vmcnt(1)
	v_add_co_u32_e32 v78, vcc, v106, v78
	s_waitcnt vmcnt(0)
	v_addc_co_u32_e32 v79, vcc, v107, v79, vcc
	global_load_dword v0, v[78:79], off
	global_load_dword v105, v[106:107], off offset:84
	s_waitcnt vmcnt(1)
	global_store_dword v[106:107], v0, off offset:84
	s_waitcnt vmcnt(1)
	global_store_dword v[78:79], v105, off
.LBB58_455:
	s_or_b64 exec, exec, s[20:21]
	v_mov_b32_e32 v79, v77
	v_mov_b32_e32 v0, v77
.LBB58_456:
	s_or_b64 exec, exec, s[18:19]
.LBB58_457:
	s_andn2_saveexec_b64 s[0:1], s[0:1]
	s_cbranch_execz .LBB58_459
; %bb.458:
	v_mov_b32_e32 v79, 21
	ds_write2_b64 v127, v[25:26], v[27:28] offset0:44 offset1:45
	ds_write2_b64 v127, v[21:22], v[23:24] offset0:46 offset1:47
	ds_write2_b64 v127, v[17:18], v[19:20] offset0:48 offset1:49
	ds_write2_b64 v127, v[13:14], v[15:16] offset0:50 offset1:51
	ds_write2_b64 v127, v[9:10], v[11:12] offset0:52 offset1:53
	ds_write2_b64 v127, v[5:6], v[7:8] offset0:54 offset1:55
	ds_write2_b64 v127, v[1:2], v[3:4] offset0:56 offset1:57
	ds_write2_b64 v127, v[117:118], v[119:120] offset0:58 offset1:59
.LBB58_459:
	s_or_b64 exec, exec, s[0:1]
	v_cmp_lt_i32_e32 vcc, 21, v79
	s_waitcnt vmcnt(0) lgkmcnt(0)
	s_barrier
	s_and_saveexec_b64 s[0:1], vcc
	s_cbranch_execz .LBB58_461
; %bb.460:
	v_mul_f64 v[77:78], v[121:122], v[31:32]
	v_mul_f64 v[31:32], v[123:124], v[31:32]
	ds_read2_b64 v[105:108], v127 offset0:44 offset1:45
	v_fma_f64 v[77:78], v[123:124], v[29:30], v[77:78]
	v_fma_f64 v[29:30], v[121:122], v[29:30], -v[31:32]
	s_waitcnt lgkmcnt(0)
	v_mul_f64 v[31:32], v[107:108], v[77:78]
	v_fma_f64 v[31:32], v[105:106], v[29:30], -v[31:32]
	v_mul_f64 v[105:106], v[105:106], v[77:78]
	v_add_f64 v[25:26], v[25:26], -v[31:32]
	v_fma_f64 v[105:106], v[107:108], v[29:30], v[105:106]
	v_add_f64 v[27:28], v[27:28], -v[105:106]
	ds_read2_b64 v[105:108], v127 offset0:46 offset1:47
	s_waitcnt lgkmcnt(0)
	v_mul_f64 v[31:32], v[107:108], v[77:78]
	v_fma_f64 v[31:32], v[105:106], v[29:30], -v[31:32]
	v_mul_f64 v[105:106], v[105:106], v[77:78]
	v_add_f64 v[21:22], v[21:22], -v[31:32]
	v_fma_f64 v[105:106], v[107:108], v[29:30], v[105:106]
	v_add_f64 v[23:24], v[23:24], -v[105:106]
	ds_read2_b64 v[105:108], v127 offset0:48 offset1:49
	;; [unrolled: 8-line block ×7, first 2 shown]
	s_waitcnt lgkmcnt(0)
	v_mul_f64 v[31:32], v[107:108], v[77:78]
	v_fma_f64 v[31:32], v[105:106], v[29:30], -v[31:32]
	v_mul_f64 v[105:106], v[105:106], v[77:78]
	v_add_f64 v[117:118], v[117:118], -v[31:32]
	v_fma_f64 v[105:106], v[107:108], v[29:30], v[105:106]
	v_mov_b32_e32 v31, v77
	v_mov_b32_e32 v32, v78
	v_add_f64 v[119:120], v[119:120], -v[105:106]
.LBB58_461:
	s_or_b64 exec, exec, s[0:1]
	v_lshl_add_u32 v77, v79, 4, v127
	s_barrier
	ds_write2_b64 v77, v[25:26], v[27:28] offset1:1
	s_waitcnt lgkmcnt(0)
	s_barrier
	ds_read2_b64 v[121:124], v127 offset0:44 offset1:45
	s_cmp_lt_i32 s3, 24
	v_mov_b32_e32 v77, 22
	s_cbranch_scc1 .LBB58_464
; %bb.462:
	v_add_u32_e32 v78, 0x170, v127
	s_mov_b32 s0, 23
	v_mov_b32_e32 v77, 22
.LBB58_463:                             ; =>This Inner Loop Header: Depth=1
	s_waitcnt lgkmcnt(0)
	v_cmp_gt_f64_e32 vcc, 0, v[121:122]
	v_xor_b32_e32 v109, 0x80000000, v122
	ds_read2_b64 v[105:108], v78 offset1:1
	v_xor_b32_e32 v113, 0x80000000, v124
	v_add_u32_e32 v78, 16, v78
	s_waitcnt lgkmcnt(0)
	v_xor_b32_e32 v115, 0x80000000, v108
	v_cndmask_b32_e32 v110, v122, v109, vcc
	v_cmp_gt_f64_e32 vcc, 0, v[123:124]
	v_mov_b32_e32 v109, v121
	v_cndmask_b32_e32 v114, v124, v113, vcc
	v_cmp_gt_f64_e32 vcc, 0, v[105:106]
	v_mov_b32_e32 v113, v123
	v_add_f64 v[109:110], v[109:110], v[113:114]
	v_xor_b32_e32 v113, 0x80000000, v106
	v_cndmask_b32_e32 v114, v106, v113, vcc
	v_cmp_gt_f64_e32 vcc, 0, v[107:108]
	v_mov_b32_e32 v113, v105
	v_cndmask_b32_e32 v116, v108, v115, vcc
	v_mov_b32_e32 v115, v107
	v_add_f64 v[113:114], v[113:114], v[115:116]
	v_cmp_lt_f64_e32 vcc, v[109:110], v[113:114]
	v_cndmask_b32_e32 v121, v121, v105, vcc
	v_mov_b32_e32 v105, s0
	s_add_i32 s0, s0, 1
	v_cndmask_b32_e32 v122, v122, v106, vcc
	v_cndmask_b32_e32 v124, v124, v108, vcc
	;; [unrolled: 1-line block ×4, first 2 shown]
	s_cmp_lg_u32 s3, s0
	s_cbranch_scc1 .LBB58_463
.LBB58_464:
	s_waitcnt lgkmcnt(0)
	v_cmp_eq_f64_e32 vcc, 0, v[121:122]
	v_cmp_eq_f64_e64 s[0:1], 0, v[123:124]
	s_and_b64 s[0:1], vcc, s[0:1]
	s_and_saveexec_b64 s[18:19], s[0:1]
	s_xor_b64 s[0:1], exec, s[18:19]
; %bb.465:
	v_cmp_ne_u32_e32 vcc, 0, v80
	v_cndmask_b32_e32 v80, 23, v80, vcc
; %bb.466:
	s_andn2_saveexec_b64 s[0:1], s[0:1]
	s_cbranch_execz .LBB58_472
; %bb.467:
	v_cmp_ngt_f64_e64 s[18:19], |v[121:122]|, |v[123:124]|
	s_and_saveexec_b64 s[20:21], s[18:19]
	s_xor_b64 s[18:19], exec, s[20:21]
	s_cbranch_execz .LBB58_469
; %bb.468:
	v_div_scale_f64 v[105:106], s[20:21], v[123:124], v[123:124], v[121:122]
	v_rcp_f64_e32 v[107:108], v[105:106]
	v_fma_f64 v[109:110], -v[105:106], v[107:108], 1.0
	v_fma_f64 v[107:108], v[107:108], v[109:110], v[107:108]
	v_div_scale_f64 v[109:110], vcc, v[121:122], v[123:124], v[121:122]
	v_fma_f64 v[113:114], -v[105:106], v[107:108], 1.0
	v_fma_f64 v[107:108], v[107:108], v[113:114], v[107:108]
	v_mul_f64 v[113:114], v[109:110], v[107:108]
	v_fma_f64 v[105:106], -v[105:106], v[113:114], v[109:110]
	v_div_fmas_f64 v[105:106], v[105:106], v[107:108], v[113:114]
	v_div_fixup_f64 v[105:106], v[105:106], v[123:124], v[121:122]
	v_fma_f64 v[107:108], v[121:122], v[105:106], v[123:124]
	v_div_scale_f64 v[109:110], s[20:21], v[107:108], v[107:108], 1.0
	v_div_scale_f64 v[121:122], vcc, 1.0, v[107:108], 1.0
	v_rcp_f64_e32 v[113:114], v[109:110]
	v_fma_f64 v[115:116], -v[109:110], v[113:114], 1.0
	v_fma_f64 v[113:114], v[113:114], v[115:116], v[113:114]
	v_fma_f64 v[115:116], -v[109:110], v[113:114], 1.0
	v_fma_f64 v[113:114], v[113:114], v[115:116], v[113:114]
	v_mul_f64 v[115:116], v[121:122], v[113:114]
	v_fma_f64 v[109:110], -v[109:110], v[115:116], v[121:122]
	v_div_fmas_f64 v[109:110], v[109:110], v[113:114], v[115:116]
	v_div_fixup_f64 v[123:124], v[109:110], v[107:108], 1.0
	v_mul_f64 v[121:122], v[105:106], v[123:124]
	v_xor_b32_e32 v124, 0x80000000, v124
.LBB58_469:
	s_andn2_saveexec_b64 s[18:19], s[18:19]
	s_cbranch_execz .LBB58_471
; %bb.470:
	v_div_scale_f64 v[105:106], s[20:21], v[121:122], v[121:122], v[123:124]
	v_rcp_f64_e32 v[107:108], v[105:106]
	v_fma_f64 v[109:110], -v[105:106], v[107:108], 1.0
	v_fma_f64 v[107:108], v[107:108], v[109:110], v[107:108]
	v_div_scale_f64 v[109:110], vcc, v[123:124], v[121:122], v[123:124]
	v_fma_f64 v[113:114], -v[105:106], v[107:108], 1.0
	v_fma_f64 v[107:108], v[107:108], v[113:114], v[107:108]
	v_mul_f64 v[113:114], v[109:110], v[107:108]
	v_fma_f64 v[105:106], -v[105:106], v[113:114], v[109:110]
	v_div_fmas_f64 v[105:106], v[105:106], v[107:108], v[113:114]
	v_div_fixup_f64 v[105:106], v[105:106], v[121:122], v[123:124]
	v_fma_f64 v[107:108], v[123:124], v[105:106], v[121:122]
	v_div_scale_f64 v[109:110], s[20:21], v[107:108], v[107:108], 1.0
	v_div_scale_f64 v[121:122], vcc, 1.0, v[107:108], 1.0
	v_rcp_f64_e32 v[113:114], v[109:110]
	v_fma_f64 v[115:116], -v[109:110], v[113:114], 1.0
	v_fma_f64 v[113:114], v[113:114], v[115:116], v[113:114]
	v_fma_f64 v[115:116], -v[109:110], v[113:114], 1.0
	v_fma_f64 v[113:114], v[113:114], v[115:116], v[113:114]
	v_mul_f64 v[115:116], v[121:122], v[113:114]
	v_fma_f64 v[109:110], -v[109:110], v[115:116], v[121:122]
	v_div_fmas_f64 v[109:110], v[109:110], v[113:114], v[115:116]
	v_div_fixup_f64 v[121:122], v[109:110], v[107:108], 1.0
	v_mul_f64 v[123:124], v[105:106], -v[121:122]
.LBB58_471:
	s_or_b64 exec, exec, s[18:19]
.LBB58_472:
	s_or_b64 exec, exec, s[0:1]
	v_cmp_ne_u32_e32 vcc, v79, v77
	s_and_saveexec_b64 s[0:1], vcc
	s_xor_b64 s[0:1], exec, s[0:1]
	s_cbranch_execz .LBB58_478
; %bb.473:
	v_cmp_eq_u32_e32 vcc, 22, v79
	s_and_saveexec_b64 s[18:19], vcc
	s_cbranch_execz .LBB58_477
; %bb.474:
	v_cmp_ne_u32_e32 vcc, 22, v77
	s_xor_b64 s[20:21], s[6:7], -1
	s_and_b64 s[22:23], s[20:21], vcc
	s_and_saveexec_b64 s[20:21], s[22:23]
	s_cbranch_execz .LBB58_476
; %bb.475:
	buffer_load_dword v106, off, s[24:27], 0 offset:80 ; 4-byte Folded Reload
	buffer_load_dword v107, off, s[24:27], 0 offset:84 ; 4-byte Folded Reload
	v_ashrrev_i32_e32 v78, 31, v77
	v_lshlrev_b64 v[78:79], 2, v[77:78]
	s_waitcnt vmcnt(1)
	v_add_co_u32_e32 v78, vcc, v106, v78
	s_waitcnt vmcnt(0)
	v_addc_co_u32_e32 v79, vcc, v107, v79, vcc
	global_load_dword v0, v[78:79], off
	global_load_dword v105, v[106:107], off offset:88
	s_waitcnt vmcnt(1)
	global_store_dword v[106:107], v0, off offset:88
	s_waitcnt vmcnt(1)
	global_store_dword v[78:79], v105, off
.LBB58_476:
	s_or_b64 exec, exec, s[20:21]
	v_mov_b32_e32 v79, v77
	v_mov_b32_e32 v0, v77
.LBB58_477:
	s_or_b64 exec, exec, s[18:19]
.LBB58_478:
	s_andn2_saveexec_b64 s[0:1], s[0:1]
	s_cbranch_execz .LBB58_480
; %bb.479:
	v_mov_b32_e32 v79, 22
	ds_write2_b64 v127, v[21:22], v[23:24] offset0:46 offset1:47
	ds_write2_b64 v127, v[17:18], v[19:20] offset0:48 offset1:49
	ds_write2_b64 v127, v[13:14], v[15:16] offset0:50 offset1:51
	ds_write2_b64 v127, v[9:10], v[11:12] offset0:52 offset1:53
	ds_write2_b64 v127, v[5:6], v[7:8] offset0:54 offset1:55
	ds_write2_b64 v127, v[1:2], v[3:4] offset0:56 offset1:57
	ds_write2_b64 v127, v[117:118], v[119:120] offset0:58 offset1:59
.LBB58_480:
	s_or_b64 exec, exec, s[0:1]
	v_cmp_lt_i32_e32 vcc, 22, v79
	s_waitcnt vmcnt(0) lgkmcnt(0)
	s_barrier
	s_and_saveexec_b64 s[0:1], vcc
	s_cbranch_execz .LBB58_482
; %bb.481:
	v_mul_f64 v[77:78], v[121:122], v[27:28]
	v_mul_f64 v[27:28], v[123:124], v[27:28]
	ds_read2_b64 v[105:108], v127 offset0:46 offset1:47
	v_fma_f64 v[77:78], v[123:124], v[25:26], v[77:78]
	v_fma_f64 v[25:26], v[121:122], v[25:26], -v[27:28]
	s_waitcnt lgkmcnt(0)
	v_mul_f64 v[27:28], v[107:108], v[77:78]
	v_fma_f64 v[27:28], v[105:106], v[25:26], -v[27:28]
	v_mul_f64 v[105:106], v[105:106], v[77:78]
	v_add_f64 v[21:22], v[21:22], -v[27:28]
	v_fma_f64 v[105:106], v[107:108], v[25:26], v[105:106]
	v_add_f64 v[23:24], v[23:24], -v[105:106]
	ds_read2_b64 v[105:108], v127 offset0:48 offset1:49
	s_waitcnt lgkmcnt(0)
	v_mul_f64 v[27:28], v[107:108], v[77:78]
	v_fma_f64 v[27:28], v[105:106], v[25:26], -v[27:28]
	v_mul_f64 v[105:106], v[105:106], v[77:78]
	v_add_f64 v[17:18], v[17:18], -v[27:28]
	v_fma_f64 v[105:106], v[107:108], v[25:26], v[105:106]
	v_add_f64 v[19:20], v[19:20], -v[105:106]
	ds_read2_b64 v[105:108], v127 offset0:50 offset1:51
	;; [unrolled: 8-line block ×6, first 2 shown]
	s_waitcnt lgkmcnt(0)
	v_mul_f64 v[27:28], v[107:108], v[77:78]
	v_fma_f64 v[27:28], v[105:106], v[25:26], -v[27:28]
	v_mul_f64 v[105:106], v[105:106], v[77:78]
	v_add_f64 v[117:118], v[117:118], -v[27:28]
	v_fma_f64 v[105:106], v[107:108], v[25:26], v[105:106]
	v_mov_b32_e32 v27, v77
	v_mov_b32_e32 v28, v78
	v_add_f64 v[119:120], v[119:120], -v[105:106]
.LBB58_482:
	s_or_b64 exec, exec, s[0:1]
	v_lshl_add_u32 v77, v79, 4, v127
	s_barrier
	ds_write2_b64 v77, v[21:22], v[23:24] offset1:1
	s_waitcnt lgkmcnt(0)
	s_barrier
	ds_read2_b64 v[121:124], v127 offset0:46 offset1:47
	s_cmp_lt_i32 s3, 25
	v_mov_b32_e32 v77, 23
	s_cbranch_scc1 .LBB58_485
; %bb.483:
	v_add_u32_e32 v78, 0x180, v127
	s_mov_b32 s0, 24
	v_mov_b32_e32 v77, 23
.LBB58_484:                             ; =>This Inner Loop Header: Depth=1
	s_waitcnt lgkmcnt(0)
	v_cmp_gt_f64_e32 vcc, 0, v[121:122]
	v_xor_b32_e32 v109, 0x80000000, v122
	ds_read2_b64 v[105:108], v78 offset1:1
	v_xor_b32_e32 v113, 0x80000000, v124
	v_add_u32_e32 v78, 16, v78
	s_waitcnt lgkmcnt(0)
	v_xor_b32_e32 v115, 0x80000000, v108
	v_cndmask_b32_e32 v110, v122, v109, vcc
	v_cmp_gt_f64_e32 vcc, 0, v[123:124]
	v_mov_b32_e32 v109, v121
	v_cndmask_b32_e32 v114, v124, v113, vcc
	v_cmp_gt_f64_e32 vcc, 0, v[105:106]
	v_mov_b32_e32 v113, v123
	v_add_f64 v[109:110], v[109:110], v[113:114]
	v_xor_b32_e32 v113, 0x80000000, v106
	v_cndmask_b32_e32 v114, v106, v113, vcc
	v_cmp_gt_f64_e32 vcc, 0, v[107:108]
	v_mov_b32_e32 v113, v105
	v_cndmask_b32_e32 v116, v108, v115, vcc
	v_mov_b32_e32 v115, v107
	v_add_f64 v[113:114], v[113:114], v[115:116]
	v_cmp_lt_f64_e32 vcc, v[109:110], v[113:114]
	v_cndmask_b32_e32 v121, v121, v105, vcc
	v_mov_b32_e32 v105, s0
	s_add_i32 s0, s0, 1
	v_cndmask_b32_e32 v122, v122, v106, vcc
	v_cndmask_b32_e32 v124, v124, v108, vcc
	;; [unrolled: 1-line block ×4, first 2 shown]
	s_cmp_lg_u32 s3, s0
	s_cbranch_scc1 .LBB58_484
.LBB58_485:
	s_waitcnt lgkmcnt(0)
	v_cmp_eq_f64_e32 vcc, 0, v[121:122]
	v_cmp_eq_f64_e64 s[0:1], 0, v[123:124]
	s_and_b64 s[0:1], vcc, s[0:1]
	s_and_saveexec_b64 s[18:19], s[0:1]
	s_xor_b64 s[0:1], exec, s[18:19]
; %bb.486:
	v_cmp_ne_u32_e32 vcc, 0, v80
	v_cndmask_b32_e32 v80, 24, v80, vcc
; %bb.487:
	s_andn2_saveexec_b64 s[0:1], s[0:1]
	s_cbranch_execz .LBB58_493
; %bb.488:
	v_cmp_ngt_f64_e64 s[18:19], |v[121:122]|, |v[123:124]|
	s_and_saveexec_b64 s[20:21], s[18:19]
	s_xor_b64 s[18:19], exec, s[20:21]
	s_cbranch_execz .LBB58_490
; %bb.489:
	v_div_scale_f64 v[105:106], s[20:21], v[123:124], v[123:124], v[121:122]
	v_rcp_f64_e32 v[107:108], v[105:106]
	v_fma_f64 v[109:110], -v[105:106], v[107:108], 1.0
	v_fma_f64 v[107:108], v[107:108], v[109:110], v[107:108]
	v_div_scale_f64 v[109:110], vcc, v[121:122], v[123:124], v[121:122]
	v_fma_f64 v[113:114], -v[105:106], v[107:108], 1.0
	v_fma_f64 v[107:108], v[107:108], v[113:114], v[107:108]
	v_mul_f64 v[113:114], v[109:110], v[107:108]
	v_fma_f64 v[105:106], -v[105:106], v[113:114], v[109:110]
	v_div_fmas_f64 v[105:106], v[105:106], v[107:108], v[113:114]
	v_div_fixup_f64 v[105:106], v[105:106], v[123:124], v[121:122]
	v_fma_f64 v[107:108], v[121:122], v[105:106], v[123:124]
	v_div_scale_f64 v[109:110], s[20:21], v[107:108], v[107:108], 1.0
	v_div_scale_f64 v[121:122], vcc, 1.0, v[107:108], 1.0
	v_rcp_f64_e32 v[113:114], v[109:110]
	v_fma_f64 v[115:116], -v[109:110], v[113:114], 1.0
	v_fma_f64 v[113:114], v[113:114], v[115:116], v[113:114]
	v_fma_f64 v[115:116], -v[109:110], v[113:114], 1.0
	v_fma_f64 v[113:114], v[113:114], v[115:116], v[113:114]
	v_mul_f64 v[115:116], v[121:122], v[113:114]
	v_fma_f64 v[109:110], -v[109:110], v[115:116], v[121:122]
	v_div_fmas_f64 v[109:110], v[109:110], v[113:114], v[115:116]
	v_div_fixup_f64 v[123:124], v[109:110], v[107:108], 1.0
	v_mul_f64 v[121:122], v[105:106], v[123:124]
	v_xor_b32_e32 v124, 0x80000000, v124
.LBB58_490:
	s_andn2_saveexec_b64 s[18:19], s[18:19]
	s_cbranch_execz .LBB58_492
; %bb.491:
	v_div_scale_f64 v[105:106], s[20:21], v[121:122], v[121:122], v[123:124]
	v_rcp_f64_e32 v[107:108], v[105:106]
	v_fma_f64 v[109:110], -v[105:106], v[107:108], 1.0
	v_fma_f64 v[107:108], v[107:108], v[109:110], v[107:108]
	v_div_scale_f64 v[109:110], vcc, v[123:124], v[121:122], v[123:124]
	v_fma_f64 v[113:114], -v[105:106], v[107:108], 1.0
	v_fma_f64 v[107:108], v[107:108], v[113:114], v[107:108]
	v_mul_f64 v[113:114], v[109:110], v[107:108]
	v_fma_f64 v[105:106], -v[105:106], v[113:114], v[109:110]
	v_div_fmas_f64 v[105:106], v[105:106], v[107:108], v[113:114]
	v_div_fixup_f64 v[105:106], v[105:106], v[121:122], v[123:124]
	v_fma_f64 v[107:108], v[123:124], v[105:106], v[121:122]
	v_div_scale_f64 v[109:110], s[20:21], v[107:108], v[107:108], 1.0
	v_div_scale_f64 v[121:122], vcc, 1.0, v[107:108], 1.0
	v_rcp_f64_e32 v[113:114], v[109:110]
	v_fma_f64 v[115:116], -v[109:110], v[113:114], 1.0
	v_fma_f64 v[113:114], v[113:114], v[115:116], v[113:114]
	v_fma_f64 v[115:116], -v[109:110], v[113:114], 1.0
	v_fma_f64 v[113:114], v[113:114], v[115:116], v[113:114]
	v_mul_f64 v[115:116], v[121:122], v[113:114]
	v_fma_f64 v[109:110], -v[109:110], v[115:116], v[121:122]
	v_div_fmas_f64 v[109:110], v[109:110], v[113:114], v[115:116]
	v_div_fixup_f64 v[121:122], v[109:110], v[107:108], 1.0
	v_mul_f64 v[123:124], v[105:106], -v[121:122]
.LBB58_492:
	s_or_b64 exec, exec, s[18:19]
.LBB58_493:
	s_or_b64 exec, exec, s[0:1]
	v_cmp_ne_u32_e32 vcc, v79, v77
	s_and_saveexec_b64 s[0:1], vcc
	s_xor_b64 s[0:1], exec, s[0:1]
	s_cbranch_execz .LBB58_499
; %bb.494:
	v_cmp_eq_u32_e32 vcc, 23, v79
	s_and_saveexec_b64 s[18:19], vcc
	s_cbranch_execz .LBB58_498
; %bb.495:
	v_cmp_ne_u32_e32 vcc, 23, v77
	s_xor_b64 s[20:21], s[6:7], -1
	s_and_b64 s[22:23], s[20:21], vcc
	s_and_saveexec_b64 s[20:21], s[22:23]
	s_cbranch_execz .LBB58_497
; %bb.496:
	buffer_load_dword v106, off, s[24:27], 0 offset:80 ; 4-byte Folded Reload
	buffer_load_dword v107, off, s[24:27], 0 offset:84 ; 4-byte Folded Reload
	v_ashrrev_i32_e32 v78, 31, v77
	v_lshlrev_b64 v[78:79], 2, v[77:78]
	s_waitcnt vmcnt(1)
	v_add_co_u32_e32 v78, vcc, v106, v78
	s_waitcnt vmcnt(0)
	v_addc_co_u32_e32 v79, vcc, v107, v79, vcc
	global_load_dword v0, v[78:79], off
	global_load_dword v105, v[106:107], off offset:92
	s_waitcnt vmcnt(1)
	global_store_dword v[106:107], v0, off offset:92
	s_waitcnt vmcnt(1)
	global_store_dword v[78:79], v105, off
.LBB58_497:
	s_or_b64 exec, exec, s[20:21]
	v_mov_b32_e32 v79, v77
	v_mov_b32_e32 v0, v77
.LBB58_498:
	s_or_b64 exec, exec, s[18:19]
.LBB58_499:
	s_andn2_saveexec_b64 s[0:1], s[0:1]
	s_cbranch_execz .LBB58_501
; %bb.500:
	v_mov_b32_e32 v79, 23
	ds_write2_b64 v127, v[17:18], v[19:20] offset0:48 offset1:49
	ds_write2_b64 v127, v[13:14], v[15:16] offset0:50 offset1:51
	;; [unrolled: 1-line block ×6, first 2 shown]
.LBB58_501:
	s_or_b64 exec, exec, s[0:1]
	v_cmp_lt_i32_e32 vcc, 23, v79
	s_waitcnt vmcnt(0) lgkmcnt(0)
	s_barrier
	s_and_saveexec_b64 s[0:1], vcc
	s_cbranch_execz .LBB58_503
; %bb.502:
	v_mul_f64 v[77:78], v[121:122], v[23:24]
	v_mul_f64 v[23:24], v[123:124], v[23:24]
	ds_read2_b64 v[105:108], v127 offset0:48 offset1:49
	v_fma_f64 v[77:78], v[123:124], v[21:22], v[77:78]
	v_fma_f64 v[21:22], v[121:122], v[21:22], -v[23:24]
	s_waitcnt lgkmcnt(0)
	v_mul_f64 v[23:24], v[107:108], v[77:78]
	v_fma_f64 v[23:24], v[105:106], v[21:22], -v[23:24]
	v_mul_f64 v[105:106], v[105:106], v[77:78]
	v_add_f64 v[17:18], v[17:18], -v[23:24]
	v_fma_f64 v[105:106], v[107:108], v[21:22], v[105:106]
	v_add_f64 v[19:20], v[19:20], -v[105:106]
	ds_read2_b64 v[105:108], v127 offset0:50 offset1:51
	s_waitcnt lgkmcnt(0)
	v_mul_f64 v[23:24], v[107:108], v[77:78]
	v_fma_f64 v[23:24], v[105:106], v[21:22], -v[23:24]
	v_mul_f64 v[105:106], v[105:106], v[77:78]
	v_add_f64 v[13:14], v[13:14], -v[23:24]
	v_fma_f64 v[105:106], v[107:108], v[21:22], v[105:106]
	v_add_f64 v[15:16], v[15:16], -v[105:106]
	ds_read2_b64 v[105:108], v127 offset0:52 offset1:53
	;; [unrolled: 8-line block ×5, first 2 shown]
	s_waitcnt lgkmcnt(0)
	v_mul_f64 v[23:24], v[107:108], v[77:78]
	v_fma_f64 v[23:24], v[105:106], v[21:22], -v[23:24]
	v_mul_f64 v[105:106], v[105:106], v[77:78]
	v_add_f64 v[117:118], v[117:118], -v[23:24]
	v_fma_f64 v[105:106], v[107:108], v[21:22], v[105:106]
	v_mov_b32_e32 v23, v77
	v_mov_b32_e32 v24, v78
	v_add_f64 v[119:120], v[119:120], -v[105:106]
.LBB58_503:
	s_or_b64 exec, exec, s[0:1]
	v_lshl_add_u32 v77, v79, 4, v127
	s_barrier
	ds_write2_b64 v77, v[17:18], v[19:20] offset1:1
	s_waitcnt lgkmcnt(0)
	s_barrier
	ds_read2_b64 v[121:124], v127 offset0:48 offset1:49
	s_cmp_lt_i32 s3, 26
	v_mov_b32_e32 v77, 24
	s_cbranch_scc1 .LBB58_506
; %bb.504:
	v_add_u32_e32 v78, 0x190, v127
	s_mov_b32 s0, 25
	v_mov_b32_e32 v77, 24
.LBB58_505:                             ; =>This Inner Loop Header: Depth=1
	s_waitcnt lgkmcnt(0)
	v_cmp_gt_f64_e32 vcc, 0, v[121:122]
	v_xor_b32_e32 v109, 0x80000000, v122
	ds_read2_b64 v[105:108], v78 offset1:1
	v_xor_b32_e32 v113, 0x80000000, v124
	v_add_u32_e32 v78, 16, v78
	s_waitcnt lgkmcnt(0)
	v_xor_b32_e32 v115, 0x80000000, v108
	v_cndmask_b32_e32 v110, v122, v109, vcc
	v_cmp_gt_f64_e32 vcc, 0, v[123:124]
	v_mov_b32_e32 v109, v121
	v_cndmask_b32_e32 v114, v124, v113, vcc
	v_cmp_gt_f64_e32 vcc, 0, v[105:106]
	v_mov_b32_e32 v113, v123
	v_add_f64 v[109:110], v[109:110], v[113:114]
	v_xor_b32_e32 v113, 0x80000000, v106
	v_cndmask_b32_e32 v114, v106, v113, vcc
	v_cmp_gt_f64_e32 vcc, 0, v[107:108]
	v_mov_b32_e32 v113, v105
	v_cndmask_b32_e32 v116, v108, v115, vcc
	v_mov_b32_e32 v115, v107
	v_add_f64 v[113:114], v[113:114], v[115:116]
	v_cmp_lt_f64_e32 vcc, v[109:110], v[113:114]
	v_cndmask_b32_e32 v121, v121, v105, vcc
	v_mov_b32_e32 v105, s0
	s_add_i32 s0, s0, 1
	v_cndmask_b32_e32 v122, v122, v106, vcc
	v_cndmask_b32_e32 v124, v124, v108, vcc
	;; [unrolled: 1-line block ×4, first 2 shown]
	s_cmp_lg_u32 s3, s0
	s_cbranch_scc1 .LBB58_505
.LBB58_506:
	s_waitcnt lgkmcnt(0)
	v_cmp_eq_f64_e32 vcc, 0, v[121:122]
	v_cmp_eq_f64_e64 s[0:1], 0, v[123:124]
	s_and_b64 s[0:1], vcc, s[0:1]
	s_and_saveexec_b64 s[18:19], s[0:1]
	s_xor_b64 s[0:1], exec, s[18:19]
; %bb.507:
	v_cmp_ne_u32_e32 vcc, 0, v80
	v_cndmask_b32_e32 v80, 25, v80, vcc
; %bb.508:
	s_andn2_saveexec_b64 s[0:1], s[0:1]
	s_cbranch_execz .LBB58_514
; %bb.509:
	v_cmp_ngt_f64_e64 s[18:19], |v[121:122]|, |v[123:124]|
	s_and_saveexec_b64 s[20:21], s[18:19]
	s_xor_b64 s[18:19], exec, s[20:21]
	s_cbranch_execz .LBB58_511
; %bb.510:
	v_div_scale_f64 v[105:106], s[20:21], v[123:124], v[123:124], v[121:122]
	v_rcp_f64_e32 v[107:108], v[105:106]
	v_fma_f64 v[109:110], -v[105:106], v[107:108], 1.0
	v_fma_f64 v[107:108], v[107:108], v[109:110], v[107:108]
	v_div_scale_f64 v[109:110], vcc, v[121:122], v[123:124], v[121:122]
	v_fma_f64 v[113:114], -v[105:106], v[107:108], 1.0
	v_fma_f64 v[107:108], v[107:108], v[113:114], v[107:108]
	v_mul_f64 v[113:114], v[109:110], v[107:108]
	v_fma_f64 v[105:106], -v[105:106], v[113:114], v[109:110]
	v_div_fmas_f64 v[105:106], v[105:106], v[107:108], v[113:114]
	v_div_fixup_f64 v[105:106], v[105:106], v[123:124], v[121:122]
	v_fma_f64 v[107:108], v[121:122], v[105:106], v[123:124]
	v_div_scale_f64 v[109:110], s[20:21], v[107:108], v[107:108], 1.0
	v_div_scale_f64 v[121:122], vcc, 1.0, v[107:108], 1.0
	v_rcp_f64_e32 v[113:114], v[109:110]
	v_fma_f64 v[115:116], -v[109:110], v[113:114], 1.0
	v_fma_f64 v[113:114], v[113:114], v[115:116], v[113:114]
	v_fma_f64 v[115:116], -v[109:110], v[113:114], 1.0
	v_fma_f64 v[113:114], v[113:114], v[115:116], v[113:114]
	v_mul_f64 v[115:116], v[121:122], v[113:114]
	v_fma_f64 v[109:110], -v[109:110], v[115:116], v[121:122]
	v_div_fmas_f64 v[109:110], v[109:110], v[113:114], v[115:116]
	v_div_fixup_f64 v[123:124], v[109:110], v[107:108], 1.0
	v_mul_f64 v[121:122], v[105:106], v[123:124]
	v_xor_b32_e32 v124, 0x80000000, v124
.LBB58_511:
	s_andn2_saveexec_b64 s[18:19], s[18:19]
	s_cbranch_execz .LBB58_513
; %bb.512:
	v_div_scale_f64 v[105:106], s[20:21], v[121:122], v[121:122], v[123:124]
	v_rcp_f64_e32 v[107:108], v[105:106]
	v_fma_f64 v[109:110], -v[105:106], v[107:108], 1.0
	v_fma_f64 v[107:108], v[107:108], v[109:110], v[107:108]
	v_div_scale_f64 v[109:110], vcc, v[123:124], v[121:122], v[123:124]
	v_fma_f64 v[113:114], -v[105:106], v[107:108], 1.0
	v_fma_f64 v[107:108], v[107:108], v[113:114], v[107:108]
	v_mul_f64 v[113:114], v[109:110], v[107:108]
	v_fma_f64 v[105:106], -v[105:106], v[113:114], v[109:110]
	v_div_fmas_f64 v[105:106], v[105:106], v[107:108], v[113:114]
	v_div_fixup_f64 v[105:106], v[105:106], v[121:122], v[123:124]
	v_fma_f64 v[107:108], v[123:124], v[105:106], v[121:122]
	v_div_scale_f64 v[109:110], s[20:21], v[107:108], v[107:108], 1.0
	v_div_scale_f64 v[121:122], vcc, 1.0, v[107:108], 1.0
	v_rcp_f64_e32 v[113:114], v[109:110]
	v_fma_f64 v[115:116], -v[109:110], v[113:114], 1.0
	v_fma_f64 v[113:114], v[113:114], v[115:116], v[113:114]
	v_fma_f64 v[115:116], -v[109:110], v[113:114], 1.0
	v_fma_f64 v[113:114], v[113:114], v[115:116], v[113:114]
	v_mul_f64 v[115:116], v[121:122], v[113:114]
	v_fma_f64 v[109:110], -v[109:110], v[115:116], v[121:122]
	v_div_fmas_f64 v[109:110], v[109:110], v[113:114], v[115:116]
	v_div_fixup_f64 v[121:122], v[109:110], v[107:108], 1.0
	v_mul_f64 v[123:124], v[105:106], -v[121:122]
.LBB58_513:
	s_or_b64 exec, exec, s[18:19]
.LBB58_514:
	s_or_b64 exec, exec, s[0:1]
	v_cmp_ne_u32_e32 vcc, v79, v77
	s_and_saveexec_b64 s[0:1], vcc
	s_xor_b64 s[0:1], exec, s[0:1]
	s_cbranch_execz .LBB58_520
; %bb.515:
	v_cmp_eq_u32_e32 vcc, 24, v79
	s_and_saveexec_b64 s[18:19], vcc
	s_cbranch_execz .LBB58_519
; %bb.516:
	v_cmp_ne_u32_e32 vcc, 24, v77
	s_xor_b64 s[20:21], s[6:7], -1
	s_and_b64 s[22:23], s[20:21], vcc
	s_and_saveexec_b64 s[20:21], s[22:23]
	s_cbranch_execz .LBB58_518
; %bb.517:
	buffer_load_dword v106, off, s[24:27], 0 offset:80 ; 4-byte Folded Reload
	buffer_load_dword v107, off, s[24:27], 0 offset:84 ; 4-byte Folded Reload
	v_ashrrev_i32_e32 v78, 31, v77
	v_lshlrev_b64 v[78:79], 2, v[77:78]
	s_waitcnt vmcnt(1)
	v_add_co_u32_e32 v78, vcc, v106, v78
	s_waitcnt vmcnt(0)
	v_addc_co_u32_e32 v79, vcc, v107, v79, vcc
	global_load_dword v0, v[78:79], off
	global_load_dword v105, v[106:107], off offset:96
	s_waitcnt vmcnt(1)
	global_store_dword v[106:107], v0, off offset:96
	s_waitcnt vmcnt(1)
	global_store_dword v[78:79], v105, off
.LBB58_518:
	s_or_b64 exec, exec, s[20:21]
	v_mov_b32_e32 v79, v77
	v_mov_b32_e32 v0, v77
.LBB58_519:
	s_or_b64 exec, exec, s[18:19]
.LBB58_520:
	s_andn2_saveexec_b64 s[0:1], s[0:1]
	s_cbranch_execz .LBB58_522
; %bb.521:
	v_mov_b32_e32 v79, 24
	ds_write2_b64 v127, v[13:14], v[15:16] offset0:50 offset1:51
	ds_write2_b64 v127, v[9:10], v[11:12] offset0:52 offset1:53
	;; [unrolled: 1-line block ×5, first 2 shown]
.LBB58_522:
	s_or_b64 exec, exec, s[0:1]
	v_cmp_lt_i32_e32 vcc, 24, v79
	s_waitcnt vmcnt(0) lgkmcnt(0)
	s_barrier
	s_and_saveexec_b64 s[0:1], vcc
	s_cbranch_execz .LBB58_524
; %bb.523:
	v_mul_f64 v[77:78], v[121:122], v[19:20]
	v_mul_f64 v[19:20], v[123:124], v[19:20]
	ds_read2_b64 v[105:108], v127 offset0:50 offset1:51
	v_fma_f64 v[77:78], v[123:124], v[17:18], v[77:78]
	v_fma_f64 v[17:18], v[121:122], v[17:18], -v[19:20]
	s_waitcnt lgkmcnt(0)
	v_mul_f64 v[19:20], v[107:108], v[77:78]
	v_fma_f64 v[19:20], v[105:106], v[17:18], -v[19:20]
	v_mul_f64 v[105:106], v[105:106], v[77:78]
	v_add_f64 v[13:14], v[13:14], -v[19:20]
	v_fma_f64 v[105:106], v[107:108], v[17:18], v[105:106]
	v_add_f64 v[15:16], v[15:16], -v[105:106]
	ds_read2_b64 v[105:108], v127 offset0:52 offset1:53
	s_waitcnt lgkmcnt(0)
	v_mul_f64 v[19:20], v[107:108], v[77:78]
	v_fma_f64 v[19:20], v[105:106], v[17:18], -v[19:20]
	v_mul_f64 v[105:106], v[105:106], v[77:78]
	v_add_f64 v[9:10], v[9:10], -v[19:20]
	v_fma_f64 v[105:106], v[107:108], v[17:18], v[105:106]
	v_add_f64 v[11:12], v[11:12], -v[105:106]
	ds_read2_b64 v[105:108], v127 offset0:54 offset1:55
	;; [unrolled: 8-line block ×4, first 2 shown]
	s_waitcnt lgkmcnt(0)
	v_mul_f64 v[19:20], v[107:108], v[77:78]
	v_fma_f64 v[19:20], v[105:106], v[17:18], -v[19:20]
	v_mul_f64 v[105:106], v[105:106], v[77:78]
	v_add_f64 v[117:118], v[117:118], -v[19:20]
	v_fma_f64 v[105:106], v[107:108], v[17:18], v[105:106]
	v_mov_b32_e32 v19, v77
	v_mov_b32_e32 v20, v78
	v_add_f64 v[119:120], v[119:120], -v[105:106]
.LBB58_524:
	s_or_b64 exec, exec, s[0:1]
	v_lshl_add_u32 v77, v79, 4, v127
	s_barrier
	ds_write2_b64 v77, v[13:14], v[15:16] offset1:1
	s_waitcnt lgkmcnt(0)
	s_barrier
	ds_read2_b64 v[121:124], v127 offset0:50 offset1:51
	s_cmp_lt_i32 s3, 27
	v_mov_b32_e32 v77, 25
	s_cbranch_scc1 .LBB58_527
; %bb.525:
	v_add_u32_e32 v78, 0x1a0, v127
	s_mov_b32 s0, 26
	v_mov_b32_e32 v77, 25
.LBB58_526:                             ; =>This Inner Loop Header: Depth=1
	s_waitcnt lgkmcnt(0)
	v_cmp_gt_f64_e32 vcc, 0, v[121:122]
	v_xor_b32_e32 v109, 0x80000000, v122
	ds_read2_b64 v[105:108], v78 offset1:1
	v_xor_b32_e32 v113, 0x80000000, v124
	v_add_u32_e32 v78, 16, v78
	s_waitcnt lgkmcnt(0)
	v_xor_b32_e32 v115, 0x80000000, v108
	v_cndmask_b32_e32 v110, v122, v109, vcc
	v_cmp_gt_f64_e32 vcc, 0, v[123:124]
	v_mov_b32_e32 v109, v121
	v_cndmask_b32_e32 v114, v124, v113, vcc
	v_cmp_gt_f64_e32 vcc, 0, v[105:106]
	v_mov_b32_e32 v113, v123
	v_add_f64 v[109:110], v[109:110], v[113:114]
	v_xor_b32_e32 v113, 0x80000000, v106
	v_cndmask_b32_e32 v114, v106, v113, vcc
	v_cmp_gt_f64_e32 vcc, 0, v[107:108]
	v_mov_b32_e32 v113, v105
	v_cndmask_b32_e32 v116, v108, v115, vcc
	v_mov_b32_e32 v115, v107
	v_add_f64 v[113:114], v[113:114], v[115:116]
	v_cmp_lt_f64_e32 vcc, v[109:110], v[113:114]
	v_cndmask_b32_e32 v121, v121, v105, vcc
	v_mov_b32_e32 v105, s0
	s_add_i32 s0, s0, 1
	v_cndmask_b32_e32 v122, v122, v106, vcc
	v_cndmask_b32_e32 v124, v124, v108, vcc
	;; [unrolled: 1-line block ×4, first 2 shown]
	s_cmp_lg_u32 s3, s0
	s_cbranch_scc1 .LBB58_526
.LBB58_527:
	s_waitcnt lgkmcnt(0)
	v_cmp_eq_f64_e32 vcc, 0, v[121:122]
	v_cmp_eq_f64_e64 s[0:1], 0, v[123:124]
	s_and_b64 s[0:1], vcc, s[0:1]
	s_and_saveexec_b64 s[18:19], s[0:1]
	s_xor_b64 s[0:1], exec, s[18:19]
; %bb.528:
	v_cmp_ne_u32_e32 vcc, 0, v80
	v_cndmask_b32_e32 v80, 26, v80, vcc
; %bb.529:
	s_andn2_saveexec_b64 s[0:1], s[0:1]
	s_cbranch_execz .LBB58_535
; %bb.530:
	v_cmp_ngt_f64_e64 s[18:19], |v[121:122]|, |v[123:124]|
	s_and_saveexec_b64 s[20:21], s[18:19]
	s_xor_b64 s[18:19], exec, s[20:21]
	s_cbranch_execz .LBB58_532
; %bb.531:
	v_div_scale_f64 v[105:106], s[20:21], v[123:124], v[123:124], v[121:122]
	v_rcp_f64_e32 v[107:108], v[105:106]
	v_fma_f64 v[109:110], -v[105:106], v[107:108], 1.0
	v_fma_f64 v[107:108], v[107:108], v[109:110], v[107:108]
	v_div_scale_f64 v[109:110], vcc, v[121:122], v[123:124], v[121:122]
	v_fma_f64 v[113:114], -v[105:106], v[107:108], 1.0
	v_fma_f64 v[107:108], v[107:108], v[113:114], v[107:108]
	v_mul_f64 v[113:114], v[109:110], v[107:108]
	v_fma_f64 v[105:106], -v[105:106], v[113:114], v[109:110]
	v_div_fmas_f64 v[105:106], v[105:106], v[107:108], v[113:114]
	v_div_fixup_f64 v[105:106], v[105:106], v[123:124], v[121:122]
	v_fma_f64 v[107:108], v[121:122], v[105:106], v[123:124]
	v_div_scale_f64 v[109:110], s[20:21], v[107:108], v[107:108], 1.0
	v_div_scale_f64 v[121:122], vcc, 1.0, v[107:108], 1.0
	v_rcp_f64_e32 v[113:114], v[109:110]
	v_fma_f64 v[115:116], -v[109:110], v[113:114], 1.0
	v_fma_f64 v[113:114], v[113:114], v[115:116], v[113:114]
	v_fma_f64 v[115:116], -v[109:110], v[113:114], 1.0
	v_fma_f64 v[113:114], v[113:114], v[115:116], v[113:114]
	v_mul_f64 v[115:116], v[121:122], v[113:114]
	v_fma_f64 v[109:110], -v[109:110], v[115:116], v[121:122]
	v_div_fmas_f64 v[109:110], v[109:110], v[113:114], v[115:116]
	v_div_fixup_f64 v[123:124], v[109:110], v[107:108], 1.0
	v_mul_f64 v[121:122], v[105:106], v[123:124]
	v_xor_b32_e32 v124, 0x80000000, v124
.LBB58_532:
	s_andn2_saveexec_b64 s[18:19], s[18:19]
	s_cbranch_execz .LBB58_534
; %bb.533:
	v_div_scale_f64 v[105:106], s[20:21], v[121:122], v[121:122], v[123:124]
	v_rcp_f64_e32 v[107:108], v[105:106]
	v_fma_f64 v[109:110], -v[105:106], v[107:108], 1.0
	v_fma_f64 v[107:108], v[107:108], v[109:110], v[107:108]
	v_div_scale_f64 v[109:110], vcc, v[123:124], v[121:122], v[123:124]
	v_fma_f64 v[113:114], -v[105:106], v[107:108], 1.0
	v_fma_f64 v[107:108], v[107:108], v[113:114], v[107:108]
	v_mul_f64 v[113:114], v[109:110], v[107:108]
	v_fma_f64 v[105:106], -v[105:106], v[113:114], v[109:110]
	v_div_fmas_f64 v[105:106], v[105:106], v[107:108], v[113:114]
	v_div_fixup_f64 v[105:106], v[105:106], v[121:122], v[123:124]
	v_fma_f64 v[107:108], v[123:124], v[105:106], v[121:122]
	v_div_scale_f64 v[109:110], s[20:21], v[107:108], v[107:108], 1.0
	v_div_scale_f64 v[121:122], vcc, 1.0, v[107:108], 1.0
	v_rcp_f64_e32 v[113:114], v[109:110]
	v_fma_f64 v[115:116], -v[109:110], v[113:114], 1.0
	v_fma_f64 v[113:114], v[113:114], v[115:116], v[113:114]
	v_fma_f64 v[115:116], -v[109:110], v[113:114], 1.0
	v_fma_f64 v[113:114], v[113:114], v[115:116], v[113:114]
	v_mul_f64 v[115:116], v[121:122], v[113:114]
	v_fma_f64 v[109:110], -v[109:110], v[115:116], v[121:122]
	v_div_fmas_f64 v[109:110], v[109:110], v[113:114], v[115:116]
	v_div_fixup_f64 v[121:122], v[109:110], v[107:108], 1.0
	v_mul_f64 v[123:124], v[105:106], -v[121:122]
.LBB58_534:
	s_or_b64 exec, exec, s[18:19]
.LBB58_535:
	s_or_b64 exec, exec, s[0:1]
	v_cmp_ne_u32_e32 vcc, v79, v77
	s_and_saveexec_b64 s[0:1], vcc
	s_xor_b64 s[0:1], exec, s[0:1]
	s_cbranch_execz .LBB58_541
; %bb.536:
	v_cmp_eq_u32_e32 vcc, 25, v79
	s_and_saveexec_b64 s[18:19], vcc
	s_cbranch_execz .LBB58_540
; %bb.537:
	v_cmp_ne_u32_e32 vcc, 25, v77
	s_xor_b64 s[20:21], s[6:7], -1
	s_and_b64 s[22:23], s[20:21], vcc
	s_and_saveexec_b64 s[20:21], s[22:23]
	s_cbranch_execz .LBB58_539
; %bb.538:
	buffer_load_dword v106, off, s[24:27], 0 offset:80 ; 4-byte Folded Reload
	buffer_load_dword v107, off, s[24:27], 0 offset:84 ; 4-byte Folded Reload
	v_ashrrev_i32_e32 v78, 31, v77
	v_lshlrev_b64 v[78:79], 2, v[77:78]
	s_waitcnt vmcnt(1)
	v_add_co_u32_e32 v78, vcc, v106, v78
	s_waitcnt vmcnt(0)
	v_addc_co_u32_e32 v79, vcc, v107, v79, vcc
	global_load_dword v0, v[78:79], off
	global_load_dword v105, v[106:107], off offset:100
	s_waitcnt vmcnt(1)
	global_store_dword v[106:107], v0, off offset:100
	s_waitcnt vmcnt(1)
	global_store_dword v[78:79], v105, off
.LBB58_539:
	s_or_b64 exec, exec, s[20:21]
	v_mov_b32_e32 v79, v77
	v_mov_b32_e32 v0, v77
.LBB58_540:
	s_or_b64 exec, exec, s[18:19]
.LBB58_541:
	s_andn2_saveexec_b64 s[0:1], s[0:1]
	s_cbranch_execz .LBB58_543
; %bb.542:
	v_mov_b32_e32 v79, 25
	ds_write2_b64 v127, v[9:10], v[11:12] offset0:52 offset1:53
	ds_write2_b64 v127, v[5:6], v[7:8] offset0:54 offset1:55
	;; [unrolled: 1-line block ×4, first 2 shown]
.LBB58_543:
	s_or_b64 exec, exec, s[0:1]
	v_cmp_lt_i32_e32 vcc, 25, v79
	s_waitcnt vmcnt(0) lgkmcnt(0)
	s_barrier
	s_and_saveexec_b64 s[0:1], vcc
	s_cbranch_execz .LBB58_545
; %bb.544:
	v_mul_f64 v[77:78], v[121:122], v[15:16]
	v_mul_f64 v[15:16], v[123:124], v[15:16]
	ds_read2_b64 v[105:108], v127 offset0:52 offset1:53
	v_fma_f64 v[77:78], v[123:124], v[13:14], v[77:78]
	v_fma_f64 v[13:14], v[121:122], v[13:14], -v[15:16]
	s_waitcnt lgkmcnt(0)
	v_mul_f64 v[15:16], v[107:108], v[77:78]
	v_fma_f64 v[15:16], v[105:106], v[13:14], -v[15:16]
	v_mul_f64 v[105:106], v[105:106], v[77:78]
	v_add_f64 v[9:10], v[9:10], -v[15:16]
	v_fma_f64 v[105:106], v[107:108], v[13:14], v[105:106]
	v_add_f64 v[11:12], v[11:12], -v[105:106]
	ds_read2_b64 v[105:108], v127 offset0:54 offset1:55
	s_waitcnt lgkmcnt(0)
	v_mul_f64 v[15:16], v[107:108], v[77:78]
	v_fma_f64 v[15:16], v[105:106], v[13:14], -v[15:16]
	v_mul_f64 v[105:106], v[105:106], v[77:78]
	v_add_f64 v[5:6], v[5:6], -v[15:16]
	v_fma_f64 v[105:106], v[107:108], v[13:14], v[105:106]
	v_add_f64 v[7:8], v[7:8], -v[105:106]
	ds_read2_b64 v[105:108], v127 offset0:56 offset1:57
	;; [unrolled: 8-line block ×3, first 2 shown]
	s_waitcnt lgkmcnt(0)
	v_mul_f64 v[15:16], v[107:108], v[77:78]
	v_fma_f64 v[15:16], v[105:106], v[13:14], -v[15:16]
	v_mul_f64 v[105:106], v[105:106], v[77:78]
	v_add_f64 v[117:118], v[117:118], -v[15:16]
	v_fma_f64 v[105:106], v[107:108], v[13:14], v[105:106]
	v_mov_b32_e32 v15, v77
	v_mov_b32_e32 v16, v78
	v_add_f64 v[119:120], v[119:120], -v[105:106]
.LBB58_545:
	s_or_b64 exec, exec, s[0:1]
	v_lshl_add_u32 v77, v79, 4, v127
	s_barrier
	ds_write2_b64 v77, v[9:10], v[11:12] offset1:1
	s_waitcnt lgkmcnt(0)
	s_barrier
	ds_read2_b64 v[121:124], v127 offset0:52 offset1:53
	s_cmp_lt_i32 s3, 28
	v_mov_b32_e32 v77, 26
	s_cbranch_scc1 .LBB58_548
; %bb.546:
	v_add_u32_e32 v78, 0x1b0, v127
	s_mov_b32 s0, 27
	v_mov_b32_e32 v77, 26
.LBB58_547:                             ; =>This Inner Loop Header: Depth=1
	s_waitcnt lgkmcnt(0)
	v_cmp_gt_f64_e32 vcc, 0, v[121:122]
	v_xor_b32_e32 v109, 0x80000000, v122
	ds_read2_b64 v[105:108], v78 offset1:1
	v_xor_b32_e32 v113, 0x80000000, v124
	v_add_u32_e32 v78, 16, v78
	s_waitcnt lgkmcnt(0)
	v_xor_b32_e32 v115, 0x80000000, v108
	v_cndmask_b32_e32 v110, v122, v109, vcc
	v_cmp_gt_f64_e32 vcc, 0, v[123:124]
	v_mov_b32_e32 v109, v121
	v_cndmask_b32_e32 v114, v124, v113, vcc
	v_cmp_gt_f64_e32 vcc, 0, v[105:106]
	v_mov_b32_e32 v113, v123
	v_add_f64 v[109:110], v[109:110], v[113:114]
	v_xor_b32_e32 v113, 0x80000000, v106
	v_cndmask_b32_e32 v114, v106, v113, vcc
	v_cmp_gt_f64_e32 vcc, 0, v[107:108]
	v_mov_b32_e32 v113, v105
	v_cndmask_b32_e32 v116, v108, v115, vcc
	v_mov_b32_e32 v115, v107
	v_add_f64 v[113:114], v[113:114], v[115:116]
	v_cmp_lt_f64_e32 vcc, v[109:110], v[113:114]
	v_cndmask_b32_e32 v121, v121, v105, vcc
	v_mov_b32_e32 v105, s0
	s_add_i32 s0, s0, 1
	v_cndmask_b32_e32 v122, v122, v106, vcc
	v_cndmask_b32_e32 v124, v124, v108, vcc
	;; [unrolled: 1-line block ×4, first 2 shown]
	s_cmp_lg_u32 s3, s0
	s_cbranch_scc1 .LBB58_547
.LBB58_548:
	s_waitcnt lgkmcnt(0)
	v_cmp_eq_f64_e32 vcc, 0, v[121:122]
	v_cmp_eq_f64_e64 s[0:1], 0, v[123:124]
	s_and_b64 s[0:1], vcc, s[0:1]
	s_and_saveexec_b64 s[18:19], s[0:1]
	s_xor_b64 s[0:1], exec, s[18:19]
; %bb.549:
	v_cmp_ne_u32_e32 vcc, 0, v80
	v_cndmask_b32_e32 v80, 27, v80, vcc
; %bb.550:
	s_andn2_saveexec_b64 s[0:1], s[0:1]
	s_cbranch_execz .LBB58_556
; %bb.551:
	v_cmp_ngt_f64_e64 s[18:19], |v[121:122]|, |v[123:124]|
	s_and_saveexec_b64 s[20:21], s[18:19]
	s_xor_b64 s[18:19], exec, s[20:21]
	s_cbranch_execz .LBB58_553
; %bb.552:
	v_div_scale_f64 v[105:106], s[20:21], v[123:124], v[123:124], v[121:122]
	v_rcp_f64_e32 v[107:108], v[105:106]
	v_fma_f64 v[109:110], -v[105:106], v[107:108], 1.0
	v_fma_f64 v[107:108], v[107:108], v[109:110], v[107:108]
	v_div_scale_f64 v[109:110], vcc, v[121:122], v[123:124], v[121:122]
	v_fma_f64 v[113:114], -v[105:106], v[107:108], 1.0
	v_fma_f64 v[107:108], v[107:108], v[113:114], v[107:108]
	v_mul_f64 v[113:114], v[109:110], v[107:108]
	v_fma_f64 v[105:106], -v[105:106], v[113:114], v[109:110]
	v_div_fmas_f64 v[105:106], v[105:106], v[107:108], v[113:114]
	v_div_fixup_f64 v[105:106], v[105:106], v[123:124], v[121:122]
	v_fma_f64 v[107:108], v[121:122], v[105:106], v[123:124]
	v_div_scale_f64 v[109:110], s[20:21], v[107:108], v[107:108], 1.0
	v_div_scale_f64 v[121:122], vcc, 1.0, v[107:108], 1.0
	v_rcp_f64_e32 v[113:114], v[109:110]
	v_fma_f64 v[115:116], -v[109:110], v[113:114], 1.0
	v_fma_f64 v[113:114], v[113:114], v[115:116], v[113:114]
	v_fma_f64 v[115:116], -v[109:110], v[113:114], 1.0
	v_fma_f64 v[113:114], v[113:114], v[115:116], v[113:114]
	v_mul_f64 v[115:116], v[121:122], v[113:114]
	v_fma_f64 v[109:110], -v[109:110], v[115:116], v[121:122]
	v_div_fmas_f64 v[109:110], v[109:110], v[113:114], v[115:116]
	v_div_fixup_f64 v[123:124], v[109:110], v[107:108], 1.0
	v_mul_f64 v[121:122], v[105:106], v[123:124]
	v_xor_b32_e32 v124, 0x80000000, v124
.LBB58_553:
	s_andn2_saveexec_b64 s[18:19], s[18:19]
	s_cbranch_execz .LBB58_555
; %bb.554:
	v_div_scale_f64 v[105:106], s[20:21], v[121:122], v[121:122], v[123:124]
	v_rcp_f64_e32 v[107:108], v[105:106]
	v_fma_f64 v[109:110], -v[105:106], v[107:108], 1.0
	v_fma_f64 v[107:108], v[107:108], v[109:110], v[107:108]
	v_div_scale_f64 v[109:110], vcc, v[123:124], v[121:122], v[123:124]
	v_fma_f64 v[113:114], -v[105:106], v[107:108], 1.0
	v_fma_f64 v[107:108], v[107:108], v[113:114], v[107:108]
	v_mul_f64 v[113:114], v[109:110], v[107:108]
	v_fma_f64 v[105:106], -v[105:106], v[113:114], v[109:110]
	v_div_fmas_f64 v[105:106], v[105:106], v[107:108], v[113:114]
	v_div_fixup_f64 v[105:106], v[105:106], v[121:122], v[123:124]
	v_fma_f64 v[107:108], v[123:124], v[105:106], v[121:122]
	v_div_scale_f64 v[109:110], s[20:21], v[107:108], v[107:108], 1.0
	v_div_scale_f64 v[121:122], vcc, 1.0, v[107:108], 1.0
	v_rcp_f64_e32 v[113:114], v[109:110]
	v_fma_f64 v[115:116], -v[109:110], v[113:114], 1.0
	v_fma_f64 v[113:114], v[113:114], v[115:116], v[113:114]
	v_fma_f64 v[115:116], -v[109:110], v[113:114], 1.0
	v_fma_f64 v[113:114], v[113:114], v[115:116], v[113:114]
	v_mul_f64 v[115:116], v[121:122], v[113:114]
	v_fma_f64 v[109:110], -v[109:110], v[115:116], v[121:122]
	v_div_fmas_f64 v[109:110], v[109:110], v[113:114], v[115:116]
	v_div_fixup_f64 v[121:122], v[109:110], v[107:108], 1.0
	v_mul_f64 v[123:124], v[105:106], -v[121:122]
.LBB58_555:
	s_or_b64 exec, exec, s[18:19]
.LBB58_556:
	s_or_b64 exec, exec, s[0:1]
	v_cmp_ne_u32_e32 vcc, v79, v77
	s_and_saveexec_b64 s[0:1], vcc
	s_xor_b64 s[0:1], exec, s[0:1]
	s_cbranch_execz .LBB58_562
; %bb.557:
	v_cmp_eq_u32_e32 vcc, 26, v79
	s_and_saveexec_b64 s[18:19], vcc
	s_cbranch_execz .LBB58_561
; %bb.558:
	v_cmp_ne_u32_e32 vcc, 26, v77
	s_xor_b64 s[20:21], s[6:7], -1
	s_and_b64 s[22:23], s[20:21], vcc
	s_and_saveexec_b64 s[20:21], s[22:23]
	s_cbranch_execz .LBB58_560
; %bb.559:
	buffer_load_dword v106, off, s[24:27], 0 offset:80 ; 4-byte Folded Reload
	buffer_load_dword v107, off, s[24:27], 0 offset:84 ; 4-byte Folded Reload
	v_ashrrev_i32_e32 v78, 31, v77
	v_lshlrev_b64 v[78:79], 2, v[77:78]
	s_waitcnt vmcnt(1)
	v_add_co_u32_e32 v78, vcc, v106, v78
	s_waitcnt vmcnt(0)
	v_addc_co_u32_e32 v79, vcc, v107, v79, vcc
	global_load_dword v0, v[78:79], off
	global_load_dword v105, v[106:107], off offset:104
	s_waitcnt vmcnt(1)
	global_store_dword v[106:107], v0, off offset:104
	s_waitcnt vmcnt(1)
	global_store_dword v[78:79], v105, off
.LBB58_560:
	s_or_b64 exec, exec, s[20:21]
	v_mov_b32_e32 v79, v77
	v_mov_b32_e32 v0, v77
.LBB58_561:
	s_or_b64 exec, exec, s[18:19]
.LBB58_562:
	s_andn2_saveexec_b64 s[0:1], s[0:1]
	s_cbranch_execz .LBB58_564
; %bb.563:
	v_mov_b32_e32 v79, 26
	ds_write2_b64 v127, v[5:6], v[7:8] offset0:54 offset1:55
	ds_write2_b64 v127, v[1:2], v[3:4] offset0:56 offset1:57
	;; [unrolled: 1-line block ×3, first 2 shown]
.LBB58_564:
	s_or_b64 exec, exec, s[0:1]
	v_cmp_lt_i32_e32 vcc, 26, v79
	s_waitcnt vmcnt(0) lgkmcnt(0)
	s_barrier
	s_and_saveexec_b64 s[0:1], vcc
	s_cbranch_execz .LBB58_566
; %bb.565:
	v_mul_f64 v[77:78], v[121:122], v[11:12]
	v_mul_f64 v[11:12], v[123:124], v[11:12]
	ds_read2_b64 v[105:108], v127 offset0:54 offset1:55
	v_fma_f64 v[77:78], v[123:124], v[9:10], v[77:78]
	v_fma_f64 v[9:10], v[121:122], v[9:10], -v[11:12]
	s_waitcnt lgkmcnt(0)
	v_mul_f64 v[11:12], v[107:108], v[77:78]
	v_fma_f64 v[11:12], v[105:106], v[9:10], -v[11:12]
	v_mul_f64 v[105:106], v[105:106], v[77:78]
	v_add_f64 v[5:6], v[5:6], -v[11:12]
	v_fma_f64 v[105:106], v[107:108], v[9:10], v[105:106]
	v_add_f64 v[7:8], v[7:8], -v[105:106]
	ds_read2_b64 v[105:108], v127 offset0:56 offset1:57
	s_waitcnt lgkmcnt(0)
	v_mul_f64 v[11:12], v[107:108], v[77:78]
	v_fma_f64 v[11:12], v[105:106], v[9:10], -v[11:12]
	v_mul_f64 v[105:106], v[105:106], v[77:78]
	v_add_f64 v[1:2], v[1:2], -v[11:12]
	v_fma_f64 v[105:106], v[107:108], v[9:10], v[105:106]
	v_add_f64 v[3:4], v[3:4], -v[105:106]
	ds_read2_b64 v[105:108], v127 offset0:58 offset1:59
	s_waitcnt lgkmcnt(0)
	v_mul_f64 v[11:12], v[107:108], v[77:78]
	v_fma_f64 v[11:12], v[105:106], v[9:10], -v[11:12]
	v_mul_f64 v[105:106], v[105:106], v[77:78]
	v_add_f64 v[117:118], v[117:118], -v[11:12]
	v_fma_f64 v[105:106], v[107:108], v[9:10], v[105:106]
	v_mov_b32_e32 v11, v77
	v_mov_b32_e32 v12, v78
	v_add_f64 v[119:120], v[119:120], -v[105:106]
.LBB58_566:
	s_or_b64 exec, exec, s[0:1]
	v_lshl_add_u32 v77, v79, 4, v127
	s_barrier
	ds_write2_b64 v77, v[5:6], v[7:8] offset1:1
	s_waitcnt lgkmcnt(0)
	s_barrier
	ds_read2_b64 v[121:124], v127 offset0:54 offset1:55
	s_cmp_lt_i32 s3, 29
	v_mov_b32_e32 v77, 27
	s_cbranch_scc1 .LBB58_569
; %bb.567:
	v_add_u32_e32 v78, 0x1c0, v127
	s_mov_b32 s0, 28
	v_mov_b32_e32 v77, 27
.LBB58_568:                             ; =>This Inner Loop Header: Depth=1
	s_waitcnt lgkmcnt(0)
	v_cmp_gt_f64_e32 vcc, 0, v[121:122]
	v_xor_b32_e32 v109, 0x80000000, v122
	ds_read2_b64 v[105:108], v78 offset1:1
	v_xor_b32_e32 v113, 0x80000000, v124
	v_add_u32_e32 v78, 16, v78
	s_waitcnt lgkmcnt(0)
	v_xor_b32_e32 v115, 0x80000000, v108
	v_cndmask_b32_e32 v110, v122, v109, vcc
	v_cmp_gt_f64_e32 vcc, 0, v[123:124]
	v_mov_b32_e32 v109, v121
	v_cndmask_b32_e32 v114, v124, v113, vcc
	v_cmp_gt_f64_e32 vcc, 0, v[105:106]
	v_mov_b32_e32 v113, v123
	v_add_f64 v[109:110], v[109:110], v[113:114]
	v_xor_b32_e32 v113, 0x80000000, v106
	v_cndmask_b32_e32 v114, v106, v113, vcc
	v_cmp_gt_f64_e32 vcc, 0, v[107:108]
	v_mov_b32_e32 v113, v105
	v_cndmask_b32_e32 v116, v108, v115, vcc
	v_mov_b32_e32 v115, v107
	v_add_f64 v[113:114], v[113:114], v[115:116]
	v_cmp_lt_f64_e32 vcc, v[109:110], v[113:114]
	v_cndmask_b32_e32 v121, v121, v105, vcc
	v_mov_b32_e32 v105, s0
	s_add_i32 s0, s0, 1
	v_cndmask_b32_e32 v122, v122, v106, vcc
	v_cndmask_b32_e32 v124, v124, v108, vcc
	;; [unrolled: 1-line block ×4, first 2 shown]
	s_cmp_lg_u32 s3, s0
	s_cbranch_scc1 .LBB58_568
.LBB58_569:
	s_waitcnt lgkmcnt(0)
	v_cmp_eq_f64_e32 vcc, 0, v[121:122]
	v_cmp_eq_f64_e64 s[0:1], 0, v[123:124]
	s_and_b64 s[0:1], vcc, s[0:1]
	s_and_saveexec_b64 s[18:19], s[0:1]
	s_xor_b64 s[0:1], exec, s[18:19]
; %bb.570:
	v_cmp_ne_u32_e32 vcc, 0, v80
	v_cndmask_b32_e32 v80, 28, v80, vcc
; %bb.571:
	s_andn2_saveexec_b64 s[0:1], s[0:1]
	s_cbranch_execz .LBB58_577
; %bb.572:
	v_cmp_ngt_f64_e64 s[18:19], |v[121:122]|, |v[123:124]|
	s_and_saveexec_b64 s[20:21], s[18:19]
	s_xor_b64 s[18:19], exec, s[20:21]
	s_cbranch_execz .LBB58_574
; %bb.573:
	v_div_scale_f64 v[105:106], s[20:21], v[123:124], v[123:124], v[121:122]
	v_rcp_f64_e32 v[107:108], v[105:106]
	v_fma_f64 v[109:110], -v[105:106], v[107:108], 1.0
	v_fma_f64 v[107:108], v[107:108], v[109:110], v[107:108]
	v_div_scale_f64 v[109:110], vcc, v[121:122], v[123:124], v[121:122]
	v_fma_f64 v[113:114], -v[105:106], v[107:108], 1.0
	v_fma_f64 v[107:108], v[107:108], v[113:114], v[107:108]
	v_mul_f64 v[113:114], v[109:110], v[107:108]
	v_fma_f64 v[105:106], -v[105:106], v[113:114], v[109:110]
	v_div_fmas_f64 v[105:106], v[105:106], v[107:108], v[113:114]
	v_div_fixup_f64 v[105:106], v[105:106], v[123:124], v[121:122]
	v_fma_f64 v[107:108], v[121:122], v[105:106], v[123:124]
	v_div_scale_f64 v[109:110], s[20:21], v[107:108], v[107:108], 1.0
	v_div_scale_f64 v[121:122], vcc, 1.0, v[107:108], 1.0
	v_rcp_f64_e32 v[113:114], v[109:110]
	v_fma_f64 v[115:116], -v[109:110], v[113:114], 1.0
	v_fma_f64 v[113:114], v[113:114], v[115:116], v[113:114]
	v_fma_f64 v[115:116], -v[109:110], v[113:114], 1.0
	v_fma_f64 v[113:114], v[113:114], v[115:116], v[113:114]
	v_mul_f64 v[115:116], v[121:122], v[113:114]
	v_fma_f64 v[109:110], -v[109:110], v[115:116], v[121:122]
	v_div_fmas_f64 v[109:110], v[109:110], v[113:114], v[115:116]
	v_div_fixup_f64 v[123:124], v[109:110], v[107:108], 1.0
	v_mul_f64 v[121:122], v[105:106], v[123:124]
	v_xor_b32_e32 v124, 0x80000000, v124
.LBB58_574:
	s_andn2_saveexec_b64 s[18:19], s[18:19]
	s_cbranch_execz .LBB58_576
; %bb.575:
	v_div_scale_f64 v[105:106], s[20:21], v[121:122], v[121:122], v[123:124]
	v_rcp_f64_e32 v[107:108], v[105:106]
	v_fma_f64 v[109:110], -v[105:106], v[107:108], 1.0
	v_fma_f64 v[107:108], v[107:108], v[109:110], v[107:108]
	v_div_scale_f64 v[109:110], vcc, v[123:124], v[121:122], v[123:124]
	v_fma_f64 v[113:114], -v[105:106], v[107:108], 1.0
	v_fma_f64 v[107:108], v[107:108], v[113:114], v[107:108]
	v_mul_f64 v[113:114], v[109:110], v[107:108]
	v_fma_f64 v[105:106], -v[105:106], v[113:114], v[109:110]
	v_div_fmas_f64 v[105:106], v[105:106], v[107:108], v[113:114]
	v_div_fixup_f64 v[105:106], v[105:106], v[121:122], v[123:124]
	v_fma_f64 v[107:108], v[123:124], v[105:106], v[121:122]
	v_div_scale_f64 v[109:110], s[20:21], v[107:108], v[107:108], 1.0
	v_div_scale_f64 v[121:122], vcc, 1.0, v[107:108], 1.0
	v_rcp_f64_e32 v[113:114], v[109:110]
	v_fma_f64 v[115:116], -v[109:110], v[113:114], 1.0
	v_fma_f64 v[113:114], v[113:114], v[115:116], v[113:114]
	v_fma_f64 v[115:116], -v[109:110], v[113:114], 1.0
	v_fma_f64 v[113:114], v[113:114], v[115:116], v[113:114]
	v_mul_f64 v[115:116], v[121:122], v[113:114]
	v_fma_f64 v[109:110], -v[109:110], v[115:116], v[121:122]
	v_div_fmas_f64 v[109:110], v[109:110], v[113:114], v[115:116]
	v_div_fixup_f64 v[121:122], v[109:110], v[107:108], 1.0
	v_mul_f64 v[123:124], v[105:106], -v[121:122]
.LBB58_576:
	s_or_b64 exec, exec, s[18:19]
.LBB58_577:
	s_or_b64 exec, exec, s[0:1]
	v_cmp_ne_u32_e32 vcc, v79, v77
	s_and_saveexec_b64 s[0:1], vcc
	s_xor_b64 s[0:1], exec, s[0:1]
	s_cbranch_execz .LBB58_583
; %bb.578:
	v_cmp_eq_u32_e32 vcc, 27, v79
	s_and_saveexec_b64 s[18:19], vcc
	s_cbranch_execz .LBB58_582
; %bb.579:
	v_cmp_ne_u32_e32 vcc, 27, v77
	s_xor_b64 s[20:21], s[6:7], -1
	s_and_b64 s[22:23], s[20:21], vcc
	s_and_saveexec_b64 s[20:21], s[22:23]
	s_cbranch_execz .LBB58_581
; %bb.580:
	buffer_load_dword v106, off, s[24:27], 0 offset:80 ; 4-byte Folded Reload
	buffer_load_dword v107, off, s[24:27], 0 offset:84 ; 4-byte Folded Reload
	v_ashrrev_i32_e32 v78, 31, v77
	v_lshlrev_b64 v[78:79], 2, v[77:78]
	s_waitcnt vmcnt(1)
	v_add_co_u32_e32 v78, vcc, v106, v78
	s_waitcnt vmcnt(0)
	v_addc_co_u32_e32 v79, vcc, v107, v79, vcc
	global_load_dword v0, v[78:79], off
	global_load_dword v105, v[106:107], off offset:108
	s_waitcnt vmcnt(1)
	global_store_dword v[106:107], v0, off offset:108
	s_waitcnt vmcnt(1)
	global_store_dword v[78:79], v105, off
.LBB58_581:
	s_or_b64 exec, exec, s[20:21]
	v_mov_b32_e32 v79, v77
	v_mov_b32_e32 v0, v77
.LBB58_582:
	s_or_b64 exec, exec, s[18:19]
.LBB58_583:
	s_andn2_saveexec_b64 s[0:1], s[0:1]
	s_cbranch_execz .LBB58_585
; %bb.584:
	v_mov_b32_e32 v79, 27
	ds_write2_b64 v127, v[1:2], v[3:4] offset0:56 offset1:57
	ds_write2_b64 v127, v[117:118], v[119:120] offset0:58 offset1:59
.LBB58_585:
	s_or_b64 exec, exec, s[0:1]
	v_cmp_lt_i32_e32 vcc, 27, v79
	s_waitcnt vmcnt(0) lgkmcnt(0)
	s_barrier
	s_and_saveexec_b64 s[0:1], vcc
	s_cbranch_execz .LBB58_587
; %bb.586:
	v_mul_f64 v[77:78], v[121:122], v[7:8]
	v_mul_f64 v[7:8], v[123:124], v[7:8]
	ds_read2_b64 v[105:108], v127 offset0:56 offset1:57
	v_fma_f64 v[77:78], v[123:124], v[5:6], v[77:78]
	v_fma_f64 v[5:6], v[121:122], v[5:6], -v[7:8]
	s_waitcnt lgkmcnt(0)
	v_mul_f64 v[7:8], v[107:108], v[77:78]
	v_fma_f64 v[7:8], v[105:106], v[5:6], -v[7:8]
	v_mul_f64 v[105:106], v[105:106], v[77:78]
	v_add_f64 v[1:2], v[1:2], -v[7:8]
	v_fma_f64 v[105:106], v[107:108], v[5:6], v[105:106]
	v_add_f64 v[3:4], v[3:4], -v[105:106]
	ds_read2_b64 v[105:108], v127 offset0:58 offset1:59
	s_waitcnt lgkmcnt(0)
	v_mul_f64 v[7:8], v[107:108], v[77:78]
	v_fma_f64 v[7:8], v[105:106], v[5:6], -v[7:8]
	v_mul_f64 v[105:106], v[105:106], v[77:78]
	v_add_f64 v[117:118], v[117:118], -v[7:8]
	v_fma_f64 v[105:106], v[107:108], v[5:6], v[105:106]
	v_mov_b32_e32 v7, v77
	v_mov_b32_e32 v8, v78
	v_add_f64 v[119:120], v[119:120], -v[105:106]
.LBB58_587:
	s_or_b64 exec, exec, s[0:1]
	v_lshl_add_u32 v77, v79, 4, v127
	s_barrier
	ds_write2_b64 v77, v[1:2], v[3:4] offset1:1
	s_waitcnt lgkmcnt(0)
	s_barrier
	ds_read2_b64 v[121:124], v127 offset0:56 offset1:57
	s_cmp_lt_i32 s3, 30
	v_mov_b32_e32 v77, 28
	s_cbranch_scc1 .LBB58_590
; %bb.588:
	v_add_u32_e32 v78, 0x1d0, v127
	s_mov_b32 s0, 29
	v_mov_b32_e32 v77, 28
.LBB58_589:                             ; =>This Inner Loop Header: Depth=1
	s_waitcnt lgkmcnt(0)
	v_cmp_gt_f64_e32 vcc, 0, v[121:122]
	v_xor_b32_e32 v109, 0x80000000, v122
	ds_read2_b64 v[105:108], v78 offset1:1
	v_xor_b32_e32 v113, 0x80000000, v124
	v_add_u32_e32 v78, 16, v78
	s_waitcnt lgkmcnt(0)
	v_xor_b32_e32 v115, 0x80000000, v108
	v_cndmask_b32_e32 v110, v122, v109, vcc
	v_cmp_gt_f64_e32 vcc, 0, v[123:124]
	v_mov_b32_e32 v109, v121
	v_cndmask_b32_e32 v114, v124, v113, vcc
	v_cmp_gt_f64_e32 vcc, 0, v[105:106]
	v_mov_b32_e32 v113, v123
	v_add_f64 v[109:110], v[109:110], v[113:114]
	v_xor_b32_e32 v113, 0x80000000, v106
	v_cndmask_b32_e32 v114, v106, v113, vcc
	v_cmp_gt_f64_e32 vcc, 0, v[107:108]
	v_mov_b32_e32 v113, v105
	v_cndmask_b32_e32 v116, v108, v115, vcc
	v_mov_b32_e32 v115, v107
	v_add_f64 v[113:114], v[113:114], v[115:116]
	v_cmp_lt_f64_e32 vcc, v[109:110], v[113:114]
	v_cndmask_b32_e32 v121, v121, v105, vcc
	v_mov_b32_e32 v105, s0
	s_add_i32 s0, s0, 1
	v_cndmask_b32_e32 v122, v122, v106, vcc
	v_cndmask_b32_e32 v124, v124, v108, vcc
	;; [unrolled: 1-line block ×4, first 2 shown]
	s_cmp_lg_u32 s3, s0
	s_cbranch_scc1 .LBB58_589
.LBB58_590:
	s_waitcnt lgkmcnt(0)
	v_cmp_eq_f64_e32 vcc, 0, v[121:122]
	v_cmp_eq_f64_e64 s[0:1], 0, v[123:124]
	s_and_b64 s[0:1], vcc, s[0:1]
	s_and_saveexec_b64 s[18:19], s[0:1]
	s_xor_b64 s[0:1], exec, s[18:19]
; %bb.591:
	v_cmp_ne_u32_e32 vcc, 0, v80
	v_cndmask_b32_e32 v80, 29, v80, vcc
; %bb.592:
	s_andn2_saveexec_b64 s[0:1], s[0:1]
	s_cbranch_execz .LBB58_598
; %bb.593:
	v_cmp_ngt_f64_e64 s[18:19], |v[121:122]|, |v[123:124]|
	s_and_saveexec_b64 s[20:21], s[18:19]
	s_xor_b64 s[18:19], exec, s[20:21]
	s_cbranch_execz .LBB58_595
; %bb.594:
	v_div_scale_f64 v[105:106], s[20:21], v[123:124], v[123:124], v[121:122]
	v_rcp_f64_e32 v[107:108], v[105:106]
	v_fma_f64 v[109:110], -v[105:106], v[107:108], 1.0
	v_fma_f64 v[107:108], v[107:108], v[109:110], v[107:108]
	v_div_scale_f64 v[109:110], vcc, v[121:122], v[123:124], v[121:122]
	v_fma_f64 v[113:114], -v[105:106], v[107:108], 1.0
	v_fma_f64 v[107:108], v[107:108], v[113:114], v[107:108]
	v_mul_f64 v[113:114], v[109:110], v[107:108]
	v_fma_f64 v[105:106], -v[105:106], v[113:114], v[109:110]
	v_div_fmas_f64 v[105:106], v[105:106], v[107:108], v[113:114]
	v_div_fixup_f64 v[105:106], v[105:106], v[123:124], v[121:122]
	v_fma_f64 v[107:108], v[121:122], v[105:106], v[123:124]
	v_div_scale_f64 v[109:110], s[20:21], v[107:108], v[107:108], 1.0
	v_div_scale_f64 v[121:122], vcc, 1.0, v[107:108], 1.0
	v_rcp_f64_e32 v[113:114], v[109:110]
	v_fma_f64 v[115:116], -v[109:110], v[113:114], 1.0
	v_fma_f64 v[113:114], v[113:114], v[115:116], v[113:114]
	v_fma_f64 v[115:116], -v[109:110], v[113:114], 1.0
	v_fma_f64 v[113:114], v[113:114], v[115:116], v[113:114]
	v_mul_f64 v[115:116], v[121:122], v[113:114]
	v_fma_f64 v[109:110], -v[109:110], v[115:116], v[121:122]
	v_div_fmas_f64 v[109:110], v[109:110], v[113:114], v[115:116]
	v_div_fixup_f64 v[123:124], v[109:110], v[107:108], 1.0
	v_mul_f64 v[121:122], v[105:106], v[123:124]
	v_xor_b32_e32 v124, 0x80000000, v124
.LBB58_595:
	s_andn2_saveexec_b64 s[18:19], s[18:19]
	s_cbranch_execz .LBB58_597
; %bb.596:
	v_div_scale_f64 v[105:106], s[20:21], v[121:122], v[121:122], v[123:124]
	v_rcp_f64_e32 v[107:108], v[105:106]
	v_fma_f64 v[109:110], -v[105:106], v[107:108], 1.0
	v_fma_f64 v[107:108], v[107:108], v[109:110], v[107:108]
	v_div_scale_f64 v[109:110], vcc, v[123:124], v[121:122], v[123:124]
	v_fma_f64 v[113:114], -v[105:106], v[107:108], 1.0
	v_fma_f64 v[107:108], v[107:108], v[113:114], v[107:108]
	v_mul_f64 v[113:114], v[109:110], v[107:108]
	v_fma_f64 v[105:106], -v[105:106], v[113:114], v[109:110]
	v_div_fmas_f64 v[105:106], v[105:106], v[107:108], v[113:114]
	v_div_fixup_f64 v[105:106], v[105:106], v[121:122], v[123:124]
	v_fma_f64 v[107:108], v[123:124], v[105:106], v[121:122]
	v_div_scale_f64 v[109:110], s[20:21], v[107:108], v[107:108], 1.0
	v_div_scale_f64 v[121:122], vcc, 1.0, v[107:108], 1.0
	v_rcp_f64_e32 v[113:114], v[109:110]
	v_fma_f64 v[115:116], -v[109:110], v[113:114], 1.0
	v_fma_f64 v[113:114], v[113:114], v[115:116], v[113:114]
	v_fma_f64 v[115:116], -v[109:110], v[113:114], 1.0
	v_fma_f64 v[113:114], v[113:114], v[115:116], v[113:114]
	v_mul_f64 v[115:116], v[121:122], v[113:114]
	v_fma_f64 v[109:110], -v[109:110], v[115:116], v[121:122]
	v_div_fmas_f64 v[109:110], v[109:110], v[113:114], v[115:116]
	v_div_fixup_f64 v[121:122], v[109:110], v[107:108], 1.0
	v_mul_f64 v[123:124], v[105:106], -v[121:122]
.LBB58_597:
	s_or_b64 exec, exec, s[18:19]
.LBB58_598:
	s_or_b64 exec, exec, s[0:1]
	v_cmp_ne_u32_e32 vcc, v79, v77
	s_and_saveexec_b64 s[0:1], vcc
	s_xor_b64 s[0:1], exec, s[0:1]
	s_cbranch_execz .LBB58_604
; %bb.599:
	v_cmp_eq_u32_e32 vcc, 28, v79
	s_and_saveexec_b64 s[18:19], vcc
	s_cbranch_execz .LBB58_603
; %bb.600:
	v_cmp_ne_u32_e32 vcc, 28, v77
	s_xor_b64 s[20:21], s[6:7], -1
	s_and_b64 s[22:23], s[20:21], vcc
	s_and_saveexec_b64 s[20:21], s[22:23]
	s_cbranch_execz .LBB58_602
; %bb.601:
	buffer_load_dword v106, off, s[24:27], 0 offset:80 ; 4-byte Folded Reload
	buffer_load_dword v107, off, s[24:27], 0 offset:84 ; 4-byte Folded Reload
	v_ashrrev_i32_e32 v78, 31, v77
	v_lshlrev_b64 v[78:79], 2, v[77:78]
	s_waitcnt vmcnt(1)
	v_add_co_u32_e32 v78, vcc, v106, v78
	s_waitcnt vmcnt(0)
	v_addc_co_u32_e32 v79, vcc, v107, v79, vcc
	global_load_dword v0, v[78:79], off
	global_load_dword v105, v[106:107], off offset:112
	s_waitcnt vmcnt(1)
	global_store_dword v[106:107], v0, off offset:112
	s_waitcnt vmcnt(1)
	global_store_dword v[78:79], v105, off
.LBB58_602:
	s_or_b64 exec, exec, s[20:21]
	v_mov_b32_e32 v79, v77
	v_mov_b32_e32 v0, v77
.LBB58_603:
	s_or_b64 exec, exec, s[18:19]
.LBB58_604:
	s_andn2_saveexec_b64 s[0:1], s[0:1]
; %bb.605:
	v_mov_b32_e32 v79, 28
	ds_write2_b64 v127, v[117:118], v[119:120] offset0:58 offset1:59
; %bb.606:
	s_or_b64 exec, exec, s[0:1]
	v_cmp_lt_i32_e32 vcc, 28, v79
	s_waitcnt vmcnt(0) lgkmcnt(0)
	s_barrier
	s_and_saveexec_b64 s[0:1], vcc
	s_cbranch_execz .LBB58_608
; %bb.607:
	v_mul_f64 v[77:78], v[121:122], v[3:4]
	v_mul_f64 v[3:4], v[123:124], v[3:4]
	ds_read2_b64 v[105:108], v127 offset0:58 offset1:59
	v_fma_f64 v[77:78], v[123:124], v[1:2], v[77:78]
	v_fma_f64 v[1:2], v[121:122], v[1:2], -v[3:4]
	s_waitcnt lgkmcnt(0)
	v_mul_f64 v[3:4], v[107:108], v[77:78]
	v_fma_f64 v[3:4], v[105:106], v[1:2], -v[3:4]
	v_mul_f64 v[105:106], v[105:106], v[77:78]
	v_add_f64 v[117:118], v[117:118], -v[3:4]
	v_fma_f64 v[105:106], v[107:108], v[1:2], v[105:106]
	v_mov_b32_e32 v3, v77
	v_mov_b32_e32 v4, v78
	v_add_f64 v[119:120], v[119:120], -v[105:106]
.LBB58_608:
	s_or_b64 exec, exec, s[0:1]
	v_lshl_add_u32 v77, v79, 4, v127
	s_barrier
	ds_write2_b64 v77, v[117:118], v[119:120] offset1:1
	s_waitcnt lgkmcnt(0)
	s_barrier
	ds_read2_b64 v[121:124], v127 offset0:58 offset1:59
	s_cmp_lt_i32 s3, 31
	v_mov_b32_e32 v77, 29
	s_cbranch_scc1 .LBB58_611
; %bb.609:
	v_add_u32_e32 v78, 0x1e0, v127
	s_mov_b32 s0, 30
	v_mov_b32_e32 v77, 29
.LBB58_610:                             ; =>This Inner Loop Header: Depth=1
	s_waitcnt lgkmcnt(0)
	v_cmp_gt_f64_e32 vcc, 0, v[121:122]
	v_xor_b32_e32 v109, 0x80000000, v122
	ds_read2_b64 v[105:108], v78 offset1:1
	v_xor_b32_e32 v113, 0x80000000, v124
	v_add_u32_e32 v78, 16, v78
	s_waitcnt lgkmcnt(0)
	v_xor_b32_e32 v115, 0x80000000, v108
	v_cndmask_b32_e32 v110, v122, v109, vcc
	v_cmp_gt_f64_e32 vcc, 0, v[123:124]
	v_mov_b32_e32 v109, v121
	v_cndmask_b32_e32 v114, v124, v113, vcc
	v_cmp_gt_f64_e32 vcc, 0, v[105:106]
	v_mov_b32_e32 v113, v123
	v_add_f64 v[109:110], v[109:110], v[113:114]
	v_xor_b32_e32 v113, 0x80000000, v106
	v_cndmask_b32_e32 v114, v106, v113, vcc
	v_cmp_gt_f64_e32 vcc, 0, v[107:108]
	v_mov_b32_e32 v113, v105
	v_cndmask_b32_e32 v116, v108, v115, vcc
	v_mov_b32_e32 v115, v107
	v_add_f64 v[113:114], v[113:114], v[115:116]
	v_cmp_lt_f64_e32 vcc, v[109:110], v[113:114]
	v_cndmask_b32_e32 v121, v121, v105, vcc
	v_mov_b32_e32 v105, s0
	s_add_i32 s0, s0, 1
	v_cndmask_b32_e32 v122, v122, v106, vcc
	v_cndmask_b32_e32 v124, v124, v108, vcc
	;; [unrolled: 1-line block ×4, first 2 shown]
	s_cmp_lg_u32 s3, s0
	s_cbranch_scc1 .LBB58_610
.LBB58_611:
	s_waitcnt lgkmcnt(0)
	v_cmp_eq_f64_e32 vcc, 0, v[121:122]
	v_cmp_eq_f64_e64 s[0:1], 0, v[123:124]
	s_and_b64 s[0:1], vcc, s[0:1]
	s_and_saveexec_b64 s[18:19], s[0:1]
	s_xor_b64 s[0:1], exec, s[18:19]
; %bb.612:
	v_cmp_ne_u32_e32 vcc, 0, v80
	v_cndmask_b32_e32 v80, 30, v80, vcc
; %bb.613:
	s_andn2_saveexec_b64 s[0:1], s[0:1]
	s_cbranch_execz .LBB58_619
; %bb.614:
	v_cmp_ngt_f64_e64 s[18:19], |v[121:122]|, |v[123:124]|
	s_and_saveexec_b64 s[20:21], s[18:19]
	s_xor_b64 s[18:19], exec, s[20:21]
	s_cbranch_execz .LBB58_616
; %bb.615:
	v_div_scale_f64 v[105:106], s[20:21], v[123:124], v[123:124], v[121:122]
	v_rcp_f64_e32 v[107:108], v[105:106]
	v_fma_f64 v[109:110], -v[105:106], v[107:108], 1.0
	v_fma_f64 v[107:108], v[107:108], v[109:110], v[107:108]
	v_div_scale_f64 v[109:110], vcc, v[121:122], v[123:124], v[121:122]
	v_fma_f64 v[113:114], -v[105:106], v[107:108], 1.0
	v_fma_f64 v[107:108], v[107:108], v[113:114], v[107:108]
	v_mul_f64 v[113:114], v[109:110], v[107:108]
	v_fma_f64 v[105:106], -v[105:106], v[113:114], v[109:110]
	v_div_fmas_f64 v[105:106], v[105:106], v[107:108], v[113:114]
	v_div_fixup_f64 v[105:106], v[105:106], v[123:124], v[121:122]
	v_fma_f64 v[107:108], v[121:122], v[105:106], v[123:124]
	v_div_scale_f64 v[109:110], s[20:21], v[107:108], v[107:108], 1.0
	v_div_scale_f64 v[121:122], vcc, 1.0, v[107:108], 1.0
	v_rcp_f64_e32 v[113:114], v[109:110]
	v_fma_f64 v[115:116], -v[109:110], v[113:114], 1.0
	v_fma_f64 v[113:114], v[113:114], v[115:116], v[113:114]
	v_fma_f64 v[115:116], -v[109:110], v[113:114], 1.0
	v_fma_f64 v[113:114], v[113:114], v[115:116], v[113:114]
	v_mul_f64 v[115:116], v[121:122], v[113:114]
	v_fma_f64 v[109:110], -v[109:110], v[115:116], v[121:122]
	v_div_fmas_f64 v[109:110], v[109:110], v[113:114], v[115:116]
	v_div_fixup_f64 v[123:124], v[109:110], v[107:108], 1.0
	v_mul_f64 v[121:122], v[105:106], v[123:124]
	v_xor_b32_e32 v124, 0x80000000, v124
.LBB58_616:
	s_andn2_saveexec_b64 s[18:19], s[18:19]
	s_cbranch_execz .LBB58_618
; %bb.617:
	v_div_scale_f64 v[105:106], s[20:21], v[121:122], v[121:122], v[123:124]
	v_rcp_f64_e32 v[107:108], v[105:106]
	v_fma_f64 v[109:110], -v[105:106], v[107:108], 1.0
	v_fma_f64 v[107:108], v[107:108], v[109:110], v[107:108]
	v_div_scale_f64 v[109:110], vcc, v[123:124], v[121:122], v[123:124]
	v_fma_f64 v[113:114], -v[105:106], v[107:108], 1.0
	v_fma_f64 v[107:108], v[107:108], v[113:114], v[107:108]
	v_mul_f64 v[113:114], v[109:110], v[107:108]
	v_fma_f64 v[105:106], -v[105:106], v[113:114], v[109:110]
	v_div_fmas_f64 v[105:106], v[105:106], v[107:108], v[113:114]
	v_div_fixup_f64 v[105:106], v[105:106], v[121:122], v[123:124]
	v_fma_f64 v[107:108], v[123:124], v[105:106], v[121:122]
	v_div_scale_f64 v[109:110], s[20:21], v[107:108], v[107:108], 1.0
	v_div_scale_f64 v[121:122], vcc, 1.0, v[107:108], 1.0
	v_rcp_f64_e32 v[113:114], v[109:110]
	v_fma_f64 v[115:116], -v[109:110], v[113:114], 1.0
	v_fma_f64 v[113:114], v[113:114], v[115:116], v[113:114]
	v_fma_f64 v[115:116], -v[109:110], v[113:114], 1.0
	v_fma_f64 v[113:114], v[113:114], v[115:116], v[113:114]
	v_mul_f64 v[115:116], v[121:122], v[113:114]
	v_fma_f64 v[109:110], -v[109:110], v[115:116], v[121:122]
	v_div_fmas_f64 v[109:110], v[109:110], v[113:114], v[115:116]
	v_div_fixup_f64 v[121:122], v[109:110], v[107:108], 1.0
	v_mul_f64 v[123:124], v[105:106], -v[121:122]
.LBB58_618:
	s_or_b64 exec, exec, s[18:19]
.LBB58_619:
	s_or_b64 exec, exec, s[0:1]
	v_cmp_ne_u32_e32 vcc, v79, v77
	v_mov_b32_e32 v78, 29
	s_and_saveexec_b64 s[0:1], vcc
	s_cbranch_execz .LBB58_625
; %bb.620:
	v_cmp_eq_u32_e32 vcc, 29, v79
	s_and_saveexec_b64 s[18:19], vcc
	s_cbranch_execz .LBB58_624
; %bb.621:
	v_cmp_ne_u32_e32 vcc, 29, v77
	s_xor_b64 s[6:7], s[6:7], -1
	s_and_b64 s[20:21], s[6:7], vcc
	s_and_saveexec_b64 s[6:7], s[20:21]
	s_cbranch_execz .LBB58_623
; %bb.622:
	buffer_load_dword v106, off, s[24:27], 0 offset:80 ; 4-byte Folded Reload
	buffer_load_dword v107, off, s[24:27], 0 offset:84 ; 4-byte Folded Reload
	v_ashrrev_i32_e32 v78, 31, v77
	v_lshlrev_b64 v[78:79], 2, v[77:78]
	s_waitcnt vmcnt(1)
	v_add_co_u32_e32 v78, vcc, v106, v78
	s_waitcnt vmcnt(0)
	v_addc_co_u32_e32 v79, vcc, v107, v79, vcc
	global_load_dword v0, v[78:79], off
	global_load_dword v105, v[106:107], off offset:116
	s_waitcnt vmcnt(1)
	global_store_dword v[106:107], v0, off offset:116
	s_waitcnt vmcnt(1)
	global_store_dword v[78:79], v105, off
.LBB58_623:
	s_or_b64 exec, exec, s[6:7]
	v_mov_b32_e32 v79, v77
	v_mov_b32_e32 v0, v77
.LBB58_624:
	s_or_b64 exec, exec, s[18:19]
	v_mov_b32_e32 v78, v79
.LBB58_625:
	s_or_b64 exec, exec, s[0:1]
	v_cmp_gt_i32_e32 vcc, 30, v78
	v_ashrrev_i32_e32 v79, 31, v78
	s_waitcnt vmcnt(0)
	s_barrier
	s_barrier
	s_and_saveexec_b64 s[0:1], vcc
	s_cbranch_execz .LBB58_627
; %bb.626:
	buffer_load_dword v105, off, s[24:27], 0 offset:104 ; 4-byte Folded Reload
	buffer_load_dword v106, off, s[24:27], 0 offset:108 ; 4-byte Folded Reload
	v_add3_u32 v0, v0, s17, 1
	s_waitcnt vmcnt(1)
	v_mul_lo_u32 v77, s15, v105
	s_waitcnt vmcnt(0)
	v_mul_lo_u32 v107, s14, v106
	v_mad_u64_u32 v[105:106], s[6:7], s14, v105, 0
	s_lshl_b64 s[6:7], s[12:13], 2
	v_add3_u32 v106, v106, v107, v77
	v_lshlrev_b64 v[105:106], 2, v[105:106]
	v_mov_b32_e32 v77, s11
	v_add_co_u32_e32 v105, vcc, s10, v105
	v_addc_co_u32_e32 v77, vcc, v77, v106, vcc
	v_mov_b32_e32 v106, s7
	v_add_co_u32_e32 v107, vcc, s6, v105
	v_addc_co_u32_e32 v77, vcc, v77, v106, vcc
	v_lshlrev_b64 v[105:106], 2, v[78:79]
	v_add_co_u32_e32 v105, vcc, v107, v105
	v_addc_co_u32_e32 v106, vcc, v77, v106, vcc
	global_store_dword v[105:106], v0, off
.LBB58_627:
	s_or_b64 exec, exec, s[0:1]
	v_cmp_eq_u32_e32 vcc, 0, v78
	s_and_saveexec_b64 s[6:7], vcc
	s_cbranch_execz .LBB58_630
; %bb.628:
	buffer_load_dword v105, off, s[24:27], 0 offset:104 ; 4-byte Folded Reload
	buffer_load_dword v106, off, s[24:27], 0 offset:108 ; 4-byte Folded Reload
	v_mov_b32_e32 v0, s5
	v_cmp_ne_u32_e64 s[0:1], 0, v80
	s_waitcnt vmcnt(0)
	v_lshlrev_b64 v[105:106], 2, v[105:106]
	v_add_co_u32_e32 v109, vcc, s4, v105
	v_addc_co_u32_e32 v110, vcc, v0, v106, vcc
	global_load_dword v0, v[109:110], off
	s_waitcnt vmcnt(0)
	v_cmp_eq_u32_e32 vcc, 0, v0
	s_and_b64 s[0:1], vcc, s[0:1]
	s_and_b64 exec, exec, s[0:1]
	s_cbranch_execz .LBB58_630
; %bb.629:
	v_add_u32_e32 v0, s17, v80
	global_store_dword v[109:110], v0, off
.LBB58_630:
	s_or_b64 exec, exec, s[6:7]
	v_mul_f64 v[105:106], v[121:122], v[119:120]
	v_mul_f64 v[107:108], v[123:124], v[119:120]
	v_cmp_lt_i32_e32 vcc, 29, v78
	v_lshlrev_b64 v[79:80], 4, v[78:79]
	v_mov_b32_e32 v0, s9
	v_add_u32_e32 v77, s16, v78
	v_ashrrev_i32_e32 v78, 31, v77
	v_fma_f64 v[105:106], v[123:124], v[117:118], v[105:106]
	v_fma_f64 v[107:108], v[121:122], v[117:118], -v[107:108]
	v_cndmask_b32_e32 v120, v120, v106, vcc
	v_cndmask_b32_e32 v119, v119, v105, vcc
	v_cndmask_b32_e32 v118, v118, v108, vcc
	v_cndmask_b32_e32 v117, v117, v107, vcc
	buffer_load_dword v105, off, s[24:27], 0 offset:88 ; 4-byte Folded Reload
	buffer_load_dword v106, off, s[24:27], 0 offset:92 ; 4-byte Folded Reload
	;; [unrolled: 1-line block ×4, first 2 shown]
	v_add_co_u32_e32 v79, vcc, v111, v79
	v_addc_co_u32_e32 v80, vcc, v112, v80, vcc
	s_waitcnt vmcnt(0)
	global_store_dwordx4 v[79:80], v[105:108], off
	buffer_load_dword v97, off, s[24:27], 0 offset:64 ; 4-byte Folded Reload
	buffer_load_dword v98, off, s[24:27], 0 offset:68 ; 4-byte Folded Reload
	;; [unrolled: 1-line block ×4, first 2 shown]
	v_add_co_u32_e32 v79, vcc, s8, v79
	v_addc_co_u32_e32 v80, vcc, v80, v0, vcc
	s_waitcnt vmcnt(0)
	global_store_dwordx4 v[79:80], v[97:100], off
	buffer_load_dword v101, off, s[24:27], 0 offset:48 ; 4-byte Folded Reload
	buffer_load_dword v102, off, s[24:27], 0 offset:52 ; 4-byte Folded Reload
	;; [unrolled: 1-line block ×4, first 2 shown]
	v_lshlrev_b64 v[78:79], 4, v[77:78]
	v_add_u32_e32 v77, s2, v77
	v_add_co_u32_e32 v78, vcc, v111, v78
	v_addc_co_u32_e32 v79, vcc, v112, v79, vcc
	s_waitcnt vmcnt(0)
	global_store_dwordx4 v[78:79], v[101:104], off
	buffer_load_dword v105, off, s[24:27], 0 offset:32 ; 4-byte Folded Reload
	buffer_load_dword v106, off, s[24:27], 0 offset:36 ; 4-byte Folded Reload
	buffer_load_dword v107, off, s[24:27], 0 offset:40 ; 4-byte Folded Reload
	buffer_load_dword v108, off, s[24:27], 0 offset:44 ; 4-byte Folded Reload
	v_ashrrev_i32_e32 v78, 31, v77
	v_lshlrev_b64 v[78:79], 4, v[77:78]
	v_add_u32_e32 v77, s2, v77
	v_add_co_u32_e32 v78, vcc, v111, v78
	v_addc_co_u32_e32 v79, vcc, v112, v79, vcc
	s_waitcnt vmcnt(0)
	global_store_dwordx4 v[78:79], v[105:108], off
	buffer_load_dword v101, off, s[24:27], 0 offset:16 ; 4-byte Folded Reload
	buffer_load_dword v102, off, s[24:27], 0 offset:20 ; 4-byte Folded Reload
	;; [unrolled: 1-line block ×4, first 2 shown]
	v_ashrrev_i32_e32 v78, 31, v77
	v_lshlrev_b64 v[78:79], 4, v[77:78]
	v_add_u32_e32 v77, s2, v77
	v_add_co_u32_e32 v78, vcc, v111, v78
	v_addc_co_u32_e32 v79, vcc, v112, v79, vcc
	s_waitcnt vmcnt(0)
	global_store_dwordx4 v[78:79], v[101:104], off
	buffer_load_dword v97, off, s[24:27], 0 ; 4-byte Folded Reload
	buffer_load_dword v98, off, s[24:27], 0 offset:4 ; 4-byte Folded Reload
	buffer_load_dword v99, off, s[24:27], 0 offset:8 ; 4-byte Folded Reload
	;; [unrolled: 1-line block ×3, first 2 shown]
	v_ashrrev_i32_e32 v78, 31, v77
	v_lshlrev_b64 v[78:79], 4, v[77:78]
	v_add_u32_e32 v77, s2, v77
	v_add_co_u32_e32 v78, vcc, v111, v78
	v_addc_co_u32_e32 v79, vcc, v112, v79, vcc
	s_waitcnt vmcnt(0)
	global_store_dwordx4 v[78:79], v[97:100], off
	v_ashrrev_i32_e32 v78, 31, v77
	v_lshlrev_b64 v[78:79], 4, v[77:78]
	v_add_u32_e32 v77, s2, v77
	v_add_co_u32_e32 v78, vcc, v111, v78
	v_addc_co_u32_e32 v79, vcc, v112, v79, vcc
	global_store_dwordx4 v[78:79], v[93:96], off
	v_ashrrev_i32_e32 v78, 31, v77
	v_lshlrev_b64 v[78:79], 4, v[77:78]
	v_add_u32_e32 v77, s2, v77
	v_add_co_u32_e32 v78, vcc, v111, v78
	v_addc_co_u32_e32 v79, vcc, v112, v79, vcc
	;; [unrolled: 6-line block ×4, first 2 shown]
	global_store_dwordx4 v[78:79], v[81:84], off
	v_ashrrev_i32_e32 v78, 31, v77
	v_lshlrev_b64 v[78:79], 4, v[77:78]
	v_add_co_u32_e32 v78, vcc, v111, v78
	v_addc_co_u32_e32 v79, vcc, v112, v79, vcc
	global_store_dwordx4 v[78:79], v[73:76], off
	s_nop 0
	v_add_u32_e32 v73, s2, v77
	v_ashrrev_i32_e32 v74, 31, v73
	v_lshlrev_b64 v[74:75], 4, v[73:74]
	v_add_co_u32_e32 v74, vcc, v111, v74
	v_addc_co_u32_e32 v75, vcc, v112, v75, vcc
	global_store_dwordx4 v[74:75], v[69:72], off
	s_nop 0
	v_add_u32_e32 v69, s2, v73
	;; [unrolled: 7-line block ×18, first 2 shown]
	v_ashrrev_i32_e32 v6, 31, v5
	v_lshlrev_b64 v[6:7], 4, v[5:6]
	v_add_u32_e32 v0, s2, v5
	v_add_co_u32_e32 v6, vcc, v111, v6
	v_addc_co_u32_e32 v7, vcc, v112, v7, vcc
	global_store_dwordx4 v[6:7], v[1:4], off
	s_nop 0
	v_ashrrev_i32_e32 v1, 31, v0
	v_lshlrev_b64 v[0:1], 4, v[0:1]
	v_add_co_u32_e32 v0, vcc, v111, v0
	v_addc_co_u32_e32 v1, vcc, v112, v1, vcc
	global_store_dwordx4 v[0:1], v[117:120], off
.LBB58_631:
	s_endpgm
	.section	.rodata,"a",@progbits
	.p2align	6, 0x0
	.amdhsa_kernel _ZN9rocsolver6v33100L18getf2_small_kernelILi30E19rocblas_complex_numIdEiiPS3_EEvT1_T3_lS5_lPS5_llPT2_S5_S5_S7_l
		.amdhsa_group_segment_fixed_size 0
		.amdhsa_private_segment_fixed_size 116
		.amdhsa_kernarg_size 352
		.amdhsa_user_sgpr_count 6
		.amdhsa_user_sgpr_private_segment_buffer 1
		.amdhsa_user_sgpr_dispatch_ptr 0
		.amdhsa_user_sgpr_queue_ptr 0
		.amdhsa_user_sgpr_kernarg_segment_ptr 1
		.amdhsa_user_sgpr_dispatch_id 0
		.amdhsa_user_sgpr_flat_scratch_init 0
		.amdhsa_user_sgpr_private_segment_size 0
		.amdhsa_uses_dynamic_stack 0
		.amdhsa_system_sgpr_private_segment_wavefront_offset 1
		.amdhsa_system_sgpr_workgroup_id_x 1
		.amdhsa_system_sgpr_workgroup_id_y 1
		.amdhsa_system_sgpr_workgroup_id_z 0
		.amdhsa_system_sgpr_workgroup_info 0
		.amdhsa_system_vgpr_workitem_id 1
		.amdhsa_next_free_vgpr 128
		.amdhsa_next_free_sgpr 28
		.amdhsa_reserve_vcc 1
		.amdhsa_reserve_flat_scratch 0
		.amdhsa_float_round_mode_32 0
		.amdhsa_float_round_mode_16_64 0
		.amdhsa_float_denorm_mode_32 3
		.amdhsa_float_denorm_mode_16_64 3
		.amdhsa_dx10_clamp 1
		.amdhsa_ieee_mode 1
		.amdhsa_fp16_overflow 0
		.amdhsa_exception_fp_ieee_invalid_op 0
		.amdhsa_exception_fp_denorm_src 0
		.amdhsa_exception_fp_ieee_div_zero 0
		.amdhsa_exception_fp_ieee_overflow 0
		.amdhsa_exception_fp_ieee_underflow 0
		.amdhsa_exception_fp_ieee_inexact 0
		.amdhsa_exception_int_div_zero 0
	.end_amdhsa_kernel
	.section	.text._ZN9rocsolver6v33100L18getf2_small_kernelILi30E19rocblas_complex_numIdEiiPS3_EEvT1_T3_lS5_lPS5_llPT2_S5_S5_S7_l,"axG",@progbits,_ZN9rocsolver6v33100L18getf2_small_kernelILi30E19rocblas_complex_numIdEiiPS3_EEvT1_T3_lS5_lPS5_llPT2_S5_S5_S7_l,comdat
.Lfunc_end58:
	.size	_ZN9rocsolver6v33100L18getf2_small_kernelILi30E19rocblas_complex_numIdEiiPS3_EEvT1_T3_lS5_lPS5_llPT2_S5_S5_S7_l, .Lfunc_end58-_ZN9rocsolver6v33100L18getf2_small_kernelILi30E19rocblas_complex_numIdEiiPS3_EEvT1_T3_lS5_lPS5_llPT2_S5_S5_S7_l
                                        ; -- End function
	.set _ZN9rocsolver6v33100L18getf2_small_kernelILi30E19rocblas_complex_numIdEiiPS3_EEvT1_T3_lS5_lPS5_llPT2_S5_S5_S7_l.num_vgpr, 128
	.set _ZN9rocsolver6v33100L18getf2_small_kernelILi30E19rocblas_complex_numIdEiiPS3_EEvT1_T3_lS5_lPS5_llPT2_S5_S5_S7_l.num_agpr, 0
	.set _ZN9rocsolver6v33100L18getf2_small_kernelILi30E19rocblas_complex_numIdEiiPS3_EEvT1_T3_lS5_lPS5_llPT2_S5_S5_S7_l.numbered_sgpr, 28
	.set _ZN9rocsolver6v33100L18getf2_small_kernelILi30E19rocblas_complex_numIdEiiPS3_EEvT1_T3_lS5_lPS5_llPT2_S5_S5_S7_l.num_named_barrier, 0
	.set _ZN9rocsolver6v33100L18getf2_small_kernelILi30E19rocblas_complex_numIdEiiPS3_EEvT1_T3_lS5_lPS5_llPT2_S5_S5_S7_l.private_seg_size, 116
	.set _ZN9rocsolver6v33100L18getf2_small_kernelILi30E19rocblas_complex_numIdEiiPS3_EEvT1_T3_lS5_lPS5_llPT2_S5_S5_S7_l.uses_vcc, 1
	.set _ZN9rocsolver6v33100L18getf2_small_kernelILi30E19rocblas_complex_numIdEiiPS3_EEvT1_T3_lS5_lPS5_llPT2_S5_S5_S7_l.uses_flat_scratch, 0
	.set _ZN9rocsolver6v33100L18getf2_small_kernelILi30E19rocblas_complex_numIdEiiPS3_EEvT1_T3_lS5_lPS5_llPT2_S5_S5_S7_l.has_dyn_sized_stack, 0
	.set _ZN9rocsolver6v33100L18getf2_small_kernelILi30E19rocblas_complex_numIdEiiPS3_EEvT1_T3_lS5_lPS5_llPT2_S5_S5_S7_l.has_recursion, 0
	.set _ZN9rocsolver6v33100L18getf2_small_kernelILi30E19rocblas_complex_numIdEiiPS3_EEvT1_T3_lS5_lPS5_llPT2_S5_S5_S7_l.has_indirect_call, 0
	.section	.AMDGPU.csdata,"",@progbits
; Kernel info:
; codeLenInByte = 62020
; TotalNumSgprs: 32
; NumVgprs: 128
; ScratchSize: 116
; MemoryBound: 0
; FloatMode: 240
; IeeeMode: 1
; LDSByteSize: 0 bytes/workgroup (compile time only)
; SGPRBlocks: 3
; VGPRBlocks: 31
; NumSGPRsForWavesPerEU: 32
; NumVGPRsForWavesPerEU: 128
; Occupancy: 2
; WaveLimiterHint : 0
; COMPUTE_PGM_RSRC2:SCRATCH_EN: 1
; COMPUTE_PGM_RSRC2:USER_SGPR: 6
; COMPUTE_PGM_RSRC2:TRAP_HANDLER: 0
; COMPUTE_PGM_RSRC2:TGID_X_EN: 1
; COMPUTE_PGM_RSRC2:TGID_Y_EN: 1
; COMPUTE_PGM_RSRC2:TGID_Z_EN: 0
; COMPUTE_PGM_RSRC2:TIDIG_COMP_CNT: 1
	.section	.text._ZN9rocsolver6v33100L23getf2_npvt_small_kernelILi30E19rocblas_complex_numIdEiiPS3_EEvT1_T3_lS5_lPT2_S5_S5_,"axG",@progbits,_ZN9rocsolver6v33100L23getf2_npvt_small_kernelILi30E19rocblas_complex_numIdEiiPS3_EEvT1_T3_lS5_lPT2_S5_S5_,comdat
	.globl	_ZN9rocsolver6v33100L23getf2_npvt_small_kernelILi30E19rocblas_complex_numIdEiiPS3_EEvT1_T3_lS5_lPT2_S5_S5_ ; -- Begin function _ZN9rocsolver6v33100L23getf2_npvt_small_kernelILi30E19rocblas_complex_numIdEiiPS3_EEvT1_T3_lS5_lPT2_S5_S5_
	.p2align	8
	.type	_ZN9rocsolver6v33100L23getf2_npvt_small_kernelILi30E19rocblas_complex_numIdEiiPS3_EEvT1_T3_lS5_lPT2_S5_S5_,@function
_ZN9rocsolver6v33100L23getf2_npvt_small_kernelILi30E19rocblas_complex_numIdEiiPS3_EEvT1_T3_lS5_lPT2_S5_S5_: ; @_ZN9rocsolver6v33100L23getf2_npvt_small_kernelILi30E19rocblas_complex_numIdEiiPS3_EEvT1_T3_lS5_lPT2_S5_S5_
; %bb.0:
	s_mov_b64 s[22:23], s[2:3]
	s_mov_b64 s[20:21], s[0:1]
	s_load_dword s0, s[4:5], 0x44
	s_load_dwordx2 s[12:13], s[4:5], 0x30
	s_add_u32 s20, s20, s8
	s_addc_u32 s21, s21, 0
	s_waitcnt lgkmcnt(0)
	s_lshr_b32 s2, s0, 16
	s_mul_i32 s7, s7, s2
	v_add_u32_e32 v2, s7, v1
	v_cmp_gt_i32_e32 vcc, s12, v2
	s_and_saveexec_b64 s[0:1], vcc
	s_cbranch_execz .LBB59_273
; %bb.1:
	s_load_dwordx4 s[8:11], s[4:5], 0x20
	s_load_dwordx4 s[16:19], s[4:5], 0x8
	v_ashrrev_i32_e32 v3, 31, v2
	s_mulk_i32 s2, 0x1e0
	s_waitcnt lgkmcnt(0)
	v_mul_lo_u32 v4, s9, v2
	v_mul_lo_u32 v5, s8, v3
	buffer_store_dword v2, off, s[20:23], 0 offset:728 ; 4-byte Folded Spill
	s_nop 0
	buffer_store_dword v3, off, s[20:23], 0 offset:732 ; 4-byte Folded Spill
	v_mov_b32_e32 v6, s17
	v_mad_u64_u32 v[2:3], s[0:1], s8, v2, 0
	s_load_dword s0, s[4:5], 0x18
	s_lshl_b64 s[4:5], s[18:19], 4
	v_add3_u32 v3, v3, v5, v4
	v_lshlrev_b64 v[2:3], 4, v[2:3]
	v_mov_b32_e32 v4, s5
	v_add_co_u32_e32 v2, vcc, s16, v2
	v_addc_co_u32_e32 v3, vcc, v6, v3, vcc
	v_add_co_u32_e32 v2, vcc, s4, v2
	s_waitcnt lgkmcnt(0)
	s_add_i32 s1, s0, s0
	v_addc_co_u32_e32 v3, vcc, v3, v4, vcc
	v_add_u32_e32 v4, s1, v0
	v_ashrrev_i32_e32 v5, 31, v4
	v_lshlrev_b64 v[5:6], 4, v[4:5]
	v_add_u32_e32 v4, s0, v4
	v_add_co_u32_e32 v91, vcc, v2, v5
	v_ashrrev_i32_e32 v5, 31, v4
	v_addc_co_u32_e32 v92, vcc, v3, v6, vcc
	v_lshlrev_b64 v[5:6], 4, v[4:5]
	v_add_u32_e32 v4, s0, v4
	v_add_co_u32_e32 v7, vcc, v2, v5
	v_ashrrev_i32_e32 v5, 31, v4
	v_addc_co_u32_e32 v8, vcc, v3, v6, vcc
	;; [unrolled: 5-line block ×26, first 2 shown]
	v_lshlrev_b64 v[5:6], 4, v[4:5]
	v_add_u32_e32 v4, s0, v4
	v_add_co_u32_e32 v105, vcc, v2, v5
	v_ashrrev_i32_e32 v5, 31, v4
	v_lshlrev_b64 v[4:5], 4, v[4:5]
	v_addc_co_u32_e32 v106, vcc, v3, v6, vcc
	v_add_co_u32_e32 v107, vcc, v2, v4
	v_addc_co_u32_e32 v108, vcc, v3, v5, vcc
	v_lshlrev_b32_e32 v4, 4, v0
	v_add_co_u32_e32 v113, vcc, v2, v4
	s_ashr_i32 s1, s0, 31
	v_addc_co_u32_e32 v114, vcc, 0, v3, vcc
	s_lshl_b64 s[0:1], s[0:1], 4
	v_mov_b32_e32 v2, s1
	v_add_co_u32_e32 v115, vcc, s0, v113
	s_movk_i32 s0, 0x1e0
	s_add_i32 s1, s2, 0
	v_addc_co_u32_e32 v116, vcc, v114, v2, vcc
	v_mad_u32_u24 v125, v1, s0, 0
	v_lshl_add_u32 v127, v1, 4, s1
	global_load_dwordx4 v[1:4], v[113:114], off
	s_waitcnt vmcnt(0)
	buffer_store_dword v1, off, s[20:23], 0 offset:64 ; 4-byte Folded Spill
	s_nop 0
	buffer_store_dword v2, off, s[20:23], 0 offset:68 ; 4-byte Folded Spill
	buffer_store_dword v3, off, s[20:23], 0 offset:72 ; 4-byte Folded Spill
	buffer_store_dword v4, off, s[20:23], 0 offset:76 ; 4-byte Folded Spill
	global_load_dwordx4 v[1:4], v[115:116], off
	s_waitcnt vmcnt(0)
	buffer_store_dword v1, off, s[20:23], 0 offset:48 ; 4-byte Folded Spill
	s_nop 0
	buffer_store_dword v2, off, s[20:23], 0 offset:52 ; 4-byte Folded Spill
	buffer_store_dword v3, off, s[20:23], 0 offset:56 ; 4-byte Folded Spill
	buffer_store_dword v4, off, s[20:23], 0 offset:60 ; 4-byte Folded Spill
	global_load_dwordx4 v[1:4], v[91:92], off
	s_waitcnt vmcnt(0)
	buffer_store_dword v1, off, s[20:23], 0 offset:32 ; 4-byte Folded Spill
	s_nop 0
	buffer_store_dword v2, off, s[20:23], 0 offset:36 ; 4-byte Folded Spill
	buffer_store_dword v3, off, s[20:23], 0 offset:40 ; 4-byte Folded Spill
	buffer_store_dword v4, off, s[20:23], 0 offset:44 ; 4-byte Folded Spill
	buffer_store_dword v7, off, s[20:23], 0 offset:80 ; 4-byte Folded Spill
	s_nop 0
	buffer_store_dword v8, off, s[20:23], 0 offset:84 ; 4-byte Folded Spill
	v_cmp_ne_u32_e64 s[2:3], 0, v0
	v_cmp_eq_u32_e64 s[0:1], 0, v0
	global_load_dwordx4 v[1:4], v[7:8], off
	s_waitcnt vmcnt(0)
	buffer_store_dword v1, off, s[20:23], 0 offset:16 ; 4-byte Folded Spill
	s_nop 0
	buffer_store_dword v2, off, s[20:23], 0 offset:20 ; 4-byte Folded Spill
	buffer_store_dword v3, off, s[20:23], 0 offset:24 ; 4-byte Folded Spill
	;; [unrolled: 1-line block ×4, first 2 shown]
	s_nop 0
	buffer_store_dword v40, off, s[20:23], 0 offset:724 ; 4-byte Folded Spill
	global_load_dwordx4 v[1:4], v[39:40], off
	s_waitcnt vmcnt(0)
	buffer_store_dword v1, off, s[20:23], 0 ; 4-byte Folded Spill
	s_nop 0
	buffer_store_dword v2, off, s[20:23], 0 offset:4 ; 4-byte Folded Spill
	buffer_store_dword v3, off, s[20:23], 0 offset:8 ; 4-byte Folded Spill
	buffer_store_dword v4, off, s[20:23], 0 offset:12 ; 4-byte Folded Spill
	buffer_store_dword v9, off, s[20:23], 0 offset:88 ; 4-byte Folded Spill
	s_nop 0
	buffer_store_dword v10, off, s[20:23], 0 offset:92 ; 4-byte Folded Spill
	global_load_dwordx4 v[5:8], v[9:10], off
	s_nop 0
	buffer_store_dword v11, off, s[20:23], 0 offset:96 ; 4-byte Folded Spill
	s_nop 0
	buffer_store_dword v12, off, s[20:23], 0 offset:100 ; 4-byte Folded Spill
	global_load_dwordx4 v[117:120], v[11:12], off
	s_nop 0
	buffer_store_dword v13, off, s[20:23], 0 offset:104 ; 4-byte Folded Spill
	;; [unrolled: 5-line block ×17, first 2 shown]
	s_nop 0
	buffer_store_dword v94, off, s[20:23], 0 offset:228 ; 4-byte Folded Spill
	s_waitcnt vmcnt(50)
	v_mov_b32_e32 v90, v8
	v_mov_b32_e32 v89, v7
	;; [unrolled: 1-line block ×4, first 2 shown]
	global_load_dwordx4 v[25:28], v[93:94], off
	s_nop 0
	buffer_store_dword v95, off, s[20:23], 0 offset:232 ; 4-byte Folded Spill
	s_nop 0
	buffer_store_dword v96, off, s[20:23], 0 offset:236 ; 4-byte Folded Spill
	global_load_dwordx4 v[21:24], v[95:96], off
	s_nop 0
	buffer_store_dword v97, off, s[20:23], 0 offset:240 ; 4-byte Folded Spill
	s_nop 0
	buffer_store_dword v98, off, s[20:23], 0 offset:244 ; 4-byte Folded Spill
	s_waitcnt vmcnt(50)
	v_mov_b32_e32 v96, v4
	v_mov_b32_e32 v95, v3
	;; [unrolled: 1-line block ×4, first 2 shown]
	global_load_dwordx4 v[17:20], v[97:98], off
	s_nop 0
	buffer_store_dword v99, off, s[20:23], 0 offset:248 ; 4-byte Folded Spill
	s_nop 0
	buffer_store_dword v100, off, s[20:23], 0 offset:252 ; 4-byte Folded Spill
	global_load_dwordx4 v[13:16], v[99:100], off
	s_nop 0
	buffer_store_dword v101, off, s[20:23], 0 offset:256 ; 4-byte Folded Spill
	s_nop 0
	buffer_store_dword v102, off, s[20:23], 0 offset:260 ; 4-byte Folded Spill
	;; [unrolled: 5-line block ×5, first 2 shown]
	global_load_dwordx4 v[101:104], v[107:108], off
	s_and_saveexec_b64 s[6:7], s[0:1]
	s_cbranch_execz .LBB59_8
; %bb.2:
	buffer_load_dword v97, off, s[20:23], 0 offset:64 ; 4-byte Folded Reload
	buffer_load_dword v98, off, s[20:23], 0 offset:68 ; 4-byte Folded Reload
	buffer_load_dword v99, off, s[20:23], 0 offset:72 ; 4-byte Folded Reload
	buffer_load_dword v100, off, s[20:23], 0 offset:76 ; 4-byte Folded Reload
	s_waitcnt vmcnt(0)
	ds_write2_b64 v127, v[97:98], v[99:100] offset1:1
	buffer_load_dword v97, off, s[20:23], 0 offset:48 ; 4-byte Folded Reload
	buffer_load_dword v98, off, s[20:23], 0 offset:52 ; 4-byte Folded Reload
	buffer_load_dword v99, off, s[20:23], 0 offset:56 ; 4-byte Folded Reload
	buffer_load_dword v100, off, s[20:23], 0 offset:60 ; 4-byte Folded Reload
	s_waitcnt vmcnt(0)
	ds_write2_b64 v125, v[97:98], v[99:100] offset0:2 offset1:3
	buffer_load_dword v97, off, s[20:23], 0 offset:32 ; 4-byte Folded Reload
	buffer_load_dword v98, off, s[20:23], 0 offset:36 ; 4-byte Folded Reload
	buffer_load_dword v99, off, s[20:23], 0 offset:40 ; 4-byte Folded Reload
	buffer_load_dword v100, off, s[20:23], 0 offset:44 ; 4-byte Folded Reload
	s_waitcnt vmcnt(0)
	ds_write2_b64 v125, v[97:98], v[99:100] offset0:4 offset1:5
	;; [unrolled: 6-line block ×3, first 2 shown]
	buffer_load_dword v97, off, s[20:23], 0 ; 4-byte Folded Reload
	buffer_load_dword v98, off, s[20:23], 0 offset:4 ; 4-byte Folded Reload
	buffer_load_dword v99, off, s[20:23], 0 offset:8 ; 4-byte Folded Reload
	;; [unrolled: 1-line block ×3, first 2 shown]
	s_waitcnt vmcnt(0)
	ds_write2_b64 v125, v[97:98], v[99:100] offset0:8 offset1:9
	ds_write2_b64 v125, v[87:88], v[89:90] offset0:10 offset1:11
	;; [unrolled: 1-line block ×26, first 2 shown]
	ds_read2_b64 v[97:100], v127 offset1:1
	s_waitcnt lgkmcnt(0)
	v_cmp_neq_f64_e32 vcc, 0, v[97:98]
	v_cmp_neq_f64_e64 s[4:5], 0, v[99:100]
	s_or_b64 s[4:5], vcc, s[4:5]
	s_and_b64 exec, exec, s[4:5]
	s_cbranch_execz .LBB59_8
; %bb.3:
	v_cmp_ngt_f64_e64 s[4:5], |v[97:98]|, |v[99:100]|
                                        ; implicit-def: $vgpr105_vgpr106
	s_and_saveexec_b64 s[8:9], s[4:5]
	s_xor_b64 s[4:5], exec, s[8:9]
                                        ; implicit-def: $vgpr107_vgpr108
	s_cbranch_execz .LBB59_5
; %bb.4:
	v_div_scale_f64 v[105:106], s[8:9], v[99:100], v[99:100], v[97:98]
	v_rcp_f64_e32 v[107:108], v[105:106]
	v_fma_f64 v[109:110], -v[105:106], v[107:108], 1.0
	v_fma_f64 v[107:108], v[107:108], v[109:110], v[107:108]
	v_div_scale_f64 v[109:110], vcc, v[97:98], v[99:100], v[97:98]
	v_fma_f64 v[111:112], -v[105:106], v[107:108], 1.0
	v_fma_f64 v[107:108], v[107:108], v[111:112], v[107:108]
	v_mul_f64 v[111:112], v[109:110], v[107:108]
	v_fma_f64 v[105:106], -v[105:106], v[111:112], v[109:110]
	v_div_fmas_f64 v[105:106], v[105:106], v[107:108], v[111:112]
	v_div_fixup_f64 v[105:106], v[105:106], v[99:100], v[97:98]
	v_fma_f64 v[97:98], v[97:98], v[105:106], v[99:100]
	v_div_scale_f64 v[99:100], s[8:9], v[97:98], v[97:98], 1.0
	v_div_scale_f64 v[111:112], vcc, 1.0, v[97:98], 1.0
	v_rcp_f64_e32 v[107:108], v[99:100]
	v_fma_f64 v[109:110], -v[99:100], v[107:108], 1.0
	v_fma_f64 v[107:108], v[107:108], v[109:110], v[107:108]
	v_fma_f64 v[109:110], -v[99:100], v[107:108], 1.0
	v_fma_f64 v[107:108], v[107:108], v[109:110], v[107:108]
	v_mul_f64 v[109:110], v[111:112], v[107:108]
	v_fma_f64 v[99:100], -v[99:100], v[109:110], v[111:112]
	v_div_fmas_f64 v[99:100], v[99:100], v[107:108], v[109:110]
	v_div_fixup_f64 v[107:108], v[99:100], v[97:98], 1.0
                                        ; implicit-def: $vgpr97_vgpr98
	v_mul_f64 v[105:106], v[105:106], v[107:108]
	v_xor_b32_e32 v108, 0x80000000, v108
.LBB59_5:
	s_andn2_saveexec_b64 s[4:5], s[4:5]
	s_cbranch_execz .LBB59_7
; %bb.6:
	v_div_scale_f64 v[105:106], s[8:9], v[97:98], v[97:98], v[99:100]
	v_rcp_f64_e32 v[107:108], v[105:106]
	v_fma_f64 v[109:110], -v[105:106], v[107:108], 1.0
	v_fma_f64 v[107:108], v[107:108], v[109:110], v[107:108]
	v_div_scale_f64 v[109:110], vcc, v[99:100], v[97:98], v[99:100]
	v_fma_f64 v[111:112], -v[105:106], v[107:108], 1.0
	v_fma_f64 v[107:108], v[107:108], v[111:112], v[107:108]
	v_mul_f64 v[111:112], v[109:110], v[107:108]
	v_fma_f64 v[105:106], -v[105:106], v[111:112], v[109:110]
	v_div_fmas_f64 v[105:106], v[105:106], v[107:108], v[111:112]
	v_div_fixup_f64 v[107:108], v[105:106], v[97:98], v[99:100]
	v_fma_f64 v[97:98], v[99:100], v[107:108], v[97:98]
	v_div_scale_f64 v[99:100], s[8:9], v[97:98], v[97:98], 1.0
	v_div_scale_f64 v[111:112], vcc, 1.0, v[97:98], 1.0
	v_rcp_f64_e32 v[105:106], v[99:100]
	v_fma_f64 v[109:110], -v[99:100], v[105:106], 1.0
	v_fma_f64 v[105:106], v[105:106], v[109:110], v[105:106]
	v_fma_f64 v[109:110], -v[99:100], v[105:106], 1.0
	v_fma_f64 v[105:106], v[105:106], v[109:110], v[105:106]
	v_mul_f64 v[109:110], v[111:112], v[105:106]
	v_fma_f64 v[99:100], -v[99:100], v[109:110], v[111:112]
	v_div_fmas_f64 v[99:100], v[99:100], v[105:106], v[109:110]
	v_div_fixup_f64 v[105:106], v[99:100], v[97:98], 1.0
	v_mul_f64 v[107:108], v[107:108], -v[105:106]
.LBB59_7:
	s_or_b64 exec, exec, s[4:5]
	ds_write2_b64 v127, v[105:106], v[107:108] offset1:1
.LBB59_8:
	s_or_b64 exec, exec, s[6:7]
	s_waitcnt vmcnt(0) lgkmcnt(0)
	s_barrier
	ds_read2_b64 v[97:100], v127 offset1:1
	s_waitcnt lgkmcnt(0)
	buffer_store_dword v97, off, s[20:23], 0 offset:304 ; 4-byte Folded Spill
	s_nop 0
	buffer_store_dword v98, off, s[20:23], 0 offset:308 ; 4-byte Folded Spill
	buffer_store_dword v99, off, s[20:23], 0 offset:312 ; 4-byte Folded Spill
	;; [unrolled: 1-line block ×3, first 2 shown]
	s_and_saveexec_b64 s[4:5], s[2:3]
	s_cbranch_execz .LBB59_10
; %bb.9:
	buffer_load_dword v109, off, s[20:23], 0 offset:64 ; 4-byte Folded Reload
	buffer_load_dword v110, off, s[20:23], 0 offset:68 ; 4-byte Folded Reload
	;; [unrolled: 1-line block ×8, first 2 shown]
	s_waitcnt vmcnt(2)
	v_mul_f64 v[99:100], v[105:106], v[111:112]
	s_waitcnt vmcnt(0)
	v_mul_f64 v[97:98], v[107:108], v[111:112]
	v_fma_f64 v[111:112], v[107:108], v[109:110], v[99:100]
	v_fma_f64 v[97:98], v[105:106], v[109:110], -v[97:98]
	ds_read2_b64 v[105:108], v125 offset0:2 offset1:3
	s_waitcnt lgkmcnt(0)
	v_mul_f64 v[99:100], v[107:108], v[111:112]
	v_fma_f64 v[99:100], v[105:106], v[97:98], -v[99:100]
	v_mul_f64 v[105:106], v[105:106], v[111:112]
	v_fma_f64 v[105:106], v[107:108], v[97:98], v[105:106]
	buffer_load_dword v107, off, s[20:23], 0 offset:48 ; 4-byte Folded Reload
	buffer_load_dword v108, off, s[20:23], 0 offset:52 ; 4-byte Folded Reload
	buffer_load_dword v109, off, s[20:23], 0 offset:56 ; 4-byte Folded Reload
	buffer_load_dword v110, off, s[20:23], 0 offset:60 ; 4-byte Folded Reload
	s_waitcnt vmcnt(2)
	v_add_f64 v[107:108], v[107:108], -v[99:100]
	s_waitcnt vmcnt(0)
	v_add_f64 v[109:110], v[109:110], -v[105:106]
	buffer_store_dword v107, off, s[20:23], 0 offset:48 ; 4-byte Folded Spill
	s_nop 0
	buffer_store_dword v108, off, s[20:23], 0 offset:52 ; 4-byte Folded Spill
	buffer_store_dword v109, off, s[20:23], 0 offset:56 ; 4-byte Folded Spill
	buffer_store_dword v110, off, s[20:23], 0 offset:60 ; 4-byte Folded Spill
	ds_read2_b64 v[105:108], v125 offset0:4 offset1:5
	s_waitcnt lgkmcnt(0)
	v_mul_f64 v[99:100], v[107:108], v[111:112]
	v_fma_f64 v[99:100], v[105:106], v[97:98], -v[99:100]
	v_mul_f64 v[105:106], v[105:106], v[111:112]
	v_fma_f64 v[105:106], v[107:108], v[97:98], v[105:106]
	buffer_load_dword v107, off, s[20:23], 0 offset:32 ; 4-byte Folded Reload
	buffer_load_dword v108, off, s[20:23], 0 offset:36 ; 4-byte Folded Reload
	buffer_load_dword v109, off, s[20:23], 0 offset:40 ; 4-byte Folded Reload
	buffer_load_dword v110, off, s[20:23], 0 offset:44 ; 4-byte Folded Reload
	s_waitcnt vmcnt(2)
	v_add_f64 v[107:108], v[107:108], -v[99:100]
	s_waitcnt vmcnt(0)
	v_add_f64 v[109:110], v[109:110], -v[105:106]
	buffer_store_dword v107, off, s[20:23], 0 offset:32 ; 4-byte Folded Spill
	s_nop 0
	buffer_store_dword v108, off, s[20:23], 0 offset:36 ; 4-byte Folded Spill
	buffer_store_dword v109, off, s[20:23], 0 offset:40 ; 4-byte Folded Spill
	buffer_store_dword v110, off, s[20:23], 0 offset:44 ; 4-byte Folded Spill
	;; [unrolled: 19-line block ×3, first 2 shown]
	ds_read2_b64 v[105:108], v125 offset0:8 offset1:9
	s_waitcnt lgkmcnt(0)
	v_mul_f64 v[99:100], v[107:108], v[111:112]
	v_fma_f64 v[99:100], v[105:106], v[97:98], -v[99:100]
	v_mul_f64 v[105:106], v[105:106], v[111:112]
	v_fma_f64 v[105:106], v[107:108], v[97:98], v[105:106]
	buffer_load_dword v107, off, s[20:23], 0 ; 4-byte Folded Reload
	buffer_load_dword v108, off, s[20:23], 0 offset:4 ; 4-byte Folded Reload
	buffer_load_dword v109, off, s[20:23], 0 offset:8 ; 4-byte Folded Reload
	;; [unrolled: 1-line block ×3, first 2 shown]
	s_waitcnt vmcnt(2)
	v_add_f64 v[107:108], v[107:108], -v[99:100]
	s_waitcnt vmcnt(0)
	v_add_f64 v[109:110], v[109:110], -v[105:106]
	buffer_store_dword v107, off, s[20:23], 0 ; 4-byte Folded Spill
	s_nop 0
	buffer_store_dword v108, off, s[20:23], 0 offset:4 ; 4-byte Folded Spill
	buffer_store_dword v109, off, s[20:23], 0 offset:8 ; 4-byte Folded Spill
	;; [unrolled: 1-line block ×3, first 2 shown]
	ds_read2_b64 v[105:108], v125 offset0:10 offset1:11
	v_mov_b32_e32 v110, v98
	v_mov_b32_e32 v109, v97
	s_waitcnt lgkmcnt(0)
	v_mul_f64 v[99:100], v[107:108], v[111:112]
	v_fma_f64 v[99:100], v[105:106], v[97:98], -v[99:100]
	v_mul_f64 v[105:106], v[105:106], v[111:112]
	v_add_f64 v[87:88], v[87:88], -v[99:100]
	v_fma_f64 v[105:106], v[107:108], v[97:98], v[105:106]
	v_add_f64 v[89:90], v[89:90], -v[105:106]
	ds_read2_b64 v[105:108], v125 offset0:12 offset1:13
	s_waitcnt lgkmcnt(0)
	v_mul_f64 v[99:100], v[107:108], v[111:112]
	v_fma_f64 v[99:100], v[105:106], v[97:98], -v[99:100]
	v_mul_f64 v[105:106], v[105:106], v[111:112]
	v_add_f64 v[117:118], v[117:118], -v[99:100]
	v_fma_f64 v[105:106], v[107:108], v[97:98], v[105:106]
	v_add_f64 v[119:120], v[119:120], -v[105:106]
	ds_read2_b64 v[105:108], v125 offset0:14 offset1:15
	;; [unrolled: 8-line block ×24, first 2 shown]
	s_waitcnt lgkmcnt(0)
	v_mul_f64 v[99:100], v[107:108], v[111:112]
	v_fma_f64 v[99:100], v[105:106], v[97:98], -v[99:100]
	v_mul_f64 v[105:106], v[105:106], v[111:112]
	buffer_store_dword v109, off, s[20:23], 0 offset:64 ; 4-byte Folded Spill
	s_nop 0
	buffer_store_dword v110, off, s[20:23], 0 offset:68 ; 4-byte Folded Spill
	buffer_store_dword v111, off, s[20:23], 0 offset:72 ; 4-byte Folded Spill
	;; [unrolled: 1-line block ×3, first 2 shown]
	v_add_f64 v[101:102], v[101:102], -v[99:100]
	v_fma_f64 v[105:106], v[107:108], v[97:98], v[105:106]
	v_add_f64 v[103:104], v[103:104], -v[105:106]
.LBB59_10:
	s_or_b64 exec, exec, s[4:5]
	v_cmp_eq_u32_e32 vcc, 1, v0
	s_waitcnt vmcnt(0)
	s_barrier
	s_and_saveexec_b64 s[4:5], vcc
	s_cbranch_execz .LBB59_17
; %bb.11:
	buffer_load_dword v97, off, s[20:23], 0 offset:48 ; 4-byte Folded Reload
	buffer_load_dword v98, off, s[20:23], 0 offset:52 ; 4-byte Folded Reload
	;; [unrolled: 1-line block ×4, first 2 shown]
	s_waitcnt vmcnt(0)
	ds_write2_b64 v127, v[97:98], v[99:100] offset1:1
	buffer_load_dword v97, off, s[20:23], 0 offset:32 ; 4-byte Folded Reload
	buffer_load_dword v98, off, s[20:23], 0 offset:36 ; 4-byte Folded Reload
	buffer_load_dword v99, off, s[20:23], 0 offset:40 ; 4-byte Folded Reload
	buffer_load_dword v100, off, s[20:23], 0 offset:44 ; 4-byte Folded Reload
	s_waitcnt vmcnt(0)
	ds_write2_b64 v125, v[97:98], v[99:100] offset0:4 offset1:5
	buffer_load_dword v97, off, s[20:23], 0 offset:16 ; 4-byte Folded Reload
	buffer_load_dword v98, off, s[20:23], 0 offset:20 ; 4-byte Folded Reload
	;; [unrolled: 1-line block ×4, first 2 shown]
	s_waitcnt vmcnt(0)
	ds_write2_b64 v125, v[97:98], v[99:100] offset0:6 offset1:7
	buffer_load_dword v97, off, s[20:23], 0 ; 4-byte Folded Reload
	buffer_load_dword v98, off, s[20:23], 0 offset:4 ; 4-byte Folded Reload
	buffer_load_dword v99, off, s[20:23], 0 offset:8 ; 4-byte Folded Reload
	;; [unrolled: 1-line block ×3, first 2 shown]
	s_waitcnt vmcnt(0)
	ds_write2_b64 v125, v[97:98], v[99:100] offset0:8 offset1:9
	ds_write2_b64 v125, v[87:88], v[89:90] offset0:10 offset1:11
	;; [unrolled: 1-line block ×26, first 2 shown]
	ds_read2_b64 v[97:100], v127 offset1:1
	s_waitcnt lgkmcnt(0)
	v_cmp_neq_f64_e32 vcc, 0, v[97:98]
	v_cmp_neq_f64_e64 s[2:3], 0, v[99:100]
	s_or_b64 s[2:3], vcc, s[2:3]
	s_and_b64 exec, exec, s[2:3]
	s_cbranch_execz .LBB59_17
; %bb.12:
	v_cmp_ngt_f64_e64 s[2:3], |v[97:98]|, |v[99:100]|
                                        ; implicit-def: $vgpr105_vgpr106
	s_and_saveexec_b64 s[6:7], s[2:3]
	s_xor_b64 s[2:3], exec, s[6:7]
                                        ; implicit-def: $vgpr107_vgpr108
	s_cbranch_execz .LBB59_14
; %bb.13:
	v_div_scale_f64 v[105:106], s[6:7], v[99:100], v[99:100], v[97:98]
	v_rcp_f64_e32 v[107:108], v[105:106]
	v_fma_f64 v[109:110], -v[105:106], v[107:108], 1.0
	v_fma_f64 v[107:108], v[107:108], v[109:110], v[107:108]
	v_div_scale_f64 v[109:110], vcc, v[97:98], v[99:100], v[97:98]
	v_fma_f64 v[111:112], -v[105:106], v[107:108], 1.0
	v_fma_f64 v[107:108], v[107:108], v[111:112], v[107:108]
	v_mul_f64 v[111:112], v[109:110], v[107:108]
	v_fma_f64 v[105:106], -v[105:106], v[111:112], v[109:110]
	v_div_fmas_f64 v[105:106], v[105:106], v[107:108], v[111:112]
	v_div_fixup_f64 v[105:106], v[105:106], v[99:100], v[97:98]
	v_fma_f64 v[97:98], v[97:98], v[105:106], v[99:100]
	v_div_scale_f64 v[99:100], s[6:7], v[97:98], v[97:98], 1.0
	v_div_scale_f64 v[111:112], vcc, 1.0, v[97:98], 1.0
	v_rcp_f64_e32 v[107:108], v[99:100]
	v_fma_f64 v[109:110], -v[99:100], v[107:108], 1.0
	v_fma_f64 v[107:108], v[107:108], v[109:110], v[107:108]
	v_fma_f64 v[109:110], -v[99:100], v[107:108], 1.0
	v_fma_f64 v[107:108], v[107:108], v[109:110], v[107:108]
	v_mul_f64 v[109:110], v[111:112], v[107:108]
	v_fma_f64 v[99:100], -v[99:100], v[109:110], v[111:112]
	v_div_fmas_f64 v[99:100], v[99:100], v[107:108], v[109:110]
	v_div_fixup_f64 v[107:108], v[99:100], v[97:98], 1.0
                                        ; implicit-def: $vgpr97_vgpr98
	v_mul_f64 v[105:106], v[105:106], v[107:108]
	v_xor_b32_e32 v108, 0x80000000, v108
.LBB59_14:
	s_andn2_saveexec_b64 s[2:3], s[2:3]
	s_cbranch_execz .LBB59_16
; %bb.15:
	v_div_scale_f64 v[105:106], s[6:7], v[97:98], v[97:98], v[99:100]
	v_rcp_f64_e32 v[107:108], v[105:106]
	v_fma_f64 v[109:110], -v[105:106], v[107:108], 1.0
	v_fma_f64 v[107:108], v[107:108], v[109:110], v[107:108]
	v_div_scale_f64 v[109:110], vcc, v[99:100], v[97:98], v[99:100]
	v_fma_f64 v[111:112], -v[105:106], v[107:108], 1.0
	v_fma_f64 v[107:108], v[107:108], v[111:112], v[107:108]
	v_mul_f64 v[111:112], v[109:110], v[107:108]
	v_fma_f64 v[105:106], -v[105:106], v[111:112], v[109:110]
	v_div_fmas_f64 v[105:106], v[105:106], v[107:108], v[111:112]
	v_div_fixup_f64 v[107:108], v[105:106], v[97:98], v[99:100]
	v_fma_f64 v[97:98], v[99:100], v[107:108], v[97:98]
	v_div_scale_f64 v[99:100], s[6:7], v[97:98], v[97:98], 1.0
	v_div_scale_f64 v[111:112], vcc, 1.0, v[97:98], 1.0
	v_rcp_f64_e32 v[105:106], v[99:100]
	v_fma_f64 v[109:110], -v[99:100], v[105:106], 1.0
	v_fma_f64 v[105:106], v[105:106], v[109:110], v[105:106]
	v_fma_f64 v[109:110], -v[99:100], v[105:106], 1.0
	v_fma_f64 v[105:106], v[105:106], v[109:110], v[105:106]
	v_mul_f64 v[109:110], v[111:112], v[105:106]
	v_fma_f64 v[99:100], -v[99:100], v[109:110], v[111:112]
	v_div_fmas_f64 v[99:100], v[99:100], v[105:106], v[109:110]
	v_div_fixup_f64 v[105:106], v[99:100], v[97:98], 1.0
	v_mul_f64 v[107:108], v[107:108], -v[105:106]
.LBB59_16:
	s_or_b64 exec, exec, s[2:3]
	ds_write2_b64 v127, v[105:106], v[107:108] offset1:1
.LBB59_17:
	s_or_b64 exec, exec, s[4:5]
	s_waitcnt lgkmcnt(0)
	s_barrier
	ds_read2_b64 v[97:100], v127 offset1:1
	v_cmp_lt_u32_e32 vcc, 1, v0
	s_waitcnt lgkmcnt(0)
	buffer_store_dword v97, off, s[20:23], 0 offset:320 ; 4-byte Folded Spill
	s_nop 0
	buffer_store_dword v98, off, s[20:23], 0 offset:324 ; 4-byte Folded Spill
	buffer_store_dword v99, off, s[20:23], 0 offset:328 ; 4-byte Folded Spill
	;; [unrolled: 1-line block ×3, first 2 shown]
	s_and_saveexec_b64 s[2:3], vcc
	s_cbranch_execz .LBB59_19
; %bb.18:
	buffer_load_dword v109, off, s[20:23], 0 offset:48 ; 4-byte Folded Reload
	buffer_load_dword v110, off, s[20:23], 0 offset:52 ; 4-byte Folded Reload
	;; [unrolled: 1-line block ×8, first 2 shown]
	s_waitcnt vmcnt(2)
	v_mul_f64 v[99:100], v[105:106], v[111:112]
	s_waitcnt vmcnt(0)
	v_mul_f64 v[97:98], v[107:108], v[111:112]
	v_fma_f64 v[111:112], v[107:108], v[109:110], v[99:100]
	v_fma_f64 v[97:98], v[105:106], v[109:110], -v[97:98]
	ds_read2_b64 v[105:108], v125 offset0:4 offset1:5
	s_waitcnt lgkmcnt(0)
	v_mul_f64 v[99:100], v[107:108], v[111:112]
	v_fma_f64 v[99:100], v[105:106], v[97:98], -v[99:100]
	v_mul_f64 v[105:106], v[105:106], v[111:112]
	v_fma_f64 v[105:106], v[107:108], v[97:98], v[105:106]
	buffer_load_dword v107, off, s[20:23], 0 offset:32 ; 4-byte Folded Reload
	buffer_load_dword v108, off, s[20:23], 0 offset:36 ; 4-byte Folded Reload
	;; [unrolled: 1-line block ×4, first 2 shown]
	s_waitcnt vmcnt(2)
	v_add_f64 v[107:108], v[107:108], -v[99:100]
	s_waitcnt vmcnt(0)
	v_add_f64 v[109:110], v[109:110], -v[105:106]
	buffer_store_dword v107, off, s[20:23], 0 offset:32 ; 4-byte Folded Spill
	s_nop 0
	buffer_store_dword v108, off, s[20:23], 0 offset:36 ; 4-byte Folded Spill
	buffer_store_dword v109, off, s[20:23], 0 offset:40 ; 4-byte Folded Spill
	buffer_store_dword v110, off, s[20:23], 0 offset:44 ; 4-byte Folded Spill
	ds_read2_b64 v[105:108], v125 offset0:6 offset1:7
	s_waitcnt lgkmcnt(0)
	v_mul_f64 v[99:100], v[107:108], v[111:112]
	v_fma_f64 v[99:100], v[105:106], v[97:98], -v[99:100]
	v_mul_f64 v[105:106], v[105:106], v[111:112]
	v_fma_f64 v[105:106], v[107:108], v[97:98], v[105:106]
	buffer_load_dword v107, off, s[20:23], 0 offset:16 ; 4-byte Folded Reload
	buffer_load_dword v108, off, s[20:23], 0 offset:20 ; 4-byte Folded Reload
	;; [unrolled: 1-line block ×4, first 2 shown]
	s_waitcnt vmcnt(2)
	v_add_f64 v[107:108], v[107:108], -v[99:100]
	s_waitcnt vmcnt(0)
	v_add_f64 v[109:110], v[109:110], -v[105:106]
	buffer_store_dword v107, off, s[20:23], 0 offset:16 ; 4-byte Folded Spill
	s_nop 0
	buffer_store_dword v108, off, s[20:23], 0 offset:20 ; 4-byte Folded Spill
	buffer_store_dword v109, off, s[20:23], 0 offset:24 ; 4-byte Folded Spill
	buffer_store_dword v110, off, s[20:23], 0 offset:28 ; 4-byte Folded Spill
	ds_read2_b64 v[105:108], v125 offset0:8 offset1:9
	s_waitcnt lgkmcnt(0)
	v_mul_f64 v[99:100], v[107:108], v[111:112]
	v_fma_f64 v[99:100], v[105:106], v[97:98], -v[99:100]
	v_mul_f64 v[105:106], v[105:106], v[111:112]
	v_fma_f64 v[105:106], v[107:108], v[97:98], v[105:106]
	buffer_load_dword v107, off, s[20:23], 0 ; 4-byte Folded Reload
	buffer_load_dword v108, off, s[20:23], 0 offset:4 ; 4-byte Folded Reload
	buffer_load_dword v109, off, s[20:23], 0 offset:8 ; 4-byte Folded Reload
	;; [unrolled: 1-line block ×3, first 2 shown]
	s_waitcnt vmcnt(2)
	v_add_f64 v[107:108], v[107:108], -v[99:100]
	s_waitcnt vmcnt(0)
	v_add_f64 v[109:110], v[109:110], -v[105:106]
	buffer_store_dword v107, off, s[20:23], 0 ; 4-byte Folded Spill
	s_nop 0
	buffer_store_dword v108, off, s[20:23], 0 offset:4 ; 4-byte Folded Spill
	buffer_store_dword v109, off, s[20:23], 0 offset:8 ; 4-byte Folded Spill
	;; [unrolled: 1-line block ×3, first 2 shown]
	ds_read2_b64 v[105:108], v125 offset0:10 offset1:11
	v_mov_b32_e32 v110, v98
	v_mov_b32_e32 v109, v97
	s_waitcnt lgkmcnt(0)
	v_mul_f64 v[99:100], v[107:108], v[111:112]
	v_fma_f64 v[99:100], v[105:106], v[97:98], -v[99:100]
	v_mul_f64 v[105:106], v[105:106], v[111:112]
	v_add_f64 v[87:88], v[87:88], -v[99:100]
	v_fma_f64 v[105:106], v[107:108], v[97:98], v[105:106]
	v_add_f64 v[89:90], v[89:90], -v[105:106]
	ds_read2_b64 v[105:108], v125 offset0:12 offset1:13
	s_waitcnt lgkmcnt(0)
	v_mul_f64 v[99:100], v[107:108], v[111:112]
	v_fma_f64 v[99:100], v[105:106], v[97:98], -v[99:100]
	v_mul_f64 v[105:106], v[105:106], v[111:112]
	v_add_f64 v[117:118], v[117:118], -v[99:100]
	v_fma_f64 v[105:106], v[107:108], v[97:98], v[105:106]
	v_add_f64 v[119:120], v[119:120], -v[105:106]
	ds_read2_b64 v[105:108], v125 offset0:14 offset1:15
	;; [unrolled: 8-line block ×24, first 2 shown]
	s_waitcnt lgkmcnt(0)
	v_mul_f64 v[99:100], v[107:108], v[111:112]
	v_fma_f64 v[99:100], v[105:106], v[97:98], -v[99:100]
	v_mul_f64 v[105:106], v[105:106], v[111:112]
	buffer_store_dword v109, off, s[20:23], 0 offset:48 ; 4-byte Folded Spill
	s_nop 0
	buffer_store_dword v110, off, s[20:23], 0 offset:52 ; 4-byte Folded Spill
	buffer_store_dword v111, off, s[20:23], 0 offset:56 ; 4-byte Folded Spill
	;; [unrolled: 1-line block ×3, first 2 shown]
	v_add_f64 v[101:102], v[101:102], -v[99:100]
	v_fma_f64 v[105:106], v[107:108], v[97:98], v[105:106]
	v_add_f64 v[103:104], v[103:104], -v[105:106]
.LBB59_19:
	s_or_b64 exec, exec, s[2:3]
	v_cmp_eq_u32_e32 vcc, 2, v0
	s_waitcnt vmcnt(0)
	s_barrier
	s_and_saveexec_b64 s[4:5], vcc
	s_cbranch_execz .LBB59_26
; %bb.20:
	buffer_load_dword v97, off, s[20:23], 0 offset:32 ; 4-byte Folded Reload
	buffer_load_dword v98, off, s[20:23], 0 offset:36 ; 4-byte Folded Reload
	;; [unrolled: 1-line block ×4, first 2 shown]
	s_waitcnt vmcnt(0)
	ds_write2_b64 v127, v[97:98], v[99:100] offset1:1
	buffer_load_dword v97, off, s[20:23], 0 offset:16 ; 4-byte Folded Reload
	buffer_load_dword v98, off, s[20:23], 0 offset:20 ; 4-byte Folded Reload
	;; [unrolled: 1-line block ×4, first 2 shown]
	s_waitcnt vmcnt(0)
	ds_write2_b64 v125, v[97:98], v[99:100] offset0:6 offset1:7
	buffer_load_dword v97, off, s[20:23], 0 ; 4-byte Folded Reload
	buffer_load_dword v98, off, s[20:23], 0 offset:4 ; 4-byte Folded Reload
	buffer_load_dword v99, off, s[20:23], 0 offset:8 ; 4-byte Folded Reload
	;; [unrolled: 1-line block ×3, first 2 shown]
	s_waitcnt vmcnt(0)
	ds_write2_b64 v125, v[97:98], v[99:100] offset0:8 offset1:9
	ds_write2_b64 v125, v[87:88], v[89:90] offset0:10 offset1:11
	;; [unrolled: 1-line block ×26, first 2 shown]
	ds_read2_b64 v[97:100], v127 offset1:1
	s_waitcnt lgkmcnt(0)
	v_cmp_neq_f64_e32 vcc, 0, v[97:98]
	v_cmp_neq_f64_e64 s[2:3], 0, v[99:100]
	s_or_b64 s[2:3], vcc, s[2:3]
	s_and_b64 exec, exec, s[2:3]
	s_cbranch_execz .LBB59_26
; %bb.21:
	v_cmp_ngt_f64_e64 s[2:3], |v[97:98]|, |v[99:100]|
                                        ; implicit-def: $vgpr105_vgpr106
	s_and_saveexec_b64 s[6:7], s[2:3]
	s_xor_b64 s[2:3], exec, s[6:7]
                                        ; implicit-def: $vgpr107_vgpr108
	s_cbranch_execz .LBB59_23
; %bb.22:
	v_div_scale_f64 v[105:106], s[6:7], v[99:100], v[99:100], v[97:98]
	v_rcp_f64_e32 v[107:108], v[105:106]
	v_fma_f64 v[109:110], -v[105:106], v[107:108], 1.0
	v_fma_f64 v[107:108], v[107:108], v[109:110], v[107:108]
	v_div_scale_f64 v[109:110], vcc, v[97:98], v[99:100], v[97:98]
	v_fma_f64 v[111:112], -v[105:106], v[107:108], 1.0
	v_fma_f64 v[107:108], v[107:108], v[111:112], v[107:108]
	v_mul_f64 v[111:112], v[109:110], v[107:108]
	v_fma_f64 v[105:106], -v[105:106], v[111:112], v[109:110]
	v_div_fmas_f64 v[105:106], v[105:106], v[107:108], v[111:112]
	v_div_fixup_f64 v[105:106], v[105:106], v[99:100], v[97:98]
	v_fma_f64 v[97:98], v[97:98], v[105:106], v[99:100]
	v_div_scale_f64 v[99:100], s[6:7], v[97:98], v[97:98], 1.0
	v_div_scale_f64 v[111:112], vcc, 1.0, v[97:98], 1.0
	v_rcp_f64_e32 v[107:108], v[99:100]
	v_fma_f64 v[109:110], -v[99:100], v[107:108], 1.0
	v_fma_f64 v[107:108], v[107:108], v[109:110], v[107:108]
	v_fma_f64 v[109:110], -v[99:100], v[107:108], 1.0
	v_fma_f64 v[107:108], v[107:108], v[109:110], v[107:108]
	v_mul_f64 v[109:110], v[111:112], v[107:108]
	v_fma_f64 v[99:100], -v[99:100], v[109:110], v[111:112]
	v_div_fmas_f64 v[99:100], v[99:100], v[107:108], v[109:110]
	v_div_fixup_f64 v[107:108], v[99:100], v[97:98], 1.0
                                        ; implicit-def: $vgpr97_vgpr98
	v_mul_f64 v[105:106], v[105:106], v[107:108]
	v_xor_b32_e32 v108, 0x80000000, v108
.LBB59_23:
	s_andn2_saveexec_b64 s[2:3], s[2:3]
	s_cbranch_execz .LBB59_25
; %bb.24:
	v_div_scale_f64 v[105:106], s[6:7], v[97:98], v[97:98], v[99:100]
	v_rcp_f64_e32 v[107:108], v[105:106]
	v_fma_f64 v[109:110], -v[105:106], v[107:108], 1.0
	v_fma_f64 v[107:108], v[107:108], v[109:110], v[107:108]
	v_div_scale_f64 v[109:110], vcc, v[99:100], v[97:98], v[99:100]
	v_fma_f64 v[111:112], -v[105:106], v[107:108], 1.0
	v_fma_f64 v[107:108], v[107:108], v[111:112], v[107:108]
	v_mul_f64 v[111:112], v[109:110], v[107:108]
	v_fma_f64 v[105:106], -v[105:106], v[111:112], v[109:110]
	v_div_fmas_f64 v[105:106], v[105:106], v[107:108], v[111:112]
	v_div_fixup_f64 v[107:108], v[105:106], v[97:98], v[99:100]
	v_fma_f64 v[97:98], v[99:100], v[107:108], v[97:98]
	v_div_scale_f64 v[99:100], s[6:7], v[97:98], v[97:98], 1.0
	v_div_scale_f64 v[111:112], vcc, 1.0, v[97:98], 1.0
	v_rcp_f64_e32 v[105:106], v[99:100]
	v_fma_f64 v[109:110], -v[99:100], v[105:106], 1.0
	v_fma_f64 v[105:106], v[105:106], v[109:110], v[105:106]
	v_fma_f64 v[109:110], -v[99:100], v[105:106], 1.0
	v_fma_f64 v[105:106], v[105:106], v[109:110], v[105:106]
	v_mul_f64 v[109:110], v[111:112], v[105:106]
	v_fma_f64 v[99:100], -v[99:100], v[109:110], v[111:112]
	v_div_fmas_f64 v[99:100], v[99:100], v[105:106], v[109:110]
	v_div_fixup_f64 v[105:106], v[99:100], v[97:98], 1.0
	v_mul_f64 v[107:108], v[107:108], -v[105:106]
.LBB59_25:
	s_or_b64 exec, exec, s[2:3]
	ds_write2_b64 v127, v[105:106], v[107:108] offset1:1
.LBB59_26:
	s_or_b64 exec, exec, s[4:5]
	s_waitcnt lgkmcnt(0)
	s_barrier
	ds_read2_b64 v[97:100], v127 offset1:1
	v_cmp_lt_u32_e32 vcc, 2, v0
	s_waitcnt lgkmcnt(0)
	buffer_store_dword v97, off, s[20:23], 0 offset:336 ; 4-byte Folded Spill
	s_nop 0
	buffer_store_dword v98, off, s[20:23], 0 offset:340 ; 4-byte Folded Spill
	buffer_store_dword v99, off, s[20:23], 0 offset:344 ; 4-byte Folded Spill
	;; [unrolled: 1-line block ×3, first 2 shown]
	s_and_saveexec_b64 s[2:3], vcc
	s_cbranch_execz .LBB59_28
; %bb.27:
	buffer_load_dword v109, off, s[20:23], 0 offset:32 ; 4-byte Folded Reload
	buffer_load_dword v110, off, s[20:23], 0 offset:36 ; 4-byte Folded Reload
	;; [unrolled: 1-line block ×8, first 2 shown]
	s_waitcnt vmcnt(2)
	v_mul_f64 v[99:100], v[105:106], v[111:112]
	s_waitcnt vmcnt(0)
	v_mul_f64 v[97:98], v[107:108], v[111:112]
	v_fma_f64 v[111:112], v[107:108], v[109:110], v[99:100]
	v_fma_f64 v[97:98], v[105:106], v[109:110], -v[97:98]
	ds_read2_b64 v[105:108], v125 offset0:6 offset1:7
	s_waitcnt lgkmcnt(0)
	v_mul_f64 v[99:100], v[107:108], v[111:112]
	v_fma_f64 v[99:100], v[105:106], v[97:98], -v[99:100]
	v_mul_f64 v[105:106], v[105:106], v[111:112]
	v_fma_f64 v[105:106], v[107:108], v[97:98], v[105:106]
	buffer_load_dword v107, off, s[20:23], 0 offset:16 ; 4-byte Folded Reload
	buffer_load_dword v108, off, s[20:23], 0 offset:20 ; 4-byte Folded Reload
	;; [unrolled: 1-line block ×4, first 2 shown]
	s_waitcnt vmcnt(2)
	v_add_f64 v[107:108], v[107:108], -v[99:100]
	s_waitcnt vmcnt(0)
	v_add_f64 v[109:110], v[109:110], -v[105:106]
	buffer_store_dword v107, off, s[20:23], 0 offset:16 ; 4-byte Folded Spill
	s_nop 0
	buffer_store_dword v108, off, s[20:23], 0 offset:20 ; 4-byte Folded Spill
	buffer_store_dword v109, off, s[20:23], 0 offset:24 ; 4-byte Folded Spill
	;; [unrolled: 1-line block ×3, first 2 shown]
	ds_read2_b64 v[105:108], v125 offset0:8 offset1:9
	s_waitcnt lgkmcnt(0)
	v_mul_f64 v[99:100], v[107:108], v[111:112]
	v_fma_f64 v[99:100], v[105:106], v[97:98], -v[99:100]
	v_mul_f64 v[105:106], v[105:106], v[111:112]
	v_fma_f64 v[105:106], v[107:108], v[97:98], v[105:106]
	buffer_load_dword v107, off, s[20:23], 0 ; 4-byte Folded Reload
	buffer_load_dword v108, off, s[20:23], 0 offset:4 ; 4-byte Folded Reload
	buffer_load_dword v109, off, s[20:23], 0 offset:8 ; 4-byte Folded Reload
	;; [unrolled: 1-line block ×3, first 2 shown]
	s_waitcnt vmcnt(2)
	v_add_f64 v[107:108], v[107:108], -v[99:100]
	s_waitcnt vmcnt(0)
	v_add_f64 v[109:110], v[109:110], -v[105:106]
	buffer_store_dword v107, off, s[20:23], 0 ; 4-byte Folded Spill
	s_nop 0
	buffer_store_dword v108, off, s[20:23], 0 offset:4 ; 4-byte Folded Spill
	buffer_store_dword v109, off, s[20:23], 0 offset:8 ; 4-byte Folded Spill
	buffer_store_dword v110, off, s[20:23], 0 offset:12 ; 4-byte Folded Spill
	ds_read2_b64 v[105:108], v125 offset0:10 offset1:11
	v_mov_b32_e32 v110, v98
	v_mov_b32_e32 v109, v97
	s_waitcnt lgkmcnt(0)
	v_mul_f64 v[99:100], v[107:108], v[111:112]
	v_fma_f64 v[99:100], v[105:106], v[97:98], -v[99:100]
	v_mul_f64 v[105:106], v[105:106], v[111:112]
	v_add_f64 v[87:88], v[87:88], -v[99:100]
	v_fma_f64 v[105:106], v[107:108], v[97:98], v[105:106]
	v_add_f64 v[89:90], v[89:90], -v[105:106]
	ds_read2_b64 v[105:108], v125 offset0:12 offset1:13
	s_waitcnt lgkmcnt(0)
	v_mul_f64 v[99:100], v[107:108], v[111:112]
	v_fma_f64 v[99:100], v[105:106], v[97:98], -v[99:100]
	v_mul_f64 v[105:106], v[105:106], v[111:112]
	v_add_f64 v[117:118], v[117:118], -v[99:100]
	v_fma_f64 v[105:106], v[107:108], v[97:98], v[105:106]
	v_add_f64 v[119:120], v[119:120], -v[105:106]
	ds_read2_b64 v[105:108], v125 offset0:14 offset1:15
	;; [unrolled: 8-line block ×24, first 2 shown]
	s_waitcnt lgkmcnt(0)
	v_mul_f64 v[99:100], v[107:108], v[111:112]
	v_fma_f64 v[99:100], v[105:106], v[97:98], -v[99:100]
	v_mul_f64 v[105:106], v[105:106], v[111:112]
	buffer_store_dword v109, off, s[20:23], 0 offset:32 ; 4-byte Folded Spill
	s_nop 0
	buffer_store_dword v110, off, s[20:23], 0 offset:36 ; 4-byte Folded Spill
	buffer_store_dword v111, off, s[20:23], 0 offset:40 ; 4-byte Folded Spill
	;; [unrolled: 1-line block ×3, first 2 shown]
	v_add_f64 v[101:102], v[101:102], -v[99:100]
	v_fma_f64 v[105:106], v[107:108], v[97:98], v[105:106]
	v_add_f64 v[103:104], v[103:104], -v[105:106]
.LBB59_28:
	s_or_b64 exec, exec, s[2:3]
	v_cmp_eq_u32_e32 vcc, 3, v0
	s_waitcnt vmcnt(0)
	s_barrier
	s_and_saveexec_b64 s[4:5], vcc
	s_cbranch_execz .LBB59_35
; %bb.29:
	buffer_load_dword v97, off, s[20:23], 0 offset:16 ; 4-byte Folded Reload
	buffer_load_dword v98, off, s[20:23], 0 offset:20 ; 4-byte Folded Reload
	;; [unrolled: 1-line block ×4, first 2 shown]
	s_waitcnt vmcnt(0)
	ds_write2_b64 v127, v[97:98], v[99:100] offset1:1
	buffer_load_dword v97, off, s[20:23], 0 ; 4-byte Folded Reload
	buffer_load_dword v98, off, s[20:23], 0 offset:4 ; 4-byte Folded Reload
	buffer_load_dword v99, off, s[20:23], 0 offset:8 ; 4-byte Folded Reload
	buffer_load_dword v100, off, s[20:23], 0 offset:12 ; 4-byte Folded Reload
	s_waitcnt vmcnt(0)
	ds_write2_b64 v125, v[97:98], v[99:100] offset0:8 offset1:9
	ds_write2_b64 v125, v[87:88], v[89:90] offset0:10 offset1:11
	;; [unrolled: 1-line block ×26, first 2 shown]
	ds_read2_b64 v[97:100], v127 offset1:1
	s_waitcnt lgkmcnt(0)
	v_cmp_neq_f64_e32 vcc, 0, v[97:98]
	v_cmp_neq_f64_e64 s[2:3], 0, v[99:100]
	s_or_b64 s[2:3], vcc, s[2:3]
	s_and_b64 exec, exec, s[2:3]
	s_cbranch_execz .LBB59_35
; %bb.30:
	v_cmp_ngt_f64_e64 s[2:3], |v[97:98]|, |v[99:100]|
                                        ; implicit-def: $vgpr105_vgpr106
	s_and_saveexec_b64 s[6:7], s[2:3]
	s_xor_b64 s[2:3], exec, s[6:7]
                                        ; implicit-def: $vgpr107_vgpr108
	s_cbranch_execz .LBB59_32
; %bb.31:
	v_div_scale_f64 v[105:106], s[6:7], v[99:100], v[99:100], v[97:98]
	v_rcp_f64_e32 v[107:108], v[105:106]
	v_fma_f64 v[109:110], -v[105:106], v[107:108], 1.0
	v_fma_f64 v[107:108], v[107:108], v[109:110], v[107:108]
	v_div_scale_f64 v[109:110], vcc, v[97:98], v[99:100], v[97:98]
	v_fma_f64 v[111:112], -v[105:106], v[107:108], 1.0
	v_fma_f64 v[107:108], v[107:108], v[111:112], v[107:108]
	v_mul_f64 v[111:112], v[109:110], v[107:108]
	v_fma_f64 v[105:106], -v[105:106], v[111:112], v[109:110]
	v_div_fmas_f64 v[105:106], v[105:106], v[107:108], v[111:112]
	v_div_fixup_f64 v[105:106], v[105:106], v[99:100], v[97:98]
	v_fma_f64 v[97:98], v[97:98], v[105:106], v[99:100]
	v_div_scale_f64 v[99:100], s[6:7], v[97:98], v[97:98], 1.0
	v_div_scale_f64 v[111:112], vcc, 1.0, v[97:98], 1.0
	v_rcp_f64_e32 v[107:108], v[99:100]
	v_fma_f64 v[109:110], -v[99:100], v[107:108], 1.0
	v_fma_f64 v[107:108], v[107:108], v[109:110], v[107:108]
	v_fma_f64 v[109:110], -v[99:100], v[107:108], 1.0
	v_fma_f64 v[107:108], v[107:108], v[109:110], v[107:108]
	v_mul_f64 v[109:110], v[111:112], v[107:108]
	v_fma_f64 v[99:100], -v[99:100], v[109:110], v[111:112]
	v_div_fmas_f64 v[99:100], v[99:100], v[107:108], v[109:110]
	v_div_fixup_f64 v[107:108], v[99:100], v[97:98], 1.0
                                        ; implicit-def: $vgpr97_vgpr98
	v_mul_f64 v[105:106], v[105:106], v[107:108]
	v_xor_b32_e32 v108, 0x80000000, v108
.LBB59_32:
	s_andn2_saveexec_b64 s[2:3], s[2:3]
	s_cbranch_execz .LBB59_34
; %bb.33:
	v_div_scale_f64 v[105:106], s[6:7], v[97:98], v[97:98], v[99:100]
	v_rcp_f64_e32 v[107:108], v[105:106]
	v_fma_f64 v[109:110], -v[105:106], v[107:108], 1.0
	v_fma_f64 v[107:108], v[107:108], v[109:110], v[107:108]
	v_div_scale_f64 v[109:110], vcc, v[99:100], v[97:98], v[99:100]
	v_fma_f64 v[111:112], -v[105:106], v[107:108], 1.0
	v_fma_f64 v[107:108], v[107:108], v[111:112], v[107:108]
	v_mul_f64 v[111:112], v[109:110], v[107:108]
	v_fma_f64 v[105:106], -v[105:106], v[111:112], v[109:110]
	v_div_fmas_f64 v[105:106], v[105:106], v[107:108], v[111:112]
	v_div_fixup_f64 v[107:108], v[105:106], v[97:98], v[99:100]
	v_fma_f64 v[97:98], v[99:100], v[107:108], v[97:98]
	v_div_scale_f64 v[99:100], s[6:7], v[97:98], v[97:98], 1.0
	v_div_scale_f64 v[111:112], vcc, 1.0, v[97:98], 1.0
	v_rcp_f64_e32 v[105:106], v[99:100]
	v_fma_f64 v[109:110], -v[99:100], v[105:106], 1.0
	v_fma_f64 v[105:106], v[105:106], v[109:110], v[105:106]
	v_fma_f64 v[109:110], -v[99:100], v[105:106], 1.0
	v_fma_f64 v[105:106], v[105:106], v[109:110], v[105:106]
	v_mul_f64 v[109:110], v[111:112], v[105:106]
	v_fma_f64 v[99:100], -v[99:100], v[109:110], v[111:112]
	v_div_fmas_f64 v[99:100], v[99:100], v[105:106], v[109:110]
	v_div_fixup_f64 v[105:106], v[99:100], v[97:98], 1.0
	v_mul_f64 v[107:108], v[107:108], -v[105:106]
.LBB59_34:
	s_or_b64 exec, exec, s[2:3]
	ds_write2_b64 v127, v[105:106], v[107:108] offset1:1
.LBB59_35:
	s_or_b64 exec, exec, s[4:5]
	s_waitcnt lgkmcnt(0)
	s_barrier
	ds_read2_b64 v[97:100], v127 offset1:1
	v_cmp_lt_u32_e32 vcc, 3, v0
	s_waitcnt lgkmcnt(0)
	buffer_store_dword v97, off, s[20:23], 0 offset:352 ; 4-byte Folded Spill
	s_nop 0
	buffer_store_dword v98, off, s[20:23], 0 offset:356 ; 4-byte Folded Spill
	buffer_store_dword v99, off, s[20:23], 0 offset:360 ; 4-byte Folded Spill
	buffer_store_dword v100, off, s[20:23], 0 offset:364 ; 4-byte Folded Spill
	s_and_saveexec_b64 s[2:3], vcc
	s_cbranch_execz .LBB59_37
; %bb.36:
	buffer_load_dword v109, off, s[20:23], 0 offset:16 ; 4-byte Folded Reload
	buffer_load_dword v110, off, s[20:23], 0 offset:20 ; 4-byte Folded Reload
	;; [unrolled: 1-line block ×8, first 2 shown]
	s_waitcnt vmcnt(2)
	v_mul_f64 v[99:100], v[105:106], v[111:112]
	s_waitcnt vmcnt(0)
	v_mul_f64 v[97:98], v[107:108], v[111:112]
	v_fma_f64 v[111:112], v[107:108], v[109:110], v[99:100]
	v_fma_f64 v[97:98], v[105:106], v[109:110], -v[97:98]
	ds_read2_b64 v[105:108], v125 offset0:8 offset1:9
	s_waitcnt lgkmcnt(0)
	v_mul_f64 v[99:100], v[107:108], v[111:112]
	v_fma_f64 v[99:100], v[105:106], v[97:98], -v[99:100]
	v_mul_f64 v[105:106], v[105:106], v[111:112]
	v_fma_f64 v[105:106], v[107:108], v[97:98], v[105:106]
	buffer_load_dword v107, off, s[20:23], 0 ; 4-byte Folded Reload
	buffer_load_dword v108, off, s[20:23], 0 offset:4 ; 4-byte Folded Reload
	buffer_load_dword v109, off, s[20:23], 0 offset:8 ; 4-byte Folded Reload
	;; [unrolled: 1-line block ×3, first 2 shown]
	s_waitcnt vmcnt(2)
	v_add_f64 v[107:108], v[107:108], -v[99:100]
	s_waitcnt vmcnt(0)
	v_add_f64 v[109:110], v[109:110], -v[105:106]
	buffer_store_dword v107, off, s[20:23], 0 ; 4-byte Folded Spill
	s_nop 0
	buffer_store_dword v108, off, s[20:23], 0 offset:4 ; 4-byte Folded Spill
	buffer_store_dword v109, off, s[20:23], 0 offset:8 ; 4-byte Folded Spill
	;; [unrolled: 1-line block ×3, first 2 shown]
	ds_read2_b64 v[105:108], v125 offset0:10 offset1:11
	v_mov_b32_e32 v110, v98
	v_mov_b32_e32 v109, v97
	s_waitcnt lgkmcnt(0)
	v_mul_f64 v[99:100], v[107:108], v[111:112]
	v_fma_f64 v[99:100], v[105:106], v[97:98], -v[99:100]
	v_mul_f64 v[105:106], v[105:106], v[111:112]
	v_add_f64 v[87:88], v[87:88], -v[99:100]
	v_fma_f64 v[105:106], v[107:108], v[97:98], v[105:106]
	v_add_f64 v[89:90], v[89:90], -v[105:106]
	ds_read2_b64 v[105:108], v125 offset0:12 offset1:13
	s_waitcnt lgkmcnt(0)
	v_mul_f64 v[99:100], v[107:108], v[111:112]
	v_fma_f64 v[99:100], v[105:106], v[97:98], -v[99:100]
	v_mul_f64 v[105:106], v[105:106], v[111:112]
	v_add_f64 v[117:118], v[117:118], -v[99:100]
	v_fma_f64 v[105:106], v[107:108], v[97:98], v[105:106]
	v_add_f64 v[119:120], v[119:120], -v[105:106]
	ds_read2_b64 v[105:108], v125 offset0:14 offset1:15
	;; [unrolled: 8-line block ×24, first 2 shown]
	s_waitcnt lgkmcnt(0)
	v_mul_f64 v[99:100], v[107:108], v[111:112]
	v_fma_f64 v[99:100], v[105:106], v[97:98], -v[99:100]
	v_mul_f64 v[105:106], v[105:106], v[111:112]
	buffer_store_dword v109, off, s[20:23], 0 offset:16 ; 4-byte Folded Spill
	s_nop 0
	buffer_store_dword v110, off, s[20:23], 0 offset:20 ; 4-byte Folded Spill
	buffer_store_dword v111, off, s[20:23], 0 offset:24 ; 4-byte Folded Spill
	;; [unrolled: 1-line block ×3, first 2 shown]
	v_add_f64 v[101:102], v[101:102], -v[99:100]
	v_fma_f64 v[105:106], v[107:108], v[97:98], v[105:106]
	v_add_f64 v[103:104], v[103:104], -v[105:106]
.LBB59_37:
	s_or_b64 exec, exec, s[2:3]
	v_cmp_eq_u32_e32 vcc, 4, v0
	s_waitcnt vmcnt(0)
	s_barrier
	s_and_saveexec_b64 s[4:5], vcc
	s_cbranch_execz .LBB59_44
; %bb.38:
	buffer_load_dword v97, off, s[20:23], 0 ; 4-byte Folded Reload
	buffer_load_dword v98, off, s[20:23], 0 offset:4 ; 4-byte Folded Reload
	buffer_load_dword v99, off, s[20:23], 0 offset:8 ; 4-byte Folded Reload
	;; [unrolled: 1-line block ×3, first 2 shown]
	s_waitcnt vmcnt(0)
	ds_write2_b64 v127, v[97:98], v[99:100] offset1:1
	ds_write2_b64 v125, v[87:88], v[89:90] offset0:10 offset1:11
	ds_write2_b64 v125, v[117:118], v[119:120] offset0:12 offset1:13
	;; [unrolled: 1-line block ×25, first 2 shown]
	ds_read2_b64 v[97:100], v127 offset1:1
	s_waitcnt lgkmcnt(0)
	v_cmp_neq_f64_e32 vcc, 0, v[97:98]
	v_cmp_neq_f64_e64 s[2:3], 0, v[99:100]
	s_or_b64 s[2:3], vcc, s[2:3]
	s_and_b64 exec, exec, s[2:3]
	s_cbranch_execz .LBB59_44
; %bb.39:
	v_cmp_ngt_f64_e64 s[2:3], |v[97:98]|, |v[99:100]|
                                        ; implicit-def: $vgpr105_vgpr106
	s_and_saveexec_b64 s[6:7], s[2:3]
	s_xor_b64 s[2:3], exec, s[6:7]
                                        ; implicit-def: $vgpr107_vgpr108
	s_cbranch_execz .LBB59_41
; %bb.40:
	v_div_scale_f64 v[105:106], s[6:7], v[99:100], v[99:100], v[97:98]
	v_rcp_f64_e32 v[107:108], v[105:106]
	v_fma_f64 v[109:110], -v[105:106], v[107:108], 1.0
	v_fma_f64 v[107:108], v[107:108], v[109:110], v[107:108]
	v_div_scale_f64 v[109:110], vcc, v[97:98], v[99:100], v[97:98]
	v_fma_f64 v[111:112], -v[105:106], v[107:108], 1.0
	v_fma_f64 v[107:108], v[107:108], v[111:112], v[107:108]
	v_mul_f64 v[111:112], v[109:110], v[107:108]
	v_fma_f64 v[105:106], -v[105:106], v[111:112], v[109:110]
	v_div_fmas_f64 v[105:106], v[105:106], v[107:108], v[111:112]
	v_div_fixup_f64 v[105:106], v[105:106], v[99:100], v[97:98]
	v_fma_f64 v[97:98], v[97:98], v[105:106], v[99:100]
	v_div_scale_f64 v[99:100], s[6:7], v[97:98], v[97:98], 1.0
	v_div_scale_f64 v[111:112], vcc, 1.0, v[97:98], 1.0
	v_rcp_f64_e32 v[107:108], v[99:100]
	v_fma_f64 v[109:110], -v[99:100], v[107:108], 1.0
	v_fma_f64 v[107:108], v[107:108], v[109:110], v[107:108]
	v_fma_f64 v[109:110], -v[99:100], v[107:108], 1.0
	v_fma_f64 v[107:108], v[107:108], v[109:110], v[107:108]
	v_mul_f64 v[109:110], v[111:112], v[107:108]
	v_fma_f64 v[99:100], -v[99:100], v[109:110], v[111:112]
	v_div_fmas_f64 v[99:100], v[99:100], v[107:108], v[109:110]
	v_div_fixup_f64 v[107:108], v[99:100], v[97:98], 1.0
                                        ; implicit-def: $vgpr97_vgpr98
	v_mul_f64 v[105:106], v[105:106], v[107:108]
	v_xor_b32_e32 v108, 0x80000000, v108
.LBB59_41:
	s_andn2_saveexec_b64 s[2:3], s[2:3]
	s_cbranch_execz .LBB59_43
; %bb.42:
	v_div_scale_f64 v[105:106], s[6:7], v[97:98], v[97:98], v[99:100]
	v_rcp_f64_e32 v[107:108], v[105:106]
	v_fma_f64 v[109:110], -v[105:106], v[107:108], 1.0
	v_fma_f64 v[107:108], v[107:108], v[109:110], v[107:108]
	v_div_scale_f64 v[109:110], vcc, v[99:100], v[97:98], v[99:100]
	v_fma_f64 v[111:112], -v[105:106], v[107:108], 1.0
	v_fma_f64 v[107:108], v[107:108], v[111:112], v[107:108]
	v_mul_f64 v[111:112], v[109:110], v[107:108]
	v_fma_f64 v[105:106], -v[105:106], v[111:112], v[109:110]
	v_div_fmas_f64 v[105:106], v[105:106], v[107:108], v[111:112]
	v_div_fixup_f64 v[107:108], v[105:106], v[97:98], v[99:100]
	v_fma_f64 v[97:98], v[99:100], v[107:108], v[97:98]
	v_div_scale_f64 v[99:100], s[6:7], v[97:98], v[97:98], 1.0
	v_div_scale_f64 v[111:112], vcc, 1.0, v[97:98], 1.0
	v_rcp_f64_e32 v[105:106], v[99:100]
	v_fma_f64 v[109:110], -v[99:100], v[105:106], 1.0
	v_fma_f64 v[105:106], v[105:106], v[109:110], v[105:106]
	v_fma_f64 v[109:110], -v[99:100], v[105:106], 1.0
	v_fma_f64 v[105:106], v[105:106], v[109:110], v[105:106]
	v_mul_f64 v[109:110], v[111:112], v[105:106]
	v_fma_f64 v[99:100], -v[99:100], v[109:110], v[111:112]
	v_div_fmas_f64 v[99:100], v[99:100], v[105:106], v[109:110]
	v_div_fixup_f64 v[105:106], v[99:100], v[97:98], 1.0
	v_mul_f64 v[107:108], v[107:108], -v[105:106]
.LBB59_43:
	s_or_b64 exec, exec, s[2:3]
	ds_write2_b64 v127, v[105:106], v[107:108] offset1:1
.LBB59_44:
	s_or_b64 exec, exec, s[4:5]
	s_waitcnt lgkmcnt(0)
	s_barrier
	ds_read2_b64 v[97:100], v127 offset1:1
	v_cmp_lt_u32_e32 vcc, 4, v0
	s_waitcnt lgkmcnt(0)
	buffer_store_dword v97, off, s[20:23], 0 offset:368 ; 4-byte Folded Spill
	s_nop 0
	buffer_store_dword v98, off, s[20:23], 0 offset:372 ; 4-byte Folded Spill
	buffer_store_dword v99, off, s[20:23], 0 offset:376 ; 4-byte Folded Spill
	;; [unrolled: 1-line block ×3, first 2 shown]
	s_and_saveexec_b64 s[2:3], vcc
	s_cbranch_execz .LBB59_46
; %bb.45:
	buffer_load_dword v107, off, s[20:23], 0 ; 4-byte Folded Reload
	buffer_load_dword v108, off, s[20:23], 0 offset:4 ; 4-byte Folded Reload
	buffer_load_dword v109, off, s[20:23], 0 offset:8 ; 4-byte Folded Reload
	;; [unrolled: 1-line block ×7, first 2 shown]
	s_waitcnt vmcnt(2)
	v_mul_f64 v[99:100], v[121:122], v[109:110]
	s_waitcnt vmcnt(0)
	v_mul_f64 v[97:98], v[123:124], v[109:110]
	v_fma_f64 v[109:110], v[123:124], v[107:108], v[99:100]
	v_fma_f64 v[97:98], v[121:122], v[107:108], -v[97:98]
	ds_read2_b64 v[105:108], v125 offset0:10 offset1:11
	s_waitcnt lgkmcnt(0)
	v_mul_f64 v[99:100], v[107:108], v[109:110]
	v_fma_f64 v[99:100], v[105:106], v[97:98], -v[99:100]
	v_mul_f64 v[105:106], v[105:106], v[109:110]
	v_add_f64 v[87:88], v[87:88], -v[99:100]
	v_fma_f64 v[105:106], v[107:108], v[97:98], v[105:106]
	v_add_f64 v[89:90], v[89:90], -v[105:106]
	ds_read2_b64 v[105:108], v125 offset0:12 offset1:13
	s_waitcnt lgkmcnt(0)
	v_mul_f64 v[99:100], v[107:108], v[109:110]
	v_fma_f64 v[99:100], v[105:106], v[97:98], -v[99:100]
	v_mul_f64 v[105:106], v[105:106], v[109:110]
	v_add_f64 v[117:118], v[117:118], -v[99:100]
	v_fma_f64 v[105:106], v[107:108], v[97:98], v[105:106]
	v_add_f64 v[119:120], v[119:120], -v[105:106]
	;; [unrolled: 8-line block ×24, first 2 shown]
	ds_read2_b64 v[105:108], v125 offset0:58 offset1:59
	s_waitcnt lgkmcnt(0)
	v_mul_f64 v[99:100], v[107:108], v[109:110]
	v_fma_f64 v[99:100], v[105:106], v[97:98], -v[99:100]
	v_mul_f64 v[105:106], v[105:106], v[109:110]
	v_add_f64 v[101:102], v[101:102], -v[99:100]
	v_fma_f64 v[105:106], v[107:108], v[97:98], v[105:106]
	v_mov_b32_e32 v108, v98
	v_mov_b32_e32 v107, v97
	buffer_store_dword v107, off, s[20:23], 0 ; 4-byte Folded Spill
	s_nop 0
	buffer_store_dword v108, off, s[20:23], 0 offset:4 ; 4-byte Folded Spill
	buffer_store_dword v109, off, s[20:23], 0 offset:8 ; 4-byte Folded Spill
	;; [unrolled: 1-line block ×3, first 2 shown]
	v_add_f64 v[103:104], v[103:104], -v[105:106]
.LBB59_46:
	s_or_b64 exec, exec, s[2:3]
	v_cmp_eq_u32_e32 vcc, 5, v0
	s_waitcnt vmcnt(0)
	s_barrier
	s_and_saveexec_b64 s[4:5], vcc
	s_cbranch_execz .LBB59_53
; %bb.47:
	ds_write2_b64 v127, v[87:88], v[89:90] offset1:1
	ds_write2_b64 v125, v[117:118], v[119:120] offset0:12 offset1:13
	ds_write2_b64 v125, v[93:94], v[95:96] offset0:14 offset1:15
	;; [unrolled: 1-line block ×24, first 2 shown]
	ds_read2_b64 v[97:100], v127 offset1:1
	s_waitcnt lgkmcnt(0)
	v_cmp_neq_f64_e32 vcc, 0, v[97:98]
	v_cmp_neq_f64_e64 s[2:3], 0, v[99:100]
	s_or_b64 s[2:3], vcc, s[2:3]
	s_and_b64 exec, exec, s[2:3]
	s_cbranch_execz .LBB59_53
; %bb.48:
	v_cmp_ngt_f64_e64 s[2:3], |v[97:98]|, |v[99:100]|
                                        ; implicit-def: $vgpr105_vgpr106
	s_and_saveexec_b64 s[6:7], s[2:3]
	s_xor_b64 s[2:3], exec, s[6:7]
                                        ; implicit-def: $vgpr107_vgpr108
	s_cbranch_execz .LBB59_50
; %bb.49:
	v_div_scale_f64 v[105:106], s[6:7], v[99:100], v[99:100], v[97:98]
	v_rcp_f64_e32 v[107:108], v[105:106]
	v_fma_f64 v[109:110], -v[105:106], v[107:108], 1.0
	v_fma_f64 v[107:108], v[107:108], v[109:110], v[107:108]
	v_div_scale_f64 v[109:110], vcc, v[97:98], v[99:100], v[97:98]
	v_fma_f64 v[111:112], -v[105:106], v[107:108], 1.0
	v_fma_f64 v[107:108], v[107:108], v[111:112], v[107:108]
	v_mul_f64 v[111:112], v[109:110], v[107:108]
	v_fma_f64 v[105:106], -v[105:106], v[111:112], v[109:110]
	v_div_fmas_f64 v[105:106], v[105:106], v[107:108], v[111:112]
	v_div_fixup_f64 v[105:106], v[105:106], v[99:100], v[97:98]
	v_fma_f64 v[97:98], v[97:98], v[105:106], v[99:100]
	v_div_scale_f64 v[99:100], s[6:7], v[97:98], v[97:98], 1.0
	v_div_scale_f64 v[111:112], vcc, 1.0, v[97:98], 1.0
	v_rcp_f64_e32 v[107:108], v[99:100]
	v_fma_f64 v[109:110], -v[99:100], v[107:108], 1.0
	v_fma_f64 v[107:108], v[107:108], v[109:110], v[107:108]
	v_fma_f64 v[109:110], -v[99:100], v[107:108], 1.0
	v_fma_f64 v[107:108], v[107:108], v[109:110], v[107:108]
	v_mul_f64 v[109:110], v[111:112], v[107:108]
	v_fma_f64 v[99:100], -v[99:100], v[109:110], v[111:112]
	v_div_fmas_f64 v[99:100], v[99:100], v[107:108], v[109:110]
	v_div_fixup_f64 v[107:108], v[99:100], v[97:98], 1.0
                                        ; implicit-def: $vgpr97_vgpr98
	v_mul_f64 v[105:106], v[105:106], v[107:108]
	v_xor_b32_e32 v108, 0x80000000, v108
.LBB59_50:
	s_andn2_saveexec_b64 s[2:3], s[2:3]
	s_cbranch_execz .LBB59_52
; %bb.51:
	v_div_scale_f64 v[105:106], s[6:7], v[97:98], v[97:98], v[99:100]
	v_rcp_f64_e32 v[107:108], v[105:106]
	v_fma_f64 v[109:110], -v[105:106], v[107:108], 1.0
	v_fma_f64 v[107:108], v[107:108], v[109:110], v[107:108]
	v_div_scale_f64 v[109:110], vcc, v[99:100], v[97:98], v[99:100]
	v_fma_f64 v[111:112], -v[105:106], v[107:108], 1.0
	v_fma_f64 v[107:108], v[107:108], v[111:112], v[107:108]
	v_mul_f64 v[111:112], v[109:110], v[107:108]
	v_fma_f64 v[105:106], -v[105:106], v[111:112], v[109:110]
	v_div_fmas_f64 v[105:106], v[105:106], v[107:108], v[111:112]
	v_div_fixup_f64 v[107:108], v[105:106], v[97:98], v[99:100]
	v_fma_f64 v[97:98], v[99:100], v[107:108], v[97:98]
	v_div_scale_f64 v[99:100], s[6:7], v[97:98], v[97:98], 1.0
	v_div_scale_f64 v[111:112], vcc, 1.0, v[97:98], 1.0
	v_rcp_f64_e32 v[105:106], v[99:100]
	v_fma_f64 v[109:110], -v[99:100], v[105:106], 1.0
	v_fma_f64 v[105:106], v[105:106], v[109:110], v[105:106]
	v_fma_f64 v[109:110], -v[99:100], v[105:106], 1.0
	v_fma_f64 v[105:106], v[105:106], v[109:110], v[105:106]
	v_mul_f64 v[109:110], v[111:112], v[105:106]
	v_fma_f64 v[99:100], -v[99:100], v[109:110], v[111:112]
	v_div_fmas_f64 v[99:100], v[99:100], v[105:106], v[109:110]
	v_div_fixup_f64 v[105:106], v[99:100], v[97:98], 1.0
	v_mul_f64 v[107:108], v[107:108], -v[105:106]
.LBB59_52:
	s_or_b64 exec, exec, s[2:3]
	ds_write2_b64 v127, v[105:106], v[107:108] offset1:1
.LBB59_53:
	s_or_b64 exec, exec, s[4:5]
	s_waitcnt lgkmcnt(0)
	s_barrier
	ds_read2_b64 v[97:100], v127 offset1:1
	v_cmp_lt_u32_e32 vcc, 5, v0
	s_waitcnt lgkmcnt(0)
	buffer_store_dword v97, off, s[20:23], 0 offset:384 ; 4-byte Folded Spill
	s_nop 0
	buffer_store_dword v98, off, s[20:23], 0 offset:388 ; 4-byte Folded Spill
	buffer_store_dword v99, off, s[20:23], 0 offset:392 ; 4-byte Folded Spill
	;; [unrolled: 1-line block ×3, first 2 shown]
	s_and_saveexec_b64 s[2:3], vcc
	s_cbranch_execz .LBB59_55
; %bb.54:
	buffer_load_dword v121, off, s[20:23], 0 offset:384 ; 4-byte Folded Reload
	buffer_load_dword v122, off, s[20:23], 0 offset:388 ; 4-byte Folded Reload
	;; [unrolled: 1-line block ×4, first 2 shown]
	v_mov_b32_e32 v110, v90
	v_mov_b32_e32 v109, v89
	;; [unrolled: 1-line block ×4, first 2 shown]
	s_waitcnt vmcnt(0)
	v_mul_f64 v[97:98], v[123:124], v[89:90]
	v_fma_f64 v[97:98], v[121:122], v[87:88], -v[97:98]
	v_mov_b32_e32 v87, v93
	v_mov_b32_e32 v88, v94
	;; [unrolled: 1-line block ×4, first 2 shown]
	v_mul_f64 v[95:96], v[121:122], v[109:110]
	v_fma_f64 v[109:110], v[123:124], v[107:108], v[95:96]
	ds_read2_b64 v[105:108], v125 offset0:12 offset1:13
	s_waitcnt lgkmcnt(0)
	v_mul_f64 v[93:94], v[107:108], v[109:110]
	v_mul_f64 v[99:100], v[105:106], v[109:110]
	v_fma_f64 v[93:94], v[105:106], v[97:98], -v[93:94]
	v_fma_f64 v[99:100], v[107:108], v[97:98], v[99:100]
	ds_read2_b64 v[105:108], v125 offset0:14 offset1:15
	v_add_f64 v[117:118], v[117:118], -v[93:94]
	v_add_f64 v[119:120], v[119:120], -v[99:100]
	s_waitcnt lgkmcnt(0)
	v_mul_f64 v[93:94], v[107:108], v[109:110]
	v_mul_f64 v[99:100], v[105:106], v[109:110]
	v_fma_f64 v[93:94], v[105:106], v[97:98], -v[93:94]
	v_fma_f64 v[99:100], v[107:108], v[97:98], v[99:100]
	ds_read2_b64 v[105:108], v125 offset0:16 offset1:17
	v_add_f64 v[87:88], v[87:88], -v[93:94]
	v_add_f64 v[89:90], v[89:90], -v[99:100]
	;; [unrolled: 8-line block ×23, first 2 shown]
	s_waitcnt lgkmcnt(0)
	v_mul_f64 v[93:94], v[107:108], v[109:110]
	v_mul_f64 v[99:100], v[105:106], v[109:110]
	v_fma_f64 v[93:94], v[105:106], v[97:98], -v[93:94]
	v_fma_f64 v[99:100], v[107:108], v[97:98], v[99:100]
	v_add_f64 v[101:102], v[101:102], -v[93:94]
	v_add_f64 v[103:104], v[103:104], -v[99:100]
	v_mov_b32_e32 v96, v90
	v_mov_b32_e32 v95, v89
	;; [unrolled: 1-line block ×8, first 2 shown]
.LBB59_55:
	s_or_b64 exec, exec, s[2:3]
	v_cmp_eq_u32_e32 vcc, 6, v0
	s_waitcnt vmcnt(0)
	s_barrier
	s_and_saveexec_b64 s[4:5], vcc
	s_cbranch_execz .LBB59_62
; %bb.56:
	ds_write2_b64 v127, v[117:118], v[119:120] offset1:1
	ds_write2_b64 v125, v[93:94], v[95:96] offset0:14 offset1:15
	ds_write2_b64 v125, v[81:82], v[83:84] offset0:16 offset1:17
	;; [unrolled: 1-line block ×23, first 2 shown]
	ds_read2_b64 v[97:100], v127 offset1:1
	s_waitcnt lgkmcnt(0)
	v_cmp_neq_f64_e32 vcc, 0, v[97:98]
	v_cmp_neq_f64_e64 s[2:3], 0, v[99:100]
	s_or_b64 s[2:3], vcc, s[2:3]
	s_and_b64 exec, exec, s[2:3]
	s_cbranch_execz .LBB59_62
; %bb.57:
	v_cmp_ngt_f64_e64 s[2:3], |v[97:98]|, |v[99:100]|
                                        ; implicit-def: $vgpr105_vgpr106
	s_and_saveexec_b64 s[6:7], s[2:3]
	s_xor_b64 s[2:3], exec, s[6:7]
                                        ; implicit-def: $vgpr107_vgpr108
	s_cbranch_execz .LBB59_59
; %bb.58:
	v_div_scale_f64 v[105:106], s[6:7], v[99:100], v[99:100], v[97:98]
	v_rcp_f64_e32 v[107:108], v[105:106]
	v_fma_f64 v[109:110], -v[105:106], v[107:108], 1.0
	v_fma_f64 v[107:108], v[107:108], v[109:110], v[107:108]
	v_div_scale_f64 v[109:110], vcc, v[97:98], v[99:100], v[97:98]
	v_fma_f64 v[111:112], -v[105:106], v[107:108], 1.0
	v_fma_f64 v[107:108], v[107:108], v[111:112], v[107:108]
	v_mul_f64 v[111:112], v[109:110], v[107:108]
	v_fma_f64 v[105:106], -v[105:106], v[111:112], v[109:110]
	v_div_fmas_f64 v[105:106], v[105:106], v[107:108], v[111:112]
	v_div_fixup_f64 v[105:106], v[105:106], v[99:100], v[97:98]
	v_fma_f64 v[97:98], v[97:98], v[105:106], v[99:100]
	v_div_scale_f64 v[99:100], s[6:7], v[97:98], v[97:98], 1.0
	v_div_scale_f64 v[111:112], vcc, 1.0, v[97:98], 1.0
	v_rcp_f64_e32 v[107:108], v[99:100]
	v_fma_f64 v[109:110], -v[99:100], v[107:108], 1.0
	v_fma_f64 v[107:108], v[107:108], v[109:110], v[107:108]
	v_fma_f64 v[109:110], -v[99:100], v[107:108], 1.0
	v_fma_f64 v[107:108], v[107:108], v[109:110], v[107:108]
	v_mul_f64 v[109:110], v[111:112], v[107:108]
	v_fma_f64 v[99:100], -v[99:100], v[109:110], v[111:112]
	v_div_fmas_f64 v[99:100], v[99:100], v[107:108], v[109:110]
	v_div_fixup_f64 v[107:108], v[99:100], v[97:98], 1.0
                                        ; implicit-def: $vgpr97_vgpr98
	v_mul_f64 v[105:106], v[105:106], v[107:108]
	v_xor_b32_e32 v108, 0x80000000, v108
.LBB59_59:
	s_andn2_saveexec_b64 s[2:3], s[2:3]
	s_cbranch_execz .LBB59_61
; %bb.60:
	v_div_scale_f64 v[105:106], s[6:7], v[97:98], v[97:98], v[99:100]
	v_rcp_f64_e32 v[107:108], v[105:106]
	v_fma_f64 v[109:110], -v[105:106], v[107:108], 1.0
	v_fma_f64 v[107:108], v[107:108], v[109:110], v[107:108]
	v_div_scale_f64 v[109:110], vcc, v[99:100], v[97:98], v[99:100]
	v_fma_f64 v[111:112], -v[105:106], v[107:108], 1.0
	v_fma_f64 v[107:108], v[107:108], v[111:112], v[107:108]
	v_mul_f64 v[111:112], v[109:110], v[107:108]
	v_fma_f64 v[105:106], -v[105:106], v[111:112], v[109:110]
	v_div_fmas_f64 v[105:106], v[105:106], v[107:108], v[111:112]
	v_div_fixup_f64 v[107:108], v[105:106], v[97:98], v[99:100]
	v_fma_f64 v[97:98], v[99:100], v[107:108], v[97:98]
	v_div_scale_f64 v[99:100], s[6:7], v[97:98], v[97:98], 1.0
	v_div_scale_f64 v[111:112], vcc, 1.0, v[97:98], 1.0
	v_rcp_f64_e32 v[105:106], v[99:100]
	v_fma_f64 v[109:110], -v[99:100], v[105:106], 1.0
	v_fma_f64 v[105:106], v[105:106], v[109:110], v[105:106]
	v_fma_f64 v[109:110], -v[99:100], v[105:106], 1.0
	v_fma_f64 v[105:106], v[105:106], v[109:110], v[105:106]
	v_mul_f64 v[109:110], v[111:112], v[105:106]
	v_fma_f64 v[99:100], -v[99:100], v[109:110], v[111:112]
	v_div_fmas_f64 v[99:100], v[99:100], v[105:106], v[109:110]
	v_div_fixup_f64 v[105:106], v[99:100], v[97:98], 1.0
	v_mul_f64 v[107:108], v[107:108], -v[105:106]
.LBB59_61:
	s_or_b64 exec, exec, s[2:3]
	ds_write2_b64 v127, v[105:106], v[107:108] offset1:1
.LBB59_62:
	s_or_b64 exec, exec, s[4:5]
	s_waitcnt lgkmcnt(0)
	s_barrier
	ds_read2_b64 v[97:100], v127 offset1:1
	v_cmp_lt_u32_e32 vcc, 6, v0
	s_waitcnt lgkmcnt(0)
	buffer_store_dword v97, off, s[20:23], 0 offset:400 ; 4-byte Folded Spill
	s_nop 0
	buffer_store_dword v98, off, s[20:23], 0 offset:404 ; 4-byte Folded Spill
	buffer_store_dword v99, off, s[20:23], 0 offset:408 ; 4-byte Folded Spill
	;; [unrolled: 1-line block ×3, first 2 shown]
	s_mov_b64 s[2:3], exec
	s_and_b64 s[4:5], s[2:3], vcc
	buffer_store_dword v87, off, s[20:23], 0 offset:288 ; 4-byte Folded Spill
	s_nop 0
	buffer_store_dword v88, off, s[20:23], 0 offset:292 ; 4-byte Folded Spill
	buffer_store_dword v89, off, s[20:23], 0 offset:296 ; 4-byte Folded Spill
	;; [unrolled: 1-line block ×3, first 2 shown]
	s_mov_b64 exec, s[4:5]
	s_cbranch_execz .LBB59_64
; %bb.63:
	buffer_load_dword v105, off, s[20:23], 0 offset:400 ; 4-byte Folded Reload
	buffer_load_dword v106, off, s[20:23], 0 offset:404 ; 4-byte Folded Reload
	;; [unrolled: 1-line block ×4, first 2 shown]
	v_mov_b32_e32 v89, v91
	v_mov_b32_e32 v90, v92
	s_waitcnt vmcnt(2)
	v_mul_f64 v[91:92], v[105:106], v[119:120]
	s_waitcnt vmcnt(0)
	v_mul_f64 v[97:98], v[107:108], v[119:120]
	v_fma_f64 v[119:120], v[107:108], v[117:118], v[91:92]
	v_mov_b32_e32 v92, v90
	v_fma_f64 v[97:98], v[105:106], v[117:118], -v[97:98]
	ds_read2_b64 v[105:108], v125 offset0:14 offset1:15
	v_mov_b32_e32 v91, v89
	s_waitcnt lgkmcnt(0)
	v_mul_f64 v[89:90], v[107:108], v[119:120]
	v_mul_f64 v[99:100], v[105:106], v[119:120]
	v_mov_b32_e32 v118, v98
	v_mov_b32_e32 v117, v97
	v_fma_f64 v[89:90], v[105:106], v[97:98], -v[89:90]
	v_fma_f64 v[99:100], v[107:108], v[97:98], v[99:100]
	ds_read2_b64 v[105:108], v125 offset0:16 offset1:17
	v_add_f64 v[93:94], v[93:94], -v[89:90]
	v_add_f64 v[95:96], v[95:96], -v[99:100]
	s_waitcnt lgkmcnt(0)
	v_mul_f64 v[89:90], v[107:108], v[119:120]
	v_mul_f64 v[99:100], v[105:106], v[119:120]
	v_fma_f64 v[89:90], v[105:106], v[97:98], -v[89:90]
	v_fma_f64 v[99:100], v[107:108], v[97:98], v[99:100]
	ds_read2_b64 v[105:108], v125 offset0:18 offset1:19
	v_add_f64 v[81:82], v[81:82], -v[89:90]
	v_add_f64 v[83:84], v[83:84], -v[99:100]
	s_waitcnt lgkmcnt(0)
	v_mul_f64 v[89:90], v[107:108], v[119:120]
	v_mul_f64 v[99:100], v[105:106], v[119:120]
	v_fma_f64 v[89:90], v[105:106], v[97:98], -v[89:90]
	v_fma_f64 v[99:100], v[107:108], v[97:98], v[99:100]
	ds_read2_b64 v[105:108], v125 offset0:20 offset1:21
	v_add_f64 v[77:78], v[77:78], -v[89:90]
	v_add_f64 v[79:80], v[79:80], -v[99:100]
	s_waitcnt lgkmcnt(0)
	v_mul_f64 v[89:90], v[107:108], v[119:120]
	v_mul_f64 v[99:100], v[105:106], v[119:120]
	v_fma_f64 v[89:90], v[105:106], v[97:98], -v[89:90]
	v_fma_f64 v[99:100], v[107:108], v[97:98], v[99:100]
	ds_read2_b64 v[105:108], v125 offset0:22 offset1:23
	v_add_f64 v[73:74], v[73:74], -v[89:90]
	v_add_f64 v[75:76], v[75:76], -v[99:100]
	s_waitcnt lgkmcnt(0)
	v_mul_f64 v[89:90], v[107:108], v[119:120]
	v_mul_f64 v[99:100], v[105:106], v[119:120]
	v_fma_f64 v[89:90], v[105:106], v[97:98], -v[89:90]
	v_fma_f64 v[99:100], v[107:108], v[97:98], v[99:100]
	ds_read2_b64 v[105:108], v125 offset0:24 offset1:25
	v_add_f64 v[69:70], v[69:70], -v[89:90]
	v_add_f64 v[71:72], v[71:72], -v[99:100]
	s_waitcnt lgkmcnt(0)
	v_mul_f64 v[89:90], v[107:108], v[119:120]
	v_mul_f64 v[99:100], v[105:106], v[119:120]
	v_fma_f64 v[89:90], v[105:106], v[97:98], -v[89:90]
	v_fma_f64 v[99:100], v[107:108], v[97:98], v[99:100]
	ds_read2_b64 v[105:108], v125 offset0:26 offset1:27
	v_add_f64 v[65:66], v[65:66], -v[89:90]
	v_add_f64 v[67:68], v[67:68], -v[99:100]
	s_waitcnt lgkmcnt(0)
	v_mul_f64 v[89:90], v[107:108], v[119:120]
	v_mul_f64 v[99:100], v[105:106], v[119:120]
	v_fma_f64 v[89:90], v[105:106], v[97:98], -v[89:90]
	v_fma_f64 v[99:100], v[107:108], v[97:98], v[99:100]
	ds_read2_b64 v[105:108], v125 offset0:28 offset1:29
	v_add_f64 v[61:62], v[61:62], -v[89:90]
	v_add_f64 v[63:64], v[63:64], -v[99:100]
	s_waitcnt lgkmcnt(0)
	v_mul_f64 v[89:90], v[107:108], v[119:120]
	v_mul_f64 v[99:100], v[105:106], v[119:120]
	v_fma_f64 v[89:90], v[105:106], v[97:98], -v[89:90]
	v_fma_f64 v[99:100], v[107:108], v[97:98], v[99:100]
	ds_read2_b64 v[105:108], v125 offset0:30 offset1:31
	v_add_f64 v[57:58], v[57:58], -v[89:90]
	v_add_f64 v[59:60], v[59:60], -v[99:100]
	s_waitcnt lgkmcnt(0)
	v_mul_f64 v[89:90], v[107:108], v[119:120]
	v_mul_f64 v[99:100], v[105:106], v[119:120]
	v_fma_f64 v[89:90], v[105:106], v[97:98], -v[89:90]
	v_fma_f64 v[99:100], v[107:108], v[97:98], v[99:100]
	ds_read2_b64 v[105:108], v125 offset0:32 offset1:33
	v_add_f64 v[53:54], v[53:54], -v[89:90]
	v_add_f64 v[55:56], v[55:56], -v[99:100]
	s_waitcnt lgkmcnt(0)
	v_mul_f64 v[89:90], v[107:108], v[119:120]
	v_mul_f64 v[99:100], v[105:106], v[119:120]
	v_fma_f64 v[89:90], v[105:106], v[97:98], -v[89:90]
	v_fma_f64 v[99:100], v[107:108], v[97:98], v[99:100]
	ds_read2_b64 v[105:108], v125 offset0:34 offset1:35
	v_add_f64 v[49:50], v[49:50], -v[89:90]
	v_add_f64 v[51:52], v[51:52], -v[99:100]
	s_waitcnt lgkmcnt(0)
	v_mul_f64 v[89:90], v[107:108], v[119:120]
	v_mul_f64 v[99:100], v[105:106], v[119:120]
	v_fma_f64 v[89:90], v[105:106], v[97:98], -v[89:90]
	v_fma_f64 v[99:100], v[107:108], v[97:98], v[99:100]
	ds_read2_b64 v[105:108], v125 offset0:36 offset1:37
	v_add_f64 v[45:46], v[45:46], -v[89:90]
	v_add_f64 v[47:48], v[47:48], -v[99:100]
	s_waitcnt lgkmcnt(0)
	v_mul_f64 v[89:90], v[107:108], v[119:120]
	v_mul_f64 v[99:100], v[105:106], v[119:120]
	v_fma_f64 v[89:90], v[105:106], v[97:98], -v[89:90]
	v_fma_f64 v[99:100], v[107:108], v[97:98], v[99:100]
	ds_read2_b64 v[105:108], v125 offset0:38 offset1:39
	v_add_f64 v[41:42], v[41:42], -v[89:90]
	v_add_f64 v[43:44], v[43:44], -v[99:100]
	s_waitcnt lgkmcnt(0)
	v_mul_f64 v[89:90], v[107:108], v[119:120]
	v_mul_f64 v[99:100], v[105:106], v[119:120]
	v_fma_f64 v[89:90], v[105:106], v[97:98], -v[89:90]
	v_fma_f64 v[99:100], v[107:108], v[97:98], v[99:100]
	ds_read2_b64 v[105:108], v125 offset0:40 offset1:41
	v_add_f64 v[37:38], v[37:38], -v[89:90]
	v_add_f64 v[39:40], v[39:40], -v[99:100]
	s_waitcnt lgkmcnt(0)
	v_mul_f64 v[89:90], v[107:108], v[119:120]
	v_mul_f64 v[99:100], v[105:106], v[119:120]
	v_fma_f64 v[89:90], v[105:106], v[97:98], -v[89:90]
	v_fma_f64 v[99:100], v[107:108], v[97:98], v[99:100]
	ds_read2_b64 v[105:108], v125 offset0:42 offset1:43
	v_add_f64 v[33:34], v[33:34], -v[89:90]
	v_add_f64 v[35:36], v[35:36], -v[99:100]
	s_waitcnt lgkmcnt(0)
	v_mul_f64 v[89:90], v[107:108], v[119:120]
	v_mul_f64 v[99:100], v[105:106], v[119:120]
	v_fma_f64 v[89:90], v[105:106], v[97:98], -v[89:90]
	v_fma_f64 v[99:100], v[107:108], v[97:98], v[99:100]
	ds_read2_b64 v[105:108], v125 offset0:44 offset1:45
	v_add_f64 v[29:30], v[29:30], -v[89:90]
	v_add_f64 v[31:32], v[31:32], -v[99:100]
	s_waitcnt lgkmcnt(0)
	v_mul_f64 v[89:90], v[107:108], v[119:120]
	v_mul_f64 v[99:100], v[105:106], v[119:120]
	v_fma_f64 v[89:90], v[105:106], v[97:98], -v[89:90]
	v_fma_f64 v[99:100], v[107:108], v[97:98], v[99:100]
	ds_read2_b64 v[105:108], v125 offset0:46 offset1:47
	v_add_f64 v[25:26], v[25:26], -v[89:90]
	v_add_f64 v[27:28], v[27:28], -v[99:100]
	s_waitcnt lgkmcnt(0)
	v_mul_f64 v[89:90], v[107:108], v[119:120]
	v_mul_f64 v[99:100], v[105:106], v[119:120]
	v_fma_f64 v[89:90], v[105:106], v[97:98], -v[89:90]
	v_fma_f64 v[99:100], v[107:108], v[97:98], v[99:100]
	ds_read2_b64 v[105:108], v125 offset0:48 offset1:49
	v_add_f64 v[21:22], v[21:22], -v[89:90]
	v_add_f64 v[23:24], v[23:24], -v[99:100]
	s_waitcnt lgkmcnt(0)
	v_mul_f64 v[89:90], v[107:108], v[119:120]
	v_mul_f64 v[99:100], v[105:106], v[119:120]
	v_fma_f64 v[89:90], v[105:106], v[97:98], -v[89:90]
	v_fma_f64 v[99:100], v[107:108], v[97:98], v[99:100]
	ds_read2_b64 v[105:108], v125 offset0:50 offset1:51
	v_add_f64 v[17:18], v[17:18], -v[89:90]
	v_add_f64 v[19:20], v[19:20], -v[99:100]
	s_waitcnt lgkmcnt(0)
	v_mul_f64 v[89:90], v[107:108], v[119:120]
	v_mul_f64 v[99:100], v[105:106], v[119:120]
	v_fma_f64 v[89:90], v[105:106], v[97:98], -v[89:90]
	v_fma_f64 v[99:100], v[107:108], v[97:98], v[99:100]
	ds_read2_b64 v[105:108], v125 offset0:52 offset1:53
	v_add_f64 v[13:14], v[13:14], -v[89:90]
	v_add_f64 v[15:16], v[15:16], -v[99:100]
	s_waitcnt lgkmcnt(0)
	v_mul_f64 v[89:90], v[107:108], v[119:120]
	v_mul_f64 v[99:100], v[105:106], v[119:120]
	v_fma_f64 v[89:90], v[105:106], v[97:98], -v[89:90]
	v_fma_f64 v[99:100], v[107:108], v[97:98], v[99:100]
	ds_read2_b64 v[105:108], v125 offset0:54 offset1:55
	v_add_f64 v[9:10], v[9:10], -v[89:90]
	v_add_f64 v[11:12], v[11:12], -v[99:100]
	s_waitcnt lgkmcnt(0)
	v_mul_f64 v[89:90], v[107:108], v[119:120]
	v_mul_f64 v[99:100], v[105:106], v[119:120]
	v_fma_f64 v[89:90], v[105:106], v[97:98], -v[89:90]
	v_fma_f64 v[99:100], v[107:108], v[97:98], v[99:100]
	ds_read2_b64 v[105:108], v125 offset0:56 offset1:57
	v_add_f64 v[5:6], v[5:6], -v[89:90]
	v_add_f64 v[7:8], v[7:8], -v[99:100]
	s_waitcnt lgkmcnt(0)
	v_mul_f64 v[89:90], v[107:108], v[119:120]
	v_mul_f64 v[99:100], v[105:106], v[119:120]
	v_fma_f64 v[89:90], v[105:106], v[97:98], -v[89:90]
	v_fma_f64 v[99:100], v[107:108], v[97:98], v[99:100]
	ds_read2_b64 v[105:108], v125 offset0:58 offset1:59
	v_add_f64 v[1:2], v[1:2], -v[89:90]
	v_add_f64 v[3:4], v[3:4], -v[99:100]
	s_waitcnt lgkmcnt(0)
	v_mul_f64 v[89:90], v[107:108], v[119:120]
	v_mul_f64 v[99:100], v[105:106], v[119:120]
	v_fma_f64 v[89:90], v[105:106], v[97:98], -v[89:90]
	v_fma_f64 v[99:100], v[107:108], v[97:98], v[99:100]
	v_add_f64 v[101:102], v[101:102], -v[89:90]
	v_add_f64 v[103:104], v[103:104], -v[99:100]
.LBB59_64:
	s_or_b64 exec, exec, s[2:3]
	v_cmp_eq_u32_e32 vcc, 7, v0
	s_waitcnt vmcnt(0)
	s_barrier
	s_and_saveexec_b64 s[4:5], vcc
	s_cbranch_execz .LBB59_71
; %bb.65:
	ds_write2_b64 v127, v[93:94], v[95:96] offset1:1
	ds_write2_b64 v125, v[81:82], v[83:84] offset0:16 offset1:17
	ds_write2_b64 v125, v[77:78], v[79:80] offset0:18 offset1:19
	;; [unrolled: 1-line block ×22, first 2 shown]
	ds_read2_b64 v[97:100], v127 offset1:1
	s_waitcnt lgkmcnt(0)
	v_cmp_neq_f64_e32 vcc, 0, v[97:98]
	v_cmp_neq_f64_e64 s[2:3], 0, v[99:100]
	s_or_b64 s[2:3], vcc, s[2:3]
	s_and_b64 exec, exec, s[2:3]
	s_cbranch_execz .LBB59_71
; %bb.66:
	v_cmp_ngt_f64_e64 s[2:3], |v[97:98]|, |v[99:100]|
                                        ; implicit-def: $vgpr105_vgpr106
	s_and_saveexec_b64 s[6:7], s[2:3]
	s_xor_b64 s[2:3], exec, s[6:7]
                                        ; implicit-def: $vgpr107_vgpr108
	s_cbranch_execz .LBB59_68
; %bb.67:
	v_div_scale_f64 v[105:106], s[6:7], v[99:100], v[99:100], v[97:98]
	v_rcp_f64_e32 v[107:108], v[105:106]
	v_fma_f64 v[109:110], -v[105:106], v[107:108], 1.0
	v_fma_f64 v[107:108], v[107:108], v[109:110], v[107:108]
	v_div_scale_f64 v[109:110], vcc, v[97:98], v[99:100], v[97:98]
	v_fma_f64 v[111:112], -v[105:106], v[107:108], 1.0
	v_fma_f64 v[107:108], v[107:108], v[111:112], v[107:108]
	v_mul_f64 v[111:112], v[109:110], v[107:108]
	v_fma_f64 v[105:106], -v[105:106], v[111:112], v[109:110]
	v_div_fmas_f64 v[105:106], v[105:106], v[107:108], v[111:112]
	v_div_fixup_f64 v[105:106], v[105:106], v[99:100], v[97:98]
	v_fma_f64 v[97:98], v[97:98], v[105:106], v[99:100]
	v_div_scale_f64 v[99:100], s[6:7], v[97:98], v[97:98], 1.0
	v_div_scale_f64 v[111:112], vcc, 1.0, v[97:98], 1.0
	v_rcp_f64_e32 v[107:108], v[99:100]
	v_fma_f64 v[109:110], -v[99:100], v[107:108], 1.0
	v_fma_f64 v[107:108], v[107:108], v[109:110], v[107:108]
	v_fma_f64 v[109:110], -v[99:100], v[107:108], 1.0
	v_fma_f64 v[107:108], v[107:108], v[109:110], v[107:108]
	v_mul_f64 v[109:110], v[111:112], v[107:108]
	v_fma_f64 v[99:100], -v[99:100], v[109:110], v[111:112]
	v_div_fmas_f64 v[99:100], v[99:100], v[107:108], v[109:110]
	v_div_fixup_f64 v[107:108], v[99:100], v[97:98], 1.0
                                        ; implicit-def: $vgpr97_vgpr98
	v_mul_f64 v[105:106], v[105:106], v[107:108]
	v_xor_b32_e32 v108, 0x80000000, v108
.LBB59_68:
	s_andn2_saveexec_b64 s[2:3], s[2:3]
	s_cbranch_execz .LBB59_70
; %bb.69:
	v_div_scale_f64 v[105:106], s[6:7], v[97:98], v[97:98], v[99:100]
	v_rcp_f64_e32 v[107:108], v[105:106]
	v_fma_f64 v[109:110], -v[105:106], v[107:108], 1.0
	v_fma_f64 v[107:108], v[107:108], v[109:110], v[107:108]
	v_div_scale_f64 v[109:110], vcc, v[99:100], v[97:98], v[99:100]
	v_fma_f64 v[111:112], -v[105:106], v[107:108], 1.0
	v_fma_f64 v[107:108], v[107:108], v[111:112], v[107:108]
	v_mul_f64 v[111:112], v[109:110], v[107:108]
	v_fma_f64 v[105:106], -v[105:106], v[111:112], v[109:110]
	v_div_fmas_f64 v[105:106], v[105:106], v[107:108], v[111:112]
	v_div_fixup_f64 v[107:108], v[105:106], v[97:98], v[99:100]
	v_fma_f64 v[97:98], v[99:100], v[107:108], v[97:98]
	v_div_scale_f64 v[99:100], s[6:7], v[97:98], v[97:98], 1.0
	v_div_scale_f64 v[111:112], vcc, 1.0, v[97:98], 1.0
	v_rcp_f64_e32 v[105:106], v[99:100]
	v_fma_f64 v[109:110], -v[99:100], v[105:106], 1.0
	v_fma_f64 v[105:106], v[105:106], v[109:110], v[105:106]
	v_fma_f64 v[109:110], -v[99:100], v[105:106], 1.0
	v_fma_f64 v[105:106], v[105:106], v[109:110], v[105:106]
	v_mul_f64 v[109:110], v[111:112], v[105:106]
	v_fma_f64 v[99:100], -v[99:100], v[109:110], v[111:112]
	v_div_fmas_f64 v[99:100], v[99:100], v[105:106], v[109:110]
	v_div_fixup_f64 v[105:106], v[99:100], v[97:98], 1.0
	v_mul_f64 v[107:108], v[107:108], -v[105:106]
.LBB59_70:
	s_or_b64 exec, exec, s[2:3]
	ds_write2_b64 v127, v[105:106], v[107:108] offset1:1
.LBB59_71:
	s_or_b64 exec, exec, s[4:5]
	s_waitcnt lgkmcnt(0)
	s_barrier
	ds_read2_b64 v[87:90], v127 offset1:1
	v_cmp_lt_u32_e32 vcc, 7, v0
	s_waitcnt lgkmcnt(0)
	buffer_store_dword v87, off, s[20:23], 0 offset:416 ; 4-byte Folded Spill
	s_nop 0
	buffer_store_dword v88, off, s[20:23], 0 offset:420 ; 4-byte Folded Spill
	buffer_store_dword v89, off, s[20:23], 0 offset:424 ; 4-byte Folded Spill
	;; [unrolled: 1-line block ×3, first 2 shown]
	s_and_saveexec_b64 s[2:3], vcc
	s_cbranch_execz .LBB59_73
; %bb.72:
	buffer_load_dword v105, off, s[20:23], 0 offset:416 ; 4-byte Folded Reload
	buffer_load_dword v106, off, s[20:23], 0 offset:420 ; 4-byte Folded Reload
	;; [unrolled: 1-line block ×4, first 2 shown]
	s_waitcnt vmcnt(2)
	v_mul_f64 v[87:88], v[105:106], v[95:96]
	s_waitcnt vmcnt(0)
	v_mul_f64 v[97:98], v[107:108], v[95:96]
	v_fma_f64 v[95:96], v[107:108], v[93:94], v[87:88]
	v_fma_f64 v[97:98], v[105:106], v[93:94], -v[97:98]
	ds_read2_b64 v[105:108], v125 offset0:16 offset1:17
	s_waitcnt lgkmcnt(0)
	v_mul_f64 v[85:86], v[107:108], v[95:96]
	v_mul_f64 v[99:100], v[105:106], v[95:96]
	v_mov_b32_e32 v93, v97
	v_mov_b32_e32 v94, v98
	v_fma_f64 v[85:86], v[105:106], v[97:98], -v[85:86]
	v_fma_f64 v[99:100], v[107:108], v[97:98], v[99:100]
	ds_read2_b64 v[105:108], v125 offset0:18 offset1:19
	v_add_f64 v[81:82], v[81:82], -v[85:86]
	v_add_f64 v[83:84], v[83:84], -v[99:100]
	s_waitcnt lgkmcnt(0)
	v_mul_f64 v[85:86], v[107:108], v[95:96]
	v_mul_f64 v[99:100], v[105:106], v[95:96]
	v_fma_f64 v[85:86], v[105:106], v[97:98], -v[85:86]
	v_fma_f64 v[99:100], v[107:108], v[97:98], v[99:100]
	ds_read2_b64 v[105:108], v125 offset0:20 offset1:21
	v_add_f64 v[77:78], v[77:78], -v[85:86]
	v_add_f64 v[79:80], v[79:80], -v[99:100]
	s_waitcnt lgkmcnt(0)
	v_mul_f64 v[85:86], v[107:108], v[95:96]
	v_mul_f64 v[99:100], v[105:106], v[95:96]
	;; [unrolled: 8-line block ×21, first 2 shown]
	v_fma_f64 v[85:86], v[105:106], v[97:98], -v[85:86]
	v_fma_f64 v[99:100], v[107:108], v[97:98], v[99:100]
	v_add_f64 v[101:102], v[101:102], -v[85:86]
	v_add_f64 v[103:104], v[103:104], -v[99:100]
.LBB59_73:
	s_or_b64 exec, exec, s[2:3]
	v_cmp_eq_u32_e32 vcc, 8, v0
	s_waitcnt vmcnt(0)
	s_barrier
	s_and_saveexec_b64 s[4:5], vcc
	s_cbranch_execz .LBB59_80
; %bb.74:
	ds_write2_b64 v127, v[81:82], v[83:84] offset1:1
	ds_write2_b64 v125, v[77:78], v[79:80] offset0:18 offset1:19
	ds_write2_b64 v125, v[73:74], v[75:76] offset0:20 offset1:21
	;; [unrolled: 1-line block ×21, first 2 shown]
	ds_read2_b64 v[97:100], v127 offset1:1
	s_waitcnt lgkmcnt(0)
	v_cmp_neq_f64_e32 vcc, 0, v[97:98]
	v_cmp_neq_f64_e64 s[2:3], 0, v[99:100]
	s_or_b64 s[2:3], vcc, s[2:3]
	s_and_b64 exec, exec, s[2:3]
	s_cbranch_execz .LBB59_80
; %bb.75:
	v_cmp_ngt_f64_e64 s[2:3], |v[97:98]|, |v[99:100]|
                                        ; implicit-def: $vgpr105_vgpr106
	s_and_saveexec_b64 s[6:7], s[2:3]
	s_xor_b64 s[2:3], exec, s[6:7]
                                        ; implicit-def: $vgpr107_vgpr108
	s_cbranch_execz .LBB59_77
; %bb.76:
	v_div_scale_f64 v[105:106], s[6:7], v[99:100], v[99:100], v[97:98]
	v_rcp_f64_e32 v[107:108], v[105:106]
	v_fma_f64 v[109:110], -v[105:106], v[107:108], 1.0
	v_fma_f64 v[107:108], v[107:108], v[109:110], v[107:108]
	v_div_scale_f64 v[109:110], vcc, v[97:98], v[99:100], v[97:98]
	v_fma_f64 v[111:112], -v[105:106], v[107:108], 1.0
	v_fma_f64 v[107:108], v[107:108], v[111:112], v[107:108]
	v_mul_f64 v[111:112], v[109:110], v[107:108]
	v_fma_f64 v[105:106], -v[105:106], v[111:112], v[109:110]
	v_div_fmas_f64 v[105:106], v[105:106], v[107:108], v[111:112]
	v_div_fixup_f64 v[105:106], v[105:106], v[99:100], v[97:98]
	v_fma_f64 v[97:98], v[97:98], v[105:106], v[99:100]
	v_div_scale_f64 v[99:100], s[6:7], v[97:98], v[97:98], 1.0
	v_div_scale_f64 v[111:112], vcc, 1.0, v[97:98], 1.0
	v_rcp_f64_e32 v[107:108], v[99:100]
	v_fma_f64 v[109:110], -v[99:100], v[107:108], 1.0
	v_fma_f64 v[107:108], v[107:108], v[109:110], v[107:108]
	v_fma_f64 v[109:110], -v[99:100], v[107:108], 1.0
	v_fma_f64 v[107:108], v[107:108], v[109:110], v[107:108]
	v_mul_f64 v[109:110], v[111:112], v[107:108]
	v_fma_f64 v[99:100], -v[99:100], v[109:110], v[111:112]
	v_div_fmas_f64 v[99:100], v[99:100], v[107:108], v[109:110]
	v_div_fixup_f64 v[107:108], v[99:100], v[97:98], 1.0
                                        ; implicit-def: $vgpr97_vgpr98
	v_mul_f64 v[105:106], v[105:106], v[107:108]
	v_xor_b32_e32 v108, 0x80000000, v108
.LBB59_77:
	s_andn2_saveexec_b64 s[2:3], s[2:3]
	s_cbranch_execz .LBB59_79
; %bb.78:
	v_div_scale_f64 v[105:106], s[6:7], v[97:98], v[97:98], v[99:100]
	v_rcp_f64_e32 v[107:108], v[105:106]
	v_fma_f64 v[109:110], -v[105:106], v[107:108], 1.0
	v_fma_f64 v[107:108], v[107:108], v[109:110], v[107:108]
	v_div_scale_f64 v[109:110], vcc, v[99:100], v[97:98], v[99:100]
	v_fma_f64 v[111:112], -v[105:106], v[107:108], 1.0
	v_fma_f64 v[107:108], v[107:108], v[111:112], v[107:108]
	v_mul_f64 v[111:112], v[109:110], v[107:108]
	v_fma_f64 v[105:106], -v[105:106], v[111:112], v[109:110]
	v_div_fmas_f64 v[105:106], v[105:106], v[107:108], v[111:112]
	v_div_fixup_f64 v[107:108], v[105:106], v[97:98], v[99:100]
	v_fma_f64 v[97:98], v[99:100], v[107:108], v[97:98]
	v_div_scale_f64 v[99:100], s[6:7], v[97:98], v[97:98], 1.0
	v_div_scale_f64 v[111:112], vcc, 1.0, v[97:98], 1.0
	v_rcp_f64_e32 v[105:106], v[99:100]
	v_fma_f64 v[109:110], -v[99:100], v[105:106], 1.0
	v_fma_f64 v[105:106], v[105:106], v[109:110], v[105:106]
	v_fma_f64 v[109:110], -v[99:100], v[105:106], 1.0
	v_fma_f64 v[105:106], v[105:106], v[109:110], v[105:106]
	v_mul_f64 v[109:110], v[111:112], v[105:106]
	v_fma_f64 v[99:100], -v[99:100], v[109:110], v[111:112]
	v_div_fmas_f64 v[99:100], v[99:100], v[105:106], v[109:110]
	v_div_fixup_f64 v[105:106], v[99:100], v[97:98], 1.0
	v_mul_f64 v[107:108], v[107:108], -v[105:106]
.LBB59_79:
	s_or_b64 exec, exec, s[2:3]
	ds_write2_b64 v127, v[105:106], v[107:108] offset1:1
.LBB59_80:
	s_or_b64 exec, exec, s[4:5]
	s_waitcnt lgkmcnt(0)
	s_barrier
	ds_read2_b64 v[87:90], v127 offset1:1
	v_cmp_lt_u32_e32 vcc, 8, v0
	s_waitcnt lgkmcnt(0)
	buffer_store_dword v87, off, s[20:23], 0 offset:432 ; 4-byte Folded Spill
	s_nop 0
	buffer_store_dword v88, off, s[20:23], 0 offset:436 ; 4-byte Folded Spill
	buffer_store_dword v89, off, s[20:23], 0 offset:440 ; 4-byte Folded Spill
	;; [unrolled: 1-line block ×3, first 2 shown]
	s_and_saveexec_b64 s[2:3], vcc
	s_cbranch_execz .LBB59_82
; %bb.81:
	buffer_load_dword v87, off, s[20:23], 0 offset:432 ; 4-byte Folded Reload
	buffer_load_dword v88, off, s[20:23], 0 offset:436 ; 4-byte Folded Reload
	;; [unrolled: 1-line block ×4, first 2 shown]
	ds_read2_b64 v[105:108], v125 offset0:18 offset1:19
	s_waitcnt vmcnt(0)
	v_mul_f64 v[97:98], v[89:90], v[83:84]
	v_mul_f64 v[83:84], v[87:88], v[83:84]
	v_fma_f64 v[97:98], v[87:88], v[81:82], -v[97:98]
	v_fma_f64 v[83:84], v[89:90], v[81:82], v[83:84]
	s_waitcnt lgkmcnt(0)
	v_mul_f64 v[81:82], v[107:108], v[83:84]
	v_mul_f64 v[99:100], v[105:106], v[83:84]
	v_fma_f64 v[81:82], v[105:106], v[97:98], -v[81:82]
	v_fma_f64 v[99:100], v[107:108], v[97:98], v[99:100]
	ds_read2_b64 v[105:108], v125 offset0:20 offset1:21
	v_add_f64 v[77:78], v[77:78], -v[81:82]
	v_add_f64 v[79:80], v[79:80], -v[99:100]
	s_waitcnt lgkmcnt(0)
	v_mul_f64 v[81:82], v[107:108], v[83:84]
	v_mul_f64 v[99:100], v[105:106], v[83:84]
	v_fma_f64 v[81:82], v[105:106], v[97:98], -v[81:82]
	v_fma_f64 v[99:100], v[107:108], v[97:98], v[99:100]
	ds_read2_b64 v[105:108], v125 offset0:22 offset1:23
	v_add_f64 v[73:74], v[73:74], -v[81:82]
	v_add_f64 v[75:76], v[75:76], -v[99:100]
	;; [unrolled: 8-line block ×20, first 2 shown]
	s_waitcnt lgkmcnt(0)
	v_mul_f64 v[81:82], v[107:108], v[83:84]
	v_mul_f64 v[99:100], v[105:106], v[83:84]
	v_fma_f64 v[81:82], v[105:106], v[97:98], -v[81:82]
	v_fma_f64 v[99:100], v[107:108], v[97:98], v[99:100]
	v_add_f64 v[101:102], v[101:102], -v[81:82]
	v_add_f64 v[103:104], v[103:104], -v[99:100]
	v_mov_b32_e32 v81, v97
	v_mov_b32_e32 v82, v98
.LBB59_82:
	s_or_b64 exec, exec, s[2:3]
	v_cmp_eq_u32_e32 vcc, 9, v0
	s_waitcnt vmcnt(0)
	s_barrier
	s_and_saveexec_b64 s[4:5], vcc
	s_cbranch_execz .LBB59_89
; %bb.83:
	ds_write2_b64 v127, v[77:78], v[79:80] offset1:1
	ds_write2_b64 v125, v[73:74], v[75:76] offset0:20 offset1:21
	ds_write2_b64 v125, v[69:70], v[71:72] offset0:22 offset1:23
	;; [unrolled: 1-line block ×20, first 2 shown]
	ds_read2_b64 v[97:100], v127 offset1:1
	s_waitcnt lgkmcnt(0)
	v_cmp_neq_f64_e32 vcc, 0, v[97:98]
	v_cmp_neq_f64_e64 s[2:3], 0, v[99:100]
	s_or_b64 s[2:3], vcc, s[2:3]
	s_and_b64 exec, exec, s[2:3]
	s_cbranch_execz .LBB59_89
; %bb.84:
	v_cmp_ngt_f64_e64 s[2:3], |v[97:98]|, |v[99:100]|
                                        ; implicit-def: $vgpr105_vgpr106
	s_and_saveexec_b64 s[6:7], s[2:3]
	s_xor_b64 s[2:3], exec, s[6:7]
                                        ; implicit-def: $vgpr107_vgpr108
	s_cbranch_execz .LBB59_86
; %bb.85:
	v_div_scale_f64 v[105:106], s[6:7], v[99:100], v[99:100], v[97:98]
	v_rcp_f64_e32 v[107:108], v[105:106]
	v_fma_f64 v[109:110], -v[105:106], v[107:108], 1.0
	v_fma_f64 v[107:108], v[107:108], v[109:110], v[107:108]
	v_div_scale_f64 v[109:110], vcc, v[97:98], v[99:100], v[97:98]
	v_fma_f64 v[111:112], -v[105:106], v[107:108], 1.0
	v_fma_f64 v[107:108], v[107:108], v[111:112], v[107:108]
	v_mul_f64 v[111:112], v[109:110], v[107:108]
	v_fma_f64 v[105:106], -v[105:106], v[111:112], v[109:110]
	v_div_fmas_f64 v[105:106], v[105:106], v[107:108], v[111:112]
	v_div_fixup_f64 v[105:106], v[105:106], v[99:100], v[97:98]
	v_fma_f64 v[97:98], v[97:98], v[105:106], v[99:100]
	v_div_scale_f64 v[99:100], s[6:7], v[97:98], v[97:98], 1.0
	v_div_scale_f64 v[111:112], vcc, 1.0, v[97:98], 1.0
	v_rcp_f64_e32 v[107:108], v[99:100]
	v_fma_f64 v[109:110], -v[99:100], v[107:108], 1.0
	v_fma_f64 v[107:108], v[107:108], v[109:110], v[107:108]
	v_fma_f64 v[109:110], -v[99:100], v[107:108], 1.0
	v_fma_f64 v[107:108], v[107:108], v[109:110], v[107:108]
	v_mul_f64 v[109:110], v[111:112], v[107:108]
	v_fma_f64 v[99:100], -v[99:100], v[109:110], v[111:112]
	v_div_fmas_f64 v[99:100], v[99:100], v[107:108], v[109:110]
	v_div_fixup_f64 v[107:108], v[99:100], v[97:98], 1.0
                                        ; implicit-def: $vgpr97_vgpr98
	v_mul_f64 v[105:106], v[105:106], v[107:108]
	v_xor_b32_e32 v108, 0x80000000, v108
.LBB59_86:
	s_andn2_saveexec_b64 s[2:3], s[2:3]
	s_cbranch_execz .LBB59_88
; %bb.87:
	v_div_scale_f64 v[105:106], s[6:7], v[97:98], v[97:98], v[99:100]
	v_rcp_f64_e32 v[107:108], v[105:106]
	v_fma_f64 v[109:110], -v[105:106], v[107:108], 1.0
	v_fma_f64 v[107:108], v[107:108], v[109:110], v[107:108]
	v_div_scale_f64 v[109:110], vcc, v[99:100], v[97:98], v[99:100]
	v_fma_f64 v[111:112], -v[105:106], v[107:108], 1.0
	v_fma_f64 v[107:108], v[107:108], v[111:112], v[107:108]
	v_mul_f64 v[111:112], v[109:110], v[107:108]
	v_fma_f64 v[105:106], -v[105:106], v[111:112], v[109:110]
	v_div_fmas_f64 v[105:106], v[105:106], v[107:108], v[111:112]
	v_div_fixup_f64 v[107:108], v[105:106], v[97:98], v[99:100]
	v_fma_f64 v[97:98], v[99:100], v[107:108], v[97:98]
	v_div_scale_f64 v[99:100], s[6:7], v[97:98], v[97:98], 1.0
	v_div_scale_f64 v[111:112], vcc, 1.0, v[97:98], 1.0
	v_rcp_f64_e32 v[105:106], v[99:100]
	v_fma_f64 v[109:110], -v[99:100], v[105:106], 1.0
	v_fma_f64 v[105:106], v[105:106], v[109:110], v[105:106]
	v_fma_f64 v[109:110], -v[99:100], v[105:106], 1.0
	v_fma_f64 v[105:106], v[105:106], v[109:110], v[105:106]
	v_mul_f64 v[109:110], v[111:112], v[105:106]
	v_fma_f64 v[99:100], -v[99:100], v[109:110], v[111:112]
	v_div_fmas_f64 v[99:100], v[99:100], v[105:106], v[109:110]
	v_div_fixup_f64 v[105:106], v[99:100], v[97:98], 1.0
	v_mul_f64 v[107:108], v[107:108], -v[105:106]
.LBB59_88:
	s_or_b64 exec, exec, s[2:3]
	ds_write2_b64 v127, v[105:106], v[107:108] offset1:1
.LBB59_89:
	s_or_b64 exec, exec, s[4:5]
	s_waitcnt lgkmcnt(0)
	s_barrier
	ds_read2_b64 v[87:90], v127 offset1:1
	v_cmp_lt_u32_e32 vcc, 9, v0
	s_waitcnt lgkmcnt(0)
	buffer_store_dword v87, off, s[20:23], 0 offset:448 ; 4-byte Folded Spill
	s_nop 0
	buffer_store_dword v88, off, s[20:23], 0 offset:452 ; 4-byte Folded Spill
	buffer_store_dword v89, off, s[20:23], 0 offset:456 ; 4-byte Folded Spill
	buffer_store_dword v90, off, s[20:23], 0 offset:460 ; 4-byte Folded Spill
	s_and_saveexec_b64 s[2:3], vcc
	s_cbranch_execz .LBB59_91
; %bb.90:
	buffer_load_dword v87, off, s[20:23], 0 offset:448 ; 4-byte Folded Reload
	buffer_load_dword v88, off, s[20:23], 0 offset:452 ; 4-byte Folded Reload
	;; [unrolled: 1-line block ×4, first 2 shown]
	ds_read2_b64 v[105:108], v125 offset0:20 offset1:21
	s_waitcnt vmcnt(0)
	v_mul_f64 v[97:98], v[89:90], v[79:80]
	v_mul_f64 v[79:80], v[87:88], v[79:80]
	v_fma_f64 v[97:98], v[87:88], v[77:78], -v[97:98]
	v_fma_f64 v[79:80], v[89:90], v[77:78], v[79:80]
	s_waitcnt lgkmcnt(0)
	v_mul_f64 v[77:78], v[107:108], v[79:80]
	v_mul_f64 v[99:100], v[105:106], v[79:80]
	v_fma_f64 v[77:78], v[105:106], v[97:98], -v[77:78]
	v_fma_f64 v[99:100], v[107:108], v[97:98], v[99:100]
	ds_read2_b64 v[105:108], v125 offset0:22 offset1:23
	v_add_f64 v[73:74], v[73:74], -v[77:78]
	v_add_f64 v[75:76], v[75:76], -v[99:100]
	s_waitcnt lgkmcnt(0)
	v_mul_f64 v[77:78], v[107:108], v[79:80]
	v_mul_f64 v[99:100], v[105:106], v[79:80]
	v_fma_f64 v[77:78], v[105:106], v[97:98], -v[77:78]
	v_fma_f64 v[99:100], v[107:108], v[97:98], v[99:100]
	ds_read2_b64 v[105:108], v125 offset0:24 offset1:25
	v_add_f64 v[69:70], v[69:70], -v[77:78]
	v_add_f64 v[71:72], v[71:72], -v[99:100]
	;; [unrolled: 8-line block ×19, first 2 shown]
	s_waitcnt lgkmcnt(0)
	v_mul_f64 v[77:78], v[107:108], v[79:80]
	v_mul_f64 v[99:100], v[105:106], v[79:80]
	v_fma_f64 v[77:78], v[105:106], v[97:98], -v[77:78]
	v_fma_f64 v[99:100], v[107:108], v[97:98], v[99:100]
	v_add_f64 v[101:102], v[101:102], -v[77:78]
	v_add_f64 v[103:104], v[103:104], -v[99:100]
	v_mov_b32_e32 v77, v97
	v_mov_b32_e32 v78, v98
.LBB59_91:
	s_or_b64 exec, exec, s[2:3]
	v_cmp_eq_u32_e32 vcc, 10, v0
	s_waitcnt vmcnt(0)
	s_barrier
	s_and_saveexec_b64 s[4:5], vcc
	s_cbranch_execz .LBB59_98
; %bb.92:
	ds_write2_b64 v127, v[73:74], v[75:76] offset1:1
	ds_write2_b64 v125, v[69:70], v[71:72] offset0:22 offset1:23
	ds_write2_b64 v125, v[65:66], v[67:68] offset0:24 offset1:25
	;; [unrolled: 1-line block ×19, first 2 shown]
	ds_read2_b64 v[97:100], v127 offset1:1
	s_waitcnt lgkmcnt(0)
	v_cmp_neq_f64_e32 vcc, 0, v[97:98]
	v_cmp_neq_f64_e64 s[2:3], 0, v[99:100]
	s_or_b64 s[2:3], vcc, s[2:3]
	s_and_b64 exec, exec, s[2:3]
	s_cbranch_execz .LBB59_98
; %bb.93:
	v_cmp_ngt_f64_e64 s[2:3], |v[97:98]|, |v[99:100]|
                                        ; implicit-def: $vgpr105_vgpr106
	s_and_saveexec_b64 s[6:7], s[2:3]
	s_xor_b64 s[2:3], exec, s[6:7]
                                        ; implicit-def: $vgpr107_vgpr108
	s_cbranch_execz .LBB59_95
; %bb.94:
	v_div_scale_f64 v[105:106], s[6:7], v[99:100], v[99:100], v[97:98]
	v_rcp_f64_e32 v[107:108], v[105:106]
	v_fma_f64 v[109:110], -v[105:106], v[107:108], 1.0
	v_fma_f64 v[107:108], v[107:108], v[109:110], v[107:108]
	v_div_scale_f64 v[109:110], vcc, v[97:98], v[99:100], v[97:98]
	v_fma_f64 v[111:112], -v[105:106], v[107:108], 1.0
	v_fma_f64 v[107:108], v[107:108], v[111:112], v[107:108]
	v_mul_f64 v[111:112], v[109:110], v[107:108]
	v_fma_f64 v[105:106], -v[105:106], v[111:112], v[109:110]
	v_div_fmas_f64 v[105:106], v[105:106], v[107:108], v[111:112]
	v_div_fixup_f64 v[105:106], v[105:106], v[99:100], v[97:98]
	v_fma_f64 v[97:98], v[97:98], v[105:106], v[99:100]
	v_div_scale_f64 v[99:100], s[6:7], v[97:98], v[97:98], 1.0
	v_div_scale_f64 v[111:112], vcc, 1.0, v[97:98], 1.0
	v_rcp_f64_e32 v[107:108], v[99:100]
	v_fma_f64 v[109:110], -v[99:100], v[107:108], 1.0
	v_fma_f64 v[107:108], v[107:108], v[109:110], v[107:108]
	v_fma_f64 v[109:110], -v[99:100], v[107:108], 1.0
	v_fma_f64 v[107:108], v[107:108], v[109:110], v[107:108]
	v_mul_f64 v[109:110], v[111:112], v[107:108]
	v_fma_f64 v[99:100], -v[99:100], v[109:110], v[111:112]
	v_div_fmas_f64 v[99:100], v[99:100], v[107:108], v[109:110]
	v_div_fixup_f64 v[107:108], v[99:100], v[97:98], 1.0
                                        ; implicit-def: $vgpr97_vgpr98
	v_mul_f64 v[105:106], v[105:106], v[107:108]
	v_xor_b32_e32 v108, 0x80000000, v108
.LBB59_95:
	s_andn2_saveexec_b64 s[2:3], s[2:3]
	s_cbranch_execz .LBB59_97
; %bb.96:
	v_div_scale_f64 v[105:106], s[6:7], v[97:98], v[97:98], v[99:100]
	v_rcp_f64_e32 v[107:108], v[105:106]
	v_fma_f64 v[109:110], -v[105:106], v[107:108], 1.0
	v_fma_f64 v[107:108], v[107:108], v[109:110], v[107:108]
	v_div_scale_f64 v[109:110], vcc, v[99:100], v[97:98], v[99:100]
	v_fma_f64 v[111:112], -v[105:106], v[107:108], 1.0
	v_fma_f64 v[107:108], v[107:108], v[111:112], v[107:108]
	v_mul_f64 v[111:112], v[109:110], v[107:108]
	v_fma_f64 v[105:106], -v[105:106], v[111:112], v[109:110]
	v_div_fmas_f64 v[105:106], v[105:106], v[107:108], v[111:112]
	v_div_fixup_f64 v[107:108], v[105:106], v[97:98], v[99:100]
	v_fma_f64 v[97:98], v[99:100], v[107:108], v[97:98]
	v_div_scale_f64 v[99:100], s[6:7], v[97:98], v[97:98], 1.0
	v_div_scale_f64 v[111:112], vcc, 1.0, v[97:98], 1.0
	v_rcp_f64_e32 v[105:106], v[99:100]
	v_fma_f64 v[109:110], -v[99:100], v[105:106], 1.0
	v_fma_f64 v[105:106], v[105:106], v[109:110], v[105:106]
	v_fma_f64 v[109:110], -v[99:100], v[105:106], 1.0
	v_fma_f64 v[105:106], v[105:106], v[109:110], v[105:106]
	v_mul_f64 v[109:110], v[111:112], v[105:106]
	v_fma_f64 v[99:100], -v[99:100], v[109:110], v[111:112]
	v_div_fmas_f64 v[99:100], v[99:100], v[105:106], v[109:110]
	v_div_fixup_f64 v[105:106], v[99:100], v[97:98], 1.0
	v_mul_f64 v[107:108], v[107:108], -v[105:106]
.LBB59_97:
	s_or_b64 exec, exec, s[2:3]
	ds_write2_b64 v127, v[105:106], v[107:108] offset1:1
.LBB59_98:
	s_or_b64 exec, exec, s[4:5]
	s_waitcnt lgkmcnt(0)
	s_barrier
	ds_read2_b64 v[87:90], v127 offset1:1
	v_cmp_lt_u32_e32 vcc, 10, v0
	s_waitcnt lgkmcnt(0)
	buffer_store_dword v87, off, s[20:23], 0 offset:464 ; 4-byte Folded Spill
	s_nop 0
	buffer_store_dword v88, off, s[20:23], 0 offset:468 ; 4-byte Folded Spill
	buffer_store_dword v89, off, s[20:23], 0 offset:472 ; 4-byte Folded Spill
	;; [unrolled: 1-line block ×3, first 2 shown]
	s_and_saveexec_b64 s[2:3], vcc
	s_cbranch_execz .LBB59_100
; %bb.99:
	buffer_load_dword v87, off, s[20:23], 0 offset:464 ; 4-byte Folded Reload
	buffer_load_dword v88, off, s[20:23], 0 offset:468 ; 4-byte Folded Reload
	;; [unrolled: 1-line block ×4, first 2 shown]
	ds_read2_b64 v[105:108], v125 offset0:22 offset1:23
	s_waitcnt vmcnt(0)
	v_mul_f64 v[97:98], v[89:90], v[75:76]
	v_mul_f64 v[75:76], v[87:88], v[75:76]
	v_fma_f64 v[97:98], v[87:88], v[73:74], -v[97:98]
	v_fma_f64 v[75:76], v[89:90], v[73:74], v[75:76]
	s_waitcnt lgkmcnt(0)
	v_mul_f64 v[73:74], v[107:108], v[75:76]
	v_mul_f64 v[99:100], v[105:106], v[75:76]
	v_fma_f64 v[73:74], v[105:106], v[97:98], -v[73:74]
	v_fma_f64 v[99:100], v[107:108], v[97:98], v[99:100]
	ds_read2_b64 v[105:108], v125 offset0:24 offset1:25
	v_add_f64 v[69:70], v[69:70], -v[73:74]
	v_add_f64 v[71:72], v[71:72], -v[99:100]
	s_waitcnt lgkmcnt(0)
	v_mul_f64 v[73:74], v[107:108], v[75:76]
	v_mul_f64 v[99:100], v[105:106], v[75:76]
	v_fma_f64 v[73:74], v[105:106], v[97:98], -v[73:74]
	v_fma_f64 v[99:100], v[107:108], v[97:98], v[99:100]
	ds_read2_b64 v[105:108], v125 offset0:26 offset1:27
	v_add_f64 v[65:66], v[65:66], -v[73:74]
	v_add_f64 v[67:68], v[67:68], -v[99:100]
	;; [unrolled: 8-line block ×18, first 2 shown]
	s_waitcnt lgkmcnt(0)
	v_mul_f64 v[73:74], v[107:108], v[75:76]
	v_mul_f64 v[99:100], v[105:106], v[75:76]
	v_fma_f64 v[73:74], v[105:106], v[97:98], -v[73:74]
	v_fma_f64 v[99:100], v[107:108], v[97:98], v[99:100]
	v_add_f64 v[101:102], v[101:102], -v[73:74]
	v_add_f64 v[103:104], v[103:104], -v[99:100]
	v_mov_b32_e32 v73, v97
	v_mov_b32_e32 v74, v98
.LBB59_100:
	s_or_b64 exec, exec, s[2:3]
	v_cmp_eq_u32_e32 vcc, 11, v0
	s_waitcnt vmcnt(0)
	s_barrier
	s_and_saveexec_b64 s[4:5], vcc
	s_cbranch_execz .LBB59_107
; %bb.101:
	ds_write2_b64 v127, v[69:70], v[71:72] offset1:1
	ds_write2_b64 v125, v[65:66], v[67:68] offset0:24 offset1:25
	ds_write2_b64 v125, v[61:62], v[63:64] offset0:26 offset1:27
	;; [unrolled: 1-line block ×18, first 2 shown]
	ds_read2_b64 v[97:100], v127 offset1:1
	s_waitcnt lgkmcnt(0)
	v_cmp_neq_f64_e32 vcc, 0, v[97:98]
	v_cmp_neq_f64_e64 s[2:3], 0, v[99:100]
	s_or_b64 s[2:3], vcc, s[2:3]
	s_and_b64 exec, exec, s[2:3]
	s_cbranch_execz .LBB59_107
; %bb.102:
	v_cmp_ngt_f64_e64 s[2:3], |v[97:98]|, |v[99:100]|
                                        ; implicit-def: $vgpr105_vgpr106
	s_and_saveexec_b64 s[6:7], s[2:3]
	s_xor_b64 s[2:3], exec, s[6:7]
                                        ; implicit-def: $vgpr107_vgpr108
	s_cbranch_execz .LBB59_104
; %bb.103:
	v_div_scale_f64 v[105:106], s[6:7], v[99:100], v[99:100], v[97:98]
	v_rcp_f64_e32 v[107:108], v[105:106]
	v_fma_f64 v[109:110], -v[105:106], v[107:108], 1.0
	v_fma_f64 v[107:108], v[107:108], v[109:110], v[107:108]
	v_div_scale_f64 v[109:110], vcc, v[97:98], v[99:100], v[97:98]
	v_fma_f64 v[111:112], -v[105:106], v[107:108], 1.0
	v_fma_f64 v[107:108], v[107:108], v[111:112], v[107:108]
	v_mul_f64 v[111:112], v[109:110], v[107:108]
	v_fma_f64 v[105:106], -v[105:106], v[111:112], v[109:110]
	v_div_fmas_f64 v[105:106], v[105:106], v[107:108], v[111:112]
	v_div_fixup_f64 v[105:106], v[105:106], v[99:100], v[97:98]
	v_fma_f64 v[97:98], v[97:98], v[105:106], v[99:100]
	v_div_scale_f64 v[99:100], s[6:7], v[97:98], v[97:98], 1.0
	v_div_scale_f64 v[111:112], vcc, 1.0, v[97:98], 1.0
	v_rcp_f64_e32 v[107:108], v[99:100]
	v_fma_f64 v[109:110], -v[99:100], v[107:108], 1.0
	v_fma_f64 v[107:108], v[107:108], v[109:110], v[107:108]
	v_fma_f64 v[109:110], -v[99:100], v[107:108], 1.0
	v_fma_f64 v[107:108], v[107:108], v[109:110], v[107:108]
	v_mul_f64 v[109:110], v[111:112], v[107:108]
	v_fma_f64 v[99:100], -v[99:100], v[109:110], v[111:112]
	v_div_fmas_f64 v[99:100], v[99:100], v[107:108], v[109:110]
	v_div_fixup_f64 v[107:108], v[99:100], v[97:98], 1.0
                                        ; implicit-def: $vgpr97_vgpr98
	v_mul_f64 v[105:106], v[105:106], v[107:108]
	v_xor_b32_e32 v108, 0x80000000, v108
.LBB59_104:
	s_andn2_saveexec_b64 s[2:3], s[2:3]
	s_cbranch_execz .LBB59_106
; %bb.105:
	v_div_scale_f64 v[105:106], s[6:7], v[97:98], v[97:98], v[99:100]
	v_rcp_f64_e32 v[107:108], v[105:106]
	v_fma_f64 v[109:110], -v[105:106], v[107:108], 1.0
	v_fma_f64 v[107:108], v[107:108], v[109:110], v[107:108]
	v_div_scale_f64 v[109:110], vcc, v[99:100], v[97:98], v[99:100]
	v_fma_f64 v[111:112], -v[105:106], v[107:108], 1.0
	v_fma_f64 v[107:108], v[107:108], v[111:112], v[107:108]
	v_mul_f64 v[111:112], v[109:110], v[107:108]
	v_fma_f64 v[105:106], -v[105:106], v[111:112], v[109:110]
	v_div_fmas_f64 v[105:106], v[105:106], v[107:108], v[111:112]
	v_div_fixup_f64 v[107:108], v[105:106], v[97:98], v[99:100]
	v_fma_f64 v[97:98], v[99:100], v[107:108], v[97:98]
	v_div_scale_f64 v[99:100], s[6:7], v[97:98], v[97:98], 1.0
	v_div_scale_f64 v[111:112], vcc, 1.0, v[97:98], 1.0
	v_rcp_f64_e32 v[105:106], v[99:100]
	v_fma_f64 v[109:110], -v[99:100], v[105:106], 1.0
	v_fma_f64 v[105:106], v[105:106], v[109:110], v[105:106]
	v_fma_f64 v[109:110], -v[99:100], v[105:106], 1.0
	v_fma_f64 v[105:106], v[105:106], v[109:110], v[105:106]
	v_mul_f64 v[109:110], v[111:112], v[105:106]
	v_fma_f64 v[99:100], -v[99:100], v[109:110], v[111:112]
	v_div_fmas_f64 v[99:100], v[99:100], v[105:106], v[109:110]
	v_div_fixup_f64 v[105:106], v[99:100], v[97:98], 1.0
	v_mul_f64 v[107:108], v[107:108], -v[105:106]
.LBB59_106:
	s_or_b64 exec, exec, s[2:3]
	ds_write2_b64 v127, v[105:106], v[107:108] offset1:1
.LBB59_107:
	s_or_b64 exec, exec, s[4:5]
	s_waitcnt lgkmcnt(0)
	s_barrier
	ds_read2_b64 v[87:90], v127 offset1:1
	v_cmp_lt_u32_e32 vcc, 11, v0
	s_waitcnt lgkmcnt(0)
	buffer_store_dword v87, off, s[20:23], 0 offset:480 ; 4-byte Folded Spill
	s_nop 0
	buffer_store_dword v88, off, s[20:23], 0 offset:484 ; 4-byte Folded Spill
	buffer_store_dword v89, off, s[20:23], 0 offset:488 ; 4-byte Folded Spill
	buffer_store_dword v90, off, s[20:23], 0 offset:492 ; 4-byte Folded Spill
	s_and_saveexec_b64 s[2:3], vcc
	s_cbranch_execz .LBB59_109
; %bb.108:
	buffer_load_dword v87, off, s[20:23], 0 offset:480 ; 4-byte Folded Reload
	buffer_load_dword v88, off, s[20:23], 0 offset:484 ; 4-byte Folded Reload
	;; [unrolled: 1-line block ×4, first 2 shown]
	ds_read2_b64 v[105:108], v125 offset0:24 offset1:25
	s_waitcnt vmcnt(0)
	v_mul_f64 v[97:98], v[89:90], v[71:72]
	v_mul_f64 v[71:72], v[87:88], v[71:72]
	v_fma_f64 v[97:98], v[87:88], v[69:70], -v[97:98]
	v_fma_f64 v[71:72], v[89:90], v[69:70], v[71:72]
	s_waitcnt lgkmcnt(0)
	v_mul_f64 v[69:70], v[107:108], v[71:72]
	v_mul_f64 v[99:100], v[105:106], v[71:72]
	v_fma_f64 v[69:70], v[105:106], v[97:98], -v[69:70]
	v_fma_f64 v[99:100], v[107:108], v[97:98], v[99:100]
	ds_read2_b64 v[105:108], v125 offset0:26 offset1:27
	v_add_f64 v[65:66], v[65:66], -v[69:70]
	v_add_f64 v[67:68], v[67:68], -v[99:100]
	s_waitcnt lgkmcnt(0)
	v_mul_f64 v[69:70], v[107:108], v[71:72]
	v_mul_f64 v[99:100], v[105:106], v[71:72]
	v_fma_f64 v[69:70], v[105:106], v[97:98], -v[69:70]
	v_fma_f64 v[99:100], v[107:108], v[97:98], v[99:100]
	ds_read2_b64 v[105:108], v125 offset0:28 offset1:29
	v_add_f64 v[61:62], v[61:62], -v[69:70]
	v_add_f64 v[63:64], v[63:64], -v[99:100]
	;; [unrolled: 8-line block ×17, first 2 shown]
	s_waitcnt lgkmcnt(0)
	v_mul_f64 v[69:70], v[107:108], v[71:72]
	v_mul_f64 v[99:100], v[105:106], v[71:72]
	v_fma_f64 v[69:70], v[105:106], v[97:98], -v[69:70]
	v_fma_f64 v[99:100], v[107:108], v[97:98], v[99:100]
	v_add_f64 v[101:102], v[101:102], -v[69:70]
	v_add_f64 v[103:104], v[103:104], -v[99:100]
	v_mov_b32_e32 v69, v97
	v_mov_b32_e32 v70, v98
.LBB59_109:
	s_or_b64 exec, exec, s[2:3]
	v_cmp_eq_u32_e32 vcc, 12, v0
	s_waitcnt vmcnt(0)
	s_barrier
	s_and_saveexec_b64 s[4:5], vcc
	s_cbranch_execz .LBB59_116
; %bb.110:
	ds_write2_b64 v127, v[65:66], v[67:68] offset1:1
	ds_write2_b64 v125, v[61:62], v[63:64] offset0:26 offset1:27
	ds_write2_b64 v125, v[57:58], v[59:60] offset0:28 offset1:29
	;; [unrolled: 1-line block ×17, first 2 shown]
	ds_read2_b64 v[97:100], v127 offset1:1
	s_waitcnt lgkmcnt(0)
	v_cmp_neq_f64_e32 vcc, 0, v[97:98]
	v_cmp_neq_f64_e64 s[2:3], 0, v[99:100]
	s_or_b64 s[2:3], vcc, s[2:3]
	s_and_b64 exec, exec, s[2:3]
	s_cbranch_execz .LBB59_116
; %bb.111:
	v_cmp_ngt_f64_e64 s[2:3], |v[97:98]|, |v[99:100]|
                                        ; implicit-def: $vgpr105_vgpr106
	s_and_saveexec_b64 s[6:7], s[2:3]
	s_xor_b64 s[2:3], exec, s[6:7]
                                        ; implicit-def: $vgpr107_vgpr108
	s_cbranch_execz .LBB59_113
; %bb.112:
	v_div_scale_f64 v[105:106], s[6:7], v[99:100], v[99:100], v[97:98]
	v_rcp_f64_e32 v[107:108], v[105:106]
	v_fma_f64 v[109:110], -v[105:106], v[107:108], 1.0
	v_fma_f64 v[107:108], v[107:108], v[109:110], v[107:108]
	v_div_scale_f64 v[109:110], vcc, v[97:98], v[99:100], v[97:98]
	v_fma_f64 v[111:112], -v[105:106], v[107:108], 1.0
	v_fma_f64 v[107:108], v[107:108], v[111:112], v[107:108]
	v_mul_f64 v[111:112], v[109:110], v[107:108]
	v_fma_f64 v[105:106], -v[105:106], v[111:112], v[109:110]
	v_div_fmas_f64 v[105:106], v[105:106], v[107:108], v[111:112]
	v_div_fixup_f64 v[105:106], v[105:106], v[99:100], v[97:98]
	v_fma_f64 v[97:98], v[97:98], v[105:106], v[99:100]
	v_div_scale_f64 v[99:100], s[6:7], v[97:98], v[97:98], 1.0
	v_div_scale_f64 v[111:112], vcc, 1.0, v[97:98], 1.0
	v_rcp_f64_e32 v[107:108], v[99:100]
	v_fma_f64 v[109:110], -v[99:100], v[107:108], 1.0
	v_fma_f64 v[107:108], v[107:108], v[109:110], v[107:108]
	v_fma_f64 v[109:110], -v[99:100], v[107:108], 1.0
	v_fma_f64 v[107:108], v[107:108], v[109:110], v[107:108]
	v_mul_f64 v[109:110], v[111:112], v[107:108]
	v_fma_f64 v[99:100], -v[99:100], v[109:110], v[111:112]
	v_div_fmas_f64 v[99:100], v[99:100], v[107:108], v[109:110]
	v_div_fixup_f64 v[107:108], v[99:100], v[97:98], 1.0
                                        ; implicit-def: $vgpr97_vgpr98
	v_mul_f64 v[105:106], v[105:106], v[107:108]
	v_xor_b32_e32 v108, 0x80000000, v108
.LBB59_113:
	s_andn2_saveexec_b64 s[2:3], s[2:3]
	s_cbranch_execz .LBB59_115
; %bb.114:
	v_div_scale_f64 v[105:106], s[6:7], v[97:98], v[97:98], v[99:100]
	v_rcp_f64_e32 v[107:108], v[105:106]
	v_fma_f64 v[109:110], -v[105:106], v[107:108], 1.0
	v_fma_f64 v[107:108], v[107:108], v[109:110], v[107:108]
	v_div_scale_f64 v[109:110], vcc, v[99:100], v[97:98], v[99:100]
	v_fma_f64 v[111:112], -v[105:106], v[107:108], 1.0
	v_fma_f64 v[107:108], v[107:108], v[111:112], v[107:108]
	v_mul_f64 v[111:112], v[109:110], v[107:108]
	v_fma_f64 v[105:106], -v[105:106], v[111:112], v[109:110]
	v_div_fmas_f64 v[105:106], v[105:106], v[107:108], v[111:112]
	v_div_fixup_f64 v[107:108], v[105:106], v[97:98], v[99:100]
	v_fma_f64 v[97:98], v[99:100], v[107:108], v[97:98]
	v_div_scale_f64 v[99:100], s[6:7], v[97:98], v[97:98], 1.0
	v_div_scale_f64 v[111:112], vcc, 1.0, v[97:98], 1.0
	v_rcp_f64_e32 v[105:106], v[99:100]
	v_fma_f64 v[109:110], -v[99:100], v[105:106], 1.0
	v_fma_f64 v[105:106], v[105:106], v[109:110], v[105:106]
	v_fma_f64 v[109:110], -v[99:100], v[105:106], 1.0
	v_fma_f64 v[105:106], v[105:106], v[109:110], v[105:106]
	v_mul_f64 v[109:110], v[111:112], v[105:106]
	v_fma_f64 v[99:100], -v[99:100], v[109:110], v[111:112]
	v_div_fmas_f64 v[99:100], v[99:100], v[105:106], v[109:110]
	v_div_fixup_f64 v[105:106], v[99:100], v[97:98], 1.0
	v_mul_f64 v[107:108], v[107:108], -v[105:106]
.LBB59_115:
	s_or_b64 exec, exec, s[2:3]
	ds_write2_b64 v127, v[105:106], v[107:108] offset1:1
.LBB59_116:
	s_or_b64 exec, exec, s[4:5]
	s_waitcnt lgkmcnt(0)
	s_barrier
	ds_read2_b64 v[87:90], v127 offset1:1
	v_cmp_lt_u32_e32 vcc, 12, v0
	s_waitcnt lgkmcnt(0)
	buffer_store_dword v87, off, s[20:23], 0 offset:496 ; 4-byte Folded Spill
	s_nop 0
	buffer_store_dword v88, off, s[20:23], 0 offset:500 ; 4-byte Folded Spill
	buffer_store_dword v89, off, s[20:23], 0 offset:504 ; 4-byte Folded Spill
	;; [unrolled: 1-line block ×3, first 2 shown]
	s_and_saveexec_b64 s[2:3], vcc
	s_cbranch_execz .LBB59_118
; %bb.117:
	buffer_load_dword v87, off, s[20:23], 0 offset:496 ; 4-byte Folded Reload
	buffer_load_dword v88, off, s[20:23], 0 offset:500 ; 4-byte Folded Reload
	;; [unrolled: 1-line block ×4, first 2 shown]
	ds_read2_b64 v[105:108], v125 offset0:26 offset1:27
	s_waitcnt vmcnt(0)
	v_mul_f64 v[97:98], v[89:90], v[67:68]
	v_mul_f64 v[67:68], v[87:88], v[67:68]
	v_fma_f64 v[97:98], v[87:88], v[65:66], -v[97:98]
	v_fma_f64 v[67:68], v[89:90], v[65:66], v[67:68]
	s_waitcnt lgkmcnt(0)
	v_mul_f64 v[65:66], v[107:108], v[67:68]
	v_mul_f64 v[99:100], v[105:106], v[67:68]
	v_fma_f64 v[65:66], v[105:106], v[97:98], -v[65:66]
	v_fma_f64 v[99:100], v[107:108], v[97:98], v[99:100]
	ds_read2_b64 v[105:108], v125 offset0:28 offset1:29
	v_add_f64 v[61:62], v[61:62], -v[65:66]
	v_add_f64 v[63:64], v[63:64], -v[99:100]
	s_waitcnt lgkmcnt(0)
	v_mul_f64 v[65:66], v[107:108], v[67:68]
	v_mul_f64 v[99:100], v[105:106], v[67:68]
	v_fma_f64 v[65:66], v[105:106], v[97:98], -v[65:66]
	v_fma_f64 v[99:100], v[107:108], v[97:98], v[99:100]
	ds_read2_b64 v[105:108], v125 offset0:30 offset1:31
	v_add_f64 v[57:58], v[57:58], -v[65:66]
	v_add_f64 v[59:60], v[59:60], -v[99:100]
	s_waitcnt lgkmcnt(0)
	v_mul_f64 v[65:66], v[107:108], v[67:68]
	v_mul_f64 v[99:100], v[105:106], v[67:68]
	v_fma_f64 v[65:66], v[105:106], v[97:98], -v[65:66]
	v_fma_f64 v[99:100], v[107:108], v[97:98], v[99:100]
	ds_read2_b64 v[105:108], v125 offset0:32 offset1:33
	v_add_f64 v[53:54], v[53:54], -v[65:66]
	v_add_f64 v[55:56], v[55:56], -v[99:100]
	s_waitcnt lgkmcnt(0)
	v_mul_f64 v[65:66], v[107:108], v[67:68]
	v_mul_f64 v[99:100], v[105:106], v[67:68]
	v_fma_f64 v[65:66], v[105:106], v[97:98], -v[65:66]
	v_fma_f64 v[99:100], v[107:108], v[97:98], v[99:100]
	ds_read2_b64 v[105:108], v125 offset0:34 offset1:35
	v_add_f64 v[49:50], v[49:50], -v[65:66]
	v_add_f64 v[51:52], v[51:52], -v[99:100]
	s_waitcnt lgkmcnt(0)
	v_mul_f64 v[65:66], v[107:108], v[67:68]
	v_mul_f64 v[99:100], v[105:106], v[67:68]
	v_fma_f64 v[65:66], v[105:106], v[97:98], -v[65:66]
	v_fma_f64 v[99:100], v[107:108], v[97:98], v[99:100]
	ds_read2_b64 v[105:108], v125 offset0:36 offset1:37
	v_add_f64 v[45:46], v[45:46], -v[65:66]
	v_add_f64 v[47:48], v[47:48], -v[99:100]
	s_waitcnt lgkmcnt(0)
	v_mul_f64 v[65:66], v[107:108], v[67:68]
	v_mul_f64 v[99:100], v[105:106], v[67:68]
	v_fma_f64 v[65:66], v[105:106], v[97:98], -v[65:66]
	v_fma_f64 v[99:100], v[107:108], v[97:98], v[99:100]
	ds_read2_b64 v[105:108], v125 offset0:38 offset1:39
	v_add_f64 v[41:42], v[41:42], -v[65:66]
	v_add_f64 v[43:44], v[43:44], -v[99:100]
	s_waitcnt lgkmcnt(0)
	v_mul_f64 v[65:66], v[107:108], v[67:68]
	v_mul_f64 v[99:100], v[105:106], v[67:68]
	v_fma_f64 v[65:66], v[105:106], v[97:98], -v[65:66]
	v_fma_f64 v[99:100], v[107:108], v[97:98], v[99:100]
	ds_read2_b64 v[105:108], v125 offset0:40 offset1:41
	v_add_f64 v[37:38], v[37:38], -v[65:66]
	v_add_f64 v[39:40], v[39:40], -v[99:100]
	s_waitcnt lgkmcnt(0)
	v_mul_f64 v[65:66], v[107:108], v[67:68]
	v_mul_f64 v[99:100], v[105:106], v[67:68]
	v_fma_f64 v[65:66], v[105:106], v[97:98], -v[65:66]
	v_fma_f64 v[99:100], v[107:108], v[97:98], v[99:100]
	ds_read2_b64 v[105:108], v125 offset0:42 offset1:43
	v_add_f64 v[33:34], v[33:34], -v[65:66]
	v_add_f64 v[35:36], v[35:36], -v[99:100]
	s_waitcnt lgkmcnt(0)
	v_mul_f64 v[65:66], v[107:108], v[67:68]
	v_mul_f64 v[99:100], v[105:106], v[67:68]
	v_fma_f64 v[65:66], v[105:106], v[97:98], -v[65:66]
	v_fma_f64 v[99:100], v[107:108], v[97:98], v[99:100]
	ds_read2_b64 v[105:108], v125 offset0:44 offset1:45
	v_add_f64 v[29:30], v[29:30], -v[65:66]
	v_add_f64 v[31:32], v[31:32], -v[99:100]
	s_waitcnt lgkmcnt(0)
	v_mul_f64 v[65:66], v[107:108], v[67:68]
	v_mul_f64 v[99:100], v[105:106], v[67:68]
	v_fma_f64 v[65:66], v[105:106], v[97:98], -v[65:66]
	v_fma_f64 v[99:100], v[107:108], v[97:98], v[99:100]
	ds_read2_b64 v[105:108], v125 offset0:46 offset1:47
	v_add_f64 v[25:26], v[25:26], -v[65:66]
	v_add_f64 v[27:28], v[27:28], -v[99:100]
	s_waitcnt lgkmcnt(0)
	v_mul_f64 v[65:66], v[107:108], v[67:68]
	v_mul_f64 v[99:100], v[105:106], v[67:68]
	v_fma_f64 v[65:66], v[105:106], v[97:98], -v[65:66]
	v_fma_f64 v[99:100], v[107:108], v[97:98], v[99:100]
	ds_read2_b64 v[105:108], v125 offset0:48 offset1:49
	v_add_f64 v[21:22], v[21:22], -v[65:66]
	v_add_f64 v[23:24], v[23:24], -v[99:100]
	s_waitcnt lgkmcnt(0)
	v_mul_f64 v[65:66], v[107:108], v[67:68]
	v_mul_f64 v[99:100], v[105:106], v[67:68]
	v_fma_f64 v[65:66], v[105:106], v[97:98], -v[65:66]
	v_fma_f64 v[99:100], v[107:108], v[97:98], v[99:100]
	ds_read2_b64 v[105:108], v125 offset0:50 offset1:51
	v_add_f64 v[17:18], v[17:18], -v[65:66]
	v_add_f64 v[19:20], v[19:20], -v[99:100]
	s_waitcnt lgkmcnt(0)
	v_mul_f64 v[65:66], v[107:108], v[67:68]
	v_mul_f64 v[99:100], v[105:106], v[67:68]
	v_fma_f64 v[65:66], v[105:106], v[97:98], -v[65:66]
	v_fma_f64 v[99:100], v[107:108], v[97:98], v[99:100]
	ds_read2_b64 v[105:108], v125 offset0:52 offset1:53
	v_add_f64 v[13:14], v[13:14], -v[65:66]
	v_add_f64 v[15:16], v[15:16], -v[99:100]
	s_waitcnt lgkmcnt(0)
	v_mul_f64 v[65:66], v[107:108], v[67:68]
	v_mul_f64 v[99:100], v[105:106], v[67:68]
	v_fma_f64 v[65:66], v[105:106], v[97:98], -v[65:66]
	v_fma_f64 v[99:100], v[107:108], v[97:98], v[99:100]
	ds_read2_b64 v[105:108], v125 offset0:54 offset1:55
	v_add_f64 v[9:10], v[9:10], -v[65:66]
	v_add_f64 v[11:12], v[11:12], -v[99:100]
	s_waitcnt lgkmcnt(0)
	v_mul_f64 v[65:66], v[107:108], v[67:68]
	v_mul_f64 v[99:100], v[105:106], v[67:68]
	v_fma_f64 v[65:66], v[105:106], v[97:98], -v[65:66]
	v_fma_f64 v[99:100], v[107:108], v[97:98], v[99:100]
	ds_read2_b64 v[105:108], v125 offset0:56 offset1:57
	v_add_f64 v[5:6], v[5:6], -v[65:66]
	v_add_f64 v[7:8], v[7:8], -v[99:100]
	s_waitcnt lgkmcnt(0)
	v_mul_f64 v[65:66], v[107:108], v[67:68]
	v_mul_f64 v[99:100], v[105:106], v[67:68]
	v_fma_f64 v[65:66], v[105:106], v[97:98], -v[65:66]
	v_fma_f64 v[99:100], v[107:108], v[97:98], v[99:100]
	ds_read2_b64 v[105:108], v125 offset0:58 offset1:59
	v_add_f64 v[1:2], v[1:2], -v[65:66]
	v_add_f64 v[3:4], v[3:4], -v[99:100]
	s_waitcnt lgkmcnt(0)
	v_mul_f64 v[65:66], v[107:108], v[67:68]
	v_mul_f64 v[99:100], v[105:106], v[67:68]
	v_fma_f64 v[65:66], v[105:106], v[97:98], -v[65:66]
	v_fma_f64 v[99:100], v[107:108], v[97:98], v[99:100]
	v_add_f64 v[101:102], v[101:102], -v[65:66]
	v_add_f64 v[103:104], v[103:104], -v[99:100]
	v_mov_b32_e32 v65, v97
	v_mov_b32_e32 v66, v98
.LBB59_118:
	s_or_b64 exec, exec, s[2:3]
	v_cmp_eq_u32_e32 vcc, 13, v0
	s_waitcnt vmcnt(0)
	s_barrier
	s_and_saveexec_b64 s[4:5], vcc
	s_cbranch_execz .LBB59_125
; %bb.119:
	ds_write2_b64 v127, v[61:62], v[63:64] offset1:1
	ds_write2_b64 v125, v[57:58], v[59:60] offset0:28 offset1:29
	ds_write2_b64 v125, v[53:54], v[55:56] offset0:30 offset1:31
	;; [unrolled: 1-line block ×16, first 2 shown]
	ds_read2_b64 v[97:100], v127 offset1:1
	s_waitcnt lgkmcnt(0)
	v_cmp_neq_f64_e32 vcc, 0, v[97:98]
	v_cmp_neq_f64_e64 s[2:3], 0, v[99:100]
	s_or_b64 s[2:3], vcc, s[2:3]
	s_and_b64 exec, exec, s[2:3]
	s_cbranch_execz .LBB59_125
; %bb.120:
	v_cmp_ngt_f64_e64 s[2:3], |v[97:98]|, |v[99:100]|
                                        ; implicit-def: $vgpr105_vgpr106
	s_and_saveexec_b64 s[6:7], s[2:3]
	s_xor_b64 s[2:3], exec, s[6:7]
                                        ; implicit-def: $vgpr107_vgpr108
	s_cbranch_execz .LBB59_122
; %bb.121:
	v_div_scale_f64 v[105:106], s[6:7], v[99:100], v[99:100], v[97:98]
	v_rcp_f64_e32 v[107:108], v[105:106]
	v_fma_f64 v[109:110], -v[105:106], v[107:108], 1.0
	v_fma_f64 v[107:108], v[107:108], v[109:110], v[107:108]
	v_div_scale_f64 v[109:110], vcc, v[97:98], v[99:100], v[97:98]
	v_fma_f64 v[111:112], -v[105:106], v[107:108], 1.0
	v_fma_f64 v[107:108], v[107:108], v[111:112], v[107:108]
	v_mul_f64 v[111:112], v[109:110], v[107:108]
	v_fma_f64 v[105:106], -v[105:106], v[111:112], v[109:110]
	v_div_fmas_f64 v[105:106], v[105:106], v[107:108], v[111:112]
	v_div_fixup_f64 v[105:106], v[105:106], v[99:100], v[97:98]
	v_fma_f64 v[97:98], v[97:98], v[105:106], v[99:100]
	v_div_scale_f64 v[99:100], s[6:7], v[97:98], v[97:98], 1.0
	v_div_scale_f64 v[111:112], vcc, 1.0, v[97:98], 1.0
	v_rcp_f64_e32 v[107:108], v[99:100]
	v_fma_f64 v[109:110], -v[99:100], v[107:108], 1.0
	v_fma_f64 v[107:108], v[107:108], v[109:110], v[107:108]
	v_fma_f64 v[109:110], -v[99:100], v[107:108], 1.0
	v_fma_f64 v[107:108], v[107:108], v[109:110], v[107:108]
	v_mul_f64 v[109:110], v[111:112], v[107:108]
	v_fma_f64 v[99:100], -v[99:100], v[109:110], v[111:112]
	v_div_fmas_f64 v[99:100], v[99:100], v[107:108], v[109:110]
	v_div_fixup_f64 v[107:108], v[99:100], v[97:98], 1.0
                                        ; implicit-def: $vgpr97_vgpr98
	v_mul_f64 v[105:106], v[105:106], v[107:108]
	v_xor_b32_e32 v108, 0x80000000, v108
.LBB59_122:
	s_andn2_saveexec_b64 s[2:3], s[2:3]
	s_cbranch_execz .LBB59_124
; %bb.123:
	v_div_scale_f64 v[105:106], s[6:7], v[97:98], v[97:98], v[99:100]
	v_rcp_f64_e32 v[107:108], v[105:106]
	v_fma_f64 v[109:110], -v[105:106], v[107:108], 1.0
	v_fma_f64 v[107:108], v[107:108], v[109:110], v[107:108]
	v_div_scale_f64 v[109:110], vcc, v[99:100], v[97:98], v[99:100]
	v_fma_f64 v[111:112], -v[105:106], v[107:108], 1.0
	v_fma_f64 v[107:108], v[107:108], v[111:112], v[107:108]
	v_mul_f64 v[111:112], v[109:110], v[107:108]
	v_fma_f64 v[105:106], -v[105:106], v[111:112], v[109:110]
	v_div_fmas_f64 v[105:106], v[105:106], v[107:108], v[111:112]
	v_div_fixup_f64 v[107:108], v[105:106], v[97:98], v[99:100]
	v_fma_f64 v[97:98], v[99:100], v[107:108], v[97:98]
	v_div_scale_f64 v[99:100], s[6:7], v[97:98], v[97:98], 1.0
	v_div_scale_f64 v[111:112], vcc, 1.0, v[97:98], 1.0
	v_rcp_f64_e32 v[105:106], v[99:100]
	v_fma_f64 v[109:110], -v[99:100], v[105:106], 1.0
	v_fma_f64 v[105:106], v[105:106], v[109:110], v[105:106]
	v_fma_f64 v[109:110], -v[99:100], v[105:106], 1.0
	v_fma_f64 v[105:106], v[105:106], v[109:110], v[105:106]
	v_mul_f64 v[109:110], v[111:112], v[105:106]
	v_fma_f64 v[99:100], -v[99:100], v[109:110], v[111:112]
	v_div_fmas_f64 v[99:100], v[99:100], v[105:106], v[109:110]
	v_div_fixup_f64 v[105:106], v[99:100], v[97:98], 1.0
	v_mul_f64 v[107:108], v[107:108], -v[105:106]
.LBB59_124:
	s_or_b64 exec, exec, s[2:3]
	ds_write2_b64 v127, v[105:106], v[107:108] offset1:1
.LBB59_125:
	s_or_b64 exec, exec, s[4:5]
	s_waitcnt lgkmcnt(0)
	s_barrier
	ds_read2_b64 v[87:90], v127 offset1:1
	v_cmp_lt_u32_e32 vcc, 13, v0
	s_waitcnt lgkmcnt(0)
	buffer_store_dword v87, off, s[20:23], 0 offset:512 ; 4-byte Folded Spill
	s_nop 0
	buffer_store_dword v88, off, s[20:23], 0 offset:516 ; 4-byte Folded Spill
	buffer_store_dword v89, off, s[20:23], 0 offset:520 ; 4-byte Folded Spill
	buffer_store_dword v90, off, s[20:23], 0 offset:524 ; 4-byte Folded Spill
	s_and_saveexec_b64 s[2:3], vcc
	s_cbranch_execz .LBB59_127
; %bb.126:
	buffer_load_dword v87, off, s[20:23], 0 offset:512 ; 4-byte Folded Reload
	buffer_load_dword v88, off, s[20:23], 0 offset:516 ; 4-byte Folded Reload
	buffer_load_dword v89, off, s[20:23], 0 offset:520 ; 4-byte Folded Reload
	buffer_load_dword v90, off, s[20:23], 0 offset:524 ; 4-byte Folded Reload
	ds_read2_b64 v[105:108], v125 offset0:28 offset1:29
	s_waitcnt vmcnt(2)
	v_mul_f64 v[97:98], v[87:88], v[63:64]
	s_waitcnt vmcnt(0)
	v_mul_f64 v[63:64], v[89:90], v[63:64]
	v_fma_f64 v[97:98], v[89:90], v[61:62], v[97:98]
	v_fma_f64 v[61:62], v[87:88], v[61:62], -v[63:64]
	s_waitcnt lgkmcnt(0)
	v_mul_f64 v[63:64], v[107:108], v[97:98]
	v_mul_f64 v[99:100], v[105:106], v[97:98]
	v_fma_f64 v[63:64], v[105:106], v[61:62], -v[63:64]
	v_fma_f64 v[99:100], v[107:108], v[61:62], v[99:100]
	ds_read2_b64 v[105:108], v125 offset0:30 offset1:31
	v_add_f64 v[57:58], v[57:58], -v[63:64]
	v_add_f64 v[59:60], v[59:60], -v[99:100]
	s_waitcnt lgkmcnt(0)
	v_mul_f64 v[63:64], v[107:108], v[97:98]
	v_mul_f64 v[99:100], v[105:106], v[97:98]
	v_fma_f64 v[63:64], v[105:106], v[61:62], -v[63:64]
	v_fma_f64 v[99:100], v[107:108], v[61:62], v[99:100]
	ds_read2_b64 v[105:108], v125 offset0:32 offset1:33
	v_add_f64 v[53:54], v[53:54], -v[63:64]
	v_add_f64 v[55:56], v[55:56], -v[99:100]
	;; [unrolled: 8-line block ×15, first 2 shown]
	s_waitcnt lgkmcnt(0)
	v_mul_f64 v[63:64], v[107:108], v[97:98]
	v_mul_f64 v[99:100], v[105:106], v[97:98]
	v_fma_f64 v[63:64], v[105:106], v[61:62], -v[63:64]
	v_fma_f64 v[99:100], v[107:108], v[61:62], v[99:100]
	v_add_f64 v[101:102], v[101:102], -v[63:64]
	v_add_f64 v[103:104], v[103:104], -v[99:100]
	v_mov_b32_e32 v63, v97
	v_mov_b32_e32 v64, v98
.LBB59_127:
	s_or_b64 exec, exec, s[2:3]
	v_cmp_eq_u32_e32 vcc, 14, v0
	s_waitcnt vmcnt(0)
	s_barrier
	s_and_saveexec_b64 s[4:5], vcc
	s_cbranch_execz .LBB59_134
; %bb.128:
	ds_write2_b64 v127, v[57:58], v[59:60] offset1:1
	ds_write2_b64 v125, v[53:54], v[55:56] offset0:30 offset1:31
	ds_write2_b64 v125, v[49:50], v[51:52] offset0:32 offset1:33
	;; [unrolled: 1-line block ×15, first 2 shown]
	ds_read2_b64 v[97:100], v127 offset1:1
	s_waitcnt lgkmcnt(0)
	v_cmp_neq_f64_e32 vcc, 0, v[97:98]
	v_cmp_neq_f64_e64 s[2:3], 0, v[99:100]
	s_or_b64 s[2:3], vcc, s[2:3]
	s_and_b64 exec, exec, s[2:3]
	s_cbranch_execz .LBB59_134
; %bb.129:
	v_cmp_ngt_f64_e64 s[2:3], |v[97:98]|, |v[99:100]|
                                        ; implicit-def: $vgpr105_vgpr106
	s_and_saveexec_b64 s[6:7], s[2:3]
	s_xor_b64 s[2:3], exec, s[6:7]
                                        ; implicit-def: $vgpr107_vgpr108
	s_cbranch_execz .LBB59_131
; %bb.130:
	v_div_scale_f64 v[105:106], s[6:7], v[99:100], v[99:100], v[97:98]
	v_rcp_f64_e32 v[107:108], v[105:106]
	v_fma_f64 v[109:110], -v[105:106], v[107:108], 1.0
	v_fma_f64 v[107:108], v[107:108], v[109:110], v[107:108]
	v_div_scale_f64 v[109:110], vcc, v[97:98], v[99:100], v[97:98]
	v_fma_f64 v[111:112], -v[105:106], v[107:108], 1.0
	v_fma_f64 v[107:108], v[107:108], v[111:112], v[107:108]
	v_mul_f64 v[111:112], v[109:110], v[107:108]
	v_fma_f64 v[105:106], -v[105:106], v[111:112], v[109:110]
	v_div_fmas_f64 v[105:106], v[105:106], v[107:108], v[111:112]
	v_div_fixup_f64 v[105:106], v[105:106], v[99:100], v[97:98]
	v_fma_f64 v[97:98], v[97:98], v[105:106], v[99:100]
	v_div_scale_f64 v[99:100], s[6:7], v[97:98], v[97:98], 1.0
	v_div_scale_f64 v[111:112], vcc, 1.0, v[97:98], 1.0
	v_rcp_f64_e32 v[107:108], v[99:100]
	v_fma_f64 v[109:110], -v[99:100], v[107:108], 1.0
	v_fma_f64 v[107:108], v[107:108], v[109:110], v[107:108]
	v_fma_f64 v[109:110], -v[99:100], v[107:108], 1.0
	v_fma_f64 v[107:108], v[107:108], v[109:110], v[107:108]
	v_mul_f64 v[109:110], v[111:112], v[107:108]
	v_fma_f64 v[99:100], -v[99:100], v[109:110], v[111:112]
	v_div_fmas_f64 v[99:100], v[99:100], v[107:108], v[109:110]
	v_div_fixup_f64 v[107:108], v[99:100], v[97:98], 1.0
                                        ; implicit-def: $vgpr97_vgpr98
	v_mul_f64 v[105:106], v[105:106], v[107:108]
	v_xor_b32_e32 v108, 0x80000000, v108
.LBB59_131:
	s_andn2_saveexec_b64 s[2:3], s[2:3]
	s_cbranch_execz .LBB59_133
; %bb.132:
	v_div_scale_f64 v[105:106], s[6:7], v[97:98], v[97:98], v[99:100]
	v_rcp_f64_e32 v[107:108], v[105:106]
	v_fma_f64 v[109:110], -v[105:106], v[107:108], 1.0
	v_fma_f64 v[107:108], v[107:108], v[109:110], v[107:108]
	v_div_scale_f64 v[109:110], vcc, v[99:100], v[97:98], v[99:100]
	v_fma_f64 v[111:112], -v[105:106], v[107:108], 1.0
	v_fma_f64 v[107:108], v[107:108], v[111:112], v[107:108]
	v_mul_f64 v[111:112], v[109:110], v[107:108]
	v_fma_f64 v[105:106], -v[105:106], v[111:112], v[109:110]
	v_div_fmas_f64 v[105:106], v[105:106], v[107:108], v[111:112]
	v_div_fixup_f64 v[107:108], v[105:106], v[97:98], v[99:100]
	v_fma_f64 v[97:98], v[99:100], v[107:108], v[97:98]
	v_div_scale_f64 v[99:100], s[6:7], v[97:98], v[97:98], 1.0
	v_div_scale_f64 v[111:112], vcc, 1.0, v[97:98], 1.0
	v_rcp_f64_e32 v[105:106], v[99:100]
	v_fma_f64 v[109:110], -v[99:100], v[105:106], 1.0
	v_fma_f64 v[105:106], v[105:106], v[109:110], v[105:106]
	v_fma_f64 v[109:110], -v[99:100], v[105:106], 1.0
	v_fma_f64 v[105:106], v[105:106], v[109:110], v[105:106]
	v_mul_f64 v[109:110], v[111:112], v[105:106]
	v_fma_f64 v[99:100], -v[99:100], v[109:110], v[111:112]
	v_div_fmas_f64 v[99:100], v[99:100], v[105:106], v[109:110]
	v_div_fixup_f64 v[105:106], v[99:100], v[97:98], 1.0
	v_mul_f64 v[107:108], v[107:108], -v[105:106]
.LBB59_133:
	s_or_b64 exec, exec, s[2:3]
	ds_write2_b64 v127, v[105:106], v[107:108] offset1:1
.LBB59_134:
	s_or_b64 exec, exec, s[4:5]
	s_waitcnt lgkmcnt(0)
	s_barrier
	ds_read2_b64 v[87:90], v127 offset1:1
	v_cmp_lt_u32_e32 vcc, 14, v0
	s_waitcnt lgkmcnt(0)
	buffer_store_dword v87, off, s[20:23], 0 offset:528 ; 4-byte Folded Spill
	s_nop 0
	buffer_store_dword v88, off, s[20:23], 0 offset:532 ; 4-byte Folded Spill
	buffer_store_dword v89, off, s[20:23], 0 offset:536 ; 4-byte Folded Spill
	;; [unrolled: 1-line block ×3, first 2 shown]
	s_and_saveexec_b64 s[2:3], vcc
	s_cbranch_execz .LBB59_136
; %bb.135:
	buffer_load_dword v87, off, s[20:23], 0 offset:528 ; 4-byte Folded Reload
	buffer_load_dword v88, off, s[20:23], 0 offset:532 ; 4-byte Folded Reload
	buffer_load_dword v89, off, s[20:23], 0 offset:536 ; 4-byte Folded Reload
	buffer_load_dword v90, off, s[20:23], 0 offset:540 ; 4-byte Folded Reload
	ds_read2_b64 v[105:108], v125 offset0:30 offset1:31
	s_waitcnt vmcnt(2)
	v_mul_f64 v[97:98], v[87:88], v[59:60]
	s_waitcnt vmcnt(0)
	v_mul_f64 v[59:60], v[89:90], v[59:60]
	v_fma_f64 v[97:98], v[89:90], v[57:58], v[97:98]
	v_fma_f64 v[57:58], v[87:88], v[57:58], -v[59:60]
	s_waitcnt lgkmcnt(0)
	v_mul_f64 v[59:60], v[107:108], v[97:98]
	v_mul_f64 v[99:100], v[105:106], v[97:98]
	v_fma_f64 v[59:60], v[105:106], v[57:58], -v[59:60]
	v_fma_f64 v[99:100], v[107:108], v[57:58], v[99:100]
	ds_read2_b64 v[105:108], v125 offset0:32 offset1:33
	v_add_f64 v[53:54], v[53:54], -v[59:60]
	v_add_f64 v[55:56], v[55:56], -v[99:100]
	s_waitcnt lgkmcnt(0)
	v_mul_f64 v[59:60], v[107:108], v[97:98]
	v_mul_f64 v[99:100], v[105:106], v[97:98]
	v_fma_f64 v[59:60], v[105:106], v[57:58], -v[59:60]
	v_fma_f64 v[99:100], v[107:108], v[57:58], v[99:100]
	ds_read2_b64 v[105:108], v125 offset0:34 offset1:35
	v_add_f64 v[49:50], v[49:50], -v[59:60]
	v_add_f64 v[51:52], v[51:52], -v[99:100]
	;; [unrolled: 8-line block ×14, first 2 shown]
	s_waitcnt lgkmcnt(0)
	v_mul_f64 v[59:60], v[107:108], v[97:98]
	v_mul_f64 v[99:100], v[105:106], v[97:98]
	v_fma_f64 v[59:60], v[105:106], v[57:58], -v[59:60]
	v_fma_f64 v[99:100], v[107:108], v[57:58], v[99:100]
	v_add_f64 v[101:102], v[101:102], -v[59:60]
	v_add_f64 v[103:104], v[103:104], -v[99:100]
	v_mov_b32_e32 v59, v97
	v_mov_b32_e32 v60, v98
.LBB59_136:
	s_or_b64 exec, exec, s[2:3]
	v_cmp_eq_u32_e32 vcc, 15, v0
	s_waitcnt vmcnt(0)
	s_barrier
	s_and_saveexec_b64 s[4:5], vcc
	s_cbranch_execz .LBB59_143
; %bb.137:
	ds_write2_b64 v127, v[53:54], v[55:56] offset1:1
	ds_write2_b64 v125, v[49:50], v[51:52] offset0:32 offset1:33
	ds_write2_b64 v125, v[45:46], v[47:48] offset0:34 offset1:35
	;; [unrolled: 1-line block ×14, first 2 shown]
	ds_read2_b64 v[97:100], v127 offset1:1
	s_waitcnt lgkmcnt(0)
	v_cmp_neq_f64_e32 vcc, 0, v[97:98]
	v_cmp_neq_f64_e64 s[2:3], 0, v[99:100]
	s_or_b64 s[2:3], vcc, s[2:3]
	s_and_b64 exec, exec, s[2:3]
	s_cbranch_execz .LBB59_143
; %bb.138:
	v_cmp_ngt_f64_e64 s[2:3], |v[97:98]|, |v[99:100]|
                                        ; implicit-def: $vgpr105_vgpr106
	s_and_saveexec_b64 s[6:7], s[2:3]
	s_xor_b64 s[2:3], exec, s[6:7]
                                        ; implicit-def: $vgpr107_vgpr108
	s_cbranch_execz .LBB59_140
; %bb.139:
	v_div_scale_f64 v[105:106], s[6:7], v[99:100], v[99:100], v[97:98]
	v_rcp_f64_e32 v[107:108], v[105:106]
	v_fma_f64 v[109:110], -v[105:106], v[107:108], 1.0
	v_fma_f64 v[107:108], v[107:108], v[109:110], v[107:108]
	v_div_scale_f64 v[109:110], vcc, v[97:98], v[99:100], v[97:98]
	v_fma_f64 v[111:112], -v[105:106], v[107:108], 1.0
	v_fma_f64 v[107:108], v[107:108], v[111:112], v[107:108]
	v_mul_f64 v[111:112], v[109:110], v[107:108]
	v_fma_f64 v[105:106], -v[105:106], v[111:112], v[109:110]
	v_div_fmas_f64 v[105:106], v[105:106], v[107:108], v[111:112]
	v_div_fixup_f64 v[105:106], v[105:106], v[99:100], v[97:98]
	v_fma_f64 v[97:98], v[97:98], v[105:106], v[99:100]
	v_div_scale_f64 v[99:100], s[6:7], v[97:98], v[97:98], 1.0
	v_div_scale_f64 v[111:112], vcc, 1.0, v[97:98], 1.0
	v_rcp_f64_e32 v[107:108], v[99:100]
	v_fma_f64 v[109:110], -v[99:100], v[107:108], 1.0
	v_fma_f64 v[107:108], v[107:108], v[109:110], v[107:108]
	v_fma_f64 v[109:110], -v[99:100], v[107:108], 1.0
	v_fma_f64 v[107:108], v[107:108], v[109:110], v[107:108]
	v_mul_f64 v[109:110], v[111:112], v[107:108]
	v_fma_f64 v[99:100], -v[99:100], v[109:110], v[111:112]
	v_div_fmas_f64 v[99:100], v[99:100], v[107:108], v[109:110]
	v_div_fixup_f64 v[107:108], v[99:100], v[97:98], 1.0
                                        ; implicit-def: $vgpr97_vgpr98
	v_mul_f64 v[105:106], v[105:106], v[107:108]
	v_xor_b32_e32 v108, 0x80000000, v108
.LBB59_140:
	s_andn2_saveexec_b64 s[2:3], s[2:3]
	s_cbranch_execz .LBB59_142
; %bb.141:
	v_div_scale_f64 v[105:106], s[6:7], v[97:98], v[97:98], v[99:100]
	v_rcp_f64_e32 v[107:108], v[105:106]
	v_fma_f64 v[109:110], -v[105:106], v[107:108], 1.0
	v_fma_f64 v[107:108], v[107:108], v[109:110], v[107:108]
	v_div_scale_f64 v[109:110], vcc, v[99:100], v[97:98], v[99:100]
	v_fma_f64 v[111:112], -v[105:106], v[107:108], 1.0
	v_fma_f64 v[107:108], v[107:108], v[111:112], v[107:108]
	v_mul_f64 v[111:112], v[109:110], v[107:108]
	v_fma_f64 v[105:106], -v[105:106], v[111:112], v[109:110]
	v_div_fmas_f64 v[105:106], v[105:106], v[107:108], v[111:112]
	v_div_fixup_f64 v[107:108], v[105:106], v[97:98], v[99:100]
	v_fma_f64 v[97:98], v[99:100], v[107:108], v[97:98]
	v_div_scale_f64 v[99:100], s[6:7], v[97:98], v[97:98], 1.0
	v_div_scale_f64 v[111:112], vcc, 1.0, v[97:98], 1.0
	v_rcp_f64_e32 v[105:106], v[99:100]
	v_fma_f64 v[109:110], -v[99:100], v[105:106], 1.0
	v_fma_f64 v[105:106], v[105:106], v[109:110], v[105:106]
	v_fma_f64 v[109:110], -v[99:100], v[105:106], 1.0
	v_fma_f64 v[105:106], v[105:106], v[109:110], v[105:106]
	v_mul_f64 v[109:110], v[111:112], v[105:106]
	v_fma_f64 v[99:100], -v[99:100], v[109:110], v[111:112]
	v_div_fmas_f64 v[99:100], v[99:100], v[105:106], v[109:110]
	v_div_fixup_f64 v[105:106], v[99:100], v[97:98], 1.0
	v_mul_f64 v[107:108], v[107:108], -v[105:106]
.LBB59_142:
	s_or_b64 exec, exec, s[2:3]
	ds_write2_b64 v127, v[105:106], v[107:108] offset1:1
.LBB59_143:
	s_or_b64 exec, exec, s[4:5]
	s_waitcnt lgkmcnt(0)
	s_barrier
	ds_read2_b64 v[87:90], v127 offset1:1
	v_cmp_lt_u32_e32 vcc, 15, v0
	s_waitcnt lgkmcnt(0)
	buffer_store_dword v87, off, s[20:23], 0 offset:544 ; 4-byte Folded Spill
	s_nop 0
	buffer_store_dword v88, off, s[20:23], 0 offset:548 ; 4-byte Folded Spill
	buffer_store_dword v89, off, s[20:23], 0 offset:552 ; 4-byte Folded Spill
	buffer_store_dword v90, off, s[20:23], 0 offset:556 ; 4-byte Folded Spill
	s_and_saveexec_b64 s[2:3], vcc
	s_cbranch_execz .LBB59_145
; %bb.144:
	buffer_load_dword v87, off, s[20:23], 0 offset:544 ; 4-byte Folded Reload
	buffer_load_dword v88, off, s[20:23], 0 offset:548 ; 4-byte Folded Reload
	;; [unrolled: 1-line block ×4, first 2 shown]
	ds_read2_b64 v[105:108], v125 offset0:32 offset1:33
	s_waitcnt vmcnt(2)
	v_mul_f64 v[97:98], v[87:88], v[55:56]
	s_waitcnt vmcnt(0)
	v_mul_f64 v[55:56], v[89:90], v[55:56]
	v_fma_f64 v[97:98], v[89:90], v[53:54], v[97:98]
	v_fma_f64 v[53:54], v[87:88], v[53:54], -v[55:56]
	s_waitcnt lgkmcnt(0)
	v_mul_f64 v[55:56], v[107:108], v[97:98]
	v_mul_f64 v[99:100], v[105:106], v[97:98]
	v_fma_f64 v[55:56], v[105:106], v[53:54], -v[55:56]
	v_fma_f64 v[99:100], v[107:108], v[53:54], v[99:100]
	ds_read2_b64 v[105:108], v125 offset0:34 offset1:35
	v_add_f64 v[49:50], v[49:50], -v[55:56]
	v_add_f64 v[51:52], v[51:52], -v[99:100]
	s_waitcnt lgkmcnt(0)
	v_mul_f64 v[55:56], v[107:108], v[97:98]
	v_mul_f64 v[99:100], v[105:106], v[97:98]
	v_fma_f64 v[55:56], v[105:106], v[53:54], -v[55:56]
	v_fma_f64 v[99:100], v[107:108], v[53:54], v[99:100]
	ds_read2_b64 v[105:108], v125 offset0:36 offset1:37
	v_add_f64 v[45:46], v[45:46], -v[55:56]
	v_add_f64 v[47:48], v[47:48], -v[99:100]
	;; [unrolled: 8-line block ×13, first 2 shown]
	s_waitcnt lgkmcnt(0)
	v_mul_f64 v[55:56], v[107:108], v[97:98]
	v_mul_f64 v[99:100], v[105:106], v[97:98]
	v_fma_f64 v[55:56], v[105:106], v[53:54], -v[55:56]
	v_fma_f64 v[99:100], v[107:108], v[53:54], v[99:100]
	v_add_f64 v[101:102], v[101:102], -v[55:56]
	v_add_f64 v[103:104], v[103:104], -v[99:100]
	v_mov_b32_e32 v55, v97
	v_mov_b32_e32 v56, v98
.LBB59_145:
	s_or_b64 exec, exec, s[2:3]
	v_cmp_eq_u32_e32 vcc, 16, v0
	s_waitcnt vmcnt(0)
	s_barrier
	s_and_saveexec_b64 s[4:5], vcc
	s_cbranch_execz .LBB59_152
; %bb.146:
	ds_write2_b64 v127, v[49:50], v[51:52] offset1:1
	ds_write2_b64 v125, v[45:46], v[47:48] offset0:34 offset1:35
	ds_write2_b64 v125, v[41:42], v[43:44] offset0:36 offset1:37
	;; [unrolled: 1-line block ×13, first 2 shown]
	ds_read2_b64 v[97:100], v127 offset1:1
	s_waitcnt lgkmcnt(0)
	v_cmp_neq_f64_e32 vcc, 0, v[97:98]
	v_cmp_neq_f64_e64 s[2:3], 0, v[99:100]
	s_or_b64 s[2:3], vcc, s[2:3]
	s_and_b64 exec, exec, s[2:3]
	s_cbranch_execz .LBB59_152
; %bb.147:
	v_cmp_ngt_f64_e64 s[2:3], |v[97:98]|, |v[99:100]|
                                        ; implicit-def: $vgpr105_vgpr106
	s_and_saveexec_b64 s[6:7], s[2:3]
	s_xor_b64 s[2:3], exec, s[6:7]
                                        ; implicit-def: $vgpr107_vgpr108
	s_cbranch_execz .LBB59_149
; %bb.148:
	v_div_scale_f64 v[105:106], s[6:7], v[99:100], v[99:100], v[97:98]
	v_rcp_f64_e32 v[107:108], v[105:106]
	v_fma_f64 v[109:110], -v[105:106], v[107:108], 1.0
	v_fma_f64 v[107:108], v[107:108], v[109:110], v[107:108]
	v_div_scale_f64 v[109:110], vcc, v[97:98], v[99:100], v[97:98]
	v_fma_f64 v[111:112], -v[105:106], v[107:108], 1.0
	v_fma_f64 v[107:108], v[107:108], v[111:112], v[107:108]
	v_mul_f64 v[111:112], v[109:110], v[107:108]
	v_fma_f64 v[105:106], -v[105:106], v[111:112], v[109:110]
	v_div_fmas_f64 v[105:106], v[105:106], v[107:108], v[111:112]
	v_div_fixup_f64 v[105:106], v[105:106], v[99:100], v[97:98]
	v_fma_f64 v[97:98], v[97:98], v[105:106], v[99:100]
	v_div_scale_f64 v[99:100], s[6:7], v[97:98], v[97:98], 1.0
	v_div_scale_f64 v[111:112], vcc, 1.0, v[97:98], 1.0
	v_rcp_f64_e32 v[107:108], v[99:100]
	v_fma_f64 v[109:110], -v[99:100], v[107:108], 1.0
	v_fma_f64 v[107:108], v[107:108], v[109:110], v[107:108]
	v_fma_f64 v[109:110], -v[99:100], v[107:108], 1.0
	v_fma_f64 v[107:108], v[107:108], v[109:110], v[107:108]
	v_mul_f64 v[109:110], v[111:112], v[107:108]
	v_fma_f64 v[99:100], -v[99:100], v[109:110], v[111:112]
	v_div_fmas_f64 v[99:100], v[99:100], v[107:108], v[109:110]
	v_div_fixup_f64 v[107:108], v[99:100], v[97:98], 1.0
                                        ; implicit-def: $vgpr97_vgpr98
	v_mul_f64 v[105:106], v[105:106], v[107:108]
	v_xor_b32_e32 v108, 0x80000000, v108
.LBB59_149:
	s_andn2_saveexec_b64 s[2:3], s[2:3]
	s_cbranch_execz .LBB59_151
; %bb.150:
	v_div_scale_f64 v[105:106], s[6:7], v[97:98], v[97:98], v[99:100]
	v_rcp_f64_e32 v[107:108], v[105:106]
	v_fma_f64 v[109:110], -v[105:106], v[107:108], 1.0
	v_fma_f64 v[107:108], v[107:108], v[109:110], v[107:108]
	v_div_scale_f64 v[109:110], vcc, v[99:100], v[97:98], v[99:100]
	v_fma_f64 v[111:112], -v[105:106], v[107:108], 1.0
	v_fma_f64 v[107:108], v[107:108], v[111:112], v[107:108]
	v_mul_f64 v[111:112], v[109:110], v[107:108]
	v_fma_f64 v[105:106], -v[105:106], v[111:112], v[109:110]
	v_div_fmas_f64 v[105:106], v[105:106], v[107:108], v[111:112]
	v_div_fixup_f64 v[107:108], v[105:106], v[97:98], v[99:100]
	v_fma_f64 v[97:98], v[99:100], v[107:108], v[97:98]
	v_div_scale_f64 v[99:100], s[6:7], v[97:98], v[97:98], 1.0
	v_div_scale_f64 v[111:112], vcc, 1.0, v[97:98], 1.0
	v_rcp_f64_e32 v[105:106], v[99:100]
	v_fma_f64 v[109:110], -v[99:100], v[105:106], 1.0
	v_fma_f64 v[105:106], v[105:106], v[109:110], v[105:106]
	v_fma_f64 v[109:110], -v[99:100], v[105:106], 1.0
	v_fma_f64 v[105:106], v[105:106], v[109:110], v[105:106]
	v_mul_f64 v[109:110], v[111:112], v[105:106]
	v_fma_f64 v[99:100], -v[99:100], v[109:110], v[111:112]
	v_div_fmas_f64 v[99:100], v[99:100], v[105:106], v[109:110]
	v_div_fixup_f64 v[105:106], v[99:100], v[97:98], 1.0
	v_mul_f64 v[107:108], v[107:108], -v[105:106]
.LBB59_151:
	s_or_b64 exec, exec, s[2:3]
	ds_write2_b64 v127, v[105:106], v[107:108] offset1:1
.LBB59_152:
	s_or_b64 exec, exec, s[4:5]
	s_waitcnt lgkmcnt(0)
	s_barrier
	ds_read2_b64 v[87:90], v127 offset1:1
	v_cmp_lt_u32_e32 vcc, 16, v0
	s_waitcnt lgkmcnt(0)
	buffer_store_dword v87, off, s[20:23], 0 offset:560 ; 4-byte Folded Spill
	s_nop 0
	buffer_store_dword v88, off, s[20:23], 0 offset:564 ; 4-byte Folded Spill
	buffer_store_dword v89, off, s[20:23], 0 offset:568 ; 4-byte Folded Spill
	;; [unrolled: 1-line block ×3, first 2 shown]
	s_and_saveexec_b64 s[2:3], vcc
	s_cbranch_execz .LBB59_154
; %bb.153:
	buffer_load_dword v87, off, s[20:23], 0 offset:560 ; 4-byte Folded Reload
	buffer_load_dword v88, off, s[20:23], 0 offset:564 ; 4-byte Folded Reload
	buffer_load_dword v89, off, s[20:23], 0 offset:568 ; 4-byte Folded Reload
	buffer_load_dword v90, off, s[20:23], 0 offset:572 ; 4-byte Folded Reload
	ds_read2_b64 v[105:108], v125 offset0:34 offset1:35
	s_waitcnt vmcnt(2)
	v_mul_f64 v[97:98], v[87:88], v[51:52]
	s_waitcnt vmcnt(0)
	v_mul_f64 v[51:52], v[89:90], v[51:52]
	v_fma_f64 v[97:98], v[89:90], v[49:50], v[97:98]
	v_fma_f64 v[49:50], v[87:88], v[49:50], -v[51:52]
	s_waitcnt lgkmcnt(0)
	v_mul_f64 v[51:52], v[107:108], v[97:98]
	v_mul_f64 v[99:100], v[105:106], v[97:98]
	v_fma_f64 v[51:52], v[105:106], v[49:50], -v[51:52]
	v_fma_f64 v[99:100], v[107:108], v[49:50], v[99:100]
	ds_read2_b64 v[105:108], v125 offset0:36 offset1:37
	v_add_f64 v[45:46], v[45:46], -v[51:52]
	v_add_f64 v[47:48], v[47:48], -v[99:100]
	s_waitcnt lgkmcnt(0)
	v_mul_f64 v[51:52], v[107:108], v[97:98]
	v_mul_f64 v[99:100], v[105:106], v[97:98]
	v_fma_f64 v[51:52], v[105:106], v[49:50], -v[51:52]
	v_fma_f64 v[99:100], v[107:108], v[49:50], v[99:100]
	ds_read2_b64 v[105:108], v125 offset0:38 offset1:39
	v_add_f64 v[41:42], v[41:42], -v[51:52]
	v_add_f64 v[43:44], v[43:44], -v[99:100]
	;; [unrolled: 8-line block ×12, first 2 shown]
	s_waitcnt lgkmcnt(0)
	v_mul_f64 v[51:52], v[107:108], v[97:98]
	v_mul_f64 v[99:100], v[105:106], v[97:98]
	v_fma_f64 v[51:52], v[105:106], v[49:50], -v[51:52]
	v_fma_f64 v[99:100], v[107:108], v[49:50], v[99:100]
	v_add_f64 v[101:102], v[101:102], -v[51:52]
	v_add_f64 v[103:104], v[103:104], -v[99:100]
	v_mov_b32_e32 v51, v97
	v_mov_b32_e32 v52, v98
.LBB59_154:
	s_or_b64 exec, exec, s[2:3]
	v_cmp_eq_u32_e32 vcc, 17, v0
	s_waitcnt vmcnt(0)
	s_barrier
	s_and_saveexec_b64 s[4:5], vcc
	s_cbranch_execz .LBB59_161
; %bb.155:
	ds_write2_b64 v127, v[45:46], v[47:48] offset1:1
	ds_write2_b64 v125, v[41:42], v[43:44] offset0:36 offset1:37
	ds_write2_b64 v125, v[37:38], v[39:40] offset0:38 offset1:39
	;; [unrolled: 1-line block ×12, first 2 shown]
	ds_read2_b64 v[97:100], v127 offset1:1
	s_waitcnt lgkmcnt(0)
	v_cmp_neq_f64_e32 vcc, 0, v[97:98]
	v_cmp_neq_f64_e64 s[2:3], 0, v[99:100]
	s_or_b64 s[2:3], vcc, s[2:3]
	s_and_b64 exec, exec, s[2:3]
	s_cbranch_execz .LBB59_161
; %bb.156:
	v_cmp_ngt_f64_e64 s[2:3], |v[97:98]|, |v[99:100]|
                                        ; implicit-def: $vgpr105_vgpr106
	s_and_saveexec_b64 s[6:7], s[2:3]
	s_xor_b64 s[2:3], exec, s[6:7]
                                        ; implicit-def: $vgpr107_vgpr108
	s_cbranch_execz .LBB59_158
; %bb.157:
	v_div_scale_f64 v[105:106], s[6:7], v[99:100], v[99:100], v[97:98]
	v_rcp_f64_e32 v[107:108], v[105:106]
	v_fma_f64 v[109:110], -v[105:106], v[107:108], 1.0
	v_fma_f64 v[107:108], v[107:108], v[109:110], v[107:108]
	v_div_scale_f64 v[109:110], vcc, v[97:98], v[99:100], v[97:98]
	v_fma_f64 v[111:112], -v[105:106], v[107:108], 1.0
	v_fma_f64 v[107:108], v[107:108], v[111:112], v[107:108]
	v_mul_f64 v[111:112], v[109:110], v[107:108]
	v_fma_f64 v[105:106], -v[105:106], v[111:112], v[109:110]
	v_div_fmas_f64 v[105:106], v[105:106], v[107:108], v[111:112]
	v_div_fixup_f64 v[105:106], v[105:106], v[99:100], v[97:98]
	v_fma_f64 v[97:98], v[97:98], v[105:106], v[99:100]
	v_div_scale_f64 v[99:100], s[6:7], v[97:98], v[97:98], 1.0
	v_div_scale_f64 v[111:112], vcc, 1.0, v[97:98], 1.0
	v_rcp_f64_e32 v[107:108], v[99:100]
	v_fma_f64 v[109:110], -v[99:100], v[107:108], 1.0
	v_fma_f64 v[107:108], v[107:108], v[109:110], v[107:108]
	v_fma_f64 v[109:110], -v[99:100], v[107:108], 1.0
	v_fma_f64 v[107:108], v[107:108], v[109:110], v[107:108]
	v_mul_f64 v[109:110], v[111:112], v[107:108]
	v_fma_f64 v[99:100], -v[99:100], v[109:110], v[111:112]
	v_div_fmas_f64 v[99:100], v[99:100], v[107:108], v[109:110]
	v_div_fixup_f64 v[107:108], v[99:100], v[97:98], 1.0
                                        ; implicit-def: $vgpr97_vgpr98
	v_mul_f64 v[105:106], v[105:106], v[107:108]
	v_xor_b32_e32 v108, 0x80000000, v108
.LBB59_158:
	s_andn2_saveexec_b64 s[2:3], s[2:3]
	s_cbranch_execz .LBB59_160
; %bb.159:
	v_div_scale_f64 v[105:106], s[6:7], v[97:98], v[97:98], v[99:100]
	v_rcp_f64_e32 v[107:108], v[105:106]
	v_fma_f64 v[109:110], -v[105:106], v[107:108], 1.0
	v_fma_f64 v[107:108], v[107:108], v[109:110], v[107:108]
	v_div_scale_f64 v[109:110], vcc, v[99:100], v[97:98], v[99:100]
	v_fma_f64 v[111:112], -v[105:106], v[107:108], 1.0
	v_fma_f64 v[107:108], v[107:108], v[111:112], v[107:108]
	v_mul_f64 v[111:112], v[109:110], v[107:108]
	v_fma_f64 v[105:106], -v[105:106], v[111:112], v[109:110]
	v_div_fmas_f64 v[105:106], v[105:106], v[107:108], v[111:112]
	v_div_fixup_f64 v[107:108], v[105:106], v[97:98], v[99:100]
	v_fma_f64 v[97:98], v[99:100], v[107:108], v[97:98]
	v_div_scale_f64 v[99:100], s[6:7], v[97:98], v[97:98], 1.0
	v_div_scale_f64 v[111:112], vcc, 1.0, v[97:98], 1.0
	v_rcp_f64_e32 v[105:106], v[99:100]
	v_fma_f64 v[109:110], -v[99:100], v[105:106], 1.0
	v_fma_f64 v[105:106], v[105:106], v[109:110], v[105:106]
	v_fma_f64 v[109:110], -v[99:100], v[105:106], 1.0
	v_fma_f64 v[105:106], v[105:106], v[109:110], v[105:106]
	v_mul_f64 v[109:110], v[111:112], v[105:106]
	v_fma_f64 v[99:100], -v[99:100], v[109:110], v[111:112]
	v_div_fmas_f64 v[99:100], v[99:100], v[105:106], v[109:110]
	v_div_fixup_f64 v[105:106], v[99:100], v[97:98], 1.0
	v_mul_f64 v[107:108], v[107:108], -v[105:106]
.LBB59_160:
	s_or_b64 exec, exec, s[2:3]
	ds_write2_b64 v127, v[105:106], v[107:108] offset1:1
.LBB59_161:
	s_or_b64 exec, exec, s[4:5]
	s_waitcnt lgkmcnt(0)
	s_barrier
	ds_read2_b64 v[87:90], v127 offset1:1
	v_cmp_lt_u32_e32 vcc, 17, v0
	s_waitcnt lgkmcnt(0)
	buffer_store_dword v87, off, s[20:23], 0 offset:576 ; 4-byte Folded Spill
	s_nop 0
	buffer_store_dword v88, off, s[20:23], 0 offset:580 ; 4-byte Folded Spill
	buffer_store_dword v89, off, s[20:23], 0 offset:584 ; 4-byte Folded Spill
	;; [unrolled: 1-line block ×3, first 2 shown]
	s_and_saveexec_b64 s[2:3], vcc
	s_cbranch_execz .LBB59_163
; %bb.162:
	buffer_load_dword v87, off, s[20:23], 0 offset:576 ; 4-byte Folded Reload
	buffer_load_dword v88, off, s[20:23], 0 offset:580 ; 4-byte Folded Reload
	;; [unrolled: 1-line block ×4, first 2 shown]
	ds_read2_b64 v[105:108], v125 offset0:36 offset1:37
	s_waitcnt vmcnt(2)
	v_mul_f64 v[97:98], v[87:88], v[47:48]
	s_waitcnt vmcnt(0)
	v_mul_f64 v[47:48], v[89:90], v[47:48]
	v_fma_f64 v[97:98], v[89:90], v[45:46], v[97:98]
	v_fma_f64 v[45:46], v[87:88], v[45:46], -v[47:48]
	s_waitcnt lgkmcnt(0)
	v_mul_f64 v[47:48], v[107:108], v[97:98]
	v_mul_f64 v[99:100], v[105:106], v[97:98]
	v_fma_f64 v[47:48], v[105:106], v[45:46], -v[47:48]
	v_fma_f64 v[99:100], v[107:108], v[45:46], v[99:100]
	ds_read2_b64 v[105:108], v125 offset0:38 offset1:39
	v_add_f64 v[41:42], v[41:42], -v[47:48]
	v_add_f64 v[43:44], v[43:44], -v[99:100]
	s_waitcnt lgkmcnt(0)
	v_mul_f64 v[47:48], v[107:108], v[97:98]
	v_mul_f64 v[99:100], v[105:106], v[97:98]
	v_fma_f64 v[47:48], v[105:106], v[45:46], -v[47:48]
	v_fma_f64 v[99:100], v[107:108], v[45:46], v[99:100]
	ds_read2_b64 v[105:108], v125 offset0:40 offset1:41
	v_add_f64 v[37:38], v[37:38], -v[47:48]
	v_add_f64 v[39:40], v[39:40], -v[99:100]
	s_waitcnt lgkmcnt(0)
	v_mul_f64 v[47:48], v[107:108], v[97:98]
	v_mul_f64 v[99:100], v[105:106], v[97:98]
	v_fma_f64 v[47:48], v[105:106], v[45:46], -v[47:48]
	v_fma_f64 v[99:100], v[107:108], v[45:46], v[99:100]
	ds_read2_b64 v[105:108], v125 offset0:42 offset1:43
	v_add_f64 v[33:34], v[33:34], -v[47:48]
	v_add_f64 v[35:36], v[35:36], -v[99:100]
	s_waitcnt lgkmcnt(0)
	v_mul_f64 v[47:48], v[107:108], v[97:98]
	v_mul_f64 v[99:100], v[105:106], v[97:98]
	v_fma_f64 v[47:48], v[105:106], v[45:46], -v[47:48]
	v_fma_f64 v[99:100], v[107:108], v[45:46], v[99:100]
	ds_read2_b64 v[105:108], v125 offset0:44 offset1:45
	v_add_f64 v[29:30], v[29:30], -v[47:48]
	v_add_f64 v[31:32], v[31:32], -v[99:100]
	s_waitcnt lgkmcnt(0)
	v_mul_f64 v[47:48], v[107:108], v[97:98]
	v_mul_f64 v[99:100], v[105:106], v[97:98]
	v_fma_f64 v[47:48], v[105:106], v[45:46], -v[47:48]
	v_fma_f64 v[99:100], v[107:108], v[45:46], v[99:100]
	ds_read2_b64 v[105:108], v125 offset0:46 offset1:47
	v_add_f64 v[25:26], v[25:26], -v[47:48]
	v_add_f64 v[27:28], v[27:28], -v[99:100]
	s_waitcnt lgkmcnt(0)
	v_mul_f64 v[47:48], v[107:108], v[97:98]
	v_mul_f64 v[99:100], v[105:106], v[97:98]
	v_fma_f64 v[47:48], v[105:106], v[45:46], -v[47:48]
	v_fma_f64 v[99:100], v[107:108], v[45:46], v[99:100]
	ds_read2_b64 v[105:108], v125 offset0:48 offset1:49
	v_add_f64 v[21:22], v[21:22], -v[47:48]
	v_add_f64 v[23:24], v[23:24], -v[99:100]
	s_waitcnt lgkmcnt(0)
	v_mul_f64 v[47:48], v[107:108], v[97:98]
	v_mul_f64 v[99:100], v[105:106], v[97:98]
	v_fma_f64 v[47:48], v[105:106], v[45:46], -v[47:48]
	v_fma_f64 v[99:100], v[107:108], v[45:46], v[99:100]
	ds_read2_b64 v[105:108], v125 offset0:50 offset1:51
	v_add_f64 v[17:18], v[17:18], -v[47:48]
	v_add_f64 v[19:20], v[19:20], -v[99:100]
	s_waitcnt lgkmcnt(0)
	v_mul_f64 v[47:48], v[107:108], v[97:98]
	v_mul_f64 v[99:100], v[105:106], v[97:98]
	v_fma_f64 v[47:48], v[105:106], v[45:46], -v[47:48]
	v_fma_f64 v[99:100], v[107:108], v[45:46], v[99:100]
	ds_read2_b64 v[105:108], v125 offset0:52 offset1:53
	v_add_f64 v[13:14], v[13:14], -v[47:48]
	v_add_f64 v[15:16], v[15:16], -v[99:100]
	s_waitcnt lgkmcnt(0)
	v_mul_f64 v[47:48], v[107:108], v[97:98]
	v_mul_f64 v[99:100], v[105:106], v[97:98]
	v_fma_f64 v[47:48], v[105:106], v[45:46], -v[47:48]
	v_fma_f64 v[99:100], v[107:108], v[45:46], v[99:100]
	ds_read2_b64 v[105:108], v125 offset0:54 offset1:55
	v_add_f64 v[9:10], v[9:10], -v[47:48]
	v_add_f64 v[11:12], v[11:12], -v[99:100]
	s_waitcnt lgkmcnt(0)
	v_mul_f64 v[47:48], v[107:108], v[97:98]
	v_mul_f64 v[99:100], v[105:106], v[97:98]
	v_fma_f64 v[47:48], v[105:106], v[45:46], -v[47:48]
	v_fma_f64 v[99:100], v[107:108], v[45:46], v[99:100]
	ds_read2_b64 v[105:108], v125 offset0:56 offset1:57
	v_add_f64 v[5:6], v[5:6], -v[47:48]
	v_add_f64 v[7:8], v[7:8], -v[99:100]
	s_waitcnt lgkmcnt(0)
	v_mul_f64 v[47:48], v[107:108], v[97:98]
	v_mul_f64 v[99:100], v[105:106], v[97:98]
	v_fma_f64 v[47:48], v[105:106], v[45:46], -v[47:48]
	v_fma_f64 v[99:100], v[107:108], v[45:46], v[99:100]
	ds_read2_b64 v[105:108], v125 offset0:58 offset1:59
	v_add_f64 v[1:2], v[1:2], -v[47:48]
	v_add_f64 v[3:4], v[3:4], -v[99:100]
	s_waitcnt lgkmcnt(0)
	v_mul_f64 v[47:48], v[107:108], v[97:98]
	v_mul_f64 v[99:100], v[105:106], v[97:98]
	v_fma_f64 v[47:48], v[105:106], v[45:46], -v[47:48]
	v_fma_f64 v[99:100], v[107:108], v[45:46], v[99:100]
	v_add_f64 v[101:102], v[101:102], -v[47:48]
	v_add_f64 v[103:104], v[103:104], -v[99:100]
	v_mov_b32_e32 v47, v97
	v_mov_b32_e32 v48, v98
.LBB59_163:
	s_or_b64 exec, exec, s[2:3]
	v_cmp_eq_u32_e32 vcc, 18, v0
	s_waitcnt vmcnt(0)
	s_barrier
	s_and_saveexec_b64 s[4:5], vcc
	s_cbranch_execz .LBB59_170
; %bb.164:
	ds_write2_b64 v127, v[41:42], v[43:44] offset1:1
	ds_write2_b64 v125, v[37:38], v[39:40] offset0:38 offset1:39
	ds_write2_b64 v125, v[33:34], v[35:36] offset0:40 offset1:41
	ds_write2_b64 v125, v[29:30], v[31:32] offset0:42 offset1:43
	ds_write2_b64 v125, v[25:26], v[27:28] offset0:44 offset1:45
	ds_write2_b64 v125, v[21:22], v[23:24] offset0:46 offset1:47
	ds_write2_b64 v125, v[17:18], v[19:20] offset0:48 offset1:49
	ds_write2_b64 v125, v[13:14], v[15:16] offset0:50 offset1:51
	ds_write2_b64 v125, v[9:10], v[11:12] offset0:52 offset1:53
	ds_write2_b64 v125, v[5:6], v[7:8] offset0:54 offset1:55
	ds_write2_b64 v125, v[1:2], v[3:4] offset0:56 offset1:57
	ds_write2_b64 v125, v[101:102], v[103:104] offset0:58 offset1:59
	ds_read2_b64 v[97:100], v127 offset1:1
	s_waitcnt lgkmcnt(0)
	v_cmp_neq_f64_e32 vcc, 0, v[97:98]
	v_cmp_neq_f64_e64 s[2:3], 0, v[99:100]
	s_or_b64 s[2:3], vcc, s[2:3]
	s_and_b64 exec, exec, s[2:3]
	s_cbranch_execz .LBB59_170
; %bb.165:
	v_cmp_ngt_f64_e64 s[2:3], |v[97:98]|, |v[99:100]|
                                        ; implicit-def: $vgpr105_vgpr106
	s_and_saveexec_b64 s[6:7], s[2:3]
	s_xor_b64 s[2:3], exec, s[6:7]
                                        ; implicit-def: $vgpr107_vgpr108
	s_cbranch_execz .LBB59_167
; %bb.166:
	v_div_scale_f64 v[105:106], s[6:7], v[99:100], v[99:100], v[97:98]
	v_rcp_f64_e32 v[107:108], v[105:106]
	v_fma_f64 v[109:110], -v[105:106], v[107:108], 1.0
	v_fma_f64 v[107:108], v[107:108], v[109:110], v[107:108]
	v_div_scale_f64 v[109:110], vcc, v[97:98], v[99:100], v[97:98]
	v_fma_f64 v[111:112], -v[105:106], v[107:108], 1.0
	v_fma_f64 v[107:108], v[107:108], v[111:112], v[107:108]
	v_mul_f64 v[111:112], v[109:110], v[107:108]
	v_fma_f64 v[105:106], -v[105:106], v[111:112], v[109:110]
	v_div_fmas_f64 v[105:106], v[105:106], v[107:108], v[111:112]
	v_div_fixup_f64 v[105:106], v[105:106], v[99:100], v[97:98]
	v_fma_f64 v[97:98], v[97:98], v[105:106], v[99:100]
	v_div_scale_f64 v[99:100], s[6:7], v[97:98], v[97:98], 1.0
	v_div_scale_f64 v[111:112], vcc, 1.0, v[97:98], 1.0
	v_rcp_f64_e32 v[107:108], v[99:100]
	v_fma_f64 v[109:110], -v[99:100], v[107:108], 1.0
	v_fma_f64 v[107:108], v[107:108], v[109:110], v[107:108]
	v_fma_f64 v[109:110], -v[99:100], v[107:108], 1.0
	v_fma_f64 v[107:108], v[107:108], v[109:110], v[107:108]
	v_mul_f64 v[109:110], v[111:112], v[107:108]
	v_fma_f64 v[99:100], -v[99:100], v[109:110], v[111:112]
	v_div_fmas_f64 v[99:100], v[99:100], v[107:108], v[109:110]
	v_div_fixup_f64 v[107:108], v[99:100], v[97:98], 1.0
                                        ; implicit-def: $vgpr97_vgpr98
	v_mul_f64 v[105:106], v[105:106], v[107:108]
	v_xor_b32_e32 v108, 0x80000000, v108
.LBB59_167:
	s_andn2_saveexec_b64 s[2:3], s[2:3]
	s_cbranch_execz .LBB59_169
; %bb.168:
	v_div_scale_f64 v[105:106], s[6:7], v[97:98], v[97:98], v[99:100]
	v_rcp_f64_e32 v[107:108], v[105:106]
	v_fma_f64 v[109:110], -v[105:106], v[107:108], 1.0
	v_fma_f64 v[107:108], v[107:108], v[109:110], v[107:108]
	v_div_scale_f64 v[109:110], vcc, v[99:100], v[97:98], v[99:100]
	v_fma_f64 v[111:112], -v[105:106], v[107:108], 1.0
	v_fma_f64 v[107:108], v[107:108], v[111:112], v[107:108]
	v_mul_f64 v[111:112], v[109:110], v[107:108]
	v_fma_f64 v[105:106], -v[105:106], v[111:112], v[109:110]
	v_div_fmas_f64 v[105:106], v[105:106], v[107:108], v[111:112]
	v_div_fixup_f64 v[107:108], v[105:106], v[97:98], v[99:100]
	v_fma_f64 v[97:98], v[99:100], v[107:108], v[97:98]
	v_div_scale_f64 v[99:100], s[6:7], v[97:98], v[97:98], 1.0
	v_div_scale_f64 v[111:112], vcc, 1.0, v[97:98], 1.0
	v_rcp_f64_e32 v[105:106], v[99:100]
	v_fma_f64 v[109:110], -v[99:100], v[105:106], 1.0
	v_fma_f64 v[105:106], v[105:106], v[109:110], v[105:106]
	v_fma_f64 v[109:110], -v[99:100], v[105:106], 1.0
	v_fma_f64 v[105:106], v[105:106], v[109:110], v[105:106]
	v_mul_f64 v[109:110], v[111:112], v[105:106]
	v_fma_f64 v[99:100], -v[99:100], v[109:110], v[111:112]
	v_div_fmas_f64 v[99:100], v[99:100], v[105:106], v[109:110]
	v_div_fixup_f64 v[105:106], v[99:100], v[97:98], 1.0
	v_mul_f64 v[107:108], v[107:108], -v[105:106]
.LBB59_169:
	s_or_b64 exec, exec, s[2:3]
	ds_write2_b64 v127, v[105:106], v[107:108] offset1:1
.LBB59_170:
	s_or_b64 exec, exec, s[4:5]
	s_waitcnt lgkmcnt(0)
	s_barrier
	ds_read2_b64 v[87:90], v127 offset1:1
	v_cmp_lt_u32_e32 vcc, 18, v0
	s_waitcnt lgkmcnt(0)
	buffer_store_dword v87, off, s[20:23], 0 offset:592 ; 4-byte Folded Spill
	s_nop 0
	buffer_store_dword v88, off, s[20:23], 0 offset:596 ; 4-byte Folded Spill
	buffer_store_dword v89, off, s[20:23], 0 offset:600 ; 4-byte Folded Spill
	buffer_store_dword v90, off, s[20:23], 0 offset:604 ; 4-byte Folded Spill
	s_and_saveexec_b64 s[2:3], vcc
	s_cbranch_execz .LBB59_172
; %bb.171:
	buffer_load_dword v87, off, s[20:23], 0 offset:592 ; 4-byte Folded Reload
	buffer_load_dword v88, off, s[20:23], 0 offset:596 ; 4-byte Folded Reload
	;; [unrolled: 1-line block ×4, first 2 shown]
	ds_read2_b64 v[105:108], v125 offset0:38 offset1:39
	s_waitcnt vmcnt(2)
	v_mul_f64 v[97:98], v[87:88], v[43:44]
	s_waitcnt vmcnt(0)
	v_mul_f64 v[43:44], v[89:90], v[43:44]
	v_fma_f64 v[97:98], v[89:90], v[41:42], v[97:98]
	v_fma_f64 v[41:42], v[87:88], v[41:42], -v[43:44]
	s_waitcnt lgkmcnt(0)
	v_mul_f64 v[43:44], v[107:108], v[97:98]
	v_mul_f64 v[99:100], v[105:106], v[97:98]
	v_fma_f64 v[43:44], v[105:106], v[41:42], -v[43:44]
	v_fma_f64 v[99:100], v[107:108], v[41:42], v[99:100]
	ds_read2_b64 v[105:108], v125 offset0:40 offset1:41
	v_add_f64 v[37:38], v[37:38], -v[43:44]
	v_add_f64 v[39:40], v[39:40], -v[99:100]
	s_waitcnt lgkmcnt(0)
	v_mul_f64 v[43:44], v[107:108], v[97:98]
	v_mul_f64 v[99:100], v[105:106], v[97:98]
	v_fma_f64 v[43:44], v[105:106], v[41:42], -v[43:44]
	v_fma_f64 v[99:100], v[107:108], v[41:42], v[99:100]
	ds_read2_b64 v[105:108], v125 offset0:42 offset1:43
	v_add_f64 v[33:34], v[33:34], -v[43:44]
	v_add_f64 v[35:36], v[35:36], -v[99:100]
	;; [unrolled: 8-line block ×10, first 2 shown]
	s_waitcnt lgkmcnt(0)
	v_mul_f64 v[43:44], v[107:108], v[97:98]
	v_mul_f64 v[99:100], v[105:106], v[97:98]
	v_fma_f64 v[43:44], v[105:106], v[41:42], -v[43:44]
	v_fma_f64 v[99:100], v[107:108], v[41:42], v[99:100]
	v_add_f64 v[101:102], v[101:102], -v[43:44]
	v_add_f64 v[103:104], v[103:104], -v[99:100]
	v_mov_b32_e32 v43, v97
	v_mov_b32_e32 v44, v98
.LBB59_172:
	s_or_b64 exec, exec, s[2:3]
	v_cmp_eq_u32_e32 vcc, 19, v0
	s_waitcnt vmcnt(0)
	s_barrier
	s_and_saveexec_b64 s[4:5], vcc
	s_cbranch_execz .LBB59_179
; %bb.173:
	ds_write2_b64 v127, v[37:38], v[39:40] offset1:1
	ds_write2_b64 v125, v[33:34], v[35:36] offset0:40 offset1:41
	ds_write2_b64 v125, v[29:30], v[31:32] offset0:42 offset1:43
	;; [unrolled: 1-line block ×10, first 2 shown]
	ds_read2_b64 v[97:100], v127 offset1:1
	s_waitcnt lgkmcnt(0)
	v_cmp_neq_f64_e32 vcc, 0, v[97:98]
	v_cmp_neq_f64_e64 s[2:3], 0, v[99:100]
	s_or_b64 s[2:3], vcc, s[2:3]
	s_and_b64 exec, exec, s[2:3]
	s_cbranch_execz .LBB59_179
; %bb.174:
	v_cmp_ngt_f64_e64 s[2:3], |v[97:98]|, |v[99:100]|
                                        ; implicit-def: $vgpr105_vgpr106
	s_and_saveexec_b64 s[6:7], s[2:3]
	s_xor_b64 s[2:3], exec, s[6:7]
                                        ; implicit-def: $vgpr107_vgpr108
	s_cbranch_execz .LBB59_176
; %bb.175:
	v_div_scale_f64 v[105:106], s[6:7], v[99:100], v[99:100], v[97:98]
	v_rcp_f64_e32 v[107:108], v[105:106]
	v_fma_f64 v[109:110], -v[105:106], v[107:108], 1.0
	v_fma_f64 v[107:108], v[107:108], v[109:110], v[107:108]
	v_div_scale_f64 v[109:110], vcc, v[97:98], v[99:100], v[97:98]
	v_fma_f64 v[111:112], -v[105:106], v[107:108], 1.0
	v_fma_f64 v[107:108], v[107:108], v[111:112], v[107:108]
	v_mul_f64 v[111:112], v[109:110], v[107:108]
	v_fma_f64 v[105:106], -v[105:106], v[111:112], v[109:110]
	v_div_fmas_f64 v[105:106], v[105:106], v[107:108], v[111:112]
	v_div_fixup_f64 v[105:106], v[105:106], v[99:100], v[97:98]
	v_fma_f64 v[97:98], v[97:98], v[105:106], v[99:100]
	v_div_scale_f64 v[99:100], s[6:7], v[97:98], v[97:98], 1.0
	v_div_scale_f64 v[111:112], vcc, 1.0, v[97:98], 1.0
	v_rcp_f64_e32 v[107:108], v[99:100]
	v_fma_f64 v[109:110], -v[99:100], v[107:108], 1.0
	v_fma_f64 v[107:108], v[107:108], v[109:110], v[107:108]
	v_fma_f64 v[109:110], -v[99:100], v[107:108], 1.0
	v_fma_f64 v[107:108], v[107:108], v[109:110], v[107:108]
	v_mul_f64 v[109:110], v[111:112], v[107:108]
	v_fma_f64 v[99:100], -v[99:100], v[109:110], v[111:112]
	v_div_fmas_f64 v[99:100], v[99:100], v[107:108], v[109:110]
	v_div_fixup_f64 v[107:108], v[99:100], v[97:98], 1.0
                                        ; implicit-def: $vgpr97_vgpr98
	v_mul_f64 v[105:106], v[105:106], v[107:108]
	v_xor_b32_e32 v108, 0x80000000, v108
.LBB59_176:
	s_andn2_saveexec_b64 s[2:3], s[2:3]
	s_cbranch_execz .LBB59_178
; %bb.177:
	v_div_scale_f64 v[105:106], s[6:7], v[97:98], v[97:98], v[99:100]
	v_rcp_f64_e32 v[107:108], v[105:106]
	v_fma_f64 v[109:110], -v[105:106], v[107:108], 1.0
	v_fma_f64 v[107:108], v[107:108], v[109:110], v[107:108]
	v_div_scale_f64 v[109:110], vcc, v[99:100], v[97:98], v[99:100]
	v_fma_f64 v[111:112], -v[105:106], v[107:108], 1.0
	v_fma_f64 v[107:108], v[107:108], v[111:112], v[107:108]
	v_mul_f64 v[111:112], v[109:110], v[107:108]
	v_fma_f64 v[105:106], -v[105:106], v[111:112], v[109:110]
	v_div_fmas_f64 v[105:106], v[105:106], v[107:108], v[111:112]
	v_div_fixup_f64 v[107:108], v[105:106], v[97:98], v[99:100]
	v_fma_f64 v[97:98], v[99:100], v[107:108], v[97:98]
	v_div_scale_f64 v[99:100], s[6:7], v[97:98], v[97:98], 1.0
	v_div_scale_f64 v[111:112], vcc, 1.0, v[97:98], 1.0
	v_rcp_f64_e32 v[105:106], v[99:100]
	v_fma_f64 v[109:110], -v[99:100], v[105:106], 1.0
	v_fma_f64 v[105:106], v[105:106], v[109:110], v[105:106]
	v_fma_f64 v[109:110], -v[99:100], v[105:106], 1.0
	v_fma_f64 v[105:106], v[105:106], v[109:110], v[105:106]
	v_mul_f64 v[109:110], v[111:112], v[105:106]
	v_fma_f64 v[99:100], -v[99:100], v[109:110], v[111:112]
	v_div_fmas_f64 v[99:100], v[99:100], v[105:106], v[109:110]
	v_div_fixup_f64 v[105:106], v[99:100], v[97:98], 1.0
	v_mul_f64 v[107:108], v[107:108], -v[105:106]
.LBB59_178:
	s_or_b64 exec, exec, s[2:3]
	ds_write2_b64 v127, v[105:106], v[107:108] offset1:1
.LBB59_179:
	s_or_b64 exec, exec, s[4:5]
	s_waitcnt lgkmcnt(0)
	s_barrier
	ds_read2_b64 v[87:90], v127 offset1:1
	v_cmp_lt_u32_e32 vcc, 19, v0
	s_waitcnt lgkmcnt(0)
	buffer_store_dword v87, off, s[20:23], 0 offset:608 ; 4-byte Folded Spill
	s_nop 0
	buffer_store_dword v88, off, s[20:23], 0 offset:612 ; 4-byte Folded Spill
	buffer_store_dword v89, off, s[20:23], 0 offset:616 ; 4-byte Folded Spill
	;; [unrolled: 1-line block ×3, first 2 shown]
	s_and_saveexec_b64 s[2:3], vcc
	s_cbranch_execz .LBB59_181
; %bb.180:
	buffer_load_dword v87, off, s[20:23], 0 offset:608 ; 4-byte Folded Reload
	buffer_load_dword v88, off, s[20:23], 0 offset:612 ; 4-byte Folded Reload
	;; [unrolled: 1-line block ×4, first 2 shown]
	ds_read2_b64 v[105:108], v125 offset0:40 offset1:41
	s_waitcnt vmcnt(2)
	v_mul_f64 v[97:98], v[87:88], v[39:40]
	s_waitcnt vmcnt(0)
	v_mul_f64 v[39:40], v[89:90], v[39:40]
	v_fma_f64 v[97:98], v[89:90], v[37:38], v[97:98]
	v_fma_f64 v[37:38], v[87:88], v[37:38], -v[39:40]
	s_waitcnt lgkmcnt(0)
	v_mul_f64 v[39:40], v[107:108], v[97:98]
	v_mul_f64 v[99:100], v[105:106], v[97:98]
	v_fma_f64 v[39:40], v[105:106], v[37:38], -v[39:40]
	v_fma_f64 v[99:100], v[107:108], v[37:38], v[99:100]
	ds_read2_b64 v[105:108], v125 offset0:42 offset1:43
	v_add_f64 v[33:34], v[33:34], -v[39:40]
	v_add_f64 v[35:36], v[35:36], -v[99:100]
	s_waitcnt lgkmcnt(0)
	v_mul_f64 v[39:40], v[107:108], v[97:98]
	v_mul_f64 v[99:100], v[105:106], v[97:98]
	v_fma_f64 v[39:40], v[105:106], v[37:38], -v[39:40]
	v_fma_f64 v[99:100], v[107:108], v[37:38], v[99:100]
	ds_read2_b64 v[105:108], v125 offset0:44 offset1:45
	v_add_f64 v[29:30], v[29:30], -v[39:40]
	v_add_f64 v[31:32], v[31:32], -v[99:100]
	;; [unrolled: 8-line block ×9, first 2 shown]
	s_waitcnt lgkmcnt(0)
	v_mul_f64 v[39:40], v[107:108], v[97:98]
	v_mul_f64 v[99:100], v[105:106], v[97:98]
	v_fma_f64 v[39:40], v[105:106], v[37:38], -v[39:40]
	v_fma_f64 v[99:100], v[107:108], v[37:38], v[99:100]
	v_add_f64 v[101:102], v[101:102], -v[39:40]
	v_add_f64 v[103:104], v[103:104], -v[99:100]
	v_mov_b32_e32 v39, v97
	v_mov_b32_e32 v40, v98
.LBB59_181:
	s_or_b64 exec, exec, s[2:3]
	v_cmp_eq_u32_e32 vcc, 20, v0
	s_waitcnt vmcnt(0)
	s_barrier
	s_and_saveexec_b64 s[4:5], vcc
	s_cbranch_execz .LBB59_188
; %bb.182:
	ds_write2_b64 v127, v[33:34], v[35:36] offset1:1
	ds_write2_b64 v125, v[29:30], v[31:32] offset0:42 offset1:43
	ds_write2_b64 v125, v[25:26], v[27:28] offset0:44 offset1:45
	;; [unrolled: 1-line block ×9, first 2 shown]
	ds_read2_b64 v[97:100], v127 offset1:1
	s_waitcnt lgkmcnt(0)
	v_cmp_neq_f64_e32 vcc, 0, v[97:98]
	v_cmp_neq_f64_e64 s[2:3], 0, v[99:100]
	s_or_b64 s[2:3], vcc, s[2:3]
	s_and_b64 exec, exec, s[2:3]
	s_cbranch_execz .LBB59_188
; %bb.183:
	v_cmp_ngt_f64_e64 s[2:3], |v[97:98]|, |v[99:100]|
                                        ; implicit-def: $vgpr105_vgpr106
	s_and_saveexec_b64 s[6:7], s[2:3]
	s_xor_b64 s[2:3], exec, s[6:7]
                                        ; implicit-def: $vgpr107_vgpr108
	s_cbranch_execz .LBB59_185
; %bb.184:
	v_div_scale_f64 v[105:106], s[6:7], v[99:100], v[99:100], v[97:98]
	v_rcp_f64_e32 v[107:108], v[105:106]
	v_fma_f64 v[109:110], -v[105:106], v[107:108], 1.0
	v_fma_f64 v[107:108], v[107:108], v[109:110], v[107:108]
	v_div_scale_f64 v[109:110], vcc, v[97:98], v[99:100], v[97:98]
	v_fma_f64 v[111:112], -v[105:106], v[107:108], 1.0
	v_fma_f64 v[107:108], v[107:108], v[111:112], v[107:108]
	v_mul_f64 v[111:112], v[109:110], v[107:108]
	v_fma_f64 v[105:106], -v[105:106], v[111:112], v[109:110]
	v_div_fmas_f64 v[105:106], v[105:106], v[107:108], v[111:112]
	v_div_fixup_f64 v[105:106], v[105:106], v[99:100], v[97:98]
	v_fma_f64 v[97:98], v[97:98], v[105:106], v[99:100]
	v_div_scale_f64 v[99:100], s[6:7], v[97:98], v[97:98], 1.0
	v_div_scale_f64 v[111:112], vcc, 1.0, v[97:98], 1.0
	v_rcp_f64_e32 v[107:108], v[99:100]
	v_fma_f64 v[109:110], -v[99:100], v[107:108], 1.0
	v_fma_f64 v[107:108], v[107:108], v[109:110], v[107:108]
	v_fma_f64 v[109:110], -v[99:100], v[107:108], 1.0
	v_fma_f64 v[107:108], v[107:108], v[109:110], v[107:108]
	v_mul_f64 v[109:110], v[111:112], v[107:108]
	v_fma_f64 v[99:100], -v[99:100], v[109:110], v[111:112]
	v_div_fmas_f64 v[99:100], v[99:100], v[107:108], v[109:110]
	v_div_fixup_f64 v[107:108], v[99:100], v[97:98], 1.0
                                        ; implicit-def: $vgpr97_vgpr98
	v_mul_f64 v[105:106], v[105:106], v[107:108]
	v_xor_b32_e32 v108, 0x80000000, v108
.LBB59_185:
	s_andn2_saveexec_b64 s[2:3], s[2:3]
	s_cbranch_execz .LBB59_187
; %bb.186:
	v_div_scale_f64 v[105:106], s[6:7], v[97:98], v[97:98], v[99:100]
	v_rcp_f64_e32 v[107:108], v[105:106]
	v_fma_f64 v[109:110], -v[105:106], v[107:108], 1.0
	v_fma_f64 v[107:108], v[107:108], v[109:110], v[107:108]
	v_div_scale_f64 v[109:110], vcc, v[99:100], v[97:98], v[99:100]
	v_fma_f64 v[111:112], -v[105:106], v[107:108], 1.0
	v_fma_f64 v[107:108], v[107:108], v[111:112], v[107:108]
	v_mul_f64 v[111:112], v[109:110], v[107:108]
	v_fma_f64 v[105:106], -v[105:106], v[111:112], v[109:110]
	v_div_fmas_f64 v[105:106], v[105:106], v[107:108], v[111:112]
	v_div_fixup_f64 v[107:108], v[105:106], v[97:98], v[99:100]
	v_fma_f64 v[97:98], v[99:100], v[107:108], v[97:98]
	v_div_scale_f64 v[99:100], s[6:7], v[97:98], v[97:98], 1.0
	v_div_scale_f64 v[111:112], vcc, 1.0, v[97:98], 1.0
	v_rcp_f64_e32 v[105:106], v[99:100]
	v_fma_f64 v[109:110], -v[99:100], v[105:106], 1.0
	v_fma_f64 v[105:106], v[105:106], v[109:110], v[105:106]
	v_fma_f64 v[109:110], -v[99:100], v[105:106], 1.0
	v_fma_f64 v[105:106], v[105:106], v[109:110], v[105:106]
	v_mul_f64 v[109:110], v[111:112], v[105:106]
	v_fma_f64 v[99:100], -v[99:100], v[109:110], v[111:112]
	v_div_fmas_f64 v[99:100], v[99:100], v[105:106], v[109:110]
	v_div_fixup_f64 v[105:106], v[99:100], v[97:98], 1.0
	v_mul_f64 v[107:108], v[107:108], -v[105:106]
.LBB59_187:
	s_or_b64 exec, exec, s[2:3]
	ds_write2_b64 v127, v[105:106], v[107:108] offset1:1
.LBB59_188:
	s_or_b64 exec, exec, s[4:5]
	s_waitcnt lgkmcnt(0)
	s_barrier
	ds_read2_b64 v[87:90], v127 offset1:1
	v_cmp_lt_u32_e32 vcc, 20, v0
	s_waitcnt lgkmcnt(0)
	buffer_store_dword v87, off, s[20:23], 0 offset:624 ; 4-byte Folded Spill
	s_nop 0
	buffer_store_dword v88, off, s[20:23], 0 offset:628 ; 4-byte Folded Spill
	buffer_store_dword v89, off, s[20:23], 0 offset:632 ; 4-byte Folded Spill
	;; [unrolled: 1-line block ×3, first 2 shown]
	s_and_saveexec_b64 s[2:3], vcc
	s_cbranch_execz .LBB59_190
; %bb.189:
	buffer_load_dword v87, off, s[20:23], 0 offset:624 ; 4-byte Folded Reload
	buffer_load_dword v88, off, s[20:23], 0 offset:628 ; 4-byte Folded Reload
	;; [unrolled: 1-line block ×4, first 2 shown]
	ds_read2_b64 v[105:108], v125 offset0:42 offset1:43
	s_waitcnt vmcnt(2)
	v_mul_f64 v[97:98], v[87:88], v[35:36]
	s_waitcnt vmcnt(0)
	v_mul_f64 v[35:36], v[89:90], v[35:36]
	v_fma_f64 v[97:98], v[89:90], v[33:34], v[97:98]
	v_fma_f64 v[33:34], v[87:88], v[33:34], -v[35:36]
	s_waitcnt lgkmcnt(0)
	v_mul_f64 v[35:36], v[107:108], v[97:98]
	v_mul_f64 v[99:100], v[105:106], v[97:98]
	v_fma_f64 v[35:36], v[105:106], v[33:34], -v[35:36]
	v_fma_f64 v[99:100], v[107:108], v[33:34], v[99:100]
	ds_read2_b64 v[105:108], v125 offset0:44 offset1:45
	v_add_f64 v[29:30], v[29:30], -v[35:36]
	v_add_f64 v[31:32], v[31:32], -v[99:100]
	s_waitcnt lgkmcnt(0)
	v_mul_f64 v[35:36], v[107:108], v[97:98]
	v_mul_f64 v[99:100], v[105:106], v[97:98]
	v_fma_f64 v[35:36], v[105:106], v[33:34], -v[35:36]
	v_fma_f64 v[99:100], v[107:108], v[33:34], v[99:100]
	ds_read2_b64 v[105:108], v125 offset0:46 offset1:47
	v_add_f64 v[25:26], v[25:26], -v[35:36]
	v_add_f64 v[27:28], v[27:28], -v[99:100]
	;; [unrolled: 8-line block ×8, first 2 shown]
	s_waitcnt lgkmcnt(0)
	v_mul_f64 v[35:36], v[107:108], v[97:98]
	v_mul_f64 v[99:100], v[105:106], v[97:98]
	v_fma_f64 v[35:36], v[105:106], v[33:34], -v[35:36]
	v_fma_f64 v[99:100], v[107:108], v[33:34], v[99:100]
	v_add_f64 v[101:102], v[101:102], -v[35:36]
	v_add_f64 v[103:104], v[103:104], -v[99:100]
	v_mov_b32_e32 v35, v97
	v_mov_b32_e32 v36, v98
.LBB59_190:
	s_or_b64 exec, exec, s[2:3]
	v_cmp_eq_u32_e32 vcc, 21, v0
	s_waitcnt vmcnt(0)
	s_barrier
	s_and_saveexec_b64 s[4:5], vcc
	s_cbranch_execz .LBB59_197
; %bb.191:
	ds_write2_b64 v127, v[29:30], v[31:32] offset1:1
	ds_write2_b64 v125, v[25:26], v[27:28] offset0:44 offset1:45
	ds_write2_b64 v125, v[21:22], v[23:24] offset0:46 offset1:47
	ds_write2_b64 v125, v[17:18], v[19:20] offset0:48 offset1:49
	ds_write2_b64 v125, v[13:14], v[15:16] offset0:50 offset1:51
	ds_write2_b64 v125, v[9:10], v[11:12] offset0:52 offset1:53
	ds_write2_b64 v125, v[5:6], v[7:8] offset0:54 offset1:55
	ds_write2_b64 v125, v[1:2], v[3:4] offset0:56 offset1:57
	ds_write2_b64 v125, v[101:102], v[103:104] offset0:58 offset1:59
	ds_read2_b64 v[97:100], v127 offset1:1
	s_waitcnt lgkmcnt(0)
	v_cmp_neq_f64_e32 vcc, 0, v[97:98]
	v_cmp_neq_f64_e64 s[2:3], 0, v[99:100]
	s_or_b64 s[2:3], vcc, s[2:3]
	s_and_b64 exec, exec, s[2:3]
	s_cbranch_execz .LBB59_197
; %bb.192:
	v_cmp_ngt_f64_e64 s[2:3], |v[97:98]|, |v[99:100]|
                                        ; implicit-def: $vgpr105_vgpr106
	s_and_saveexec_b64 s[6:7], s[2:3]
	s_xor_b64 s[2:3], exec, s[6:7]
                                        ; implicit-def: $vgpr107_vgpr108
	s_cbranch_execz .LBB59_194
; %bb.193:
	v_div_scale_f64 v[105:106], s[6:7], v[99:100], v[99:100], v[97:98]
	v_rcp_f64_e32 v[107:108], v[105:106]
	v_fma_f64 v[109:110], -v[105:106], v[107:108], 1.0
	v_fma_f64 v[107:108], v[107:108], v[109:110], v[107:108]
	v_div_scale_f64 v[109:110], vcc, v[97:98], v[99:100], v[97:98]
	v_fma_f64 v[111:112], -v[105:106], v[107:108], 1.0
	v_fma_f64 v[107:108], v[107:108], v[111:112], v[107:108]
	v_mul_f64 v[111:112], v[109:110], v[107:108]
	v_fma_f64 v[105:106], -v[105:106], v[111:112], v[109:110]
	v_div_fmas_f64 v[105:106], v[105:106], v[107:108], v[111:112]
	v_div_fixup_f64 v[105:106], v[105:106], v[99:100], v[97:98]
	v_fma_f64 v[97:98], v[97:98], v[105:106], v[99:100]
	v_div_scale_f64 v[99:100], s[6:7], v[97:98], v[97:98], 1.0
	v_div_scale_f64 v[111:112], vcc, 1.0, v[97:98], 1.0
	v_rcp_f64_e32 v[107:108], v[99:100]
	v_fma_f64 v[109:110], -v[99:100], v[107:108], 1.0
	v_fma_f64 v[107:108], v[107:108], v[109:110], v[107:108]
	v_fma_f64 v[109:110], -v[99:100], v[107:108], 1.0
	v_fma_f64 v[107:108], v[107:108], v[109:110], v[107:108]
	v_mul_f64 v[109:110], v[111:112], v[107:108]
	v_fma_f64 v[99:100], -v[99:100], v[109:110], v[111:112]
	v_div_fmas_f64 v[99:100], v[99:100], v[107:108], v[109:110]
	v_div_fixup_f64 v[107:108], v[99:100], v[97:98], 1.0
                                        ; implicit-def: $vgpr97_vgpr98
	v_mul_f64 v[105:106], v[105:106], v[107:108]
	v_xor_b32_e32 v108, 0x80000000, v108
.LBB59_194:
	s_andn2_saveexec_b64 s[2:3], s[2:3]
	s_cbranch_execz .LBB59_196
; %bb.195:
	v_div_scale_f64 v[105:106], s[6:7], v[97:98], v[97:98], v[99:100]
	v_rcp_f64_e32 v[107:108], v[105:106]
	v_fma_f64 v[109:110], -v[105:106], v[107:108], 1.0
	v_fma_f64 v[107:108], v[107:108], v[109:110], v[107:108]
	v_div_scale_f64 v[109:110], vcc, v[99:100], v[97:98], v[99:100]
	v_fma_f64 v[111:112], -v[105:106], v[107:108], 1.0
	v_fma_f64 v[107:108], v[107:108], v[111:112], v[107:108]
	v_mul_f64 v[111:112], v[109:110], v[107:108]
	v_fma_f64 v[105:106], -v[105:106], v[111:112], v[109:110]
	v_div_fmas_f64 v[105:106], v[105:106], v[107:108], v[111:112]
	v_div_fixup_f64 v[107:108], v[105:106], v[97:98], v[99:100]
	v_fma_f64 v[97:98], v[99:100], v[107:108], v[97:98]
	v_div_scale_f64 v[99:100], s[6:7], v[97:98], v[97:98], 1.0
	v_div_scale_f64 v[111:112], vcc, 1.0, v[97:98], 1.0
	v_rcp_f64_e32 v[105:106], v[99:100]
	v_fma_f64 v[109:110], -v[99:100], v[105:106], 1.0
	v_fma_f64 v[105:106], v[105:106], v[109:110], v[105:106]
	v_fma_f64 v[109:110], -v[99:100], v[105:106], 1.0
	v_fma_f64 v[105:106], v[105:106], v[109:110], v[105:106]
	v_mul_f64 v[109:110], v[111:112], v[105:106]
	v_fma_f64 v[99:100], -v[99:100], v[109:110], v[111:112]
	v_div_fmas_f64 v[99:100], v[99:100], v[105:106], v[109:110]
	v_div_fixup_f64 v[105:106], v[99:100], v[97:98], 1.0
	v_mul_f64 v[107:108], v[107:108], -v[105:106]
.LBB59_196:
	s_or_b64 exec, exec, s[2:3]
	ds_write2_b64 v127, v[105:106], v[107:108] offset1:1
.LBB59_197:
	s_or_b64 exec, exec, s[4:5]
	s_waitcnt lgkmcnt(0)
	s_barrier
	ds_read2_b64 v[87:90], v127 offset1:1
	v_cmp_lt_u32_e32 vcc, 21, v0
	s_waitcnt lgkmcnt(0)
	buffer_store_dword v87, off, s[20:23], 0 offset:640 ; 4-byte Folded Spill
	s_nop 0
	buffer_store_dword v88, off, s[20:23], 0 offset:644 ; 4-byte Folded Spill
	buffer_store_dword v89, off, s[20:23], 0 offset:648 ; 4-byte Folded Spill
	buffer_store_dword v90, off, s[20:23], 0 offset:652 ; 4-byte Folded Spill
	s_and_saveexec_b64 s[2:3], vcc
	s_cbranch_execz .LBB59_199
; %bb.198:
	buffer_load_dword v87, off, s[20:23], 0 offset:640 ; 4-byte Folded Reload
	buffer_load_dword v88, off, s[20:23], 0 offset:644 ; 4-byte Folded Reload
	;; [unrolled: 1-line block ×4, first 2 shown]
	ds_read2_b64 v[105:108], v125 offset0:44 offset1:45
	s_waitcnt vmcnt(2)
	v_mul_f64 v[97:98], v[87:88], v[31:32]
	s_waitcnt vmcnt(0)
	v_mul_f64 v[31:32], v[89:90], v[31:32]
	v_fma_f64 v[97:98], v[89:90], v[29:30], v[97:98]
	v_fma_f64 v[29:30], v[87:88], v[29:30], -v[31:32]
	s_waitcnt lgkmcnt(0)
	v_mul_f64 v[31:32], v[107:108], v[97:98]
	v_mul_f64 v[99:100], v[105:106], v[97:98]
	v_fma_f64 v[31:32], v[105:106], v[29:30], -v[31:32]
	v_fma_f64 v[99:100], v[107:108], v[29:30], v[99:100]
	ds_read2_b64 v[105:108], v125 offset0:46 offset1:47
	v_add_f64 v[25:26], v[25:26], -v[31:32]
	v_add_f64 v[27:28], v[27:28], -v[99:100]
	s_waitcnt lgkmcnt(0)
	v_mul_f64 v[31:32], v[107:108], v[97:98]
	v_mul_f64 v[99:100], v[105:106], v[97:98]
	v_fma_f64 v[31:32], v[105:106], v[29:30], -v[31:32]
	v_fma_f64 v[99:100], v[107:108], v[29:30], v[99:100]
	ds_read2_b64 v[105:108], v125 offset0:48 offset1:49
	v_add_f64 v[21:22], v[21:22], -v[31:32]
	v_add_f64 v[23:24], v[23:24], -v[99:100]
	;; [unrolled: 8-line block ×7, first 2 shown]
	s_waitcnt lgkmcnt(0)
	v_mul_f64 v[31:32], v[107:108], v[97:98]
	v_mul_f64 v[99:100], v[105:106], v[97:98]
	v_fma_f64 v[31:32], v[105:106], v[29:30], -v[31:32]
	v_fma_f64 v[99:100], v[107:108], v[29:30], v[99:100]
	v_add_f64 v[101:102], v[101:102], -v[31:32]
	v_add_f64 v[103:104], v[103:104], -v[99:100]
	v_mov_b32_e32 v31, v97
	v_mov_b32_e32 v32, v98
.LBB59_199:
	s_or_b64 exec, exec, s[2:3]
	v_cmp_eq_u32_e32 vcc, 22, v0
	s_waitcnt vmcnt(0)
	s_barrier
	s_and_saveexec_b64 s[4:5], vcc
	s_cbranch_execz .LBB59_206
; %bb.200:
	ds_write2_b64 v127, v[25:26], v[27:28] offset1:1
	ds_write2_b64 v125, v[21:22], v[23:24] offset0:46 offset1:47
	ds_write2_b64 v125, v[17:18], v[19:20] offset0:48 offset1:49
	;; [unrolled: 1-line block ×7, first 2 shown]
	ds_read2_b64 v[97:100], v127 offset1:1
	s_waitcnt lgkmcnt(0)
	v_cmp_neq_f64_e32 vcc, 0, v[97:98]
	v_cmp_neq_f64_e64 s[2:3], 0, v[99:100]
	s_or_b64 s[2:3], vcc, s[2:3]
	s_and_b64 exec, exec, s[2:3]
	s_cbranch_execz .LBB59_206
; %bb.201:
	v_cmp_ngt_f64_e64 s[2:3], |v[97:98]|, |v[99:100]|
                                        ; implicit-def: $vgpr105_vgpr106
	s_and_saveexec_b64 s[6:7], s[2:3]
	s_xor_b64 s[2:3], exec, s[6:7]
                                        ; implicit-def: $vgpr107_vgpr108
	s_cbranch_execz .LBB59_203
; %bb.202:
	v_div_scale_f64 v[105:106], s[6:7], v[99:100], v[99:100], v[97:98]
	v_rcp_f64_e32 v[107:108], v[105:106]
	v_fma_f64 v[109:110], -v[105:106], v[107:108], 1.0
	v_fma_f64 v[107:108], v[107:108], v[109:110], v[107:108]
	v_div_scale_f64 v[109:110], vcc, v[97:98], v[99:100], v[97:98]
	v_fma_f64 v[111:112], -v[105:106], v[107:108], 1.0
	v_fma_f64 v[107:108], v[107:108], v[111:112], v[107:108]
	v_mul_f64 v[111:112], v[109:110], v[107:108]
	v_fma_f64 v[105:106], -v[105:106], v[111:112], v[109:110]
	v_div_fmas_f64 v[105:106], v[105:106], v[107:108], v[111:112]
	v_div_fixup_f64 v[105:106], v[105:106], v[99:100], v[97:98]
	v_fma_f64 v[97:98], v[97:98], v[105:106], v[99:100]
	v_div_scale_f64 v[99:100], s[6:7], v[97:98], v[97:98], 1.0
	v_div_scale_f64 v[111:112], vcc, 1.0, v[97:98], 1.0
	v_rcp_f64_e32 v[107:108], v[99:100]
	v_fma_f64 v[109:110], -v[99:100], v[107:108], 1.0
	v_fma_f64 v[107:108], v[107:108], v[109:110], v[107:108]
	v_fma_f64 v[109:110], -v[99:100], v[107:108], 1.0
	v_fma_f64 v[107:108], v[107:108], v[109:110], v[107:108]
	v_mul_f64 v[109:110], v[111:112], v[107:108]
	v_fma_f64 v[99:100], -v[99:100], v[109:110], v[111:112]
	v_div_fmas_f64 v[99:100], v[99:100], v[107:108], v[109:110]
	v_div_fixup_f64 v[107:108], v[99:100], v[97:98], 1.0
                                        ; implicit-def: $vgpr97_vgpr98
	v_mul_f64 v[105:106], v[105:106], v[107:108]
	v_xor_b32_e32 v108, 0x80000000, v108
.LBB59_203:
	s_andn2_saveexec_b64 s[2:3], s[2:3]
	s_cbranch_execz .LBB59_205
; %bb.204:
	v_div_scale_f64 v[105:106], s[6:7], v[97:98], v[97:98], v[99:100]
	v_rcp_f64_e32 v[107:108], v[105:106]
	v_fma_f64 v[109:110], -v[105:106], v[107:108], 1.0
	v_fma_f64 v[107:108], v[107:108], v[109:110], v[107:108]
	v_div_scale_f64 v[109:110], vcc, v[99:100], v[97:98], v[99:100]
	v_fma_f64 v[111:112], -v[105:106], v[107:108], 1.0
	v_fma_f64 v[107:108], v[107:108], v[111:112], v[107:108]
	v_mul_f64 v[111:112], v[109:110], v[107:108]
	v_fma_f64 v[105:106], -v[105:106], v[111:112], v[109:110]
	v_div_fmas_f64 v[105:106], v[105:106], v[107:108], v[111:112]
	v_div_fixup_f64 v[107:108], v[105:106], v[97:98], v[99:100]
	v_fma_f64 v[97:98], v[99:100], v[107:108], v[97:98]
	v_div_scale_f64 v[99:100], s[6:7], v[97:98], v[97:98], 1.0
	v_div_scale_f64 v[111:112], vcc, 1.0, v[97:98], 1.0
	v_rcp_f64_e32 v[105:106], v[99:100]
	v_fma_f64 v[109:110], -v[99:100], v[105:106], 1.0
	v_fma_f64 v[105:106], v[105:106], v[109:110], v[105:106]
	v_fma_f64 v[109:110], -v[99:100], v[105:106], 1.0
	v_fma_f64 v[105:106], v[105:106], v[109:110], v[105:106]
	v_mul_f64 v[109:110], v[111:112], v[105:106]
	v_fma_f64 v[99:100], -v[99:100], v[109:110], v[111:112]
	v_div_fmas_f64 v[99:100], v[99:100], v[105:106], v[109:110]
	v_div_fixup_f64 v[105:106], v[99:100], v[97:98], 1.0
	v_mul_f64 v[107:108], v[107:108], -v[105:106]
.LBB59_205:
	s_or_b64 exec, exec, s[2:3]
	ds_write2_b64 v127, v[105:106], v[107:108] offset1:1
.LBB59_206:
	s_or_b64 exec, exec, s[4:5]
	s_waitcnt lgkmcnt(0)
	s_barrier
	ds_read2_b64 v[87:90], v127 offset1:1
	v_cmp_lt_u32_e32 vcc, 22, v0
	s_waitcnt lgkmcnt(0)
	buffer_store_dword v87, off, s[20:23], 0 offset:656 ; 4-byte Folded Spill
	s_nop 0
	buffer_store_dword v88, off, s[20:23], 0 offset:660 ; 4-byte Folded Spill
	buffer_store_dword v89, off, s[20:23], 0 offset:664 ; 4-byte Folded Spill
	;; [unrolled: 1-line block ×3, first 2 shown]
	s_and_saveexec_b64 s[2:3], vcc
	s_cbranch_execz .LBB59_208
; %bb.207:
	buffer_load_dword v87, off, s[20:23], 0 offset:656 ; 4-byte Folded Reload
	buffer_load_dword v88, off, s[20:23], 0 offset:660 ; 4-byte Folded Reload
	;; [unrolled: 1-line block ×4, first 2 shown]
	ds_read2_b64 v[105:108], v125 offset0:46 offset1:47
	s_waitcnt vmcnt(2)
	v_mul_f64 v[97:98], v[87:88], v[27:28]
	s_waitcnt vmcnt(0)
	v_mul_f64 v[27:28], v[89:90], v[27:28]
	v_fma_f64 v[97:98], v[89:90], v[25:26], v[97:98]
	v_fma_f64 v[25:26], v[87:88], v[25:26], -v[27:28]
	s_waitcnt lgkmcnt(0)
	v_mul_f64 v[27:28], v[107:108], v[97:98]
	v_mul_f64 v[99:100], v[105:106], v[97:98]
	v_fma_f64 v[27:28], v[105:106], v[25:26], -v[27:28]
	v_fma_f64 v[99:100], v[107:108], v[25:26], v[99:100]
	ds_read2_b64 v[105:108], v125 offset0:48 offset1:49
	v_add_f64 v[21:22], v[21:22], -v[27:28]
	v_add_f64 v[23:24], v[23:24], -v[99:100]
	s_waitcnt lgkmcnt(0)
	v_mul_f64 v[27:28], v[107:108], v[97:98]
	v_mul_f64 v[99:100], v[105:106], v[97:98]
	v_fma_f64 v[27:28], v[105:106], v[25:26], -v[27:28]
	v_fma_f64 v[99:100], v[107:108], v[25:26], v[99:100]
	ds_read2_b64 v[105:108], v125 offset0:50 offset1:51
	v_add_f64 v[17:18], v[17:18], -v[27:28]
	v_add_f64 v[19:20], v[19:20], -v[99:100]
	s_waitcnt lgkmcnt(0)
	v_mul_f64 v[27:28], v[107:108], v[97:98]
	v_mul_f64 v[99:100], v[105:106], v[97:98]
	v_fma_f64 v[27:28], v[105:106], v[25:26], -v[27:28]
	v_fma_f64 v[99:100], v[107:108], v[25:26], v[99:100]
	ds_read2_b64 v[105:108], v125 offset0:52 offset1:53
	v_add_f64 v[13:14], v[13:14], -v[27:28]
	v_add_f64 v[15:16], v[15:16], -v[99:100]
	s_waitcnt lgkmcnt(0)
	v_mul_f64 v[27:28], v[107:108], v[97:98]
	v_mul_f64 v[99:100], v[105:106], v[97:98]
	v_fma_f64 v[27:28], v[105:106], v[25:26], -v[27:28]
	v_fma_f64 v[99:100], v[107:108], v[25:26], v[99:100]
	ds_read2_b64 v[105:108], v125 offset0:54 offset1:55
	v_add_f64 v[9:10], v[9:10], -v[27:28]
	v_add_f64 v[11:12], v[11:12], -v[99:100]
	s_waitcnt lgkmcnt(0)
	v_mul_f64 v[27:28], v[107:108], v[97:98]
	v_mul_f64 v[99:100], v[105:106], v[97:98]
	v_fma_f64 v[27:28], v[105:106], v[25:26], -v[27:28]
	v_fma_f64 v[99:100], v[107:108], v[25:26], v[99:100]
	ds_read2_b64 v[105:108], v125 offset0:56 offset1:57
	v_add_f64 v[5:6], v[5:6], -v[27:28]
	v_add_f64 v[7:8], v[7:8], -v[99:100]
	s_waitcnt lgkmcnt(0)
	v_mul_f64 v[27:28], v[107:108], v[97:98]
	v_mul_f64 v[99:100], v[105:106], v[97:98]
	v_fma_f64 v[27:28], v[105:106], v[25:26], -v[27:28]
	v_fma_f64 v[99:100], v[107:108], v[25:26], v[99:100]
	ds_read2_b64 v[105:108], v125 offset0:58 offset1:59
	v_add_f64 v[1:2], v[1:2], -v[27:28]
	v_add_f64 v[3:4], v[3:4], -v[99:100]
	s_waitcnt lgkmcnt(0)
	v_mul_f64 v[27:28], v[107:108], v[97:98]
	v_mul_f64 v[99:100], v[105:106], v[97:98]
	v_fma_f64 v[27:28], v[105:106], v[25:26], -v[27:28]
	v_fma_f64 v[99:100], v[107:108], v[25:26], v[99:100]
	v_add_f64 v[101:102], v[101:102], -v[27:28]
	v_add_f64 v[103:104], v[103:104], -v[99:100]
	v_mov_b32_e32 v27, v97
	v_mov_b32_e32 v28, v98
.LBB59_208:
	s_or_b64 exec, exec, s[2:3]
	v_cmp_eq_u32_e32 vcc, 23, v0
	s_waitcnt vmcnt(0)
	s_barrier
	s_and_saveexec_b64 s[4:5], vcc
	s_cbranch_execz .LBB59_215
; %bb.209:
	ds_write2_b64 v127, v[21:22], v[23:24] offset1:1
	ds_write2_b64 v125, v[17:18], v[19:20] offset0:48 offset1:49
	ds_write2_b64 v125, v[13:14], v[15:16] offset0:50 offset1:51
	;; [unrolled: 1-line block ×6, first 2 shown]
	ds_read2_b64 v[97:100], v127 offset1:1
	s_waitcnt lgkmcnt(0)
	v_cmp_neq_f64_e32 vcc, 0, v[97:98]
	v_cmp_neq_f64_e64 s[2:3], 0, v[99:100]
	s_or_b64 s[2:3], vcc, s[2:3]
	s_and_b64 exec, exec, s[2:3]
	s_cbranch_execz .LBB59_215
; %bb.210:
	v_cmp_ngt_f64_e64 s[2:3], |v[97:98]|, |v[99:100]|
                                        ; implicit-def: $vgpr105_vgpr106
	s_and_saveexec_b64 s[6:7], s[2:3]
	s_xor_b64 s[2:3], exec, s[6:7]
                                        ; implicit-def: $vgpr107_vgpr108
	s_cbranch_execz .LBB59_212
; %bb.211:
	v_div_scale_f64 v[105:106], s[6:7], v[99:100], v[99:100], v[97:98]
	v_rcp_f64_e32 v[107:108], v[105:106]
	v_fma_f64 v[109:110], -v[105:106], v[107:108], 1.0
	v_fma_f64 v[107:108], v[107:108], v[109:110], v[107:108]
	v_div_scale_f64 v[109:110], vcc, v[97:98], v[99:100], v[97:98]
	v_fma_f64 v[111:112], -v[105:106], v[107:108], 1.0
	v_fma_f64 v[107:108], v[107:108], v[111:112], v[107:108]
	v_mul_f64 v[111:112], v[109:110], v[107:108]
	v_fma_f64 v[105:106], -v[105:106], v[111:112], v[109:110]
	v_div_fmas_f64 v[105:106], v[105:106], v[107:108], v[111:112]
	v_div_fixup_f64 v[105:106], v[105:106], v[99:100], v[97:98]
	v_fma_f64 v[97:98], v[97:98], v[105:106], v[99:100]
	v_div_scale_f64 v[99:100], s[6:7], v[97:98], v[97:98], 1.0
	v_div_scale_f64 v[111:112], vcc, 1.0, v[97:98], 1.0
	v_rcp_f64_e32 v[107:108], v[99:100]
	v_fma_f64 v[109:110], -v[99:100], v[107:108], 1.0
	v_fma_f64 v[107:108], v[107:108], v[109:110], v[107:108]
	v_fma_f64 v[109:110], -v[99:100], v[107:108], 1.0
	v_fma_f64 v[107:108], v[107:108], v[109:110], v[107:108]
	v_mul_f64 v[109:110], v[111:112], v[107:108]
	v_fma_f64 v[99:100], -v[99:100], v[109:110], v[111:112]
	v_div_fmas_f64 v[99:100], v[99:100], v[107:108], v[109:110]
	v_div_fixup_f64 v[107:108], v[99:100], v[97:98], 1.0
                                        ; implicit-def: $vgpr97_vgpr98
	v_mul_f64 v[105:106], v[105:106], v[107:108]
	v_xor_b32_e32 v108, 0x80000000, v108
.LBB59_212:
	s_andn2_saveexec_b64 s[2:3], s[2:3]
	s_cbranch_execz .LBB59_214
; %bb.213:
	v_div_scale_f64 v[105:106], s[6:7], v[97:98], v[97:98], v[99:100]
	v_rcp_f64_e32 v[107:108], v[105:106]
	v_fma_f64 v[109:110], -v[105:106], v[107:108], 1.0
	v_fma_f64 v[107:108], v[107:108], v[109:110], v[107:108]
	v_div_scale_f64 v[109:110], vcc, v[99:100], v[97:98], v[99:100]
	v_fma_f64 v[111:112], -v[105:106], v[107:108], 1.0
	v_fma_f64 v[107:108], v[107:108], v[111:112], v[107:108]
	v_mul_f64 v[111:112], v[109:110], v[107:108]
	v_fma_f64 v[105:106], -v[105:106], v[111:112], v[109:110]
	v_div_fmas_f64 v[105:106], v[105:106], v[107:108], v[111:112]
	v_div_fixup_f64 v[107:108], v[105:106], v[97:98], v[99:100]
	v_fma_f64 v[97:98], v[99:100], v[107:108], v[97:98]
	v_div_scale_f64 v[99:100], s[6:7], v[97:98], v[97:98], 1.0
	v_div_scale_f64 v[111:112], vcc, 1.0, v[97:98], 1.0
	v_rcp_f64_e32 v[105:106], v[99:100]
	v_fma_f64 v[109:110], -v[99:100], v[105:106], 1.0
	v_fma_f64 v[105:106], v[105:106], v[109:110], v[105:106]
	v_fma_f64 v[109:110], -v[99:100], v[105:106], 1.0
	v_fma_f64 v[105:106], v[105:106], v[109:110], v[105:106]
	v_mul_f64 v[109:110], v[111:112], v[105:106]
	v_fma_f64 v[99:100], -v[99:100], v[109:110], v[111:112]
	v_div_fmas_f64 v[99:100], v[99:100], v[105:106], v[109:110]
	v_div_fixup_f64 v[105:106], v[99:100], v[97:98], 1.0
	v_mul_f64 v[107:108], v[107:108], -v[105:106]
.LBB59_214:
	s_or_b64 exec, exec, s[2:3]
	ds_write2_b64 v127, v[105:106], v[107:108] offset1:1
.LBB59_215:
	s_or_b64 exec, exec, s[4:5]
	s_waitcnt lgkmcnt(0)
	s_barrier
	ds_read2_b64 v[87:90], v127 offset1:1
	v_cmp_lt_u32_e32 vcc, 23, v0
	s_waitcnt lgkmcnt(0)
	buffer_store_dword v87, off, s[20:23], 0 offset:672 ; 4-byte Folded Spill
	s_nop 0
	buffer_store_dword v88, off, s[20:23], 0 offset:676 ; 4-byte Folded Spill
	buffer_store_dword v89, off, s[20:23], 0 offset:680 ; 4-byte Folded Spill
	;; [unrolled: 1-line block ×3, first 2 shown]
	s_and_saveexec_b64 s[2:3], vcc
	s_cbranch_execz .LBB59_217
; %bb.216:
	buffer_load_dword v87, off, s[20:23], 0 offset:672 ; 4-byte Folded Reload
	buffer_load_dword v88, off, s[20:23], 0 offset:676 ; 4-byte Folded Reload
	;; [unrolled: 1-line block ×4, first 2 shown]
	ds_read2_b64 v[105:108], v125 offset0:48 offset1:49
	s_waitcnt vmcnt(2)
	v_mul_f64 v[97:98], v[87:88], v[23:24]
	s_waitcnt vmcnt(0)
	v_mul_f64 v[23:24], v[89:90], v[23:24]
	v_fma_f64 v[97:98], v[89:90], v[21:22], v[97:98]
	v_fma_f64 v[21:22], v[87:88], v[21:22], -v[23:24]
	s_waitcnt lgkmcnt(0)
	v_mul_f64 v[23:24], v[107:108], v[97:98]
	v_mul_f64 v[99:100], v[105:106], v[97:98]
	v_fma_f64 v[23:24], v[105:106], v[21:22], -v[23:24]
	v_fma_f64 v[99:100], v[107:108], v[21:22], v[99:100]
	ds_read2_b64 v[105:108], v125 offset0:50 offset1:51
	v_add_f64 v[17:18], v[17:18], -v[23:24]
	v_add_f64 v[19:20], v[19:20], -v[99:100]
	s_waitcnt lgkmcnt(0)
	v_mul_f64 v[23:24], v[107:108], v[97:98]
	v_mul_f64 v[99:100], v[105:106], v[97:98]
	v_fma_f64 v[23:24], v[105:106], v[21:22], -v[23:24]
	v_fma_f64 v[99:100], v[107:108], v[21:22], v[99:100]
	ds_read2_b64 v[105:108], v125 offset0:52 offset1:53
	v_add_f64 v[13:14], v[13:14], -v[23:24]
	v_add_f64 v[15:16], v[15:16], -v[99:100]
	;; [unrolled: 8-line block ×5, first 2 shown]
	s_waitcnt lgkmcnt(0)
	v_mul_f64 v[23:24], v[107:108], v[97:98]
	v_mul_f64 v[99:100], v[105:106], v[97:98]
	v_fma_f64 v[23:24], v[105:106], v[21:22], -v[23:24]
	v_fma_f64 v[99:100], v[107:108], v[21:22], v[99:100]
	v_add_f64 v[101:102], v[101:102], -v[23:24]
	v_add_f64 v[103:104], v[103:104], -v[99:100]
	v_mov_b32_e32 v23, v97
	v_mov_b32_e32 v24, v98
.LBB59_217:
	s_or_b64 exec, exec, s[2:3]
	v_cmp_eq_u32_e32 vcc, 24, v0
	s_waitcnt vmcnt(0)
	s_barrier
	s_and_saveexec_b64 s[4:5], vcc
	s_cbranch_execz .LBB59_224
; %bb.218:
	ds_write2_b64 v127, v[17:18], v[19:20] offset1:1
	ds_write2_b64 v125, v[13:14], v[15:16] offset0:50 offset1:51
	ds_write2_b64 v125, v[9:10], v[11:12] offset0:52 offset1:53
	;; [unrolled: 1-line block ×5, first 2 shown]
	ds_read2_b64 v[97:100], v127 offset1:1
	s_waitcnt lgkmcnt(0)
	v_cmp_neq_f64_e32 vcc, 0, v[97:98]
	v_cmp_neq_f64_e64 s[2:3], 0, v[99:100]
	s_or_b64 s[2:3], vcc, s[2:3]
	s_and_b64 exec, exec, s[2:3]
	s_cbranch_execz .LBB59_224
; %bb.219:
	v_cmp_ngt_f64_e64 s[2:3], |v[97:98]|, |v[99:100]|
                                        ; implicit-def: $vgpr105_vgpr106
	s_and_saveexec_b64 s[6:7], s[2:3]
	s_xor_b64 s[2:3], exec, s[6:7]
                                        ; implicit-def: $vgpr107_vgpr108
	s_cbranch_execz .LBB59_221
; %bb.220:
	v_div_scale_f64 v[105:106], s[6:7], v[99:100], v[99:100], v[97:98]
	v_rcp_f64_e32 v[107:108], v[105:106]
	v_fma_f64 v[109:110], -v[105:106], v[107:108], 1.0
	v_fma_f64 v[107:108], v[107:108], v[109:110], v[107:108]
	v_div_scale_f64 v[109:110], vcc, v[97:98], v[99:100], v[97:98]
	v_fma_f64 v[111:112], -v[105:106], v[107:108], 1.0
	v_fma_f64 v[107:108], v[107:108], v[111:112], v[107:108]
	v_mul_f64 v[111:112], v[109:110], v[107:108]
	v_fma_f64 v[105:106], -v[105:106], v[111:112], v[109:110]
	v_div_fmas_f64 v[105:106], v[105:106], v[107:108], v[111:112]
	v_div_fixup_f64 v[105:106], v[105:106], v[99:100], v[97:98]
	v_fma_f64 v[97:98], v[97:98], v[105:106], v[99:100]
	v_div_scale_f64 v[99:100], s[6:7], v[97:98], v[97:98], 1.0
	v_div_scale_f64 v[111:112], vcc, 1.0, v[97:98], 1.0
	v_rcp_f64_e32 v[107:108], v[99:100]
	v_fma_f64 v[109:110], -v[99:100], v[107:108], 1.0
	v_fma_f64 v[107:108], v[107:108], v[109:110], v[107:108]
	v_fma_f64 v[109:110], -v[99:100], v[107:108], 1.0
	v_fma_f64 v[107:108], v[107:108], v[109:110], v[107:108]
	v_mul_f64 v[109:110], v[111:112], v[107:108]
	v_fma_f64 v[99:100], -v[99:100], v[109:110], v[111:112]
	v_div_fmas_f64 v[99:100], v[99:100], v[107:108], v[109:110]
	v_div_fixup_f64 v[107:108], v[99:100], v[97:98], 1.0
                                        ; implicit-def: $vgpr97_vgpr98
	v_mul_f64 v[105:106], v[105:106], v[107:108]
	v_xor_b32_e32 v108, 0x80000000, v108
.LBB59_221:
	s_andn2_saveexec_b64 s[2:3], s[2:3]
	s_cbranch_execz .LBB59_223
; %bb.222:
	v_div_scale_f64 v[105:106], s[6:7], v[97:98], v[97:98], v[99:100]
	v_rcp_f64_e32 v[107:108], v[105:106]
	v_fma_f64 v[109:110], -v[105:106], v[107:108], 1.0
	v_fma_f64 v[107:108], v[107:108], v[109:110], v[107:108]
	v_div_scale_f64 v[109:110], vcc, v[99:100], v[97:98], v[99:100]
	v_fma_f64 v[111:112], -v[105:106], v[107:108], 1.0
	v_fma_f64 v[107:108], v[107:108], v[111:112], v[107:108]
	v_mul_f64 v[111:112], v[109:110], v[107:108]
	v_fma_f64 v[105:106], -v[105:106], v[111:112], v[109:110]
	v_div_fmas_f64 v[105:106], v[105:106], v[107:108], v[111:112]
	v_div_fixup_f64 v[107:108], v[105:106], v[97:98], v[99:100]
	v_fma_f64 v[97:98], v[99:100], v[107:108], v[97:98]
	v_div_scale_f64 v[99:100], s[6:7], v[97:98], v[97:98], 1.0
	v_div_scale_f64 v[111:112], vcc, 1.0, v[97:98], 1.0
	v_rcp_f64_e32 v[105:106], v[99:100]
	v_fma_f64 v[109:110], -v[99:100], v[105:106], 1.0
	v_fma_f64 v[105:106], v[105:106], v[109:110], v[105:106]
	v_fma_f64 v[109:110], -v[99:100], v[105:106], 1.0
	v_fma_f64 v[105:106], v[105:106], v[109:110], v[105:106]
	v_mul_f64 v[109:110], v[111:112], v[105:106]
	v_fma_f64 v[99:100], -v[99:100], v[109:110], v[111:112]
	v_div_fmas_f64 v[99:100], v[99:100], v[105:106], v[109:110]
	v_div_fixup_f64 v[105:106], v[99:100], v[97:98], 1.0
	v_mul_f64 v[107:108], v[107:108], -v[105:106]
.LBB59_223:
	s_or_b64 exec, exec, s[2:3]
	ds_write2_b64 v127, v[105:106], v[107:108] offset1:1
.LBB59_224:
	s_or_b64 exec, exec, s[4:5]
	s_waitcnt lgkmcnt(0)
	s_barrier
	ds_read2_b64 v[87:90], v127 offset1:1
	v_cmp_lt_u32_e32 vcc, 24, v0
	s_waitcnt lgkmcnt(0)
	buffer_store_dword v87, off, s[20:23], 0 offset:688 ; 4-byte Folded Spill
	s_nop 0
	buffer_store_dword v88, off, s[20:23], 0 offset:692 ; 4-byte Folded Spill
	buffer_store_dword v89, off, s[20:23], 0 offset:696 ; 4-byte Folded Spill
	;; [unrolled: 1-line block ×3, first 2 shown]
	s_and_saveexec_b64 s[2:3], vcc
	s_cbranch_execz .LBB59_226
; %bb.225:
	buffer_load_dword v87, off, s[20:23], 0 offset:688 ; 4-byte Folded Reload
	buffer_load_dword v88, off, s[20:23], 0 offset:692 ; 4-byte Folded Reload
	;; [unrolled: 1-line block ×4, first 2 shown]
	s_waitcnt vmcnt(2)
	v_mul_f64 v[97:98], v[87:88], v[19:20]
	s_waitcnt vmcnt(0)
	v_mul_f64 v[19:20], v[89:90], v[19:20]
	v_fma_f64 v[105:106], v[89:90], v[17:18], v[97:98]
	ds_read2_b64 v[97:100], v125 offset0:50 offset1:51
	v_fma_f64 v[17:18], v[87:88], v[17:18], -v[19:20]
	s_waitcnt lgkmcnt(0)
	v_mul_f64 v[19:20], v[99:100], v[105:106]
	v_fma_f64 v[19:20], v[97:98], v[17:18], -v[19:20]
	v_mul_f64 v[97:98], v[97:98], v[105:106]
	v_add_f64 v[13:14], v[13:14], -v[19:20]
	v_fma_f64 v[97:98], v[99:100], v[17:18], v[97:98]
	v_add_f64 v[15:16], v[15:16], -v[97:98]
	ds_read2_b64 v[97:100], v125 offset0:52 offset1:53
	s_waitcnt lgkmcnt(0)
	v_mul_f64 v[19:20], v[99:100], v[105:106]
	v_fma_f64 v[19:20], v[97:98], v[17:18], -v[19:20]
	v_mul_f64 v[97:98], v[97:98], v[105:106]
	v_add_f64 v[9:10], v[9:10], -v[19:20]
	v_fma_f64 v[97:98], v[99:100], v[17:18], v[97:98]
	v_add_f64 v[11:12], v[11:12], -v[97:98]
	ds_read2_b64 v[97:100], v125 offset0:54 offset1:55
	;; [unrolled: 8-line block ×4, first 2 shown]
	s_waitcnt lgkmcnt(0)
	v_mul_f64 v[19:20], v[99:100], v[105:106]
	v_fma_f64 v[19:20], v[97:98], v[17:18], -v[19:20]
	v_mul_f64 v[97:98], v[97:98], v[105:106]
	v_add_f64 v[101:102], v[101:102], -v[19:20]
	v_fma_f64 v[97:98], v[99:100], v[17:18], v[97:98]
	v_mov_b32_e32 v19, v105
	v_mov_b32_e32 v20, v106
	v_add_f64 v[103:104], v[103:104], -v[97:98]
.LBB59_226:
	s_or_b64 exec, exec, s[2:3]
	v_cmp_eq_u32_e32 vcc, 25, v0
	s_waitcnt vmcnt(0)
	s_barrier
	s_and_saveexec_b64 s[4:5], vcc
	s_cbranch_execz .LBB59_233
; %bb.227:
	ds_write2_b64 v127, v[13:14], v[15:16] offset1:1
	ds_write2_b64 v125, v[9:10], v[11:12] offset0:52 offset1:53
	ds_write2_b64 v125, v[5:6], v[7:8] offset0:54 offset1:55
	;; [unrolled: 1-line block ×4, first 2 shown]
	ds_read2_b64 v[97:100], v127 offset1:1
	s_waitcnt lgkmcnt(0)
	v_cmp_neq_f64_e32 vcc, 0, v[97:98]
	v_cmp_neq_f64_e64 s[2:3], 0, v[99:100]
	s_or_b64 s[2:3], vcc, s[2:3]
	s_and_b64 exec, exec, s[2:3]
	s_cbranch_execz .LBB59_233
; %bb.228:
	v_cmp_ngt_f64_e64 s[2:3], |v[97:98]|, |v[99:100]|
                                        ; implicit-def: $vgpr105_vgpr106
	s_and_saveexec_b64 s[6:7], s[2:3]
	s_xor_b64 s[2:3], exec, s[6:7]
                                        ; implicit-def: $vgpr107_vgpr108
	s_cbranch_execz .LBB59_230
; %bb.229:
	v_div_scale_f64 v[105:106], s[6:7], v[99:100], v[99:100], v[97:98]
	v_rcp_f64_e32 v[107:108], v[105:106]
	v_fma_f64 v[109:110], -v[105:106], v[107:108], 1.0
	v_fma_f64 v[107:108], v[107:108], v[109:110], v[107:108]
	v_div_scale_f64 v[109:110], vcc, v[97:98], v[99:100], v[97:98]
	v_fma_f64 v[111:112], -v[105:106], v[107:108], 1.0
	v_fma_f64 v[107:108], v[107:108], v[111:112], v[107:108]
	v_mul_f64 v[111:112], v[109:110], v[107:108]
	v_fma_f64 v[105:106], -v[105:106], v[111:112], v[109:110]
	v_div_fmas_f64 v[105:106], v[105:106], v[107:108], v[111:112]
	v_div_fixup_f64 v[105:106], v[105:106], v[99:100], v[97:98]
	v_fma_f64 v[97:98], v[97:98], v[105:106], v[99:100]
	v_div_scale_f64 v[99:100], s[6:7], v[97:98], v[97:98], 1.0
	v_div_scale_f64 v[111:112], vcc, 1.0, v[97:98], 1.0
	v_rcp_f64_e32 v[107:108], v[99:100]
	v_fma_f64 v[109:110], -v[99:100], v[107:108], 1.0
	v_fma_f64 v[107:108], v[107:108], v[109:110], v[107:108]
	v_fma_f64 v[109:110], -v[99:100], v[107:108], 1.0
	v_fma_f64 v[107:108], v[107:108], v[109:110], v[107:108]
	v_mul_f64 v[109:110], v[111:112], v[107:108]
	v_fma_f64 v[99:100], -v[99:100], v[109:110], v[111:112]
	v_div_fmas_f64 v[99:100], v[99:100], v[107:108], v[109:110]
	v_div_fixup_f64 v[107:108], v[99:100], v[97:98], 1.0
                                        ; implicit-def: $vgpr97_vgpr98
	v_mul_f64 v[105:106], v[105:106], v[107:108]
	v_xor_b32_e32 v108, 0x80000000, v108
.LBB59_230:
	s_andn2_saveexec_b64 s[2:3], s[2:3]
	s_cbranch_execz .LBB59_232
; %bb.231:
	v_div_scale_f64 v[105:106], s[6:7], v[97:98], v[97:98], v[99:100]
	v_rcp_f64_e32 v[107:108], v[105:106]
	v_fma_f64 v[109:110], -v[105:106], v[107:108], 1.0
	v_fma_f64 v[107:108], v[107:108], v[109:110], v[107:108]
	v_div_scale_f64 v[109:110], vcc, v[99:100], v[97:98], v[99:100]
	v_fma_f64 v[111:112], -v[105:106], v[107:108], 1.0
	v_fma_f64 v[107:108], v[107:108], v[111:112], v[107:108]
	v_mul_f64 v[111:112], v[109:110], v[107:108]
	v_fma_f64 v[105:106], -v[105:106], v[111:112], v[109:110]
	v_div_fmas_f64 v[105:106], v[105:106], v[107:108], v[111:112]
	v_div_fixup_f64 v[107:108], v[105:106], v[97:98], v[99:100]
	v_fma_f64 v[97:98], v[99:100], v[107:108], v[97:98]
	v_div_scale_f64 v[99:100], s[6:7], v[97:98], v[97:98], 1.0
	v_div_scale_f64 v[111:112], vcc, 1.0, v[97:98], 1.0
	v_rcp_f64_e32 v[105:106], v[99:100]
	v_fma_f64 v[109:110], -v[99:100], v[105:106], 1.0
	v_fma_f64 v[105:106], v[105:106], v[109:110], v[105:106]
	v_fma_f64 v[109:110], -v[99:100], v[105:106], 1.0
	v_fma_f64 v[105:106], v[105:106], v[109:110], v[105:106]
	v_mul_f64 v[109:110], v[111:112], v[105:106]
	v_fma_f64 v[99:100], -v[99:100], v[109:110], v[111:112]
	v_div_fmas_f64 v[99:100], v[99:100], v[105:106], v[109:110]
	v_div_fixup_f64 v[105:106], v[99:100], v[97:98], 1.0
	v_mul_f64 v[107:108], v[107:108], -v[105:106]
.LBB59_232:
	s_or_b64 exec, exec, s[2:3]
	ds_write2_b64 v127, v[105:106], v[107:108] offset1:1
.LBB59_233:
	s_or_b64 exec, exec, s[4:5]
	s_waitcnt lgkmcnt(0)
	s_barrier
	ds_read2_b64 v[87:90], v127 offset1:1
	v_cmp_lt_u32_e32 vcc, 25, v0
	s_waitcnt lgkmcnt(0)
	buffer_store_dword v87, off, s[20:23], 0 offset:704 ; 4-byte Folded Spill
	s_nop 0
	buffer_store_dword v88, off, s[20:23], 0 offset:708 ; 4-byte Folded Spill
	buffer_store_dword v89, off, s[20:23], 0 offset:712 ; 4-byte Folded Spill
	;; [unrolled: 1-line block ×3, first 2 shown]
	s_and_saveexec_b64 s[2:3], vcc
	s_cbranch_execz .LBB59_235
; %bb.234:
	buffer_load_dword v87, off, s[20:23], 0 offset:704 ; 4-byte Folded Reload
	buffer_load_dword v88, off, s[20:23], 0 offset:708 ; 4-byte Folded Reload
	;; [unrolled: 1-line block ×4, first 2 shown]
	s_waitcnt vmcnt(2)
	v_mul_f64 v[97:98], v[87:88], v[15:16]
	s_waitcnt vmcnt(0)
	v_mul_f64 v[15:16], v[89:90], v[15:16]
	v_fma_f64 v[105:106], v[89:90], v[13:14], v[97:98]
	ds_read2_b64 v[97:100], v125 offset0:52 offset1:53
	v_fma_f64 v[13:14], v[87:88], v[13:14], -v[15:16]
	s_waitcnt lgkmcnt(0)
	v_mul_f64 v[15:16], v[99:100], v[105:106]
	v_fma_f64 v[15:16], v[97:98], v[13:14], -v[15:16]
	v_mul_f64 v[97:98], v[97:98], v[105:106]
	v_add_f64 v[9:10], v[9:10], -v[15:16]
	v_fma_f64 v[97:98], v[99:100], v[13:14], v[97:98]
	v_add_f64 v[11:12], v[11:12], -v[97:98]
	ds_read2_b64 v[97:100], v125 offset0:54 offset1:55
	s_waitcnt lgkmcnt(0)
	v_mul_f64 v[15:16], v[99:100], v[105:106]
	v_fma_f64 v[15:16], v[97:98], v[13:14], -v[15:16]
	v_mul_f64 v[97:98], v[97:98], v[105:106]
	v_add_f64 v[5:6], v[5:6], -v[15:16]
	v_fma_f64 v[97:98], v[99:100], v[13:14], v[97:98]
	v_add_f64 v[7:8], v[7:8], -v[97:98]
	ds_read2_b64 v[97:100], v125 offset0:56 offset1:57
	;; [unrolled: 8-line block ×3, first 2 shown]
	s_waitcnt lgkmcnt(0)
	v_mul_f64 v[15:16], v[99:100], v[105:106]
	v_fma_f64 v[15:16], v[97:98], v[13:14], -v[15:16]
	v_mul_f64 v[97:98], v[97:98], v[105:106]
	v_add_f64 v[101:102], v[101:102], -v[15:16]
	v_fma_f64 v[97:98], v[99:100], v[13:14], v[97:98]
	v_mov_b32_e32 v15, v105
	v_mov_b32_e32 v16, v106
	v_add_f64 v[103:104], v[103:104], -v[97:98]
.LBB59_235:
	s_or_b64 exec, exec, s[2:3]
	v_cmp_eq_u32_e32 vcc, 26, v0
	s_waitcnt vmcnt(0)
	s_barrier
	s_and_saveexec_b64 s[4:5], vcc
	s_cbranch_execz .LBB59_242
; %bb.236:
	ds_write2_b64 v127, v[9:10], v[11:12] offset1:1
	ds_write2_b64 v125, v[5:6], v[7:8] offset0:54 offset1:55
	ds_write2_b64 v125, v[1:2], v[3:4] offset0:56 offset1:57
	;; [unrolled: 1-line block ×3, first 2 shown]
	ds_read2_b64 v[97:100], v127 offset1:1
	s_waitcnt lgkmcnt(0)
	v_cmp_neq_f64_e32 vcc, 0, v[97:98]
	v_cmp_neq_f64_e64 s[2:3], 0, v[99:100]
	s_or_b64 s[2:3], vcc, s[2:3]
	s_and_b64 exec, exec, s[2:3]
	s_cbranch_execz .LBB59_242
; %bb.237:
	v_cmp_ngt_f64_e64 s[2:3], |v[97:98]|, |v[99:100]|
                                        ; implicit-def: $vgpr105_vgpr106
	s_and_saveexec_b64 s[6:7], s[2:3]
	s_xor_b64 s[2:3], exec, s[6:7]
                                        ; implicit-def: $vgpr107_vgpr108
	s_cbranch_execz .LBB59_239
; %bb.238:
	v_div_scale_f64 v[105:106], s[6:7], v[99:100], v[99:100], v[97:98]
	v_rcp_f64_e32 v[107:108], v[105:106]
	v_fma_f64 v[109:110], -v[105:106], v[107:108], 1.0
	v_fma_f64 v[107:108], v[107:108], v[109:110], v[107:108]
	v_div_scale_f64 v[109:110], vcc, v[97:98], v[99:100], v[97:98]
	v_fma_f64 v[111:112], -v[105:106], v[107:108], 1.0
	v_fma_f64 v[107:108], v[107:108], v[111:112], v[107:108]
	v_mul_f64 v[111:112], v[109:110], v[107:108]
	v_fma_f64 v[105:106], -v[105:106], v[111:112], v[109:110]
	v_div_fmas_f64 v[105:106], v[105:106], v[107:108], v[111:112]
	v_div_fixup_f64 v[105:106], v[105:106], v[99:100], v[97:98]
	v_fma_f64 v[97:98], v[97:98], v[105:106], v[99:100]
	v_div_scale_f64 v[99:100], s[6:7], v[97:98], v[97:98], 1.0
	v_div_scale_f64 v[111:112], vcc, 1.0, v[97:98], 1.0
	v_rcp_f64_e32 v[107:108], v[99:100]
	v_fma_f64 v[109:110], -v[99:100], v[107:108], 1.0
	v_fma_f64 v[107:108], v[107:108], v[109:110], v[107:108]
	v_fma_f64 v[109:110], -v[99:100], v[107:108], 1.0
	v_fma_f64 v[107:108], v[107:108], v[109:110], v[107:108]
	v_mul_f64 v[109:110], v[111:112], v[107:108]
	v_fma_f64 v[99:100], -v[99:100], v[109:110], v[111:112]
	v_div_fmas_f64 v[99:100], v[99:100], v[107:108], v[109:110]
	v_div_fixup_f64 v[107:108], v[99:100], v[97:98], 1.0
                                        ; implicit-def: $vgpr97_vgpr98
	v_mul_f64 v[105:106], v[105:106], v[107:108]
	v_xor_b32_e32 v108, 0x80000000, v108
.LBB59_239:
	s_andn2_saveexec_b64 s[2:3], s[2:3]
	s_cbranch_execz .LBB59_241
; %bb.240:
	v_div_scale_f64 v[105:106], s[6:7], v[97:98], v[97:98], v[99:100]
	v_rcp_f64_e32 v[107:108], v[105:106]
	v_fma_f64 v[109:110], -v[105:106], v[107:108], 1.0
	v_fma_f64 v[107:108], v[107:108], v[109:110], v[107:108]
	v_div_scale_f64 v[109:110], vcc, v[99:100], v[97:98], v[99:100]
	v_fma_f64 v[111:112], -v[105:106], v[107:108], 1.0
	v_fma_f64 v[107:108], v[107:108], v[111:112], v[107:108]
	v_mul_f64 v[111:112], v[109:110], v[107:108]
	v_fma_f64 v[105:106], -v[105:106], v[111:112], v[109:110]
	v_div_fmas_f64 v[105:106], v[105:106], v[107:108], v[111:112]
	v_div_fixup_f64 v[107:108], v[105:106], v[97:98], v[99:100]
	v_fma_f64 v[97:98], v[99:100], v[107:108], v[97:98]
	v_div_scale_f64 v[99:100], s[6:7], v[97:98], v[97:98], 1.0
	v_div_scale_f64 v[111:112], vcc, 1.0, v[97:98], 1.0
	v_rcp_f64_e32 v[105:106], v[99:100]
	v_fma_f64 v[109:110], -v[99:100], v[105:106], 1.0
	v_fma_f64 v[105:106], v[105:106], v[109:110], v[105:106]
	v_fma_f64 v[109:110], -v[99:100], v[105:106], 1.0
	v_fma_f64 v[105:106], v[105:106], v[109:110], v[105:106]
	v_mul_f64 v[109:110], v[111:112], v[105:106]
	v_fma_f64 v[99:100], -v[99:100], v[109:110], v[111:112]
	v_div_fmas_f64 v[99:100], v[99:100], v[105:106], v[109:110]
	v_div_fixup_f64 v[105:106], v[99:100], v[97:98], 1.0
	v_mul_f64 v[107:108], v[107:108], -v[105:106]
.LBB59_241:
	s_or_b64 exec, exec, s[2:3]
	ds_write2_b64 v127, v[105:106], v[107:108] offset1:1
.LBB59_242:
	s_or_b64 exec, exec, s[4:5]
	s_waitcnt lgkmcnt(0)
	s_barrier
	ds_read2_b64 v[109:112], v127 offset1:1
	v_cmp_lt_u32_e32 vcc, 26, v0
	s_and_saveexec_b64 s[2:3], vcc
	s_cbranch_execz .LBB59_244
; %bb.243:
	s_waitcnt lgkmcnt(0)
	v_mul_f64 v[97:98], v[109:110], v[11:12]
	v_mul_f64 v[11:12], v[111:112], v[11:12]
	v_fma_f64 v[105:106], v[111:112], v[9:10], v[97:98]
	ds_read2_b64 v[97:100], v125 offset0:54 offset1:55
	v_fma_f64 v[9:10], v[109:110], v[9:10], -v[11:12]
	s_waitcnt lgkmcnt(0)
	v_mul_f64 v[11:12], v[99:100], v[105:106]
	v_fma_f64 v[11:12], v[97:98], v[9:10], -v[11:12]
	v_mul_f64 v[97:98], v[97:98], v[105:106]
	v_add_f64 v[5:6], v[5:6], -v[11:12]
	v_fma_f64 v[97:98], v[99:100], v[9:10], v[97:98]
	v_add_f64 v[7:8], v[7:8], -v[97:98]
	ds_read2_b64 v[97:100], v125 offset0:56 offset1:57
	s_waitcnt lgkmcnt(0)
	v_mul_f64 v[11:12], v[99:100], v[105:106]
	v_fma_f64 v[11:12], v[97:98], v[9:10], -v[11:12]
	v_mul_f64 v[97:98], v[97:98], v[105:106]
	v_add_f64 v[1:2], v[1:2], -v[11:12]
	v_fma_f64 v[97:98], v[99:100], v[9:10], v[97:98]
	v_add_f64 v[3:4], v[3:4], -v[97:98]
	ds_read2_b64 v[97:100], v125 offset0:58 offset1:59
	s_waitcnt lgkmcnt(0)
	v_mul_f64 v[11:12], v[99:100], v[105:106]
	v_fma_f64 v[11:12], v[97:98], v[9:10], -v[11:12]
	v_mul_f64 v[97:98], v[97:98], v[105:106]
	v_add_f64 v[101:102], v[101:102], -v[11:12]
	v_fma_f64 v[97:98], v[99:100], v[9:10], v[97:98]
	v_mov_b32_e32 v11, v105
	v_mov_b32_e32 v12, v106
	v_add_f64 v[103:104], v[103:104], -v[97:98]
.LBB59_244:
	s_or_b64 exec, exec, s[2:3]
	v_cmp_eq_u32_e32 vcc, 27, v0
	s_waitcnt lgkmcnt(0)
	s_barrier
	s_and_saveexec_b64 s[4:5], vcc
	s_cbranch_execz .LBB59_251
; %bb.245:
	ds_write2_b64 v127, v[5:6], v[7:8] offset1:1
	ds_write2_b64 v125, v[1:2], v[3:4] offset0:56 offset1:57
	ds_write2_b64 v125, v[101:102], v[103:104] offset0:58 offset1:59
	ds_read2_b64 v[97:100], v127 offset1:1
	s_waitcnt lgkmcnt(0)
	v_cmp_neq_f64_e32 vcc, 0, v[97:98]
	v_cmp_neq_f64_e64 s[2:3], 0, v[99:100]
	s_or_b64 s[2:3], vcc, s[2:3]
	s_and_b64 exec, exec, s[2:3]
	s_cbranch_execz .LBB59_251
; %bb.246:
	v_cmp_ngt_f64_e64 s[2:3], |v[97:98]|, |v[99:100]|
                                        ; implicit-def: $vgpr105_vgpr106
	s_and_saveexec_b64 s[6:7], s[2:3]
	s_xor_b64 s[2:3], exec, s[6:7]
                                        ; implicit-def: $vgpr107_vgpr108
	s_cbranch_execz .LBB59_248
; %bb.247:
	v_div_scale_f64 v[105:106], s[6:7], v[99:100], v[99:100], v[97:98]
	v_rcp_f64_e32 v[107:108], v[105:106]
	v_fma_f64 v[121:122], -v[105:106], v[107:108], 1.0
	v_fma_f64 v[107:108], v[107:108], v[121:122], v[107:108]
	v_div_scale_f64 v[121:122], vcc, v[97:98], v[99:100], v[97:98]
	v_fma_f64 v[123:124], -v[105:106], v[107:108], 1.0
	v_fma_f64 v[107:108], v[107:108], v[123:124], v[107:108]
	v_mul_f64 v[123:124], v[121:122], v[107:108]
	v_fma_f64 v[105:106], -v[105:106], v[123:124], v[121:122]
	v_div_fmas_f64 v[105:106], v[105:106], v[107:108], v[123:124]
	v_div_fixup_f64 v[105:106], v[105:106], v[99:100], v[97:98]
	v_fma_f64 v[97:98], v[97:98], v[105:106], v[99:100]
	v_div_scale_f64 v[99:100], s[6:7], v[97:98], v[97:98], 1.0
	v_div_scale_f64 v[123:124], vcc, 1.0, v[97:98], 1.0
	v_rcp_f64_e32 v[107:108], v[99:100]
	v_fma_f64 v[121:122], -v[99:100], v[107:108], 1.0
	v_fma_f64 v[107:108], v[107:108], v[121:122], v[107:108]
	v_fma_f64 v[121:122], -v[99:100], v[107:108], 1.0
	v_fma_f64 v[107:108], v[107:108], v[121:122], v[107:108]
	v_mul_f64 v[121:122], v[123:124], v[107:108]
	v_fma_f64 v[99:100], -v[99:100], v[121:122], v[123:124]
	v_div_fmas_f64 v[99:100], v[99:100], v[107:108], v[121:122]
	v_div_fixup_f64 v[107:108], v[99:100], v[97:98], 1.0
                                        ; implicit-def: $vgpr97_vgpr98
	v_mul_f64 v[105:106], v[105:106], v[107:108]
	v_xor_b32_e32 v108, 0x80000000, v108
.LBB59_248:
	s_andn2_saveexec_b64 s[2:3], s[2:3]
	s_cbranch_execz .LBB59_250
; %bb.249:
	v_div_scale_f64 v[105:106], s[6:7], v[97:98], v[97:98], v[99:100]
	v_rcp_f64_e32 v[107:108], v[105:106]
	v_fma_f64 v[121:122], -v[105:106], v[107:108], 1.0
	v_fma_f64 v[107:108], v[107:108], v[121:122], v[107:108]
	v_div_scale_f64 v[121:122], vcc, v[99:100], v[97:98], v[99:100]
	v_fma_f64 v[123:124], -v[105:106], v[107:108], 1.0
	v_fma_f64 v[107:108], v[107:108], v[123:124], v[107:108]
	v_mul_f64 v[123:124], v[121:122], v[107:108]
	v_fma_f64 v[105:106], -v[105:106], v[123:124], v[121:122]
	v_div_fmas_f64 v[105:106], v[105:106], v[107:108], v[123:124]
	v_div_fixup_f64 v[107:108], v[105:106], v[97:98], v[99:100]
	v_fma_f64 v[97:98], v[99:100], v[107:108], v[97:98]
	v_div_scale_f64 v[99:100], s[6:7], v[97:98], v[97:98], 1.0
	v_div_scale_f64 v[123:124], vcc, 1.0, v[97:98], 1.0
	v_rcp_f64_e32 v[105:106], v[99:100]
	v_fma_f64 v[121:122], -v[99:100], v[105:106], 1.0
	v_fma_f64 v[105:106], v[105:106], v[121:122], v[105:106]
	v_fma_f64 v[121:122], -v[99:100], v[105:106], 1.0
	v_fma_f64 v[105:106], v[105:106], v[121:122], v[105:106]
	v_mul_f64 v[121:122], v[123:124], v[105:106]
	v_fma_f64 v[99:100], -v[99:100], v[121:122], v[123:124]
	v_div_fmas_f64 v[99:100], v[99:100], v[105:106], v[121:122]
	v_div_fixup_f64 v[105:106], v[99:100], v[97:98], 1.0
	v_mul_f64 v[107:108], v[107:108], -v[105:106]
.LBB59_250:
	s_or_b64 exec, exec, s[2:3]
	ds_write2_b64 v127, v[105:106], v[107:108] offset1:1
.LBB59_251:
	s_or_b64 exec, exec, s[4:5]
	s_waitcnt lgkmcnt(0)
	s_barrier
	ds_read2_b64 v[97:100], v127 offset1:1
	v_cmp_lt_u32_e32 vcc, 27, v0
	s_and_saveexec_b64 s[2:3], vcc
	s_cbranch_execz .LBB59_253
; %bb.252:
	s_waitcnt lgkmcnt(0)
	v_mul_f64 v[105:106], v[97:98], v[7:8]
	v_mul_f64 v[7:8], v[99:100], v[7:8]
	v_fma_f64 v[121:122], v[99:100], v[5:6], v[105:106]
	ds_read2_b64 v[105:108], v125 offset0:56 offset1:57
	v_fma_f64 v[5:6], v[97:98], v[5:6], -v[7:8]
	s_waitcnt lgkmcnt(0)
	v_mul_f64 v[7:8], v[107:108], v[121:122]
	v_fma_f64 v[7:8], v[105:106], v[5:6], -v[7:8]
	v_mul_f64 v[105:106], v[105:106], v[121:122]
	v_add_f64 v[1:2], v[1:2], -v[7:8]
	v_fma_f64 v[105:106], v[107:108], v[5:6], v[105:106]
	v_add_f64 v[3:4], v[3:4], -v[105:106]
	ds_read2_b64 v[105:108], v125 offset0:58 offset1:59
	s_waitcnt lgkmcnt(0)
	v_mul_f64 v[7:8], v[107:108], v[121:122]
	v_fma_f64 v[7:8], v[105:106], v[5:6], -v[7:8]
	v_mul_f64 v[105:106], v[105:106], v[121:122]
	v_add_f64 v[101:102], v[101:102], -v[7:8]
	v_fma_f64 v[105:106], v[107:108], v[5:6], v[105:106]
	v_mov_b32_e32 v7, v121
	v_mov_b32_e32 v8, v122
	v_add_f64 v[103:104], v[103:104], -v[105:106]
.LBB59_253:
	s_or_b64 exec, exec, s[2:3]
	v_cmp_eq_u32_e32 vcc, 28, v0
	s_waitcnt lgkmcnt(0)
	s_barrier
	s_and_saveexec_b64 s[4:5], vcc
	s_cbranch_execz .LBB59_260
; %bb.254:
	ds_write2_b64 v127, v[1:2], v[3:4] offset1:1
	ds_write2_b64 v125, v[101:102], v[103:104] offset0:58 offset1:59
	ds_read2_b64 v[105:108], v127 offset1:1
	s_waitcnt lgkmcnt(0)
	v_cmp_neq_f64_e32 vcc, 0, v[105:106]
	v_cmp_neq_f64_e64 s[2:3], 0, v[107:108]
	s_or_b64 s[2:3], vcc, s[2:3]
	s_and_b64 exec, exec, s[2:3]
	s_cbranch_execz .LBB59_260
; %bb.255:
	v_cmp_ngt_f64_e64 s[2:3], |v[105:106]|, |v[107:108]|
                                        ; implicit-def: $vgpr121_vgpr122
	s_and_saveexec_b64 s[6:7], s[2:3]
	s_xor_b64 s[2:3], exec, s[6:7]
                                        ; implicit-def: $vgpr123_vgpr124
	s_cbranch_execz .LBB59_257
; %bb.256:
	v_div_scale_f64 v[121:122], s[6:7], v[107:108], v[107:108], v[105:106]
	v_mov_b32_e32 v90, v72
	v_mov_b32_e32 v89, v71
	;; [unrolled: 1-line block ×14, first 2 shown]
	v_rcp_f64_e32 v[123:124], v[121:122]
	v_mov_b32_e32 v79, v83
	v_mov_b32_e32 v80, v84
	;; [unrolled: 1-line block ×6, first 2 shown]
	v_div_scale_f64 v[95:96], vcc, v[105:106], v[107:108], v[105:106]
	v_fma_f64 v[93:94], -v[121:122], v[123:124], 1.0
	v_fma_f64 v[93:94], v[123:124], v[93:94], v[123:124]
	v_fma_f64 v[123:124], -v[121:122], v[93:94], 1.0
	v_fma_f64 v[93:94], v[93:94], v[123:124], v[93:94]
	v_mul_f64 v[123:124], v[95:96], v[93:94]
	v_fma_f64 v[95:96], -v[121:122], v[123:124], v[95:96]
	v_div_fmas_f64 v[93:94], v[95:96], v[93:94], v[123:124]
	v_div_fixup_f64 v[93:94], v[93:94], v[107:108], v[105:106]
	v_fma_f64 v[95:96], v[105:106], v[93:94], v[107:108]
	v_div_scale_f64 v[105:106], s[6:7], v[95:96], v[95:96], 1.0
	v_div_scale_f64 v[123:124], vcc, 1.0, v[95:96], 1.0
	v_rcp_f64_e32 v[107:108], v[105:106]
	v_fma_f64 v[121:122], -v[105:106], v[107:108], 1.0
	v_fma_f64 v[107:108], v[107:108], v[121:122], v[107:108]
	v_fma_f64 v[121:122], -v[105:106], v[107:108], 1.0
	v_fma_f64 v[107:108], v[107:108], v[121:122], v[107:108]
	v_mul_f64 v[121:122], v[123:124], v[107:108]
	v_fma_f64 v[105:106], -v[105:106], v[121:122], v[123:124]
	v_div_fmas_f64 v[105:106], v[105:106], v[107:108], v[121:122]
	v_div_fixup_f64 v[123:124], v[105:106], v[95:96], 1.0
                                        ; implicit-def: $vgpr105_vgpr106
	v_mul_f64 v[121:122], v[93:94], v[123:124]
	v_mov_b32_e32 v96, v84
	v_mov_b32_e32 v95, v83
	;; [unrolled: 1-line block ×20, first 2 shown]
	v_xor_b32_e32 v124, 0x80000000, v124
.LBB59_257:
	s_andn2_saveexec_b64 s[2:3], s[2:3]
	s_cbranch_execz .LBB59_259
; %bb.258:
	v_mov_b32_e32 v87, v93
	v_mov_b32_e32 v88, v94
	;; [unrolled: 1-line block ×4, first 2 shown]
	v_div_scale_f64 v[93:94], s[6:7], v[105:106], v[105:106], v[107:108]
	v_rcp_f64_e32 v[95:96], v[93:94]
	v_fma_f64 v[121:122], -v[93:94], v[95:96], 1.0
	v_fma_f64 v[95:96], v[95:96], v[121:122], v[95:96]
	v_div_scale_f64 v[121:122], vcc, v[107:108], v[105:106], v[107:108]
	v_fma_f64 v[123:124], -v[93:94], v[95:96], 1.0
	v_fma_f64 v[95:96], v[95:96], v[123:124], v[95:96]
	v_mul_f64 v[123:124], v[121:122], v[95:96]
	v_fma_f64 v[93:94], -v[93:94], v[123:124], v[121:122]
	v_div_fmas_f64 v[93:94], v[93:94], v[95:96], v[123:124]
	v_div_fixup_f64 v[93:94], v[93:94], v[105:106], v[107:108]
	v_fma_f64 v[95:96], v[107:108], v[93:94], v[105:106]
	v_div_scale_f64 v[105:106], s[6:7], v[95:96], v[95:96], 1.0
	v_div_scale_f64 v[123:124], vcc, 1.0, v[95:96], 1.0
	v_rcp_f64_e32 v[107:108], v[105:106]
	v_fma_f64 v[121:122], -v[105:106], v[107:108], 1.0
	v_fma_f64 v[107:108], v[107:108], v[121:122], v[107:108]
	v_fma_f64 v[121:122], -v[105:106], v[107:108], 1.0
	v_fma_f64 v[107:108], v[107:108], v[121:122], v[107:108]
	v_mul_f64 v[121:122], v[123:124], v[107:108]
	v_fma_f64 v[105:106], -v[105:106], v[121:122], v[123:124]
	v_div_fmas_f64 v[105:106], v[105:106], v[107:108], v[121:122]
	v_div_fixup_f64 v[121:122], v[105:106], v[95:96], 1.0
	v_mul_f64 v[123:124], v[93:94], -v[121:122]
	v_mov_b32_e32 v96, v90
	v_mov_b32_e32 v95, v89
	;; [unrolled: 1-line block ×4, first 2 shown]
.LBB59_259:
	s_or_b64 exec, exec, s[2:3]
	ds_write2_b64 v127, v[121:122], v[123:124] offset1:1
.LBB59_260:
	s_or_b64 exec, exec, s[4:5]
	s_waitcnt lgkmcnt(0)
	s_barrier
	ds_read2_b64 v[121:124], v127 offset1:1
	v_cmp_lt_u32_e32 vcc, 28, v0
	s_and_saveexec_b64 s[2:3], vcc
	s_cbranch_execz .LBB59_262
; %bb.261:
	v_mov_b32_e32 v87, v93
	v_mov_b32_e32 v88, v94
	;; [unrolled: 1-line block ×4, first 2 shown]
	s_waitcnt lgkmcnt(0)
	v_mul_f64 v[93:94], v[121:122], v[3:4]
	v_mul_f64 v[3:4], v[123:124], v[3:4]
	ds_read2_b64 v[105:108], v125 offset0:58 offset1:59
	v_fma_f64 v[93:94], v[123:124], v[1:2], v[93:94]
	v_fma_f64 v[1:2], v[121:122], v[1:2], -v[3:4]
	s_waitcnt lgkmcnt(0)
	v_mul_f64 v[3:4], v[107:108], v[93:94]
	v_mul_f64 v[95:96], v[105:106], v[93:94]
	v_fma_f64 v[3:4], v[105:106], v[1:2], -v[3:4]
	v_fma_f64 v[95:96], v[107:108], v[1:2], v[95:96]
	v_add_f64 v[101:102], v[101:102], -v[3:4]
	v_add_f64 v[103:104], v[103:104], -v[95:96]
	v_mov_b32_e32 v3, v93
	v_mov_b32_e32 v4, v94
	;; [unrolled: 1-line block ×6, first 2 shown]
.LBB59_262:
	s_or_b64 exec, exec, s[2:3]
	v_cmp_eq_u32_e32 vcc, 29, v0
	s_waitcnt lgkmcnt(0)
	s_barrier
	s_and_saveexec_b64 s[4:5], vcc
	s_cbranch_execz .LBB59_269
; %bb.263:
	v_cmp_neq_f64_e32 vcc, 0, v[101:102]
	v_cmp_neq_f64_e64 s[2:3], 0, v[103:104]
	ds_write2_b64 v127, v[101:102], v[103:104] offset1:1
	s_or_b64 s[2:3], vcc, s[2:3]
	s_and_b64 exec, exec, s[2:3]
	s_cbranch_execz .LBB59_269
; %bb.264:
	v_cmp_ngt_f64_e64 s[2:3], |v[101:102]|, |v[103:104]|
                                        ; implicit-def: $vgpr105_vgpr106
	s_and_saveexec_b64 s[6:7], s[2:3]
	s_xor_b64 s[2:3], exec, s[6:7]
                                        ; implicit-def: $vgpr107_vgpr108
	s_cbranch_execz .LBB59_266
; %bb.265:
	buffer_store_dword v109, off, s[20:23], 0 offset:736 ; 4-byte Folded Spill
	s_nop 0
	buffer_store_dword v110, off, s[20:23], 0 offset:740 ; 4-byte Folded Spill
	buffer_store_dword v111, off, s[20:23], 0 offset:744 ; 4-byte Folded Spill
	;; [unrolled: 1-line block ×3, first 2 shown]
	v_mov_b32_e32 v112, v4
	v_mov_b32_e32 v111, v3
	;; [unrolled: 1-line block ×96, first 2 shown]
	v_div_scale_f64 v[93:94], s[6:7], v[103:104], v[103:104], v[101:102]
	v_mov_b32_e32 v85, v91
	v_mov_b32_e32 v86, v92
	v_rcp_f64_e32 v[95:96], v[93:94]
	v_fma_f64 v[105:106], -v[93:94], v[95:96], 1.0
	v_fma_f64 v[95:96], v[95:96], v[105:106], v[95:96]
	v_div_scale_f64 v[105:106], vcc, v[101:102], v[103:104], v[101:102]
	v_fma_f64 v[107:108], -v[93:94], v[95:96], 1.0
	v_fma_f64 v[95:96], v[95:96], v[107:108], v[95:96]
	v_mul_f64 v[107:108], v[105:106], v[95:96]
	v_fma_f64 v[93:94], -v[93:94], v[107:108], v[105:106]
	v_div_fmas_f64 v[93:94], v[93:94], v[95:96], v[107:108]
	v_div_fixup_f64 v[93:94], v[93:94], v[103:104], v[101:102]
	v_fma_f64 v[95:96], v[101:102], v[93:94], v[103:104]
	v_div_scale_f64 v[105:106], s[6:7], v[95:96], v[95:96], 1.0
	v_div_scale_f64 v[89:90], vcc, 1.0, v[95:96], 1.0
	v_rcp_f64_e32 v[107:108], v[105:106]
	v_fma_f64 v[125:126], -v[105:106], v[107:108], 1.0
	v_fma_f64 v[107:108], v[107:108], v[125:126], v[107:108]
	v_fma_f64 v[125:126], -v[105:106], v[107:108], 1.0
	v_fma_f64 v[91:92], v[107:108], v[125:126], v[107:108]
	v_mul_f64 v[107:108], v[89:90], v[91:92]
	v_fma_f64 v[89:90], -v[105:106], v[107:108], v[89:90]
	v_div_fmas_f64 v[89:90], v[89:90], v[91:92], v[107:108]
	v_mov_b32_e32 v92, v86
	v_mov_b32_e32 v91, v85
	v_div_fixup_f64 v[107:108], v[89:90], v[95:96], 1.0
	v_mul_f64 v[105:106], v[93:94], v[107:108]
	v_mov_b32_e32 v96, v84
	v_mov_b32_e32 v95, v83
	;; [unrolled: 1-line block ×96, first 2 shown]
	buffer_load_dword v109, off, s[20:23], 0 offset:736 ; 4-byte Folded Reload
	buffer_load_dword v110, off, s[20:23], 0 offset:740 ; 4-byte Folded Reload
	;; [unrolled: 1-line block ×4, first 2 shown]
	v_xor_b32_e32 v108, 0x80000000, v108
.LBB59_266:
	s_andn2_saveexec_b64 s[2:3], s[2:3]
	s_cbranch_execz .LBB59_268
; %bb.267:
	v_div_scale_f64 v[89:90], s[6:7], v[101:102], v[101:102], v[103:104]
	s_waitcnt vmcnt(0)
	v_mov_b32_e32 v85, v109
	v_mov_b32_e32 v86, v110
	;; [unrolled: 1-line block ×35, first 2 shown]
	v_rcp_f64_e32 v[91:92], v[89:90]
	v_mov_b32_e32 v26, v30
	v_mov_b32_e32 v27, v31
	;; [unrolled: 1-line block ×67, first 2 shown]
	v_fma_f64 v[93:94], -v[89:90], v[91:92], 1.0
	v_fma_f64 v[91:92], v[91:92], v[93:94], v[91:92]
	v_div_scale_f64 v[93:94], vcc, v[103:104], v[101:102], v[103:104]
	v_fma_f64 v[95:96], -v[89:90], v[91:92], 1.0
	v_fma_f64 v[91:92], v[91:92], v[95:96], v[91:92]
	v_mul_f64 v[95:96], v[93:94], v[91:92]
	v_fma_f64 v[89:90], -v[89:90], v[95:96], v[93:94]
	v_div_fmas_f64 v[89:90], v[89:90], v[91:92], v[95:96]
	v_div_fixup_f64 v[89:90], v[89:90], v[101:102], v[103:104]
	v_fma_f64 v[91:92], v[103:104], v[89:90], v[101:102]
	v_div_scale_f64 v[93:94], s[6:7], v[91:92], v[91:92], 1.0
	v_div_scale_f64 v[107:108], vcc, 1.0, v[91:92], 1.0
	v_rcp_f64_e32 v[95:96], v[93:94]
	v_fma_f64 v[105:106], -v[93:94], v[95:96], 1.0
	v_fma_f64 v[95:96], v[95:96], v[105:106], v[95:96]
	v_fma_f64 v[105:106], -v[93:94], v[95:96], 1.0
	v_fma_f64 v[95:96], v[95:96], v[105:106], v[95:96]
	v_mul_f64 v[105:106], v[107:108], v[95:96]
	v_fma_f64 v[93:94], -v[93:94], v[105:106], v[107:108]
	v_div_fmas_f64 v[93:94], v[93:94], v[95:96], v[105:106]
	v_div_fixup_f64 v[105:106], v[93:94], v[91:92], 1.0
	v_mov_b32_e32 v96, v84
	v_mov_b32_e32 v95, v83
	;; [unrolled: 1-line block ×73, first 2 shown]
	v_mul_f64 v[107:108], v[89:90], -v[105:106]
	v_mov_b32_e32 v23, v19
	v_mov_b32_e32 v22, v18
	;; [unrolled: 1-line block ×29, first 2 shown]
.LBB59_268:
	s_or_b64 exec, exec, s[2:3]
	ds_write2_b64 v127, v[105:106], v[107:108] offset1:1
.LBB59_269:
	s_or_b64 exec, exec, s[4:5]
	s_waitcnt vmcnt(0) lgkmcnt(0)
	s_barrier
	ds_read2_b64 v[105:108], v127 offset1:1
	s_waitcnt lgkmcnt(0)
	s_barrier
	s_and_saveexec_b64 s[2:3], s[0:1]
	s_cbranch_execz .LBB59_272
; %bb.270:
	buffer_load_dword v87, off, s[20:23], 0 offset:304 ; 4-byte Folded Reload
	buffer_load_dword v88, off, s[20:23], 0 offset:308 ; 4-byte Folded Reload
	;; [unrolled: 1-line block ×4, first 2 shown]
	s_waitcnt vmcnt(2)
	v_cmp_eq_f64_e32 vcc, 0, v[87:88]
	v_mov_b32_e32 v85, v109
	v_mov_b32_e32 v86, v110
	;; [unrolled: 1-line block ×4, first 2 shown]
	buffer_load_dword v109, off, s[20:23], 0 offset:320 ; 4-byte Folded Reload
	buffer_load_dword v110, off, s[20:23], 0 offset:324 ; 4-byte Folded Reload
	;; [unrolled: 1-line block ×4, first 2 shown]
	s_waitcnt vmcnt(4)
	v_cmp_eq_f64_e64 s[0:1], 0, v[89:90]
	s_and_b64 s[4:5], vcc, s[0:1]
	v_cndmask_b32_e64 v89, 0, 1, s[4:5]
	s_waitcnt vmcnt(2)
	v_cmp_neq_f64_e32 vcc, 0, v[109:110]
	s_waitcnt vmcnt(0)
	v_cmp_neq_f64_e64 s[0:1], 0, v[111:112]
	buffer_load_dword v109, off, s[20:23], 0 offset:336 ; 4-byte Folded Reload
	buffer_load_dword v110, off, s[20:23], 0 offset:340 ; 4-byte Folded Reload
	;; [unrolled: 1-line block ×4, first 2 shown]
	s_or_b64 s[0:1], vcc, s[0:1]
	s_or_b64 vcc, s[0:1], s[4:5]
	v_cndmask_b32_e32 v89, 2, v89, vcc
	s_waitcnt vmcnt(2)
	v_cmp_eq_f64_e32 vcc, 0, v[109:110]
	s_waitcnt vmcnt(0)
	v_cmp_eq_f64_e64 s[0:1], 0, v[111:112]
	buffer_load_dword v109, off, s[20:23], 0 offset:352 ; 4-byte Folded Reload
	buffer_load_dword v110, off, s[20:23], 0 offset:356 ; 4-byte Folded Reload
	buffer_load_dword v111, off, s[20:23], 0 offset:360 ; 4-byte Folded Reload
	buffer_load_dword v112, off, s[20:23], 0 offset:364 ; 4-byte Folded Reload
	s_and_b64 s[0:1], vcc, s[0:1]
	v_cmp_eq_u32_e32 vcc, 0, v89
	s_and_b64 s[0:1], s[0:1], vcc
	v_cndmask_b32_e64 v89, v89, 3, s[0:1]
	s_waitcnt vmcnt(2)
	v_cmp_eq_f64_e32 vcc, 0, v[109:110]
	s_waitcnt vmcnt(0)
	v_cmp_eq_f64_e64 s[0:1], 0, v[111:112]
	buffer_load_dword v109, off, s[20:23], 0 offset:368 ; 4-byte Folded Reload
	buffer_load_dword v110, off, s[20:23], 0 offset:372 ; 4-byte Folded Reload
	buffer_load_dword v111, off, s[20:23], 0 offset:376 ; 4-byte Folded Reload
	buffer_load_dword v112, off, s[20:23], 0 offset:380 ; 4-byte Folded Reload
	s_and_b64 s[0:1], vcc, s[0:1]
	v_cmp_eq_u32_e32 vcc, 0, v89
	s_and_b64 s[0:1], s[0:1], vcc
	v_cndmask_b32_e64 v89, v89, 4, s[0:1]
	;; [unrolled: 12-line block ×23, first 2 shown]
	s_waitcnt vmcnt(2)
	v_cmp_eq_f64_e32 vcc, 0, v[109:110]
	s_waitcnt vmcnt(0)
	v_cmp_eq_f64_e64 s[0:1], 0, v[111:112]
	s_and_b64 s[0:1], vcc, s[0:1]
	v_cmp_eq_u32_e32 vcc, 0, v89
	s_and_b64 s[0:1], s[0:1], vcc
	v_cndmask_b32_e64 v89, v89, 26, s[0:1]
	v_cmp_eq_f64_e64 s[0:1], 0, v[87:88]
	buffer_load_dword v87, off, s[20:23], 0 offset:728 ; 4-byte Folded Reload
	buffer_load_dword v88, off, s[20:23], 0 offset:732 ; 4-byte Folded Reload
	v_cmp_eq_f64_e32 vcc, 0, v[85:86]
	s_and_b64 s[0:1], vcc, s[0:1]
	v_cmp_eq_u32_e32 vcc, 0, v89
	s_and_b64 s[0:1], s[0:1], vcc
	v_cndmask_b32_e64 v89, v89, 27, s[0:1]
	v_cmp_eq_f64_e32 vcc, 0, v[97:98]
	v_cmp_eq_f64_e64 s[0:1], 0, v[99:100]
	s_and_b64 s[0:1], vcc, s[0:1]
	v_cmp_eq_u32_e32 vcc, 0, v89
	s_and_b64 s[0:1], s[0:1], vcc
	v_cndmask_b32_e64 v89, v89, 28, s[0:1]
	v_cmp_eq_f64_e32 vcc, 0, v[121:122]
	v_cmp_eq_f64_e64 s[0:1], 0, v[123:124]
	;; [unrolled: 6-line block ×3, first 2 shown]
	s_and_b64 s[0:1], vcc, s[0:1]
	v_cmp_eq_u32_e32 vcc, 0, v89
	s_and_b64 s[0:1], s[0:1], vcc
	v_cndmask_b32_e64 v99, v89, 30, s[0:1]
	v_cmp_ne_u32_e64 s[0:1], 0, v99
	s_waitcnt vmcnt(0)
	v_lshlrev_b64 v[89:90], 2, v[87:88]
	v_add_co_u32_e32 v97, vcc, s10, v89
	v_mov_b32_e32 v89, s11
	v_addc_co_u32_e32 v98, vcc, v89, v90, vcc
	global_load_dword v89, v[97:98], off
	s_waitcnt vmcnt(0)
	v_cmp_eq_u32_e32 vcc, 0, v89
	s_and_b64 s[0:1], vcc, s[0:1]
	s_and_b64 exec, exec, s[0:1]
	s_cbranch_execz .LBB59_272
; %bb.271:
	v_add_u32_e32 v89, s13, v99
	global_store_dword v[97:98], v89, off
.LBB59_272:
	s_or_b64 exec, exec, s[2:3]
	buffer_load_dword v87, off, s[20:23], 0 offset:64 ; 4-byte Folded Reload
	buffer_load_dword v88, off, s[20:23], 0 offset:68 ; 4-byte Folded Reload
	;; [unrolled: 1-line block ×4, first 2 shown]
	v_cmp_lt_u32_e32 vcc, 29, v0
	s_waitcnt vmcnt(0)
	global_store_dwordx4 v[113:114], v[87:90], off
	buffer_load_dword v87, off, s[20:23], 0 offset:48 ; 4-byte Folded Reload
	s_nop 0
	buffer_load_dword v88, off, s[20:23], 0 offset:52 ; 4-byte Folded Reload
	buffer_load_dword v89, off, s[20:23], 0 offset:56 ; 4-byte Folded Reload
	buffer_load_dword v90, off, s[20:23], 0 offset:60 ; 4-byte Folded Reload
	s_waitcnt vmcnt(0)
	global_store_dwordx4 v[115:116], v[87:90], off
	buffer_load_dword v87, off, s[20:23], 0 offset:32 ; 4-byte Folded Reload
	s_nop 0
	buffer_load_dword v88, off, s[20:23], 0 offset:36 ; 4-byte Folded Reload
	buffer_load_dword v89, off, s[20:23], 0 offset:40 ; 4-byte Folded Reload
	buffer_load_dword v90, off, s[20:23], 0 offset:44 ; 4-byte Folded Reload
	;; [unrolled: 7-line block ×3, first 2 shown]
	buffer_load_dword v91, off, s[20:23], 0 offset:24 ; 4-byte Folded Reload
	buffer_load_dword v92, off, s[20:23], 0 offset:28 ; 4-byte Folded Reload
	s_waitcnt vmcnt(0)
	global_store_dwordx4 v[87:88], v[89:92], off
	buffer_load_dword v87, off, s[20:23], 0 ; 4-byte Folded Reload
	s_nop 0
	buffer_load_dword v88, off, s[20:23], 0 offset:4 ; 4-byte Folded Reload
	buffer_load_dword v89, off, s[20:23], 0 offset:8 ; 4-byte Folded Reload
	buffer_load_dword v90, off, s[20:23], 0 offset:12 ; 4-byte Folded Reload
	buffer_load_dword v85, off, s[20:23], 0 offset:720 ; 4-byte Folded Reload
	buffer_load_dword v86, off, s[20:23], 0 offset:724 ; 4-byte Folded Reload
	s_waitcnt vmcnt(0)
	global_store_dwordx4 v[85:86], v[87:90], off
	buffer_load_dword v85, off, s[20:23], 0 offset:88 ; 4-byte Folded Reload
	s_nop 0
	buffer_load_dword v86, off, s[20:23], 0 offset:92 ; 4-byte Folded Reload
	buffer_load_dword v87, off, s[20:23], 0 offset:288 ; 4-byte Folded Reload
	;; [unrolled: 1-line block ×5, first 2 shown]
	s_waitcnt vmcnt(0)
	global_store_dwordx4 v[85:86], v[87:90], off
	buffer_load_dword v85, off, s[20:23], 0 offset:96 ; 4-byte Folded Reload
	s_nop 0
	buffer_load_dword v86, off, s[20:23], 0 offset:100 ; 4-byte Folded Reload
	v_mul_f64 v[87:88], v[107:108], v[103:104]
	v_fma_f64 v[89:90], v[105:106], v[101:102], -v[87:88]
	s_waitcnt vmcnt(0)
	global_store_dwordx4 v[85:86], v[117:120], off
	buffer_load_dword v85, off, s[20:23], 0 offset:104 ; 4-byte Folded Reload
	s_nop 0
	buffer_load_dword v86, off, s[20:23], 0 offset:108 ; 4-byte Folded Reload
	s_waitcnt vmcnt(0)
	global_store_dwordx4 v[85:86], v[93:96], off
	v_mul_f64 v[85:86], v[105:106], v[103:104]
	v_fma_f64 v[85:86], v[107:108], v[101:102], v[85:86]
	v_cndmask_b32_e32 v88, v104, v86, vcc
	v_cndmask_b32_e32 v87, v103, v85, vcc
	;; [unrolled: 1-line block ×4, first 2 shown]
	buffer_load_dword v89, off, s[20:23], 0 offset:112 ; 4-byte Folded Reload
	buffer_load_dword v90, off, s[20:23], 0 offset:116 ; 4-byte Folded Reload
	s_waitcnt vmcnt(0)
	global_store_dwordx4 v[89:90], v[81:84], off
	buffer_load_dword v81, off, s[20:23], 0 offset:120 ; 4-byte Folded Reload
	s_nop 0
	buffer_load_dword v82, off, s[20:23], 0 offset:124 ; 4-byte Folded Reload
	s_waitcnt vmcnt(0)
	global_store_dwordx4 v[81:82], v[77:80], off
	buffer_load_dword v77, off, s[20:23], 0 offset:128 ; 4-byte Folded Reload
	s_nop 0
	buffer_load_dword v78, off, s[20:23], 0 offset:132 ; 4-byte Folded Reload
	s_waitcnt vmcnt(0)
	global_store_dwordx4 v[77:78], v[73:76], off
	buffer_load_dword v73, off, s[20:23], 0 offset:136 ; 4-byte Folded Reload
	s_nop 0
	buffer_load_dword v74, off, s[20:23], 0 offset:140 ; 4-byte Folded Reload
	s_waitcnt vmcnt(0)
	global_store_dwordx4 v[73:74], v[69:72], off
	buffer_load_dword v69, off, s[20:23], 0 offset:144 ; 4-byte Folded Reload
	s_nop 0
	buffer_load_dword v70, off, s[20:23], 0 offset:148 ; 4-byte Folded Reload
	s_waitcnt vmcnt(0)
	global_store_dwordx4 v[69:70], v[65:68], off
	buffer_load_dword v65, off, s[20:23], 0 offset:152 ; 4-byte Folded Reload
	s_nop 0
	buffer_load_dword v66, off, s[20:23], 0 offset:156 ; 4-byte Folded Reload
	s_waitcnt vmcnt(0)
	global_store_dwordx4 v[65:66], v[61:64], off
	buffer_load_dword v61, off, s[20:23], 0 offset:160 ; 4-byte Folded Reload
	s_nop 0
	buffer_load_dword v62, off, s[20:23], 0 offset:164 ; 4-byte Folded Reload
	s_waitcnt vmcnt(0)
	global_store_dwordx4 v[61:62], v[57:60], off
	buffer_load_dword v57, off, s[20:23], 0 offset:168 ; 4-byte Folded Reload
	s_nop 0
	buffer_load_dword v58, off, s[20:23], 0 offset:172 ; 4-byte Folded Reload
	s_waitcnt vmcnt(0)
	global_store_dwordx4 v[57:58], v[53:56], off
	buffer_load_dword v53, off, s[20:23], 0 offset:176 ; 4-byte Folded Reload
	s_nop 0
	buffer_load_dword v54, off, s[20:23], 0 offset:180 ; 4-byte Folded Reload
	s_waitcnt vmcnt(0)
	global_store_dwordx4 v[53:54], v[49:52], off
	buffer_load_dword v49, off, s[20:23], 0 offset:184 ; 4-byte Folded Reload
	s_nop 0
	buffer_load_dword v50, off, s[20:23], 0 offset:188 ; 4-byte Folded Reload
	s_waitcnt vmcnt(0)
	global_store_dwordx4 v[49:50], v[45:48], off
	buffer_load_dword v45, off, s[20:23], 0 offset:192 ; 4-byte Folded Reload
	s_nop 0
	buffer_load_dword v46, off, s[20:23], 0 offset:196 ; 4-byte Folded Reload
	s_waitcnt vmcnt(0)
	global_store_dwordx4 v[45:46], v[41:44], off
	buffer_load_dword v41, off, s[20:23], 0 offset:200 ; 4-byte Folded Reload
	s_nop 0
	buffer_load_dword v42, off, s[20:23], 0 offset:204 ; 4-byte Folded Reload
	s_waitcnt vmcnt(0)
	global_store_dwordx4 v[41:42], v[37:40], off
	buffer_load_dword v37, off, s[20:23], 0 offset:208 ; 4-byte Folded Reload
	s_nop 0
	buffer_load_dword v38, off, s[20:23], 0 offset:212 ; 4-byte Folded Reload
	s_waitcnt vmcnt(0)
	global_store_dwordx4 v[37:38], v[33:36], off
	buffer_load_dword v33, off, s[20:23], 0 offset:216 ; 4-byte Folded Reload
	s_nop 0
	buffer_load_dword v34, off, s[20:23], 0 offset:220 ; 4-byte Folded Reload
	s_waitcnt vmcnt(0)
	global_store_dwordx4 v[33:34], v[29:32], off
	buffer_load_dword v29, off, s[20:23], 0 offset:224 ; 4-byte Folded Reload
	s_nop 0
	buffer_load_dword v30, off, s[20:23], 0 offset:228 ; 4-byte Folded Reload
	s_waitcnt vmcnt(0)
	global_store_dwordx4 v[29:30], v[25:28], off
	buffer_load_dword v25, off, s[20:23], 0 offset:232 ; 4-byte Folded Reload
	s_nop 0
	buffer_load_dword v26, off, s[20:23], 0 offset:236 ; 4-byte Folded Reload
	s_waitcnt vmcnt(0)
	global_store_dwordx4 v[25:26], v[21:24], off
	buffer_load_dword v21, off, s[20:23], 0 offset:240 ; 4-byte Folded Reload
	s_nop 0
	buffer_load_dword v22, off, s[20:23], 0 offset:244 ; 4-byte Folded Reload
	s_waitcnt vmcnt(0)
	global_store_dwordx4 v[21:22], v[17:20], off
	buffer_load_dword v17, off, s[20:23], 0 offset:248 ; 4-byte Folded Reload
	s_nop 0
	buffer_load_dword v18, off, s[20:23], 0 offset:252 ; 4-byte Folded Reload
	s_waitcnt vmcnt(0)
	global_store_dwordx4 v[17:18], v[13:16], off
	buffer_load_dword v13, off, s[20:23], 0 offset:256 ; 4-byte Folded Reload
	s_nop 0
	buffer_load_dword v14, off, s[20:23], 0 offset:260 ; 4-byte Folded Reload
	s_waitcnt vmcnt(0)
	global_store_dwordx4 v[13:14], v[9:12], off
	buffer_load_dword v9, off, s[20:23], 0 offset:264 ; 4-byte Folded Reload
	s_nop 0
	buffer_load_dword v10, off, s[20:23], 0 offset:268 ; 4-byte Folded Reload
	s_waitcnt vmcnt(0)
	global_store_dwordx4 v[9:10], v[5:8], off
	buffer_load_dword v5, off, s[20:23], 0 offset:272 ; 4-byte Folded Reload
	s_nop 0
	buffer_load_dword v6, off, s[20:23], 0 offset:276 ; 4-byte Folded Reload
	s_waitcnt vmcnt(0)
	global_store_dwordx4 v[5:6], v[1:4], off
	buffer_load_dword v0, off, s[20:23], 0 offset:280 ; 4-byte Folded Reload
	s_nop 0
	buffer_load_dword v1, off, s[20:23], 0 offset:284 ; 4-byte Folded Reload
	s_waitcnt vmcnt(0)
	global_store_dwordx4 v[0:1], v[85:88], off
.LBB59_273:
	s_endpgm
	.section	.rodata,"a",@progbits
	.p2align	6, 0x0
	.amdhsa_kernel _ZN9rocsolver6v33100L23getf2_npvt_small_kernelILi30E19rocblas_complex_numIdEiiPS3_EEvT1_T3_lS5_lPT2_S5_S5_
		.amdhsa_group_segment_fixed_size 0
		.amdhsa_private_segment_fixed_size 756
		.amdhsa_kernarg_size 312
		.amdhsa_user_sgpr_count 6
		.amdhsa_user_sgpr_private_segment_buffer 1
		.amdhsa_user_sgpr_dispatch_ptr 0
		.amdhsa_user_sgpr_queue_ptr 0
		.amdhsa_user_sgpr_kernarg_segment_ptr 1
		.amdhsa_user_sgpr_dispatch_id 0
		.amdhsa_user_sgpr_flat_scratch_init 0
		.amdhsa_user_sgpr_private_segment_size 0
		.amdhsa_uses_dynamic_stack 0
		.amdhsa_system_sgpr_private_segment_wavefront_offset 1
		.amdhsa_system_sgpr_workgroup_id_x 1
		.amdhsa_system_sgpr_workgroup_id_y 1
		.amdhsa_system_sgpr_workgroup_id_z 0
		.amdhsa_system_sgpr_workgroup_info 0
		.amdhsa_system_vgpr_workitem_id 1
		.amdhsa_next_free_vgpr 128
		.amdhsa_next_free_sgpr 24
		.amdhsa_reserve_vcc 1
		.amdhsa_reserve_flat_scratch 0
		.amdhsa_float_round_mode_32 0
		.amdhsa_float_round_mode_16_64 0
		.amdhsa_float_denorm_mode_32 3
		.amdhsa_float_denorm_mode_16_64 3
		.amdhsa_dx10_clamp 1
		.amdhsa_ieee_mode 1
		.amdhsa_fp16_overflow 0
		.amdhsa_exception_fp_ieee_invalid_op 0
		.amdhsa_exception_fp_denorm_src 0
		.amdhsa_exception_fp_ieee_div_zero 0
		.amdhsa_exception_fp_ieee_overflow 0
		.amdhsa_exception_fp_ieee_underflow 0
		.amdhsa_exception_fp_ieee_inexact 0
		.amdhsa_exception_int_div_zero 0
	.end_amdhsa_kernel
	.section	.text._ZN9rocsolver6v33100L23getf2_npvt_small_kernelILi30E19rocblas_complex_numIdEiiPS3_EEvT1_T3_lS5_lPT2_S5_S5_,"axG",@progbits,_ZN9rocsolver6v33100L23getf2_npvt_small_kernelILi30E19rocblas_complex_numIdEiiPS3_EEvT1_T3_lS5_lPT2_S5_S5_,comdat
.Lfunc_end59:
	.size	_ZN9rocsolver6v33100L23getf2_npvt_small_kernelILi30E19rocblas_complex_numIdEiiPS3_EEvT1_T3_lS5_lPT2_S5_S5_, .Lfunc_end59-_ZN9rocsolver6v33100L23getf2_npvt_small_kernelILi30E19rocblas_complex_numIdEiiPS3_EEvT1_T3_lS5_lPT2_S5_S5_
                                        ; -- End function
	.set _ZN9rocsolver6v33100L23getf2_npvt_small_kernelILi30E19rocblas_complex_numIdEiiPS3_EEvT1_T3_lS5_lPT2_S5_S5_.num_vgpr, 128
	.set _ZN9rocsolver6v33100L23getf2_npvt_small_kernelILi30E19rocblas_complex_numIdEiiPS3_EEvT1_T3_lS5_lPT2_S5_S5_.num_agpr, 0
	.set _ZN9rocsolver6v33100L23getf2_npvt_small_kernelILi30E19rocblas_complex_numIdEiiPS3_EEvT1_T3_lS5_lPT2_S5_S5_.numbered_sgpr, 24
	.set _ZN9rocsolver6v33100L23getf2_npvt_small_kernelILi30E19rocblas_complex_numIdEiiPS3_EEvT1_T3_lS5_lPT2_S5_S5_.num_named_barrier, 0
	.set _ZN9rocsolver6v33100L23getf2_npvt_small_kernelILi30E19rocblas_complex_numIdEiiPS3_EEvT1_T3_lS5_lPT2_S5_S5_.private_seg_size, 756
	.set _ZN9rocsolver6v33100L23getf2_npvt_small_kernelILi30E19rocblas_complex_numIdEiiPS3_EEvT1_T3_lS5_lPT2_S5_S5_.uses_vcc, 1
	.set _ZN9rocsolver6v33100L23getf2_npvt_small_kernelILi30E19rocblas_complex_numIdEiiPS3_EEvT1_T3_lS5_lPT2_S5_S5_.uses_flat_scratch, 0
	.set _ZN9rocsolver6v33100L23getf2_npvt_small_kernelILi30E19rocblas_complex_numIdEiiPS3_EEvT1_T3_lS5_lPT2_S5_S5_.has_dyn_sized_stack, 0
	.set _ZN9rocsolver6v33100L23getf2_npvt_small_kernelILi30E19rocblas_complex_numIdEiiPS3_EEvT1_T3_lS5_lPT2_S5_S5_.has_recursion, 0
	.set _ZN9rocsolver6v33100L23getf2_npvt_small_kernelILi30E19rocblas_complex_numIdEiiPS3_EEvT1_T3_lS5_lPT2_S5_S5_.has_indirect_call, 0
	.section	.AMDGPU.csdata,"",@progbits
; Kernel info:
; codeLenInByte = 57208
; TotalNumSgprs: 28
; NumVgprs: 128
; ScratchSize: 756
; MemoryBound: 1
; FloatMode: 240
; IeeeMode: 1
; LDSByteSize: 0 bytes/workgroup (compile time only)
; SGPRBlocks: 3
; VGPRBlocks: 31
; NumSGPRsForWavesPerEU: 28
; NumVGPRsForWavesPerEU: 128
; Occupancy: 2
; WaveLimiterHint : 0
; COMPUTE_PGM_RSRC2:SCRATCH_EN: 1
; COMPUTE_PGM_RSRC2:USER_SGPR: 6
; COMPUTE_PGM_RSRC2:TRAP_HANDLER: 0
; COMPUTE_PGM_RSRC2:TGID_X_EN: 1
; COMPUTE_PGM_RSRC2:TGID_Y_EN: 1
; COMPUTE_PGM_RSRC2:TGID_Z_EN: 0
; COMPUTE_PGM_RSRC2:TIDIG_COMP_CNT: 1
	.section	.text._ZN9rocsolver6v33100L18getf2_small_kernelILi31E19rocblas_complex_numIdEiiPS3_EEvT1_T3_lS5_lPS5_llPT2_S5_S5_S7_l,"axG",@progbits,_ZN9rocsolver6v33100L18getf2_small_kernelILi31E19rocblas_complex_numIdEiiPS3_EEvT1_T3_lS5_lPS5_llPT2_S5_S5_S7_l,comdat
	.globl	_ZN9rocsolver6v33100L18getf2_small_kernelILi31E19rocblas_complex_numIdEiiPS3_EEvT1_T3_lS5_lPS5_llPT2_S5_S5_S7_l ; -- Begin function _ZN9rocsolver6v33100L18getf2_small_kernelILi31E19rocblas_complex_numIdEiiPS3_EEvT1_T3_lS5_lPS5_llPT2_S5_S5_S7_l
	.p2align	8
	.type	_ZN9rocsolver6v33100L18getf2_small_kernelILi31E19rocblas_complex_numIdEiiPS3_EEvT1_T3_lS5_lPS5_llPT2_S5_S5_S7_l,@function
_ZN9rocsolver6v33100L18getf2_small_kernelILi31E19rocblas_complex_numIdEiiPS3_EEvT1_T3_lS5_lPS5_llPT2_S5_S5_S7_l: ; @_ZN9rocsolver6v33100L18getf2_small_kernelILi31E19rocblas_complex_numIdEiiPS3_EEvT1_T3_lS5_lPS5_llPT2_S5_S5_S7_l
; %bb.0:
	s_mov_b64 s[26:27], s[2:3]
	s_mov_b64 s[24:25], s[0:1]
	s_load_dword s0, s[4:5], 0x6c
	s_load_dwordx2 s[16:17], s[4:5], 0x48
	s_add_u32 s24, s24, s8
	s_addc_u32 s25, s25, 0
	s_waitcnt lgkmcnt(0)
	s_lshr_b32 s0, s0, 16
	s_mul_i32 s7, s7, s0
	v_add_u32_e32 v6, s7, v1
	v_cmp_gt_i32_e32 vcc, s16, v6
	s_and_saveexec_b64 s[0:1], vcc
	s_cbranch_execz .LBB60_652
; %bb.1:
	s_load_dwordx4 s[0:3], s[4:5], 0x50
	v_mov_b32_e32 v2, 0
	v_ashrrev_i32_e32 v7, 31, v6
	v_mov_b32_e32 v3, 0
	buffer_store_dword v2, off, s[24:27], 0 offset:64 ; 4-byte Folded Spill
	s_nop 0
	buffer_store_dword v3, off, s[24:27], 0 offset:68 ; 4-byte Folded Spill
	s_waitcnt lgkmcnt(0)
	s_cmp_eq_u64 s[0:1], 0
	s_cselect_b64 s[6:7], -1, 0
	s_and_b64 vcc, exec, s[6:7]
	s_cbranch_vccnz .LBB60_3
; %bb.2:
	v_mul_lo_u32 v4, s3, v6
	v_mul_lo_u32 v5, s2, v7
	v_mad_u64_u32 v[2:3], s[2:3], s2, v6, 0
	v_add3_u32 v3, v3, v5, v4
	v_lshlrev_b64 v[2:3], 2, v[2:3]
	v_mov_b32_e32 v4, s1
	v_add_co_u32_e32 v2, vcc, s0, v2
	v_addc_co_u32_e32 v3, vcc, v4, v3, vcc
	buffer_store_dword v2, off, s[24:27], 0 offset:64 ; 4-byte Folded Spill
	s_nop 0
	buffer_store_dword v3, off, s[24:27], 0 offset:68 ; 4-byte Folded Spill
.LBB60_3:
	s_load_dwordx8 s[8:15], s[4:5], 0x20
	s_load_dwordx4 s[20:23], s[4:5], 0x8
	s_load_dword s2, s[4:5], 0x18
	v_lshlrev_b32_e32 v44, 4, v0
	s_waitcnt lgkmcnt(0)
	v_mul_lo_u32 v4, s9, v6
	v_mul_lo_u32 v5, s8, v7
	buffer_store_dword v6, off, s[24:27], 0 offset:88 ; 4-byte Folded Spill
	s_nop 0
	buffer_store_dword v7, off, s[24:27], 0 offset:92 ; 4-byte Folded Spill
	s_add_i32 s16, s2, s2
	s_ashr_i32 s3, s2, 31
	v_mad_u64_u32 v[2:3], s[0:1], s8, v6, 0
	v_mov_b32_e32 v6, s21
	s_lshl_b64 s[0:1], s[22:23], 4
	v_add3_u32 v3, v3, v5, v4
	v_lshlrev_b64 v[2:3], 4, v[2:3]
	v_mov_b32_e32 v4, s1
	v_add_co_u32_e32 v2, vcc, s20, v2
	v_addc_co_u32_e32 v3, vcc, v6, v3, vcc
	v_add_co_u32_e32 v127, vcc, s0, v2
	v_addc_co_u32_e32 v105, vcc, v3, v4, vcc
	v_add_u32_e32 v4, s16, v0
	v_ashrrev_i32_e32 v5, 31, v4
	v_lshlrev_b64 v[2:3], 4, v[4:5]
	v_add_u32_e32 v6, s2, v4
	v_ashrrev_i32_e32 v7, 31, v6
	v_add_co_u32_e32 v2, vcc, v127, v2
	v_lshlrev_b64 v[4:5], 4, v[6:7]
	v_add_u32_e32 v8, s2, v6
	v_addc_co_u32_e32 v3, vcc, v105, v3, vcc
	v_ashrrev_i32_e32 v9, 31, v8
	v_add_co_u32_e32 v4, vcc, v127, v4
	v_lshlrev_b64 v[6:7], 4, v[8:9]
	v_add_u32_e32 v10, s2, v8
	v_addc_co_u32_e32 v5, vcc, v105, v5, vcc
	;; [unrolled: 5-line block ×18, first 2 shown]
	v_ashrrev_i32_e32 v41, 31, v40
	v_add_co_u32_e32 v38, vcc, v127, v38
	v_lshlrev_b64 v[41:42], 4, v[40:41]
	v_addc_co_u32_e32 v39, vcc, v105, v39, vcc
	v_add_u32_e32 v40, s2, v40
	v_add_co_u32_e32 v81, vcc, v127, v41
	v_ashrrev_i32_e32 v41, 31, v40
	v_addc_co_u32_e32 v82, vcc, v105, v42, vcc
	v_lshlrev_b64 v[41:42], 4, v[40:41]
	v_add_u32_e32 v40, s2, v40
	v_add_co_u32_e32 v83, vcc, v127, v41
	v_ashrrev_i32_e32 v41, 31, v40
	v_addc_co_u32_e32 v84, vcc, v105, v42, vcc
	v_lshlrev_b64 v[41:42], 4, v[40:41]
	;; [unrolled: 5-line block ×7, first 2 shown]
	v_add_u32_e32 v40, s2, v40
	v_add_co_u32_e32 v113, vcc, v127, v41
	v_ashrrev_i32_e32 v41, 31, v40
	s_lshl_b64 s[8:9], s[2:3], 4
	s_load_dword s3, s[4:5], 0x0
	v_addc_co_u32_e32 v114, vcc, v105, v42, vcc
	v_lshlrev_b64 v[41:42], 4, v[40:41]
	v_add_u32_e32 v40, s2, v40
	v_add_co_u32_e32 v115, vcc, v127, v41
	v_ashrrev_i32_e32 v41, 31, v40
	v_lshlrev_b64 v[40:41], 4, v[40:41]
	v_addc_co_u32_e32 v116, vcc, v105, v42, vcc
	s_waitcnt lgkmcnt(0)
	s_max_i32 s0, s3, 31
	v_add_co_u32_e32 v109, vcc, v127, v40
	v_mul_lo_u32 v107, s0, v1
	v_addc_co_u32_e32 v110, vcc, v105, v41, vcc
	v_add_co_u32_e32 v42, vcc, v127, v44
	v_addc_co_u32_e32 v43, vcc, 0, v105, vcc
	v_mov_b32_e32 v41, s9
	v_add_co_u32_e32 v40, vcc, s8, v42
	v_lshl_add_u32 v106, v107, 4, 0
	v_addc_co_u32_e32 v41, vcc, v43, v41, vcc
	v_add_u32_e32 v1, v106, v44
	global_load_dwordx4 v[42:45], v[42:43], off
	s_nop 0
	global_load_dwordx4 v[46:49], v[40:41], off
	s_waitcnt vmcnt(0)
	buffer_store_dword v46, off, s[24:27], 0 offset:48 ; 4-byte Folded Spill
	s_nop 0
	buffer_store_dword v47, off, s[24:27], 0 offset:52 ; 4-byte Folded Spill
	buffer_store_dword v48, off, s[24:27], 0 offset:56 ; 4-byte Folded Spill
	;; [unrolled: 1-line block ×4, first 2 shown]
	s_nop 0
	buffer_store_dword v43, off, s[24:27], 0 offset:76 ; 4-byte Folded Spill
	buffer_store_dword v44, off, s[24:27], 0 offset:80 ; 4-byte Folded Spill
	;; [unrolled: 1-line block ×3, first 2 shown]
	s_load_dwordx2 s[4:5], s[4:5], 0x40
	s_cmp_lt_i32 s3, 2
	v_lshlrev_b32_e32 v111, 4, v107
	ds_write2_b64 v1, v[42:43], v[44:45] offset1:1
	global_load_dwordx4 v[40:43], v[2:3], off
	s_waitcnt vmcnt(0)
	buffer_store_dword v40, off, s[24:27], 0 offset:32 ; 4-byte Folded Spill
	s_nop 0
	buffer_store_dword v41, off, s[24:27], 0 offset:36 ; 4-byte Folded Spill
	buffer_store_dword v42, off, s[24:27], 0 offset:40 ; 4-byte Folded Spill
	buffer_store_dword v43, off, s[24:27], 0 offset:44 ; 4-byte Folded Spill
	global_load_dwordx4 v[1:4], v[4:5], off
	s_waitcnt vmcnt(0)
	buffer_store_dword v1, off, s[24:27], 0 offset:16 ; 4-byte Folded Spill
	s_nop 0
	buffer_store_dword v2, off, s[24:27], 0 offset:20 ; 4-byte Folded Spill
	buffer_store_dword v3, off, s[24:27], 0 offset:24 ; 4-byte Folded Spill
	;; [unrolled: 1-line block ×3, first 2 shown]
	global_load_dwordx4 v[1:4], v[6:7], off
	s_waitcnt vmcnt(0)
	buffer_store_dword v1, off, s[24:27], 0 ; 4-byte Folded Spill
	s_nop 0
	buffer_store_dword v2, off, s[24:27], 0 offset:4 ; 4-byte Folded Spill
	buffer_store_dword v3, off, s[24:27], 0 offset:8 ; 4-byte Folded Spill
	;; [unrolled: 1-line block ×3, first 2 shown]
	global_load_dwordx4 v[101:104], v[8:9], off
	global_load_dwordx4 v[97:100], v[10:11], off
	;; [unrolled: 1-line block ×15, first 2 shown]
	s_nop 0
	global_load_dwordx4 v[37:40], v[38:39], off
	s_nop 0
	global_load_dwordx4 v[33:36], v[81:82], off
	global_load_dwordx4 v[29:32], v[83:84], off
	;; [unrolled: 1-line block ×10, first 2 shown]
	s_waitcnt vmcnt(0) lgkmcnt(0)
	s_barrier
	ds_read2_b64 v[81:84], v106 offset1:1
	v_mov_b32_e32 v109, 0
	s_cbranch_scc1 .LBB60_6
; %bb.4:
	v_add3_u32 v107, v111, 0, 16
	s_mov_b32 s0, 1
	v_mov_b32_e32 v109, 0
.LBB60_5:                               ; =>This Inner Loop Header: Depth=1
	s_waitcnt lgkmcnt(0)
	v_cmp_gt_f64_e32 vcc, 0, v[81:82]
	v_xor_b32_e32 v108, 0x80000000, v82
	ds_read2_b64 v[112:115], v107 offset1:1
	v_mov_b32_e32 v116, v81
	v_mov_b32_e32 v118, v83
	v_add_u32_e32 v107, 16, v107
	s_waitcnt lgkmcnt(0)
	v_mov_b32_e32 v125, v114
	v_cndmask_b32_e32 v117, v82, v108, vcc
	v_cmp_gt_f64_e32 vcc, 0, v[83:84]
	v_xor_b32_e32 v108, 0x80000000, v84
	v_cndmask_b32_e32 v119, v84, v108, vcc
	v_cmp_gt_f64_e32 vcc, 0, v[112:113]
	v_xor_b32_e32 v108, 0x80000000, v113
	v_add_f64 v[116:117], v[116:117], v[118:119]
	v_mov_b32_e32 v118, v112
	v_cndmask_b32_e32 v119, v113, v108, vcc
	v_cmp_gt_f64_e32 vcc, 0, v[114:115]
	v_xor_b32_e32 v108, 0x80000000, v115
	v_cndmask_b32_e32 v126, v115, v108, vcc
	v_add_f64 v[118:119], v[118:119], v[125:126]
	v_mov_b32_e32 v108, s0
	s_add_i32 s0, s0, 1
	s_cmp_eq_u32 s3, s0
	v_cmp_lt_f64_e32 vcc, v[116:117], v[118:119]
	v_cndmask_b32_e32 v82, v82, v113, vcc
	v_cndmask_b32_e32 v81, v81, v112, vcc
	;; [unrolled: 1-line block ×5, first 2 shown]
	s_cbranch_scc0 .LBB60_5
.LBB60_6:
	s_waitcnt lgkmcnt(0)
	v_cmp_neq_f64_e32 vcc, 0, v[81:82]
	v_cmp_neq_f64_e64 s[0:1], 0, v[83:84]
	v_mov_b32_e32 v107, 1
	v_mov_b32_e32 v112, 1
	s_or_b64 s[18:19], vcc, s[0:1]
	s_and_saveexec_b64 s[0:1], s[18:19]
	s_cbranch_execz .LBB60_12
; %bb.7:
	v_cmp_ngt_f64_e64 s[18:19], |v[81:82]|, |v[83:84]|
	s_and_saveexec_b64 s[20:21], s[18:19]
	s_xor_b64 s[18:19], exec, s[20:21]
	s_cbranch_execz .LBB60_9
; %bb.8:
	v_div_scale_f64 v[107:108], s[20:21], v[83:84], v[83:84], v[81:82]
	v_rcp_f64_e32 v[112:113], v[107:108]
	v_fma_f64 v[114:115], -v[107:108], v[112:113], 1.0
	v_fma_f64 v[112:113], v[112:113], v[114:115], v[112:113]
	v_div_scale_f64 v[114:115], vcc, v[81:82], v[83:84], v[81:82]
	v_fma_f64 v[116:117], -v[107:108], v[112:113], 1.0
	v_fma_f64 v[112:113], v[112:113], v[116:117], v[112:113]
	v_mul_f64 v[116:117], v[114:115], v[112:113]
	v_fma_f64 v[107:108], -v[107:108], v[116:117], v[114:115]
	v_div_fmas_f64 v[107:108], v[107:108], v[112:113], v[116:117]
	v_div_fixup_f64 v[107:108], v[107:108], v[83:84], v[81:82]
	v_fma_f64 v[81:82], v[81:82], v[107:108], v[83:84]
	v_div_scale_f64 v[83:84], s[20:21], v[81:82], v[81:82], 1.0
	v_div_scale_f64 v[116:117], vcc, 1.0, v[81:82], 1.0
	v_rcp_f64_e32 v[112:113], v[83:84]
	v_fma_f64 v[114:115], -v[83:84], v[112:113], 1.0
	v_fma_f64 v[112:113], v[112:113], v[114:115], v[112:113]
	v_fma_f64 v[114:115], -v[83:84], v[112:113], 1.0
	v_fma_f64 v[112:113], v[112:113], v[114:115], v[112:113]
	v_mul_f64 v[114:115], v[116:117], v[112:113]
	v_fma_f64 v[83:84], -v[83:84], v[114:115], v[116:117]
	v_div_fmas_f64 v[83:84], v[83:84], v[112:113], v[114:115]
	v_div_fixup_f64 v[83:84], v[83:84], v[81:82], 1.0
	v_mul_f64 v[81:82], v[107:108], v[83:84]
	v_xor_b32_e32 v84, 0x80000000, v84
.LBB60_9:
	s_andn2_saveexec_b64 s[18:19], s[18:19]
	s_cbranch_execz .LBB60_11
; %bb.10:
	v_div_scale_f64 v[107:108], s[20:21], v[81:82], v[81:82], v[83:84]
	v_rcp_f64_e32 v[112:113], v[107:108]
	v_fma_f64 v[114:115], -v[107:108], v[112:113], 1.0
	v_fma_f64 v[112:113], v[112:113], v[114:115], v[112:113]
	v_div_scale_f64 v[114:115], vcc, v[83:84], v[81:82], v[83:84]
	v_fma_f64 v[116:117], -v[107:108], v[112:113], 1.0
	v_fma_f64 v[112:113], v[112:113], v[116:117], v[112:113]
	v_mul_f64 v[116:117], v[114:115], v[112:113]
	v_fma_f64 v[107:108], -v[107:108], v[116:117], v[114:115]
	v_div_fmas_f64 v[107:108], v[107:108], v[112:113], v[116:117]
	v_div_fixup_f64 v[107:108], v[107:108], v[81:82], v[83:84]
	v_fma_f64 v[81:82], v[83:84], v[107:108], v[81:82]
	v_div_scale_f64 v[83:84], s[20:21], v[81:82], v[81:82], 1.0
	v_div_scale_f64 v[116:117], vcc, 1.0, v[81:82], 1.0
	v_rcp_f64_e32 v[112:113], v[83:84]
	v_fma_f64 v[114:115], -v[83:84], v[112:113], 1.0
	v_fma_f64 v[112:113], v[112:113], v[114:115], v[112:113]
	v_fma_f64 v[114:115], -v[83:84], v[112:113], 1.0
	v_fma_f64 v[112:113], v[112:113], v[114:115], v[112:113]
	v_mul_f64 v[114:115], v[116:117], v[112:113]
	v_fma_f64 v[83:84], -v[83:84], v[114:115], v[116:117]
	v_div_fmas_f64 v[83:84], v[83:84], v[112:113], v[114:115]
	v_div_fixup_f64 v[81:82], v[83:84], v[81:82], 1.0
	v_mul_f64 v[83:84], v[107:108], -v[81:82]
.LBB60_11:
	s_or_b64 exec, exec, s[18:19]
	v_mov_b32_e32 v112, 0
	v_mov_b32_e32 v107, 2
.LBB60_12:
	s_or_b64 exec, exec, s[0:1]
	v_cmp_ne_u32_e32 vcc, v0, v109
	s_and_saveexec_b64 s[0:1], vcc
	s_xor_b64 s[0:1], exec, s[0:1]
	s_cbranch_execz .LBB60_18
; %bb.13:
	v_cmp_eq_u32_e32 vcc, 0, v0
	s_and_saveexec_b64 s[18:19], vcc
	s_cbranch_execz .LBB60_17
; %bb.14:
	v_cmp_ne_u32_e32 vcc, 0, v109
	s_xor_b64 s[20:21], s[6:7], -1
	s_and_b64 s[22:23], s[20:21], vcc
	s_and_saveexec_b64 s[20:21], s[22:23]
	s_cbranch_execz .LBB60_16
; %bb.15:
	buffer_load_dword v115, off, s[24:27], 0 offset:64 ; 4-byte Folded Reload
	buffer_load_dword v116, off, s[24:27], 0 offset:68 ; 4-byte Folded Reload
	v_ashrrev_i32_e32 v110, 31, v109
	v_lshlrev_b64 v[113:114], 2, v[109:110]
	s_waitcnt vmcnt(1)
	v_add_co_u32_e32 v113, vcc, v115, v113
	s_waitcnt vmcnt(0)
	v_addc_co_u32_e32 v114, vcc, v116, v114, vcc
	global_load_dword v0, v[113:114], off
	global_load_dword v108, v[115:116], off
	s_waitcnt vmcnt(1)
	global_store_dword v[115:116], v0, off
	s_waitcnt vmcnt(1)
	global_store_dword v[113:114], v108, off
.LBB60_16:
	s_or_b64 exec, exec, s[20:21]
	v_mov_b32_e32 v0, v109
.LBB60_17:
	s_or_b64 exec, exec, s[18:19]
.LBB60_18:
	s_or_saveexec_b64 s[0:1], s[0:1]
	v_mov_b32_e32 v108, v0
	s_xor_b64 exec, exec, s[0:1]
	s_cbranch_execz .LBB60_20
; %bb.19:
	buffer_load_dword v113, off, s[24:27], 0 offset:48 ; 4-byte Folded Reload
	buffer_load_dword v114, off, s[24:27], 0 offset:52 ; 4-byte Folded Reload
	;; [unrolled: 1-line block ×4, first 2 shown]
	v_mov_b32_e32 v108, 0
	s_waitcnt vmcnt(0)
	ds_write2_b64 v106, v[113:114], v[115:116] offset0:2 offset1:3
	buffer_load_dword v113, off, s[24:27], 0 offset:32 ; 4-byte Folded Reload
	buffer_load_dword v114, off, s[24:27], 0 offset:36 ; 4-byte Folded Reload
	;; [unrolled: 1-line block ×4, first 2 shown]
	s_waitcnt vmcnt(0)
	ds_write2_b64 v106, v[113:114], v[115:116] offset0:4 offset1:5
	buffer_load_dword v113, off, s[24:27], 0 offset:16 ; 4-byte Folded Reload
	buffer_load_dword v114, off, s[24:27], 0 offset:20 ; 4-byte Folded Reload
	buffer_load_dword v115, off, s[24:27], 0 offset:24 ; 4-byte Folded Reload
	buffer_load_dword v116, off, s[24:27], 0 offset:28 ; 4-byte Folded Reload
	s_waitcnt vmcnt(0)
	ds_write2_b64 v106, v[113:114], v[115:116] offset0:6 offset1:7
	buffer_load_dword v113, off, s[24:27], 0 ; 4-byte Folded Reload
	buffer_load_dword v114, off, s[24:27], 0 offset:4 ; 4-byte Folded Reload
	buffer_load_dword v115, off, s[24:27], 0 offset:8 ; 4-byte Folded Reload
	;; [unrolled: 1-line block ×3, first 2 shown]
	s_waitcnt vmcnt(0)
	ds_write2_b64 v106, v[113:114], v[115:116] offset0:8 offset1:9
	ds_write2_b64 v106, v[101:102], v[103:104] offset0:10 offset1:11
	;; [unrolled: 1-line block ×27, first 2 shown]
.LBB60_20:
	s_or_b64 exec, exec, s[0:1]
	v_cmp_lt_i32_e32 vcc, 0, v108
	s_waitcnt vmcnt(0) lgkmcnt(0)
	s_barrier
	s_and_saveexec_b64 s[0:1], vcc
	s_cbranch_execz .LBB60_22
; %bb.21:
	buffer_load_dword v113, off, s[24:27], 0 offset:72 ; 4-byte Folded Reload
	buffer_load_dword v114, off, s[24:27], 0 offset:76 ; 4-byte Folded Reload
	;; [unrolled: 1-line block ×4, first 2 shown]
	s_waitcnt vmcnt(0)
	v_mul_f64 v[109:110], v[83:84], v[115:116]
	v_fma_f64 v[125:126], v[81:82], v[113:114], -v[109:110]
	v_mul_f64 v[81:82], v[81:82], v[115:116]
	v_fma_f64 v[115:116], v[83:84], v[113:114], v[81:82]
	ds_read2_b64 v[81:84], v106 offset0:2 offset1:3
	buffer_load_dword v117, off, s[24:27], 0 offset:48 ; 4-byte Folded Reload
	buffer_load_dword v118, off, s[24:27], 0 offset:52 ; 4-byte Folded Reload
	;; [unrolled: 1-line block ×4, first 2 shown]
	v_mov_b32_e32 v113, v125
	v_mov_b32_e32 v114, v126
	s_waitcnt lgkmcnt(0)
	v_mul_f64 v[109:110], v[83:84], v[115:116]
	v_fma_f64 v[109:110], v[81:82], v[125:126], -v[109:110]
	v_mul_f64 v[81:82], v[81:82], v[115:116]
	v_fma_f64 v[81:82], v[83:84], v[125:126], v[81:82]
	s_waitcnt vmcnt(2)
	v_add_f64 v[117:118], v[117:118], -v[109:110]
	s_waitcnt vmcnt(0)
	v_add_f64 v[119:120], v[119:120], -v[81:82]
	buffer_store_dword v117, off, s[24:27], 0 offset:48 ; 4-byte Folded Spill
	s_nop 0
	buffer_store_dword v118, off, s[24:27], 0 offset:52 ; 4-byte Folded Spill
	buffer_store_dword v119, off, s[24:27], 0 offset:56 ; 4-byte Folded Spill
	;; [unrolled: 1-line block ×3, first 2 shown]
	ds_read2_b64 v[81:84], v106 offset0:4 offset1:5
	buffer_load_dword v117, off, s[24:27], 0 offset:32 ; 4-byte Folded Reload
	buffer_load_dword v118, off, s[24:27], 0 offset:36 ; 4-byte Folded Reload
	;; [unrolled: 1-line block ×4, first 2 shown]
	s_waitcnt lgkmcnt(0)
	v_mul_f64 v[109:110], v[83:84], v[115:116]
	v_fma_f64 v[109:110], v[81:82], v[125:126], -v[109:110]
	v_mul_f64 v[81:82], v[81:82], v[115:116]
	v_fma_f64 v[81:82], v[83:84], v[125:126], v[81:82]
	s_waitcnt vmcnt(2)
	v_add_f64 v[117:118], v[117:118], -v[109:110]
	s_waitcnt vmcnt(0)
	v_add_f64 v[119:120], v[119:120], -v[81:82]
	buffer_store_dword v117, off, s[24:27], 0 offset:32 ; 4-byte Folded Spill
	s_nop 0
	buffer_store_dword v118, off, s[24:27], 0 offset:36 ; 4-byte Folded Spill
	buffer_store_dword v119, off, s[24:27], 0 offset:40 ; 4-byte Folded Spill
	;; [unrolled: 1-line block ×3, first 2 shown]
	ds_read2_b64 v[81:84], v106 offset0:6 offset1:7
	buffer_load_dword v117, off, s[24:27], 0 offset:16 ; 4-byte Folded Reload
	buffer_load_dword v118, off, s[24:27], 0 offset:20 ; 4-byte Folded Reload
	;; [unrolled: 1-line block ×4, first 2 shown]
	s_waitcnt lgkmcnt(0)
	v_mul_f64 v[109:110], v[83:84], v[115:116]
	v_fma_f64 v[109:110], v[81:82], v[125:126], -v[109:110]
	v_mul_f64 v[81:82], v[81:82], v[115:116]
	v_fma_f64 v[81:82], v[83:84], v[125:126], v[81:82]
	s_waitcnt vmcnt(2)
	v_add_f64 v[117:118], v[117:118], -v[109:110]
	s_waitcnt vmcnt(0)
	v_add_f64 v[119:120], v[119:120], -v[81:82]
	buffer_store_dword v117, off, s[24:27], 0 offset:16 ; 4-byte Folded Spill
	s_nop 0
	buffer_store_dword v118, off, s[24:27], 0 offset:20 ; 4-byte Folded Spill
	buffer_store_dword v119, off, s[24:27], 0 offset:24 ; 4-byte Folded Spill
	;; [unrolled: 1-line block ×3, first 2 shown]
	ds_read2_b64 v[81:84], v106 offset0:8 offset1:9
	buffer_load_dword v117, off, s[24:27], 0 ; 4-byte Folded Reload
	buffer_load_dword v118, off, s[24:27], 0 offset:4 ; 4-byte Folded Reload
	buffer_load_dword v119, off, s[24:27], 0 offset:8 ; 4-byte Folded Reload
	;; [unrolled: 1-line block ×3, first 2 shown]
	s_waitcnt lgkmcnt(0)
	v_mul_f64 v[109:110], v[83:84], v[115:116]
	v_fma_f64 v[109:110], v[81:82], v[125:126], -v[109:110]
	v_mul_f64 v[81:82], v[81:82], v[115:116]
	v_fma_f64 v[81:82], v[83:84], v[125:126], v[81:82]
	s_waitcnt vmcnt(2)
	v_add_f64 v[117:118], v[117:118], -v[109:110]
	s_waitcnt vmcnt(0)
	v_add_f64 v[119:120], v[119:120], -v[81:82]
	buffer_store_dword v117, off, s[24:27], 0 ; 4-byte Folded Spill
	s_nop 0
	buffer_store_dword v118, off, s[24:27], 0 offset:4 ; 4-byte Folded Spill
	buffer_store_dword v119, off, s[24:27], 0 offset:8 ; 4-byte Folded Spill
	;; [unrolled: 1-line block ×3, first 2 shown]
	ds_read2_b64 v[81:84], v106 offset0:10 offset1:11
	s_waitcnt lgkmcnt(0)
	v_mul_f64 v[109:110], v[83:84], v[115:116]
	v_fma_f64 v[109:110], v[81:82], v[125:126], -v[109:110]
	v_mul_f64 v[81:82], v[81:82], v[115:116]
	v_add_f64 v[101:102], v[101:102], -v[109:110]
	v_fma_f64 v[81:82], v[83:84], v[125:126], v[81:82]
	v_add_f64 v[103:104], v[103:104], -v[81:82]
	ds_read2_b64 v[81:84], v106 offset0:12 offset1:13
	s_waitcnt lgkmcnt(0)
	v_mul_f64 v[109:110], v[83:84], v[115:116]
	v_fma_f64 v[109:110], v[81:82], v[125:126], -v[109:110]
	v_mul_f64 v[81:82], v[81:82], v[115:116]
	v_add_f64 v[97:98], v[97:98], -v[109:110]
	v_fma_f64 v[81:82], v[83:84], v[125:126], v[81:82]
	v_add_f64 v[99:100], v[99:100], -v[81:82]
	;; [unrolled: 8-line block ×25, first 2 shown]
	ds_read2_b64 v[81:84], v106 offset0:60 offset1:61
	s_waitcnt lgkmcnt(0)
	v_mul_f64 v[109:110], v[83:84], v[115:116]
	v_fma_f64 v[109:110], v[81:82], v[125:126], -v[109:110]
	v_mul_f64 v[81:82], v[81:82], v[115:116]
	buffer_store_dword v113, off, s[24:27], 0 offset:72 ; 4-byte Folded Spill
	s_nop 0
	buffer_store_dword v114, off, s[24:27], 0 offset:76 ; 4-byte Folded Spill
	buffer_store_dword v115, off, s[24:27], 0 offset:80 ; 4-byte Folded Spill
	;; [unrolled: 1-line block ×3, first 2 shown]
	v_add_f64 v[121:122], v[121:122], -v[109:110]
	v_fma_f64 v[81:82], v[83:84], v[125:126], v[81:82]
	v_add_f64 v[123:124], v[123:124], -v[81:82]
.LBB60_22:
	s_or_b64 exec, exec, s[0:1]
	s_waitcnt vmcnt(0)
	s_barrier
	buffer_load_dword v113, off, s[24:27], 0 offset:48 ; 4-byte Folded Reload
	buffer_load_dword v114, off, s[24:27], 0 offset:52 ; 4-byte Folded Reload
	;; [unrolled: 1-line block ×4, first 2 shown]
	v_lshl_add_u32 v81, v108, 4, v106
	s_cmp_lt_i32 s3, 3
	v_mov_b32_e32 v109, 1
	s_waitcnt vmcnt(0)
	ds_write2_b64 v81, v[113:114], v[115:116] offset1:1
	s_waitcnt lgkmcnt(0)
	s_barrier
	ds_read2_b64 v[81:84], v106 offset0:2 offset1:3
	s_cbranch_scc1 .LBB60_25
; %bb.23:
	v_add3_u32 v110, v111, 0, 32
	s_mov_b32 s0, 2
	v_mov_b32_e32 v109, 1
.LBB60_24:                              ; =>This Inner Loop Header: Depth=1
	s_waitcnt lgkmcnt(0)
	v_cmp_gt_f64_e32 vcc, 0, v[81:82]
	v_xor_b32_e32 v117, 0x80000000, v82
	ds_read2_b64 v[113:116], v110 offset1:1
	v_xor_b32_e32 v119, 0x80000000, v84
	v_add_u32_e32 v110, 16, v110
	s_waitcnt lgkmcnt(0)
	v_xor_b32_e32 v125, 0x80000000, v116
	v_cndmask_b32_e32 v118, v82, v117, vcc
	v_cmp_gt_f64_e32 vcc, 0, v[83:84]
	v_mov_b32_e32 v117, v81
	v_cndmask_b32_e32 v120, v84, v119, vcc
	v_cmp_gt_f64_e32 vcc, 0, v[113:114]
	v_mov_b32_e32 v119, v83
	v_add_f64 v[117:118], v[117:118], v[119:120]
	v_xor_b32_e32 v119, 0x80000000, v114
	v_cndmask_b32_e32 v120, v114, v119, vcc
	v_cmp_gt_f64_e32 vcc, 0, v[115:116]
	v_mov_b32_e32 v119, v113
	v_cndmask_b32_e32 v126, v116, v125, vcc
	v_mov_b32_e32 v125, v115
	v_add_f64 v[119:120], v[119:120], v[125:126]
	v_cmp_lt_f64_e32 vcc, v[117:118], v[119:120]
	v_cndmask_b32_e32 v81, v81, v113, vcc
	v_mov_b32_e32 v113, s0
	s_add_i32 s0, s0, 1
	v_cndmask_b32_e32 v82, v82, v114, vcc
	v_cndmask_b32_e32 v84, v84, v116, vcc
	;; [unrolled: 1-line block ×4, first 2 shown]
	s_cmp_lg_u32 s3, s0
	s_cbranch_scc1 .LBB60_24
.LBB60_25:
	s_waitcnt lgkmcnt(0)
	v_cmp_neq_f64_e32 vcc, 0, v[81:82]
	v_cmp_neq_f64_e64 s[0:1], 0, v[83:84]
	s_or_b64 s[18:19], vcc, s[0:1]
	s_and_saveexec_b64 s[0:1], s[18:19]
	s_cbranch_execz .LBB60_31
; %bb.26:
	v_cmp_ngt_f64_e64 s[18:19], |v[81:82]|, |v[83:84]|
	s_and_saveexec_b64 s[20:21], s[18:19]
	s_xor_b64 s[18:19], exec, s[20:21]
	s_cbranch_execz .LBB60_28
; %bb.27:
	v_div_scale_f64 v[113:114], s[20:21], v[83:84], v[83:84], v[81:82]
	v_rcp_f64_e32 v[115:116], v[113:114]
	v_fma_f64 v[117:118], -v[113:114], v[115:116], 1.0
	v_fma_f64 v[115:116], v[115:116], v[117:118], v[115:116]
	v_div_scale_f64 v[117:118], vcc, v[81:82], v[83:84], v[81:82]
	v_fma_f64 v[119:120], -v[113:114], v[115:116], 1.0
	v_fma_f64 v[115:116], v[115:116], v[119:120], v[115:116]
	v_mul_f64 v[119:120], v[117:118], v[115:116]
	v_fma_f64 v[113:114], -v[113:114], v[119:120], v[117:118]
	v_div_fmas_f64 v[113:114], v[113:114], v[115:116], v[119:120]
	v_div_fixup_f64 v[113:114], v[113:114], v[83:84], v[81:82]
	v_fma_f64 v[81:82], v[81:82], v[113:114], v[83:84]
	v_div_scale_f64 v[83:84], s[20:21], v[81:82], v[81:82], 1.0
	v_div_scale_f64 v[119:120], vcc, 1.0, v[81:82], 1.0
	v_rcp_f64_e32 v[115:116], v[83:84]
	v_fma_f64 v[117:118], -v[83:84], v[115:116], 1.0
	v_fma_f64 v[115:116], v[115:116], v[117:118], v[115:116]
	v_fma_f64 v[117:118], -v[83:84], v[115:116], 1.0
	v_fma_f64 v[115:116], v[115:116], v[117:118], v[115:116]
	v_mul_f64 v[117:118], v[119:120], v[115:116]
	v_fma_f64 v[83:84], -v[83:84], v[117:118], v[119:120]
	v_div_fmas_f64 v[83:84], v[83:84], v[115:116], v[117:118]
	v_div_fixup_f64 v[83:84], v[83:84], v[81:82], 1.0
	v_mul_f64 v[81:82], v[113:114], v[83:84]
	v_xor_b32_e32 v84, 0x80000000, v84
.LBB60_28:
	s_andn2_saveexec_b64 s[18:19], s[18:19]
	s_cbranch_execz .LBB60_30
; %bb.29:
	v_div_scale_f64 v[113:114], s[20:21], v[81:82], v[81:82], v[83:84]
	v_rcp_f64_e32 v[115:116], v[113:114]
	v_fma_f64 v[117:118], -v[113:114], v[115:116], 1.0
	v_fma_f64 v[115:116], v[115:116], v[117:118], v[115:116]
	v_div_scale_f64 v[117:118], vcc, v[83:84], v[81:82], v[83:84]
	v_fma_f64 v[119:120], -v[113:114], v[115:116], 1.0
	v_fma_f64 v[115:116], v[115:116], v[119:120], v[115:116]
	v_mul_f64 v[119:120], v[117:118], v[115:116]
	v_fma_f64 v[113:114], -v[113:114], v[119:120], v[117:118]
	v_div_fmas_f64 v[113:114], v[113:114], v[115:116], v[119:120]
	v_div_fixup_f64 v[113:114], v[113:114], v[81:82], v[83:84]
	v_fma_f64 v[81:82], v[83:84], v[113:114], v[81:82]
	v_div_scale_f64 v[83:84], s[20:21], v[81:82], v[81:82], 1.0
	v_div_scale_f64 v[119:120], vcc, 1.0, v[81:82], 1.0
	v_rcp_f64_e32 v[115:116], v[83:84]
	v_fma_f64 v[117:118], -v[83:84], v[115:116], 1.0
	v_fma_f64 v[115:116], v[115:116], v[117:118], v[115:116]
	v_fma_f64 v[117:118], -v[83:84], v[115:116], 1.0
	v_fma_f64 v[115:116], v[115:116], v[117:118], v[115:116]
	v_mul_f64 v[117:118], v[119:120], v[115:116]
	v_fma_f64 v[83:84], -v[83:84], v[117:118], v[119:120]
	v_div_fmas_f64 v[83:84], v[83:84], v[115:116], v[117:118]
	v_div_fixup_f64 v[81:82], v[83:84], v[81:82], 1.0
	v_mul_f64 v[83:84], v[113:114], -v[81:82]
.LBB60_30:
	s_or_b64 exec, exec, s[18:19]
	v_mov_b32_e32 v107, v112
.LBB60_31:
	s_or_b64 exec, exec, s[0:1]
	v_cmp_ne_u32_e32 vcc, v108, v109
	s_and_saveexec_b64 s[0:1], vcc
	s_xor_b64 s[0:1], exec, s[0:1]
	s_cbranch_execz .LBB60_37
; %bb.32:
	v_cmp_eq_u32_e32 vcc, 1, v108
	s_and_saveexec_b64 s[18:19], vcc
	s_cbranch_execz .LBB60_36
; %bb.33:
	v_cmp_ne_u32_e32 vcc, 1, v109
	s_xor_b64 s[20:21], s[6:7], -1
	s_and_b64 s[22:23], s[20:21], vcc
	s_and_saveexec_b64 s[20:21], s[22:23]
	s_cbranch_execz .LBB60_35
; %bb.34:
	buffer_load_dword v114, off, s[24:27], 0 offset:64 ; 4-byte Folded Reload
	buffer_load_dword v115, off, s[24:27], 0 offset:68 ; 4-byte Folded Reload
	v_ashrrev_i32_e32 v110, 31, v109
	v_lshlrev_b64 v[112:113], 2, v[109:110]
	s_waitcnt vmcnt(1)
	v_add_co_u32_e32 v112, vcc, v114, v112
	s_waitcnt vmcnt(0)
	v_addc_co_u32_e32 v113, vcc, v115, v113, vcc
	global_load_dword v0, v[112:113], off
	global_load_dword v108, v[114:115], off offset:4
	s_waitcnt vmcnt(1)
	global_store_dword v[114:115], v0, off offset:4
	s_waitcnt vmcnt(1)
	global_store_dword v[112:113], v108, off
.LBB60_35:
	s_or_b64 exec, exec, s[20:21]
	v_mov_b32_e32 v108, v109
	v_mov_b32_e32 v0, v109
.LBB60_36:
	s_or_b64 exec, exec, s[18:19]
.LBB60_37:
	s_andn2_saveexec_b64 s[0:1], s[0:1]
	s_cbranch_execz .LBB60_39
; %bb.38:
	buffer_load_dword v112, off, s[24:27], 0 offset:32 ; 4-byte Folded Reload
	buffer_load_dword v113, off, s[24:27], 0 offset:36 ; 4-byte Folded Reload
	;; [unrolled: 1-line block ×4, first 2 shown]
	v_mov_b32_e32 v108, 1
	s_waitcnt vmcnt(0)
	ds_write2_b64 v106, v[112:113], v[114:115] offset0:4 offset1:5
	buffer_load_dword v112, off, s[24:27], 0 offset:16 ; 4-byte Folded Reload
	buffer_load_dword v113, off, s[24:27], 0 offset:20 ; 4-byte Folded Reload
	;; [unrolled: 1-line block ×4, first 2 shown]
	s_waitcnt vmcnt(0)
	ds_write2_b64 v106, v[112:113], v[114:115] offset0:6 offset1:7
	buffer_load_dword v112, off, s[24:27], 0 ; 4-byte Folded Reload
	buffer_load_dword v113, off, s[24:27], 0 offset:4 ; 4-byte Folded Reload
	buffer_load_dword v114, off, s[24:27], 0 offset:8 ; 4-byte Folded Reload
	;; [unrolled: 1-line block ×3, first 2 shown]
	s_waitcnt vmcnt(0)
	ds_write2_b64 v106, v[112:113], v[114:115] offset0:8 offset1:9
	ds_write2_b64 v106, v[101:102], v[103:104] offset0:10 offset1:11
	;; [unrolled: 1-line block ×27, first 2 shown]
.LBB60_39:
	s_or_b64 exec, exec, s[0:1]
	v_cmp_lt_i32_e32 vcc, 1, v108
	s_waitcnt vmcnt(0) lgkmcnt(0)
	s_barrier
	s_and_saveexec_b64 s[0:1], vcc
	s_cbranch_execz .LBB60_41
; %bb.40:
	buffer_load_dword v114, off, s[24:27], 0 offset:48 ; 4-byte Folded Reload
	buffer_load_dword v115, off, s[24:27], 0 offset:52 ; 4-byte Folded Reload
	;; [unrolled: 1-line block ×4, first 2 shown]
	s_waitcnt vmcnt(0)
	v_mul_f64 v[109:110], v[83:84], v[116:117]
	v_fma_f64 v[125:126], v[81:82], v[114:115], -v[109:110]
	v_mul_f64 v[81:82], v[81:82], v[116:117]
	v_fma_f64 v[116:117], v[83:84], v[114:115], v[81:82]
	ds_read2_b64 v[81:84], v106 offset0:4 offset1:5
	buffer_load_dword v112, off, s[24:27], 0 offset:32 ; 4-byte Folded Reload
	buffer_load_dword v113, off, s[24:27], 0 offset:36 ; 4-byte Folded Reload
	;; [unrolled: 1-line block ×4, first 2 shown]
	s_waitcnt lgkmcnt(0)
	v_mul_f64 v[109:110], v[83:84], v[116:117]
	v_fma_f64 v[109:110], v[81:82], v[125:126], -v[109:110]
	v_mul_f64 v[81:82], v[81:82], v[116:117]
	v_fma_f64 v[81:82], v[83:84], v[125:126], v[81:82]
	s_waitcnt vmcnt(2)
	v_add_f64 v[112:113], v[112:113], -v[109:110]
	s_waitcnt vmcnt(0)
	v_add_f64 v[114:115], v[114:115], -v[81:82]
	buffer_store_dword v112, off, s[24:27], 0 offset:32 ; 4-byte Folded Spill
	s_nop 0
	buffer_store_dword v113, off, s[24:27], 0 offset:36 ; 4-byte Folded Spill
	buffer_store_dword v114, off, s[24:27], 0 offset:40 ; 4-byte Folded Spill
	;; [unrolled: 1-line block ×3, first 2 shown]
	ds_read2_b64 v[81:84], v106 offset0:6 offset1:7
	buffer_load_dword v112, off, s[24:27], 0 offset:16 ; 4-byte Folded Reload
	buffer_load_dword v113, off, s[24:27], 0 offset:20 ; 4-byte Folded Reload
	;; [unrolled: 1-line block ×4, first 2 shown]
	s_waitcnt lgkmcnt(0)
	v_mul_f64 v[109:110], v[83:84], v[116:117]
	v_fma_f64 v[109:110], v[81:82], v[125:126], -v[109:110]
	v_mul_f64 v[81:82], v[81:82], v[116:117]
	v_fma_f64 v[81:82], v[83:84], v[125:126], v[81:82]
	s_waitcnt vmcnt(2)
	v_add_f64 v[112:113], v[112:113], -v[109:110]
	s_waitcnt vmcnt(0)
	v_add_f64 v[114:115], v[114:115], -v[81:82]
	buffer_store_dword v112, off, s[24:27], 0 offset:16 ; 4-byte Folded Spill
	s_nop 0
	buffer_store_dword v113, off, s[24:27], 0 offset:20 ; 4-byte Folded Spill
	buffer_store_dword v114, off, s[24:27], 0 offset:24 ; 4-byte Folded Spill
	;; [unrolled: 1-line block ×3, first 2 shown]
	ds_read2_b64 v[81:84], v106 offset0:8 offset1:9
	buffer_load_dword v112, off, s[24:27], 0 ; 4-byte Folded Reload
	buffer_load_dword v113, off, s[24:27], 0 offset:4 ; 4-byte Folded Reload
	buffer_load_dword v114, off, s[24:27], 0 offset:8 ; 4-byte Folded Reload
	;; [unrolled: 1-line block ×3, first 2 shown]
	s_waitcnt lgkmcnt(0)
	v_mul_f64 v[109:110], v[83:84], v[116:117]
	v_fma_f64 v[109:110], v[81:82], v[125:126], -v[109:110]
	v_mul_f64 v[81:82], v[81:82], v[116:117]
	v_fma_f64 v[81:82], v[83:84], v[125:126], v[81:82]
	s_waitcnt vmcnt(2)
	v_add_f64 v[112:113], v[112:113], -v[109:110]
	s_waitcnt vmcnt(0)
	v_add_f64 v[114:115], v[114:115], -v[81:82]
	buffer_store_dword v112, off, s[24:27], 0 ; 4-byte Folded Spill
	s_nop 0
	buffer_store_dword v113, off, s[24:27], 0 offset:4 ; 4-byte Folded Spill
	buffer_store_dword v114, off, s[24:27], 0 offset:8 ; 4-byte Folded Spill
	;; [unrolled: 1-line block ×3, first 2 shown]
	ds_read2_b64 v[81:84], v106 offset0:10 offset1:11
	v_mov_b32_e32 v114, v125
	v_mov_b32_e32 v115, v126
	s_waitcnt lgkmcnt(0)
	v_mul_f64 v[109:110], v[83:84], v[116:117]
	v_fma_f64 v[109:110], v[81:82], v[125:126], -v[109:110]
	v_mul_f64 v[81:82], v[81:82], v[116:117]
	v_add_f64 v[101:102], v[101:102], -v[109:110]
	v_fma_f64 v[81:82], v[83:84], v[125:126], v[81:82]
	v_add_f64 v[103:104], v[103:104], -v[81:82]
	ds_read2_b64 v[81:84], v106 offset0:12 offset1:13
	s_waitcnt lgkmcnt(0)
	v_mul_f64 v[109:110], v[83:84], v[116:117]
	v_fma_f64 v[109:110], v[81:82], v[125:126], -v[109:110]
	v_mul_f64 v[81:82], v[81:82], v[116:117]
	v_add_f64 v[97:98], v[97:98], -v[109:110]
	v_fma_f64 v[81:82], v[83:84], v[125:126], v[81:82]
	v_add_f64 v[99:100], v[99:100], -v[81:82]
	ds_read2_b64 v[81:84], v106 offset0:14 offset1:15
	;; [unrolled: 8-line block ×25, first 2 shown]
	s_waitcnt lgkmcnt(0)
	v_mul_f64 v[109:110], v[83:84], v[116:117]
	v_fma_f64 v[109:110], v[81:82], v[125:126], -v[109:110]
	v_mul_f64 v[81:82], v[81:82], v[116:117]
	buffer_store_dword v114, off, s[24:27], 0 offset:48 ; 4-byte Folded Spill
	s_nop 0
	buffer_store_dword v115, off, s[24:27], 0 offset:52 ; 4-byte Folded Spill
	buffer_store_dword v116, off, s[24:27], 0 offset:56 ; 4-byte Folded Spill
	;; [unrolled: 1-line block ×3, first 2 shown]
	v_add_f64 v[121:122], v[121:122], -v[109:110]
	v_fma_f64 v[81:82], v[83:84], v[125:126], v[81:82]
	v_add_f64 v[123:124], v[123:124], -v[81:82]
.LBB60_41:
	s_or_b64 exec, exec, s[0:1]
	s_waitcnt vmcnt(0)
	s_barrier
	buffer_load_dword v112, off, s[24:27], 0 offset:32 ; 4-byte Folded Reload
	buffer_load_dword v113, off, s[24:27], 0 offset:36 ; 4-byte Folded Reload
	buffer_load_dword v114, off, s[24:27], 0 offset:40 ; 4-byte Folded Reload
	buffer_load_dword v115, off, s[24:27], 0 offset:44 ; 4-byte Folded Reload
	v_lshl_add_u32 v81, v108, 4, v106
	s_cmp_lt_i32 s3, 4
	v_mov_b32_e32 v109, 2
	s_waitcnt vmcnt(0)
	ds_write2_b64 v81, v[112:113], v[114:115] offset1:1
	s_waitcnt lgkmcnt(0)
	s_barrier
	ds_read2_b64 v[81:84], v106 offset0:4 offset1:5
	s_cbranch_scc1 .LBB60_44
; %bb.42:
	v_add3_u32 v110, v111, 0, 48
	s_mov_b32 s0, 3
	v_mov_b32_e32 v109, 2
.LBB60_43:                              ; =>This Inner Loop Header: Depth=1
	s_waitcnt lgkmcnt(0)
	v_cmp_gt_f64_e32 vcc, 0, v[81:82]
	v_xor_b32_e32 v116, 0x80000000, v82
	ds_read2_b64 v[112:115], v110 offset1:1
	v_xor_b32_e32 v118, 0x80000000, v84
	v_add_u32_e32 v110, 16, v110
	s_waitcnt lgkmcnt(0)
	v_xor_b32_e32 v120, 0x80000000, v115
	v_cndmask_b32_e32 v117, v82, v116, vcc
	v_cmp_gt_f64_e32 vcc, 0, v[83:84]
	v_mov_b32_e32 v116, v81
	v_mov_b32_e32 v125, v114
	v_cndmask_b32_e32 v119, v84, v118, vcc
	v_cmp_gt_f64_e32 vcc, 0, v[112:113]
	v_mov_b32_e32 v118, v83
	v_add_f64 v[116:117], v[116:117], v[118:119]
	v_xor_b32_e32 v118, 0x80000000, v113
	v_cndmask_b32_e32 v119, v113, v118, vcc
	v_cmp_gt_f64_e32 vcc, 0, v[114:115]
	v_mov_b32_e32 v118, v112
	v_cndmask_b32_e32 v126, v115, v120, vcc
	v_add_f64 v[118:119], v[118:119], v[125:126]
	v_cmp_lt_f64_e32 vcc, v[116:117], v[118:119]
	v_cndmask_b32_e32 v81, v81, v112, vcc
	v_mov_b32_e32 v112, s0
	s_add_i32 s0, s0, 1
	v_cndmask_b32_e32 v82, v82, v113, vcc
	v_cndmask_b32_e32 v84, v84, v115, vcc
	;; [unrolled: 1-line block ×4, first 2 shown]
	s_cmp_lg_u32 s3, s0
	s_cbranch_scc1 .LBB60_43
.LBB60_44:
	s_waitcnt lgkmcnt(0)
	v_cmp_eq_f64_e32 vcc, 0, v[81:82]
	v_cmp_eq_f64_e64 s[0:1], 0, v[83:84]
	s_and_b64 s[0:1], vcc, s[0:1]
	s_and_saveexec_b64 s[18:19], s[0:1]
	s_xor_b64 s[0:1], exec, s[18:19]
; %bb.45:
	v_cmp_ne_u32_e32 vcc, 0, v107
	v_cndmask_b32_e32 v107, 3, v107, vcc
; %bb.46:
	s_andn2_saveexec_b64 s[0:1], s[0:1]
	s_cbranch_execz .LBB60_52
; %bb.47:
	v_cmp_ngt_f64_e64 s[18:19], |v[81:82]|, |v[83:84]|
	s_and_saveexec_b64 s[20:21], s[18:19]
	s_xor_b64 s[18:19], exec, s[20:21]
	s_cbranch_execz .LBB60_49
; %bb.48:
	v_div_scale_f64 v[112:113], s[20:21], v[83:84], v[83:84], v[81:82]
	v_rcp_f64_e32 v[114:115], v[112:113]
	v_fma_f64 v[116:117], -v[112:113], v[114:115], 1.0
	v_fma_f64 v[114:115], v[114:115], v[116:117], v[114:115]
	v_div_scale_f64 v[116:117], vcc, v[81:82], v[83:84], v[81:82]
	v_fma_f64 v[118:119], -v[112:113], v[114:115], 1.0
	v_fma_f64 v[114:115], v[114:115], v[118:119], v[114:115]
	v_mul_f64 v[118:119], v[116:117], v[114:115]
	v_fma_f64 v[112:113], -v[112:113], v[118:119], v[116:117]
	v_div_fmas_f64 v[112:113], v[112:113], v[114:115], v[118:119]
	v_div_fixup_f64 v[112:113], v[112:113], v[83:84], v[81:82]
	v_fma_f64 v[81:82], v[81:82], v[112:113], v[83:84]
	v_div_scale_f64 v[83:84], s[20:21], v[81:82], v[81:82], 1.0
	v_div_scale_f64 v[118:119], vcc, 1.0, v[81:82], 1.0
	v_rcp_f64_e32 v[114:115], v[83:84]
	v_fma_f64 v[116:117], -v[83:84], v[114:115], 1.0
	v_fma_f64 v[114:115], v[114:115], v[116:117], v[114:115]
	v_fma_f64 v[116:117], -v[83:84], v[114:115], 1.0
	v_fma_f64 v[114:115], v[114:115], v[116:117], v[114:115]
	v_mul_f64 v[116:117], v[118:119], v[114:115]
	v_fma_f64 v[83:84], -v[83:84], v[116:117], v[118:119]
	v_div_fmas_f64 v[83:84], v[83:84], v[114:115], v[116:117]
	v_div_fixup_f64 v[83:84], v[83:84], v[81:82], 1.0
	v_mul_f64 v[81:82], v[112:113], v[83:84]
	v_xor_b32_e32 v84, 0x80000000, v84
.LBB60_49:
	s_andn2_saveexec_b64 s[18:19], s[18:19]
	s_cbranch_execz .LBB60_51
; %bb.50:
	v_div_scale_f64 v[112:113], s[20:21], v[81:82], v[81:82], v[83:84]
	v_rcp_f64_e32 v[114:115], v[112:113]
	v_fma_f64 v[116:117], -v[112:113], v[114:115], 1.0
	v_fma_f64 v[114:115], v[114:115], v[116:117], v[114:115]
	v_div_scale_f64 v[116:117], vcc, v[83:84], v[81:82], v[83:84]
	v_fma_f64 v[118:119], -v[112:113], v[114:115], 1.0
	v_fma_f64 v[114:115], v[114:115], v[118:119], v[114:115]
	v_mul_f64 v[118:119], v[116:117], v[114:115]
	v_fma_f64 v[112:113], -v[112:113], v[118:119], v[116:117]
	v_div_fmas_f64 v[112:113], v[112:113], v[114:115], v[118:119]
	v_div_fixup_f64 v[112:113], v[112:113], v[81:82], v[83:84]
	v_fma_f64 v[81:82], v[83:84], v[112:113], v[81:82]
	v_div_scale_f64 v[83:84], s[20:21], v[81:82], v[81:82], 1.0
	v_div_scale_f64 v[118:119], vcc, 1.0, v[81:82], 1.0
	v_rcp_f64_e32 v[114:115], v[83:84]
	v_fma_f64 v[116:117], -v[83:84], v[114:115], 1.0
	v_fma_f64 v[114:115], v[114:115], v[116:117], v[114:115]
	v_fma_f64 v[116:117], -v[83:84], v[114:115], 1.0
	v_fma_f64 v[114:115], v[114:115], v[116:117], v[114:115]
	v_mul_f64 v[116:117], v[118:119], v[114:115]
	v_fma_f64 v[83:84], -v[83:84], v[116:117], v[118:119]
	v_div_fmas_f64 v[83:84], v[83:84], v[114:115], v[116:117]
	v_div_fixup_f64 v[81:82], v[83:84], v[81:82], 1.0
	v_mul_f64 v[83:84], v[112:113], -v[81:82]
.LBB60_51:
	s_or_b64 exec, exec, s[18:19]
.LBB60_52:
	s_or_b64 exec, exec, s[0:1]
	v_cmp_ne_u32_e32 vcc, v108, v109
	s_and_saveexec_b64 s[0:1], vcc
	s_xor_b64 s[0:1], exec, s[0:1]
	s_cbranch_execz .LBB60_58
; %bb.53:
	v_cmp_eq_u32_e32 vcc, 2, v108
	s_and_saveexec_b64 s[18:19], vcc
	s_cbranch_execz .LBB60_57
; %bb.54:
	v_cmp_ne_u32_e32 vcc, 2, v109
	s_xor_b64 s[20:21], s[6:7], -1
	s_and_b64 s[22:23], s[20:21], vcc
	s_and_saveexec_b64 s[20:21], s[22:23]
	s_cbranch_execz .LBB60_56
; %bb.55:
	buffer_load_dword v114, off, s[24:27], 0 offset:64 ; 4-byte Folded Reload
	buffer_load_dword v115, off, s[24:27], 0 offset:68 ; 4-byte Folded Reload
	v_ashrrev_i32_e32 v110, 31, v109
	v_lshlrev_b64 v[112:113], 2, v[109:110]
	s_waitcnt vmcnt(1)
	v_add_co_u32_e32 v112, vcc, v114, v112
	s_waitcnt vmcnt(0)
	v_addc_co_u32_e32 v113, vcc, v115, v113, vcc
	global_load_dword v0, v[112:113], off
	global_load_dword v108, v[114:115], off offset:8
	s_waitcnt vmcnt(1)
	global_store_dword v[114:115], v0, off offset:8
	s_waitcnt vmcnt(1)
	global_store_dword v[112:113], v108, off
.LBB60_56:
	s_or_b64 exec, exec, s[20:21]
	v_mov_b32_e32 v108, v109
	v_mov_b32_e32 v0, v109
.LBB60_57:
	s_or_b64 exec, exec, s[18:19]
.LBB60_58:
	s_andn2_saveexec_b64 s[0:1], s[0:1]
	s_cbranch_execz .LBB60_60
; %bb.59:
	buffer_load_dword v112, off, s[24:27], 0 offset:16 ; 4-byte Folded Reload
	buffer_load_dword v113, off, s[24:27], 0 offset:20 ; 4-byte Folded Reload
	;; [unrolled: 1-line block ×4, first 2 shown]
	v_mov_b32_e32 v108, 2
	s_waitcnt vmcnt(0)
	ds_write2_b64 v106, v[112:113], v[114:115] offset0:6 offset1:7
	buffer_load_dword v112, off, s[24:27], 0 ; 4-byte Folded Reload
	buffer_load_dword v113, off, s[24:27], 0 offset:4 ; 4-byte Folded Reload
	buffer_load_dword v114, off, s[24:27], 0 offset:8 ; 4-byte Folded Reload
	;; [unrolled: 1-line block ×3, first 2 shown]
	s_waitcnt vmcnt(0)
	ds_write2_b64 v106, v[112:113], v[114:115] offset0:8 offset1:9
	ds_write2_b64 v106, v[101:102], v[103:104] offset0:10 offset1:11
	;; [unrolled: 1-line block ×27, first 2 shown]
.LBB60_60:
	s_or_b64 exec, exec, s[0:1]
	v_cmp_lt_i32_e32 vcc, 2, v108
	s_waitcnt vmcnt(0) lgkmcnt(0)
	s_barrier
	s_and_saveexec_b64 s[0:1], vcc
	s_cbranch_execz .LBB60_62
; %bb.61:
	buffer_load_dword v114, off, s[24:27], 0 offset:32 ; 4-byte Folded Reload
	buffer_load_dword v115, off, s[24:27], 0 offset:36 ; 4-byte Folded Reload
	buffer_load_dword v116, off, s[24:27], 0 offset:40 ; 4-byte Folded Reload
	buffer_load_dword v117, off, s[24:27], 0 offset:44 ; 4-byte Folded Reload
	s_waitcnt vmcnt(0)
	v_mul_f64 v[109:110], v[83:84], v[116:117]
	v_fma_f64 v[125:126], v[81:82], v[114:115], -v[109:110]
	v_mul_f64 v[81:82], v[81:82], v[116:117]
	v_fma_f64 v[116:117], v[83:84], v[114:115], v[81:82]
	ds_read2_b64 v[81:84], v106 offset0:6 offset1:7
	buffer_load_dword v112, off, s[24:27], 0 offset:16 ; 4-byte Folded Reload
	buffer_load_dword v113, off, s[24:27], 0 offset:20 ; 4-byte Folded Reload
	;; [unrolled: 1-line block ×4, first 2 shown]
	s_waitcnt lgkmcnt(0)
	v_mul_f64 v[109:110], v[83:84], v[116:117]
	v_fma_f64 v[109:110], v[81:82], v[125:126], -v[109:110]
	v_mul_f64 v[81:82], v[81:82], v[116:117]
	v_fma_f64 v[81:82], v[83:84], v[125:126], v[81:82]
	s_waitcnt vmcnt(2)
	v_add_f64 v[112:113], v[112:113], -v[109:110]
	s_waitcnt vmcnt(0)
	v_add_f64 v[114:115], v[114:115], -v[81:82]
	buffer_store_dword v112, off, s[24:27], 0 offset:16 ; 4-byte Folded Spill
	s_nop 0
	buffer_store_dword v113, off, s[24:27], 0 offset:20 ; 4-byte Folded Spill
	buffer_store_dword v114, off, s[24:27], 0 offset:24 ; 4-byte Folded Spill
	;; [unrolled: 1-line block ×3, first 2 shown]
	ds_read2_b64 v[81:84], v106 offset0:8 offset1:9
	buffer_load_dword v112, off, s[24:27], 0 ; 4-byte Folded Reload
	buffer_load_dword v113, off, s[24:27], 0 offset:4 ; 4-byte Folded Reload
	buffer_load_dword v114, off, s[24:27], 0 offset:8 ; 4-byte Folded Reload
	;; [unrolled: 1-line block ×3, first 2 shown]
	s_waitcnt lgkmcnt(0)
	v_mul_f64 v[109:110], v[83:84], v[116:117]
	v_fma_f64 v[109:110], v[81:82], v[125:126], -v[109:110]
	v_mul_f64 v[81:82], v[81:82], v[116:117]
	v_fma_f64 v[81:82], v[83:84], v[125:126], v[81:82]
	s_waitcnt vmcnt(2)
	v_add_f64 v[112:113], v[112:113], -v[109:110]
	s_waitcnt vmcnt(0)
	v_add_f64 v[114:115], v[114:115], -v[81:82]
	buffer_store_dword v112, off, s[24:27], 0 ; 4-byte Folded Spill
	s_nop 0
	buffer_store_dword v113, off, s[24:27], 0 offset:4 ; 4-byte Folded Spill
	buffer_store_dword v114, off, s[24:27], 0 offset:8 ; 4-byte Folded Spill
	;; [unrolled: 1-line block ×3, first 2 shown]
	ds_read2_b64 v[81:84], v106 offset0:10 offset1:11
	v_mov_b32_e32 v114, v125
	v_mov_b32_e32 v115, v126
	s_waitcnt lgkmcnt(0)
	v_mul_f64 v[109:110], v[83:84], v[116:117]
	v_fma_f64 v[109:110], v[81:82], v[125:126], -v[109:110]
	v_mul_f64 v[81:82], v[81:82], v[116:117]
	v_add_f64 v[101:102], v[101:102], -v[109:110]
	v_fma_f64 v[81:82], v[83:84], v[125:126], v[81:82]
	v_add_f64 v[103:104], v[103:104], -v[81:82]
	ds_read2_b64 v[81:84], v106 offset0:12 offset1:13
	s_waitcnt lgkmcnt(0)
	v_mul_f64 v[109:110], v[83:84], v[116:117]
	v_fma_f64 v[109:110], v[81:82], v[125:126], -v[109:110]
	v_mul_f64 v[81:82], v[81:82], v[116:117]
	v_add_f64 v[97:98], v[97:98], -v[109:110]
	v_fma_f64 v[81:82], v[83:84], v[125:126], v[81:82]
	v_add_f64 v[99:100], v[99:100], -v[81:82]
	ds_read2_b64 v[81:84], v106 offset0:14 offset1:15
	;; [unrolled: 8-line block ×25, first 2 shown]
	s_waitcnt lgkmcnt(0)
	v_mul_f64 v[109:110], v[83:84], v[116:117]
	v_fma_f64 v[109:110], v[81:82], v[125:126], -v[109:110]
	v_mul_f64 v[81:82], v[81:82], v[116:117]
	buffer_store_dword v114, off, s[24:27], 0 offset:32 ; 4-byte Folded Spill
	s_nop 0
	buffer_store_dword v115, off, s[24:27], 0 offset:36 ; 4-byte Folded Spill
	buffer_store_dword v116, off, s[24:27], 0 offset:40 ; 4-byte Folded Spill
	;; [unrolled: 1-line block ×3, first 2 shown]
	v_add_f64 v[121:122], v[121:122], -v[109:110]
	v_fma_f64 v[81:82], v[83:84], v[125:126], v[81:82]
	v_add_f64 v[123:124], v[123:124], -v[81:82]
.LBB60_62:
	s_or_b64 exec, exec, s[0:1]
	s_waitcnt vmcnt(0)
	s_barrier
	buffer_load_dword v112, off, s[24:27], 0 offset:16 ; 4-byte Folded Reload
	buffer_load_dword v113, off, s[24:27], 0 offset:20 ; 4-byte Folded Reload
	;; [unrolled: 1-line block ×4, first 2 shown]
	v_lshl_add_u32 v81, v108, 4, v106
	s_mov_b32 s0, 4
	s_cmp_lt_i32 s3, 5
	v_mov_b32_e32 v109, 3
	s_waitcnt vmcnt(0)
	ds_write2_b64 v81, v[112:113], v[114:115] offset1:1
	s_waitcnt lgkmcnt(0)
	s_barrier
	ds_read2_b64 v[81:84], v106 offset0:6 offset1:7
	s_cbranch_scc1 .LBB60_65
; %bb.63:
	v_add3_u32 v110, v111, 0, 64
	v_mov_b32_e32 v109, 3
.LBB60_64:                              ; =>This Inner Loop Header: Depth=1
	s_waitcnt lgkmcnt(0)
	v_cmp_gt_f64_e32 vcc, 0, v[81:82]
	v_xor_b32_e32 v115, 0x80000000, v82
	ds_read2_b64 v[111:114], v110 offset1:1
	v_xor_b32_e32 v117, 0x80000000, v84
	v_add_u32_e32 v110, 16, v110
	s_waitcnt lgkmcnt(0)
	v_xor_b32_e32 v119, 0x80000000, v114
	v_cndmask_b32_e32 v116, v82, v115, vcc
	v_cmp_gt_f64_e32 vcc, 0, v[83:84]
	v_mov_b32_e32 v115, v81
	v_cndmask_b32_e32 v118, v84, v117, vcc
	v_cmp_gt_f64_e32 vcc, 0, v[111:112]
	v_mov_b32_e32 v117, v83
	v_add_f64 v[115:116], v[115:116], v[117:118]
	v_xor_b32_e32 v117, 0x80000000, v112
	v_cndmask_b32_e32 v118, v112, v117, vcc
	v_cmp_gt_f64_e32 vcc, 0, v[113:114]
	v_mov_b32_e32 v117, v111
	v_cndmask_b32_e32 v120, v114, v119, vcc
	v_mov_b32_e32 v119, v113
	v_add_f64 v[117:118], v[117:118], v[119:120]
	v_cmp_lt_f64_e32 vcc, v[115:116], v[117:118]
	v_cndmask_b32_e32 v81, v81, v111, vcc
	v_mov_b32_e32 v111, s0
	s_add_i32 s0, s0, 1
	v_cndmask_b32_e32 v82, v82, v112, vcc
	v_cndmask_b32_e32 v84, v84, v114, vcc
	;; [unrolled: 1-line block ×4, first 2 shown]
	s_cmp_lg_u32 s3, s0
	s_cbranch_scc1 .LBB60_64
.LBB60_65:
	s_waitcnt lgkmcnt(0)
	v_cmp_eq_f64_e32 vcc, 0, v[81:82]
	v_cmp_eq_f64_e64 s[0:1], 0, v[83:84]
	s_and_b64 s[0:1], vcc, s[0:1]
	s_and_saveexec_b64 s[18:19], s[0:1]
	s_xor_b64 s[0:1], exec, s[18:19]
; %bb.66:
	v_cmp_ne_u32_e32 vcc, 0, v107
	v_cndmask_b32_e32 v107, 4, v107, vcc
; %bb.67:
	s_andn2_saveexec_b64 s[0:1], s[0:1]
	s_cbranch_execz .LBB60_73
; %bb.68:
	v_cmp_ngt_f64_e64 s[18:19], |v[81:82]|, |v[83:84]|
	s_and_saveexec_b64 s[20:21], s[18:19]
	s_xor_b64 s[18:19], exec, s[20:21]
	s_cbranch_execz .LBB60_70
; %bb.69:
	v_div_scale_f64 v[110:111], s[20:21], v[83:84], v[83:84], v[81:82]
	v_rcp_f64_e32 v[112:113], v[110:111]
	v_fma_f64 v[114:115], -v[110:111], v[112:113], 1.0
	v_fma_f64 v[112:113], v[112:113], v[114:115], v[112:113]
	v_div_scale_f64 v[114:115], vcc, v[81:82], v[83:84], v[81:82]
	v_fma_f64 v[116:117], -v[110:111], v[112:113], 1.0
	v_fma_f64 v[112:113], v[112:113], v[116:117], v[112:113]
	v_mul_f64 v[116:117], v[114:115], v[112:113]
	v_fma_f64 v[110:111], -v[110:111], v[116:117], v[114:115]
	v_div_fmas_f64 v[110:111], v[110:111], v[112:113], v[116:117]
	v_div_fixup_f64 v[110:111], v[110:111], v[83:84], v[81:82]
	v_fma_f64 v[81:82], v[81:82], v[110:111], v[83:84]
	v_div_scale_f64 v[83:84], s[20:21], v[81:82], v[81:82], 1.0
	v_div_scale_f64 v[116:117], vcc, 1.0, v[81:82], 1.0
	v_rcp_f64_e32 v[112:113], v[83:84]
	v_fma_f64 v[114:115], -v[83:84], v[112:113], 1.0
	v_fma_f64 v[112:113], v[112:113], v[114:115], v[112:113]
	v_fma_f64 v[114:115], -v[83:84], v[112:113], 1.0
	v_fma_f64 v[112:113], v[112:113], v[114:115], v[112:113]
	v_mul_f64 v[114:115], v[116:117], v[112:113]
	v_fma_f64 v[83:84], -v[83:84], v[114:115], v[116:117]
	v_div_fmas_f64 v[83:84], v[83:84], v[112:113], v[114:115]
	v_div_fixup_f64 v[83:84], v[83:84], v[81:82], 1.0
	v_mul_f64 v[81:82], v[110:111], v[83:84]
	v_xor_b32_e32 v84, 0x80000000, v84
.LBB60_70:
	s_andn2_saveexec_b64 s[18:19], s[18:19]
	s_cbranch_execz .LBB60_72
; %bb.71:
	v_div_scale_f64 v[110:111], s[20:21], v[81:82], v[81:82], v[83:84]
	v_rcp_f64_e32 v[112:113], v[110:111]
	v_fma_f64 v[114:115], -v[110:111], v[112:113], 1.0
	v_fma_f64 v[112:113], v[112:113], v[114:115], v[112:113]
	v_div_scale_f64 v[114:115], vcc, v[83:84], v[81:82], v[83:84]
	v_fma_f64 v[116:117], -v[110:111], v[112:113], 1.0
	v_fma_f64 v[112:113], v[112:113], v[116:117], v[112:113]
	v_mul_f64 v[116:117], v[114:115], v[112:113]
	v_fma_f64 v[110:111], -v[110:111], v[116:117], v[114:115]
	v_div_fmas_f64 v[110:111], v[110:111], v[112:113], v[116:117]
	v_div_fixup_f64 v[110:111], v[110:111], v[81:82], v[83:84]
	v_fma_f64 v[81:82], v[83:84], v[110:111], v[81:82]
	v_div_scale_f64 v[83:84], s[20:21], v[81:82], v[81:82], 1.0
	v_div_scale_f64 v[116:117], vcc, 1.0, v[81:82], 1.0
	v_rcp_f64_e32 v[112:113], v[83:84]
	v_fma_f64 v[114:115], -v[83:84], v[112:113], 1.0
	v_fma_f64 v[112:113], v[112:113], v[114:115], v[112:113]
	v_fma_f64 v[114:115], -v[83:84], v[112:113], 1.0
	v_fma_f64 v[112:113], v[112:113], v[114:115], v[112:113]
	v_mul_f64 v[114:115], v[116:117], v[112:113]
	v_fma_f64 v[83:84], -v[83:84], v[114:115], v[116:117]
	v_div_fmas_f64 v[83:84], v[83:84], v[112:113], v[114:115]
	v_div_fixup_f64 v[81:82], v[83:84], v[81:82], 1.0
	v_mul_f64 v[83:84], v[110:111], -v[81:82]
.LBB60_72:
	s_or_b64 exec, exec, s[18:19]
.LBB60_73:
	s_or_b64 exec, exec, s[0:1]
	v_cmp_ne_u32_e32 vcc, v108, v109
	s_and_saveexec_b64 s[0:1], vcc
	s_xor_b64 s[0:1], exec, s[0:1]
	s_cbranch_execz .LBB60_79
; %bb.74:
	v_cmp_eq_u32_e32 vcc, 3, v108
	s_and_saveexec_b64 s[18:19], vcc
	s_cbranch_execz .LBB60_78
; %bb.75:
	v_cmp_ne_u32_e32 vcc, 3, v109
	s_xor_b64 s[20:21], s[6:7], -1
	s_and_b64 s[22:23], s[20:21], vcc
	s_and_saveexec_b64 s[20:21], s[22:23]
	s_cbranch_execz .LBB60_77
; %bb.76:
	buffer_load_dword v112, off, s[24:27], 0 offset:64 ; 4-byte Folded Reload
	buffer_load_dword v113, off, s[24:27], 0 offset:68 ; 4-byte Folded Reload
	v_ashrrev_i32_e32 v110, 31, v109
	v_lshlrev_b64 v[110:111], 2, v[109:110]
	s_waitcnt vmcnt(1)
	v_add_co_u32_e32 v110, vcc, v112, v110
	s_waitcnt vmcnt(0)
	v_addc_co_u32_e32 v111, vcc, v113, v111, vcc
	global_load_dword v0, v[110:111], off
	global_load_dword v108, v[112:113], off offset:12
	s_waitcnt vmcnt(1)
	global_store_dword v[112:113], v0, off offset:12
	s_waitcnt vmcnt(1)
	global_store_dword v[110:111], v108, off
.LBB60_77:
	s_or_b64 exec, exec, s[20:21]
	v_mov_b32_e32 v108, v109
	v_mov_b32_e32 v0, v109
.LBB60_78:
	s_or_b64 exec, exec, s[18:19]
.LBB60_79:
	s_andn2_saveexec_b64 s[0:1], s[0:1]
	s_cbranch_execz .LBB60_81
; %bb.80:
	buffer_load_dword v108, off, s[24:27], 0 ; 4-byte Folded Reload
	buffer_load_dword v109, off, s[24:27], 0 offset:4 ; 4-byte Folded Reload
	buffer_load_dword v110, off, s[24:27], 0 offset:8 ; 4-byte Folded Reload
	;; [unrolled: 1-line block ×3, first 2 shown]
	s_waitcnt vmcnt(0)
	ds_write2_b64 v106, v[108:109], v[110:111] offset0:8 offset1:9
	ds_write2_b64 v106, v[101:102], v[103:104] offset0:10 offset1:11
	;; [unrolled: 1-line block ×27, first 2 shown]
	v_mov_b32_e32 v108, 3
.LBB60_81:
	s_or_b64 exec, exec, s[0:1]
	v_cmp_lt_i32_e32 vcc, 3, v108
	s_waitcnt vmcnt(0) lgkmcnt(0)
	s_barrier
	s_and_saveexec_b64 s[0:1], vcc
	s_cbranch_execz .LBB60_83
; %bb.82:
	buffer_load_dword v113, off, s[24:27], 0 offset:16 ; 4-byte Folded Reload
	buffer_load_dword v114, off, s[24:27], 0 offset:20 ; 4-byte Folded Reload
	;; [unrolled: 1-line block ×4, first 2 shown]
	s_waitcnt vmcnt(0)
	v_mul_f64 v[109:110], v[83:84], v[115:116]
	v_fma_f64 v[125:126], v[81:82], v[113:114], -v[109:110]
	v_mul_f64 v[81:82], v[81:82], v[115:116]
	v_fma_f64 v[115:116], v[83:84], v[113:114], v[81:82]
	ds_read2_b64 v[81:84], v106 offset0:8 offset1:9
	buffer_load_dword v111, off, s[24:27], 0 ; 4-byte Folded Reload
	buffer_load_dword v112, off, s[24:27], 0 offset:4 ; 4-byte Folded Reload
	buffer_load_dword v113, off, s[24:27], 0 offset:8 ; 4-byte Folded Reload
	;; [unrolled: 1-line block ×3, first 2 shown]
	s_waitcnt lgkmcnt(0)
	v_mul_f64 v[109:110], v[83:84], v[115:116]
	v_fma_f64 v[109:110], v[81:82], v[125:126], -v[109:110]
	v_mul_f64 v[81:82], v[81:82], v[115:116]
	v_fma_f64 v[81:82], v[83:84], v[125:126], v[81:82]
	s_waitcnt vmcnt(2)
	v_add_f64 v[111:112], v[111:112], -v[109:110]
	s_waitcnt vmcnt(0)
	v_add_f64 v[113:114], v[113:114], -v[81:82]
	buffer_store_dword v111, off, s[24:27], 0 ; 4-byte Folded Spill
	s_nop 0
	buffer_store_dword v112, off, s[24:27], 0 offset:4 ; 4-byte Folded Spill
	buffer_store_dword v113, off, s[24:27], 0 offset:8 ; 4-byte Folded Spill
	;; [unrolled: 1-line block ×3, first 2 shown]
	ds_read2_b64 v[81:84], v106 offset0:10 offset1:11
	v_mov_b32_e32 v113, v125
	v_mov_b32_e32 v114, v126
	s_waitcnt lgkmcnt(0)
	v_mul_f64 v[109:110], v[83:84], v[115:116]
	v_fma_f64 v[109:110], v[81:82], v[125:126], -v[109:110]
	v_mul_f64 v[81:82], v[81:82], v[115:116]
	v_add_f64 v[101:102], v[101:102], -v[109:110]
	v_fma_f64 v[81:82], v[83:84], v[125:126], v[81:82]
	v_add_f64 v[103:104], v[103:104], -v[81:82]
	ds_read2_b64 v[81:84], v106 offset0:12 offset1:13
	s_waitcnt lgkmcnt(0)
	v_mul_f64 v[109:110], v[83:84], v[115:116]
	v_fma_f64 v[109:110], v[81:82], v[125:126], -v[109:110]
	v_mul_f64 v[81:82], v[81:82], v[115:116]
	v_add_f64 v[97:98], v[97:98], -v[109:110]
	v_fma_f64 v[81:82], v[83:84], v[125:126], v[81:82]
	v_add_f64 v[99:100], v[99:100], -v[81:82]
	ds_read2_b64 v[81:84], v106 offset0:14 offset1:15
	;; [unrolled: 8-line block ×25, first 2 shown]
	s_waitcnt lgkmcnt(0)
	v_mul_f64 v[109:110], v[83:84], v[115:116]
	v_fma_f64 v[109:110], v[81:82], v[125:126], -v[109:110]
	v_mul_f64 v[81:82], v[81:82], v[115:116]
	buffer_store_dword v113, off, s[24:27], 0 offset:16 ; 4-byte Folded Spill
	s_nop 0
	buffer_store_dword v114, off, s[24:27], 0 offset:20 ; 4-byte Folded Spill
	buffer_store_dword v115, off, s[24:27], 0 offset:24 ; 4-byte Folded Spill
	;; [unrolled: 1-line block ×3, first 2 shown]
	v_add_f64 v[121:122], v[121:122], -v[109:110]
	v_fma_f64 v[81:82], v[83:84], v[125:126], v[81:82]
	v_add_f64 v[123:124], v[123:124], -v[81:82]
.LBB60_83:
	s_or_b64 exec, exec, s[0:1]
	s_waitcnt vmcnt(0)
	s_barrier
	buffer_load_dword v109, off, s[24:27], 0 ; 4-byte Folded Reload
	buffer_load_dword v110, off, s[24:27], 0 offset:4 ; 4-byte Folded Reload
	buffer_load_dword v111, off, s[24:27], 0 offset:8 ; 4-byte Folded Reload
	;; [unrolled: 1-line block ×3, first 2 shown]
	v_lshl_add_u32 v81, v108, 4, v106
	s_cmp_lt_i32 s3, 6
	s_waitcnt vmcnt(0)
	ds_write2_b64 v81, v[109:110], v[111:112] offset1:1
	s_waitcnt lgkmcnt(0)
	s_barrier
	ds_read2_b64 v[81:84], v106 offset0:8 offset1:9
	v_mov_b32_e32 v109, 4
	s_cbranch_scc1 .LBB60_86
; %bb.84:
	v_mov_b32_e32 v109, 4
	v_add_u32_e32 v110, 0x50, v106
	s_mov_b32 s0, 5
.LBB60_85:                              ; =>This Inner Loop Header: Depth=1
	s_waitcnt lgkmcnt(0)
	v_cmp_gt_f64_e32 vcc, 0, v[81:82]
	v_xor_b32_e32 v115, 0x80000000, v82
	ds_read2_b64 v[111:114], v110 offset1:1
	v_xor_b32_e32 v117, 0x80000000, v84
	v_add_u32_e32 v110, 16, v110
	s_waitcnt lgkmcnt(0)
	v_xor_b32_e32 v119, 0x80000000, v114
	v_cndmask_b32_e32 v116, v82, v115, vcc
	v_cmp_gt_f64_e32 vcc, 0, v[83:84]
	v_mov_b32_e32 v115, v81
	v_cndmask_b32_e32 v118, v84, v117, vcc
	v_cmp_gt_f64_e32 vcc, 0, v[111:112]
	v_mov_b32_e32 v117, v83
	v_add_f64 v[115:116], v[115:116], v[117:118]
	v_xor_b32_e32 v117, 0x80000000, v112
	v_cndmask_b32_e32 v118, v112, v117, vcc
	v_cmp_gt_f64_e32 vcc, 0, v[113:114]
	v_mov_b32_e32 v117, v111
	v_cndmask_b32_e32 v120, v114, v119, vcc
	v_mov_b32_e32 v119, v113
	v_add_f64 v[117:118], v[117:118], v[119:120]
	v_cmp_lt_f64_e32 vcc, v[115:116], v[117:118]
	v_cndmask_b32_e32 v81, v81, v111, vcc
	v_mov_b32_e32 v111, s0
	s_add_i32 s0, s0, 1
	v_cndmask_b32_e32 v82, v82, v112, vcc
	v_cndmask_b32_e32 v84, v84, v114, vcc
	;; [unrolled: 1-line block ×4, first 2 shown]
	s_cmp_lg_u32 s3, s0
	s_cbranch_scc1 .LBB60_85
.LBB60_86:
	s_waitcnt lgkmcnt(0)
	v_cmp_eq_f64_e32 vcc, 0, v[81:82]
	v_cmp_eq_f64_e64 s[0:1], 0, v[83:84]
	s_and_b64 s[0:1], vcc, s[0:1]
	s_and_saveexec_b64 s[18:19], s[0:1]
	s_xor_b64 s[0:1], exec, s[18:19]
; %bb.87:
	v_cmp_ne_u32_e32 vcc, 0, v107
	v_cndmask_b32_e32 v107, 5, v107, vcc
; %bb.88:
	s_andn2_saveexec_b64 s[0:1], s[0:1]
	s_cbranch_execz .LBB60_94
; %bb.89:
	v_cmp_ngt_f64_e64 s[18:19], |v[81:82]|, |v[83:84]|
	s_and_saveexec_b64 s[20:21], s[18:19]
	s_xor_b64 s[18:19], exec, s[20:21]
	s_cbranch_execz .LBB60_91
; %bb.90:
	v_div_scale_f64 v[110:111], s[20:21], v[83:84], v[83:84], v[81:82]
	v_rcp_f64_e32 v[112:113], v[110:111]
	v_fma_f64 v[114:115], -v[110:111], v[112:113], 1.0
	v_fma_f64 v[112:113], v[112:113], v[114:115], v[112:113]
	v_div_scale_f64 v[114:115], vcc, v[81:82], v[83:84], v[81:82]
	v_fma_f64 v[116:117], -v[110:111], v[112:113], 1.0
	v_fma_f64 v[112:113], v[112:113], v[116:117], v[112:113]
	v_mul_f64 v[116:117], v[114:115], v[112:113]
	v_fma_f64 v[110:111], -v[110:111], v[116:117], v[114:115]
	v_div_fmas_f64 v[110:111], v[110:111], v[112:113], v[116:117]
	v_div_fixup_f64 v[110:111], v[110:111], v[83:84], v[81:82]
	v_fma_f64 v[81:82], v[81:82], v[110:111], v[83:84]
	v_div_scale_f64 v[83:84], s[20:21], v[81:82], v[81:82], 1.0
	v_div_scale_f64 v[116:117], vcc, 1.0, v[81:82], 1.0
	v_rcp_f64_e32 v[112:113], v[83:84]
	v_fma_f64 v[114:115], -v[83:84], v[112:113], 1.0
	v_fma_f64 v[112:113], v[112:113], v[114:115], v[112:113]
	v_fma_f64 v[114:115], -v[83:84], v[112:113], 1.0
	v_fma_f64 v[112:113], v[112:113], v[114:115], v[112:113]
	v_mul_f64 v[114:115], v[116:117], v[112:113]
	v_fma_f64 v[83:84], -v[83:84], v[114:115], v[116:117]
	v_div_fmas_f64 v[83:84], v[83:84], v[112:113], v[114:115]
	v_div_fixup_f64 v[83:84], v[83:84], v[81:82], 1.0
	v_mul_f64 v[81:82], v[110:111], v[83:84]
	v_xor_b32_e32 v84, 0x80000000, v84
.LBB60_91:
	s_andn2_saveexec_b64 s[18:19], s[18:19]
	s_cbranch_execz .LBB60_93
; %bb.92:
	v_div_scale_f64 v[110:111], s[20:21], v[81:82], v[81:82], v[83:84]
	v_rcp_f64_e32 v[112:113], v[110:111]
	v_fma_f64 v[114:115], -v[110:111], v[112:113], 1.0
	v_fma_f64 v[112:113], v[112:113], v[114:115], v[112:113]
	v_div_scale_f64 v[114:115], vcc, v[83:84], v[81:82], v[83:84]
	v_fma_f64 v[116:117], -v[110:111], v[112:113], 1.0
	v_fma_f64 v[112:113], v[112:113], v[116:117], v[112:113]
	v_mul_f64 v[116:117], v[114:115], v[112:113]
	v_fma_f64 v[110:111], -v[110:111], v[116:117], v[114:115]
	v_div_fmas_f64 v[110:111], v[110:111], v[112:113], v[116:117]
	v_div_fixup_f64 v[110:111], v[110:111], v[81:82], v[83:84]
	v_fma_f64 v[81:82], v[83:84], v[110:111], v[81:82]
	v_div_scale_f64 v[83:84], s[20:21], v[81:82], v[81:82], 1.0
	v_div_scale_f64 v[116:117], vcc, 1.0, v[81:82], 1.0
	v_rcp_f64_e32 v[112:113], v[83:84]
	v_fma_f64 v[114:115], -v[83:84], v[112:113], 1.0
	v_fma_f64 v[112:113], v[112:113], v[114:115], v[112:113]
	v_fma_f64 v[114:115], -v[83:84], v[112:113], 1.0
	v_fma_f64 v[112:113], v[112:113], v[114:115], v[112:113]
	v_mul_f64 v[114:115], v[116:117], v[112:113]
	v_fma_f64 v[83:84], -v[83:84], v[114:115], v[116:117]
	v_div_fmas_f64 v[83:84], v[83:84], v[112:113], v[114:115]
	v_div_fixup_f64 v[81:82], v[83:84], v[81:82], 1.0
	v_mul_f64 v[83:84], v[110:111], -v[81:82]
.LBB60_93:
	s_or_b64 exec, exec, s[18:19]
.LBB60_94:
	s_or_b64 exec, exec, s[0:1]
	v_cmp_ne_u32_e32 vcc, v108, v109
	s_and_saveexec_b64 s[0:1], vcc
	s_xor_b64 s[0:1], exec, s[0:1]
	s_cbranch_execz .LBB60_100
; %bb.95:
	v_cmp_eq_u32_e32 vcc, 4, v108
	s_and_saveexec_b64 s[18:19], vcc
	s_cbranch_execz .LBB60_99
; %bb.96:
	v_cmp_ne_u32_e32 vcc, 4, v109
	s_xor_b64 s[20:21], s[6:7], -1
	s_and_b64 s[22:23], s[20:21], vcc
	s_and_saveexec_b64 s[20:21], s[22:23]
	s_cbranch_execz .LBB60_98
; %bb.97:
	buffer_load_dword v112, off, s[24:27], 0 offset:64 ; 4-byte Folded Reload
	buffer_load_dword v113, off, s[24:27], 0 offset:68 ; 4-byte Folded Reload
	v_ashrrev_i32_e32 v110, 31, v109
	v_lshlrev_b64 v[110:111], 2, v[109:110]
	s_waitcnt vmcnt(1)
	v_add_co_u32_e32 v110, vcc, v112, v110
	s_waitcnt vmcnt(0)
	v_addc_co_u32_e32 v111, vcc, v113, v111, vcc
	global_load_dword v0, v[110:111], off
	global_load_dword v108, v[112:113], off offset:16
	s_waitcnt vmcnt(1)
	global_store_dword v[112:113], v0, off offset:16
	s_waitcnt vmcnt(1)
	global_store_dword v[110:111], v108, off
.LBB60_98:
	s_or_b64 exec, exec, s[20:21]
	v_mov_b32_e32 v108, v109
	v_mov_b32_e32 v0, v109
.LBB60_99:
	s_or_b64 exec, exec, s[18:19]
.LBB60_100:
	s_andn2_saveexec_b64 s[0:1], s[0:1]
	s_cbranch_execz .LBB60_102
; %bb.101:
	v_mov_b32_e32 v108, 4
	ds_write2_b64 v106, v[101:102], v[103:104] offset0:10 offset1:11
	ds_write2_b64 v106, v[97:98], v[99:100] offset0:12 offset1:13
	;; [unrolled: 1-line block ×26, first 2 shown]
.LBB60_102:
	s_or_b64 exec, exec, s[0:1]
	v_cmp_lt_i32_e32 vcc, 4, v108
	s_waitcnt vmcnt(0) lgkmcnt(0)
	s_barrier
	s_and_saveexec_b64 s[0:1], vcc
	s_cbranch_execz .LBB60_104
; %bb.103:
	buffer_load_dword v111, off, s[24:27], 0 ; 4-byte Folded Reload
	buffer_load_dword v112, off, s[24:27], 0 offset:4 ; 4-byte Folded Reload
	buffer_load_dword v113, off, s[24:27], 0 offset:8 ; 4-byte Folded Reload
	;; [unrolled: 1-line block ×3, first 2 shown]
	s_waitcnt vmcnt(0)
	v_mul_f64 v[109:110], v[83:84], v[113:114]
	v_fma_f64 v[125:126], v[81:82], v[111:112], -v[109:110]
	v_mul_f64 v[81:82], v[81:82], v[113:114]
	v_fma_f64 v[113:114], v[83:84], v[111:112], v[81:82]
	ds_read2_b64 v[81:84], v106 offset0:10 offset1:11
	v_mov_b32_e32 v111, v125
	v_mov_b32_e32 v112, v126
	s_waitcnt lgkmcnt(0)
	v_mul_f64 v[109:110], v[83:84], v[113:114]
	v_fma_f64 v[109:110], v[81:82], v[125:126], -v[109:110]
	v_mul_f64 v[81:82], v[81:82], v[113:114]
	v_add_f64 v[101:102], v[101:102], -v[109:110]
	v_fma_f64 v[81:82], v[83:84], v[125:126], v[81:82]
	v_add_f64 v[103:104], v[103:104], -v[81:82]
	ds_read2_b64 v[81:84], v106 offset0:12 offset1:13
	s_waitcnt lgkmcnt(0)
	v_mul_f64 v[109:110], v[83:84], v[113:114]
	v_fma_f64 v[109:110], v[81:82], v[125:126], -v[109:110]
	v_mul_f64 v[81:82], v[81:82], v[113:114]
	v_add_f64 v[97:98], v[97:98], -v[109:110]
	v_fma_f64 v[81:82], v[83:84], v[125:126], v[81:82]
	v_add_f64 v[99:100], v[99:100], -v[81:82]
	ds_read2_b64 v[81:84], v106 offset0:14 offset1:15
	;; [unrolled: 8-line block ×25, first 2 shown]
	s_waitcnt lgkmcnt(0)
	v_mul_f64 v[109:110], v[83:84], v[113:114]
	v_fma_f64 v[109:110], v[81:82], v[125:126], -v[109:110]
	v_mul_f64 v[81:82], v[81:82], v[113:114]
	buffer_store_dword v111, off, s[24:27], 0 ; 4-byte Folded Spill
	s_nop 0
	buffer_store_dword v112, off, s[24:27], 0 offset:4 ; 4-byte Folded Spill
	buffer_store_dword v113, off, s[24:27], 0 offset:8 ; 4-byte Folded Spill
	;; [unrolled: 1-line block ×3, first 2 shown]
	v_add_f64 v[121:122], v[121:122], -v[109:110]
	v_fma_f64 v[81:82], v[83:84], v[125:126], v[81:82]
	v_add_f64 v[123:124], v[123:124], -v[81:82]
.LBB60_104:
	s_or_b64 exec, exec, s[0:1]
	v_lshl_add_u32 v81, v108, 4, v106
	s_waitcnt vmcnt(0)
	s_barrier
	ds_write2_b64 v81, v[101:102], v[103:104] offset1:1
	s_waitcnt lgkmcnt(0)
	s_barrier
	ds_read2_b64 v[81:84], v106 offset0:10 offset1:11
	s_cmp_lt_i32 s3, 7
	v_mov_b32_e32 v109, 5
	s_cbranch_scc1 .LBB60_107
; %bb.105:
	v_add_u32_e32 v110, 0x60, v106
	s_mov_b32 s0, 6
	v_mov_b32_e32 v109, 5
.LBB60_106:                             ; =>This Inner Loop Header: Depth=1
	s_waitcnt lgkmcnt(0)
	v_cmp_gt_f64_e32 vcc, 0, v[81:82]
	v_xor_b32_e32 v115, 0x80000000, v82
	ds_read2_b64 v[111:114], v110 offset1:1
	v_xor_b32_e32 v117, 0x80000000, v84
	v_add_u32_e32 v110, 16, v110
	s_waitcnt lgkmcnt(0)
	v_xor_b32_e32 v119, 0x80000000, v114
	v_cndmask_b32_e32 v116, v82, v115, vcc
	v_cmp_gt_f64_e32 vcc, 0, v[83:84]
	v_mov_b32_e32 v115, v81
	v_cndmask_b32_e32 v118, v84, v117, vcc
	v_cmp_gt_f64_e32 vcc, 0, v[111:112]
	v_mov_b32_e32 v117, v83
	v_add_f64 v[115:116], v[115:116], v[117:118]
	v_xor_b32_e32 v117, 0x80000000, v112
	v_cndmask_b32_e32 v118, v112, v117, vcc
	v_cmp_gt_f64_e32 vcc, 0, v[113:114]
	v_mov_b32_e32 v117, v111
	v_cndmask_b32_e32 v120, v114, v119, vcc
	v_mov_b32_e32 v119, v113
	v_add_f64 v[117:118], v[117:118], v[119:120]
	v_cmp_lt_f64_e32 vcc, v[115:116], v[117:118]
	v_cndmask_b32_e32 v81, v81, v111, vcc
	v_mov_b32_e32 v111, s0
	s_add_i32 s0, s0, 1
	v_cndmask_b32_e32 v82, v82, v112, vcc
	v_cndmask_b32_e32 v84, v84, v114, vcc
	;; [unrolled: 1-line block ×4, first 2 shown]
	s_cmp_lg_u32 s3, s0
	s_cbranch_scc1 .LBB60_106
.LBB60_107:
	s_waitcnt lgkmcnt(0)
	v_cmp_eq_f64_e32 vcc, 0, v[81:82]
	v_cmp_eq_f64_e64 s[0:1], 0, v[83:84]
	s_and_b64 s[0:1], vcc, s[0:1]
	s_and_saveexec_b64 s[18:19], s[0:1]
	s_xor_b64 s[0:1], exec, s[18:19]
; %bb.108:
	v_cmp_ne_u32_e32 vcc, 0, v107
	v_cndmask_b32_e32 v107, 6, v107, vcc
; %bb.109:
	s_andn2_saveexec_b64 s[0:1], s[0:1]
	s_cbranch_execz .LBB60_115
; %bb.110:
	v_cmp_ngt_f64_e64 s[18:19], |v[81:82]|, |v[83:84]|
	s_and_saveexec_b64 s[20:21], s[18:19]
	s_xor_b64 s[18:19], exec, s[20:21]
	s_cbranch_execz .LBB60_112
; %bb.111:
	v_div_scale_f64 v[110:111], s[20:21], v[83:84], v[83:84], v[81:82]
	v_rcp_f64_e32 v[112:113], v[110:111]
	v_fma_f64 v[114:115], -v[110:111], v[112:113], 1.0
	v_fma_f64 v[112:113], v[112:113], v[114:115], v[112:113]
	v_div_scale_f64 v[114:115], vcc, v[81:82], v[83:84], v[81:82]
	v_fma_f64 v[116:117], -v[110:111], v[112:113], 1.0
	v_fma_f64 v[112:113], v[112:113], v[116:117], v[112:113]
	v_mul_f64 v[116:117], v[114:115], v[112:113]
	v_fma_f64 v[110:111], -v[110:111], v[116:117], v[114:115]
	v_div_fmas_f64 v[110:111], v[110:111], v[112:113], v[116:117]
	v_div_fixup_f64 v[110:111], v[110:111], v[83:84], v[81:82]
	v_fma_f64 v[81:82], v[81:82], v[110:111], v[83:84]
	v_div_scale_f64 v[83:84], s[20:21], v[81:82], v[81:82], 1.0
	v_div_scale_f64 v[116:117], vcc, 1.0, v[81:82], 1.0
	v_rcp_f64_e32 v[112:113], v[83:84]
	v_fma_f64 v[114:115], -v[83:84], v[112:113], 1.0
	v_fma_f64 v[112:113], v[112:113], v[114:115], v[112:113]
	v_fma_f64 v[114:115], -v[83:84], v[112:113], 1.0
	v_fma_f64 v[112:113], v[112:113], v[114:115], v[112:113]
	v_mul_f64 v[114:115], v[116:117], v[112:113]
	v_fma_f64 v[83:84], -v[83:84], v[114:115], v[116:117]
	v_div_fmas_f64 v[83:84], v[83:84], v[112:113], v[114:115]
	v_div_fixup_f64 v[83:84], v[83:84], v[81:82], 1.0
	v_mul_f64 v[81:82], v[110:111], v[83:84]
	v_xor_b32_e32 v84, 0x80000000, v84
.LBB60_112:
	s_andn2_saveexec_b64 s[18:19], s[18:19]
	s_cbranch_execz .LBB60_114
; %bb.113:
	v_div_scale_f64 v[110:111], s[20:21], v[81:82], v[81:82], v[83:84]
	v_rcp_f64_e32 v[112:113], v[110:111]
	v_fma_f64 v[114:115], -v[110:111], v[112:113], 1.0
	v_fma_f64 v[112:113], v[112:113], v[114:115], v[112:113]
	v_div_scale_f64 v[114:115], vcc, v[83:84], v[81:82], v[83:84]
	v_fma_f64 v[116:117], -v[110:111], v[112:113], 1.0
	v_fma_f64 v[112:113], v[112:113], v[116:117], v[112:113]
	v_mul_f64 v[116:117], v[114:115], v[112:113]
	v_fma_f64 v[110:111], -v[110:111], v[116:117], v[114:115]
	v_div_fmas_f64 v[110:111], v[110:111], v[112:113], v[116:117]
	v_div_fixup_f64 v[110:111], v[110:111], v[81:82], v[83:84]
	v_fma_f64 v[81:82], v[83:84], v[110:111], v[81:82]
	v_div_scale_f64 v[83:84], s[20:21], v[81:82], v[81:82], 1.0
	v_div_scale_f64 v[116:117], vcc, 1.0, v[81:82], 1.0
	v_rcp_f64_e32 v[112:113], v[83:84]
	v_fma_f64 v[114:115], -v[83:84], v[112:113], 1.0
	v_fma_f64 v[112:113], v[112:113], v[114:115], v[112:113]
	v_fma_f64 v[114:115], -v[83:84], v[112:113], 1.0
	v_fma_f64 v[112:113], v[112:113], v[114:115], v[112:113]
	v_mul_f64 v[114:115], v[116:117], v[112:113]
	v_fma_f64 v[83:84], -v[83:84], v[114:115], v[116:117]
	v_div_fmas_f64 v[83:84], v[83:84], v[112:113], v[114:115]
	v_div_fixup_f64 v[81:82], v[83:84], v[81:82], 1.0
	v_mul_f64 v[83:84], v[110:111], -v[81:82]
.LBB60_114:
	s_or_b64 exec, exec, s[18:19]
.LBB60_115:
	s_or_b64 exec, exec, s[0:1]
	v_cmp_ne_u32_e32 vcc, v108, v109
	s_and_saveexec_b64 s[0:1], vcc
	s_xor_b64 s[0:1], exec, s[0:1]
	s_cbranch_execz .LBB60_121
; %bb.116:
	v_cmp_eq_u32_e32 vcc, 5, v108
	s_and_saveexec_b64 s[18:19], vcc
	s_cbranch_execz .LBB60_120
; %bb.117:
	v_cmp_ne_u32_e32 vcc, 5, v109
	s_xor_b64 s[20:21], s[6:7], -1
	s_and_b64 s[22:23], s[20:21], vcc
	s_and_saveexec_b64 s[20:21], s[22:23]
	s_cbranch_execz .LBB60_119
; %bb.118:
	buffer_load_dword v112, off, s[24:27], 0 offset:64 ; 4-byte Folded Reload
	buffer_load_dword v113, off, s[24:27], 0 offset:68 ; 4-byte Folded Reload
	v_ashrrev_i32_e32 v110, 31, v109
	v_lshlrev_b64 v[110:111], 2, v[109:110]
	s_waitcnt vmcnt(1)
	v_add_co_u32_e32 v110, vcc, v112, v110
	s_waitcnt vmcnt(0)
	v_addc_co_u32_e32 v111, vcc, v113, v111, vcc
	global_load_dword v0, v[110:111], off
	global_load_dword v108, v[112:113], off offset:20
	s_waitcnt vmcnt(1)
	global_store_dword v[112:113], v0, off offset:20
	s_waitcnt vmcnt(1)
	global_store_dword v[110:111], v108, off
.LBB60_119:
	s_or_b64 exec, exec, s[20:21]
	v_mov_b32_e32 v108, v109
	v_mov_b32_e32 v0, v109
.LBB60_120:
	s_or_b64 exec, exec, s[18:19]
.LBB60_121:
	s_andn2_saveexec_b64 s[0:1], s[0:1]
	s_cbranch_execz .LBB60_123
; %bb.122:
	v_mov_b32_e32 v108, 5
	ds_write2_b64 v106, v[97:98], v[99:100] offset0:12 offset1:13
	ds_write2_b64 v106, v[93:94], v[95:96] offset0:14 offset1:15
	;; [unrolled: 1-line block ×25, first 2 shown]
.LBB60_123:
	s_or_b64 exec, exec, s[0:1]
	v_cmp_lt_i32_e32 vcc, 5, v108
	s_waitcnt vmcnt(0) lgkmcnt(0)
	s_barrier
	s_and_saveexec_b64 s[0:1], vcc
	s_cbranch_execz .LBB60_125
; %bb.124:
	v_mul_f64 v[109:110], v[83:84], v[103:104]
	v_fma_f64 v[125:126], v[81:82], v[101:102], -v[109:110]
	v_mul_f64 v[81:82], v[81:82], v[103:104]
	v_fma_f64 v[103:104], v[83:84], v[101:102], v[81:82]
	ds_read2_b64 v[81:84], v106 offset0:12 offset1:13
	s_waitcnt lgkmcnt(0)
	v_mul_f64 v[101:102], v[83:84], v[103:104]
	v_fma_f64 v[101:102], v[81:82], v[125:126], -v[101:102]
	v_mul_f64 v[81:82], v[81:82], v[103:104]
	v_add_f64 v[97:98], v[97:98], -v[101:102]
	v_fma_f64 v[81:82], v[83:84], v[125:126], v[81:82]
	v_add_f64 v[99:100], v[99:100], -v[81:82]
	ds_read2_b64 v[81:84], v106 offset0:14 offset1:15
	s_waitcnt lgkmcnt(0)
	v_mul_f64 v[101:102], v[83:84], v[103:104]
	v_fma_f64 v[101:102], v[81:82], v[125:126], -v[101:102]
	v_mul_f64 v[81:82], v[81:82], v[103:104]
	v_add_f64 v[93:94], v[93:94], -v[101:102]
	v_fma_f64 v[81:82], v[83:84], v[125:126], v[81:82]
	v_add_f64 v[95:96], v[95:96], -v[81:82]
	ds_read2_b64 v[81:84], v106 offset0:16 offset1:17
	s_waitcnt lgkmcnt(0)
	v_mul_f64 v[101:102], v[83:84], v[103:104]
	v_fma_f64 v[101:102], v[81:82], v[125:126], -v[101:102]
	v_mul_f64 v[81:82], v[81:82], v[103:104]
	v_add_f64 v[89:90], v[89:90], -v[101:102]
	v_fma_f64 v[81:82], v[83:84], v[125:126], v[81:82]
	v_add_f64 v[91:92], v[91:92], -v[81:82]
	ds_read2_b64 v[81:84], v106 offset0:18 offset1:19
	s_waitcnt lgkmcnt(0)
	v_mul_f64 v[101:102], v[83:84], v[103:104]
	v_fma_f64 v[101:102], v[81:82], v[125:126], -v[101:102]
	v_mul_f64 v[81:82], v[81:82], v[103:104]
	v_add_f64 v[85:86], v[85:86], -v[101:102]
	v_fma_f64 v[81:82], v[83:84], v[125:126], v[81:82]
	v_add_f64 v[87:88], v[87:88], -v[81:82]
	ds_read2_b64 v[81:84], v106 offset0:20 offset1:21
	s_waitcnt lgkmcnt(0)
	v_mul_f64 v[101:102], v[83:84], v[103:104]
	v_fma_f64 v[101:102], v[81:82], v[125:126], -v[101:102]
	v_mul_f64 v[81:82], v[81:82], v[103:104]
	v_add_f64 v[77:78], v[77:78], -v[101:102]
	v_fma_f64 v[81:82], v[83:84], v[125:126], v[81:82]
	v_add_f64 v[79:80], v[79:80], -v[81:82]
	ds_read2_b64 v[81:84], v106 offset0:22 offset1:23
	s_waitcnt lgkmcnt(0)
	v_mul_f64 v[101:102], v[83:84], v[103:104]
	v_fma_f64 v[101:102], v[81:82], v[125:126], -v[101:102]
	v_mul_f64 v[81:82], v[81:82], v[103:104]
	v_add_f64 v[73:74], v[73:74], -v[101:102]
	v_fma_f64 v[81:82], v[83:84], v[125:126], v[81:82]
	v_add_f64 v[75:76], v[75:76], -v[81:82]
	ds_read2_b64 v[81:84], v106 offset0:24 offset1:25
	s_waitcnt lgkmcnt(0)
	v_mul_f64 v[101:102], v[83:84], v[103:104]
	v_fma_f64 v[101:102], v[81:82], v[125:126], -v[101:102]
	v_mul_f64 v[81:82], v[81:82], v[103:104]
	v_add_f64 v[69:70], v[69:70], -v[101:102]
	v_fma_f64 v[81:82], v[83:84], v[125:126], v[81:82]
	v_add_f64 v[71:72], v[71:72], -v[81:82]
	ds_read2_b64 v[81:84], v106 offset0:26 offset1:27
	s_waitcnt lgkmcnt(0)
	v_mul_f64 v[101:102], v[83:84], v[103:104]
	v_fma_f64 v[101:102], v[81:82], v[125:126], -v[101:102]
	v_mul_f64 v[81:82], v[81:82], v[103:104]
	v_add_f64 v[65:66], v[65:66], -v[101:102]
	v_fma_f64 v[81:82], v[83:84], v[125:126], v[81:82]
	v_add_f64 v[67:68], v[67:68], -v[81:82]
	ds_read2_b64 v[81:84], v106 offset0:28 offset1:29
	s_waitcnt lgkmcnt(0)
	v_mul_f64 v[101:102], v[83:84], v[103:104]
	v_fma_f64 v[101:102], v[81:82], v[125:126], -v[101:102]
	v_mul_f64 v[81:82], v[81:82], v[103:104]
	v_add_f64 v[61:62], v[61:62], -v[101:102]
	v_fma_f64 v[81:82], v[83:84], v[125:126], v[81:82]
	v_add_f64 v[63:64], v[63:64], -v[81:82]
	ds_read2_b64 v[81:84], v106 offset0:30 offset1:31
	s_waitcnt lgkmcnt(0)
	v_mul_f64 v[101:102], v[83:84], v[103:104]
	v_fma_f64 v[101:102], v[81:82], v[125:126], -v[101:102]
	v_mul_f64 v[81:82], v[81:82], v[103:104]
	v_add_f64 v[57:58], v[57:58], -v[101:102]
	v_fma_f64 v[81:82], v[83:84], v[125:126], v[81:82]
	v_add_f64 v[59:60], v[59:60], -v[81:82]
	ds_read2_b64 v[81:84], v106 offset0:32 offset1:33
	s_waitcnt lgkmcnt(0)
	v_mul_f64 v[101:102], v[83:84], v[103:104]
	v_fma_f64 v[101:102], v[81:82], v[125:126], -v[101:102]
	v_mul_f64 v[81:82], v[81:82], v[103:104]
	v_add_f64 v[53:54], v[53:54], -v[101:102]
	v_fma_f64 v[81:82], v[83:84], v[125:126], v[81:82]
	v_add_f64 v[55:56], v[55:56], -v[81:82]
	ds_read2_b64 v[81:84], v106 offset0:34 offset1:35
	s_waitcnt lgkmcnt(0)
	v_mul_f64 v[101:102], v[83:84], v[103:104]
	v_fma_f64 v[101:102], v[81:82], v[125:126], -v[101:102]
	v_mul_f64 v[81:82], v[81:82], v[103:104]
	v_add_f64 v[49:50], v[49:50], -v[101:102]
	v_fma_f64 v[81:82], v[83:84], v[125:126], v[81:82]
	v_add_f64 v[51:52], v[51:52], -v[81:82]
	ds_read2_b64 v[81:84], v106 offset0:36 offset1:37
	s_waitcnt lgkmcnt(0)
	v_mul_f64 v[101:102], v[83:84], v[103:104]
	v_fma_f64 v[101:102], v[81:82], v[125:126], -v[101:102]
	v_mul_f64 v[81:82], v[81:82], v[103:104]
	v_add_f64 v[45:46], v[45:46], -v[101:102]
	v_fma_f64 v[81:82], v[83:84], v[125:126], v[81:82]
	v_add_f64 v[47:48], v[47:48], -v[81:82]
	ds_read2_b64 v[81:84], v106 offset0:38 offset1:39
	s_waitcnt lgkmcnt(0)
	v_mul_f64 v[101:102], v[83:84], v[103:104]
	v_fma_f64 v[101:102], v[81:82], v[125:126], -v[101:102]
	v_mul_f64 v[81:82], v[81:82], v[103:104]
	v_add_f64 v[41:42], v[41:42], -v[101:102]
	v_fma_f64 v[81:82], v[83:84], v[125:126], v[81:82]
	v_add_f64 v[43:44], v[43:44], -v[81:82]
	ds_read2_b64 v[81:84], v106 offset0:40 offset1:41
	s_waitcnt lgkmcnt(0)
	v_mul_f64 v[101:102], v[83:84], v[103:104]
	v_fma_f64 v[101:102], v[81:82], v[125:126], -v[101:102]
	v_mul_f64 v[81:82], v[81:82], v[103:104]
	v_add_f64 v[37:38], v[37:38], -v[101:102]
	v_fma_f64 v[81:82], v[83:84], v[125:126], v[81:82]
	v_add_f64 v[39:40], v[39:40], -v[81:82]
	ds_read2_b64 v[81:84], v106 offset0:42 offset1:43
	s_waitcnt lgkmcnt(0)
	v_mul_f64 v[101:102], v[83:84], v[103:104]
	v_fma_f64 v[101:102], v[81:82], v[125:126], -v[101:102]
	v_mul_f64 v[81:82], v[81:82], v[103:104]
	v_add_f64 v[33:34], v[33:34], -v[101:102]
	v_fma_f64 v[81:82], v[83:84], v[125:126], v[81:82]
	v_add_f64 v[35:36], v[35:36], -v[81:82]
	ds_read2_b64 v[81:84], v106 offset0:44 offset1:45
	s_waitcnt lgkmcnt(0)
	v_mul_f64 v[101:102], v[83:84], v[103:104]
	v_fma_f64 v[101:102], v[81:82], v[125:126], -v[101:102]
	v_mul_f64 v[81:82], v[81:82], v[103:104]
	v_add_f64 v[29:30], v[29:30], -v[101:102]
	v_fma_f64 v[81:82], v[83:84], v[125:126], v[81:82]
	v_add_f64 v[31:32], v[31:32], -v[81:82]
	ds_read2_b64 v[81:84], v106 offset0:46 offset1:47
	s_waitcnt lgkmcnt(0)
	v_mul_f64 v[101:102], v[83:84], v[103:104]
	v_fma_f64 v[101:102], v[81:82], v[125:126], -v[101:102]
	v_mul_f64 v[81:82], v[81:82], v[103:104]
	v_add_f64 v[25:26], v[25:26], -v[101:102]
	v_fma_f64 v[81:82], v[83:84], v[125:126], v[81:82]
	v_add_f64 v[27:28], v[27:28], -v[81:82]
	ds_read2_b64 v[81:84], v106 offset0:48 offset1:49
	s_waitcnt lgkmcnt(0)
	v_mul_f64 v[101:102], v[83:84], v[103:104]
	v_fma_f64 v[101:102], v[81:82], v[125:126], -v[101:102]
	v_mul_f64 v[81:82], v[81:82], v[103:104]
	v_add_f64 v[21:22], v[21:22], -v[101:102]
	v_fma_f64 v[81:82], v[83:84], v[125:126], v[81:82]
	v_add_f64 v[23:24], v[23:24], -v[81:82]
	ds_read2_b64 v[81:84], v106 offset0:50 offset1:51
	s_waitcnt lgkmcnt(0)
	v_mul_f64 v[101:102], v[83:84], v[103:104]
	v_fma_f64 v[101:102], v[81:82], v[125:126], -v[101:102]
	v_mul_f64 v[81:82], v[81:82], v[103:104]
	v_add_f64 v[17:18], v[17:18], -v[101:102]
	v_fma_f64 v[81:82], v[83:84], v[125:126], v[81:82]
	v_add_f64 v[19:20], v[19:20], -v[81:82]
	ds_read2_b64 v[81:84], v106 offset0:52 offset1:53
	s_waitcnt lgkmcnt(0)
	v_mul_f64 v[101:102], v[83:84], v[103:104]
	v_fma_f64 v[101:102], v[81:82], v[125:126], -v[101:102]
	v_mul_f64 v[81:82], v[81:82], v[103:104]
	v_add_f64 v[13:14], v[13:14], -v[101:102]
	v_fma_f64 v[81:82], v[83:84], v[125:126], v[81:82]
	v_add_f64 v[15:16], v[15:16], -v[81:82]
	ds_read2_b64 v[81:84], v106 offset0:54 offset1:55
	s_waitcnt lgkmcnt(0)
	v_mul_f64 v[101:102], v[83:84], v[103:104]
	v_fma_f64 v[101:102], v[81:82], v[125:126], -v[101:102]
	v_mul_f64 v[81:82], v[81:82], v[103:104]
	v_add_f64 v[9:10], v[9:10], -v[101:102]
	v_fma_f64 v[81:82], v[83:84], v[125:126], v[81:82]
	v_add_f64 v[11:12], v[11:12], -v[81:82]
	ds_read2_b64 v[81:84], v106 offset0:56 offset1:57
	s_waitcnt lgkmcnt(0)
	v_mul_f64 v[101:102], v[83:84], v[103:104]
	v_fma_f64 v[101:102], v[81:82], v[125:126], -v[101:102]
	v_mul_f64 v[81:82], v[81:82], v[103:104]
	v_add_f64 v[5:6], v[5:6], -v[101:102]
	v_fma_f64 v[81:82], v[83:84], v[125:126], v[81:82]
	v_add_f64 v[7:8], v[7:8], -v[81:82]
	ds_read2_b64 v[81:84], v106 offset0:58 offset1:59
	s_waitcnt lgkmcnt(0)
	v_mul_f64 v[101:102], v[83:84], v[103:104]
	v_fma_f64 v[101:102], v[81:82], v[125:126], -v[101:102]
	v_mul_f64 v[81:82], v[81:82], v[103:104]
	v_add_f64 v[1:2], v[1:2], -v[101:102]
	v_fma_f64 v[81:82], v[83:84], v[125:126], v[81:82]
	v_add_f64 v[3:4], v[3:4], -v[81:82]
	ds_read2_b64 v[81:84], v106 offset0:60 offset1:61
	s_waitcnt lgkmcnt(0)
	v_mul_f64 v[101:102], v[83:84], v[103:104]
	v_fma_f64 v[101:102], v[81:82], v[125:126], -v[101:102]
	v_mul_f64 v[81:82], v[81:82], v[103:104]
	v_add_f64 v[121:122], v[121:122], -v[101:102]
	v_fma_f64 v[81:82], v[83:84], v[125:126], v[81:82]
	v_mov_b32_e32 v101, v125
	v_mov_b32_e32 v102, v126
	v_add_f64 v[123:124], v[123:124], -v[81:82]
.LBB60_125:
	s_or_b64 exec, exec, s[0:1]
	v_lshl_add_u32 v81, v108, 4, v106
	s_barrier
	ds_write2_b64 v81, v[97:98], v[99:100] offset1:1
	s_waitcnt lgkmcnt(0)
	s_barrier
	ds_read2_b64 v[81:84], v106 offset0:12 offset1:13
	s_cmp_lt_i32 s3, 8
	v_mov_b32_e32 v109, 6
	s_cbranch_scc1 .LBB60_128
; %bb.126:
	v_add_u32_e32 v110, 0x70, v106
	s_mov_b32 s0, 7
	v_mov_b32_e32 v109, 6
.LBB60_127:                             ; =>This Inner Loop Header: Depth=1
	s_waitcnt lgkmcnt(0)
	v_cmp_gt_f64_e32 vcc, 0, v[81:82]
	v_xor_b32_e32 v115, 0x80000000, v82
	ds_read2_b64 v[111:114], v110 offset1:1
	v_xor_b32_e32 v117, 0x80000000, v84
	v_add_u32_e32 v110, 16, v110
	s_waitcnt lgkmcnt(0)
	v_xor_b32_e32 v119, 0x80000000, v114
	v_cndmask_b32_e32 v116, v82, v115, vcc
	v_cmp_gt_f64_e32 vcc, 0, v[83:84]
	v_mov_b32_e32 v115, v81
	v_cndmask_b32_e32 v118, v84, v117, vcc
	v_cmp_gt_f64_e32 vcc, 0, v[111:112]
	v_mov_b32_e32 v117, v83
	v_add_f64 v[115:116], v[115:116], v[117:118]
	v_xor_b32_e32 v117, 0x80000000, v112
	v_cndmask_b32_e32 v118, v112, v117, vcc
	v_cmp_gt_f64_e32 vcc, 0, v[113:114]
	v_mov_b32_e32 v117, v111
	v_cndmask_b32_e32 v120, v114, v119, vcc
	v_mov_b32_e32 v119, v113
	v_add_f64 v[117:118], v[117:118], v[119:120]
	v_cmp_lt_f64_e32 vcc, v[115:116], v[117:118]
	v_cndmask_b32_e32 v81, v81, v111, vcc
	v_mov_b32_e32 v111, s0
	s_add_i32 s0, s0, 1
	v_cndmask_b32_e32 v82, v82, v112, vcc
	v_cndmask_b32_e32 v84, v84, v114, vcc
	;; [unrolled: 1-line block ×4, first 2 shown]
	s_cmp_lg_u32 s3, s0
	s_cbranch_scc1 .LBB60_127
.LBB60_128:
	s_waitcnt lgkmcnt(0)
	v_cmp_eq_f64_e32 vcc, 0, v[81:82]
	v_cmp_eq_f64_e64 s[0:1], 0, v[83:84]
	s_and_b64 s[0:1], vcc, s[0:1]
	s_and_saveexec_b64 s[18:19], s[0:1]
	s_xor_b64 s[0:1], exec, s[18:19]
; %bb.129:
	v_cmp_ne_u32_e32 vcc, 0, v107
	v_cndmask_b32_e32 v107, 7, v107, vcc
; %bb.130:
	s_andn2_saveexec_b64 s[0:1], s[0:1]
	s_cbranch_execz .LBB60_136
; %bb.131:
	v_cmp_ngt_f64_e64 s[18:19], |v[81:82]|, |v[83:84]|
	s_and_saveexec_b64 s[20:21], s[18:19]
	s_xor_b64 s[18:19], exec, s[20:21]
	s_cbranch_execz .LBB60_133
; %bb.132:
	v_div_scale_f64 v[110:111], s[20:21], v[83:84], v[83:84], v[81:82]
	v_rcp_f64_e32 v[112:113], v[110:111]
	v_fma_f64 v[114:115], -v[110:111], v[112:113], 1.0
	v_fma_f64 v[112:113], v[112:113], v[114:115], v[112:113]
	v_div_scale_f64 v[114:115], vcc, v[81:82], v[83:84], v[81:82]
	v_fma_f64 v[116:117], -v[110:111], v[112:113], 1.0
	v_fma_f64 v[112:113], v[112:113], v[116:117], v[112:113]
	v_mul_f64 v[116:117], v[114:115], v[112:113]
	v_fma_f64 v[110:111], -v[110:111], v[116:117], v[114:115]
	v_div_fmas_f64 v[110:111], v[110:111], v[112:113], v[116:117]
	v_div_fixup_f64 v[110:111], v[110:111], v[83:84], v[81:82]
	v_fma_f64 v[81:82], v[81:82], v[110:111], v[83:84]
	v_div_scale_f64 v[83:84], s[20:21], v[81:82], v[81:82], 1.0
	v_div_scale_f64 v[116:117], vcc, 1.0, v[81:82], 1.0
	v_rcp_f64_e32 v[112:113], v[83:84]
	v_fma_f64 v[114:115], -v[83:84], v[112:113], 1.0
	v_fma_f64 v[112:113], v[112:113], v[114:115], v[112:113]
	v_fma_f64 v[114:115], -v[83:84], v[112:113], 1.0
	v_fma_f64 v[112:113], v[112:113], v[114:115], v[112:113]
	v_mul_f64 v[114:115], v[116:117], v[112:113]
	v_fma_f64 v[83:84], -v[83:84], v[114:115], v[116:117]
	v_div_fmas_f64 v[83:84], v[83:84], v[112:113], v[114:115]
	v_div_fixup_f64 v[83:84], v[83:84], v[81:82], 1.0
	v_mul_f64 v[81:82], v[110:111], v[83:84]
	v_xor_b32_e32 v84, 0x80000000, v84
.LBB60_133:
	s_andn2_saveexec_b64 s[18:19], s[18:19]
	s_cbranch_execz .LBB60_135
; %bb.134:
	v_div_scale_f64 v[110:111], s[20:21], v[81:82], v[81:82], v[83:84]
	v_rcp_f64_e32 v[112:113], v[110:111]
	v_fma_f64 v[114:115], -v[110:111], v[112:113], 1.0
	v_fma_f64 v[112:113], v[112:113], v[114:115], v[112:113]
	v_div_scale_f64 v[114:115], vcc, v[83:84], v[81:82], v[83:84]
	v_fma_f64 v[116:117], -v[110:111], v[112:113], 1.0
	v_fma_f64 v[112:113], v[112:113], v[116:117], v[112:113]
	v_mul_f64 v[116:117], v[114:115], v[112:113]
	v_fma_f64 v[110:111], -v[110:111], v[116:117], v[114:115]
	v_div_fmas_f64 v[110:111], v[110:111], v[112:113], v[116:117]
	v_div_fixup_f64 v[110:111], v[110:111], v[81:82], v[83:84]
	v_fma_f64 v[81:82], v[83:84], v[110:111], v[81:82]
	v_div_scale_f64 v[83:84], s[20:21], v[81:82], v[81:82], 1.0
	v_div_scale_f64 v[116:117], vcc, 1.0, v[81:82], 1.0
	v_rcp_f64_e32 v[112:113], v[83:84]
	v_fma_f64 v[114:115], -v[83:84], v[112:113], 1.0
	v_fma_f64 v[112:113], v[112:113], v[114:115], v[112:113]
	v_fma_f64 v[114:115], -v[83:84], v[112:113], 1.0
	v_fma_f64 v[112:113], v[112:113], v[114:115], v[112:113]
	v_mul_f64 v[114:115], v[116:117], v[112:113]
	v_fma_f64 v[83:84], -v[83:84], v[114:115], v[116:117]
	v_div_fmas_f64 v[83:84], v[83:84], v[112:113], v[114:115]
	v_div_fixup_f64 v[81:82], v[83:84], v[81:82], 1.0
	v_mul_f64 v[83:84], v[110:111], -v[81:82]
.LBB60_135:
	s_or_b64 exec, exec, s[18:19]
.LBB60_136:
	s_or_b64 exec, exec, s[0:1]
	v_cmp_ne_u32_e32 vcc, v108, v109
	s_and_saveexec_b64 s[0:1], vcc
	s_xor_b64 s[0:1], exec, s[0:1]
	s_cbranch_execz .LBB60_142
; %bb.137:
	v_cmp_eq_u32_e32 vcc, 6, v108
	s_and_saveexec_b64 s[18:19], vcc
	s_cbranch_execz .LBB60_141
; %bb.138:
	v_cmp_ne_u32_e32 vcc, 6, v109
	s_xor_b64 s[20:21], s[6:7], -1
	s_and_b64 s[22:23], s[20:21], vcc
	s_and_saveexec_b64 s[20:21], s[22:23]
	s_cbranch_execz .LBB60_140
; %bb.139:
	buffer_load_dword v112, off, s[24:27], 0 offset:64 ; 4-byte Folded Reload
	buffer_load_dword v113, off, s[24:27], 0 offset:68 ; 4-byte Folded Reload
	v_ashrrev_i32_e32 v110, 31, v109
	v_lshlrev_b64 v[110:111], 2, v[109:110]
	s_waitcnt vmcnt(1)
	v_add_co_u32_e32 v110, vcc, v112, v110
	s_waitcnt vmcnt(0)
	v_addc_co_u32_e32 v111, vcc, v113, v111, vcc
	global_load_dword v0, v[110:111], off
	global_load_dword v108, v[112:113], off offset:24
	s_waitcnt vmcnt(1)
	global_store_dword v[112:113], v0, off offset:24
	s_waitcnt vmcnt(1)
	global_store_dword v[110:111], v108, off
.LBB60_140:
	s_or_b64 exec, exec, s[20:21]
	v_mov_b32_e32 v108, v109
	v_mov_b32_e32 v0, v109
.LBB60_141:
	s_or_b64 exec, exec, s[18:19]
.LBB60_142:
	s_andn2_saveexec_b64 s[0:1], s[0:1]
	s_cbranch_execz .LBB60_144
; %bb.143:
	v_mov_b32_e32 v108, 6
	ds_write2_b64 v106, v[93:94], v[95:96] offset0:14 offset1:15
	ds_write2_b64 v106, v[89:90], v[91:92] offset0:16 offset1:17
	;; [unrolled: 1-line block ×24, first 2 shown]
.LBB60_144:
	s_or_b64 exec, exec, s[0:1]
	v_cmp_lt_i32_e32 vcc, 6, v108
	s_waitcnt vmcnt(0) lgkmcnt(0)
	s_barrier
	s_and_saveexec_b64 s[0:1], vcc
	s_cbranch_execz .LBB60_146
; %bb.145:
	v_mul_f64 v[109:110], v[83:84], v[99:100]
	v_fma_f64 v[125:126], v[81:82], v[97:98], -v[109:110]
	v_mul_f64 v[81:82], v[81:82], v[99:100]
	v_fma_f64 v[99:100], v[83:84], v[97:98], v[81:82]
	ds_read2_b64 v[81:84], v106 offset0:14 offset1:15
	s_waitcnt lgkmcnt(0)
	v_mul_f64 v[97:98], v[83:84], v[99:100]
	v_fma_f64 v[97:98], v[81:82], v[125:126], -v[97:98]
	v_mul_f64 v[81:82], v[81:82], v[99:100]
	v_add_f64 v[93:94], v[93:94], -v[97:98]
	v_fma_f64 v[81:82], v[83:84], v[125:126], v[81:82]
	v_add_f64 v[95:96], v[95:96], -v[81:82]
	ds_read2_b64 v[81:84], v106 offset0:16 offset1:17
	s_waitcnt lgkmcnt(0)
	v_mul_f64 v[97:98], v[83:84], v[99:100]
	v_fma_f64 v[97:98], v[81:82], v[125:126], -v[97:98]
	v_mul_f64 v[81:82], v[81:82], v[99:100]
	v_add_f64 v[89:90], v[89:90], -v[97:98]
	v_fma_f64 v[81:82], v[83:84], v[125:126], v[81:82]
	v_add_f64 v[91:92], v[91:92], -v[81:82]
	;; [unrolled: 8-line block ×23, first 2 shown]
	ds_read2_b64 v[81:84], v106 offset0:60 offset1:61
	s_waitcnt lgkmcnt(0)
	v_mul_f64 v[97:98], v[83:84], v[99:100]
	v_fma_f64 v[97:98], v[81:82], v[125:126], -v[97:98]
	v_mul_f64 v[81:82], v[81:82], v[99:100]
	v_add_f64 v[121:122], v[121:122], -v[97:98]
	v_fma_f64 v[81:82], v[83:84], v[125:126], v[81:82]
	v_mov_b32_e32 v97, v125
	v_mov_b32_e32 v98, v126
	v_add_f64 v[123:124], v[123:124], -v[81:82]
.LBB60_146:
	s_or_b64 exec, exec, s[0:1]
	v_lshl_add_u32 v81, v108, 4, v106
	s_barrier
	ds_write2_b64 v81, v[93:94], v[95:96] offset1:1
	s_waitcnt lgkmcnt(0)
	s_barrier
	ds_read2_b64 v[81:84], v106 offset0:14 offset1:15
	s_cmp_lt_i32 s3, 9
	v_mov_b32_e32 v109, 7
	s_cbranch_scc1 .LBB60_149
; %bb.147:
	v_add_u32_e32 v110, 0x80, v106
	s_mov_b32 s0, 8
	v_mov_b32_e32 v109, 7
.LBB60_148:                             ; =>This Inner Loop Header: Depth=1
	s_waitcnt lgkmcnt(0)
	v_cmp_gt_f64_e32 vcc, 0, v[81:82]
	v_xor_b32_e32 v115, 0x80000000, v82
	ds_read2_b64 v[111:114], v110 offset1:1
	v_xor_b32_e32 v117, 0x80000000, v84
	v_add_u32_e32 v110, 16, v110
	s_waitcnt lgkmcnt(0)
	v_xor_b32_e32 v119, 0x80000000, v114
	v_cndmask_b32_e32 v116, v82, v115, vcc
	v_cmp_gt_f64_e32 vcc, 0, v[83:84]
	v_mov_b32_e32 v115, v81
	v_cndmask_b32_e32 v118, v84, v117, vcc
	v_cmp_gt_f64_e32 vcc, 0, v[111:112]
	v_mov_b32_e32 v117, v83
	v_add_f64 v[115:116], v[115:116], v[117:118]
	v_xor_b32_e32 v117, 0x80000000, v112
	v_cndmask_b32_e32 v118, v112, v117, vcc
	v_cmp_gt_f64_e32 vcc, 0, v[113:114]
	v_mov_b32_e32 v117, v111
	v_cndmask_b32_e32 v120, v114, v119, vcc
	v_mov_b32_e32 v119, v113
	v_add_f64 v[117:118], v[117:118], v[119:120]
	v_cmp_lt_f64_e32 vcc, v[115:116], v[117:118]
	v_cndmask_b32_e32 v81, v81, v111, vcc
	v_mov_b32_e32 v111, s0
	s_add_i32 s0, s0, 1
	v_cndmask_b32_e32 v82, v82, v112, vcc
	v_cndmask_b32_e32 v84, v84, v114, vcc
	;; [unrolled: 1-line block ×4, first 2 shown]
	s_cmp_lg_u32 s3, s0
	s_cbranch_scc1 .LBB60_148
.LBB60_149:
	s_waitcnt lgkmcnt(0)
	v_cmp_eq_f64_e32 vcc, 0, v[81:82]
	v_cmp_eq_f64_e64 s[0:1], 0, v[83:84]
	s_and_b64 s[0:1], vcc, s[0:1]
	s_and_saveexec_b64 s[18:19], s[0:1]
	s_xor_b64 s[0:1], exec, s[18:19]
; %bb.150:
	v_cmp_ne_u32_e32 vcc, 0, v107
	v_cndmask_b32_e32 v107, 8, v107, vcc
; %bb.151:
	s_andn2_saveexec_b64 s[0:1], s[0:1]
	s_cbranch_execz .LBB60_157
; %bb.152:
	v_cmp_ngt_f64_e64 s[18:19], |v[81:82]|, |v[83:84]|
	s_and_saveexec_b64 s[20:21], s[18:19]
	s_xor_b64 s[18:19], exec, s[20:21]
	s_cbranch_execz .LBB60_154
; %bb.153:
	v_div_scale_f64 v[110:111], s[20:21], v[83:84], v[83:84], v[81:82]
	v_rcp_f64_e32 v[112:113], v[110:111]
	v_fma_f64 v[114:115], -v[110:111], v[112:113], 1.0
	v_fma_f64 v[112:113], v[112:113], v[114:115], v[112:113]
	v_div_scale_f64 v[114:115], vcc, v[81:82], v[83:84], v[81:82]
	v_fma_f64 v[116:117], -v[110:111], v[112:113], 1.0
	v_fma_f64 v[112:113], v[112:113], v[116:117], v[112:113]
	v_mul_f64 v[116:117], v[114:115], v[112:113]
	v_fma_f64 v[110:111], -v[110:111], v[116:117], v[114:115]
	v_div_fmas_f64 v[110:111], v[110:111], v[112:113], v[116:117]
	v_div_fixup_f64 v[110:111], v[110:111], v[83:84], v[81:82]
	v_fma_f64 v[81:82], v[81:82], v[110:111], v[83:84]
	v_div_scale_f64 v[83:84], s[20:21], v[81:82], v[81:82], 1.0
	v_div_scale_f64 v[116:117], vcc, 1.0, v[81:82], 1.0
	v_rcp_f64_e32 v[112:113], v[83:84]
	v_fma_f64 v[114:115], -v[83:84], v[112:113], 1.0
	v_fma_f64 v[112:113], v[112:113], v[114:115], v[112:113]
	v_fma_f64 v[114:115], -v[83:84], v[112:113], 1.0
	v_fma_f64 v[112:113], v[112:113], v[114:115], v[112:113]
	v_mul_f64 v[114:115], v[116:117], v[112:113]
	v_fma_f64 v[83:84], -v[83:84], v[114:115], v[116:117]
	v_div_fmas_f64 v[83:84], v[83:84], v[112:113], v[114:115]
	v_div_fixup_f64 v[83:84], v[83:84], v[81:82], 1.0
	v_mul_f64 v[81:82], v[110:111], v[83:84]
	v_xor_b32_e32 v84, 0x80000000, v84
.LBB60_154:
	s_andn2_saveexec_b64 s[18:19], s[18:19]
	s_cbranch_execz .LBB60_156
; %bb.155:
	v_div_scale_f64 v[110:111], s[20:21], v[81:82], v[81:82], v[83:84]
	v_rcp_f64_e32 v[112:113], v[110:111]
	v_fma_f64 v[114:115], -v[110:111], v[112:113], 1.0
	v_fma_f64 v[112:113], v[112:113], v[114:115], v[112:113]
	v_div_scale_f64 v[114:115], vcc, v[83:84], v[81:82], v[83:84]
	v_fma_f64 v[116:117], -v[110:111], v[112:113], 1.0
	v_fma_f64 v[112:113], v[112:113], v[116:117], v[112:113]
	v_mul_f64 v[116:117], v[114:115], v[112:113]
	v_fma_f64 v[110:111], -v[110:111], v[116:117], v[114:115]
	v_div_fmas_f64 v[110:111], v[110:111], v[112:113], v[116:117]
	v_div_fixup_f64 v[110:111], v[110:111], v[81:82], v[83:84]
	v_fma_f64 v[81:82], v[83:84], v[110:111], v[81:82]
	v_div_scale_f64 v[83:84], s[20:21], v[81:82], v[81:82], 1.0
	v_div_scale_f64 v[116:117], vcc, 1.0, v[81:82], 1.0
	v_rcp_f64_e32 v[112:113], v[83:84]
	v_fma_f64 v[114:115], -v[83:84], v[112:113], 1.0
	v_fma_f64 v[112:113], v[112:113], v[114:115], v[112:113]
	v_fma_f64 v[114:115], -v[83:84], v[112:113], 1.0
	v_fma_f64 v[112:113], v[112:113], v[114:115], v[112:113]
	v_mul_f64 v[114:115], v[116:117], v[112:113]
	v_fma_f64 v[83:84], -v[83:84], v[114:115], v[116:117]
	v_div_fmas_f64 v[83:84], v[83:84], v[112:113], v[114:115]
	v_div_fixup_f64 v[81:82], v[83:84], v[81:82], 1.0
	v_mul_f64 v[83:84], v[110:111], -v[81:82]
.LBB60_156:
	s_or_b64 exec, exec, s[18:19]
.LBB60_157:
	s_or_b64 exec, exec, s[0:1]
	v_cmp_ne_u32_e32 vcc, v108, v109
	s_and_saveexec_b64 s[0:1], vcc
	s_xor_b64 s[0:1], exec, s[0:1]
	s_cbranch_execz .LBB60_163
; %bb.158:
	v_cmp_eq_u32_e32 vcc, 7, v108
	s_and_saveexec_b64 s[18:19], vcc
	s_cbranch_execz .LBB60_162
; %bb.159:
	v_cmp_ne_u32_e32 vcc, 7, v109
	s_xor_b64 s[20:21], s[6:7], -1
	s_and_b64 s[22:23], s[20:21], vcc
	s_and_saveexec_b64 s[20:21], s[22:23]
	s_cbranch_execz .LBB60_161
; %bb.160:
	buffer_load_dword v112, off, s[24:27], 0 offset:64 ; 4-byte Folded Reload
	buffer_load_dword v113, off, s[24:27], 0 offset:68 ; 4-byte Folded Reload
	v_ashrrev_i32_e32 v110, 31, v109
	v_lshlrev_b64 v[110:111], 2, v[109:110]
	s_waitcnt vmcnt(1)
	v_add_co_u32_e32 v110, vcc, v112, v110
	s_waitcnt vmcnt(0)
	v_addc_co_u32_e32 v111, vcc, v113, v111, vcc
	global_load_dword v0, v[110:111], off
	global_load_dword v108, v[112:113], off offset:28
	s_waitcnt vmcnt(1)
	global_store_dword v[112:113], v0, off offset:28
	s_waitcnt vmcnt(1)
	global_store_dword v[110:111], v108, off
.LBB60_161:
	s_or_b64 exec, exec, s[20:21]
	v_mov_b32_e32 v108, v109
	v_mov_b32_e32 v0, v109
.LBB60_162:
	s_or_b64 exec, exec, s[18:19]
.LBB60_163:
	s_andn2_saveexec_b64 s[0:1], s[0:1]
	s_cbranch_execz .LBB60_165
; %bb.164:
	v_mov_b32_e32 v108, 7
	ds_write2_b64 v106, v[89:90], v[91:92] offset0:16 offset1:17
	ds_write2_b64 v106, v[85:86], v[87:88] offset0:18 offset1:19
	;; [unrolled: 1-line block ×23, first 2 shown]
.LBB60_165:
	s_or_b64 exec, exec, s[0:1]
	v_cmp_lt_i32_e32 vcc, 7, v108
	s_waitcnt vmcnt(0) lgkmcnt(0)
	s_barrier
	s_and_saveexec_b64 s[0:1], vcc
	s_cbranch_execz .LBB60_167
; %bb.166:
	v_mul_f64 v[109:110], v[83:84], v[95:96]
	v_fma_f64 v[125:126], v[81:82], v[93:94], -v[109:110]
	v_mul_f64 v[81:82], v[81:82], v[95:96]
	v_fma_f64 v[95:96], v[83:84], v[93:94], v[81:82]
	ds_read2_b64 v[81:84], v106 offset0:16 offset1:17
	s_waitcnt lgkmcnt(0)
	v_mul_f64 v[93:94], v[83:84], v[95:96]
	v_fma_f64 v[93:94], v[81:82], v[125:126], -v[93:94]
	v_mul_f64 v[81:82], v[81:82], v[95:96]
	v_add_f64 v[89:90], v[89:90], -v[93:94]
	v_fma_f64 v[81:82], v[83:84], v[125:126], v[81:82]
	v_add_f64 v[91:92], v[91:92], -v[81:82]
	ds_read2_b64 v[81:84], v106 offset0:18 offset1:19
	s_waitcnt lgkmcnt(0)
	v_mul_f64 v[93:94], v[83:84], v[95:96]
	v_fma_f64 v[93:94], v[81:82], v[125:126], -v[93:94]
	v_mul_f64 v[81:82], v[81:82], v[95:96]
	v_add_f64 v[85:86], v[85:86], -v[93:94]
	v_fma_f64 v[81:82], v[83:84], v[125:126], v[81:82]
	v_add_f64 v[87:88], v[87:88], -v[81:82]
	;; [unrolled: 8-line block ×22, first 2 shown]
	ds_read2_b64 v[81:84], v106 offset0:60 offset1:61
	s_waitcnt lgkmcnt(0)
	v_mul_f64 v[93:94], v[83:84], v[95:96]
	v_fma_f64 v[93:94], v[81:82], v[125:126], -v[93:94]
	v_mul_f64 v[81:82], v[81:82], v[95:96]
	v_add_f64 v[121:122], v[121:122], -v[93:94]
	v_fma_f64 v[81:82], v[83:84], v[125:126], v[81:82]
	v_mov_b32_e32 v93, v125
	v_mov_b32_e32 v94, v126
	v_add_f64 v[123:124], v[123:124], -v[81:82]
.LBB60_167:
	s_or_b64 exec, exec, s[0:1]
	v_lshl_add_u32 v81, v108, 4, v106
	s_barrier
	ds_write2_b64 v81, v[89:90], v[91:92] offset1:1
	s_waitcnt lgkmcnt(0)
	s_barrier
	ds_read2_b64 v[81:84], v106 offset0:16 offset1:17
	s_cmp_lt_i32 s3, 10
	v_mov_b32_e32 v109, 8
	s_cbranch_scc1 .LBB60_170
; %bb.168:
	v_add_u32_e32 v110, 0x90, v106
	s_mov_b32 s0, 9
	v_mov_b32_e32 v109, 8
.LBB60_169:                             ; =>This Inner Loop Header: Depth=1
	s_waitcnt lgkmcnt(0)
	v_cmp_gt_f64_e32 vcc, 0, v[81:82]
	v_xor_b32_e32 v115, 0x80000000, v82
	ds_read2_b64 v[111:114], v110 offset1:1
	v_xor_b32_e32 v117, 0x80000000, v84
	v_add_u32_e32 v110, 16, v110
	s_waitcnt lgkmcnt(0)
	v_xor_b32_e32 v119, 0x80000000, v114
	v_cndmask_b32_e32 v116, v82, v115, vcc
	v_cmp_gt_f64_e32 vcc, 0, v[83:84]
	v_mov_b32_e32 v115, v81
	v_cndmask_b32_e32 v118, v84, v117, vcc
	v_cmp_gt_f64_e32 vcc, 0, v[111:112]
	v_mov_b32_e32 v117, v83
	v_add_f64 v[115:116], v[115:116], v[117:118]
	v_xor_b32_e32 v117, 0x80000000, v112
	v_cndmask_b32_e32 v118, v112, v117, vcc
	v_cmp_gt_f64_e32 vcc, 0, v[113:114]
	v_mov_b32_e32 v117, v111
	v_cndmask_b32_e32 v120, v114, v119, vcc
	v_mov_b32_e32 v119, v113
	v_add_f64 v[117:118], v[117:118], v[119:120]
	v_cmp_lt_f64_e32 vcc, v[115:116], v[117:118]
	v_cndmask_b32_e32 v81, v81, v111, vcc
	v_mov_b32_e32 v111, s0
	s_add_i32 s0, s0, 1
	v_cndmask_b32_e32 v82, v82, v112, vcc
	v_cndmask_b32_e32 v84, v84, v114, vcc
	;; [unrolled: 1-line block ×4, first 2 shown]
	s_cmp_lg_u32 s3, s0
	s_cbranch_scc1 .LBB60_169
.LBB60_170:
	s_waitcnt lgkmcnt(0)
	v_cmp_eq_f64_e32 vcc, 0, v[81:82]
	v_cmp_eq_f64_e64 s[0:1], 0, v[83:84]
	s_and_b64 s[0:1], vcc, s[0:1]
	s_and_saveexec_b64 s[18:19], s[0:1]
	s_xor_b64 s[0:1], exec, s[18:19]
; %bb.171:
	v_cmp_ne_u32_e32 vcc, 0, v107
	v_cndmask_b32_e32 v107, 9, v107, vcc
; %bb.172:
	s_andn2_saveexec_b64 s[0:1], s[0:1]
	s_cbranch_execz .LBB60_178
; %bb.173:
	v_cmp_ngt_f64_e64 s[18:19], |v[81:82]|, |v[83:84]|
	s_and_saveexec_b64 s[20:21], s[18:19]
	s_xor_b64 s[18:19], exec, s[20:21]
	s_cbranch_execz .LBB60_175
; %bb.174:
	v_div_scale_f64 v[110:111], s[20:21], v[83:84], v[83:84], v[81:82]
	v_rcp_f64_e32 v[112:113], v[110:111]
	v_fma_f64 v[114:115], -v[110:111], v[112:113], 1.0
	v_fma_f64 v[112:113], v[112:113], v[114:115], v[112:113]
	v_div_scale_f64 v[114:115], vcc, v[81:82], v[83:84], v[81:82]
	v_fma_f64 v[116:117], -v[110:111], v[112:113], 1.0
	v_fma_f64 v[112:113], v[112:113], v[116:117], v[112:113]
	v_mul_f64 v[116:117], v[114:115], v[112:113]
	v_fma_f64 v[110:111], -v[110:111], v[116:117], v[114:115]
	v_div_fmas_f64 v[110:111], v[110:111], v[112:113], v[116:117]
	v_div_fixup_f64 v[110:111], v[110:111], v[83:84], v[81:82]
	v_fma_f64 v[81:82], v[81:82], v[110:111], v[83:84]
	v_div_scale_f64 v[83:84], s[20:21], v[81:82], v[81:82], 1.0
	v_div_scale_f64 v[116:117], vcc, 1.0, v[81:82], 1.0
	v_rcp_f64_e32 v[112:113], v[83:84]
	v_fma_f64 v[114:115], -v[83:84], v[112:113], 1.0
	v_fma_f64 v[112:113], v[112:113], v[114:115], v[112:113]
	v_fma_f64 v[114:115], -v[83:84], v[112:113], 1.0
	v_fma_f64 v[112:113], v[112:113], v[114:115], v[112:113]
	v_mul_f64 v[114:115], v[116:117], v[112:113]
	v_fma_f64 v[83:84], -v[83:84], v[114:115], v[116:117]
	v_div_fmas_f64 v[83:84], v[83:84], v[112:113], v[114:115]
	v_div_fixup_f64 v[83:84], v[83:84], v[81:82], 1.0
	v_mul_f64 v[81:82], v[110:111], v[83:84]
	v_xor_b32_e32 v84, 0x80000000, v84
.LBB60_175:
	s_andn2_saveexec_b64 s[18:19], s[18:19]
	s_cbranch_execz .LBB60_177
; %bb.176:
	v_div_scale_f64 v[110:111], s[20:21], v[81:82], v[81:82], v[83:84]
	v_rcp_f64_e32 v[112:113], v[110:111]
	v_fma_f64 v[114:115], -v[110:111], v[112:113], 1.0
	v_fma_f64 v[112:113], v[112:113], v[114:115], v[112:113]
	v_div_scale_f64 v[114:115], vcc, v[83:84], v[81:82], v[83:84]
	v_fma_f64 v[116:117], -v[110:111], v[112:113], 1.0
	v_fma_f64 v[112:113], v[112:113], v[116:117], v[112:113]
	v_mul_f64 v[116:117], v[114:115], v[112:113]
	v_fma_f64 v[110:111], -v[110:111], v[116:117], v[114:115]
	v_div_fmas_f64 v[110:111], v[110:111], v[112:113], v[116:117]
	v_div_fixup_f64 v[110:111], v[110:111], v[81:82], v[83:84]
	v_fma_f64 v[81:82], v[83:84], v[110:111], v[81:82]
	v_div_scale_f64 v[83:84], s[20:21], v[81:82], v[81:82], 1.0
	v_div_scale_f64 v[116:117], vcc, 1.0, v[81:82], 1.0
	v_rcp_f64_e32 v[112:113], v[83:84]
	v_fma_f64 v[114:115], -v[83:84], v[112:113], 1.0
	v_fma_f64 v[112:113], v[112:113], v[114:115], v[112:113]
	v_fma_f64 v[114:115], -v[83:84], v[112:113], 1.0
	v_fma_f64 v[112:113], v[112:113], v[114:115], v[112:113]
	v_mul_f64 v[114:115], v[116:117], v[112:113]
	v_fma_f64 v[83:84], -v[83:84], v[114:115], v[116:117]
	v_div_fmas_f64 v[83:84], v[83:84], v[112:113], v[114:115]
	v_div_fixup_f64 v[81:82], v[83:84], v[81:82], 1.0
	v_mul_f64 v[83:84], v[110:111], -v[81:82]
.LBB60_177:
	s_or_b64 exec, exec, s[18:19]
.LBB60_178:
	s_or_b64 exec, exec, s[0:1]
	v_cmp_ne_u32_e32 vcc, v108, v109
	s_and_saveexec_b64 s[0:1], vcc
	s_xor_b64 s[0:1], exec, s[0:1]
	s_cbranch_execz .LBB60_184
; %bb.179:
	v_cmp_eq_u32_e32 vcc, 8, v108
	s_and_saveexec_b64 s[18:19], vcc
	s_cbranch_execz .LBB60_183
; %bb.180:
	v_cmp_ne_u32_e32 vcc, 8, v109
	s_xor_b64 s[20:21], s[6:7], -1
	s_and_b64 s[22:23], s[20:21], vcc
	s_and_saveexec_b64 s[20:21], s[22:23]
	s_cbranch_execz .LBB60_182
; %bb.181:
	buffer_load_dword v112, off, s[24:27], 0 offset:64 ; 4-byte Folded Reload
	buffer_load_dword v113, off, s[24:27], 0 offset:68 ; 4-byte Folded Reload
	v_ashrrev_i32_e32 v110, 31, v109
	v_lshlrev_b64 v[110:111], 2, v[109:110]
	s_waitcnt vmcnt(1)
	v_add_co_u32_e32 v110, vcc, v112, v110
	s_waitcnt vmcnt(0)
	v_addc_co_u32_e32 v111, vcc, v113, v111, vcc
	global_load_dword v0, v[110:111], off
	global_load_dword v108, v[112:113], off offset:32
	s_waitcnt vmcnt(1)
	global_store_dword v[112:113], v0, off offset:32
	s_waitcnt vmcnt(1)
	global_store_dword v[110:111], v108, off
.LBB60_182:
	s_or_b64 exec, exec, s[20:21]
	v_mov_b32_e32 v108, v109
	v_mov_b32_e32 v0, v109
.LBB60_183:
	s_or_b64 exec, exec, s[18:19]
.LBB60_184:
	s_andn2_saveexec_b64 s[0:1], s[0:1]
	s_cbranch_execz .LBB60_186
; %bb.185:
	v_mov_b32_e32 v108, 8
	ds_write2_b64 v106, v[85:86], v[87:88] offset0:18 offset1:19
	ds_write2_b64 v106, v[77:78], v[79:80] offset0:20 offset1:21
	;; [unrolled: 1-line block ×22, first 2 shown]
.LBB60_186:
	s_or_b64 exec, exec, s[0:1]
	v_cmp_lt_i32_e32 vcc, 8, v108
	s_waitcnt vmcnt(0) lgkmcnt(0)
	s_barrier
	s_and_saveexec_b64 s[0:1], vcc
	s_cbranch_execz .LBB60_188
; %bb.187:
	v_mul_f64 v[109:110], v[83:84], v[91:92]
	v_fma_f64 v[125:126], v[81:82], v[89:90], -v[109:110]
	v_mul_f64 v[81:82], v[81:82], v[91:92]
	v_fma_f64 v[91:92], v[83:84], v[89:90], v[81:82]
	ds_read2_b64 v[81:84], v106 offset0:18 offset1:19
	s_waitcnt lgkmcnt(0)
	v_mul_f64 v[89:90], v[83:84], v[91:92]
	v_fma_f64 v[89:90], v[81:82], v[125:126], -v[89:90]
	v_mul_f64 v[81:82], v[81:82], v[91:92]
	v_add_f64 v[85:86], v[85:86], -v[89:90]
	v_fma_f64 v[81:82], v[83:84], v[125:126], v[81:82]
	v_add_f64 v[87:88], v[87:88], -v[81:82]
	ds_read2_b64 v[81:84], v106 offset0:20 offset1:21
	s_waitcnt lgkmcnt(0)
	v_mul_f64 v[89:90], v[83:84], v[91:92]
	v_fma_f64 v[89:90], v[81:82], v[125:126], -v[89:90]
	v_mul_f64 v[81:82], v[81:82], v[91:92]
	v_add_f64 v[77:78], v[77:78], -v[89:90]
	v_fma_f64 v[81:82], v[83:84], v[125:126], v[81:82]
	v_add_f64 v[79:80], v[79:80], -v[81:82]
	;; [unrolled: 8-line block ×21, first 2 shown]
	ds_read2_b64 v[81:84], v106 offset0:60 offset1:61
	s_waitcnt lgkmcnt(0)
	v_mul_f64 v[89:90], v[83:84], v[91:92]
	v_fma_f64 v[89:90], v[81:82], v[125:126], -v[89:90]
	v_mul_f64 v[81:82], v[81:82], v[91:92]
	v_add_f64 v[121:122], v[121:122], -v[89:90]
	v_fma_f64 v[81:82], v[83:84], v[125:126], v[81:82]
	v_mov_b32_e32 v89, v125
	v_mov_b32_e32 v90, v126
	v_add_f64 v[123:124], v[123:124], -v[81:82]
.LBB60_188:
	s_or_b64 exec, exec, s[0:1]
	v_lshl_add_u32 v81, v108, 4, v106
	s_barrier
	ds_write2_b64 v81, v[85:86], v[87:88] offset1:1
	s_waitcnt lgkmcnt(0)
	s_barrier
	ds_read2_b64 v[81:84], v106 offset0:18 offset1:19
	s_cmp_lt_i32 s3, 11
	v_mov_b32_e32 v109, 9
	s_cbranch_scc1 .LBB60_191
; %bb.189:
	v_add_u32_e32 v110, 0xa0, v106
	s_mov_b32 s0, 10
	v_mov_b32_e32 v109, 9
.LBB60_190:                             ; =>This Inner Loop Header: Depth=1
	s_waitcnt lgkmcnt(0)
	v_cmp_gt_f64_e32 vcc, 0, v[81:82]
	v_xor_b32_e32 v115, 0x80000000, v82
	ds_read2_b64 v[111:114], v110 offset1:1
	v_xor_b32_e32 v117, 0x80000000, v84
	v_add_u32_e32 v110, 16, v110
	s_waitcnt lgkmcnt(0)
	v_xor_b32_e32 v119, 0x80000000, v114
	v_cndmask_b32_e32 v116, v82, v115, vcc
	v_cmp_gt_f64_e32 vcc, 0, v[83:84]
	v_mov_b32_e32 v115, v81
	v_cndmask_b32_e32 v118, v84, v117, vcc
	v_cmp_gt_f64_e32 vcc, 0, v[111:112]
	v_mov_b32_e32 v117, v83
	v_add_f64 v[115:116], v[115:116], v[117:118]
	v_xor_b32_e32 v117, 0x80000000, v112
	v_cndmask_b32_e32 v118, v112, v117, vcc
	v_cmp_gt_f64_e32 vcc, 0, v[113:114]
	v_mov_b32_e32 v117, v111
	v_cndmask_b32_e32 v120, v114, v119, vcc
	v_mov_b32_e32 v119, v113
	v_add_f64 v[117:118], v[117:118], v[119:120]
	v_cmp_lt_f64_e32 vcc, v[115:116], v[117:118]
	v_cndmask_b32_e32 v81, v81, v111, vcc
	v_mov_b32_e32 v111, s0
	s_add_i32 s0, s0, 1
	v_cndmask_b32_e32 v82, v82, v112, vcc
	v_cndmask_b32_e32 v84, v84, v114, vcc
	;; [unrolled: 1-line block ×4, first 2 shown]
	s_cmp_lg_u32 s3, s0
	s_cbranch_scc1 .LBB60_190
.LBB60_191:
	s_waitcnt lgkmcnt(0)
	v_cmp_eq_f64_e32 vcc, 0, v[81:82]
	v_cmp_eq_f64_e64 s[0:1], 0, v[83:84]
	s_and_b64 s[0:1], vcc, s[0:1]
	s_and_saveexec_b64 s[18:19], s[0:1]
	s_xor_b64 s[0:1], exec, s[18:19]
; %bb.192:
	v_cmp_ne_u32_e32 vcc, 0, v107
	v_cndmask_b32_e32 v107, 10, v107, vcc
; %bb.193:
	s_andn2_saveexec_b64 s[0:1], s[0:1]
	s_cbranch_execz .LBB60_199
; %bb.194:
	v_cmp_ngt_f64_e64 s[18:19], |v[81:82]|, |v[83:84]|
	s_and_saveexec_b64 s[20:21], s[18:19]
	s_xor_b64 s[18:19], exec, s[20:21]
	s_cbranch_execz .LBB60_196
; %bb.195:
	v_div_scale_f64 v[110:111], s[20:21], v[83:84], v[83:84], v[81:82]
	v_rcp_f64_e32 v[112:113], v[110:111]
	v_fma_f64 v[114:115], -v[110:111], v[112:113], 1.0
	v_fma_f64 v[112:113], v[112:113], v[114:115], v[112:113]
	v_div_scale_f64 v[114:115], vcc, v[81:82], v[83:84], v[81:82]
	v_fma_f64 v[116:117], -v[110:111], v[112:113], 1.0
	v_fma_f64 v[112:113], v[112:113], v[116:117], v[112:113]
	v_mul_f64 v[116:117], v[114:115], v[112:113]
	v_fma_f64 v[110:111], -v[110:111], v[116:117], v[114:115]
	v_div_fmas_f64 v[110:111], v[110:111], v[112:113], v[116:117]
	v_div_fixup_f64 v[110:111], v[110:111], v[83:84], v[81:82]
	v_fma_f64 v[81:82], v[81:82], v[110:111], v[83:84]
	v_div_scale_f64 v[83:84], s[20:21], v[81:82], v[81:82], 1.0
	v_div_scale_f64 v[116:117], vcc, 1.0, v[81:82], 1.0
	v_rcp_f64_e32 v[112:113], v[83:84]
	v_fma_f64 v[114:115], -v[83:84], v[112:113], 1.0
	v_fma_f64 v[112:113], v[112:113], v[114:115], v[112:113]
	v_fma_f64 v[114:115], -v[83:84], v[112:113], 1.0
	v_fma_f64 v[112:113], v[112:113], v[114:115], v[112:113]
	v_mul_f64 v[114:115], v[116:117], v[112:113]
	v_fma_f64 v[83:84], -v[83:84], v[114:115], v[116:117]
	v_div_fmas_f64 v[83:84], v[83:84], v[112:113], v[114:115]
	v_div_fixup_f64 v[83:84], v[83:84], v[81:82], 1.0
	v_mul_f64 v[81:82], v[110:111], v[83:84]
	v_xor_b32_e32 v84, 0x80000000, v84
.LBB60_196:
	s_andn2_saveexec_b64 s[18:19], s[18:19]
	s_cbranch_execz .LBB60_198
; %bb.197:
	v_div_scale_f64 v[110:111], s[20:21], v[81:82], v[81:82], v[83:84]
	v_rcp_f64_e32 v[112:113], v[110:111]
	v_fma_f64 v[114:115], -v[110:111], v[112:113], 1.0
	v_fma_f64 v[112:113], v[112:113], v[114:115], v[112:113]
	v_div_scale_f64 v[114:115], vcc, v[83:84], v[81:82], v[83:84]
	v_fma_f64 v[116:117], -v[110:111], v[112:113], 1.0
	v_fma_f64 v[112:113], v[112:113], v[116:117], v[112:113]
	v_mul_f64 v[116:117], v[114:115], v[112:113]
	v_fma_f64 v[110:111], -v[110:111], v[116:117], v[114:115]
	v_div_fmas_f64 v[110:111], v[110:111], v[112:113], v[116:117]
	v_div_fixup_f64 v[110:111], v[110:111], v[81:82], v[83:84]
	v_fma_f64 v[81:82], v[83:84], v[110:111], v[81:82]
	v_div_scale_f64 v[83:84], s[20:21], v[81:82], v[81:82], 1.0
	v_div_scale_f64 v[116:117], vcc, 1.0, v[81:82], 1.0
	v_rcp_f64_e32 v[112:113], v[83:84]
	v_fma_f64 v[114:115], -v[83:84], v[112:113], 1.0
	v_fma_f64 v[112:113], v[112:113], v[114:115], v[112:113]
	v_fma_f64 v[114:115], -v[83:84], v[112:113], 1.0
	v_fma_f64 v[112:113], v[112:113], v[114:115], v[112:113]
	v_mul_f64 v[114:115], v[116:117], v[112:113]
	v_fma_f64 v[83:84], -v[83:84], v[114:115], v[116:117]
	v_div_fmas_f64 v[83:84], v[83:84], v[112:113], v[114:115]
	v_div_fixup_f64 v[81:82], v[83:84], v[81:82], 1.0
	v_mul_f64 v[83:84], v[110:111], -v[81:82]
.LBB60_198:
	s_or_b64 exec, exec, s[18:19]
.LBB60_199:
	s_or_b64 exec, exec, s[0:1]
	v_cmp_ne_u32_e32 vcc, v108, v109
	s_and_saveexec_b64 s[0:1], vcc
	s_xor_b64 s[0:1], exec, s[0:1]
	s_cbranch_execz .LBB60_205
; %bb.200:
	v_cmp_eq_u32_e32 vcc, 9, v108
	s_and_saveexec_b64 s[18:19], vcc
	s_cbranch_execz .LBB60_204
; %bb.201:
	v_cmp_ne_u32_e32 vcc, 9, v109
	s_xor_b64 s[20:21], s[6:7], -1
	s_and_b64 s[22:23], s[20:21], vcc
	s_and_saveexec_b64 s[20:21], s[22:23]
	s_cbranch_execz .LBB60_203
; %bb.202:
	buffer_load_dword v112, off, s[24:27], 0 offset:64 ; 4-byte Folded Reload
	buffer_load_dword v113, off, s[24:27], 0 offset:68 ; 4-byte Folded Reload
	v_ashrrev_i32_e32 v110, 31, v109
	v_lshlrev_b64 v[110:111], 2, v[109:110]
	s_waitcnt vmcnt(1)
	v_add_co_u32_e32 v110, vcc, v112, v110
	s_waitcnt vmcnt(0)
	v_addc_co_u32_e32 v111, vcc, v113, v111, vcc
	global_load_dword v0, v[110:111], off
	global_load_dword v108, v[112:113], off offset:36
	s_waitcnt vmcnt(1)
	global_store_dword v[112:113], v0, off offset:36
	s_waitcnt vmcnt(1)
	global_store_dword v[110:111], v108, off
.LBB60_203:
	s_or_b64 exec, exec, s[20:21]
	v_mov_b32_e32 v108, v109
	v_mov_b32_e32 v0, v109
.LBB60_204:
	s_or_b64 exec, exec, s[18:19]
.LBB60_205:
	s_andn2_saveexec_b64 s[0:1], s[0:1]
	s_cbranch_execz .LBB60_207
; %bb.206:
	v_mov_b32_e32 v108, 9
	ds_write2_b64 v106, v[77:78], v[79:80] offset0:20 offset1:21
	ds_write2_b64 v106, v[73:74], v[75:76] offset0:22 offset1:23
	;; [unrolled: 1-line block ×21, first 2 shown]
.LBB60_207:
	s_or_b64 exec, exec, s[0:1]
	v_cmp_lt_i32_e32 vcc, 9, v108
	s_waitcnt vmcnt(0) lgkmcnt(0)
	s_barrier
	s_and_saveexec_b64 s[0:1], vcc
	s_cbranch_execz .LBB60_209
; %bb.208:
	v_mul_f64 v[109:110], v[83:84], v[87:88]
	v_fma_f64 v[125:126], v[81:82], v[85:86], -v[109:110]
	v_mul_f64 v[81:82], v[81:82], v[87:88]
	v_fma_f64 v[87:88], v[83:84], v[85:86], v[81:82]
	ds_read2_b64 v[81:84], v106 offset0:20 offset1:21
	s_waitcnt lgkmcnt(0)
	v_mul_f64 v[85:86], v[83:84], v[87:88]
	v_fma_f64 v[85:86], v[81:82], v[125:126], -v[85:86]
	v_mul_f64 v[81:82], v[81:82], v[87:88]
	v_add_f64 v[77:78], v[77:78], -v[85:86]
	v_fma_f64 v[81:82], v[83:84], v[125:126], v[81:82]
	v_add_f64 v[79:80], v[79:80], -v[81:82]
	ds_read2_b64 v[81:84], v106 offset0:22 offset1:23
	s_waitcnt lgkmcnt(0)
	v_mul_f64 v[85:86], v[83:84], v[87:88]
	v_fma_f64 v[85:86], v[81:82], v[125:126], -v[85:86]
	v_mul_f64 v[81:82], v[81:82], v[87:88]
	v_add_f64 v[73:74], v[73:74], -v[85:86]
	v_fma_f64 v[81:82], v[83:84], v[125:126], v[81:82]
	v_add_f64 v[75:76], v[75:76], -v[81:82]
	;; [unrolled: 8-line block ×20, first 2 shown]
	ds_read2_b64 v[81:84], v106 offset0:60 offset1:61
	s_waitcnt lgkmcnt(0)
	v_mul_f64 v[85:86], v[83:84], v[87:88]
	v_fma_f64 v[85:86], v[81:82], v[125:126], -v[85:86]
	v_mul_f64 v[81:82], v[81:82], v[87:88]
	v_add_f64 v[121:122], v[121:122], -v[85:86]
	v_fma_f64 v[81:82], v[83:84], v[125:126], v[81:82]
	v_mov_b32_e32 v85, v125
	v_mov_b32_e32 v86, v126
	v_add_f64 v[123:124], v[123:124], -v[81:82]
.LBB60_209:
	s_or_b64 exec, exec, s[0:1]
	v_lshl_add_u32 v81, v108, 4, v106
	s_barrier
	ds_write2_b64 v81, v[77:78], v[79:80] offset1:1
	s_waitcnt lgkmcnt(0)
	s_barrier
	ds_read2_b64 v[81:84], v106 offset0:20 offset1:21
	s_cmp_lt_i32 s3, 12
	v_mov_b32_e32 v109, 10
	s_cbranch_scc1 .LBB60_212
; %bb.210:
	v_add_u32_e32 v110, 0xb0, v106
	s_mov_b32 s0, 11
	v_mov_b32_e32 v109, 10
.LBB60_211:                             ; =>This Inner Loop Header: Depth=1
	s_waitcnt lgkmcnt(0)
	v_cmp_gt_f64_e32 vcc, 0, v[81:82]
	v_xor_b32_e32 v115, 0x80000000, v82
	ds_read2_b64 v[111:114], v110 offset1:1
	v_xor_b32_e32 v117, 0x80000000, v84
	v_add_u32_e32 v110, 16, v110
	s_waitcnt lgkmcnt(0)
	v_xor_b32_e32 v119, 0x80000000, v114
	v_cndmask_b32_e32 v116, v82, v115, vcc
	v_cmp_gt_f64_e32 vcc, 0, v[83:84]
	v_mov_b32_e32 v115, v81
	v_cndmask_b32_e32 v118, v84, v117, vcc
	v_cmp_gt_f64_e32 vcc, 0, v[111:112]
	v_mov_b32_e32 v117, v83
	v_add_f64 v[115:116], v[115:116], v[117:118]
	v_xor_b32_e32 v117, 0x80000000, v112
	v_cndmask_b32_e32 v118, v112, v117, vcc
	v_cmp_gt_f64_e32 vcc, 0, v[113:114]
	v_mov_b32_e32 v117, v111
	v_cndmask_b32_e32 v120, v114, v119, vcc
	v_mov_b32_e32 v119, v113
	v_add_f64 v[117:118], v[117:118], v[119:120]
	v_cmp_lt_f64_e32 vcc, v[115:116], v[117:118]
	v_cndmask_b32_e32 v81, v81, v111, vcc
	v_mov_b32_e32 v111, s0
	s_add_i32 s0, s0, 1
	v_cndmask_b32_e32 v82, v82, v112, vcc
	v_cndmask_b32_e32 v84, v84, v114, vcc
	;; [unrolled: 1-line block ×4, first 2 shown]
	s_cmp_lg_u32 s3, s0
	s_cbranch_scc1 .LBB60_211
.LBB60_212:
	s_waitcnt lgkmcnt(0)
	v_cmp_eq_f64_e32 vcc, 0, v[81:82]
	v_cmp_eq_f64_e64 s[0:1], 0, v[83:84]
	s_and_b64 s[0:1], vcc, s[0:1]
	s_and_saveexec_b64 s[18:19], s[0:1]
	s_xor_b64 s[0:1], exec, s[18:19]
; %bb.213:
	v_cmp_ne_u32_e32 vcc, 0, v107
	v_cndmask_b32_e32 v107, 11, v107, vcc
; %bb.214:
	s_andn2_saveexec_b64 s[0:1], s[0:1]
	s_cbranch_execz .LBB60_220
; %bb.215:
	v_cmp_ngt_f64_e64 s[18:19], |v[81:82]|, |v[83:84]|
	s_and_saveexec_b64 s[20:21], s[18:19]
	s_xor_b64 s[18:19], exec, s[20:21]
	s_cbranch_execz .LBB60_217
; %bb.216:
	v_div_scale_f64 v[110:111], s[20:21], v[83:84], v[83:84], v[81:82]
	v_rcp_f64_e32 v[112:113], v[110:111]
	v_fma_f64 v[114:115], -v[110:111], v[112:113], 1.0
	v_fma_f64 v[112:113], v[112:113], v[114:115], v[112:113]
	v_div_scale_f64 v[114:115], vcc, v[81:82], v[83:84], v[81:82]
	v_fma_f64 v[116:117], -v[110:111], v[112:113], 1.0
	v_fma_f64 v[112:113], v[112:113], v[116:117], v[112:113]
	v_mul_f64 v[116:117], v[114:115], v[112:113]
	v_fma_f64 v[110:111], -v[110:111], v[116:117], v[114:115]
	v_div_fmas_f64 v[110:111], v[110:111], v[112:113], v[116:117]
	v_div_fixup_f64 v[110:111], v[110:111], v[83:84], v[81:82]
	v_fma_f64 v[81:82], v[81:82], v[110:111], v[83:84]
	v_div_scale_f64 v[83:84], s[20:21], v[81:82], v[81:82], 1.0
	v_div_scale_f64 v[116:117], vcc, 1.0, v[81:82], 1.0
	v_rcp_f64_e32 v[112:113], v[83:84]
	v_fma_f64 v[114:115], -v[83:84], v[112:113], 1.0
	v_fma_f64 v[112:113], v[112:113], v[114:115], v[112:113]
	v_fma_f64 v[114:115], -v[83:84], v[112:113], 1.0
	v_fma_f64 v[112:113], v[112:113], v[114:115], v[112:113]
	v_mul_f64 v[114:115], v[116:117], v[112:113]
	v_fma_f64 v[83:84], -v[83:84], v[114:115], v[116:117]
	v_div_fmas_f64 v[83:84], v[83:84], v[112:113], v[114:115]
	v_div_fixup_f64 v[83:84], v[83:84], v[81:82], 1.0
	v_mul_f64 v[81:82], v[110:111], v[83:84]
	v_xor_b32_e32 v84, 0x80000000, v84
.LBB60_217:
	s_andn2_saveexec_b64 s[18:19], s[18:19]
	s_cbranch_execz .LBB60_219
; %bb.218:
	v_div_scale_f64 v[110:111], s[20:21], v[81:82], v[81:82], v[83:84]
	v_rcp_f64_e32 v[112:113], v[110:111]
	v_fma_f64 v[114:115], -v[110:111], v[112:113], 1.0
	v_fma_f64 v[112:113], v[112:113], v[114:115], v[112:113]
	v_div_scale_f64 v[114:115], vcc, v[83:84], v[81:82], v[83:84]
	v_fma_f64 v[116:117], -v[110:111], v[112:113], 1.0
	v_fma_f64 v[112:113], v[112:113], v[116:117], v[112:113]
	v_mul_f64 v[116:117], v[114:115], v[112:113]
	v_fma_f64 v[110:111], -v[110:111], v[116:117], v[114:115]
	v_div_fmas_f64 v[110:111], v[110:111], v[112:113], v[116:117]
	v_div_fixup_f64 v[110:111], v[110:111], v[81:82], v[83:84]
	v_fma_f64 v[81:82], v[83:84], v[110:111], v[81:82]
	v_div_scale_f64 v[83:84], s[20:21], v[81:82], v[81:82], 1.0
	v_div_scale_f64 v[116:117], vcc, 1.0, v[81:82], 1.0
	v_rcp_f64_e32 v[112:113], v[83:84]
	v_fma_f64 v[114:115], -v[83:84], v[112:113], 1.0
	v_fma_f64 v[112:113], v[112:113], v[114:115], v[112:113]
	v_fma_f64 v[114:115], -v[83:84], v[112:113], 1.0
	v_fma_f64 v[112:113], v[112:113], v[114:115], v[112:113]
	v_mul_f64 v[114:115], v[116:117], v[112:113]
	v_fma_f64 v[83:84], -v[83:84], v[114:115], v[116:117]
	v_div_fmas_f64 v[83:84], v[83:84], v[112:113], v[114:115]
	v_div_fixup_f64 v[81:82], v[83:84], v[81:82], 1.0
	v_mul_f64 v[83:84], v[110:111], -v[81:82]
.LBB60_219:
	s_or_b64 exec, exec, s[18:19]
.LBB60_220:
	s_or_b64 exec, exec, s[0:1]
	v_cmp_ne_u32_e32 vcc, v108, v109
	s_and_saveexec_b64 s[0:1], vcc
	s_xor_b64 s[0:1], exec, s[0:1]
	s_cbranch_execz .LBB60_226
; %bb.221:
	v_cmp_eq_u32_e32 vcc, 10, v108
	s_and_saveexec_b64 s[18:19], vcc
	s_cbranch_execz .LBB60_225
; %bb.222:
	v_cmp_ne_u32_e32 vcc, 10, v109
	s_xor_b64 s[20:21], s[6:7], -1
	s_and_b64 s[22:23], s[20:21], vcc
	s_and_saveexec_b64 s[20:21], s[22:23]
	s_cbranch_execz .LBB60_224
; %bb.223:
	buffer_load_dword v112, off, s[24:27], 0 offset:64 ; 4-byte Folded Reload
	buffer_load_dword v113, off, s[24:27], 0 offset:68 ; 4-byte Folded Reload
	v_ashrrev_i32_e32 v110, 31, v109
	v_lshlrev_b64 v[110:111], 2, v[109:110]
	s_waitcnt vmcnt(1)
	v_add_co_u32_e32 v110, vcc, v112, v110
	s_waitcnt vmcnt(0)
	v_addc_co_u32_e32 v111, vcc, v113, v111, vcc
	global_load_dword v0, v[110:111], off
	global_load_dword v108, v[112:113], off offset:40
	s_waitcnt vmcnt(1)
	global_store_dword v[112:113], v0, off offset:40
	s_waitcnt vmcnt(1)
	global_store_dword v[110:111], v108, off
.LBB60_224:
	s_or_b64 exec, exec, s[20:21]
	v_mov_b32_e32 v108, v109
	v_mov_b32_e32 v0, v109
.LBB60_225:
	s_or_b64 exec, exec, s[18:19]
.LBB60_226:
	s_andn2_saveexec_b64 s[0:1], s[0:1]
	s_cbranch_execz .LBB60_228
; %bb.227:
	v_mov_b32_e32 v108, 10
	ds_write2_b64 v106, v[73:74], v[75:76] offset0:22 offset1:23
	ds_write2_b64 v106, v[69:70], v[71:72] offset0:24 offset1:25
	;; [unrolled: 1-line block ×20, first 2 shown]
.LBB60_228:
	s_or_b64 exec, exec, s[0:1]
	v_cmp_lt_i32_e32 vcc, 10, v108
	s_waitcnt vmcnt(0) lgkmcnt(0)
	s_barrier
	s_and_saveexec_b64 s[0:1], vcc
	s_cbranch_execz .LBB60_230
; %bb.229:
	v_mul_f64 v[109:110], v[83:84], v[79:80]
	v_mul_f64 v[79:80], v[81:82], v[79:80]
	v_fma_f64 v[125:126], v[81:82], v[77:78], -v[109:110]
	v_fma_f64 v[79:80], v[83:84], v[77:78], v[79:80]
	ds_read2_b64 v[81:84], v106 offset0:22 offset1:23
	s_waitcnt lgkmcnt(0)
	v_mul_f64 v[77:78], v[83:84], v[79:80]
	v_fma_f64 v[77:78], v[81:82], v[125:126], -v[77:78]
	v_mul_f64 v[81:82], v[81:82], v[79:80]
	v_add_f64 v[73:74], v[73:74], -v[77:78]
	v_fma_f64 v[81:82], v[83:84], v[125:126], v[81:82]
	v_add_f64 v[75:76], v[75:76], -v[81:82]
	ds_read2_b64 v[81:84], v106 offset0:24 offset1:25
	s_waitcnt lgkmcnt(0)
	v_mul_f64 v[77:78], v[83:84], v[79:80]
	v_fma_f64 v[77:78], v[81:82], v[125:126], -v[77:78]
	v_mul_f64 v[81:82], v[81:82], v[79:80]
	v_add_f64 v[69:70], v[69:70], -v[77:78]
	v_fma_f64 v[81:82], v[83:84], v[125:126], v[81:82]
	v_add_f64 v[71:72], v[71:72], -v[81:82]
	;; [unrolled: 8-line block ×19, first 2 shown]
	ds_read2_b64 v[81:84], v106 offset0:60 offset1:61
	s_waitcnt lgkmcnt(0)
	v_mul_f64 v[77:78], v[83:84], v[79:80]
	v_fma_f64 v[77:78], v[81:82], v[125:126], -v[77:78]
	v_mul_f64 v[81:82], v[81:82], v[79:80]
	v_add_f64 v[121:122], v[121:122], -v[77:78]
	v_fma_f64 v[81:82], v[83:84], v[125:126], v[81:82]
	v_mov_b32_e32 v77, v125
	v_mov_b32_e32 v78, v126
	v_add_f64 v[123:124], v[123:124], -v[81:82]
.LBB60_230:
	s_or_b64 exec, exec, s[0:1]
	v_lshl_add_u32 v81, v108, 4, v106
	s_barrier
	ds_write2_b64 v81, v[73:74], v[75:76] offset1:1
	s_waitcnt lgkmcnt(0)
	s_barrier
	ds_read2_b64 v[81:84], v106 offset0:22 offset1:23
	s_cmp_lt_i32 s3, 13
	v_mov_b32_e32 v109, 11
	s_cbranch_scc1 .LBB60_233
; %bb.231:
	v_add_u32_e32 v110, 0xc0, v106
	s_mov_b32 s0, 12
	v_mov_b32_e32 v109, 11
.LBB60_232:                             ; =>This Inner Loop Header: Depth=1
	s_waitcnt lgkmcnt(0)
	v_cmp_gt_f64_e32 vcc, 0, v[81:82]
	v_xor_b32_e32 v115, 0x80000000, v82
	ds_read2_b64 v[111:114], v110 offset1:1
	v_xor_b32_e32 v117, 0x80000000, v84
	v_add_u32_e32 v110, 16, v110
	s_waitcnt lgkmcnt(0)
	v_xor_b32_e32 v119, 0x80000000, v114
	v_cndmask_b32_e32 v116, v82, v115, vcc
	v_cmp_gt_f64_e32 vcc, 0, v[83:84]
	v_mov_b32_e32 v115, v81
	v_cndmask_b32_e32 v118, v84, v117, vcc
	v_cmp_gt_f64_e32 vcc, 0, v[111:112]
	v_mov_b32_e32 v117, v83
	v_add_f64 v[115:116], v[115:116], v[117:118]
	v_xor_b32_e32 v117, 0x80000000, v112
	v_cndmask_b32_e32 v118, v112, v117, vcc
	v_cmp_gt_f64_e32 vcc, 0, v[113:114]
	v_mov_b32_e32 v117, v111
	v_cndmask_b32_e32 v120, v114, v119, vcc
	v_mov_b32_e32 v119, v113
	v_add_f64 v[117:118], v[117:118], v[119:120]
	v_cmp_lt_f64_e32 vcc, v[115:116], v[117:118]
	v_cndmask_b32_e32 v81, v81, v111, vcc
	v_mov_b32_e32 v111, s0
	s_add_i32 s0, s0, 1
	v_cndmask_b32_e32 v82, v82, v112, vcc
	v_cndmask_b32_e32 v84, v84, v114, vcc
	;; [unrolled: 1-line block ×4, first 2 shown]
	s_cmp_lg_u32 s3, s0
	s_cbranch_scc1 .LBB60_232
.LBB60_233:
	s_waitcnt lgkmcnt(0)
	v_cmp_eq_f64_e32 vcc, 0, v[81:82]
	v_cmp_eq_f64_e64 s[0:1], 0, v[83:84]
	s_and_b64 s[0:1], vcc, s[0:1]
	s_and_saveexec_b64 s[18:19], s[0:1]
	s_xor_b64 s[0:1], exec, s[18:19]
; %bb.234:
	v_cmp_ne_u32_e32 vcc, 0, v107
	v_cndmask_b32_e32 v107, 12, v107, vcc
; %bb.235:
	s_andn2_saveexec_b64 s[0:1], s[0:1]
	s_cbranch_execz .LBB60_241
; %bb.236:
	v_cmp_ngt_f64_e64 s[18:19], |v[81:82]|, |v[83:84]|
	s_and_saveexec_b64 s[20:21], s[18:19]
	s_xor_b64 s[18:19], exec, s[20:21]
	s_cbranch_execz .LBB60_238
; %bb.237:
	v_div_scale_f64 v[110:111], s[20:21], v[83:84], v[83:84], v[81:82]
	v_rcp_f64_e32 v[112:113], v[110:111]
	v_fma_f64 v[114:115], -v[110:111], v[112:113], 1.0
	v_fma_f64 v[112:113], v[112:113], v[114:115], v[112:113]
	v_div_scale_f64 v[114:115], vcc, v[81:82], v[83:84], v[81:82]
	v_fma_f64 v[116:117], -v[110:111], v[112:113], 1.0
	v_fma_f64 v[112:113], v[112:113], v[116:117], v[112:113]
	v_mul_f64 v[116:117], v[114:115], v[112:113]
	v_fma_f64 v[110:111], -v[110:111], v[116:117], v[114:115]
	v_div_fmas_f64 v[110:111], v[110:111], v[112:113], v[116:117]
	v_div_fixup_f64 v[110:111], v[110:111], v[83:84], v[81:82]
	v_fma_f64 v[81:82], v[81:82], v[110:111], v[83:84]
	v_div_scale_f64 v[83:84], s[20:21], v[81:82], v[81:82], 1.0
	v_div_scale_f64 v[116:117], vcc, 1.0, v[81:82], 1.0
	v_rcp_f64_e32 v[112:113], v[83:84]
	v_fma_f64 v[114:115], -v[83:84], v[112:113], 1.0
	v_fma_f64 v[112:113], v[112:113], v[114:115], v[112:113]
	v_fma_f64 v[114:115], -v[83:84], v[112:113], 1.0
	v_fma_f64 v[112:113], v[112:113], v[114:115], v[112:113]
	v_mul_f64 v[114:115], v[116:117], v[112:113]
	v_fma_f64 v[83:84], -v[83:84], v[114:115], v[116:117]
	v_div_fmas_f64 v[83:84], v[83:84], v[112:113], v[114:115]
	v_div_fixup_f64 v[83:84], v[83:84], v[81:82], 1.0
	v_mul_f64 v[81:82], v[110:111], v[83:84]
	v_xor_b32_e32 v84, 0x80000000, v84
.LBB60_238:
	s_andn2_saveexec_b64 s[18:19], s[18:19]
	s_cbranch_execz .LBB60_240
; %bb.239:
	v_div_scale_f64 v[110:111], s[20:21], v[81:82], v[81:82], v[83:84]
	v_rcp_f64_e32 v[112:113], v[110:111]
	v_fma_f64 v[114:115], -v[110:111], v[112:113], 1.0
	v_fma_f64 v[112:113], v[112:113], v[114:115], v[112:113]
	v_div_scale_f64 v[114:115], vcc, v[83:84], v[81:82], v[83:84]
	v_fma_f64 v[116:117], -v[110:111], v[112:113], 1.0
	v_fma_f64 v[112:113], v[112:113], v[116:117], v[112:113]
	v_mul_f64 v[116:117], v[114:115], v[112:113]
	v_fma_f64 v[110:111], -v[110:111], v[116:117], v[114:115]
	v_div_fmas_f64 v[110:111], v[110:111], v[112:113], v[116:117]
	v_div_fixup_f64 v[110:111], v[110:111], v[81:82], v[83:84]
	v_fma_f64 v[81:82], v[83:84], v[110:111], v[81:82]
	v_div_scale_f64 v[83:84], s[20:21], v[81:82], v[81:82], 1.0
	v_div_scale_f64 v[116:117], vcc, 1.0, v[81:82], 1.0
	v_rcp_f64_e32 v[112:113], v[83:84]
	v_fma_f64 v[114:115], -v[83:84], v[112:113], 1.0
	v_fma_f64 v[112:113], v[112:113], v[114:115], v[112:113]
	v_fma_f64 v[114:115], -v[83:84], v[112:113], 1.0
	v_fma_f64 v[112:113], v[112:113], v[114:115], v[112:113]
	v_mul_f64 v[114:115], v[116:117], v[112:113]
	v_fma_f64 v[83:84], -v[83:84], v[114:115], v[116:117]
	v_div_fmas_f64 v[83:84], v[83:84], v[112:113], v[114:115]
	v_div_fixup_f64 v[81:82], v[83:84], v[81:82], 1.0
	v_mul_f64 v[83:84], v[110:111], -v[81:82]
.LBB60_240:
	s_or_b64 exec, exec, s[18:19]
.LBB60_241:
	s_or_b64 exec, exec, s[0:1]
	v_cmp_ne_u32_e32 vcc, v108, v109
	s_and_saveexec_b64 s[0:1], vcc
	s_xor_b64 s[0:1], exec, s[0:1]
	s_cbranch_execz .LBB60_247
; %bb.242:
	v_cmp_eq_u32_e32 vcc, 11, v108
	s_and_saveexec_b64 s[18:19], vcc
	s_cbranch_execz .LBB60_246
; %bb.243:
	v_cmp_ne_u32_e32 vcc, 11, v109
	s_xor_b64 s[20:21], s[6:7], -1
	s_and_b64 s[22:23], s[20:21], vcc
	s_and_saveexec_b64 s[20:21], s[22:23]
	s_cbranch_execz .LBB60_245
; %bb.244:
	buffer_load_dword v112, off, s[24:27], 0 offset:64 ; 4-byte Folded Reload
	buffer_load_dword v113, off, s[24:27], 0 offset:68 ; 4-byte Folded Reload
	v_ashrrev_i32_e32 v110, 31, v109
	v_lshlrev_b64 v[110:111], 2, v[109:110]
	s_waitcnt vmcnt(1)
	v_add_co_u32_e32 v110, vcc, v112, v110
	s_waitcnt vmcnt(0)
	v_addc_co_u32_e32 v111, vcc, v113, v111, vcc
	global_load_dword v0, v[110:111], off
	global_load_dword v108, v[112:113], off offset:44
	s_waitcnt vmcnt(1)
	global_store_dword v[112:113], v0, off offset:44
	s_waitcnt vmcnt(1)
	global_store_dword v[110:111], v108, off
.LBB60_245:
	s_or_b64 exec, exec, s[20:21]
	v_mov_b32_e32 v108, v109
	v_mov_b32_e32 v0, v109
.LBB60_246:
	s_or_b64 exec, exec, s[18:19]
.LBB60_247:
	s_andn2_saveexec_b64 s[0:1], s[0:1]
	s_cbranch_execz .LBB60_249
; %bb.248:
	v_mov_b32_e32 v108, 11
	ds_write2_b64 v106, v[69:70], v[71:72] offset0:24 offset1:25
	ds_write2_b64 v106, v[65:66], v[67:68] offset0:26 offset1:27
	;; [unrolled: 1-line block ×19, first 2 shown]
.LBB60_249:
	s_or_b64 exec, exec, s[0:1]
	v_cmp_lt_i32_e32 vcc, 11, v108
	s_waitcnt vmcnt(0) lgkmcnt(0)
	s_barrier
	s_and_saveexec_b64 s[0:1], vcc
	s_cbranch_execz .LBB60_251
; %bb.250:
	v_mul_f64 v[109:110], v[83:84], v[75:76]
	v_mul_f64 v[75:76], v[81:82], v[75:76]
	v_fma_f64 v[125:126], v[81:82], v[73:74], -v[109:110]
	v_fma_f64 v[75:76], v[83:84], v[73:74], v[75:76]
	ds_read2_b64 v[81:84], v106 offset0:24 offset1:25
	s_waitcnt lgkmcnt(0)
	v_mul_f64 v[73:74], v[83:84], v[75:76]
	v_fma_f64 v[73:74], v[81:82], v[125:126], -v[73:74]
	v_mul_f64 v[81:82], v[81:82], v[75:76]
	v_add_f64 v[69:70], v[69:70], -v[73:74]
	v_fma_f64 v[81:82], v[83:84], v[125:126], v[81:82]
	v_add_f64 v[71:72], v[71:72], -v[81:82]
	ds_read2_b64 v[81:84], v106 offset0:26 offset1:27
	s_waitcnt lgkmcnt(0)
	v_mul_f64 v[73:74], v[83:84], v[75:76]
	v_fma_f64 v[73:74], v[81:82], v[125:126], -v[73:74]
	v_mul_f64 v[81:82], v[81:82], v[75:76]
	v_add_f64 v[65:66], v[65:66], -v[73:74]
	v_fma_f64 v[81:82], v[83:84], v[125:126], v[81:82]
	v_add_f64 v[67:68], v[67:68], -v[81:82]
	;; [unrolled: 8-line block ×18, first 2 shown]
	ds_read2_b64 v[81:84], v106 offset0:60 offset1:61
	s_waitcnt lgkmcnt(0)
	v_mul_f64 v[73:74], v[83:84], v[75:76]
	v_fma_f64 v[73:74], v[81:82], v[125:126], -v[73:74]
	v_mul_f64 v[81:82], v[81:82], v[75:76]
	v_add_f64 v[121:122], v[121:122], -v[73:74]
	v_fma_f64 v[81:82], v[83:84], v[125:126], v[81:82]
	v_mov_b32_e32 v73, v125
	v_mov_b32_e32 v74, v126
	v_add_f64 v[123:124], v[123:124], -v[81:82]
.LBB60_251:
	s_or_b64 exec, exec, s[0:1]
	v_lshl_add_u32 v81, v108, 4, v106
	s_barrier
	ds_write2_b64 v81, v[69:70], v[71:72] offset1:1
	s_waitcnt lgkmcnt(0)
	s_barrier
	ds_read2_b64 v[81:84], v106 offset0:24 offset1:25
	s_cmp_lt_i32 s3, 14
	v_mov_b32_e32 v109, 12
	s_cbranch_scc1 .LBB60_254
; %bb.252:
	v_add_u32_e32 v110, 0xd0, v106
	s_mov_b32 s0, 13
	v_mov_b32_e32 v109, 12
.LBB60_253:                             ; =>This Inner Loop Header: Depth=1
	s_waitcnt lgkmcnt(0)
	v_cmp_gt_f64_e32 vcc, 0, v[81:82]
	v_xor_b32_e32 v115, 0x80000000, v82
	ds_read2_b64 v[111:114], v110 offset1:1
	v_xor_b32_e32 v117, 0x80000000, v84
	v_add_u32_e32 v110, 16, v110
	s_waitcnt lgkmcnt(0)
	v_xor_b32_e32 v119, 0x80000000, v114
	v_cndmask_b32_e32 v116, v82, v115, vcc
	v_cmp_gt_f64_e32 vcc, 0, v[83:84]
	v_mov_b32_e32 v115, v81
	v_cndmask_b32_e32 v118, v84, v117, vcc
	v_cmp_gt_f64_e32 vcc, 0, v[111:112]
	v_mov_b32_e32 v117, v83
	v_add_f64 v[115:116], v[115:116], v[117:118]
	v_xor_b32_e32 v117, 0x80000000, v112
	v_cndmask_b32_e32 v118, v112, v117, vcc
	v_cmp_gt_f64_e32 vcc, 0, v[113:114]
	v_mov_b32_e32 v117, v111
	v_cndmask_b32_e32 v120, v114, v119, vcc
	v_mov_b32_e32 v119, v113
	v_add_f64 v[117:118], v[117:118], v[119:120]
	v_cmp_lt_f64_e32 vcc, v[115:116], v[117:118]
	v_cndmask_b32_e32 v81, v81, v111, vcc
	v_mov_b32_e32 v111, s0
	s_add_i32 s0, s0, 1
	v_cndmask_b32_e32 v82, v82, v112, vcc
	v_cndmask_b32_e32 v84, v84, v114, vcc
	;; [unrolled: 1-line block ×4, first 2 shown]
	s_cmp_lg_u32 s3, s0
	s_cbranch_scc1 .LBB60_253
.LBB60_254:
	s_waitcnt lgkmcnt(0)
	v_cmp_eq_f64_e32 vcc, 0, v[81:82]
	v_cmp_eq_f64_e64 s[0:1], 0, v[83:84]
	s_and_b64 s[0:1], vcc, s[0:1]
	s_and_saveexec_b64 s[18:19], s[0:1]
	s_xor_b64 s[0:1], exec, s[18:19]
; %bb.255:
	v_cmp_ne_u32_e32 vcc, 0, v107
	v_cndmask_b32_e32 v107, 13, v107, vcc
; %bb.256:
	s_andn2_saveexec_b64 s[0:1], s[0:1]
	s_cbranch_execz .LBB60_262
; %bb.257:
	v_cmp_ngt_f64_e64 s[18:19], |v[81:82]|, |v[83:84]|
	s_and_saveexec_b64 s[20:21], s[18:19]
	s_xor_b64 s[18:19], exec, s[20:21]
	s_cbranch_execz .LBB60_259
; %bb.258:
	v_div_scale_f64 v[110:111], s[20:21], v[83:84], v[83:84], v[81:82]
	v_rcp_f64_e32 v[112:113], v[110:111]
	v_fma_f64 v[114:115], -v[110:111], v[112:113], 1.0
	v_fma_f64 v[112:113], v[112:113], v[114:115], v[112:113]
	v_div_scale_f64 v[114:115], vcc, v[81:82], v[83:84], v[81:82]
	v_fma_f64 v[116:117], -v[110:111], v[112:113], 1.0
	v_fma_f64 v[112:113], v[112:113], v[116:117], v[112:113]
	v_mul_f64 v[116:117], v[114:115], v[112:113]
	v_fma_f64 v[110:111], -v[110:111], v[116:117], v[114:115]
	v_div_fmas_f64 v[110:111], v[110:111], v[112:113], v[116:117]
	v_div_fixup_f64 v[110:111], v[110:111], v[83:84], v[81:82]
	v_fma_f64 v[81:82], v[81:82], v[110:111], v[83:84]
	v_div_scale_f64 v[83:84], s[20:21], v[81:82], v[81:82], 1.0
	v_div_scale_f64 v[116:117], vcc, 1.0, v[81:82], 1.0
	v_rcp_f64_e32 v[112:113], v[83:84]
	v_fma_f64 v[114:115], -v[83:84], v[112:113], 1.0
	v_fma_f64 v[112:113], v[112:113], v[114:115], v[112:113]
	v_fma_f64 v[114:115], -v[83:84], v[112:113], 1.0
	v_fma_f64 v[112:113], v[112:113], v[114:115], v[112:113]
	v_mul_f64 v[114:115], v[116:117], v[112:113]
	v_fma_f64 v[83:84], -v[83:84], v[114:115], v[116:117]
	v_div_fmas_f64 v[83:84], v[83:84], v[112:113], v[114:115]
	v_div_fixup_f64 v[83:84], v[83:84], v[81:82], 1.0
	v_mul_f64 v[81:82], v[110:111], v[83:84]
	v_xor_b32_e32 v84, 0x80000000, v84
.LBB60_259:
	s_andn2_saveexec_b64 s[18:19], s[18:19]
	s_cbranch_execz .LBB60_261
; %bb.260:
	v_div_scale_f64 v[110:111], s[20:21], v[81:82], v[81:82], v[83:84]
	v_rcp_f64_e32 v[112:113], v[110:111]
	v_fma_f64 v[114:115], -v[110:111], v[112:113], 1.0
	v_fma_f64 v[112:113], v[112:113], v[114:115], v[112:113]
	v_div_scale_f64 v[114:115], vcc, v[83:84], v[81:82], v[83:84]
	v_fma_f64 v[116:117], -v[110:111], v[112:113], 1.0
	v_fma_f64 v[112:113], v[112:113], v[116:117], v[112:113]
	v_mul_f64 v[116:117], v[114:115], v[112:113]
	v_fma_f64 v[110:111], -v[110:111], v[116:117], v[114:115]
	v_div_fmas_f64 v[110:111], v[110:111], v[112:113], v[116:117]
	v_div_fixup_f64 v[110:111], v[110:111], v[81:82], v[83:84]
	v_fma_f64 v[81:82], v[83:84], v[110:111], v[81:82]
	v_div_scale_f64 v[83:84], s[20:21], v[81:82], v[81:82], 1.0
	v_div_scale_f64 v[116:117], vcc, 1.0, v[81:82], 1.0
	v_rcp_f64_e32 v[112:113], v[83:84]
	v_fma_f64 v[114:115], -v[83:84], v[112:113], 1.0
	v_fma_f64 v[112:113], v[112:113], v[114:115], v[112:113]
	v_fma_f64 v[114:115], -v[83:84], v[112:113], 1.0
	v_fma_f64 v[112:113], v[112:113], v[114:115], v[112:113]
	v_mul_f64 v[114:115], v[116:117], v[112:113]
	v_fma_f64 v[83:84], -v[83:84], v[114:115], v[116:117]
	v_div_fmas_f64 v[83:84], v[83:84], v[112:113], v[114:115]
	v_div_fixup_f64 v[81:82], v[83:84], v[81:82], 1.0
	v_mul_f64 v[83:84], v[110:111], -v[81:82]
.LBB60_261:
	s_or_b64 exec, exec, s[18:19]
.LBB60_262:
	s_or_b64 exec, exec, s[0:1]
	v_cmp_ne_u32_e32 vcc, v108, v109
	s_and_saveexec_b64 s[0:1], vcc
	s_xor_b64 s[0:1], exec, s[0:1]
	s_cbranch_execz .LBB60_268
; %bb.263:
	v_cmp_eq_u32_e32 vcc, 12, v108
	s_and_saveexec_b64 s[18:19], vcc
	s_cbranch_execz .LBB60_267
; %bb.264:
	v_cmp_ne_u32_e32 vcc, 12, v109
	s_xor_b64 s[20:21], s[6:7], -1
	s_and_b64 s[22:23], s[20:21], vcc
	s_and_saveexec_b64 s[20:21], s[22:23]
	s_cbranch_execz .LBB60_266
; %bb.265:
	buffer_load_dword v112, off, s[24:27], 0 offset:64 ; 4-byte Folded Reload
	buffer_load_dword v113, off, s[24:27], 0 offset:68 ; 4-byte Folded Reload
	v_ashrrev_i32_e32 v110, 31, v109
	v_lshlrev_b64 v[110:111], 2, v[109:110]
	s_waitcnt vmcnt(1)
	v_add_co_u32_e32 v110, vcc, v112, v110
	s_waitcnt vmcnt(0)
	v_addc_co_u32_e32 v111, vcc, v113, v111, vcc
	global_load_dword v0, v[110:111], off
	global_load_dword v108, v[112:113], off offset:48
	s_waitcnt vmcnt(1)
	global_store_dword v[112:113], v0, off offset:48
	s_waitcnt vmcnt(1)
	global_store_dword v[110:111], v108, off
.LBB60_266:
	s_or_b64 exec, exec, s[20:21]
	v_mov_b32_e32 v108, v109
	v_mov_b32_e32 v0, v109
.LBB60_267:
	s_or_b64 exec, exec, s[18:19]
.LBB60_268:
	s_andn2_saveexec_b64 s[0:1], s[0:1]
	s_cbranch_execz .LBB60_270
; %bb.269:
	v_mov_b32_e32 v108, 12
	ds_write2_b64 v106, v[65:66], v[67:68] offset0:26 offset1:27
	ds_write2_b64 v106, v[61:62], v[63:64] offset0:28 offset1:29
	;; [unrolled: 1-line block ×18, first 2 shown]
.LBB60_270:
	s_or_b64 exec, exec, s[0:1]
	v_cmp_lt_i32_e32 vcc, 12, v108
	s_waitcnt vmcnt(0) lgkmcnt(0)
	s_barrier
	s_and_saveexec_b64 s[0:1], vcc
	s_cbranch_execz .LBB60_272
; %bb.271:
	v_mul_f64 v[109:110], v[83:84], v[71:72]
	v_mul_f64 v[71:72], v[81:82], v[71:72]
	v_fma_f64 v[125:126], v[81:82], v[69:70], -v[109:110]
	v_fma_f64 v[71:72], v[83:84], v[69:70], v[71:72]
	ds_read2_b64 v[81:84], v106 offset0:26 offset1:27
	s_waitcnt lgkmcnt(0)
	v_mul_f64 v[69:70], v[83:84], v[71:72]
	v_fma_f64 v[69:70], v[81:82], v[125:126], -v[69:70]
	v_mul_f64 v[81:82], v[81:82], v[71:72]
	v_add_f64 v[65:66], v[65:66], -v[69:70]
	v_fma_f64 v[81:82], v[83:84], v[125:126], v[81:82]
	v_add_f64 v[67:68], v[67:68], -v[81:82]
	ds_read2_b64 v[81:84], v106 offset0:28 offset1:29
	s_waitcnt lgkmcnt(0)
	v_mul_f64 v[69:70], v[83:84], v[71:72]
	v_fma_f64 v[69:70], v[81:82], v[125:126], -v[69:70]
	v_mul_f64 v[81:82], v[81:82], v[71:72]
	v_add_f64 v[61:62], v[61:62], -v[69:70]
	v_fma_f64 v[81:82], v[83:84], v[125:126], v[81:82]
	v_add_f64 v[63:64], v[63:64], -v[81:82]
	;; [unrolled: 8-line block ×17, first 2 shown]
	ds_read2_b64 v[81:84], v106 offset0:60 offset1:61
	s_waitcnt lgkmcnt(0)
	v_mul_f64 v[69:70], v[83:84], v[71:72]
	v_fma_f64 v[69:70], v[81:82], v[125:126], -v[69:70]
	v_mul_f64 v[81:82], v[81:82], v[71:72]
	v_add_f64 v[121:122], v[121:122], -v[69:70]
	v_fma_f64 v[81:82], v[83:84], v[125:126], v[81:82]
	v_mov_b32_e32 v69, v125
	v_mov_b32_e32 v70, v126
	v_add_f64 v[123:124], v[123:124], -v[81:82]
.LBB60_272:
	s_or_b64 exec, exec, s[0:1]
	v_lshl_add_u32 v81, v108, 4, v106
	s_barrier
	ds_write2_b64 v81, v[65:66], v[67:68] offset1:1
	s_waitcnt lgkmcnt(0)
	s_barrier
	ds_read2_b64 v[81:84], v106 offset0:26 offset1:27
	s_cmp_lt_i32 s3, 15
	v_mov_b32_e32 v109, 13
	s_cbranch_scc1 .LBB60_275
; %bb.273:
	v_add_u32_e32 v110, 0xe0, v106
	s_mov_b32 s0, 14
	v_mov_b32_e32 v109, 13
.LBB60_274:                             ; =>This Inner Loop Header: Depth=1
	s_waitcnt lgkmcnt(0)
	v_cmp_gt_f64_e32 vcc, 0, v[81:82]
	v_xor_b32_e32 v115, 0x80000000, v82
	ds_read2_b64 v[111:114], v110 offset1:1
	v_xor_b32_e32 v117, 0x80000000, v84
	v_add_u32_e32 v110, 16, v110
	s_waitcnt lgkmcnt(0)
	v_xor_b32_e32 v119, 0x80000000, v114
	v_cndmask_b32_e32 v116, v82, v115, vcc
	v_cmp_gt_f64_e32 vcc, 0, v[83:84]
	v_mov_b32_e32 v115, v81
	v_cndmask_b32_e32 v118, v84, v117, vcc
	v_cmp_gt_f64_e32 vcc, 0, v[111:112]
	v_mov_b32_e32 v117, v83
	v_add_f64 v[115:116], v[115:116], v[117:118]
	v_xor_b32_e32 v117, 0x80000000, v112
	v_cndmask_b32_e32 v118, v112, v117, vcc
	v_cmp_gt_f64_e32 vcc, 0, v[113:114]
	v_mov_b32_e32 v117, v111
	v_cndmask_b32_e32 v120, v114, v119, vcc
	v_mov_b32_e32 v119, v113
	v_add_f64 v[117:118], v[117:118], v[119:120]
	v_cmp_lt_f64_e32 vcc, v[115:116], v[117:118]
	v_cndmask_b32_e32 v81, v81, v111, vcc
	v_mov_b32_e32 v111, s0
	s_add_i32 s0, s0, 1
	v_cndmask_b32_e32 v82, v82, v112, vcc
	v_cndmask_b32_e32 v84, v84, v114, vcc
	v_cndmask_b32_e32 v83, v83, v113, vcc
	v_cndmask_b32_e32 v109, v109, v111, vcc
	s_cmp_lg_u32 s3, s0
	s_cbranch_scc1 .LBB60_274
.LBB60_275:
	s_waitcnt lgkmcnt(0)
	v_cmp_eq_f64_e32 vcc, 0, v[81:82]
	v_cmp_eq_f64_e64 s[0:1], 0, v[83:84]
	s_and_b64 s[0:1], vcc, s[0:1]
	s_and_saveexec_b64 s[18:19], s[0:1]
	s_xor_b64 s[0:1], exec, s[18:19]
; %bb.276:
	v_cmp_ne_u32_e32 vcc, 0, v107
	v_cndmask_b32_e32 v107, 14, v107, vcc
; %bb.277:
	s_andn2_saveexec_b64 s[0:1], s[0:1]
	s_cbranch_execz .LBB60_283
; %bb.278:
	v_cmp_ngt_f64_e64 s[18:19], |v[81:82]|, |v[83:84]|
	s_and_saveexec_b64 s[20:21], s[18:19]
	s_xor_b64 s[18:19], exec, s[20:21]
	s_cbranch_execz .LBB60_280
; %bb.279:
	v_div_scale_f64 v[110:111], s[20:21], v[83:84], v[83:84], v[81:82]
	v_rcp_f64_e32 v[112:113], v[110:111]
	v_fma_f64 v[114:115], -v[110:111], v[112:113], 1.0
	v_fma_f64 v[112:113], v[112:113], v[114:115], v[112:113]
	v_div_scale_f64 v[114:115], vcc, v[81:82], v[83:84], v[81:82]
	v_fma_f64 v[116:117], -v[110:111], v[112:113], 1.0
	v_fma_f64 v[112:113], v[112:113], v[116:117], v[112:113]
	v_mul_f64 v[116:117], v[114:115], v[112:113]
	v_fma_f64 v[110:111], -v[110:111], v[116:117], v[114:115]
	v_div_fmas_f64 v[110:111], v[110:111], v[112:113], v[116:117]
	v_div_fixup_f64 v[110:111], v[110:111], v[83:84], v[81:82]
	v_fma_f64 v[81:82], v[81:82], v[110:111], v[83:84]
	v_div_scale_f64 v[83:84], s[20:21], v[81:82], v[81:82], 1.0
	v_div_scale_f64 v[116:117], vcc, 1.0, v[81:82], 1.0
	v_rcp_f64_e32 v[112:113], v[83:84]
	v_fma_f64 v[114:115], -v[83:84], v[112:113], 1.0
	v_fma_f64 v[112:113], v[112:113], v[114:115], v[112:113]
	v_fma_f64 v[114:115], -v[83:84], v[112:113], 1.0
	v_fma_f64 v[112:113], v[112:113], v[114:115], v[112:113]
	v_mul_f64 v[114:115], v[116:117], v[112:113]
	v_fma_f64 v[83:84], -v[83:84], v[114:115], v[116:117]
	v_div_fmas_f64 v[83:84], v[83:84], v[112:113], v[114:115]
	v_div_fixup_f64 v[83:84], v[83:84], v[81:82], 1.0
	v_mul_f64 v[81:82], v[110:111], v[83:84]
	v_xor_b32_e32 v84, 0x80000000, v84
.LBB60_280:
	s_andn2_saveexec_b64 s[18:19], s[18:19]
	s_cbranch_execz .LBB60_282
; %bb.281:
	v_div_scale_f64 v[110:111], s[20:21], v[81:82], v[81:82], v[83:84]
	v_rcp_f64_e32 v[112:113], v[110:111]
	v_fma_f64 v[114:115], -v[110:111], v[112:113], 1.0
	v_fma_f64 v[112:113], v[112:113], v[114:115], v[112:113]
	v_div_scale_f64 v[114:115], vcc, v[83:84], v[81:82], v[83:84]
	v_fma_f64 v[116:117], -v[110:111], v[112:113], 1.0
	v_fma_f64 v[112:113], v[112:113], v[116:117], v[112:113]
	v_mul_f64 v[116:117], v[114:115], v[112:113]
	v_fma_f64 v[110:111], -v[110:111], v[116:117], v[114:115]
	v_div_fmas_f64 v[110:111], v[110:111], v[112:113], v[116:117]
	v_div_fixup_f64 v[110:111], v[110:111], v[81:82], v[83:84]
	v_fma_f64 v[81:82], v[83:84], v[110:111], v[81:82]
	v_div_scale_f64 v[83:84], s[20:21], v[81:82], v[81:82], 1.0
	v_div_scale_f64 v[116:117], vcc, 1.0, v[81:82], 1.0
	v_rcp_f64_e32 v[112:113], v[83:84]
	v_fma_f64 v[114:115], -v[83:84], v[112:113], 1.0
	v_fma_f64 v[112:113], v[112:113], v[114:115], v[112:113]
	v_fma_f64 v[114:115], -v[83:84], v[112:113], 1.0
	v_fma_f64 v[112:113], v[112:113], v[114:115], v[112:113]
	v_mul_f64 v[114:115], v[116:117], v[112:113]
	v_fma_f64 v[83:84], -v[83:84], v[114:115], v[116:117]
	v_div_fmas_f64 v[83:84], v[83:84], v[112:113], v[114:115]
	v_div_fixup_f64 v[81:82], v[83:84], v[81:82], 1.0
	v_mul_f64 v[83:84], v[110:111], -v[81:82]
.LBB60_282:
	s_or_b64 exec, exec, s[18:19]
.LBB60_283:
	s_or_b64 exec, exec, s[0:1]
	v_cmp_ne_u32_e32 vcc, v108, v109
	s_and_saveexec_b64 s[0:1], vcc
	s_xor_b64 s[0:1], exec, s[0:1]
	s_cbranch_execz .LBB60_289
; %bb.284:
	v_cmp_eq_u32_e32 vcc, 13, v108
	s_and_saveexec_b64 s[18:19], vcc
	s_cbranch_execz .LBB60_288
; %bb.285:
	v_cmp_ne_u32_e32 vcc, 13, v109
	s_xor_b64 s[20:21], s[6:7], -1
	s_and_b64 s[22:23], s[20:21], vcc
	s_and_saveexec_b64 s[20:21], s[22:23]
	s_cbranch_execz .LBB60_287
; %bb.286:
	buffer_load_dword v112, off, s[24:27], 0 offset:64 ; 4-byte Folded Reload
	buffer_load_dword v113, off, s[24:27], 0 offset:68 ; 4-byte Folded Reload
	v_ashrrev_i32_e32 v110, 31, v109
	v_lshlrev_b64 v[110:111], 2, v[109:110]
	s_waitcnt vmcnt(1)
	v_add_co_u32_e32 v110, vcc, v112, v110
	s_waitcnt vmcnt(0)
	v_addc_co_u32_e32 v111, vcc, v113, v111, vcc
	global_load_dword v0, v[110:111], off
	global_load_dword v108, v[112:113], off offset:52
	s_waitcnt vmcnt(1)
	global_store_dword v[112:113], v0, off offset:52
	s_waitcnt vmcnt(1)
	global_store_dword v[110:111], v108, off
.LBB60_287:
	s_or_b64 exec, exec, s[20:21]
	v_mov_b32_e32 v108, v109
	v_mov_b32_e32 v0, v109
.LBB60_288:
	s_or_b64 exec, exec, s[18:19]
.LBB60_289:
	s_andn2_saveexec_b64 s[0:1], s[0:1]
	s_cbranch_execz .LBB60_291
; %bb.290:
	v_mov_b32_e32 v108, 13
	ds_write2_b64 v106, v[61:62], v[63:64] offset0:28 offset1:29
	ds_write2_b64 v106, v[57:58], v[59:60] offset0:30 offset1:31
	;; [unrolled: 1-line block ×17, first 2 shown]
.LBB60_291:
	s_or_b64 exec, exec, s[0:1]
	v_cmp_lt_i32_e32 vcc, 13, v108
	s_waitcnt vmcnt(0) lgkmcnt(0)
	s_barrier
	s_and_saveexec_b64 s[0:1], vcc
	s_cbranch_execz .LBB60_293
; %bb.292:
	v_mul_f64 v[109:110], v[83:84], v[67:68]
	v_mul_f64 v[67:68], v[81:82], v[67:68]
	v_fma_f64 v[125:126], v[81:82], v[65:66], -v[109:110]
	v_fma_f64 v[67:68], v[83:84], v[65:66], v[67:68]
	ds_read2_b64 v[81:84], v106 offset0:28 offset1:29
	s_waitcnt lgkmcnt(0)
	v_mul_f64 v[65:66], v[83:84], v[67:68]
	v_fma_f64 v[65:66], v[81:82], v[125:126], -v[65:66]
	v_mul_f64 v[81:82], v[81:82], v[67:68]
	v_add_f64 v[61:62], v[61:62], -v[65:66]
	v_fma_f64 v[81:82], v[83:84], v[125:126], v[81:82]
	v_add_f64 v[63:64], v[63:64], -v[81:82]
	ds_read2_b64 v[81:84], v106 offset0:30 offset1:31
	s_waitcnt lgkmcnt(0)
	v_mul_f64 v[65:66], v[83:84], v[67:68]
	v_fma_f64 v[65:66], v[81:82], v[125:126], -v[65:66]
	v_mul_f64 v[81:82], v[81:82], v[67:68]
	v_add_f64 v[57:58], v[57:58], -v[65:66]
	v_fma_f64 v[81:82], v[83:84], v[125:126], v[81:82]
	v_add_f64 v[59:60], v[59:60], -v[81:82]
	;; [unrolled: 8-line block ×16, first 2 shown]
	ds_read2_b64 v[81:84], v106 offset0:60 offset1:61
	s_waitcnt lgkmcnt(0)
	v_mul_f64 v[65:66], v[83:84], v[67:68]
	v_fma_f64 v[65:66], v[81:82], v[125:126], -v[65:66]
	v_mul_f64 v[81:82], v[81:82], v[67:68]
	v_add_f64 v[121:122], v[121:122], -v[65:66]
	v_fma_f64 v[81:82], v[83:84], v[125:126], v[81:82]
	v_mov_b32_e32 v65, v125
	v_mov_b32_e32 v66, v126
	v_add_f64 v[123:124], v[123:124], -v[81:82]
.LBB60_293:
	s_or_b64 exec, exec, s[0:1]
	v_lshl_add_u32 v81, v108, 4, v106
	s_barrier
	ds_write2_b64 v81, v[61:62], v[63:64] offset1:1
	s_waitcnt lgkmcnt(0)
	s_barrier
	ds_read2_b64 v[81:84], v106 offset0:28 offset1:29
	s_cmp_lt_i32 s3, 16
	v_mov_b32_e32 v109, 14
	s_cbranch_scc1 .LBB60_296
; %bb.294:
	v_add_u32_e32 v110, 0xf0, v106
	s_mov_b32 s0, 15
	v_mov_b32_e32 v109, 14
.LBB60_295:                             ; =>This Inner Loop Header: Depth=1
	s_waitcnt lgkmcnt(0)
	v_cmp_gt_f64_e32 vcc, 0, v[81:82]
	v_xor_b32_e32 v115, 0x80000000, v82
	ds_read2_b64 v[111:114], v110 offset1:1
	v_xor_b32_e32 v117, 0x80000000, v84
	v_add_u32_e32 v110, 16, v110
	s_waitcnt lgkmcnt(0)
	v_xor_b32_e32 v119, 0x80000000, v114
	v_cndmask_b32_e32 v116, v82, v115, vcc
	v_cmp_gt_f64_e32 vcc, 0, v[83:84]
	v_mov_b32_e32 v115, v81
	v_cndmask_b32_e32 v118, v84, v117, vcc
	v_cmp_gt_f64_e32 vcc, 0, v[111:112]
	v_mov_b32_e32 v117, v83
	v_add_f64 v[115:116], v[115:116], v[117:118]
	v_xor_b32_e32 v117, 0x80000000, v112
	v_cndmask_b32_e32 v118, v112, v117, vcc
	v_cmp_gt_f64_e32 vcc, 0, v[113:114]
	v_mov_b32_e32 v117, v111
	v_cndmask_b32_e32 v120, v114, v119, vcc
	v_mov_b32_e32 v119, v113
	v_add_f64 v[117:118], v[117:118], v[119:120]
	v_cmp_lt_f64_e32 vcc, v[115:116], v[117:118]
	v_cndmask_b32_e32 v81, v81, v111, vcc
	v_mov_b32_e32 v111, s0
	s_add_i32 s0, s0, 1
	v_cndmask_b32_e32 v82, v82, v112, vcc
	v_cndmask_b32_e32 v84, v84, v114, vcc
	;; [unrolled: 1-line block ×4, first 2 shown]
	s_cmp_lg_u32 s3, s0
	s_cbranch_scc1 .LBB60_295
.LBB60_296:
	s_waitcnt lgkmcnt(0)
	v_cmp_eq_f64_e32 vcc, 0, v[81:82]
	v_cmp_eq_f64_e64 s[0:1], 0, v[83:84]
	s_and_b64 s[0:1], vcc, s[0:1]
	s_and_saveexec_b64 s[18:19], s[0:1]
	s_xor_b64 s[0:1], exec, s[18:19]
; %bb.297:
	v_cmp_ne_u32_e32 vcc, 0, v107
	v_cndmask_b32_e32 v107, 15, v107, vcc
; %bb.298:
	s_andn2_saveexec_b64 s[0:1], s[0:1]
	s_cbranch_execz .LBB60_304
; %bb.299:
	v_cmp_ngt_f64_e64 s[18:19], |v[81:82]|, |v[83:84]|
	s_and_saveexec_b64 s[20:21], s[18:19]
	s_xor_b64 s[18:19], exec, s[20:21]
	s_cbranch_execz .LBB60_301
; %bb.300:
	v_div_scale_f64 v[110:111], s[20:21], v[83:84], v[83:84], v[81:82]
	v_rcp_f64_e32 v[112:113], v[110:111]
	v_fma_f64 v[114:115], -v[110:111], v[112:113], 1.0
	v_fma_f64 v[112:113], v[112:113], v[114:115], v[112:113]
	v_div_scale_f64 v[114:115], vcc, v[81:82], v[83:84], v[81:82]
	v_fma_f64 v[116:117], -v[110:111], v[112:113], 1.0
	v_fma_f64 v[112:113], v[112:113], v[116:117], v[112:113]
	v_mul_f64 v[116:117], v[114:115], v[112:113]
	v_fma_f64 v[110:111], -v[110:111], v[116:117], v[114:115]
	v_div_fmas_f64 v[110:111], v[110:111], v[112:113], v[116:117]
	v_div_fixup_f64 v[110:111], v[110:111], v[83:84], v[81:82]
	v_fma_f64 v[81:82], v[81:82], v[110:111], v[83:84]
	v_div_scale_f64 v[83:84], s[20:21], v[81:82], v[81:82], 1.0
	v_div_scale_f64 v[116:117], vcc, 1.0, v[81:82], 1.0
	v_rcp_f64_e32 v[112:113], v[83:84]
	v_fma_f64 v[114:115], -v[83:84], v[112:113], 1.0
	v_fma_f64 v[112:113], v[112:113], v[114:115], v[112:113]
	v_fma_f64 v[114:115], -v[83:84], v[112:113], 1.0
	v_fma_f64 v[112:113], v[112:113], v[114:115], v[112:113]
	v_mul_f64 v[114:115], v[116:117], v[112:113]
	v_fma_f64 v[83:84], -v[83:84], v[114:115], v[116:117]
	v_div_fmas_f64 v[83:84], v[83:84], v[112:113], v[114:115]
	v_div_fixup_f64 v[83:84], v[83:84], v[81:82], 1.0
	v_mul_f64 v[81:82], v[110:111], v[83:84]
	v_xor_b32_e32 v84, 0x80000000, v84
.LBB60_301:
	s_andn2_saveexec_b64 s[18:19], s[18:19]
	s_cbranch_execz .LBB60_303
; %bb.302:
	v_div_scale_f64 v[110:111], s[20:21], v[81:82], v[81:82], v[83:84]
	v_rcp_f64_e32 v[112:113], v[110:111]
	v_fma_f64 v[114:115], -v[110:111], v[112:113], 1.0
	v_fma_f64 v[112:113], v[112:113], v[114:115], v[112:113]
	v_div_scale_f64 v[114:115], vcc, v[83:84], v[81:82], v[83:84]
	v_fma_f64 v[116:117], -v[110:111], v[112:113], 1.0
	v_fma_f64 v[112:113], v[112:113], v[116:117], v[112:113]
	v_mul_f64 v[116:117], v[114:115], v[112:113]
	v_fma_f64 v[110:111], -v[110:111], v[116:117], v[114:115]
	v_div_fmas_f64 v[110:111], v[110:111], v[112:113], v[116:117]
	v_div_fixup_f64 v[110:111], v[110:111], v[81:82], v[83:84]
	v_fma_f64 v[81:82], v[83:84], v[110:111], v[81:82]
	v_div_scale_f64 v[83:84], s[20:21], v[81:82], v[81:82], 1.0
	v_div_scale_f64 v[116:117], vcc, 1.0, v[81:82], 1.0
	v_rcp_f64_e32 v[112:113], v[83:84]
	v_fma_f64 v[114:115], -v[83:84], v[112:113], 1.0
	v_fma_f64 v[112:113], v[112:113], v[114:115], v[112:113]
	v_fma_f64 v[114:115], -v[83:84], v[112:113], 1.0
	v_fma_f64 v[112:113], v[112:113], v[114:115], v[112:113]
	v_mul_f64 v[114:115], v[116:117], v[112:113]
	v_fma_f64 v[83:84], -v[83:84], v[114:115], v[116:117]
	v_div_fmas_f64 v[83:84], v[83:84], v[112:113], v[114:115]
	v_div_fixup_f64 v[81:82], v[83:84], v[81:82], 1.0
	v_mul_f64 v[83:84], v[110:111], -v[81:82]
.LBB60_303:
	s_or_b64 exec, exec, s[18:19]
.LBB60_304:
	s_or_b64 exec, exec, s[0:1]
	v_cmp_ne_u32_e32 vcc, v108, v109
	s_and_saveexec_b64 s[0:1], vcc
	s_xor_b64 s[0:1], exec, s[0:1]
	s_cbranch_execz .LBB60_310
; %bb.305:
	v_cmp_eq_u32_e32 vcc, 14, v108
	s_and_saveexec_b64 s[18:19], vcc
	s_cbranch_execz .LBB60_309
; %bb.306:
	v_cmp_ne_u32_e32 vcc, 14, v109
	s_xor_b64 s[20:21], s[6:7], -1
	s_and_b64 s[22:23], s[20:21], vcc
	s_and_saveexec_b64 s[20:21], s[22:23]
	s_cbranch_execz .LBB60_308
; %bb.307:
	buffer_load_dword v112, off, s[24:27], 0 offset:64 ; 4-byte Folded Reload
	buffer_load_dword v113, off, s[24:27], 0 offset:68 ; 4-byte Folded Reload
	v_ashrrev_i32_e32 v110, 31, v109
	v_lshlrev_b64 v[110:111], 2, v[109:110]
	s_waitcnt vmcnt(1)
	v_add_co_u32_e32 v110, vcc, v112, v110
	s_waitcnt vmcnt(0)
	v_addc_co_u32_e32 v111, vcc, v113, v111, vcc
	global_load_dword v0, v[110:111], off
	global_load_dword v108, v[112:113], off offset:56
	s_waitcnt vmcnt(1)
	global_store_dword v[112:113], v0, off offset:56
	s_waitcnt vmcnt(1)
	global_store_dword v[110:111], v108, off
.LBB60_308:
	s_or_b64 exec, exec, s[20:21]
	v_mov_b32_e32 v108, v109
	v_mov_b32_e32 v0, v109
.LBB60_309:
	s_or_b64 exec, exec, s[18:19]
.LBB60_310:
	s_andn2_saveexec_b64 s[0:1], s[0:1]
	s_cbranch_execz .LBB60_312
; %bb.311:
	v_mov_b32_e32 v108, 14
	ds_write2_b64 v106, v[57:58], v[59:60] offset0:30 offset1:31
	ds_write2_b64 v106, v[53:54], v[55:56] offset0:32 offset1:33
	;; [unrolled: 1-line block ×16, first 2 shown]
.LBB60_312:
	s_or_b64 exec, exec, s[0:1]
	v_cmp_lt_i32_e32 vcc, 14, v108
	s_waitcnt vmcnt(0) lgkmcnt(0)
	s_barrier
	s_and_saveexec_b64 s[0:1], vcc
	s_cbranch_execz .LBB60_314
; %bb.313:
	v_mul_f64 v[109:110], v[81:82], v[63:64]
	v_mul_f64 v[63:64], v[83:84], v[63:64]
	v_fma_f64 v[125:126], v[83:84], v[61:62], v[109:110]
	v_fma_f64 v[61:62], v[81:82], v[61:62], -v[63:64]
	ds_read2_b64 v[81:84], v106 offset0:30 offset1:31
	s_waitcnt lgkmcnt(0)
	v_mul_f64 v[63:64], v[83:84], v[125:126]
	v_fma_f64 v[63:64], v[81:82], v[61:62], -v[63:64]
	v_mul_f64 v[81:82], v[81:82], v[125:126]
	v_add_f64 v[57:58], v[57:58], -v[63:64]
	v_fma_f64 v[81:82], v[83:84], v[61:62], v[81:82]
	v_add_f64 v[59:60], v[59:60], -v[81:82]
	ds_read2_b64 v[81:84], v106 offset0:32 offset1:33
	s_waitcnt lgkmcnt(0)
	v_mul_f64 v[63:64], v[83:84], v[125:126]
	v_fma_f64 v[63:64], v[81:82], v[61:62], -v[63:64]
	v_mul_f64 v[81:82], v[81:82], v[125:126]
	v_add_f64 v[53:54], v[53:54], -v[63:64]
	v_fma_f64 v[81:82], v[83:84], v[61:62], v[81:82]
	v_add_f64 v[55:56], v[55:56], -v[81:82]
	;; [unrolled: 8-line block ×15, first 2 shown]
	ds_read2_b64 v[81:84], v106 offset0:60 offset1:61
	s_waitcnt lgkmcnt(0)
	v_mul_f64 v[63:64], v[83:84], v[125:126]
	v_fma_f64 v[63:64], v[81:82], v[61:62], -v[63:64]
	v_mul_f64 v[81:82], v[81:82], v[125:126]
	v_add_f64 v[121:122], v[121:122], -v[63:64]
	v_fma_f64 v[81:82], v[83:84], v[61:62], v[81:82]
	v_mov_b32_e32 v63, v125
	v_mov_b32_e32 v64, v126
	v_add_f64 v[123:124], v[123:124], -v[81:82]
.LBB60_314:
	s_or_b64 exec, exec, s[0:1]
	v_lshl_add_u32 v81, v108, 4, v106
	s_barrier
	ds_write2_b64 v81, v[57:58], v[59:60] offset1:1
	s_waitcnt lgkmcnt(0)
	s_barrier
	ds_read2_b64 v[81:84], v106 offset0:30 offset1:31
	s_cmp_lt_i32 s3, 17
	v_mov_b32_e32 v109, 15
	s_cbranch_scc1 .LBB60_317
; %bb.315:
	v_add_u32_e32 v110, 0x100, v106
	s_mov_b32 s0, 16
	v_mov_b32_e32 v109, 15
.LBB60_316:                             ; =>This Inner Loop Header: Depth=1
	s_waitcnt lgkmcnt(0)
	v_cmp_gt_f64_e32 vcc, 0, v[81:82]
	v_xor_b32_e32 v115, 0x80000000, v82
	ds_read2_b64 v[111:114], v110 offset1:1
	v_xor_b32_e32 v117, 0x80000000, v84
	v_add_u32_e32 v110, 16, v110
	s_waitcnt lgkmcnt(0)
	v_xor_b32_e32 v119, 0x80000000, v114
	v_cndmask_b32_e32 v116, v82, v115, vcc
	v_cmp_gt_f64_e32 vcc, 0, v[83:84]
	v_mov_b32_e32 v115, v81
	v_cndmask_b32_e32 v118, v84, v117, vcc
	v_cmp_gt_f64_e32 vcc, 0, v[111:112]
	v_mov_b32_e32 v117, v83
	v_add_f64 v[115:116], v[115:116], v[117:118]
	v_xor_b32_e32 v117, 0x80000000, v112
	v_cndmask_b32_e32 v118, v112, v117, vcc
	v_cmp_gt_f64_e32 vcc, 0, v[113:114]
	v_mov_b32_e32 v117, v111
	v_cndmask_b32_e32 v120, v114, v119, vcc
	v_mov_b32_e32 v119, v113
	v_add_f64 v[117:118], v[117:118], v[119:120]
	v_cmp_lt_f64_e32 vcc, v[115:116], v[117:118]
	v_cndmask_b32_e32 v81, v81, v111, vcc
	v_mov_b32_e32 v111, s0
	s_add_i32 s0, s0, 1
	v_cndmask_b32_e32 v82, v82, v112, vcc
	v_cndmask_b32_e32 v84, v84, v114, vcc
	;; [unrolled: 1-line block ×4, first 2 shown]
	s_cmp_lg_u32 s3, s0
	s_cbranch_scc1 .LBB60_316
.LBB60_317:
	s_waitcnt lgkmcnt(0)
	v_cmp_eq_f64_e32 vcc, 0, v[81:82]
	v_cmp_eq_f64_e64 s[0:1], 0, v[83:84]
	s_and_b64 s[0:1], vcc, s[0:1]
	s_and_saveexec_b64 s[18:19], s[0:1]
	s_xor_b64 s[0:1], exec, s[18:19]
; %bb.318:
	v_cmp_ne_u32_e32 vcc, 0, v107
	v_cndmask_b32_e32 v107, 16, v107, vcc
; %bb.319:
	s_andn2_saveexec_b64 s[0:1], s[0:1]
	s_cbranch_execz .LBB60_325
; %bb.320:
	v_cmp_ngt_f64_e64 s[18:19], |v[81:82]|, |v[83:84]|
	s_and_saveexec_b64 s[20:21], s[18:19]
	s_xor_b64 s[18:19], exec, s[20:21]
	s_cbranch_execz .LBB60_322
; %bb.321:
	v_div_scale_f64 v[110:111], s[20:21], v[83:84], v[83:84], v[81:82]
	v_rcp_f64_e32 v[112:113], v[110:111]
	v_fma_f64 v[114:115], -v[110:111], v[112:113], 1.0
	v_fma_f64 v[112:113], v[112:113], v[114:115], v[112:113]
	v_div_scale_f64 v[114:115], vcc, v[81:82], v[83:84], v[81:82]
	v_fma_f64 v[116:117], -v[110:111], v[112:113], 1.0
	v_fma_f64 v[112:113], v[112:113], v[116:117], v[112:113]
	v_mul_f64 v[116:117], v[114:115], v[112:113]
	v_fma_f64 v[110:111], -v[110:111], v[116:117], v[114:115]
	v_div_fmas_f64 v[110:111], v[110:111], v[112:113], v[116:117]
	v_div_fixup_f64 v[110:111], v[110:111], v[83:84], v[81:82]
	v_fma_f64 v[81:82], v[81:82], v[110:111], v[83:84]
	v_div_scale_f64 v[83:84], s[20:21], v[81:82], v[81:82], 1.0
	v_div_scale_f64 v[116:117], vcc, 1.0, v[81:82], 1.0
	v_rcp_f64_e32 v[112:113], v[83:84]
	v_fma_f64 v[114:115], -v[83:84], v[112:113], 1.0
	v_fma_f64 v[112:113], v[112:113], v[114:115], v[112:113]
	v_fma_f64 v[114:115], -v[83:84], v[112:113], 1.0
	v_fma_f64 v[112:113], v[112:113], v[114:115], v[112:113]
	v_mul_f64 v[114:115], v[116:117], v[112:113]
	v_fma_f64 v[83:84], -v[83:84], v[114:115], v[116:117]
	v_div_fmas_f64 v[83:84], v[83:84], v[112:113], v[114:115]
	v_div_fixup_f64 v[83:84], v[83:84], v[81:82], 1.0
	v_mul_f64 v[81:82], v[110:111], v[83:84]
	v_xor_b32_e32 v84, 0x80000000, v84
.LBB60_322:
	s_andn2_saveexec_b64 s[18:19], s[18:19]
	s_cbranch_execz .LBB60_324
; %bb.323:
	v_div_scale_f64 v[110:111], s[20:21], v[81:82], v[81:82], v[83:84]
	v_rcp_f64_e32 v[112:113], v[110:111]
	v_fma_f64 v[114:115], -v[110:111], v[112:113], 1.0
	v_fma_f64 v[112:113], v[112:113], v[114:115], v[112:113]
	v_div_scale_f64 v[114:115], vcc, v[83:84], v[81:82], v[83:84]
	v_fma_f64 v[116:117], -v[110:111], v[112:113], 1.0
	v_fma_f64 v[112:113], v[112:113], v[116:117], v[112:113]
	v_mul_f64 v[116:117], v[114:115], v[112:113]
	v_fma_f64 v[110:111], -v[110:111], v[116:117], v[114:115]
	v_div_fmas_f64 v[110:111], v[110:111], v[112:113], v[116:117]
	v_div_fixup_f64 v[110:111], v[110:111], v[81:82], v[83:84]
	v_fma_f64 v[81:82], v[83:84], v[110:111], v[81:82]
	v_div_scale_f64 v[83:84], s[20:21], v[81:82], v[81:82], 1.0
	v_div_scale_f64 v[116:117], vcc, 1.0, v[81:82], 1.0
	v_rcp_f64_e32 v[112:113], v[83:84]
	v_fma_f64 v[114:115], -v[83:84], v[112:113], 1.0
	v_fma_f64 v[112:113], v[112:113], v[114:115], v[112:113]
	v_fma_f64 v[114:115], -v[83:84], v[112:113], 1.0
	v_fma_f64 v[112:113], v[112:113], v[114:115], v[112:113]
	v_mul_f64 v[114:115], v[116:117], v[112:113]
	v_fma_f64 v[83:84], -v[83:84], v[114:115], v[116:117]
	v_div_fmas_f64 v[83:84], v[83:84], v[112:113], v[114:115]
	v_div_fixup_f64 v[81:82], v[83:84], v[81:82], 1.0
	v_mul_f64 v[83:84], v[110:111], -v[81:82]
.LBB60_324:
	s_or_b64 exec, exec, s[18:19]
.LBB60_325:
	s_or_b64 exec, exec, s[0:1]
	v_cmp_ne_u32_e32 vcc, v108, v109
	s_and_saveexec_b64 s[0:1], vcc
	s_xor_b64 s[0:1], exec, s[0:1]
	s_cbranch_execz .LBB60_331
; %bb.326:
	v_cmp_eq_u32_e32 vcc, 15, v108
	s_and_saveexec_b64 s[18:19], vcc
	s_cbranch_execz .LBB60_330
; %bb.327:
	v_cmp_ne_u32_e32 vcc, 15, v109
	s_xor_b64 s[20:21], s[6:7], -1
	s_and_b64 s[22:23], s[20:21], vcc
	s_and_saveexec_b64 s[20:21], s[22:23]
	s_cbranch_execz .LBB60_329
; %bb.328:
	buffer_load_dword v112, off, s[24:27], 0 offset:64 ; 4-byte Folded Reload
	buffer_load_dword v113, off, s[24:27], 0 offset:68 ; 4-byte Folded Reload
	v_ashrrev_i32_e32 v110, 31, v109
	v_lshlrev_b64 v[110:111], 2, v[109:110]
	s_waitcnt vmcnt(1)
	v_add_co_u32_e32 v110, vcc, v112, v110
	s_waitcnt vmcnt(0)
	v_addc_co_u32_e32 v111, vcc, v113, v111, vcc
	global_load_dword v0, v[110:111], off
	global_load_dword v108, v[112:113], off offset:60
	s_waitcnt vmcnt(1)
	global_store_dword v[112:113], v0, off offset:60
	s_waitcnt vmcnt(1)
	global_store_dword v[110:111], v108, off
.LBB60_329:
	s_or_b64 exec, exec, s[20:21]
	v_mov_b32_e32 v108, v109
	v_mov_b32_e32 v0, v109
.LBB60_330:
	s_or_b64 exec, exec, s[18:19]
.LBB60_331:
	s_andn2_saveexec_b64 s[0:1], s[0:1]
	s_cbranch_execz .LBB60_333
; %bb.332:
	v_mov_b32_e32 v108, 15
	ds_write2_b64 v106, v[53:54], v[55:56] offset0:32 offset1:33
	ds_write2_b64 v106, v[49:50], v[51:52] offset0:34 offset1:35
	;; [unrolled: 1-line block ×15, first 2 shown]
.LBB60_333:
	s_or_b64 exec, exec, s[0:1]
	v_cmp_lt_i32_e32 vcc, 15, v108
	s_waitcnt vmcnt(0) lgkmcnt(0)
	s_barrier
	s_and_saveexec_b64 s[0:1], vcc
	s_cbranch_execz .LBB60_335
; %bb.334:
	v_mul_f64 v[109:110], v[81:82], v[59:60]
	v_mul_f64 v[59:60], v[83:84], v[59:60]
	v_fma_f64 v[125:126], v[83:84], v[57:58], v[109:110]
	v_fma_f64 v[57:58], v[81:82], v[57:58], -v[59:60]
	ds_read2_b64 v[81:84], v106 offset0:32 offset1:33
	s_waitcnt lgkmcnt(0)
	v_mul_f64 v[59:60], v[83:84], v[125:126]
	v_fma_f64 v[59:60], v[81:82], v[57:58], -v[59:60]
	v_mul_f64 v[81:82], v[81:82], v[125:126]
	v_add_f64 v[53:54], v[53:54], -v[59:60]
	v_fma_f64 v[81:82], v[83:84], v[57:58], v[81:82]
	v_add_f64 v[55:56], v[55:56], -v[81:82]
	ds_read2_b64 v[81:84], v106 offset0:34 offset1:35
	s_waitcnt lgkmcnt(0)
	v_mul_f64 v[59:60], v[83:84], v[125:126]
	v_fma_f64 v[59:60], v[81:82], v[57:58], -v[59:60]
	v_mul_f64 v[81:82], v[81:82], v[125:126]
	v_add_f64 v[49:50], v[49:50], -v[59:60]
	v_fma_f64 v[81:82], v[83:84], v[57:58], v[81:82]
	v_add_f64 v[51:52], v[51:52], -v[81:82]
	ds_read2_b64 v[81:84], v106 offset0:36 offset1:37
	s_waitcnt lgkmcnt(0)
	v_mul_f64 v[59:60], v[83:84], v[125:126]
	v_fma_f64 v[59:60], v[81:82], v[57:58], -v[59:60]
	v_mul_f64 v[81:82], v[81:82], v[125:126]
	v_add_f64 v[45:46], v[45:46], -v[59:60]
	v_fma_f64 v[81:82], v[83:84], v[57:58], v[81:82]
	v_add_f64 v[47:48], v[47:48], -v[81:82]
	ds_read2_b64 v[81:84], v106 offset0:38 offset1:39
	s_waitcnt lgkmcnt(0)
	v_mul_f64 v[59:60], v[83:84], v[125:126]
	v_fma_f64 v[59:60], v[81:82], v[57:58], -v[59:60]
	v_mul_f64 v[81:82], v[81:82], v[125:126]
	v_add_f64 v[41:42], v[41:42], -v[59:60]
	v_fma_f64 v[81:82], v[83:84], v[57:58], v[81:82]
	v_add_f64 v[43:44], v[43:44], -v[81:82]
	ds_read2_b64 v[81:84], v106 offset0:40 offset1:41
	s_waitcnt lgkmcnt(0)
	v_mul_f64 v[59:60], v[83:84], v[125:126]
	v_fma_f64 v[59:60], v[81:82], v[57:58], -v[59:60]
	v_mul_f64 v[81:82], v[81:82], v[125:126]
	v_add_f64 v[37:38], v[37:38], -v[59:60]
	v_fma_f64 v[81:82], v[83:84], v[57:58], v[81:82]
	v_add_f64 v[39:40], v[39:40], -v[81:82]
	ds_read2_b64 v[81:84], v106 offset0:42 offset1:43
	s_waitcnt lgkmcnt(0)
	v_mul_f64 v[59:60], v[83:84], v[125:126]
	v_fma_f64 v[59:60], v[81:82], v[57:58], -v[59:60]
	v_mul_f64 v[81:82], v[81:82], v[125:126]
	v_add_f64 v[33:34], v[33:34], -v[59:60]
	v_fma_f64 v[81:82], v[83:84], v[57:58], v[81:82]
	v_add_f64 v[35:36], v[35:36], -v[81:82]
	ds_read2_b64 v[81:84], v106 offset0:44 offset1:45
	s_waitcnt lgkmcnt(0)
	v_mul_f64 v[59:60], v[83:84], v[125:126]
	v_fma_f64 v[59:60], v[81:82], v[57:58], -v[59:60]
	v_mul_f64 v[81:82], v[81:82], v[125:126]
	v_add_f64 v[29:30], v[29:30], -v[59:60]
	v_fma_f64 v[81:82], v[83:84], v[57:58], v[81:82]
	v_add_f64 v[31:32], v[31:32], -v[81:82]
	ds_read2_b64 v[81:84], v106 offset0:46 offset1:47
	s_waitcnt lgkmcnt(0)
	v_mul_f64 v[59:60], v[83:84], v[125:126]
	v_fma_f64 v[59:60], v[81:82], v[57:58], -v[59:60]
	v_mul_f64 v[81:82], v[81:82], v[125:126]
	v_add_f64 v[25:26], v[25:26], -v[59:60]
	v_fma_f64 v[81:82], v[83:84], v[57:58], v[81:82]
	v_add_f64 v[27:28], v[27:28], -v[81:82]
	ds_read2_b64 v[81:84], v106 offset0:48 offset1:49
	s_waitcnt lgkmcnt(0)
	v_mul_f64 v[59:60], v[83:84], v[125:126]
	v_fma_f64 v[59:60], v[81:82], v[57:58], -v[59:60]
	v_mul_f64 v[81:82], v[81:82], v[125:126]
	v_add_f64 v[21:22], v[21:22], -v[59:60]
	v_fma_f64 v[81:82], v[83:84], v[57:58], v[81:82]
	v_add_f64 v[23:24], v[23:24], -v[81:82]
	ds_read2_b64 v[81:84], v106 offset0:50 offset1:51
	s_waitcnt lgkmcnt(0)
	v_mul_f64 v[59:60], v[83:84], v[125:126]
	v_fma_f64 v[59:60], v[81:82], v[57:58], -v[59:60]
	v_mul_f64 v[81:82], v[81:82], v[125:126]
	v_add_f64 v[17:18], v[17:18], -v[59:60]
	v_fma_f64 v[81:82], v[83:84], v[57:58], v[81:82]
	v_add_f64 v[19:20], v[19:20], -v[81:82]
	ds_read2_b64 v[81:84], v106 offset0:52 offset1:53
	s_waitcnt lgkmcnt(0)
	v_mul_f64 v[59:60], v[83:84], v[125:126]
	v_fma_f64 v[59:60], v[81:82], v[57:58], -v[59:60]
	v_mul_f64 v[81:82], v[81:82], v[125:126]
	v_add_f64 v[13:14], v[13:14], -v[59:60]
	v_fma_f64 v[81:82], v[83:84], v[57:58], v[81:82]
	v_add_f64 v[15:16], v[15:16], -v[81:82]
	ds_read2_b64 v[81:84], v106 offset0:54 offset1:55
	s_waitcnt lgkmcnt(0)
	v_mul_f64 v[59:60], v[83:84], v[125:126]
	v_fma_f64 v[59:60], v[81:82], v[57:58], -v[59:60]
	v_mul_f64 v[81:82], v[81:82], v[125:126]
	v_add_f64 v[9:10], v[9:10], -v[59:60]
	v_fma_f64 v[81:82], v[83:84], v[57:58], v[81:82]
	v_add_f64 v[11:12], v[11:12], -v[81:82]
	ds_read2_b64 v[81:84], v106 offset0:56 offset1:57
	s_waitcnt lgkmcnt(0)
	v_mul_f64 v[59:60], v[83:84], v[125:126]
	v_fma_f64 v[59:60], v[81:82], v[57:58], -v[59:60]
	v_mul_f64 v[81:82], v[81:82], v[125:126]
	v_add_f64 v[5:6], v[5:6], -v[59:60]
	v_fma_f64 v[81:82], v[83:84], v[57:58], v[81:82]
	v_add_f64 v[7:8], v[7:8], -v[81:82]
	ds_read2_b64 v[81:84], v106 offset0:58 offset1:59
	s_waitcnt lgkmcnt(0)
	v_mul_f64 v[59:60], v[83:84], v[125:126]
	v_fma_f64 v[59:60], v[81:82], v[57:58], -v[59:60]
	v_mul_f64 v[81:82], v[81:82], v[125:126]
	v_add_f64 v[1:2], v[1:2], -v[59:60]
	v_fma_f64 v[81:82], v[83:84], v[57:58], v[81:82]
	v_add_f64 v[3:4], v[3:4], -v[81:82]
	ds_read2_b64 v[81:84], v106 offset0:60 offset1:61
	s_waitcnt lgkmcnt(0)
	v_mul_f64 v[59:60], v[83:84], v[125:126]
	v_fma_f64 v[59:60], v[81:82], v[57:58], -v[59:60]
	v_mul_f64 v[81:82], v[81:82], v[125:126]
	v_add_f64 v[121:122], v[121:122], -v[59:60]
	v_fma_f64 v[81:82], v[83:84], v[57:58], v[81:82]
	v_mov_b32_e32 v59, v125
	v_mov_b32_e32 v60, v126
	v_add_f64 v[123:124], v[123:124], -v[81:82]
.LBB60_335:
	s_or_b64 exec, exec, s[0:1]
	v_lshl_add_u32 v81, v108, 4, v106
	s_barrier
	ds_write2_b64 v81, v[53:54], v[55:56] offset1:1
	s_waitcnt lgkmcnt(0)
	s_barrier
	ds_read2_b64 v[81:84], v106 offset0:32 offset1:33
	s_cmp_lt_i32 s3, 18
	v_mov_b32_e32 v109, 16
	s_cbranch_scc1 .LBB60_338
; %bb.336:
	v_add_u32_e32 v110, 0x110, v106
	s_mov_b32 s0, 17
	v_mov_b32_e32 v109, 16
.LBB60_337:                             ; =>This Inner Loop Header: Depth=1
	s_waitcnt lgkmcnt(0)
	v_cmp_gt_f64_e32 vcc, 0, v[81:82]
	v_xor_b32_e32 v115, 0x80000000, v82
	ds_read2_b64 v[111:114], v110 offset1:1
	v_xor_b32_e32 v117, 0x80000000, v84
	v_add_u32_e32 v110, 16, v110
	s_waitcnt lgkmcnt(0)
	v_xor_b32_e32 v119, 0x80000000, v114
	v_cndmask_b32_e32 v116, v82, v115, vcc
	v_cmp_gt_f64_e32 vcc, 0, v[83:84]
	v_mov_b32_e32 v115, v81
	v_cndmask_b32_e32 v118, v84, v117, vcc
	v_cmp_gt_f64_e32 vcc, 0, v[111:112]
	v_mov_b32_e32 v117, v83
	v_add_f64 v[115:116], v[115:116], v[117:118]
	v_xor_b32_e32 v117, 0x80000000, v112
	v_cndmask_b32_e32 v118, v112, v117, vcc
	v_cmp_gt_f64_e32 vcc, 0, v[113:114]
	v_mov_b32_e32 v117, v111
	v_cndmask_b32_e32 v120, v114, v119, vcc
	v_mov_b32_e32 v119, v113
	v_add_f64 v[117:118], v[117:118], v[119:120]
	v_cmp_lt_f64_e32 vcc, v[115:116], v[117:118]
	v_cndmask_b32_e32 v81, v81, v111, vcc
	v_mov_b32_e32 v111, s0
	s_add_i32 s0, s0, 1
	v_cndmask_b32_e32 v82, v82, v112, vcc
	v_cndmask_b32_e32 v84, v84, v114, vcc
	;; [unrolled: 1-line block ×4, first 2 shown]
	s_cmp_lg_u32 s3, s0
	s_cbranch_scc1 .LBB60_337
.LBB60_338:
	s_waitcnt lgkmcnt(0)
	v_cmp_eq_f64_e32 vcc, 0, v[81:82]
	v_cmp_eq_f64_e64 s[0:1], 0, v[83:84]
	s_and_b64 s[0:1], vcc, s[0:1]
	s_and_saveexec_b64 s[18:19], s[0:1]
	s_xor_b64 s[0:1], exec, s[18:19]
; %bb.339:
	v_cmp_ne_u32_e32 vcc, 0, v107
	v_cndmask_b32_e32 v107, 17, v107, vcc
; %bb.340:
	s_andn2_saveexec_b64 s[0:1], s[0:1]
	s_cbranch_execz .LBB60_346
; %bb.341:
	v_cmp_ngt_f64_e64 s[18:19], |v[81:82]|, |v[83:84]|
	s_and_saveexec_b64 s[20:21], s[18:19]
	s_xor_b64 s[18:19], exec, s[20:21]
	s_cbranch_execz .LBB60_343
; %bb.342:
	v_div_scale_f64 v[110:111], s[20:21], v[83:84], v[83:84], v[81:82]
	v_rcp_f64_e32 v[112:113], v[110:111]
	v_fma_f64 v[114:115], -v[110:111], v[112:113], 1.0
	v_fma_f64 v[112:113], v[112:113], v[114:115], v[112:113]
	v_div_scale_f64 v[114:115], vcc, v[81:82], v[83:84], v[81:82]
	v_fma_f64 v[116:117], -v[110:111], v[112:113], 1.0
	v_fma_f64 v[112:113], v[112:113], v[116:117], v[112:113]
	v_mul_f64 v[116:117], v[114:115], v[112:113]
	v_fma_f64 v[110:111], -v[110:111], v[116:117], v[114:115]
	v_div_fmas_f64 v[110:111], v[110:111], v[112:113], v[116:117]
	v_div_fixup_f64 v[110:111], v[110:111], v[83:84], v[81:82]
	v_fma_f64 v[81:82], v[81:82], v[110:111], v[83:84]
	v_div_scale_f64 v[83:84], s[20:21], v[81:82], v[81:82], 1.0
	v_div_scale_f64 v[116:117], vcc, 1.0, v[81:82], 1.0
	v_rcp_f64_e32 v[112:113], v[83:84]
	v_fma_f64 v[114:115], -v[83:84], v[112:113], 1.0
	v_fma_f64 v[112:113], v[112:113], v[114:115], v[112:113]
	v_fma_f64 v[114:115], -v[83:84], v[112:113], 1.0
	v_fma_f64 v[112:113], v[112:113], v[114:115], v[112:113]
	v_mul_f64 v[114:115], v[116:117], v[112:113]
	v_fma_f64 v[83:84], -v[83:84], v[114:115], v[116:117]
	v_div_fmas_f64 v[83:84], v[83:84], v[112:113], v[114:115]
	v_div_fixup_f64 v[83:84], v[83:84], v[81:82], 1.0
	v_mul_f64 v[81:82], v[110:111], v[83:84]
	v_xor_b32_e32 v84, 0x80000000, v84
.LBB60_343:
	s_andn2_saveexec_b64 s[18:19], s[18:19]
	s_cbranch_execz .LBB60_345
; %bb.344:
	v_div_scale_f64 v[110:111], s[20:21], v[81:82], v[81:82], v[83:84]
	v_rcp_f64_e32 v[112:113], v[110:111]
	v_fma_f64 v[114:115], -v[110:111], v[112:113], 1.0
	v_fma_f64 v[112:113], v[112:113], v[114:115], v[112:113]
	v_div_scale_f64 v[114:115], vcc, v[83:84], v[81:82], v[83:84]
	v_fma_f64 v[116:117], -v[110:111], v[112:113], 1.0
	v_fma_f64 v[112:113], v[112:113], v[116:117], v[112:113]
	v_mul_f64 v[116:117], v[114:115], v[112:113]
	v_fma_f64 v[110:111], -v[110:111], v[116:117], v[114:115]
	v_div_fmas_f64 v[110:111], v[110:111], v[112:113], v[116:117]
	v_div_fixup_f64 v[110:111], v[110:111], v[81:82], v[83:84]
	v_fma_f64 v[81:82], v[83:84], v[110:111], v[81:82]
	v_div_scale_f64 v[83:84], s[20:21], v[81:82], v[81:82], 1.0
	v_div_scale_f64 v[116:117], vcc, 1.0, v[81:82], 1.0
	v_rcp_f64_e32 v[112:113], v[83:84]
	v_fma_f64 v[114:115], -v[83:84], v[112:113], 1.0
	v_fma_f64 v[112:113], v[112:113], v[114:115], v[112:113]
	v_fma_f64 v[114:115], -v[83:84], v[112:113], 1.0
	v_fma_f64 v[112:113], v[112:113], v[114:115], v[112:113]
	v_mul_f64 v[114:115], v[116:117], v[112:113]
	v_fma_f64 v[83:84], -v[83:84], v[114:115], v[116:117]
	v_div_fmas_f64 v[83:84], v[83:84], v[112:113], v[114:115]
	v_div_fixup_f64 v[81:82], v[83:84], v[81:82], 1.0
	v_mul_f64 v[83:84], v[110:111], -v[81:82]
.LBB60_345:
	s_or_b64 exec, exec, s[18:19]
.LBB60_346:
	s_or_b64 exec, exec, s[0:1]
	v_cmp_ne_u32_e32 vcc, v108, v109
	s_and_saveexec_b64 s[0:1], vcc
	s_xor_b64 s[0:1], exec, s[0:1]
	s_cbranch_execz .LBB60_352
; %bb.347:
	v_cmp_eq_u32_e32 vcc, 16, v108
	s_and_saveexec_b64 s[18:19], vcc
	s_cbranch_execz .LBB60_351
; %bb.348:
	v_cmp_ne_u32_e32 vcc, 16, v109
	s_xor_b64 s[20:21], s[6:7], -1
	s_and_b64 s[22:23], s[20:21], vcc
	s_and_saveexec_b64 s[20:21], s[22:23]
	s_cbranch_execz .LBB60_350
; %bb.349:
	buffer_load_dword v112, off, s[24:27], 0 offset:64 ; 4-byte Folded Reload
	buffer_load_dword v113, off, s[24:27], 0 offset:68 ; 4-byte Folded Reload
	v_ashrrev_i32_e32 v110, 31, v109
	v_lshlrev_b64 v[110:111], 2, v[109:110]
	s_waitcnt vmcnt(1)
	v_add_co_u32_e32 v110, vcc, v112, v110
	s_waitcnt vmcnt(0)
	v_addc_co_u32_e32 v111, vcc, v113, v111, vcc
	global_load_dword v0, v[110:111], off
	global_load_dword v108, v[112:113], off offset:64
	s_waitcnt vmcnt(1)
	global_store_dword v[112:113], v0, off offset:64
	s_waitcnt vmcnt(1)
	global_store_dword v[110:111], v108, off
.LBB60_350:
	s_or_b64 exec, exec, s[20:21]
	v_mov_b32_e32 v108, v109
	v_mov_b32_e32 v0, v109
.LBB60_351:
	s_or_b64 exec, exec, s[18:19]
.LBB60_352:
	s_andn2_saveexec_b64 s[0:1], s[0:1]
	s_cbranch_execz .LBB60_354
; %bb.353:
	v_mov_b32_e32 v108, 16
	ds_write2_b64 v106, v[49:50], v[51:52] offset0:34 offset1:35
	ds_write2_b64 v106, v[45:46], v[47:48] offset0:36 offset1:37
	ds_write2_b64 v106, v[41:42], v[43:44] offset0:38 offset1:39
	ds_write2_b64 v106, v[37:38], v[39:40] offset0:40 offset1:41
	ds_write2_b64 v106, v[33:34], v[35:36] offset0:42 offset1:43
	ds_write2_b64 v106, v[29:30], v[31:32] offset0:44 offset1:45
	ds_write2_b64 v106, v[25:26], v[27:28] offset0:46 offset1:47
	ds_write2_b64 v106, v[21:22], v[23:24] offset0:48 offset1:49
	ds_write2_b64 v106, v[17:18], v[19:20] offset0:50 offset1:51
	ds_write2_b64 v106, v[13:14], v[15:16] offset0:52 offset1:53
	ds_write2_b64 v106, v[9:10], v[11:12] offset0:54 offset1:55
	ds_write2_b64 v106, v[5:6], v[7:8] offset0:56 offset1:57
	ds_write2_b64 v106, v[1:2], v[3:4] offset0:58 offset1:59
	ds_write2_b64 v106, v[121:122], v[123:124] offset0:60 offset1:61
.LBB60_354:
	s_or_b64 exec, exec, s[0:1]
	v_cmp_lt_i32_e32 vcc, 16, v108
	s_waitcnt vmcnt(0) lgkmcnt(0)
	s_barrier
	s_and_saveexec_b64 s[0:1], vcc
	s_cbranch_execz .LBB60_356
; %bb.355:
	v_mul_f64 v[109:110], v[81:82], v[55:56]
	v_mul_f64 v[55:56], v[83:84], v[55:56]
	v_fma_f64 v[109:110], v[83:84], v[53:54], v[109:110]
	v_fma_f64 v[53:54], v[81:82], v[53:54], -v[55:56]
	ds_read2_b64 v[81:84], v106 offset0:34 offset1:35
	s_waitcnt lgkmcnt(0)
	v_mul_f64 v[55:56], v[83:84], v[109:110]
	v_fma_f64 v[55:56], v[81:82], v[53:54], -v[55:56]
	v_mul_f64 v[81:82], v[81:82], v[109:110]
	v_add_f64 v[49:50], v[49:50], -v[55:56]
	v_fma_f64 v[81:82], v[83:84], v[53:54], v[81:82]
	v_add_f64 v[51:52], v[51:52], -v[81:82]
	ds_read2_b64 v[81:84], v106 offset0:36 offset1:37
	s_waitcnt lgkmcnt(0)
	v_mul_f64 v[55:56], v[83:84], v[109:110]
	v_fma_f64 v[55:56], v[81:82], v[53:54], -v[55:56]
	v_mul_f64 v[81:82], v[81:82], v[109:110]
	v_add_f64 v[45:46], v[45:46], -v[55:56]
	v_fma_f64 v[81:82], v[83:84], v[53:54], v[81:82]
	v_add_f64 v[47:48], v[47:48], -v[81:82]
	;; [unrolled: 8-line block ×13, first 2 shown]
	ds_read2_b64 v[81:84], v106 offset0:60 offset1:61
	s_waitcnt lgkmcnt(0)
	v_mul_f64 v[55:56], v[83:84], v[109:110]
	v_fma_f64 v[55:56], v[81:82], v[53:54], -v[55:56]
	v_mul_f64 v[81:82], v[81:82], v[109:110]
	v_add_f64 v[121:122], v[121:122], -v[55:56]
	v_fma_f64 v[81:82], v[83:84], v[53:54], v[81:82]
	v_mov_b32_e32 v55, v109
	v_mov_b32_e32 v56, v110
	v_add_f64 v[123:124], v[123:124], -v[81:82]
.LBB60_356:
	s_or_b64 exec, exec, s[0:1]
	v_lshl_add_u32 v81, v108, 4, v106
	s_barrier
	ds_write2_b64 v81, v[49:50], v[51:52] offset1:1
	s_waitcnt lgkmcnt(0)
	s_barrier
	ds_read2_b64 v[81:84], v106 offset0:34 offset1:35
	s_cmp_lt_i32 s3, 19
	v_mov_b32_e32 v109, 17
	s_cbranch_scc1 .LBB60_359
; %bb.357:
	v_add_u32_e32 v110, 0x120, v106
	s_mov_b32 s0, 18
	v_mov_b32_e32 v109, 17
.LBB60_358:                             ; =>This Inner Loop Header: Depth=1
	s_waitcnt lgkmcnt(0)
	v_cmp_gt_f64_e32 vcc, 0, v[81:82]
	v_xor_b32_e32 v115, 0x80000000, v82
	ds_read2_b64 v[111:114], v110 offset1:1
	v_xor_b32_e32 v117, 0x80000000, v84
	v_add_u32_e32 v110, 16, v110
	s_waitcnt lgkmcnt(0)
	v_xor_b32_e32 v119, 0x80000000, v114
	v_cndmask_b32_e32 v116, v82, v115, vcc
	v_cmp_gt_f64_e32 vcc, 0, v[83:84]
	v_mov_b32_e32 v115, v81
	v_cndmask_b32_e32 v118, v84, v117, vcc
	v_cmp_gt_f64_e32 vcc, 0, v[111:112]
	v_mov_b32_e32 v117, v83
	v_add_f64 v[115:116], v[115:116], v[117:118]
	v_xor_b32_e32 v117, 0x80000000, v112
	v_cndmask_b32_e32 v118, v112, v117, vcc
	v_cmp_gt_f64_e32 vcc, 0, v[113:114]
	v_mov_b32_e32 v117, v111
	v_cndmask_b32_e32 v120, v114, v119, vcc
	v_mov_b32_e32 v119, v113
	v_add_f64 v[117:118], v[117:118], v[119:120]
	v_cmp_lt_f64_e32 vcc, v[115:116], v[117:118]
	v_cndmask_b32_e32 v81, v81, v111, vcc
	v_mov_b32_e32 v111, s0
	s_add_i32 s0, s0, 1
	v_cndmask_b32_e32 v82, v82, v112, vcc
	v_cndmask_b32_e32 v84, v84, v114, vcc
	;; [unrolled: 1-line block ×4, first 2 shown]
	s_cmp_lg_u32 s3, s0
	s_cbranch_scc1 .LBB60_358
.LBB60_359:
	s_waitcnt lgkmcnt(0)
	v_cmp_eq_f64_e32 vcc, 0, v[81:82]
	v_cmp_eq_f64_e64 s[0:1], 0, v[83:84]
	s_and_b64 s[0:1], vcc, s[0:1]
	s_and_saveexec_b64 s[18:19], s[0:1]
	s_xor_b64 s[0:1], exec, s[18:19]
; %bb.360:
	v_cmp_ne_u32_e32 vcc, 0, v107
	v_cndmask_b32_e32 v107, 18, v107, vcc
; %bb.361:
	s_andn2_saveexec_b64 s[0:1], s[0:1]
	s_cbranch_execz .LBB60_367
; %bb.362:
	v_cmp_ngt_f64_e64 s[18:19], |v[81:82]|, |v[83:84]|
	s_and_saveexec_b64 s[20:21], s[18:19]
	s_xor_b64 s[18:19], exec, s[20:21]
	s_cbranch_execz .LBB60_364
; %bb.363:
	v_div_scale_f64 v[110:111], s[20:21], v[83:84], v[83:84], v[81:82]
	v_rcp_f64_e32 v[112:113], v[110:111]
	v_fma_f64 v[114:115], -v[110:111], v[112:113], 1.0
	v_fma_f64 v[112:113], v[112:113], v[114:115], v[112:113]
	v_div_scale_f64 v[114:115], vcc, v[81:82], v[83:84], v[81:82]
	v_fma_f64 v[116:117], -v[110:111], v[112:113], 1.0
	v_fma_f64 v[112:113], v[112:113], v[116:117], v[112:113]
	v_mul_f64 v[116:117], v[114:115], v[112:113]
	v_fma_f64 v[110:111], -v[110:111], v[116:117], v[114:115]
	v_div_fmas_f64 v[110:111], v[110:111], v[112:113], v[116:117]
	v_div_fixup_f64 v[110:111], v[110:111], v[83:84], v[81:82]
	v_fma_f64 v[81:82], v[81:82], v[110:111], v[83:84]
	v_div_scale_f64 v[83:84], s[20:21], v[81:82], v[81:82], 1.0
	v_div_scale_f64 v[116:117], vcc, 1.0, v[81:82], 1.0
	v_rcp_f64_e32 v[112:113], v[83:84]
	v_fma_f64 v[114:115], -v[83:84], v[112:113], 1.0
	v_fma_f64 v[112:113], v[112:113], v[114:115], v[112:113]
	v_fma_f64 v[114:115], -v[83:84], v[112:113], 1.0
	v_fma_f64 v[112:113], v[112:113], v[114:115], v[112:113]
	v_mul_f64 v[114:115], v[116:117], v[112:113]
	v_fma_f64 v[83:84], -v[83:84], v[114:115], v[116:117]
	v_div_fmas_f64 v[83:84], v[83:84], v[112:113], v[114:115]
	v_div_fixup_f64 v[83:84], v[83:84], v[81:82], 1.0
	v_mul_f64 v[81:82], v[110:111], v[83:84]
	v_xor_b32_e32 v84, 0x80000000, v84
.LBB60_364:
	s_andn2_saveexec_b64 s[18:19], s[18:19]
	s_cbranch_execz .LBB60_366
; %bb.365:
	v_div_scale_f64 v[110:111], s[20:21], v[81:82], v[81:82], v[83:84]
	v_rcp_f64_e32 v[112:113], v[110:111]
	v_fma_f64 v[114:115], -v[110:111], v[112:113], 1.0
	v_fma_f64 v[112:113], v[112:113], v[114:115], v[112:113]
	v_div_scale_f64 v[114:115], vcc, v[83:84], v[81:82], v[83:84]
	v_fma_f64 v[116:117], -v[110:111], v[112:113], 1.0
	v_fma_f64 v[112:113], v[112:113], v[116:117], v[112:113]
	v_mul_f64 v[116:117], v[114:115], v[112:113]
	v_fma_f64 v[110:111], -v[110:111], v[116:117], v[114:115]
	v_div_fmas_f64 v[110:111], v[110:111], v[112:113], v[116:117]
	v_div_fixup_f64 v[110:111], v[110:111], v[81:82], v[83:84]
	v_fma_f64 v[81:82], v[83:84], v[110:111], v[81:82]
	v_div_scale_f64 v[83:84], s[20:21], v[81:82], v[81:82], 1.0
	v_div_scale_f64 v[116:117], vcc, 1.0, v[81:82], 1.0
	v_rcp_f64_e32 v[112:113], v[83:84]
	v_fma_f64 v[114:115], -v[83:84], v[112:113], 1.0
	v_fma_f64 v[112:113], v[112:113], v[114:115], v[112:113]
	v_fma_f64 v[114:115], -v[83:84], v[112:113], 1.0
	v_fma_f64 v[112:113], v[112:113], v[114:115], v[112:113]
	v_mul_f64 v[114:115], v[116:117], v[112:113]
	v_fma_f64 v[83:84], -v[83:84], v[114:115], v[116:117]
	v_div_fmas_f64 v[83:84], v[83:84], v[112:113], v[114:115]
	v_div_fixup_f64 v[81:82], v[83:84], v[81:82], 1.0
	v_mul_f64 v[83:84], v[110:111], -v[81:82]
.LBB60_366:
	s_or_b64 exec, exec, s[18:19]
.LBB60_367:
	s_or_b64 exec, exec, s[0:1]
	v_cmp_ne_u32_e32 vcc, v108, v109
	s_and_saveexec_b64 s[0:1], vcc
	s_xor_b64 s[0:1], exec, s[0:1]
	s_cbranch_execz .LBB60_373
; %bb.368:
	v_cmp_eq_u32_e32 vcc, 17, v108
	s_and_saveexec_b64 s[18:19], vcc
	s_cbranch_execz .LBB60_372
; %bb.369:
	v_cmp_ne_u32_e32 vcc, 17, v109
	s_xor_b64 s[20:21], s[6:7], -1
	s_and_b64 s[22:23], s[20:21], vcc
	s_and_saveexec_b64 s[20:21], s[22:23]
	s_cbranch_execz .LBB60_371
; %bb.370:
	buffer_load_dword v112, off, s[24:27], 0 offset:64 ; 4-byte Folded Reload
	buffer_load_dword v113, off, s[24:27], 0 offset:68 ; 4-byte Folded Reload
	v_ashrrev_i32_e32 v110, 31, v109
	v_lshlrev_b64 v[110:111], 2, v[109:110]
	s_waitcnt vmcnt(1)
	v_add_co_u32_e32 v110, vcc, v112, v110
	s_waitcnt vmcnt(0)
	v_addc_co_u32_e32 v111, vcc, v113, v111, vcc
	global_load_dword v0, v[110:111], off
	global_load_dword v108, v[112:113], off offset:68
	s_waitcnt vmcnt(1)
	global_store_dword v[112:113], v0, off offset:68
	s_waitcnt vmcnt(1)
	global_store_dword v[110:111], v108, off
.LBB60_371:
	s_or_b64 exec, exec, s[20:21]
	v_mov_b32_e32 v108, v109
	v_mov_b32_e32 v0, v109
.LBB60_372:
	s_or_b64 exec, exec, s[18:19]
.LBB60_373:
	s_andn2_saveexec_b64 s[0:1], s[0:1]
	s_cbranch_execz .LBB60_375
; %bb.374:
	v_mov_b32_e32 v108, 17
	ds_write2_b64 v106, v[45:46], v[47:48] offset0:36 offset1:37
	ds_write2_b64 v106, v[41:42], v[43:44] offset0:38 offset1:39
	;; [unrolled: 1-line block ×13, first 2 shown]
.LBB60_375:
	s_or_b64 exec, exec, s[0:1]
	v_cmp_lt_i32_e32 vcc, 17, v108
	s_waitcnt vmcnt(0) lgkmcnt(0)
	s_barrier
	s_and_saveexec_b64 s[0:1], vcc
	s_cbranch_execz .LBB60_377
; %bb.376:
	v_mul_f64 v[109:110], v[81:82], v[51:52]
	v_mul_f64 v[51:52], v[83:84], v[51:52]
	v_fma_f64 v[109:110], v[83:84], v[49:50], v[109:110]
	v_fma_f64 v[49:50], v[81:82], v[49:50], -v[51:52]
	ds_read2_b64 v[81:84], v106 offset0:36 offset1:37
	s_waitcnt lgkmcnt(0)
	v_mul_f64 v[51:52], v[83:84], v[109:110]
	v_fma_f64 v[51:52], v[81:82], v[49:50], -v[51:52]
	v_mul_f64 v[81:82], v[81:82], v[109:110]
	v_add_f64 v[45:46], v[45:46], -v[51:52]
	v_fma_f64 v[81:82], v[83:84], v[49:50], v[81:82]
	v_add_f64 v[47:48], v[47:48], -v[81:82]
	ds_read2_b64 v[81:84], v106 offset0:38 offset1:39
	s_waitcnt lgkmcnt(0)
	v_mul_f64 v[51:52], v[83:84], v[109:110]
	v_fma_f64 v[51:52], v[81:82], v[49:50], -v[51:52]
	v_mul_f64 v[81:82], v[81:82], v[109:110]
	v_add_f64 v[41:42], v[41:42], -v[51:52]
	v_fma_f64 v[81:82], v[83:84], v[49:50], v[81:82]
	v_add_f64 v[43:44], v[43:44], -v[81:82]
	ds_read2_b64 v[81:84], v106 offset0:40 offset1:41
	s_waitcnt lgkmcnt(0)
	v_mul_f64 v[51:52], v[83:84], v[109:110]
	v_fma_f64 v[51:52], v[81:82], v[49:50], -v[51:52]
	v_mul_f64 v[81:82], v[81:82], v[109:110]
	v_add_f64 v[37:38], v[37:38], -v[51:52]
	v_fma_f64 v[81:82], v[83:84], v[49:50], v[81:82]
	v_add_f64 v[39:40], v[39:40], -v[81:82]
	ds_read2_b64 v[81:84], v106 offset0:42 offset1:43
	s_waitcnt lgkmcnt(0)
	v_mul_f64 v[51:52], v[83:84], v[109:110]
	v_fma_f64 v[51:52], v[81:82], v[49:50], -v[51:52]
	v_mul_f64 v[81:82], v[81:82], v[109:110]
	v_add_f64 v[33:34], v[33:34], -v[51:52]
	v_fma_f64 v[81:82], v[83:84], v[49:50], v[81:82]
	v_add_f64 v[35:36], v[35:36], -v[81:82]
	ds_read2_b64 v[81:84], v106 offset0:44 offset1:45
	s_waitcnt lgkmcnt(0)
	v_mul_f64 v[51:52], v[83:84], v[109:110]
	v_fma_f64 v[51:52], v[81:82], v[49:50], -v[51:52]
	v_mul_f64 v[81:82], v[81:82], v[109:110]
	v_add_f64 v[29:30], v[29:30], -v[51:52]
	v_fma_f64 v[81:82], v[83:84], v[49:50], v[81:82]
	v_add_f64 v[31:32], v[31:32], -v[81:82]
	ds_read2_b64 v[81:84], v106 offset0:46 offset1:47
	s_waitcnt lgkmcnt(0)
	v_mul_f64 v[51:52], v[83:84], v[109:110]
	v_fma_f64 v[51:52], v[81:82], v[49:50], -v[51:52]
	v_mul_f64 v[81:82], v[81:82], v[109:110]
	v_add_f64 v[25:26], v[25:26], -v[51:52]
	v_fma_f64 v[81:82], v[83:84], v[49:50], v[81:82]
	v_add_f64 v[27:28], v[27:28], -v[81:82]
	ds_read2_b64 v[81:84], v106 offset0:48 offset1:49
	s_waitcnt lgkmcnt(0)
	v_mul_f64 v[51:52], v[83:84], v[109:110]
	v_fma_f64 v[51:52], v[81:82], v[49:50], -v[51:52]
	v_mul_f64 v[81:82], v[81:82], v[109:110]
	v_add_f64 v[21:22], v[21:22], -v[51:52]
	v_fma_f64 v[81:82], v[83:84], v[49:50], v[81:82]
	v_add_f64 v[23:24], v[23:24], -v[81:82]
	ds_read2_b64 v[81:84], v106 offset0:50 offset1:51
	s_waitcnt lgkmcnt(0)
	v_mul_f64 v[51:52], v[83:84], v[109:110]
	v_fma_f64 v[51:52], v[81:82], v[49:50], -v[51:52]
	v_mul_f64 v[81:82], v[81:82], v[109:110]
	v_add_f64 v[17:18], v[17:18], -v[51:52]
	v_fma_f64 v[81:82], v[83:84], v[49:50], v[81:82]
	v_add_f64 v[19:20], v[19:20], -v[81:82]
	ds_read2_b64 v[81:84], v106 offset0:52 offset1:53
	s_waitcnt lgkmcnt(0)
	v_mul_f64 v[51:52], v[83:84], v[109:110]
	v_fma_f64 v[51:52], v[81:82], v[49:50], -v[51:52]
	v_mul_f64 v[81:82], v[81:82], v[109:110]
	v_add_f64 v[13:14], v[13:14], -v[51:52]
	v_fma_f64 v[81:82], v[83:84], v[49:50], v[81:82]
	v_add_f64 v[15:16], v[15:16], -v[81:82]
	ds_read2_b64 v[81:84], v106 offset0:54 offset1:55
	s_waitcnt lgkmcnt(0)
	v_mul_f64 v[51:52], v[83:84], v[109:110]
	v_fma_f64 v[51:52], v[81:82], v[49:50], -v[51:52]
	v_mul_f64 v[81:82], v[81:82], v[109:110]
	v_add_f64 v[9:10], v[9:10], -v[51:52]
	v_fma_f64 v[81:82], v[83:84], v[49:50], v[81:82]
	v_add_f64 v[11:12], v[11:12], -v[81:82]
	ds_read2_b64 v[81:84], v106 offset0:56 offset1:57
	s_waitcnt lgkmcnt(0)
	v_mul_f64 v[51:52], v[83:84], v[109:110]
	v_fma_f64 v[51:52], v[81:82], v[49:50], -v[51:52]
	v_mul_f64 v[81:82], v[81:82], v[109:110]
	v_add_f64 v[5:6], v[5:6], -v[51:52]
	v_fma_f64 v[81:82], v[83:84], v[49:50], v[81:82]
	v_add_f64 v[7:8], v[7:8], -v[81:82]
	ds_read2_b64 v[81:84], v106 offset0:58 offset1:59
	s_waitcnt lgkmcnt(0)
	v_mul_f64 v[51:52], v[83:84], v[109:110]
	v_fma_f64 v[51:52], v[81:82], v[49:50], -v[51:52]
	v_mul_f64 v[81:82], v[81:82], v[109:110]
	v_add_f64 v[1:2], v[1:2], -v[51:52]
	v_fma_f64 v[81:82], v[83:84], v[49:50], v[81:82]
	v_add_f64 v[3:4], v[3:4], -v[81:82]
	ds_read2_b64 v[81:84], v106 offset0:60 offset1:61
	s_waitcnt lgkmcnt(0)
	v_mul_f64 v[51:52], v[83:84], v[109:110]
	v_fma_f64 v[51:52], v[81:82], v[49:50], -v[51:52]
	v_mul_f64 v[81:82], v[81:82], v[109:110]
	v_add_f64 v[121:122], v[121:122], -v[51:52]
	v_fma_f64 v[81:82], v[83:84], v[49:50], v[81:82]
	v_mov_b32_e32 v51, v109
	v_mov_b32_e32 v52, v110
	v_add_f64 v[123:124], v[123:124], -v[81:82]
.LBB60_377:
	s_or_b64 exec, exec, s[0:1]
	v_lshl_add_u32 v81, v108, 4, v106
	s_barrier
	ds_write2_b64 v81, v[45:46], v[47:48] offset1:1
	s_waitcnt lgkmcnt(0)
	s_barrier
	ds_read2_b64 v[81:84], v106 offset0:36 offset1:37
	s_cmp_lt_i32 s3, 20
	v_mov_b32_e32 v109, 18
	s_cbranch_scc1 .LBB60_380
; %bb.378:
	v_add_u32_e32 v110, 0x130, v106
	s_mov_b32 s0, 19
	v_mov_b32_e32 v109, 18
.LBB60_379:                             ; =>This Inner Loop Header: Depth=1
	s_waitcnt lgkmcnt(0)
	v_cmp_gt_f64_e32 vcc, 0, v[81:82]
	v_xor_b32_e32 v115, 0x80000000, v82
	ds_read2_b64 v[111:114], v110 offset1:1
	v_xor_b32_e32 v117, 0x80000000, v84
	v_add_u32_e32 v110, 16, v110
	s_waitcnt lgkmcnt(0)
	v_xor_b32_e32 v119, 0x80000000, v114
	v_cndmask_b32_e32 v116, v82, v115, vcc
	v_cmp_gt_f64_e32 vcc, 0, v[83:84]
	v_mov_b32_e32 v115, v81
	v_cndmask_b32_e32 v118, v84, v117, vcc
	v_cmp_gt_f64_e32 vcc, 0, v[111:112]
	v_mov_b32_e32 v117, v83
	v_add_f64 v[115:116], v[115:116], v[117:118]
	v_xor_b32_e32 v117, 0x80000000, v112
	v_cndmask_b32_e32 v118, v112, v117, vcc
	v_cmp_gt_f64_e32 vcc, 0, v[113:114]
	v_mov_b32_e32 v117, v111
	v_cndmask_b32_e32 v120, v114, v119, vcc
	v_mov_b32_e32 v119, v113
	v_add_f64 v[117:118], v[117:118], v[119:120]
	v_cmp_lt_f64_e32 vcc, v[115:116], v[117:118]
	v_cndmask_b32_e32 v81, v81, v111, vcc
	v_mov_b32_e32 v111, s0
	s_add_i32 s0, s0, 1
	v_cndmask_b32_e32 v82, v82, v112, vcc
	v_cndmask_b32_e32 v84, v84, v114, vcc
	;; [unrolled: 1-line block ×4, first 2 shown]
	s_cmp_lg_u32 s3, s0
	s_cbranch_scc1 .LBB60_379
.LBB60_380:
	s_waitcnt lgkmcnt(0)
	v_cmp_eq_f64_e32 vcc, 0, v[81:82]
	v_cmp_eq_f64_e64 s[0:1], 0, v[83:84]
	s_and_b64 s[0:1], vcc, s[0:1]
	s_and_saveexec_b64 s[18:19], s[0:1]
	s_xor_b64 s[0:1], exec, s[18:19]
; %bb.381:
	v_cmp_ne_u32_e32 vcc, 0, v107
	v_cndmask_b32_e32 v107, 19, v107, vcc
; %bb.382:
	s_andn2_saveexec_b64 s[0:1], s[0:1]
	s_cbranch_execz .LBB60_388
; %bb.383:
	v_cmp_ngt_f64_e64 s[18:19], |v[81:82]|, |v[83:84]|
	s_and_saveexec_b64 s[20:21], s[18:19]
	s_xor_b64 s[18:19], exec, s[20:21]
	s_cbranch_execz .LBB60_385
; %bb.384:
	v_div_scale_f64 v[110:111], s[20:21], v[83:84], v[83:84], v[81:82]
	v_rcp_f64_e32 v[112:113], v[110:111]
	v_fma_f64 v[114:115], -v[110:111], v[112:113], 1.0
	v_fma_f64 v[112:113], v[112:113], v[114:115], v[112:113]
	v_div_scale_f64 v[114:115], vcc, v[81:82], v[83:84], v[81:82]
	v_fma_f64 v[116:117], -v[110:111], v[112:113], 1.0
	v_fma_f64 v[112:113], v[112:113], v[116:117], v[112:113]
	v_mul_f64 v[116:117], v[114:115], v[112:113]
	v_fma_f64 v[110:111], -v[110:111], v[116:117], v[114:115]
	v_div_fmas_f64 v[110:111], v[110:111], v[112:113], v[116:117]
	v_div_fixup_f64 v[110:111], v[110:111], v[83:84], v[81:82]
	v_fma_f64 v[81:82], v[81:82], v[110:111], v[83:84]
	v_div_scale_f64 v[83:84], s[20:21], v[81:82], v[81:82], 1.0
	v_div_scale_f64 v[116:117], vcc, 1.0, v[81:82], 1.0
	v_rcp_f64_e32 v[112:113], v[83:84]
	v_fma_f64 v[114:115], -v[83:84], v[112:113], 1.0
	v_fma_f64 v[112:113], v[112:113], v[114:115], v[112:113]
	v_fma_f64 v[114:115], -v[83:84], v[112:113], 1.0
	v_fma_f64 v[112:113], v[112:113], v[114:115], v[112:113]
	v_mul_f64 v[114:115], v[116:117], v[112:113]
	v_fma_f64 v[83:84], -v[83:84], v[114:115], v[116:117]
	v_div_fmas_f64 v[83:84], v[83:84], v[112:113], v[114:115]
	v_div_fixup_f64 v[83:84], v[83:84], v[81:82], 1.0
	v_mul_f64 v[81:82], v[110:111], v[83:84]
	v_xor_b32_e32 v84, 0x80000000, v84
.LBB60_385:
	s_andn2_saveexec_b64 s[18:19], s[18:19]
	s_cbranch_execz .LBB60_387
; %bb.386:
	v_div_scale_f64 v[110:111], s[20:21], v[81:82], v[81:82], v[83:84]
	v_rcp_f64_e32 v[112:113], v[110:111]
	v_fma_f64 v[114:115], -v[110:111], v[112:113], 1.0
	v_fma_f64 v[112:113], v[112:113], v[114:115], v[112:113]
	v_div_scale_f64 v[114:115], vcc, v[83:84], v[81:82], v[83:84]
	v_fma_f64 v[116:117], -v[110:111], v[112:113], 1.0
	v_fma_f64 v[112:113], v[112:113], v[116:117], v[112:113]
	v_mul_f64 v[116:117], v[114:115], v[112:113]
	v_fma_f64 v[110:111], -v[110:111], v[116:117], v[114:115]
	v_div_fmas_f64 v[110:111], v[110:111], v[112:113], v[116:117]
	v_div_fixup_f64 v[110:111], v[110:111], v[81:82], v[83:84]
	v_fma_f64 v[81:82], v[83:84], v[110:111], v[81:82]
	v_div_scale_f64 v[83:84], s[20:21], v[81:82], v[81:82], 1.0
	v_div_scale_f64 v[116:117], vcc, 1.0, v[81:82], 1.0
	v_rcp_f64_e32 v[112:113], v[83:84]
	v_fma_f64 v[114:115], -v[83:84], v[112:113], 1.0
	v_fma_f64 v[112:113], v[112:113], v[114:115], v[112:113]
	v_fma_f64 v[114:115], -v[83:84], v[112:113], 1.0
	v_fma_f64 v[112:113], v[112:113], v[114:115], v[112:113]
	v_mul_f64 v[114:115], v[116:117], v[112:113]
	v_fma_f64 v[83:84], -v[83:84], v[114:115], v[116:117]
	v_div_fmas_f64 v[83:84], v[83:84], v[112:113], v[114:115]
	v_div_fixup_f64 v[81:82], v[83:84], v[81:82], 1.0
	v_mul_f64 v[83:84], v[110:111], -v[81:82]
.LBB60_387:
	s_or_b64 exec, exec, s[18:19]
.LBB60_388:
	s_or_b64 exec, exec, s[0:1]
	v_cmp_ne_u32_e32 vcc, v108, v109
	s_and_saveexec_b64 s[0:1], vcc
	s_xor_b64 s[0:1], exec, s[0:1]
	s_cbranch_execz .LBB60_394
; %bb.389:
	v_cmp_eq_u32_e32 vcc, 18, v108
	s_and_saveexec_b64 s[18:19], vcc
	s_cbranch_execz .LBB60_393
; %bb.390:
	v_cmp_ne_u32_e32 vcc, 18, v109
	s_xor_b64 s[20:21], s[6:7], -1
	s_and_b64 s[22:23], s[20:21], vcc
	s_and_saveexec_b64 s[20:21], s[22:23]
	s_cbranch_execz .LBB60_392
; %bb.391:
	buffer_load_dword v112, off, s[24:27], 0 offset:64 ; 4-byte Folded Reload
	buffer_load_dword v113, off, s[24:27], 0 offset:68 ; 4-byte Folded Reload
	v_ashrrev_i32_e32 v110, 31, v109
	v_lshlrev_b64 v[110:111], 2, v[109:110]
	s_waitcnt vmcnt(1)
	v_add_co_u32_e32 v110, vcc, v112, v110
	s_waitcnt vmcnt(0)
	v_addc_co_u32_e32 v111, vcc, v113, v111, vcc
	global_load_dword v0, v[110:111], off
	global_load_dword v108, v[112:113], off offset:72
	s_waitcnt vmcnt(1)
	global_store_dword v[112:113], v0, off offset:72
	s_waitcnt vmcnt(1)
	global_store_dword v[110:111], v108, off
.LBB60_392:
	s_or_b64 exec, exec, s[20:21]
	v_mov_b32_e32 v108, v109
	v_mov_b32_e32 v0, v109
.LBB60_393:
	s_or_b64 exec, exec, s[18:19]
.LBB60_394:
	s_andn2_saveexec_b64 s[0:1], s[0:1]
	s_cbranch_execz .LBB60_396
; %bb.395:
	v_mov_b32_e32 v108, 18
	ds_write2_b64 v106, v[41:42], v[43:44] offset0:38 offset1:39
	ds_write2_b64 v106, v[37:38], v[39:40] offset0:40 offset1:41
	;; [unrolled: 1-line block ×12, first 2 shown]
.LBB60_396:
	s_or_b64 exec, exec, s[0:1]
	v_cmp_lt_i32_e32 vcc, 18, v108
	s_waitcnt vmcnt(0) lgkmcnt(0)
	s_barrier
	s_and_saveexec_b64 s[0:1], vcc
	s_cbranch_execz .LBB60_398
; %bb.397:
	v_mul_f64 v[109:110], v[81:82], v[47:48]
	v_mul_f64 v[47:48], v[83:84], v[47:48]
	v_fma_f64 v[109:110], v[83:84], v[45:46], v[109:110]
	v_fma_f64 v[45:46], v[81:82], v[45:46], -v[47:48]
	ds_read2_b64 v[81:84], v106 offset0:38 offset1:39
	s_waitcnt lgkmcnt(0)
	v_mul_f64 v[47:48], v[83:84], v[109:110]
	v_fma_f64 v[47:48], v[81:82], v[45:46], -v[47:48]
	v_mul_f64 v[81:82], v[81:82], v[109:110]
	v_add_f64 v[41:42], v[41:42], -v[47:48]
	v_fma_f64 v[81:82], v[83:84], v[45:46], v[81:82]
	v_add_f64 v[43:44], v[43:44], -v[81:82]
	ds_read2_b64 v[81:84], v106 offset0:40 offset1:41
	s_waitcnt lgkmcnt(0)
	v_mul_f64 v[47:48], v[83:84], v[109:110]
	v_fma_f64 v[47:48], v[81:82], v[45:46], -v[47:48]
	v_mul_f64 v[81:82], v[81:82], v[109:110]
	v_add_f64 v[37:38], v[37:38], -v[47:48]
	v_fma_f64 v[81:82], v[83:84], v[45:46], v[81:82]
	v_add_f64 v[39:40], v[39:40], -v[81:82]
	ds_read2_b64 v[81:84], v106 offset0:42 offset1:43
	s_waitcnt lgkmcnt(0)
	v_mul_f64 v[47:48], v[83:84], v[109:110]
	v_fma_f64 v[47:48], v[81:82], v[45:46], -v[47:48]
	v_mul_f64 v[81:82], v[81:82], v[109:110]
	v_add_f64 v[33:34], v[33:34], -v[47:48]
	v_fma_f64 v[81:82], v[83:84], v[45:46], v[81:82]
	v_add_f64 v[35:36], v[35:36], -v[81:82]
	ds_read2_b64 v[81:84], v106 offset0:44 offset1:45
	s_waitcnt lgkmcnt(0)
	v_mul_f64 v[47:48], v[83:84], v[109:110]
	v_fma_f64 v[47:48], v[81:82], v[45:46], -v[47:48]
	v_mul_f64 v[81:82], v[81:82], v[109:110]
	v_add_f64 v[29:30], v[29:30], -v[47:48]
	v_fma_f64 v[81:82], v[83:84], v[45:46], v[81:82]
	v_add_f64 v[31:32], v[31:32], -v[81:82]
	ds_read2_b64 v[81:84], v106 offset0:46 offset1:47
	s_waitcnt lgkmcnt(0)
	v_mul_f64 v[47:48], v[83:84], v[109:110]
	v_fma_f64 v[47:48], v[81:82], v[45:46], -v[47:48]
	v_mul_f64 v[81:82], v[81:82], v[109:110]
	v_add_f64 v[25:26], v[25:26], -v[47:48]
	v_fma_f64 v[81:82], v[83:84], v[45:46], v[81:82]
	v_add_f64 v[27:28], v[27:28], -v[81:82]
	ds_read2_b64 v[81:84], v106 offset0:48 offset1:49
	s_waitcnt lgkmcnt(0)
	v_mul_f64 v[47:48], v[83:84], v[109:110]
	v_fma_f64 v[47:48], v[81:82], v[45:46], -v[47:48]
	v_mul_f64 v[81:82], v[81:82], v[109:110]
	v_add_f64 v[21:22], v[21:22], -v[47:48]
	v_fma_f64 v[81:82], v[83:84], v[45:46], v[81:82]
	v_add_f64 v[23:24], v[23:24], -v[81:82]
	ds_read2_b64 v[81:84], v106 offset0:50 offset1:51
	s_waitcnt lgkmcnt(0)
	v_mul_f64 v[47:48], v[83:84], v[109:110]
	v_fma_f64 v[47:48], v[81:82], v[45:46], -v[47:48]
	v_mul_f64 v[81:82], v[81:82], v[109:110]
	v_add_f64 v[17:18], v[17:18], -v[47:48]
	v_fma_f64 v[81:82], v[83:84], v[45:46], v[81:82]
	v_add_f64 v[19:20], v[19:20], -v[81:82]
	ds_read2_b64 v[81:84], v106 offset0:52 offset1:53
	s_waitcnt lgkmcnt(0)
	v_mul_f64 v[47:48], v[83:84], v[109:110]
	v_fma_f64 v[47:48], v[81:82], v[45:46], -v[47:48]
	v_mul_f64 v[81:82], v[81:82], v[109:110]
	v_add_f64 v[13:14], v[13:14], -v[47:48]
	v_fma_f64 v[81:82], v[83:84], v[45:46], v[81:82]
	v_add_f64 v[15:16], v[15:16], -v[81:82]
	ds_read2_b64 v[81:84], v106 offset0:54 offset1:55
	s_waitcnt lgkmcnt(0)
	v_mul_f64 v[47:48], v[83:84], v[109:110]
	v_fma_f64 v[47:48], v[81:82], v[45:46], -v[47:48]
	v_mul_f64 v[81:82], v[81:82], v[109:110]
	v_add_f64 v[9:10], v[9:10], -v[47:48]
	v_fma_f64 v[81:82], v[83:84], v[45:46], v[81:82]
	v_add_f64 v[11:12], v[11:12], -v[81:82]
	ds_read2_b64 v[81:84], v106 offset0:56 offset1:57
	s_waitcnt lgkmcnt(0)
	v_mul_f64 v[47:48], v[83:84], v[109:110]
	v_fma_f64 v[47:48], v[81:82], v[45:46], -v[47:48]
	v_mul_f64 v[81:82], v[81:82], v[109:110]
	v_add_f64 v[5:6], v[5:6], -v[47:48]
	v_fma_f64 v[81:82], v[83:84], v[45:46], v[81:82]
	v_add_f64 v[7:8], v[7:8], -v[81:82]
	ds_read2_b64 v[81:84], v106 offset0:58 offset1:59
	s_waitcnt lgkmcnt(0)
	v_mul_f64 v[47:48], v[83:84], v[109:110]
	v_fma_f64 v[47:48], v[81:82], v[45:46], -v[47:48]
	v_mul_f64 v[81:82], v[81:82], v[109:110]
	v_add_f64 v[1:2], v[1:2], -v[47:48]
	v_fma_f64 v[81:82], v[83:84], v[45:46], v[81:82]
	v_add_f64 v[3:4], v[3:4], -v[81:82]
	ds_read2_b64 v[81:84], v106 offset0:60 offset1:61
	s_waitcnt lgkmcnt(0)
	v_mul_f64 v[47:48], v[83:84], v[109:110]
	v_fma_f64 v[47:48], v[81:82], v[45:46], -v[47:48]
	v_mul_f64 v[81:82], v[81:82], v[109:110]
	v_add_f64 v[121:122], v[121:122], -v[47:48]
	v_fma_f64 v[81:82], v[83:84], v[45:46], v[81:82]
	v_mov_b32_e32 v47, v109
	v_mov_b32_e32 v48, v110
	v_add_f64 v[123:124], v[123:124], -v[81:82]
.LBB60_398:
	s_or_b64 exec, exec, s[0:1]
	v_lshl_add_u32 v81, v108, 4, v106
	s_barrier
	ds_write2_b64 v81, v[41:42], v[43:44] offset1:1
	s_waitcnt lgkmcnt(0)
	s_barrier
	ds_read2_b64 v[81:84], v106 offset0:38 offset1:39
	s_cmp_lt_i32 s3, 21
	v_mov_b32_e32 v109, 19
	s_cbranch_scc1 .LBB60_401
; %bb.399:
	v_add_u32_e32 v110, 0x140, v106
	s_mov_b32 s0, 20
	v_mov_b32_e32 v109, 19
.LBB60_400:                             ; =>This Inner Loop Header: Depth=1
	s_waitcnt lgkmcnt(0)
	v_cmp_gt_f64_e32 vcc, 0, v[81:82]
	v_xor_b32_e32 v115, 0x80000000, v82
	ds_read2_b64 v[111:114], v110 offset1:1
	v_xor_b32_e32 v117, 0x80000000, v84
	v_add_u32_e32 v110, 16, v110
	s_waitcnt lgkmcnt(0)
	v_xor_b32_e32 v119, 0x80000000, v114
	v_cndmask_b32_e32 v116, v82, v115, vcc
	v_cmp_gt_f64_e32 vcc, 0, v[83:84]
	v_mov_b32_e32 v115, v81
	v_cndmask_b32_e32 v118, v84, v117, vcc
	v_cmp_gt_f64_e32 vcc, 0, v[111:112]
	v_mov_b32_e32 v117, v83
	v_add_f64 v[115:116], v[115:116], v[117:118]
	v_xor_b32_e32 v117, 0x80000000, v112
	v_cndmask_b32_e32 v118, v112, v117, vcc
	v_cmp_gt_f64_e32 vcc, 0, v[113:114]
	v_mov_b32_e32 v117, v111
	v_cndmask_b32_e32 v120, v114, v119, vcc
	v_mov_b32_e32 v119, v113
	v_add_f64 v[117:118], v[117:118], v[119:120]
	v_cmp_lt_f64_e32 vcc, v[115:116], v[117:118]
	v_cndmask_b32_e32 v81, v81, v111, vcc
	v_mov_b32_e32 v111, s0
	s_add_i32 s0, s0, 1
	v_cndmask_b32_e32 v82, v82, v112, vcc
	v_cndmask_b32_e32 v84, v84, v114, vcc
	;; [unrolled: 1-line block ×4, first 2 shown]
	s_cmp_lg_u32 s3, s0
	s_cbranch_scc1 .LBB60_400
.LBB60_401:
	s_waitcnt lgkmcnt(0)
	v_cmp_eq_f64_e32 vcc, 0, v[81:82]
	v_cmp_eq_f64_e64 s[0:1], 0, v[83:84]
	s_and_b64 s[0:1], vcc, s[0:1]
	s_and_saveexec_b64 s[18:19], s[0:1]
	s_xor_b64 s[0:1], exec, s[18:19]
; %bb.402:
	v_cmp_ne_u32_e32 vcc, 0, v107
	v_cndmask_b32_e32 v107, 20, v107, vcc
; %bb.403:
	s_andn2_saveexec_b64 s[0:1], s[0:1]
	s_cbranch_execz .LBB60_409
; %bb.404:
	v_cmp_ngt_f64_e64 s[18:19], |v[81:82]|, |v[83:84]|
	s_and_saveexec_b64 s[20:21], s[18:19]
	s_xor_b64 s[18:19], exec, s[20:21]
	s_cbranch_execz .LBB60_406
; %bb.405:
	v_div_scale_f64 v[110:111], s[20:21], v[83:84], v[83:84], v[81:82]
	v_rcp_f64_e32 v[112:113], v[110:111]
	v_fma_f64 v[114:115], -v[110:111], v[112:113], 1.0
	v_fma_f64 v[112:113], v[112:113], v[114:115], v[112:113]
	v_div_scale_f64 v[114:115], vcc, v[81:82], v[83:84], v[81:82]
	v_fma_f64 v[116:117], -v[110:111], v[112:113], 1.0
	v_fma_f64 v[112:113], v[112:113], v[116:117], v[112:113]
	v_mul_f64 v[116:117], v[114:115], v[112:113]
	v_fma_f64 v[110:111], -v[110:111], v[116:117], v[114:115]
	v_div_fmas_f64 v[110:111], v[110:111], v[112:113], v[116:117]
	v_div_fixup_f64 v[110:111], v[110:111], v[83:84], v[81:82]
	v_fma_f64 v[81:82], v[81:82], v[110:111], v[83:84]
	v_div_scale_f64 v[83:84], s[20:21], v[81:82], v[81:82], 1.0
	v_div_scale_f64 v[116:117], vcc, 1.0, v[81:82], 1.0
	v_rcp_f64_e32 v[112:113], v[83:84]
	v_fma_f64 v[114:115], -v[83:84], v[112:113], 1.0
	v_fma_f64 v[112:113], v[112:113], v[114:115], v[112:113]
	v_fma_f64 v[114:115], -v[83:84], v[112:113], 1.0
	v_fma_f64 v[112:113], v[112:113], v[114:115], v[112:113]
	v_mul_f64 v[114:115], v[116:117], v[112:113]
	v_fma_f64 v[83:84], -v[83:84], v[114:115], v[116:117]
	v_div_fmas_f64 v[83:84], v[83:84], v[112:113], v[114:115]
	v_div_fixup_f64 v[83:84], v[83:84], v[81:82], 1.0
	v_mul_f64 v[81:82], v[110:111], v[83:84]
	v_xor_b32_e32 v84, 0x80000000, v84
.LBB60_406:
	s_andn2_saveexec_b64 s[18:19], s[18:19]
	s_cbranch_execz .LBB60_408
; %bb.407:
	v_div_scale_f64 v[110:111], s[20:21], v[81:82], v[81:82], v[83:84]
	v_rcp_f64_e32 v[112:113], v[110:111]
	v_fma_f64 v[114:115], -v[110:111], v[112:113], 1.0
	v_fma_f64 v[112:113], v[112:113], v[114:115], v[112:113]
	v_div_scale_f64 v[114:115], vcc, v[83:84], v[81:82], v[83:84]
	v_fma_f64 v[116:117], -v[110:111], v[112:113], 1.0
	v_fma_f64 v[112:113], v[112:113], v[116:117], v[112:113]
	v_mul_f64 v[116:117], v[114:115], v[112:113]
	v_fma_f64 v[110:111], -v[110:111], v[116:117], v[114:115]
	v_div_fmas_f64 v[110:111], v[110:111], v[112:113], v[116:117]
	v_div_fixup_f64 v[110:111], v[110:111], v[81:82], v[83:84]
	v_fma_f64 v[81:82], v[83:84], v[110:111], v[81:82]
	v_div_scale_f64 v[83:84], s[20:21], v[81:82], v[81:82], 1.0
	v_div_scale_f64 v[116:117], vcc, 1.0, v[81:82], 1.0
	v_rcp_f64_e32 v[112:113], v[83:84]
	v_fma_f64 v[114:115], -v[83:84], v[112:113], 1.0
	v_fma_f64 v[112:113], v[112:113], v[114:115], v[112:113]
	v_fma_f64 v[114:115], -v[83:84], v[112:113], 1.0
	v_fma_f64 v[112:113], v[112:113], v[114:115], v[112:113]
	v_mul_f64 v[114:115], v[116:117], v[112:113]
	v_fma_f64 v[83:84], -v[83:84], v[114:115], v[116:117]
	v_div_fmas_f64 v[83:84], v[83:84], v[112:113], v[114:115]
	v_div_fixup_f64 v[81:82], v[83:84], v[81:82], 1.0
	v_mul_f64 v[83:84], v[110:111], -v[81:82]
.LBB60_408:
	s_or_b64 exec, exec, s[18:19]
.LBB60_409:
	s_or_b64 exec, exec, s[0:1]
	v_cmp_ne_u32_e32 vcc, v108, v109
	s_and_saveexec_b64 s[0:1], vcc
	s_xor_b64 s[0:1], exec, s[0:1]
	s_cbranch_execz .LBB60_415
; %bb.410:
	v_cmp_eq_u32_e32 vcc, 19, v108
	s_and_saveexec_b64 s[18:19], vcc
	s_cbranch_execz .LBB60_414
; %bb.411:
	v_cmp_ne_u32_e32 vcc, 19, v109
	s_xor_b64 s[20:21], s[6:7], -1
	s_and_b64 s[22:23], s[20:21], vcc
	s_and_saveexec_b64 s[20:21], s[22:23]
	s_cbranch_execz .LBB60_413
; %bb.412:
	buffer_load_dword v112, off, s[24:27], 0 offset:64 ; 4-byte Folded Reload
	buffer_load_dword v113, off, s[24:27], 0 offset:68 ; 4-byte Folded Reload
	v_ashrrev_i32_e32 v110, 31, v109
	v_lshlrev_b64 v[110:111], 2, v[109:110]
	s_waitcnt vmcnt(1)
	v_add_co_u32_e32 v110, vcc, v112, v110
	s_waitcnt vmcnt(0)
	v_addc_co_u32_e32 v111, vcc, v113, v111, vcc
	global_load_dword v0, v[110:111], off
	global_load_dword v108, v[112:113], off offset:76
	s_waitcnt vmcnt(1)
	global_store_dword v[112:113], v0, off offset:76
	s_waitcnt vmcnt(1)
	global_store_dword v[110:111], v108, off
.LBB60_413:
	s_or_b64 exec, exec, s[20:21]
	v_mov_b32_e32 v108, v109
	v_mov_b32_e32 v0, v109
.LBB60_414:
	s_or_b64 exec, exec, s[18:19]
.LBB60_415:
	s_andn2_saveexec_b64 s[0:1], s[0:1]
	s_cbranch_execz .LBB60_417
; %bb.416:
	v_mov_b32_e32 v108, 19
	ds_write2_b64 v106, v[37:38], v[39:40] offset0:40 offset1:41
	ds_write2_b64 v106, v[33:34], v[35:36] offset0:42 offset1:43
	ds_write2_b64 v106, v[29:30], v[31:32] offset0:44 offset1:45
	ds_write2_b64 v106, v[25:26], v[27:28] offset0:46 offset1:47
	ds_write2_b64 v106, v[21:22], v[23:24] offset0:48 offset1:49
	ds_write2_b64 v106, v[17:18], v[19:20] offset0:50 offset1:51
	ds_write2_b64 v106, v[13:14], v[15:16] offset0:52 offset1:53
	ds_write2_b64 v106, v[9:10], v[11:12] offset0:54 offset1:55
	ds_write2_b64 v106, v[5:6], v[7:8] offset0:56 offset1:57
	ds_write2_b64 v106, v[1:2], v[3:4] offset0:58 offset1:59
	ds_write2_b64 v106, v[121:122], v[123:124] offset0:60 offset1:61
.LBB60_417:
	s_or_b64 exec, exec, s[0:1]
	v_cmp_lt_i32_e32 vcc, 19, v108
	s_waitcnt vmcnt(0) lgkmcnt(0)
	s_barrier
	s_and_saveexec_b64 s[0:1], vcc
	s_cbranch_execz .LBB60_419
; %bb.418:
	v_mul_f64 v[109:110], v[81:82], v[43:44]
	v_mul_f64 v[43:44], v[83:84], v[43:44]
	v_fma_f64 v[109:110], v[83:84], v[41:42], v[109:110]
	v_fma_f64 v[41:42], v[81:82], v[41:42], -v[43:44]
	ds_read2_b64 v[81:84], v106 offset0:40 offset1:41
	s_waitcnt lgkmcnt(0)
	v_mul_f64 v[43:44], v[83:84], v[109:110]
	v_fma_f64 v[43:44], v[81:82], v[41:42], -v[43:44]
	v_mul_f64 v[81:82], v[81:82], v[109:110]
	v_add_f64 v[37:38], v[37:38], -v[43:44]
	v_fma_f64 v[81:82], v[83:84], v[41:42], v[81:82]
	v_add_f64 v[39:40], v[39:40], -v[81:82]
	ds_read2_b64 v[81:84], v106 offset0:42 offset1:43
	s_waitcnt lgkmcnt(0)
	v_mul_f64 v[43:44], v[83:84], v[109:110]
	v_fma_f64 v[43:44], v[81:82], v[41:42], -v[43:44]
	v_mul_f64 v[81:82], v[81:82], v[109:110]
	v_add_f64 v[33:34], v[33:34], -v[43:44]
	v_fma_f64 v[81:82], v[83:84], v[41:42], v[81:82]
	v_add_f64 v[35:36], v[35:36], -v[81:82]
	;; [unrolled: 8-line block ×10, first 2 shown]
	ds_read2_b64 v[81:84], v106 offset0:60 offset1:61
	s_waitcnt lgkmcnt(0)
	v_mul_f64 v[43:44], v[83:84], v[109:110]
	v_fma_f64 v[43:44], v[81:82], v[41:42], -v[43:44]
	v_mul_f64 v[81:82], v[81:82], v[109:110]
	v_add_f64 v[121:122], v[121:122], -v[43:44]
	v_fma_f64 v[81:82], v[83:84], v[41:42], v[81:82]
	v_mov_b32_e32 v43, v109
	v_mov_b32_e32 v44, v110
	v_add_f64 v[123:124], v[123:124], -v[81:82]
.LBB60_419:
	s_or_b64 exec, exec, s[0:1]
	v_lshl_add_u32 v81, v108, 4, v106
	s_barrier
	ds_write2_b64 v81, v[37:38], v[39:40] offset1:1
	s_waitcnt lgkmcnt(0)
	s_barrier
	ds_read2_b64 v[81:84], v106 offset0:40 offset1:41
	s_cmp_lt_i32 s3, 22
	v_mov_b32_e32 v109, 20
	s_cbranch_scc1 .LBB60_422
; %bb.420:
	v_add_u32_e32 v110, 0x150, v106
	s_mov_b32 s0, 21
	v_mov_b32_e32 v109, 20
.LBB60_421:                             ; =>This Inner Loop Header: Depth=1
	s_waitcnt lgkmcnt(0)
	v_cmp_gt_f64_e32 vcc, 0, v[81:82]
	v_xor_b32_e32 v115, 0x80000000, v82
	ds_read2_b64 v[111:114], v110 offset1:1
	v_xor_b32_e32 v117, 0x80000000, v84
	v_add_u32_e32 v110, 16, v110
	s_waitcnt lgkmcnt(0)
	v_xor_b32_e32 v119, 0x80000000, v114
	v_cndmask_b32_e32 v116, v82, v115, vcc
	v_cmp_gt_f64_e32 vcc, 0, v[83:84]
	v_mov_b32_e32 v115, v81
	v_cndmask_b32_e32 v118, v84, v117, vcc
	v_cmp_gt_f64_e32 vcc, 0, v[111:112]
	v_mov_b32_e32 v117, v83
	v_add_f64 v[115:116], v[115:116], v[117:118]
	v_xor_b32_e32 v117, 0x80000000, v112
	v_cndmask_b32_e32 v118, v112, v117, vcc
	v_cmp_gt_f64_e32 vcc, 0, v[113:114]
	v_mov_b32_e32 v117, v111
	v_cndmask_b32_e32 v120, v114, v119, vcc
	v_mov_b32_e32 v119, v113
	v_add_f64 v[117:118], v[117:118], v[119:120]
	v_cmp_lt_f64_e32 vcc, v[115:116], v[117:118]
	v_cndmask_b32_e32 v81, v81, v111, vcc
	v_mov_b32_e32 v111, s0
	s_add_i32 s0, s0, 1
	v_cndmask_b32_e32 v82, v82, v112, vcc
	v_cndmask_b32_e32 v84, v84, v114, vcc
	;; [unrolled: 1-line block ×4, first 2 shown]
	s_cmp_lg_u32 s3, s0
	s_cbranch_scc1 .LBB60_421
.LBB60_422:
	s_waitcnt lgkmcnt(0)
	v_cmp_eq_f64_e32 vcc, 0, v[81:82]
	v_cmp_eq_f64_e64 s[0:1], 0, v[83:84]
	s_and_b64 s[0:1], vcc, s[0:1]
	s_and_saveexec_b64 s[18:19], s[0:1]
	s_xor_b64 s[0:1], exec, s[18:19]
; %bb.423:
	v_cmp_ne_u32_e32 vcc, 0, v107
	v_cndmask_b32_e32 v107, 21, v107, vcc
; %bb.424:
	s_andn2_saveexec_b64 s[0:1], s[0:1]
	s_cbranch_execz .LBB60_430
; %bb.425:
	v_cmp_ngt_f64_e64 s[18:19], |v[81:82]|, |v[83:84]|
	s_and_saveexec_b64 s[20:21], s[18:19]
	s_xor_b64 s[18:19], exec, s[20:21]
	s_cbranch_execz .LBB60_427
; %bb.426:
	v_div_scale_f64 v[110:111], s[20:21], v[83:84], v[83:84], v[81:82]
	v_rcp_f64_e32 v[112:113], v[110:111]
	v_fma_f64 v[114:115], -v[110:111], v[112:113], 1.0
	v_fma_f64 v[112:113], v[112:113], v[114:115], v[112:113]
	v_div_scale_f64 v[114:115], vcc, v[81:82], v[83:84], v[81:82]
	v_fma_f64 v[116:117], -v[110:111], v[112:113], 1.0
	v_fma_f64 v[112:113], v[112:113], v[116:117], v[112:113]
	v_mul_f64 v[116:117], v[114:115], v[112:113]
	v_fma_f64 v[110:111], -v[110:111], v[116:117], v[114:115]
	v_div_fmas_f64 v[110:111], v[110:111], v[112:113], v[116:117]
	v_div_fixup_f64 v[110:111], v[110:111], v[83:84], v[81:82]
	v_fma_f64 v[81:82], v[81:82], v[110:111], v[83:84]
	v_div_scale_f64 v[83:84], s[20:21], v[81:82], v[81:82], 1.0
	v_div_scale_f64 v[116:117], vcc, 1.0, v[81:82], 1.0
	v_rcp_f64_e32 v[112:113], v[83:84]
	v_fma_f64 v[114:115], -v[83:84], v[112:113], 1.0
	v_fma_f64 v[112:113], v[112:113], v[114:115], v[112:113]
	v_fma_f64 v[114:115], -v[83:84], v[112:113], 1.0
	v_fma_f64 v[112:113], v[112:113], v[114:115], v[112:113]
	v_mul_f64 v[114:115], v[116:117], v[112:113]
	v_fma_f64 v[83:84], -v[83:84], v[114:115], v[116:117]
	v_div_fmas_f64 v[83:84], v[83:84], v[112:113], v[114:115]
	v_div_fixup_f64 v[83:84], v[83:84], v[81:82], 1.0
	v_mul_f64 v[81:82], v[110:111], v[83:84]
	v_xor_b32_e32 v84, 0x80000000, v84
.LBB60_427:
	s_andn2_saveexec_b64 s[18:19], s[18:19]
	s_cbranch_execz .LBB60_429
; %bb.428:
	v_div_scale_f64 v[110:111], s[20:21], v[81:82], v[81:82], v[83:84]
	v_rcp_f64_e32 v[112:113], v[110:111]
	v_fma_f64 v[114:115], -v[110:111], v[112:113], 1.0
	v_fma_f64 v[112:113], v[112:113], v[114:115], v[112:113]
	v_div_scale_f64 v[114:115], vcc, v[83:84], v[81:82], v[83:84]
	v_fma_f64 v[116:117], -v[110:111], v[112:113], 1.0
	v_fma_f64 v[112:113], v[112:113], v[116:117], v[112:113]
	v_mul_f64 v[116:117], v[114:115], v[112:113]
	v_fma_f64 v[110:111], -v[110:111], v[116:117], v[114:115]
	v_div_fmas_f64 v[110:111], v[110:111], v[112:113], v[116:117]
	v_div_fixup_f64 v[110:111], v[110:111], v[81:82], v[83:84]
	v_fma_f64 v[81:82], v[83:84], v[110:111], v[81:82]
	v_div_scale_f64 v[83:84], s[20:21], v[81:82], v[81:82], 1.0
	v_div_scale_f64 v[116:117], vcc, 1.0, v[81:82], 1.0
	v_rcp_f64_e32 v[112:113], v[83:84]
	v_fma_f64 v[114:115], -v[83:84], v[112:113], 1.0
	v_fma_f64 v[112:113], v[112:113], v[114:115], v[112:113]
	v_fma_f64 v[114:115], -v[83:84], v[112:113], 1.0
	v_fma_f64 v[112:113], v[112:113], v[114:115], v[112:113]
	v_mul_f64 v[114:115], v[116:117], v[112:113]
	v_fma_f64 v[83:84], -v[83:84], v[114:115], v[116:117]
	v_div_fmas_f64 v[83:84], v[83:84], v[112:113], v[114:115]
	v_div_fixup_f64 v[81:82], v[83:84], v[81:82], 1.0
	v_mul_f64 v[83:84], v[110:111], -v[81:82]
.LBB60_429:
	s_or_b64 exec, exec, s[18:19]
.LBB60_430:
	s_or_b64 exec, exec, s[0:1]
	v_cmp_ne_u32_e32 vcc, v108, v109
	s_and_saveexec_b64 s[0:1], vcc
	s_xor_b64 s[0:1], exec, s[0:1]
	s_cbranch_execz .LBB60_436
; %bb.431:
	v_cmp_eq_u32_e32 vcc, 20, v108
	s_and_saveexec_b64 s[18:19], vcc
	s_cbranch_execz .LBB60_435
; %bb.432:
	v_cmp_ne_u32_e32 vcc, 20, v109
	s_xor_b64 s[20:21], s[6:7], -1
	s_and_b64 s[22:23], s[20:21], vcc
	s_and_saveexec_b64 s[20:21], s[22:23]
	s_cbranch_execz .LBB60_434
; %bb.433:
	buffer_load_dword v112, off, s[24:27], 0 offset:64 ; 4-byte Folded Reload
	buffer_load_dword v113, off, s[24:27], 0 offset:68 ; 4-byte Folded Reload
	v_ashrrev_i32_e32 v110, 31, v109
	v_lshlrev_b64 v[110:111], 2, v[109:110]
	s_waitcnt vmcnt(1)
	v_add_co_u32_e32 v110, vcc, v112, v110
	s_waitcnt vmcnt(0)
	v_addc_co_u32_e32 v111, vcc, v113, v111, vcc
	global_load_dword v0, v[110:111], off
	global_load_dword v108, v[112:113], off offset:80
	s_waitcnt vmcnt(1)
	global_store_dword v[112:113], v0, off offset:80
	s_waitcnt vmcnt(1)
	global_store_dword v[110:111], v108, off
.LBB60_434:
	s_or_b64 exec, exec, s[20:21]
	v_mov_b32_e32 v108, v109
	v_mov_b32_e32 v0, v109
.LBB60_435:
	s_or_b64 exec, exec, s[18:19]
.LBB60_436:
	s_andn2_saveexec_b64 s[0:1], s[0:1]
	s_cbranch_execz .LBB60_438
; %bb.437:
	v_mov_b32_e32 v108, 20
	ds_write2_b64 v106, v[33:34], v[35:36] offset0:42 offset1:43
	ds_write2_b64 v106, v[29:30], v[31:32] offset0:44 offset1:45
	;; [unrolled: 1-line block ×10, first 2 shown]
.LBB60_438:
	s_or_b64 exec, exec, s[0:1]
	v_cmp_lt_i32_e32 vcc, 20, v108
	s_waitcnt vmcnt(0) lgkmcnt(0)
	s_barrier
	s_and_saveexec_b64 s[0:1], vcc
	s_cbranch_execz .LBB60_440
; %bb.439:
	v_mul_f64 v[109:110], v[81:82], v[39:40]
	v_mul_f64 v[39:40], v[83:84], v[39:40]
	v_fma_f64 v[109:110], v[83:84], v[37:38], v[109:110]
	v_fma_f64 v[37:38], v[81:82], v[37:38], -v[39:40]
	ds_read2_b64 v[81:84], v106 offset0:42 offset1:43
	s_waitcnt lgkmcnt(0)
	v_mul_f64 v[39:40], v[83:84], v[109:110]
	v_fma_f64 v[39:40], v[81:82], v[37:38], -v[39:40]
	v_mul_f64 v[81:82], v[81:82], v[109:110]
	v_add_f64 v[33:34], v[33:34], -v[39:40]
	v_fma_f64 v[81:82], v[83:84], v[37:38], v[81:82]
	v_add_f64 v[35:36], v[35:36], -v[81:82]
	ds_read2_b64 v[81:84], v106 offset0:44 offset1:45
	s_waitcnt lgkmcnt(0)
	v_mul_f64 v[39:40], v[83:84], v[109:110]
	v_fma_f64 v[39:40], v[81:82], v[37:38], -v[39:40]
	v_mul_f64 v[81:82], v[81:82], v[109:110]
	v_add_f64 v[29:30], v[29:30], -v[39:40]
	v_fma_f64 v[81:82], v[83:84], v[37:38], v[81:82]
	v_add_f64 v[31:32], v[31:32], -v[81:82]
	ds_read2_b64 v[81:84], v106 offset0:46 offset1:47
	s_waitcnt lgkmcnt(0)
	v_mul_f64 v[39:40], v[83:84], v[109:110]
	v_fma_f64 v[39:40], v[81:82], v[37:38], -v[39:40]
	v_mul_f64 v[81:82], v[81:82], v[109:110]
	v_add_f64 v[25:26], v[25:26], -v[39:40]
	v_fma_f64 v[81:82], v[83:84], v[37:38], v[81:82]
	v_add_f64 v[27:28], v[27:28], -v[81:82]
	ds_read2_b64 v[81:84], v106 offset0:48 offset1:49
	s_waitcnt lgkmcnt(0)
	v_mul_f64 v[39:40], v[83:84], v[109:110]
	v_fma_f64 v[39:40], v[81:82], v[37:38], -v[39:40]
	v_mul_f64 v[81:82], v[81:82], v[109:110]
	v_add_f64 v[21:22], v[21:22], -v[39:40]
	v_fma_f64 v[81:82], v[83:84], v[37:38], v[81:82]
	v_add_f64 v[23:24], v[23:24], -v[81:82]
	ds_read2_b64 v[81:84], v106 offset0:50 offset1:51
	s_waitcnt lgkmcnt(0)
	v_mul_f64 v[39:40], v[83:84], v[109:110]
	v_fma_f64 v[39:40], v[81:82], v[37:38], -v[39:40]
	v_mul_f64 v[81:82], v[81:82], v[109:110]
	v_add_f64 v[17:18], v[17:18], -v[39:40]
	v_fma_f64 v[81:82], v[83:84], v[37:38], v[81:82]
	v_add_f64 v[19:20], v[19:20], -v[81:82]
	ds_read2_b64 v[81:84], v106 offset0:52 offset1:53
	s_waitcnt lgkmcnt(0)
	v_mul_f64 v[39:40], v[83:84], v[109:110]
	v_fma_f64 v[39:40], v[81:82], v[37:38], -v[39:40]
	v_mul_f64 v[81:82], v[81:82], v[109:110]
	v_add_f64 v[13:14], v[13:14], -v[39:40]
	v_fma_f64 v[81:82], v[83:84], v[37:38], v[81:82]
	v_add_f64 v[15:16], v[15:16], -v[81:82]
	ds_read2_b64 v[81:84], v106 offset0:54 offset1:55
	s_waitcnt lgkmcnt(0)
	v_mul_f64 v[39:40], v[83:84], v[109:110]
	v_fma_f64 v[39:40], v[81:82], v[37:38], -v[39:40]
	v_mul_f64 v[81:82], v[81:82], v[109:110]
	v_add_f64 v[9:10], v[9:10], -v[39:40]
	v_fma_f64 v[81:82], v[83:84], v[37:38], v[81:82]
	v_add_f64 v[11:12], v[11:12], -v[81:82]
	ds_read2_b64 v[81:84], v106 offset0:56 offset1:57
	s_waitcnt lgkmcnt(0)
	v_mul_f64 v[39:40], v[83:84], v[109:110]
	v_fma_f64 v[39:40], v[81:82], v[37:38], -v[39:40]
	v_mul_f64 v[81:82], v[81:82], v[109:110]
	v_add_f64 v[5:6], v[5:6], -v[39:40]
	v_fma_f64 v[81:82], v[83:84], v[37:38], v[81:82]
	v_add_f64 v[7:8], v[7:8], -v[81:82]
	ds_read2_b64 v[81:84], v106 offset0:58 offset1:59
	s_waitcnt lgkmcnt(0)
	v_mul_f64 v[39:40], v[83:84], v[109:110]
	v_fma_f64 v[39:40], v[81:82], v[37:38], -v[39:40]
	v_mul_f64 v[81:82], v[81:82], v[109:110]
	v_add_f64 v[1:2], v[1:2], -v[39:40]
	v_fma_f64 v[81:82], v[83:84], v[37:38], v[81:82]
	v_add_f64 v[3:4], v[3:4], -v[81:82]
	ds_read2_b64 v[81:84], v106 offset0:60 offset1:61
	s_waitcnt lgkmcnt(0)
	v_mul_f64 v[39:40], v[83:84], v[109:110]
	v_fma_f64 v[39:40], v[81:82], v[37:38], -v[39:40]
	v_mul_f64 v[81:82], v[81:82], v[109:110]
	v_add_f64 v[121:122], v[121:122], -v[39:40]
	v_fma_f64 v[81:82], v[83:84], v[37:38], v[81:82]
	v_mov_b32_e32 v39, v109
	v_mov_b32_e32 v40, v110
	v_add_f64 v[123:124], v[123:124], -v[81:82]
.LBB60_440:
	s_or_b64 exec, exec, s[0:1]
	v_lshl_add_u32 v81, v108, 4, v106
	s_barrier
	ds_write2_b64 v81, v[33:34], v[35:36] offset1:1
	s_waitcnt lgkmcnt(0)
	s_barrier
	ds_read2_b64 v[81:84], v106 offset0:42 offset1:43
	s_cmp_lt_i32 s3, 23
	v_mov_b32_e32 v109, 21
	s_cbranch_scc1 .LBB60_443
; %bb.441:
	v_add_u32_e32 v110, 0x160, v106
	s_mov_b32 s0, 22
	v_mov_b32_e32 v109, 21
.LBB60_442:                             ; =>This Inner Loop Header: Depth=1
	s_waitcnt lgkmcnt(0)
	v_cmp_gt_f64_e32 vcc, 0, v[81:82]
	v_xor_b32_e32 v115, 0x80000000, v82
	ds_read2_b64 v[111:114], v110 offset1:1
	v_xor_b32_e32 v117, 0x80000000, v84
	v_add_u32_e32 v110, 16, v110
	s_waitcnt lgkmcnt(0)
	v_xor_b32_e32 v119, 0x80000000, v114
	v_cndmask_b32_e32 v116, v82, v115, vcc
	v_cmp_gt_f64_e32 vcc, 0, v[83:84]
	v_mov_b32_e32 v115, v81
	v_cndmask_b32_e32 v118, v84, v117, vcc
	v_cmp_gt_f64_e32 vcc, 0, v[111:112]
	v_mov_b32_e32 v117, v83
	v_add_f64 v[115:116], v[115:116], v[117:118]
	v_xor_b32_e32 v117, 0x80000000, v112
	v_cndmask_b32_e32 v118, v112, v117, vcc
	v_cmp_gt_f64_e32 vcc, 0, v[113:114]
	v_mov_b32_e32 v117, v111
	v_cndmask_b32_e32 v120, v114, v119, vcc
	v_mov_b32_e32 v119, v113
	v_add_f64 v[117:118], v[117:118], v[119:120]
	v_cmp_lt_f64_e32 vcc, v[115:116], v[117:118]
	v_cndmask_b32_e32 v81, v81, v111, vcc
	v_mov_b32_e32 v111, s0
	s_add_i32 s0, s0, 1
	v_cndmask_b32_e32 v82, v82, v112, vcc
	v_cndmask_b32_e32 v84, v84, v114, vcc
	;; [unrolled: 1-line block ×4, first 2 shown]
	s_cmp_lg_u32 s3, s0
	s_cbranch_scc1 .LBB60_442
.LBB60_443:
	s_waitcnt lgkmcnt(0)
	v_cmp_eq_f64_e32 vcc, 0, v[81:82]
	v_cmp_eq_f64_e64 s[0:1], 0, v[83:84]
	s_and_b64 s[0:1], vcc, s[0:1]
	s_and_saveexec_b64 s[18:19], s[0:1]
	s_xor_b64 s[0:1], exec, s[18:19]
; %bb.444:
	v_cmp_ne_u32_e32 vcc, 0, v107
	v_cndmask_b32_e32 v107, 22, v107, vcc
; %bb.445:
	s_andn2_saveexec_b64 s[0:1], s[0:1]
	s_cbranch_execz .LBB60_451
; %bb.446:
	v_cmp_ngt_f64_e64 s[18:19], |v[81:82]|, |v[83:84]|
	s_and_saveexec_b64 s[20:21], s[18:19]
	s_xor_b64 s[18:19], exec, s[20:21]
	s_cbranch_execz .LBB60_448
; %bb.447:
	v_div_scale_f64 v[110:111], s[20:21], v[83:84], v[83:84], v[81:82]
	v_rcp_f64_e32 v[112:113], v[110:111]
	v_fma_f64 v[114:115], -v[110:111], v[112:113], 1.0
	v_fma_f64 v[112:113], v[112:113], v[114:115], v[112:113]
	v_div_scale_f64 v[114:115], vcc, v[81:82], v[83:84], v[81:82]
	v_fma_f64 v[116:117], -v[110:111], v[112:113], 1.0
	v_fma_f64 v[112:113], v[112:113], v[116:117], v[112:113]
	v_mul_f64 v[116:117], v[114:115], v[112:113]
	v_fma_f64 v[110:111], -v[110:111], v[116:117], v[114:115]
	v_div_fmas_f64 v[110:111], v[110:111], v[112:113], v[116:117]
	v_div_fixup_f64 v[110:111], v[110:111], v[83:84], v[81:82]
	v_fma_f64 v[81:82], v[81:82], v[110:111], v[83:84]
	v_div_scale_f64 v[83:84], s[20:21], v[81:82], v[81:82], 1.0
	v_div_scale_f64 v[116:117], vcc, 1.0, v[81:82], 1.0
	v_rcp_f64_e32 v[112:113], v[83:84]
	v_fma_f64 v[114:115], -v[83:84], v[112:113], 1.0
	v_fma_f64 v[112:113], v[112:113], v[114:115], v[112:113]
	v_fma_f64 v[114:115], -v[83:84], v[112:113], 1.0
	v_fma_f64 v[112:113], v[112:113], v[114:115], v[112:113]
	v_mul_f64 v[114:115], v[116:117], v[112:113]
	v_fma_f64 v[83:84], -v[83:84], v[114:115], v[116:117]
	v_div_fmas_f64 v[83:84], v[83:84], v[112:113], v[114:115]
	v_div_fixup_f64 v[83:84], v[83:84], v[81:82], 1.0
	v_mul_f64 v[81:82], v[110:111], v[83:84]
	v_xor_b32_e32 v84, 0x80000000, v84
.LBB60_448:
	s_andn2_saveexec_b64 s[18:19], s[18:19]
	s_cbranch_execz .LBB60_450
; %bb.449:
	v_div_scale_f64 v[110:111], s[20:21], v[81:82], v[81:82], v[83:84]
	v_rcp_f64_e32 v[112:113], v[110:111]
	v_fma_f64 v[114:115], -v[110:111], v[112:113], 1.0
	v_fma_f64 v[112:113], v[112:113], v[114:115], v[112:113]
	v_div_scale_f64 v[114:115], vcc, v[83:84], v[81:82], v[83:84]
	v_fma_f64 v[116:117], -v[110:111], v[112:113], 1.0
	v_fma_f64 v[112:113], v[112:113], v[116:117], v[112:113]
	v_mul_f64 v[116:117], v[114:115], v[112:113]
	v_fma_f64 v[110:111], -v[110:111], v[116:117], v[114:115]
	v_div_fmas_f64 v[110:111], v[110:111], v[112:113], v[116:117]
	v_div_fixup_f64 v[110:111], v[110:111], v[81:82], v[83:84]
	v_fma_f64 v[81:82], v[83:84], v[110:111], v[81:82]
	v_div_scale_f64 v[83:84], s[20:21], v[81:82], v[81:82], 1.0
	v_div_scale_f64 v[116:117], vcc, 1.0, v[81:82], 1.0
	v_rcp_f64_e32 v[112:113], v[83:84]
	v_fma_f64 v[114:115], -v[83:84], v[112:113], 1.0
	v_fma_f64 v[112:113], v[112:113], v[114:115], v[112:113]
	v_fma_f64 v[114:115], -v[83:84], v[112:113], 1.0
	v_fma_f64 v[112:113], v[112:113], v[114:115], v[112:113]
	v_mul_f64 v[114:115], v[116:117], v[112:113]
	v_fma_f64 v[83:84], -v[83:84], v[114:115], v[116:117]
	v_div_fmas_f64 v[83:84], v[83:84], v[112:113], v[114:115]
	v_div_fixup_f64 v[81:82], v[83:84], v[81:82], 1.0
	v_mul_f64 v[83:84], v[110:111], -v[81:82]
.LBB60_450:
	s_or_b64 exec, exec, s[18:19]
.LBB60_451:
	s_or_b64 exec, exec, s[0:1]
	v_cmp_ne_u32_e32 vcc, v108, v109
	s_and_saveexec_b64 s[0:1], vcc
	s_xor_b64 s[0:1], exec, s[0:1]
	s_cbranch_execz .LBB60_457
; %bb.452:
	v_cmp_eq_u32_e32 vcc, 21, v108
	s_and_saveexec_b64 s[18:19], vcc
	s_cbranch_execz .LBB60_456
; %bb.453:
	v_cmp_ne_u32_e32 vcc, 21, v109
	s_xor_b64 s[20:21], s[6:7], -1
	s_and_b64 s[22:23], s[20:21], vcc
	s_and_saveexec_b64 s[20:21], s[22:23]
	s_cbranch_execz .LBB60_455
; %bb.454:
	buffer_load_dword v112, off, s[24:27], 0 offset:64 ; 4-byte Folded Reload
	buffer_load_dword v113, off, s[24:27], 0 offset:68 ; 4-byte Folded Reload
	v_ashrrev_i32_e32 v110, 31, v109
	v_lshlrev_b64 v[110:111], 2, v[109:110]
	s_waitcnt vmcnt(1)
	v_add_co_u32_e32 v110, vcc, v112, v110
	s_waitcnt vmcnt(0)
	v_addc_co_u32_e32 v111, vcc, v113, v111, vcc
	global_load_dword v0, v[110:111], off
	global_load_dword v108, v[112:113], off offset:84
	s_waitcnt vmcnt(1)
	global_store_dword v[112:113], v0, off offset:84
	s_waitcnt vmcnt(1)
	global_store_dword v[110:111], v108, off
.LBB60_455:
	s_or_b64 exec, exec, s[20:21]
	v_mov_b32_e32 v108, v109
	v_mov_b32_e32 v0, v109
.LBB60_456:
	s_or_b64 exec, exec, s[18:19]
.LBB60_457:
	s_andn2_saveexec_b64 s[0:1], s[0:1]
	s_cbranch_execz .LBB60_459
; %bb.458:
	v_mov_b32_e32 v108, 21
	ds_write2_b64 v106, v[29:30], v[31:32] offset0:44 offset1:45
	ds_write2_b64 v106, v[25:26], v[27:28] offset0:46 offset1:47
	;; [unrolled: 1-line block ×9, first 2 shown]
.LBB60_459:
	s_or_b64 exec, exec, s[0:1]
	v_cmp_lt_i32_e32 vcc, 21, v108
	s_waitcnt vmcnt(0) lgkmcnt(0)
	s_barrier
	s_and_saveexec_b64 s[0:1], vcc
	s_cbranch_execz .LBB60_461
; %bb.460:
	v_mul_f64 v[109:110], v[81:82], v[35:36]
	v_mul_f64 v[35:36], v[83:84], v[35:36]
	v_fma_f64 v[109:110], v[83:84], v[33:34], v[109:110]
	v_fma_f64 v[33:34], v[81:82], v[33:34], -v[35:36]
	ds_read2_b64 v[81:84], v106 offset0:44 offset1:45
	s_waitcnt lgkmcnt(0)
	v_mul_f64 v[35:36], v[83:84], v[109:110]
	v_fma_f64 v[35:36], v[81:82], v[33:34], -v[35:36]
	v_mul_f64 v[81:82], v[81:82], v[109:110]
	v_add_f64 v[29:30], v[29:30], -v[35:36]
	v_fma_f64 v[81:82], v[83:84], v[33:34], v[81:82]
	v_add_f64 v[31:32], v[31:32], -v[81:82]
	ds_read2_b64 v[81:84], v106 offset0:46 offset1:47
	s_waitcnt lgkmcnt(0)
	v_mul_f64 v[35:36], v[83:84], v[109:110]
	v_fma_f64 v[35:36], v[81:82], v[33:34], -v[35:36]
	v_mul_f64 v[81:82], v[81:82], v[109:110]
	v_add_f64 v[25:26], v[25:26], -v[35:36]
	v_fma_f64 v[81:82], v[83:84], v[33:34], v[81:82]
	v_add_f64 v[27:28], v[27:28], -v[81:82]
	;; [unrolled: 8-line block ×8, first 2 shown]
	ds_read2_b64 v[81:84], v106 offset0:60 offset1:61
	s_waitcnt lgkmcnt(0)
	v_mul_f64 v[35:36], v[83:84], v[109:110]
	v_fma_f64 v[35:36], v[81:82], v[33:34], -v[35:36]
	v_mul_f64 v[81:82], v[81:82], v[109:110]
	v_add_f64 v[121:122], v[121:122], -v[35:36]
	v_fma_f64 v[81:82], v[83:84], v[33:34], v[81:82]
	v_mov_b32_e32 v35, v109
	v_mov_b32_e32 v36, v110
	v_add_f64 v[123:124], v[123:124], -v[81:82]
.LBB60_461:
	s_or_b64 exec, exec, s[0:1]
	v_lshl_add_u32 v81, v108, 4, v106
	s_barrier
	ds_write2_b64 v81, v[29:30], v[31:32] offset1:1
	s_waitcnt lgkmcnt(0)
	s_barrier
	ds_read2_b64 v[81:84], v106 offset0:44 offset1:45
	s_cmp_lt_i32 s3, 24
	v_mov_b32_e32 v109, 22
	s_cbranch_scc1 .LBB60_464
; %bb.462:
	v_add_u32_e32 v110, 0x170, v106
	s_mov_b32 s0, 23
	v_mov_b32_e32 v109, 22
.LBB60_463:                             ; =>This Inner Loop Header: Depth=1
	s_waitcnt lgkmcnt(0)
	v_cmp_gt_f64_e32 vcc, 0, v[81:82]
	v_xor_b32_e32 v115, 0x80000000, v82
	ds_read2_b64 v[111:114], v110 offset1:1
	v_xor_b32_e32 v117, 0x80000000, v84
	v_add_u32_e32 v110, 16, v110
	s_waitcnt lgkmcnt(0)
	v_xor_b32_e32 v119, 0x80000000, v114
	v_cndmask_b32_e32 v116, v82, v115, vcc
	v_cmp_gt_f64_e32 vcc, 0, v[83:84]
	v_mov_b32_e32 v115, v81
	v_cndmask_b32_e32 v118, v84, v117, vcc
	v_cmp_gt_f64_e32 vcc, 0, v[111:112]
	v_mov_b32_e32 v117, v83
	v_add_f64 v[115:116], v[115:116], v[117:118]
	v_xor_b32_e32 v117, 0x80000000, v112
	v_cndmask_b32_e32 v118, v112, v117, vcc
	v_cmp_gt_f64_e32 vcc, 0, v[113:114]
	v_mov_b32_e32 v117, v111
	v_cndmask_b32_e32 v120, v114, v119, vcc
	v_mov_b32_e32 v119, v113
	v_add_f64 v[117:118], v[117:118], v[119:120]
	v_cmp_lt_f64_e32 vcc, v[115:116], v[117:118]
	v_cndmask_b32_e32 v81, v81, v111, vcc
	v_mov_b32_e32 v111, s0
	s_add_i32 s0, s0, 1
	v_cndmask_b32_e32 v82, v82, v112, vcc
	v_cndmask_b32_e32 v84, v84, v114, vcc
	;; [unrolled: 1-line block ×4, first 2 shown]
	s_cmp_lg_u32 s3, s0
	s_cbranch_scc1 .LBB60_463
.LBB60_464:
	s_waitcnt lgkmcnt(0)
	v_cmp_eq_f64_e32 vcc, 0, v[81:82]
	v_cmp_eq_f64_e64 s[0:1], 0, v[83:84]
	s_and_b64 s[0:1], vcc, s[0:1]
	s_and_saveexec_b64 s[18:19], s[0:1]
	s_xor_b64 s[0:1], exec, s[18:19]
; %bb.465:
	v_cmp_ne_u32_e32 vcc, 0, v107
	v_cndmask_b32_e32 v107, 23, v107, vcc
; %bb.466:
	s_andn2_saveexec_b64 s[0:1], s[0:1]
	s_cbranch_execz .LBB60_472
; %bb.467:
	v_cmp_ngt_f64_e64 s[18:19], |v[81:82]|, |v[83:84]|
	s_and_saveexec_b64 s[20:21], s[18:19]
	s_xor_b64 s[18:19], exec, s[20:21]
	s_cbranch_execz .LBB60_469
; %bb.468:
	v_div_scale_f64 v[110:111], s[20:21], v[83:84], v[83:84], v[81:82]
	v_rcp_f64_e32 v[112:113], v[110:111]
	v_fma_f64 v[114:115], -v[110:111], v[112:113], 1.0
	v_fma_f64 v[112:113], v[112:113], v[114:115], v[112:113]
	v_div_scale_f64 v[114:115], vcc, v[81:82], v[83:84], v[81:82]
	v_fma_f64 v[116:117], -v[110:111], v[112:113], 1.0
	v_fma_f64 v[112:113], v[112:113], v[116:117], v[112:113]
	v_mul_f64 v[116:117], v[114:115], v[112:113]
	v_fma_f64 v[110:111], -v[110:111], v[116:117], v[114:115]
	v_div_fmas_f64 v[110:111], v[110:111], v[112:113], v[116:117]
	v_div_fixup_f64 v[110:111], v[110:111], v[83:84], v[81:82]
	v_fma_f64 v[81:82], v[81:82], v[110:111], v[83:84]
	v_div_scale_f64 v[83:84], s[20:21], v[81:82], v[81:82], 1.0
	v_div_scale_f64 v[116:117], vcc, 1.0, v[81:82], 1.0
	v_rcp_f64_e32 v[112:113], v[83:84]
	v_fma_f64 v[114:115], -v[83:84], v[112:113], 1.0
	v_fma_f64 v[112:113], v[112:113], v[114:115], v[112:113]
	v_fma_f64 v[114:115], -v[83:84], v[112:113], 1.0
	v_fma_f64 v[112:113], v[112:113], v[114:115], v[112:113]
	v_mul_f64 v[114:115], v[116:117], v[112:113]
	v_fma_f64 v[83:84], -v[83:84], v[114:115], v[116:117]
	v_div_fmas_f64 v[83:84], v[83:84], v[112:113], v[114:115]
	v_div_fixup_f64 v[83:84], v[83:84], v[81:82], 1.0
	v_mul_f64 v[81:82], v[110:111], v[83:84]
	v_xor_b32_e32 v84, 0x80000000, v84
.LBB60_469:
	s_andn2_saveexec_b64 s[18:19], s[18:19]
	s_cbranch_execz .LBB60_471
; %bb.470:
	v_div_scale_f64 v[110:111], s[20:21], v[81:82], v[81:82], v[83:84]
	v_rcp_f64_e32 v[112:113], v[110:111]
	v_fma_f64 v[114:115], -v[110:111], v[112:113], 1.0
	v_fma_f64 v[112:113], v[112:113], v[114:115], v[112:113]
	v_div_scale_f64 v[114:115], vcc, v[83:84], v[81:82], v[83:84]
	v_fma_f64 v[116:117], -v[110:111], v[112:113], 1.0
	v_fma_f64 v[112:113], v[112:113], v[116:117], v[112:113]
	v_mul_f64 v[116:117], v[114:115], v[112:113]
	v_fma_f64 v[110:111], -v[110:111], v[116:117], v[114:115]
	v_div_fmas_f64 v[110:111], v[110:111], v[112:113], v[116:117]
	v_div_fixup_f64 v[110:111], v[110:111], v[81:82], v[83:84]
	v_fma_f64 v[81:82], v[83:84], v[110:111], v[81:82]
	v_div_scale_f64 v[83:84], s[20:21], v[81:82], v[81:82], 1.0
	v_div_scale_f64 v[116:117], vcc, 1.0, v[81:82], 1.0
	v_rcp_f64_e32 v[112:113], v[83:84]
	v_fma_f64 v[114:115], -v[83:84], v[112:113], 1.0
	v_fma_f64 v[112:113], v[112:113], v[114:115], v[112:113]
	v_fma_f64 v[114:115], -v[83:84], v[112:113], 1.0
	v_fma_f64 v[112:113], v[112:113], v[114:115], v[112:113]
	v_mul_f64 v[114:115], v[116:117], v[112:113]
	v_fma_f64 v[83:84], -v[83:84], v[114:115], v[116:117]
	v_div_fmas_f64 v[83:84], v[83:84], v[112:113], v[114:115]
	v_div_fixup_f64 v[81:82], v[83:84], v[81:82], 1.0
	v_mul_f64 v[83:84], v[110:111], -v[81:82]
.LBB60_471:
	s_or_b64 exec, exec, s[18:19]
.LBB60_472:
	s_or_b64 exec, exec, s[0:1]
	v_cmp_ne_u32_e32 vcc, v108, v109
	s_and_saveexec_b64 s[0:1], vcc
	s_xor_b64 s[0:1], exec, s[0:1]
	s_cbranch_execz .LBB60_478
; %bb.473:
	v_cmp_eq_u32_e32 vcc, 22, v108
	s_and_saveexec_b64 s[18:19], vcc
	s_cbranch_execz .LBB60_477
; %bb.474:
	v_cmp_ne_u32_e32 vcc, 22, v109
	s_xor_b64 s[20:21], s[6:7], -1
	s_and_b64 s[22:23], s[20:21], vcc
	s_and_saveexec_b64 s[20:21], s[22:23]
	s_cbranch_execz .LBB60_476
; %bb.475:
	buffer_load_dword v112, off, s[24:27], 0 offset:64 ; 4-byte Folded Reload
	buffer_load_dword v113, off, s[24:27], 0 offset:68 ; 4-byte Folded Reload
	v_ashrrev_i32_e32 v110, 31, v109
	v_lshlrev_b64 v[110:111], 2, v[109:110]
	s_waitcnt vmcnt(1)
	v_add_co_u32_e32 v110, vcc, v112, v110
	s_waitcnt vmcnt(0)
	v_addc_co_u32_e32 v111, vcc, v113, v111, vcc
	global_load_dword v0, v[110:111], off
	global_load_dword v108, v[112:113], off offset:88
	s_waitcnt vmcnt(1)
	global_store_dword v[112:113], v0, off offset:88
	s_waitcnt vmcnt(1)
	global_store_dword v[110:111], v108, off
.LBB60_476:
	s_or_b64 exec, exec, s[20:21]
	v_mov_b32_e32 v108, v109
	v_mov_b32_e32 v0, v109
.LBB60_477:
	s_or_b64 exec, exec, s[18:19]
.LBB60_478:
	s_andn2_saveexec_b64 s[0:1], s[0:1]
	s_cbranch_execz .LBB60_480
; %bb.479:
	v_mov_b32_e32 v108, 22
	ds_write2_b64 v106, v[25:26], v[27:28] offset0:46 offset1:47
	ds_write2_b64 v106, v[21:22], v[23:24] offset0:48 offset1:49
	;; [unrolled: 1-line block ×8, first 2 shown]
.LBB60_480:
	s_or_b64 exec, exec, s[0:1]
	v_cmp_lt_i32_e32 vcc, 22, v108
	s_waitcnt vmcnt(0) lgkmcnt(0)
	s_barrier
	s_and_saveexec_b64 s[0:1], vcc
	s_cbranch_execz .LBB60_482
; %bb.481:
	v_mul_f64 v[109:110], v[81:82], v[31:32]
	v_mul_f64 v[31:32], v[83:84], v[31:32]
	v_fma_f64 v[109:110], v[83:84], v[29:30], v[109:110]
	v_fma_f64 v[29:30], v[81:82], v[29:30], -v[31:32]
	ds_read2_b64 v[81:84], v106 offset0:46 offset1:47
	s_waitcnt lgkmcnt(0)
	v_mul_f64 v[31:32], v[83:84], v[109:110]
	v_fma_f64 v[31:32], v[81:82], v[29:30], -v[31:32]
	v_mul_f64 v[81:82], v[81:82], v[109:110]
	v_add_f64 v[25:26], v[25:26], -v[31:32]
	v_fma_f64 v[81:82], v[83:84], v[29:30], v[81:82]
	v_add_f64 v[27:28], v[27:28], -v[81:82]
	ds_read2_b64 v[81:84], v106 offset0:48 offset1:49
	s_waitcnt lgkmcnt(0)
	v_mul_f64 v[31:32], v[83:84], v[109:110]
	v_fma_f64 v[31:32], v[81:82], v[29:30], -v[31:32]
	v_mul_f64 v[81:82], v[81:82], v[109:110]
	v_add_f64 v[21:22], v[21:22], -v[31:32]
	v_fma_f64 v[81:82], v[83:84], v[29:30], v[81:82]
	v_add_f64 v[23:24], v[23:24], -v[81:82]
	;; [unrolled: 8-line block ×7, first 2 shown]
	ds_read2_b64 v[81:84], v106 offset0:60 offset1:61
	s_waitcnt lgkmcnt(0)
	v_mul_f64 v[31:32], v[83:84], v[109:110]
	v_fma_f64 v[31:32], v[81:82], v[29:30], -v[31:32]
	v_mul_f64 v[81:82], v[81:82], v[109:110]
	v_add_f64 v[121:122], v[121:122], -v[31:32]
	v_fma_f64 v[81:82], v[83:84], v[29:30], v[81:82]
	v_mov_b32_e32 v31, v109
	v_mov_b32_e32 v32, v110
	v_add_f64 v[123:124], v[123:124], -v[81:82]
.LBB60_482:
	s_or_b64 exec, exec, s[0:1]
	v_lshl_add_u32 v81, v108, 4, v106
	s_barrier
	ds_write2_b64 v81, v[25:26], v[27:28] offset1:1
	s_waitcnt lgkmcnt(0)
	s_barrier
	ds_read2_b64 v[81:84], v106 offset0:46 offset1:47
	s_cmp_lt_i32 s3, 25
	v_mov_b32_e32 v109, 23
	s_cbranch_scc1 .LBB60_485
; %bb.483:
	v_add_u32_e32 v110, 0x180, v106
	s_mov_b32 s0, 24
	v_mov_b32_e32 v109, 23
.LBB60_484:                             ; =>This Inner Loop Header: Depth=1
	s_waitcnt lgkmcnt(0)
	v_cmp_gt_f64_e32 vcc, 0, v[81:82]
	v_xor_b32_e32 v115, 0x80000000, v82
	ds_read2_b64 v[111:114], v110 offset1:1
	v_xor_b32_e32 v117, 0x80000000, v84
	v_add_u32_e32 v110, 16, v110
	s_waitcnt lgkmcnt(0)
	v_xor_b32_e32 v119, 0x80000000, v114
	v_cndmask_b32_e32 v116, v82, v115, vcc
	v_cmp_gt_f64_e32 vcc, 0, v[83:84]
	v_mov_b32_e32 v115, v81
	v_cndmask_b32_e32 v118, v84, v117, vcc
	v_cmp_gt_f64_e32 vcc, 0, v[111:112]
	v_mov_b32_e32 v117, v83
	v_add_f64 v[115:116], v[115:116], v[117:118]
	v_xor_b32_e32 v117, 0x80000000, v112
	v_cndmask_b32_e32 v118, v112, v117, vcc
	v_cmp_gt_f64_e32 vcc, 0, v[113:114]
	v_mov_b32_e32 v117, v111
	v_cndmask_b32_e32 v120, v114, v119, vcc
	v_mov_b32_e32 v119, v113
	v_add_f64 v[117:118], v[117:118], v[119:120]
	v_cmp_lt_f64_e32 vcc, v[115:116], v[117:118]
	v_cndmask_b32_e32 v81, v81, v111, vcc
	v_mov_b32_e32 v111, s0
	s_add_i32 s0, s0, 1
	v_cndmask_b32_e32 v82, v82, v112, vcc
	v_cndmask_b32_e32 v84, v84, v114, vcc
	;; [unrolled: 1-line block ×4, first 2 shown]
	s_cmp_lg_u32 s3, s0
	s_cbranch_scc1 .LBB60_484
.LBB60_485:
	s_waitcnt lgkmcnt(0)
	v_cmp_eq_f64_e32 vcc, 0, v[81:82]
	v_cmp_eq_f64_e64 s[0:1], 0, v[83:84]
	s_and_b64 s[0:1], vcc, s[0:1]
	s_and_saveexec_b64 s[18:19], s[0:1]
	s_xor_b64 s[0:1], exec, s[18:19]
; %bb.486:
	v_cmp_ne_u32_e32 vcc, 0, v107
	v_cndmask_b32_e32 v107, 24, v107, vcc
; %bb.487:
	s_andn2_saveexec_b64 s[0:1], s[0:1]
	s_cbranch_execz .LBB60_493
; %bb.488:
	v_cmp_ngt_f64_e64 s[18:19], |v[81:82]|, |v[83:84]|
	s_and_saveexec_b64 s[20:21], s[18:19]
	s_xor_b64 s[18:19], exec, s[20:21]
	s_cbranch_execz .LBB60_490
; %bb.489:
	v_div_scale_f64 v[110:111], s[20:21], v[83:84], v[83:84], v[81:82]
	v_rcp_f64_e32 v[112:113], v[110:111]
	v_fma_f64 v[114:115], -v[110:111], v[112:113], 1.0
	v_fma_f64 v[112:113], v[112:113], v[114:115], v[112:113]
	v_div_scale_f64 v[114:115], vcc, v[81:82], v[83:84], v[81:82]
	v_fma_f64 v[116:117], -v[110:111], v[112:113], 1.0
	v_fma_f64 v[112:113], v[112:113], v[116:117], v[112:113]
	v_mul_f64 v[116:117], v[114:115], v[112:113]
	v_fma_f64 v[110:111], -v[110:111], v[116:117], v[114:115]
	v_div_fmas_f64 v[110:111], v[110:111], v[112:113], v[116:117]
	v_div_fixup_f64 v[110:111], v[110:111], v[83:84], v[81:82]
	v_fma_f64 v[81:82], v[81:82], v[110:111], v[83:84]
	v_div_scale_f64 v[83:84], s[20:21], v[81:82], v[81:82], 1.0
	v_div_scale_f64 v[116:117], vcc, 1.0, v[81:82], 1.0
	v_rcp_f64_e32 v[112:113], v[83:84]
	v_fma_f64 v[114:115], -v[83:84], v[112:113], 1.0
	v_fma_f64 v[112:113], v[112:113], v[114:115], v[112:113]
	v_fma_f64 v[114:115], -v[83:84], v[112:113], 1.0
	v_fma_f64 v[112:113], v[112:113], v[114:115], v[112:113]
	v_mul_f64 v[114:115], v[116:117], v[112:113]
	v_fma_f64 v[83:84], -v[83:84], v[114:115], v[116:117]
	v_div_fmas_f64 v[83:84], v[83:84], v[112:113], v[114:115]
	v_div_fixup_f64 v[83:84], v[83:84], v[81:82], 1.0
	v_mul_f64 v[81:82], v[110:111], v[83:84]
	v_xor_b32_e32 v84, 0x80000000, v84
.LBB60_490:
	s_andn2_saveexec_b64 s[18:19], s[18:19]
	s_cbranch_execz .LBB60_492
; %bb.491:
	v_div_scale_f64 v[110:111], s[20:21], v[81:82], v[81:82], v[83:84]
	v_rcp_f64_e32 v[112:113], v[110:111]
	v_fma_f64 v[114:115], -v[110:111], v[112:113], 1.0
	v_fma_f64 v[112:113], v[112:113], v[114:115], v[112:113]
	v_div_scale_f64 v[114:115], vcc, v[83:84], v[81:82], v[83:84]
	v_fma_f64 v[116:117], -v[110:111], v[112:113], 1.0
	v_fma_f64 v[112:113], v[112:113], v[116:117], v[112:113]
	v_mul_f64 v[116:117], v[114:115], v[112:113]
	v_fma_f64 v[110:111], -v[110:111], v[116:117], v[114:115]
	v_div_fmas_f64 v[110:111], v[110:111], v[112:113], v[116:117]
	v_div_fixup_f64 v[110:111], v[110:111], v[81:82], v[83:84]
	v_fma_f64 v[81:82], v[83:84], v[110:111], v[81:82]
	v_div_scale_f64 v[83:84], s[20:21], v[81:82], v[81:82], 1.0
	v_div_scale_f64 v[116:117], vcc, 1.0, v[81:82], 1.0
	v_rcp_f64_e32 v[112:113], v[83:84]
	v_fma_f64 v[114:115], -v[83:84], v[112:113], 1.0
	v_fma_f64 v[112:113], v[112:113], v[114:115], v[112:113]
	v_fma_f64 v[114:115], -v[83:84], v[112:113], 1.0
	v_fma_f64 v[112:113], v[112:113], v[114:115], v[112:113]
	v_mul_f64 v[114:115], v[116:117], v[112:113]
	v_fma_f64 v[83:84], -v[83:84], v[114:115], v[116:117]
	v_div_fmas_f64 v[83:84], v[83:84], v[112:113], v[114:115]
	v_div_fixup_f64 v[81:82], v[83:84], v[81:82], 1.0
	v_mul_f64 v[83:84], v[110:111], -v[81:82]
.LBB60_492:
	s_or_b64 exec, exec, s[18:19]
.LBB60_493:
	s_or_b64 exec, exec, s[0:1]
	v_cmp_ne_u32_e32 vcc, v108, v109
	s_and_saveexec_b64 s[0:1], vcc
	s_xor_b64 s[0:1], exec, s[0:1]
	s_cbranch_execz .LBB60_499
; %bb.494:
	v_cmp_eq_u32_e32 vcc, 23, v108
	s_and_saveexec_b64 s[18:19], vcc
	s_cbranch_execz .LBB60_498
; %bb.495:
	v_cmp_ne_u32_e32 vcc, 23, v109
	s_xor_b64 s[20:21], s[6:7], -1
	s_and_b64 s[22:23], s[20:21], vcc
	s_and_saveexec_b64 s[20:21], s[22:23]
	s_cbranch_execz .LBB60_497
; %bb.496:
	buffer_load_dword v112, off, s[24:27], 0 offset:64 ; 4-byte Folded Reload
	buffer_load_dword v113, off, s[24:27], 0 offset:68 ; 4-byte Folded Reload
	v_ashrrev_i32_e32 v110, 31, v109
	v_lshlrev_b64 v[110:111], 2, v[109:110]
	s_waitcnt vmcnt(1)
	v_add_co_u32_e32 v110, vcc, v112, v110
	s_waitcnt vmcnt(0)
	v_addc_co_u32_e32 v111, vcc, v113, v111, vcc
	global_load_dword v0, v[110:111], off
	global_load_dword v108, v[112:113], off offset:92
	s_waitcnt vmcnt(1)
	global_store_dword v[112:113], v0, off offset:92
	s_waitcnt vmcnt(1)
	global_store_dword v[110:111], v108, off
.LBB60_497:
	s_or_b64 exec, exec, s[20:21]
	v_mov_b32_e32 v108, v109
	v_mov_b32_e32 v0, v109
.LBB60_498:
	s_or_b64 exec, exec, s[18:19]
.LBB60_499:
	s_andn2_saveexec_b64 s[0:1], s[0:1]
	s_cbranch_execz .LBB60_501
; %bb.500:
	v_mov_b32_e32 v108, 23
	ds_write2_b64 v106, v[21:22], v[23:24] offset0:48 offset1:49
	ds_write2_b64 v106, v[17:18], v[19:20] offset0:50 offset1:51
	;; [unrolled: 1-line block ×7, first 2 shown]
.LBB60_501:
	s_or_b64 exec, exec, s[0:1]
	v_cmp_lt_i32_e32 vcc, 23, v108
	s_waitcnt vmcnt(0) lgkmcnt(0)
	s_barrier
	s_and_saveexec_b64 s[0:1], vcc
	s_cbranch_execz .LBB60_503
; %bb.502:
	v_mul_f64 v[109:110], v[81:82], v[27:28]
	v_mul_f64 v[27:28], v[83:84], v[27:28]
	v_fma_f64 v[109:110], v[83:84], v[25:26], v[109:110]
	v_fma_f64 v[25:26], v[81:82], v[25:26], -v[27:28]
	ds_read2_b64 v[81:84], v106 offset0:48 offset1:49
	s_waitcnt lgkmcnt(0)
	v_mul_f64 v[27:28], v[83:84], v[109:110]
	v_fma_f64 v[27:28], v[81:82], v[25:26], -v[27:28]
	v_mul_f64 v[81:82], v[81:82], v[109:110]
	v_add_f64 v[21:22], v[21:22], -v[27:28]
	v_fma_f64 v[81:82], v[83:84], v[25:26], v[81:82]
	v_add_f64 v[23:24], v[23:24], -v[81:82]
	ds_read2_b64 v[81:84], v106 offset0:50 offset1:51
	s_waitcnt lgkmcnt(0)
	v_mul_f64 v[27:28], v[83:84], v[109:110]
	v_fma_f64 v[27:28], v[81:82], v[25:26], -v[27:28]
	v_mul_f64 v[81:82], v[81:82], v[109:110]
	v_add_f64 v[17:18], v[17:18], -v[27:28]
	v_fma_f64 v[81:82], v[83:84], v[25:26], v[81:82]
	v_add_f64 v[19:20], v[19:20], -v[81:82]
	;; [unrolled: 8-line block ×6, first 2 shown]
	ds_read2_b64 v[81:84], v106 offset0:60 offset1:61
	s_waitcnt lgkmcnt(0)
	v_mul_f64 v[27:28], v[83:84], v[109:110]
	v_fma_f64 v[27:28], v[81:82], v[25:26], -v[27:28]
	v_mul_f64 v[81:82], v[81:82], v[109:110]
	v_add_f64 v[121:122], v[121:122], -v[27:28]
	v_fma_f64 v[81:82], v[83:84], v[25:26], v[81:82]
	v_mov_b32_e32 v27, v109
	v_mov_b32_e32 v28, v110
	v_add_f64 v[123:124], v[123:124], -v[81:82]
.LBB60_503:
	s_or_b64 exec, exec, s[0:1]
	v_lshl_add_u32 v81, v108, 4, v106
	s_barrier
	ds_write2_b64 v81, v[21:22], v[23:24] offset1:1
	s_waitcnt lgkmcnt(0)
	s_barrier
	ds_read2_b64 v[81:84], v106 offset0:48 offset1:49
	s_cmp_lt_i32 s3, 26
	v_mov_b32_e32 v109, 24
	s_cbranch_scc1 .LBB60_506
; %bb.504:
	v_add_u32_e32 v110, 0x190, v106
	s_mov_b32 s0, 25
	v_mov_b32_e32 v109, 24
.LBB60_505:                             ; =>This Inner Loop Header: Depth=1
	s_waitcnt lgkmcnt(0)
	v_cmp_gt_f64_e32 vcc, 0, v[81:82]
	v_xor_b32_e32 v115, 0x80000000, v82
	ds_read2_b64 v[111:114], v110 offset1:1
	v_xor_b32_e32 v117, 0x80000000, v84
	v_add_u32_e32 v110, 16, v110
	s_waitcnt lgkmcnt(0)
	v_xor_b32_e32 v119, 0x80000000, v114
	v_cndmask_b32_e32 v116, v82, v115, vcc
	v_cmp_gt_f64_e32 vcc, 0, v[83:84]
	v_mov_b32_e32 v115, v81
	v_cndmask_b32_e32 v118, v84, v117, vcc
	v_cmp_gt_f64_e32 vcc, 0, v[111:112]
	v_mov_b32_e32 v117, v83
	v_add_f64 v[115:116], v[115:116], v[117:118]
	v_xor_b32_e32 v117, 0x80000000, v112
	v_cndmask_b32_e32 v118, v112, v117, vcc
	v_cmp_gt_f64_e32 vcc, 0, v[113:114]
	v_mov_b32_e32 v117, v111
	v_cndmask_b32_e32 v120, v114, v119, vcc
	v_mov_b32_e32 v119, v113
	v_add_f64 v[117:118], v[117:118], v[119:120]
	v_cmp_lt_f64_e32 vcc, v[115:116], v[117:118]
	v_cndmask_b32_e32 v81, v81, v111, vcc
	v_mov_b32_e32 v111, s0
	s_add_i32 s0, s0, 1
	v_cndmask_b32_e32 v82, v82, v112, vcc
	v_cndmask_b32_e32 v84, v84, v114, vcc
	;; [unrolled: 1-line block ×4, first 2 shown]
	s_cmp_lg_u32 s3, s0
	s_cbranch_scc1 .LBB60_505
.LBB60_506:
	s_waitcnt lgkmcnt(0)
	v_cmp_eq_f64_e32 vcc, 0, v[81:82]
	v_cmp_eq_f64_e64 s[0:1], 0, v[83:84]
	s_and_b64 s[0:1], vcc, s[0:1]
	s_and_saveexec_b64 s[18:19], s[0:1]
	s_xor_b64 s[0:1], exec, s[18:19]
; %bb.507:
	v_cmp_ne_u32_e32 vcc, 0, v107
	v_cndmask_b32_e32 v107, 25, v107, vcc
; %bb.508:
	s_andn2_saveexec_b64 s[0:1], s[0:1]
	s_cbranch_execz .LBB60_514
; %bb.509:
	v_cmp_ngt_f64_e64 s[18:19], |v[81:82]|, |v[83:84]|
	s_and_saveexec_b64 s[20:21], s[18:19]
	s_xor_b64 s[18:19], exec, s[20:21]
	s_cbranch_execz .LBB60_511
; %bb.510:
	v_div_scale_f64 v[110:111], s[20:21], v[83:84], v[83:84], v[81:82]
	v_rcp_f64_e32 v[112:113], v[110:111]
	v_fma_f64 v[114:115], -v[110:111], v[112:113], 1.0
	v_fma_f64 v[112:113], v[112:113], v[114:115], v[112:113]
	v_div_scale_f64 v[114:115], vcc, v[81:82], v[83:84], v[81:82]
	v_fma_f64 v[116:117], -v[110:111], v[112:113], 1.0
	v_fma_f64 v[112:113], v[112:113], v[116:117], v[112:113]
	v_mul_f64 v[116:117], v[114:115], v[112:113]
	v_fma_f64 v[110:111], -v[110:111], v[116:117], v[114:115]
	v_div_fmas_f64 v[110:111], v[110:111], v[112:113], v[116:117]
	v_div_fixup_f64 v[110:111], v[110:111], v[83:84], v[81:82]
	v_fma_f64 v[81:82], v[81:82], v[110:111], v[83:84]
	v_div_scale_f64 v[83:84], s[20:21], v[81:82], v[81:82], 1.0
	v_div_scale_f64 v[116:117], vcc, 1.0, v[81:82], 1.0
	v_rcp_f64_e32 v[112:113], v[83:84]
	v_fma_f64 v[114:115], -v[83:84], v[112:113], 1.0
	v_fma_f64 v[112:113], v[112:113], v[114:115], v[112:113]
	v_fma_f64 v[114:115], -v[83:84], v[112:113], 1.0
	v_fma_f64 v[112:113], v[112:113], v[114:115], v[112:113]
	v_mul_f64 v[114:115], v[116:117], v[112:113]
	v_fma_f64 v[83:84], -v[83:84], v[114:115], v[116:117]
	v_div_fmas_f64 v[83:84], v[83:84], v[112:113], v[114:115]
	v_div_fixup_f64 v[83:84], v[83:84], v[81:82], 1.0
	v_mul_f64 v[81:82], v[110:111], v[83:84]
	v_xor_b32_e32 v84, 0x80000000, v84
.LBB60_511:
	s_andn2_saveexec_b64 s[18:19], s[18:19]
	s_cbranch_execz .LBB60_513
; %bb.512:
	v_div_scale_f64 v[110:111], s[20:21], v[81:82], v[81:82], v[83:84]
	v_rcp_f64_e32 v[112:113], v[110:111]
	v_fma_f64 v[114:115], -v[110:111], v[112:113], 1.0
	v_fma_f64 v[112:113], v[112:113], v[114:115], v[112:113]
	v_div_scale_f64 v[114:115], vcc, v[83:84], v[81:82], v[83:84]
	v_fma_f64 v[116:117], -v[110:111], v[112:113], 1.0
	v_fma_f64 v[112:113], v[112:113], v[116:117], v[112:113]
	v_mul_f64 v[116:117], v[114:115], v[112:113]
	v_fma_f64 v[110:111], -v[110:111], v[116:117], v[114:115]
	v_div_fmas_f64 v[110:111], v[110:111], v[112:113], v[116:117]
	v_div_fixup_f64 v[110:111], v[110:111], v[81:82], v[83:84]
	v_fma_f64 v[81:82], v[83:84], v[110:111], v[81:82]
	v_div_scale_f64 v[83:84], s[20:21], v[81:82], v[81:82], 1.0
	v_div_scale_f64 v[116:117], vcc, 1.0, v[81:82], 1.0
	v_rcp_f64_e32 v[112:113], v[83:84]
	v_fma_f64 v[114:115], -v[83:84], v[112:113], 1.0
	v_fma_f64 v[112:113], v[112:113], v[114:115], v[112:113]
	v_fma_f64 v[114:115], -v[83:84], v[112:113], 1.0
	v_fma_f64 v[112:113], v[112:113], v[114:115], v[112:113]
	v_mul_f64 v[114:115], v[116:117], v[112:113]
	v_fma_f64 v[83:84], -v[83:84], v[114:115], v[116:117]
	v_div_fmas_f64 v[83:84], v[83:84], v[112:113], v[114:115]
	v_div_fixup_f64 v[81:82], v[83:84], v[81:82], 1.0
	v_mul_f64 v[83:84], v[110:111], -v[81:82]
.LBB60_513:
	s_or_b64 exec, exec, s[18:19]
.LBB60_514:
	s_or_b64 exec, exec, s[0:1]
	v_cmp_ne_u32_e32 vcc, v108, v109
	s_and_saveexec_b64 s[0:1], vcc
	s_xor_b64 s[0:1], exec, s[0:1]
	s_cbranch_execz .LBB60_520
; %bb.515:
	v_cmp_eq_u32_e32 vcc, 24, v108
	s_and_saveexec_b64 s[18:19], vcc
	s_cbranch_execz .LBB60_519
; %bb.516:
	v_cmp_ne_u32_e32 vcc, 24, v109
	s_xor_b64 s[20:21], s[6:7], -1
	s_and_b64 s[22:23], s[20:21], vcc
	s_and_saveexec_b64 s[20:21], s[22:23]
	s_cbranch_execz .LBB60_518
; %bb.517:
	buffer_load_dword v112, off, s[24:27], 0 offset:64 ; 4-byte Folded Reload
	buffer_load_dword v113, off, s[24:27], 0 offset:68 ; 4-byte Folded Reload
	v_ashrrev_i32_e32 v110, 31, v109
	v_lshlrev_b64 v[110:111], 2, v[109:110]
	s_waitcnt vmcnt(1)
	v_add_co_u32_e32 v110, vcc, v112, v110
	s_waitcnt vmcnt(0)
	v_addc_co_u32_e32 v111, vcc, v113, v111, vcc
	global_load_dword v0, v[110:111], off
	global_load_dword v108, v[112:113], off offset:96
	s_waitcnt vmcnt(1)
	global_store_dword v[112:113], v0, off offset:96
	s_waitcnt vmcnt(1)
	global_store_dword v[110:111], v108, off
.LBB60_518:
	s_or_b64 exec, exec, s[20:21]
	v_mov_b32_e32 v108, v109
	v_mov_b32_e32 v0, v109
.LBB60_519:
	s_or_b64 exec, exec, s[18:19]
.LBB60_520:
	s_andn2_saveexec_b64 s[0:1], s[0:1]
	s_cbranch_execz .LBB60_522
; %bb.521:
	v_mov_b32_e32 v108, 24
	ds_write2_b64 v106, v[17:18], v[19:20] offset0:50 offset1:51
	ds_write2_b64 v106, v[13:14], v[15:16] offset0:52 offset1:53
	;; [unrolled: 1-line block ×6, first 2 shown]
.LBB60_522:
	s_or_b64 exec, exec, s[0:1]
	v_cmp_lt_i32_e32 vcc, 24, v108
	s_waitcnt vmcnt(0) lgkmcnt(0)
	s_barrier
	s_and_saveexec_b64 s[0:1], vcc
	s_cbranch_execz .LBB60_524
; %bb.523:
	v_mul_f64 v[109:110], v[81:82], v[23:24]
	v_mul_f64 v[23:24], v[83:84], v[23:24]
	v_fma_f64 v[109:110], v[83:84], v[21:22], v[109:110]
	v_fma_f64 v[21:22], v[81:82], v[21:22], -v[23:24]
	ds_read2_b64 v[81:84], v106 offset0:50 offset1:51
	s_waitcnt lgkmcnt(0)
	v_mul_f64 v[23:24], v[83:84], v[109:110]
	v_fma_f64 v[23:24], v[81:82], v[21:22], -v[23:24]
	v_mul_f64 v[81:82], v[81:82], v[109:110]
	v_add_f64 v[17:18], v[17:18], -v[23:24]
	v_fma_f64 v[81:82], v[83:84], v[21:22], v[81:82]
	v_add_f64 v[19:20], v[19:20], -v[81:82]
	ds_read2_b64 v[81:84], v106 offset0:52 offset1:53
	s_waitcnt lgkmcnt(0)
	v_mul_f64 v[23:24], v[83:84], v[109:110]
	v_fma_f64 v[23:24], v[81:82], v[21:22], -v[23:24]
	v_mul_f64 v[81:82], v[81:82], v[109:110]
	v_add_f64 v[13:14], v[13:14], -v[23:24]
	v_fma_f64 v[81:82], v[83:84], v[21:22], v[81:82]
	v_add_f64 v[15:16], v[15:16], -v[81:82]
	;; [unrolled: 8-line block ×5, first 2 shown]
	ds_read2_b64 v[81:84], v106 offset0:60 offset1:61
	s_waitcnt lgkmcnt(0)
	v_mul_f64 v[23:24], v[83:84], v[109:110]
	v_fma_f64 v[23:24], v[81:82], v[21:22], -v[23:24]
	v_mul_f64 v[81:82], v[81:82], v[109:110]
	v_add_f64 v[121:122], v[121:122], -v[23:24]
	v_fma_f64 v[81:82], v[83:84], v[21:22], v[81:82]
	v_mov_b32_e32 v23, v109
	v_mov_b32_e32 v24, v110
	v_add_f64 v[123:124], v[123:124], -v[81:82]
.LBB60_524:
	s_or_b64 exec, exec, s[0:1]
	v_lshl_add_u32 v81, v108, 4, v106
	s_barrier
	ds_write2_b64 v81, v[17:18], v[19:20] offset1:1
	s_waitcnt lgkmcnt(0)
	s_barrier
	ds_read2_b64 v[81:84], v106 offset0:50 offset1:51
	s_cmp_lt_i32 s3, 27
	v_mov_b32_e32 v109, 25
	s_cbranch_scc1 .LBB60_527
; %bb.525:
	v_add_u32_e32 v110, 0x1a0, v106
	s_mov_b32 s0, 26
	v_mov_b32_e32 v109, 25
.LBB60_526:                             ; =>This Inner Loop Header: Depth=1
	s_waitcnt lgkmcnt(0)
	v_cmp_gt_f64_e32 vcc, 0, v[81:82]
	v_xor_b32_e32 v115, 0x80000000, v82
	ds_read2_b64 v[111:114], v110 offset1:1
	v_xor_b32_e32 v117, 0x80000000, v84
	v_add_u32_e32 v110, 16, v110
	s_waitcnt lgkmcnt(0)
	v_xor_b32_e32 v119, 0x80000000, v114
	v_cndmask_b32_e32 v116, v82, v115, vcc
	v_cmp_gt_f64_e32 vcc, 0, v[83:84]
	v_mov_b32_e32 v115, v81
	v_cndmask_b32_e32 v118, v84, v117, vcc
	v_cmp_gt_f64_e32 vcc, 0, v[111:112]
	v_mov_b32_e32 v117, v83
	v_add_f64 v[115:116], v[115:116], v[117:118]
	v_xor_b32_e32 v117, 0x80000000, v112
	v_cndmask_b32_e32 v118, v112, v117, vcc
	v_cmp_gt_f64_e32 vcc, 0, v[113:114]
	v_mov_b32_e32 v117, v111
	v_cndmask_b32_e32 v120, v114, v119, vcc
	v_mov_b32_e32 v119, v113
	v_add_f64 v[117:118], v[117:118], v[119:120]
	v_cmp_lt_f64_e32 vcc, v[115:116], v[117:118]
	v_cndmask_b32_e32 v81, v81, v111, vcc
	v_mov_b32_e32 v111, s0
	s_add_i32 s0, s0, 1
	v_cndmask_b32_e32 v82, v82, v112, vcc
	v_cndmask_b32_e32 v84, v84, v114, vcc
	;; [unrolled: 1-line block ×4, first 2 shown]
	s_cmp_lg_u32 s3, s0
	s_cbranch_scc1 .LBB60_526
.LBB60_527:
	s_waitcnt lgkmcnt(0)
	v_cmp_eq_f64_e32 vcc, 0, v[81:82]
	v_cmp_eq_f64_e64 s[0:1], 0, v[83:84]
	s_and_b64 s[0:1], vcc, s[0:1]
	s_and_saveexec_b64 s[18:19], s[0:1]
	s_xor_b64 s[0:1], exec, s[18:19]
; %bb.528:
	v_cmp_ne_u32_e32 vcc, 0, v107
	v_cndmask_b32_e32 v107, 26, v107, vcc
; %bb.529:
	s_andn2_saveexec_b64 s[0:1], s[0:1]
	s_cbranch_execz .LBB60_535
; %bb.530:
	v_cmp_ngt_f64_e64 s[18:19], |v[81:82]|, |v[83:84]|
	s_and_saveexec_b64 s[20:21], s[18:19]
	s_xor_b64 s[18:19], exec, s[20:21]
	s_cbranch_execz .LBB60_532
; %bb.531:
	v_div_scale_f64 v[110:111], s[20:21], v[83:84], v[83:84], v[81:82]
	v_rcp_f64_e32 v[112:113], v[110:111]
	v_fma_f64 v[114:115], -v[110:111], v[112:113], 1.0
	v_fma_f64 v[112:113], v[112:113], v[114:115], v[112:113]
	v_div_scale_f64 v[114:115], vcc, v[81:82], v[83:84], v[81:82]
	v_fma_f64 v[116:117], -v[110:111], v[112:113], 1.0
	v_fma_f64 v[112:113], v[112:113], v[116:117], v[112:113]
	v_mul_f64 v[116:117], v[114:115], v[112:113]
	v_fma_f64 v[110:111], -v[110:111], v[116:117], v[114:115]
	v_div_fmas_f64 v[110:111], v[110:111], v[112:113], v[116:117]
	v_div_fixup_f64 v[110:111], v[110:111], v[83:84], v[81:82]
	v_fma_f64 v[81:82], v[81:82], v[110:111], v[83:84]
	v_div_scale_f64 v[83:84], s[20:21], v[81:82], v[81:82], 1.0
	v_div_scale_f64 v[116:117], vcc, 1.0, v[81:82], 1.0
	v_rcp_f64_e32 v[112:113], v[83:84]
	v_fma_f64 v[114:115], -v[83:84], v[112:113], 1.0
	v_fma_f64 v[112:113], v[112:113], v[114:115], v[112:113]
	v_fma_f64 v[114:115], -v[83:84], v[112:113], 1.0
	v_fma_f64 v[112:113], v[112:113], v[114:115], v[112:113]
	v_mul_f64 v[114:115], v[116:117], v[112:113]
	v_fma_f64 v[83:84], -v[83:84], v[114:115], v[116:117]
	v_div_fmas_f64 v[83:84], v[83:84], v[112:113], v[114:115]
	v_div_fixup_f64 v[83:84], v[83:84], v[81:82], 1.0
	v_mul_f64 v[81:82], v[110:111], v[83:84]
	v_xor_b32_e32 v84, 0x80000000, v84
.LBB60_532:
	s_andn2_saveexec_b64 s[18:19], s[18:19]
	s_cbranch_execz .LBB60_534
; %bb.533:
	v_div_scale_f64 v[110:111], s[20:21], v[81:82], v[81:82], v[83:84]
	v_rcp_f64_e32 v[112:113], v[110:111]
	v_fma_f64 v[114:115], -v[110:111], v[112:113], 1.0
	v_fma_f64 v[112:113], v[112:113], v[114:115], v[112:113]
	v_div_scale_f64 v[114:115], vcc, v[83:84], v[81:82], v[83:84]
	v_fma_f64 v[116:117], -v[110:111], v[112:113], 1.0
	v_fma_f64 v[112:113], v[112:113], v[116:117], v[112:113]
	v_mul_f64 v[116:117], v[114:115], v[112:113]
	v_fma_f64 v[110:111], -v[110:111], v[116:117], v[114:115]
	v_div_fmas_f64 v[110:111], v[110:111], v[112:113], v[116:117]
	v_div_fixup_f64 v[110:111], v[110:111], v[81:82], v[83:84]
	v_fma_f64 v[81:82], v[83:84], v[110:111], v[81:82]
	v_div_scale_f64 v[83:84], s[20:21], v[81:82], v[81:82], 1.0
	v_div_scale_f64 v[116:117], vcc, 1.0, v[81:82], 1.0
	v_rcp_f64_e32 v[112:113], v[83:84]
	v_fma_f64 v[114:115], -v[83:84], v[112:113], 1.0
	v_fma_f64 v[112:113], v[112:113], v[114:115], v[112:113]
	v_fma_f64 v[114:115], -v[83:84], v[112:113], 1.0
	v_fma_f64 v[112:113], v[112:113], v[114:115], v[112:113]
	v_mul_f64 v[114:115], v[116:117], v[112:113]
	v_fma_f64 v[83:84], -v[83:84], v[114:115], v[116:117]
	v_div_fmas_f64 v[83:84], v[83:84], v[112:113], v[114:115]
	v_div_fixup_f64 v[81:82], v[83:84], v[81:82], 1.0
	v_mul_f64 v[83:84], v[110:111], -v[81:82]
.LBB60_534:
	s_or_b64 exec, exec, s[18:19]
.LBB60_535:
	s_or_b64 exec, exec, s[0:1]
	v_cmp_ne_u32_e32 vcc, v108, v109
	s_and_saveexec_b64 s[0:1], vcc
	s_xor_b64 s[0:1], exec, s[0:1]
	s_cbranch_execz .LBB60_541
; %bb.536:
	v_cmp_eq_u32_e32 vcc, 25, v108
	s_and_saveexec_b64 s[18:19], vcc
	s_cbranch_execz .LBB60_540
; %bb.537:
	v_cmp_ne_u32_e32 vcc, 25, v109
	s_xor_b64 s[20:21], s[6:7], -1
	s_and_b64 s[22:23], s[20:21], vcc
	s_and_saveexec_b64 s[20:21], s[22:23]
	s_cbranch_execz .LBB60_539
; %bb.538:
	buffer_load_dword v112, off, s[24:27], 0 offset:64 ; 4-byte Folded Reload
	buffer_load_dword v113, off, s[24:27], 0 offset:68 ; 4-byte Folded Reload
	v_ashrrev_i32_e32 v110, 31, v109
	v_lshlrev_b64 v[110:111], 2, v[109:110]
	s_waitcnt vmcnt(1)
	v_add_co_u32_e32 v110, vcc, v112, v110
	s_waitcnt vmcnt(0)
	v_addc_co_u32_e32 v111, vcc, v113, v111, vcc
	global_load_dword v0, v[110:111], off
	global_load_dword v108, v[112:113], off offset:100
	s_waitcnt vmcnt(1)
	global_store_dword v[112:113], v0, off offset:100
	s_waitcnt vmcnt(1)
	global_store_dword v[110:111], v108, off
.LBB60_539:
	s_or_b64 exec, exec, s[20:21]
	v_mov_b32_e32 v108, v109
	v_mov_b32_e32 v0, v109
.LBB60_540:
	s_or_b64 exec, exec, s[18:19]
.LBB60_541:
	s_andn2_saveexec_b64 s[0:1], s[0:1]
	s_cbranch_execz .LBB60_543
; %bb.542:
	v_mov_b32_e32 v108, 25
	ds_write2_b64 v106, v[13:14], v[15:16] offset0:52 offset1:53
	ds_write2_b64 v106, v[9:10], v[11:12] offset0:54 offset1:55
	;; [unrolled: 1-line block ×5, first 2 shown]
.LBB60_543:
	s_or_b64 exec, exec, s[0:1]
	v_cmp_lt_i32_e32 vcc, 25, v108
	s_waitcnt vmcnt(0) lgkmcnt(0)
	s_barrier
	s_and_saveexec_b64 s[0:1], vcc
	s_cbranch_execz .LBB60_545
; %bb.544:
	v_mul_f64 v[109:110], v[81:82], v[19:20]
	v_mul_f64 v[19:20], v[83:84], v[19:20]
	v_fma_f64 v[109:110], v[83:84], v[17:18], v[109:110]
	v_fma_f64 v[17:18], v[81:82], v[17:18], -v[19:20]
	ds_read2_b64 v[81:84], v106 offset0:52 offset1:53
	s_waitcnt lgkmcnt(0)
	v_mul_f64 v[19:20], v[83:84], v[109:110]
	v_fma_f64 v[19:20], v[81:82], v[17:18], -v[19:20]
	v_mul_f64 v[81:82], v[81:82], v[109:110]
	v_add_f64 v[13:14], v[13:14], -v[19:20]
	v_fma_f64 v[81:82], v[83:84], v[17:18], v[81:82]
	v_add_f64 v[15:16], v[15:16], -v[81:82]
	ds_read2_b64 v[81:84], v106 offset0:54 offset1:55
	s_waitcnt lgkmcnt(0)
	v_mul_f64 v[19:20], v[83:84], v[109:110]
	v_fma_f64 v[19:20], v[81:82], v[17:18], -v[19:20]
	v_mul_f64 v[81:82], v[81:82], v[109:110]
	v_add_f64 v[9:10], v[9:10], -v[19:20]
	v_fma_f64 v[81:82], v[83:84], v[17:18], v[81:82]
	v_add_f64 v[11:12], v[11:12], -v[81:82]
	;; [unrolled: 8-line block ×4, first 2 shown]
	ds_read2_b64 v[81:84], v106 offset0:60 offset1:61
	s_waitcnt lgkmcnt(0)
	v_mul_f64 v[19:20], v[83:84], v[109:110]
	v_fma_f64 v[19:20], v[81:82], v[17:18], -v[19:20]
	v_mul_f64 v[81:82], v[81:82], v[109:110]
	v_add_f64 v[121:122], v[121:122], -v[19:20]
	v_fma_f64 v[81:82], v[83:84], v[17:18], v[81:82]
	v_mov_b32_e32 v19, v109
	v_mov_b32_e32 v20, v110
	v_add_f64 v[123:124], v[123:124], -v[81:82]
.LBB60_545:
	s_or_b64 exec, exec, s[0:1]
	v_lshl_add_u32 v81, v108, 4, v106
	s_barrier
	ds_write2_b64 v81, v[13:14], v[15:16] offset1:1
	s_waitcnt lgkmcnt(0)
	s_barrier
	ds_read2_b64 v[81:84], v106 offset0:52 offset1:53
	s_cmp_lt_i32 s3, 28
	v_mov_b32_e32 v109, 26
	s_cbranch_scc1 .LBB60_548
; %bb.546:
	v_add_u32_e32 v110, 0x1b0, v106
	s_mov_b32 s0, 27
	v_mov_b32_e32 v109, 26
.LBB60_547:                             ; =>This Inner Loop Header: Depth=1
	s_waitcnt lgkmcnt(0)
	v_cmp_gt_f64_e32 vcc, 0, v[81:82]
	v_xor_b32_e32 v115, 0x80000000, v82
	ds_read2_b64 v[111:114], v110 offset1:1
	v_xor_b32_e32 v117, 0x80000000, v84
	v_add_u32_e32 v110, 16, v110
	s_waitcnt lgkmcnt(0)
	v_xor_b32_e32 v119, 0x80000000, v114
	v_cndmask_b32_e32 v116, v82, v115, vcc
	v_cmp_gt_f64_e32 vcc, 0, v[83:84]
	v_mov_b32_e32 v115, v81
	v_cndmask_b32_e32 v118, v84, v117, vcc
	v_cmp_gt_f64_e32 vcc, 0, v[111:112]
	v_mov_b32_e32 v117, v83
	v_add_f64 v[115:116], v[115:116], v[117:118]
	v_xor_b32_e32 v117, 0x80000000, v112
	v_cndmask_b32_e32 v118, v112, v117, vcc
	v_cmp_gt_f64_e32 vcc, 0, v[113:114]
	v_mov_b32_e32 v117, v111
	v_cndmask_b32_e32 v120, v114, v119, vcc
	v_mov_b32_e32 v119, v113
	v_add_f64 v[117:118], v[117:118], v[119:120]
	v_cmp_lt_f64_e32 vcc, v[115:116], v[117:118]
	v_cndmask_b32_e32 v81, v81, v111, vcc
	v_mov_b32_e32 v111, s0
	s_add_i32 s0, s0, 1
	v_cndmask_b32_e32 v82, v82, v112, vcc
	v_cndmask_b32_e32 v84, v84, v114, vcc
	;; [unrolled: 1-line block ×4, first 2 shown]
	s_cmp_lg_u32 s3, s0
	s_cbranch_scc1 .LBB60_547
.LBB60_548:
	s_waitcnt lgkmcnt(0)
	v_cmp_eq_f64_e32 vcc, 0, v[81:82]
	v_cmp_eq_f64_e64 s[0:1], 0, v[83:84]
	s_and_b64 s[0:1], vcc, s[0:1]
	s_and_saveexec_b64 s[18:19], s[0:1]
	s_xor_b64 s[0:1], exec, s[18:19]
; %bb.549:
	v_cmp_ne_u32_e32 vcc, 0, v107
	v_cndmask_b32_e32 v107, 27, v107, vcc
; %bb.550:
	s_andn2_saveexec_b64 s[0:1], s[0:1]
	s_cbranch_execz .LBB60_556
; %bb.551:
	v_cmp_ngt_f64_e64 s[18:19], |v[81:82]|, |v[83:84]|
	s_and_saveexec_b64 s[20:21], s[18:19]
	s_xor_b64 s[18:19], exec, s[20:21]
	s_cbranch_execz .LBB60_553
; %bb.552:
	v_div_scale_f64 v[110:111], s[20:21], v[83:84], v[83:84], v[81:82]
	v_rcp_f64_e32 v[112:113], v[110:111]
	v_fma_f64 v[114:115], -v[110:111], v[112:113], 1.0
	v_fma_f64 v[112:113], v[112:113], v[114:115], v[112:113]
	v_div_scale_f64 v[114:115], vcc, v[81:82], v[83:84], v[81:82]
	v_fma_f64 v[116:117], -v[110:111], v[112:113], 1.0
	v_fma_f64 v[112:113], v[112:113], v[116:117], v[112:113]
	v_mul_f64 v[116:117], v[114:115], v[112:113]
	v_fma_f64 v[110:111], -v[110:111], v[116:117], v[114:115]
	v_div_fmas_f64 v[110:111], v[110:111], v[112:113], v[116:117]
	v_div_fixup_f64 v[110:111], v[110:111], v[83:84], v[81:82]
	v_fma_f64 v[81:82], v[81:82], v[110:111], v[83:84]
	v_div_scale_f64 v[83:84], s[20:21], v[81:82], v[81:82], 1.0
	v_div_scale_f64 v[116:117], vcc, 1.0, v[81:82], 1.0
	v_rcp_f64_e32 v[112:113], v[83:84]
	v_fma_f64 v[114:115], -v[83:84], v[112:113], 1.0
	v_fma_f64 v[112:113], v[112:113], v[114:115], v[112:113]
	v_fma_f64 v[114:115], -v[83:84], v[112:113], 1.0
	v_fma_f64 v[112:113], v[112:113], v[114:115], v[112:113]
	v_mul_f64 v[114:115], v[116:117], v[112:113]
	v_fma_f64 v[83:84], -v[83:84], v[114:115], v[116:117]
	v_div_fmas_f64 v[83:84], v[83:84], v[112:113], v[114:115]
	v_div_fixup_f64 v[83:84], v[83:84], v[81:82], 1.0
	v_mul_f64 v[81:82], v[110:111], v[83:84]
	v_xor_b32_e32 v84, 0x80000000, v84
.LBB60_553:
	s_andn2_saveexec_b64 s[18:19], s[18:19]
	s_cbranch_execz .LBB60_555
; %bb.554:
	v_div_scale_f64 v[110:111], s[20:21], v[81:82], v[81:82], v[83:84]
	v_rcp_f64_e32 v[112:113], v[110:111]
	v_fma_f64 v[114:115], -v[110:111], v[112:113], 1.0
	v_fma_f64 v[112:113], v[112:113], v[114:115], v[112:113]
	v_div_scale_f64 v[114:115], vcc, v[83:84], v[81:82], v[83:84]
	v_fma_f64 v[116:117], -v[110:111], v[112:113], 1.0
	v_fma_f64 v[112:113], v[112:113], v[116:117], v[112:113]
	v_mul_f64 v[116:117], v[114:115], v[112:113]
	v_fma_f64 v[110:111], -v[110:111], v[116:117], v[114:115]
	v_div_fmas_f64 v[110:111], v[110:111], v[112:113], v[116:117]
	v_div_fixup_f64 v[110:111], v[110:111], v[81:82], v[83:84]
	v_fma_f64 v[81:82], v[83:84], v[110:111], v[81:82]
	v_div_scale_f64 v[83:84], s[20:21], v[81:82], v[81:82], 1.0
	v_div_scale_f64 v[116:117], vcc, 1.0, v[81:82], 1.0
	v_rcp_f64_e32 v[112:113], v[83:84]
	v_fma_f64 v[114:115], -v[83:84], v[112:113], 1.0
	v_fma_f64 v[112:113], v[112:113], v[114:115], v[112:113]
	v_fma_f64 v[114:115], -v[83:84], v[112:113], 1.0
	v_fma_f64 v[112:113], v[112:113], v[114:115], v[112:113]
	v_mul_f64 v[114:115], v[116:117], v[112:113]
	v_fma_f64 v[83:84], -v[83:84], v[114:115], v[116:117]
	v_div_fmas_f64 v[83:84], v[83:84], v[112:113], v[114:115]
	v_div_fixup_f64 v[81:82], v[83:84], v[81:82], 1.0
	v_mul_f64 v[83:84], v[110:111], -v[81:82]
.LBB60_555:
	s_or_b64 exec, exec, s[18:19]
.LBB60_556:
	s_or_b64 exec, exec, s[0:1]
	v_cmp_ne_u32_e32 vcc, v108, v109
	s_and_saveexec_b64 s[0:1], vcc
	s_xor_b64 s[0:1], exec, s[0:1]
	s_cbranch_execz .LBB60_562
; %bb.557:
	v_cmp_eq_u32_e32 vcc, 26, v108
	s_and_saveexec_b64 s[18:19], vcc
	s_cbranch_execz .LBB60_561
; %bb.558:
	v_cmp_ne_u32_e32 vcc, 26, v109
	s_xor_b64 s[20:21], s[6:7], -1
	s_and_b64 s[22:23], s[20:21], vcc
	s_and_saveexec_b64 s[20:21], s[22:23]
	s_cbranch_execz .LBB60_560
; %bb.559:
	buffer_load_dword v112, off, s[24:27], 0 offset:64 ; 4-byte Folded Reload
	buffer_load_dword v113, off, s[24:27], 0 offset:68 ; 4-byte Folded Reload
	v_ashrrev_i32_e32 v110, 31, v109
	v_lshlrev_b64 v[110:111], 2, v[109:110]
	s_waitcnt vmcnt(1)
	v_add_co_u32_e32 v110, vcc, v112, v110
	s_waitcnt vmcnt(0)
	v_addc_co_u32_e32 v111, vcc, v113, v111, vcc
	global_load_dword v0, v[110:111], off
	global_load_dword v108, v[112:113], off offset:104
	s_waitcnt vmcnt(1)
	global_store_dword v[112:113], v0, off offset:104
	s_waitcnt vmcnt(1)
	global_store_dword v[110:111], v108, off
.LBB60_560:
	s_or_b64 exec, exec, s[20:21]
	v_mov_b32_e32 v108, v109
	v_mov_b32_e32 v0, v109
.LBB60_561:
	s_or_b64 exec, exec, s[18:19]
.LBB60_562:
	s_andn2_saveexec_b64 s[0:1], s[0:1]
	s_cbranch_execz .LBB60_564
; %bb.563:
	v_mov_b32_e32 v108, 26
	ds_write2_b64 v106, v[9:10], v[11:12] offset0:54 offset1:55
	ds_write2_b64 v106, v[5:6], v[7:8] offset0:56 offset1:57
	;; [unrolled: 1-line block ×4, first 2 shown]
.LBB60_564:
	s_or_b64 exec, exec, s[0:1]
	v_cmp_lt_i32_e32 vcc, 26, v108
	s_waitcnt vmcnt(0) lgkmcnt(0)
	s_barrier
	s_and_saveexec_b64 s[0:1], vcc
	s_cbranch_execz .LBB60_566
; %bb.565:
	v_mul_f64 v[109:110], v[81:82], v[15:16]
	v_mul_f64 v[15:16], v[83:84], v[15:16]
	v_fma_f64 v[109:110], v[83:84], v[13:14], v[109:110]
	v_fma_f64 v[13:14], v[81:82], v[13:14], -v[15:16]
	ds_read2_b64 v[81:84], v106 offset0:54 offset1:55
	s_waitcnt lgkmcnt(0)
	v_mul_f64 v[15:16], v[83:84], v[109:110]
	v_fma_f64 v[15:16], v[81:82], v[13:14], -v[15:16]
	v_mul_f64 v[81:82], v[81:82], v[109:110]
	v_add_f64 v[9:10], v[9:10], -v[15:16]
	v_fma_f64 v[81:82], v[83:84], v[13:14], v[81:82]
	v_add_f64 v[11:12], v[11:12], -v[81:82]
	ds_read2_b64 v[81:84], v106 offset0:56 offset1:57
	s_waitcnt lgkmcnt(0)
	v_mul_f64 v[15:16], v[83:84], v[109:110]
	v_fma_f64 v[15:16], v[81:82], v[13:14], -v[15:16]
	v_mul_f64 v[81:82], v[81:82], v[109:110]
	v_add_f64 v[5:6], v[5:6], -v[15:16]
	v_fma_f64 v[81:82], v[83:84], v[13:14], v[81:82]
	v_add_f64 v[7:8], v[7:8], -v[81:82]
	;; [unrolled: 8-line block ×3, first 2 shown]
	ds_read2_b64 v[81:84], v106 offset0:60 offset1:61
	s_waitcnt lgkmcnt(0)
	v_mul_f64 v[15:16], v[83:84], v[109:110]
	v_fma_f64 v[15:16], v[81:82], v[13:14], -v[15:16]
	v_mul_f64 v[81:82], v[81:82], v[109:110]
	v_add_f64 v[121:122], v[121:122], -v[15:16]
	v_fma_f64 v[81:82], v[83:84], v[13:14], v[81:82]
	v_mov_b32_e32 v15, v109
	v_mov_b32_e32 v16, v110
	v_add_f64 v[123:124], v[123:124], -v[81:82]
.LBB60_566:
	s_or_b64 exec, exec, s[0:1]
	v_lshl_add_u32 v81, v108, 4, v106
	s_barrier
	ds_write2_b64 v81, v[9:10], v[11:12] offset1:1
	s_waitcnt lgkmcnt(0)
	s_barrier
	ds_read2_b64 v[81:84], v106 offset0:54 offset1:55
	s_cmp_lt_i32 s3, 29
	v_mov_b32_e32 v109, 27
	s_cbranch_scc1 .LBB60_569
; %bb.567:
	v_add_u32_e32 v110, 0x1c0, v106
	s_mov_b32 s0, 28
	v_mov_b32_e32 v109, 27
.LBB60_568:                             ; =>This Inner Loop Header: Depth=1
	s_waitcnt lgkmcnt(0)
	v_cmp_gt_f64_e32 vcc, 0, v[81:82]
	v_xor_b32_e32 v115, 0x80000000, v82
	ds_read2_b64 v[111:114], v110 offset1:1
	v_xor_b32_e32 v117, 0x80000000, v84
	v_add_u32_e32 v110, 16, v110
	s_waitcnt lgkmcnt(0)
	v_xor_b32_e32 v119, 0x80000000, v114
	v_cndmask_b32_e32 v116, v82, v115, vcc
	v_cmp_gt_f64_e32 vcc, 0, v[83:84]
	v_mov_b32_e32 v115, v81
	v_cndmask_b32_e32 v118, v84, v117, vcc
	v_cmp_gt_f64_e32 vcc, 0, v[111:112]
	v_mov_b32_e32 v117, v83
	v_add_f64 v[115:116], v[115:116], v[117:118]
	v_xor_b32_e32 v117, 0x80000000, v112
	v_cndmask_b32_e32 v118, v112, v117, vcc
	v_cmp_gt_f64_e32 vcc, 0, v[113:114]
	v_mov_b32_e32 v117, v111
	v_cndmask_b32_e32 v120, v114, v119, vcc
	v_mov_b32_e32 v119, v113
	v_add_f64 v[117:118], v[117:118], v[119:120]
	v_cmp_lt_f64_e32 vcc, v[115:116], v[117:118]
	v_cndmask_b32_e32 v81, v81, v111, vcc
	v_mov_b32_e32 v111, s0
	s_add_i32 s0, s0, 1
	v_cndmask_b32_e32 v82, v82, v112, vcc
	v_cndmask_b32_e32 v84, v84, v114, vcc
	;; [unrolled: 1-line block ×4, first 2 shown]
	s_cmp_lg_u32 s3, s0
	s_cbranch_scc1 .LBB60_568
.LBB60_569:
	s_waitcnt lgkmcnt(0)
	v_cmp_eq_f64_e32 vcc, 0, v[81:82]
	v_cmp_eq_f64_e64 s[0:1], 0, v[83:84]
	s_and_b64 s[0:1], vcc, s[0:1]
	s_and_saveexec_b64 s[18:19], s[0:1]
	s_xor_b64 s[0:1], exec, s[18:19]
; %bb.570:
	v_cmp_ne_u32_e32 vcc, 0, v107
	v_cndmask_b32_e32 v107, 28, v107, vcc
; %bb.571:
	s_andn2_saveexec_b64 s[0:1], s[0:1]
	s_cbranch_execz .LBB60_577
; %bb.572:
	v_cmp_ngt_f64_e64 s[18:19], |v[81:82]|, |v[83:84]|
	s_and_saveexec_b64 s[20:21], s[18:19]
	s_xor_b64 s[18:19], exec, s[20:21]
	s_cbranch_execz .LBB60_574
; %bb.573:
	v_div_scale_f64 v[110:111], s[20:21], v[83:84], v[83:84], v[81:82]
	v_rcp_f64_e32 v[112:113], v[110:111]
	v_fma_f64 v[114:115], -v[110:111], v[112:113], 1.0
	v_fma_f64 v[112:113], v[112:113], v[114:115], v[112:113]
	v_div_scale_f64 v[114:115], vcc, v[81:82], v[83:84], v[81:82]
	v_fma_f64 v[116:117], -v[110:111], v[112:113], 1.0
	v_fma_f64 v[112:113], v[112:113], v[116:117], v[112:113]
	v_mul_f64 v[116:117], v[114:115], v[112:113]
	v_fma_f64 v[110:111], -v[110:111], v[116:117], v[114:115]
	v_div_fmas_f64 v[110:111], v[110:111], v[112:113], v[116:117]
	v_div_fixup_f64 v[110:111], v[110:111], v[83:84], v[81:82]
	v_fma_f64 v[81:82], v[81:82], v[110:111], v[83:84]
	v_div_scale_f64 v[83:84], s[20:21], v[81:82], v[81:82], 1.0
	v_div_scale_f64 v[116:117], vcc, 1.0, v[81:82], 1.0
	v_rcp_f64_e32 v[112:113], v[83:84]
	v_fma_f64 v[114:115], -v[83:84], v[112:113], 1.0
	v_fma_f64 v[112:113], v[112:113], v[114:115], v[112:113]
	v_fma_f64 v[114:115], -v[83:84], v[112:113], 1.0
	v_fma_f64 v[112:113], v[112:113], v[114:115], v[112:113]
	v_mul_f64 v[114:115], v[116:117], v[112:113]
	v_fma_f64 v[83:84], -v[83:84], v[114:115], v[116:117]
	v_div_fmas_f64 v[83:84], v[83:84], v[112:113], v[114:115]
	v_div_fixup_f64 v[83:84], v[83:84], v[81:82], 1.0
	v_mul_f64 v[81:82], v[110:111], v[83:84]
	v_xor_b32_e32 v84, 0x80000000, v84
.LBB60_574:
	s_andn2_saveexec_b64 s[18:19], s[18:19]
	s_cbranch_execz .LBB60_576
; %bb.575:
	v_div_scale_f64 v[110:111], s[20:21], v[81:82], v[81:82], v[83:84]
	v_rcp_f64_e32 v[112:113], v[110:111]
	v_fma_f64 v[114:115], -v[110:111], v[112:113], 1.0
	v_fma_f64 v[112:113], v[112:113], v[114:115], v[112:113]
	v_div_scale_f64 v[114:115], vcc, v[83:84], v[81:82], v[83:84]
	v_fma_f64 v[116:117], -v[110:111], v[112:113], 1.0
	v_fma_f64 v[112:113], v[112:113], v[116:117], v[112:113]
	v_mul_f64 v[116:117], v[114:115], v[112:113]
	v_fma_f64 v[110:111], -v[110:111], v[116:117], v[114:115]
	v_div_fmas_f64 v[110:111], v[110:111], v[112:113], v[116:117]
	v_div_fixup_f64 v[110:111], v[110:111], v[81:82], v[83:84]
	v_fma_f64 v[81:82], v[83:84], v[110:111], v[81:82]
	v_div_scale_f64 v[83:84], s[20:21], v[81:82], v[81:82], 1.0
	v_div_scale_f64 v[116:117], vcc, 1.0, v[81:82], 1.0
	v_rcp_f64_e32 v[112:113], v[83:84]
	v_fma_f64 v[114:115], -v[83:84], v[112:113], 1.0
	v_fma_f64 v[112:113], v[112:113], v[114:115], v[112:113]
	v_fma_f64 v[114:115], -v[83:84], v[112:113], 1.0
	v_fma_f64 v[112:113], v[112:113], v[114:115], v[112:113]
	v_mul_f64 v[114:115], v[116:117], v[112:113]
	v_fma_f64 v[83:84], -v[83:84], v[114:115], v[116:117]
	v_div_fmas_f64 v[83:84], v[83:84], v[112:113], v[114:115]
	v_div_fixup_f64 v[81:82], v[83:84], v[81:82], 1.0
	v_mul_f64 v[83:84], v[110:111], -v[81:82]
.LBB60_576:
	s_or_b64 exec, exec, s[18:19]
.LBB60_577:
	s_or_b64 exec, exec, s[0:1]
	v_cmp_ne_u32_e32 vcc, v108, v109
	s_and_saveexec_b64 s[0:1], vcc
	s_xor_b64 s[0:1], exec, s[0:1]
	s_cbranch_execz .LBB60_583
; %bb.578:
	v_cmp_eq_u32_e32 vcc, 27, v108
	s_and_saveexec_b64 s[18:19], vcc
	s_cbranch_execz .LBB60_582
; %bb.579:
	v_cmp_ne_u32_e32 vcc, 27, v109
	s_xor_b64 s[20:21], s[6:7], -1
	s_and_b64 s[22:23], s[20:21], vcc
	s_and_saveexec_b64 s[20:21], s[22:23]
	s_cbranch_execz .LBB60_581
; %bb.580:
	buffer_load_dword v112, off, s[24:27], 0 offset:64 ; 4-byte Folded Reload
	buffer_load_dword v113, off, s[24:27], 0 offset:68 ; 4-byte Folded Reload
	v_ashrrev_i32_e32 v110, 31, v109
	v_lshlrev_b64 v[110:111], 2, v[109:110]
	s_waitcnt vmcnt(1)
	v_add_co_u32_e32 v110, vcc, v112, v110
	s_waitcnt vmcnt(0)
	v_addc_co_u32_e32 v111, vcc, v113, v111, vcc
	global_load_dword v0, v[110:111], off
	global_load_dword v108, v[112:113], off offset:108
	s_waitcnt vmcnt(1)
	global_store_dword v[112:113], v0, off offset:108
	s_waitcnt vmcnt(1)
	global_store_dword v[110:111], v108, off
.LBB60_581:
	s_or_b64 exec, exec, s[20:21]
	v_mov_b32_e32 v108, v109
	v_mov_b32_e32 v0, v109
.LBB60_582:
	s_or_b64 exec, exec, s[18:19]
.LBB60_583:
	s_andn2_saveexec_b64 s[0:1], s[0:1]
	s_cbranch_execz .LBB60_585
; %bb.584:
	v_mov_b32_e32 v108, 27
	ds_write2_b64 v106, v[5:6], v[7:8] offset0:56 offset1:57
	ds_write2_b64 v106, v[1:2], v[3:4] offset0:58 offset1:59
	;; [unrolled: 1-line block ×3, first 2 shown]
.LBB60_585:
	s_or_b64 exec, exec, s[0:1]
	v_cmp_lt_i32_e32 vcc, 27, v108
	s_waitcnt vmcnt(0) lgkmcnt(0)
	s_barrier
	s_and_saveexec_b64 s[0:1], vcc
	s_cbranch_execz .LBB60_587
; %bb.586:
	v_mul_f64 v[109:110], v[81:82], v[11:12]
	v_mul_f64 v[11:12], v[83:84], v[11:12]
	v_fma_f64 v[109:110], v[83:84], v[9:10], v[109:110]
	v_fma_f64 v[9:10], v[81:82], v[9:10], -v[11:12]
	ds_read2_b64 v[81:84], v106 offset0:56 offset1:57
	s_waitcnt lgkmcnt(0)
	v_mul_f64 v[11:12], v[83:84], v[109:110]
	v_fma_f64 v[11:12], v[81:82], v[9:10], -v[11:12]
	v_mul_f64 v[81:82], v[81:82], v[109:110]
	v_add_f64 v[5:6], v[5:6], -v[11:12]
	v_fma_f64 v[81:82], v[83:84], v[9:10], v[81:82]
	v_add_f64 v[7:8], v[7:8], -v[81:82]
	ds_read2_b64 v[81:84], v106 offset0:58 offset1:59
	s_waitcnt lgkmcnt(0)
	v_mul_f64 v[11:12], v[83:84], v[109:110]
	v_fma_f64 v[11:12], v[81:82], v[9:10], -v[11:12]
	v_mul_f64 v[81:82], v[81:82], v[109:110]
	v_add_f64 v[1:2], v[1:2], -v[11:12]
	v_fma_f64 v[81:82], v[83:84], v[9:10], v[81:82]
	v_add_f64 v[3:4], v[3:4], -v[81:82]
	ds_read2_b64 v[81:84], v106 offset0:60 offset1:61
	s_waitcnt lgkmcnt(0)
	v_mul_f64 v[11:12], v[83:84], v[109:110]
	v_fma_f64 v[11:12], v[81:82], v[9:10], -v[11:12]
	v_mul_f64 v[81:82], v[81:82], v[109:110]
	v_add_f64 v[121:122], v[121:122], -v[11:12]
	v_fma_f64 v[81:82], v[83:84], v[9:10], v[81:82]
	v_mov_b32_e32 v11, v109
	v_mov_b32_e32 v12, v110
	v_add_f64 v[123:124], v[123:124], -v[81:82]
.LBB60_587:
	s_or_b64 exec, exec, s[0:1]
	v_lshl_add_u32 v81, v108, 4, v106
	s_barrier
	ds_write2_b64 v81, v[5:6], v[7:8] offset1:1
	s_waitcnt lgkmcnt(0)
	s_barrier
	ds_read2_b64 v[81:84], v106 offset0:56 offset1:57
	s_cmp_lt_i32 s3, 30
	v_mov_b32_e32 v109, 28
	s_cbranch_scc1 .LBB60_590
; %bb.588:
	v_add_u32_e32 v110, 0x1d0, v106
	s_mov_b32 s0, 29
	v_mov_b32_e32 v109, 28
.LBB60_589:                             ; =>This Inner Loop Header: Depth=1
	s_waitcnt lgkmcnt(0)
	v_cmp_gt_f64_e32 vcc, 0, v[81:82]
	v_xor_b32_e32 v115, 0x80000000, v82
	ds_read2_b64 v[111:114], v110 offset1:1
	v_xor_b32_e32 v117, 0x80000000, v84
	v_add_u32_e32 v110, 16, v110
	s_waitcnt lgkmcnt(0)
	v_xor_b32_e32 v119, 0x80000000, v114
	v_cndmask_b32_e32 v116, v82, v115, vcc
	v_cmp_gt_f64_e32 vcc, 0, v[83:84]
	v_mov_b32_e32 v115, v81
	v_cndmask_b32_e32 v118, v84, v117, vcc
	v_cmp_gt_f64_e32 vcc, 0, v[111:112]
	v_mov_b32_e32 v117, v83
	v_add_f64 v[115:116], v[115:116], v[117:118]
	v_xor_b32_e32 v117, 0x80000000, v112
	v_cndmask_b32_e32 v118, v112, v117, vcc
	v_cmp_gt_f64_e32 vcc, 0, v[113:114]
	v_mov_b32_e32 v117, v111
	v_cndmask_b32_e32 v120, v114, v119, vcc
	v_mov_b32_e32 v119, v113
	v_add_f64 v[117:118], v[117:118], v[119:120]
	v_cmp_lt_f64_e32 vcc, v[115:116], v[117:118]
	v_cndmask_b32_e32 v81, v81, v111, vcc
	v_mov_b32_e32 v111, s0
	s_add_i32 s0, s0, 1
	v_cndmask_b32_e32 v82, v82, v112, vcc
	v_cndmask_b32_e32 v84, v84, v114, vcc
	;; [unrolled: 1-line block ×4, first 2 shown]
	s_cmp_lg_u32 s3, s0
	s_cbranch_scc1 .LBB60_589
.LBB60_590:
	s_waitcnt lgkmcnt(0)
	v_cmp_eq_f64_e32 vcc, 0, v[81:82]
	v_cmp_eq_f64_e64 s[0:1], 0, v[83:84]
	s_and_b64 s[0:1], vcc, s[0:1]
	s_and_saveexec_b64 s[18:19], s[0:1]
	s_xor_b64 s[0:1], exec, s[18:19]
; %bb.591:
	v_cmp_ne_u32_e32 vcc, 0, v107
	v_cndmask_b32_e32 v107, 29, v107, vcc
; %bb.592:
	s_andn2_saveexec_b64 s[0:1], s[0:1]
	s_cbranch_execz .LBB60_598
; %bb.593:
	v_cmp_ngt_f64_e64 s[18:19], |v[81:82]|, |v[83:84]|
	s_and_saveexec_b64 s[20:21], s[18:19]
	s_xor_b64 s[18:19], exec, s[20:21]
	s_cbranch_execz .LBB60_595
; %bb.594:
	v_div_scale_f64 v[110:111], s[20:21], v[83:84], v[83:84], v[81:82]
	v_rcp_f64_e32 v[112:113], v[110:111]
	v_fma_f64 v[114:115], -v[110:111], v[112:113], 1.0
	v_fma_f64 v[112:113], v[112:113], v[114:115], v[112:113]
	v_div_scale_f64 v[114:115], vcc, v[81:82], v[83:84], v[81:82]
	v_fma_f64 v[116:117], -v[110:111], v[112:113], 1.0
	v_fma_f64 v[112:113], v[112:113], v[116:117], v[112:113]
	v_mul_f64 v[116:117], v[114:115], v[112:113]
	v_fma_f64 v[110:111], -v[110:111], v[116:117], v[114:115]
	v_div_fmas_f64 v[110:111], v[110:111], v[112:113], v[116:117]
	v_div_fixup_f64 v[110:111], v[110:111], v[83:84], v[81:82]
	v_fma_f64 v[81:82], v[81:82], v[110:111], v[83:84]
	v_div_scale_f64 v[83:84], s[20:21], v[81:82], v[81:82], 1.0
	v_div_scale_f64 v[116:117], vcc, 1.0, v[81:82], 1.0
	v_rcp_f64_e32 v[112:113], v[83:84]
	v_fma_f64 v[114:115], -v[83:84], v[112:113], 1.0
	v_fma_f64 v[112:113], v[112:113], v[114:115], v[112:113]
	v_fma_f64 v[114:115], -v[83:84], v[112:113], 1.0
	v_fma_f64 v[112:113], v[112:113], v[114:115], v[112:113]
	v_mul_f64 v[114:115], v[116:117], v[112:113]
	v_fma_f64 v[83:84], -v[83:84], v[114:115], v[116:117]
	v_div_fmas_f64 v[83:84], v[83:84], v[112:113], v[114:115]
	v_div_fixup_f64 v[83:84], v[83:84], v[81:82], 1.0
	v_mul_f64 v[81:82], v[110:111], v[83:84]
	v_xor_b32_e32 v84, 0x80000000, v84
.LBB60_595:
	s_andn2_saveexec_b64 s[18:19], s[18:19]
	s_cbranch_execz .LBB60_597
; %bb.596:
	v_div_scale_f64 v[110:111], s[20:21], v[81:82], v[81:82], v[83:84]
	v_rcp_f64_e32 v[112:113], v[110:111]
	v_fma_f64 v[114:115], -v[110:111], v[112:113], 1.0
	v_fma_f64 v[112:113], v[112:113], v[114:115], v[112:113]
	v_div_scale_f64 v[114:115], vcc, v[83:84], v[81:82], v[83:84]
	v_fma_f64 v[116:117], -v[110:111], v[112:113], 1.0
	v_fma_f64 v[112:113], v[112:113], v[116:117], v[112:113]
	v_mul_f64 v[116:117], v[114:115], v[112:113]
	v_fma_f64 v[110:111], -v[110:111], v[116:117], v[114:115]
	v_div_fmas_f64 v[110:111], v[110:111], v[112:113], v[116:117]
	v_div_fixup_f64 v[110:111], v[110:111], v[81:82], v[83:84]
	v_fma_f64 v[81:82], v[83:84], v[110:111], v[81:82]
	v_div_scale_f64 v[83:84], s[20:21], v[81:82], v[81:82], 1.0
	v_div_scale_f64 v[116:117], vcc, 1.0, v[81:82], 1.0
	v_rcp_f64_e32 v[112:113], v[83:84]
	v_fma_f64 v[114:115], -v[83:84], v[112:113], 1.0
	v_fma_f64 v[112:113], v[112:113], v[114:115], v[112:113]
	v_fma_f64 v[114:115], -v[83:84], v[112:113], 1.0
	v_fma_f64 v[112:113], v[112:113], v[114:115], v[112:113]
	v_mul_f64 v[114:115], v[116:117], v[112:113]
	v_fma_f64 v[83:84], -v[83:84], v[114:115], v[116:117]
	v_div_fmas_f64 v[83:84], v[83:84], v[112:113], v[114:115]
	v_div_fixup_f64 v[81:82], v[83:84], v[81:82], 1.0
	v_mul_f64 v[83:84], v[110:111], -v[81:82]
.LBB60_597:
	s_or_b64 exec, exec, s[18:19]
.LBB60_598:
	s_or_b64 exec, exec, s[0:1]
	v_cmp_ne_u32_e32 vcc, v108, v109
	s_and_saveexec_b64 s[0:1], vcc
	s_xor_b64 s[0:1], exec, s[0:1]
	s_cbranch_execz .LBB60_604
; %bb.599:
	v_cmp_eq_u32_e32 vcc, 28, v108
	s_and_saveexec_b64 s[18:19], vcc
	s_cbranch_execz .LBB60_603
; %bb.600:
	v_cmp_ne_u32_e32 vcc, 28, v109
	s_xor_b64 s[20:21], s[6:7], -1
	s_and_b64 s[22:23], s[20:21], vcc
	s_and_saveexec_b64 s[20:21], s[22:23]
	s_cbranch_execz .LBB60_602
; %bb.601:
	buffer_load_dword v112, off, s[24:27], 0 offset:64 ; 4-byte Folded Reload
	buffer_load_dword v113, off, s[24:27], 0 offset:68 ; 4-byte Folded Reload
	v_ashrrev_i32_e32 v110, 31, v109
	v_lshlrev_b64 v[110:111], 2, v[109:110]
	s_waitcnt vmcnt(1)
	v_add_co_u32_e32 v110, vcc, v112, v110
	s_waitcnt vmcnt(0)
	v_addc_co_u32_e32 v111, vcc, v113, v111, vcc
	global_load_dword v0, v[110:111], off
	global_load_dword v108, v[112:113], off offset:112
	s_waitcnt vmcnt(1)
	global_store_dword v[112:113], v0, off offset:112
	s_waitcnt vmcnt(1)
	global_store_dword v[110:111], v108, off
.LBB60_602:
	s_or_b64 exec, exec, s[20:21]
	v_mov_b32_e32 v108, v109
	v_mov_b32_e32 v0, v109
.LBB60_603:
	s_or_b64 exec, exec, s[18:19]
.LBB60_604:
	s_andn2_saveexec_b64 s[0:1], s[0:1]
	s_cbranch_execz .LBB60_606
; %bb.605:
	v_mov_b32_e32 v108, 28
	ds_write2_b64 v106, v[1:2], v[3:4] offset0:58 offset1:59
	ds_write2_b64 v106, v[121:122], v[123:124] offset0:60 offset1:61
.LBB60_606:
	s_or_b64 exec, exec, s[0:1]
	v_cmp_lt_i32_e32 vcc, 28, v108
	s_waitcnt vmcnt(0) lgkmcnt(0)
	s_barrier
	s_and_saveexec_b64 s[0:1], vcc
	s_cbranch_execz .LBB60_608
; %bb.607:
	v_mul_f64 v[109:110], v[81:82], v[7:8]
	v_mul_f64 v[7:8], v[83:84], v[7:8]
	v_fma_f64 v[109:110], v[83:84], v[5:6], v[109:110]
	v_fma_f64 v[5:6], v[81:82], v[5:6], -v[7:8]
	ds_read2_b64 v[81:84], v106 offset0:58 offset1:59
	s_waitcnt lgkmcnt(0)
	v_mul_f64 v[7:8], v[83:84], v[109:110]
	v_fma_f64 v[7:8], v[81:82], v[5:6], -v[7:8]
	v_mul_f64 v[81:82], v[81:82], v[109:110]
	v_add_f64 v[1:2], v[1:2], -v[7:8]
	v_fma_f64 v[81:82], v[83:84], v[5:6], v[81:82]
	v_add_f64 v[3:4], v[3:4], -v[81:82]
	ds_read2_b64 v[81:84], v106 offset0:60 offset1:61
	s_waitcnt lgkmcnt(0)
	v_mul_f64 v[7:8], v[83:84], v[109:110]
	v_fma_f64 v[7:8], v[81:82], v[5:6], -v[7:8]
	v_mul_f64 v[81:82], v[81:82], v[109:110]
	v_add_f64 v[121:122], v[121:122], -v[7:8]
	v_fma_f64 v[81:82], v[83:84], v[5:6], v[81:82]
	v_mov_b32_e32 v7, v109
	v_mov_b32_e32 v8, v110
	v_add_f64 v[123:124], v[123:124], -v[81:82]
.LBB60_608:
	s_or_b64 exec, exec, s[0:1]
	v_lshl_add_u32 v81, v108, 4, v106
	s_barrier
	ds_write2_b64 v81, v[1:2], v[3:4] offset1:1
	s_waitcnt lgkmcnt(0)
	s_barrier
	ds_read2_b64 v[81:84], v106 offset0:58 offset1:59
	s_cmp_lt_i32 s3, 31
	v_mov_b32_e32 v109, 29
	s_cbranch_scc1 .LBB60_611
; %bb.609:
	v_add_u32_e32 v110, 0x1e0, v106
	s_mov_b32 s0, 30
	v_mov_b32_e32 v109, 29
.LBB60_610:                             ; =>This Inner Loop Header: Depth=1
	s_waitcnt lgkmcnt(0)
	v_cmp_gt_f64_e32 vcc, 0, v[81:82]
	v_xor_b32_e32 v115, 0x80000000, v82
	ds_read2_b64 v[111:114], v110 offset1:1
	v_xor_b32_e32 v117, 0x80000000, v84
	v_add_u32_e32 v110, 16, v110
	s_waitcnt lgkmcnt(0)
	v_xor_b32_e32 v119, 0x80000000, v114
	v_cndmask_b32_e32 v116, v82, v115, vcc
	v_cmp_gt_f64_e32 vcc, 0, v[83:84]
	v_mov_b32_e32 v115, v81
	v_cndmask_b32_e32 v118, v84, v117, vcc
	v_cmp_gt_f64_e32 vcc, 0, v[111:112]
	v_mov_b32_e32 v117, v83
	v_add_f64 v[115:116], v[115:116], v[117:118]
	v_xor_b32_e32 v117, 0x80000000, v112
	v_cndmask_b32_e32 v118, v112, v117, vcc
	v_cmp_gt_f64_e32 vcc, 0, v[113:114]
	v_mov_b32_e32 v117, v111
	v_cndmask_b32_e32 v120, v114, v119, vcc
	v_mov_b32_e32 v119, v113
	v_add_f64 v[117:118], v[117:118], v[119:120]
	v_cmp_lt_f64_e32 vcc, v[115:116], v[117:118]
	v_cndmask_b32_e32 v81, v81, v111, vcc
	v_mov_b32_e32 v111, s0
	s_add_i32 s0, s0, 1
	v_cndmask_b32_e32 v82, v82, v112, vcc
	v_cndmask_b32_e32 v84, v84, v114, vcc
	;; [unrolled: 1-line block ×4, first 2 shown]
	s_cmp_lg_u32 s3, s0
	s_cbranch_scc1 .LBB60_610
.LBB60_611:
	s_waitcnt lgkmcnt(0)
	v_cmp_eq_f64_e32 vcc, 0, v[81:82]
	v_cmp_eq_f64_e64 s[0:1], 0, v[83:84]
	s_and_b64 s[0:1], vcc, s[0:1]
	s_and_saveexec_b64 s[18:19], s[0:1]
	s_xor_b64 s[0:1], exec, s[18:19]
; %bb.612:
	v_cmp_ne_u32_e32 vcc, 0, v107
	v_cndmask_b32_e32 v107, 30, v107, vcc
; %bb.613:
	s_andn2_saveexec_b64 s[0:1], s[0:1]
	s_cbranch_execz .LBB60_619
; %bb.614:
	v_cmp_ngt_f64_e64 s[18:19], |v[81:82]|, |v[83:84]|
	s_and_saveexec_b64 s[20:21], s[18:19]
	s_xor_b64 s[18:19], exec, s[20:21]
	s_cbranch_execz .LBB60_616
; %bb.615:
	v_div_scale_f64 v[110:111], s[20:21], v[83:84], v[83:84], v[81:82]
	v_rcp_f64_e32 v[112:113], v[110:111]
	v_fma_f64 v[114:115], -v[110:111], v[112:113], 1.0
	v_fma_f64 v[112:113], v[112:113], v[114:115], v[112:113]
	v_div_scale_f64 v[114:115], vcc, v[81:82], v[83:84], v[81:82]
	v_fma_f64 v[116:117], -v[110:111], v[112:113], 1.0
	v_fma_f64 v[112:113], v[112:113], v[116:117], v[112:113]
	v_mul_f64 v[116:117], v[114:115], v[112:113]
	v_fma_f64 v[110:111], -v[110:111], v[116:117], v[114:115]
	v_div_fmas_f64 v[110:111], v[110:111], v[112:113], v[116:117]
	v_div_fixup_f64 v[110:111], v[110:111], v[83:84], v[81:82]
	v_fma_f64 v[81:82], v[81:82], v[110:111], v[83:84]
	v_div_scale_f64 v[83:84], s[20:21], v[81:82], v[81:82], 1.0
	v_div_scale_f64 v[116:117], vcc, 1.0, v[81:82], 1.0
	v_rcp_f64_e32 v[112:113], v[83:84]
	v_fma_f64 v[114:115], -v[83:84], v[112:113], 1.0
	v_fma_f64 v[112:113], v[112:113], v[114:115], v[112:113]
	v_fma_f64 v[114:115], -v[83:84], v[112:113], 1.0
	v_fma_f64 v[112:113], v[112:113], v[114:115], v[112:113]
	v_mul_f64 v[114:115], v[116:117], v[112:113]
	v_fma_f64 v[83:84], -v[83:84], v[114:115], v[116:117]
	v_div_fmas_f64 v[83:84], v[83:84], v[112:113], v[114:115]
	v_div_fixup_f64 v[83:84], v[83:84], v[81:82], 1.0
	v_mul_f64 v[81:82], v[110:111], v[83:84]
	v_xor_b32_e32 v84, 0x80000000, v84
.LBB60_616:
	s_andn2_saveexec_b64 s[18:19], s[18:19]
	s_cbranch_execz .LBB60_618
; %bb.617:
	v_div_scale_f64 v[110:111], s[20:21], v[81:82], v[81:82], v[83:84]
	v_rcp_f64_e32 v[112:113], v[110:111]
	v_fma_f64 v[114:115], -v[110:111], v[112:113], 1.0
	v_fma_f64 v[112:113], v[112:113], v[114:115], v[112:113]
	v_div_scale_f64 v[114:115], vcc, v[83:84], v[81:82], v[83:84]
	v_fma_f64 v[116:117], -v[110:111], v[112:113], 1.0
	v_fma_f64 v[112:113], v[112:113], v[116:117], v[112:113]
	v_mul_f64 v[116:117], v[114:115], v[112:113]
	v_fma_f64 v[110:111], -v[110:111], v[116:117], v[114:115]
	v_div_fmas_f64 v[110:111], v[110:111], v[112:113], v[116:117]
	v_div_fixup_f64 v[110:111], v[110:111], v[81:82], v[83:84]
	v_fma_f64 v[81:82], v[83:84], v[110:111], v[81:82]
	v_div_scale_f64 v[83:84], s[20:21], v[81:82], v[81:82], 1.0
	v_div_scale_f64 v[116:117], vcc, 1.0, v[81:82], 1.0
	v_rcp_f64_e32 v[112:113], v[83:84]
	v_fma_f64 v[114:115], -v[83:84], v[112:113], 1.0
	v_fma_f64 v[112:113], v[112:113], v[114:115], v[112:113]
	v_fma_f64 v[114:115], -v[83:84], v[112:113], 1.0
	v_fma_f64 v[112:113], v[112:113], v[114:115], v[112:113]
	v_mul_f64 v[114:115], v[116:117], v[112:113]
	v_fma_f64 v[83:84], -v[83:84], v[114:115], v[116:117]
	v_div_fmas_f64 v[83:84], v[83:84], v[112:113], v[114:115]
	v_div_fixup_f64 v[81:82], v[83:84], v[81:82], 1.0
	v_mul_f64 v[83:84], v[110:111], -v[81:82]
.LBB60_618:
	s_or_b64 exec, exec, s[18:19]
.LBB60_619:
	s_or_b64 exec, exec, s[0:1]
	v_cmp_ne_u32_e32 vcc, v108, v109
	s_and_saveexec_b64 s[0:1], vcc
	s_xor_b64 s[0:1], exec, s[0:1]
	s_cbranch_execz .LBB60_625
; %bb.620:
	v_cmp_eq_u32_e32 vcc, 29, v108
	s_and_saveexec_b64 s[18:19], vcc
	s_cbranch_execz .LBB60_624
; %bb.621:
	v_cmp_ne_u32_e32 vcc, 29, v109
	s_xor_b64 s[20:21], s[6:7], -1
	s_and_b64 s[22:23], s[20:21], vcc
	s_and_saveexec_b64 s[20:21], s[22:23]
	s_cbranch_execz .LBB60_623
; %bb.622:
	buffer_load_dword v112, off, s[24:27], 0 offset:64 ; 4-byte Folded Reload
	buffer_load_dword v113, off, s[24:27], 0 offset:68 ; 4-byte Folded Reload
	v_ashrrev_i32_e32 v110, 31, v109
	v_lshlrev_b64 v[110:111], 2, v[109:110]
	s_waitcnt vmcnt(1)
	v_add_co_u32_e32 v110, vcc, v112, v110
	s_waitcnt vmcnt(0)
	v_addc_co_u32_e32 v111, vcc, v113, v111, vcc
	global_load_dword v0, v[110:111], off
	global_load_dword v108, v[112:113], off offset:116
	s_waitcnt vmcnt(1)
	global_store_dword v[112:113], v0, off offset:116
	s_waitcnt vmcnt(1)
	global_store_dword v[110:111], v108, off
.LBB60_623:
	s_or_b64 exec, exec, s[20:21]
	v_mov_b32_e32 v108, v109
	v_mov_b32_e32 v0, v109
.LBB60_624:
	s_or_b64 exec, exec, s[18:19]
.LBB60_625:
	s_andn2_saveexec_b64 s[0:1], s[0:1]
; %bb.626:
	v_mov_b32_e32 v108, 29
	ds_write2_b64 v106, v[121:122], v[123:124] offset0:60 offset1:61
; %bb.627:
	s_or_b64 exec, exec, s[0:1]
	v_cmp_lt_i32_e32 vcc, 29, v108
	s_waitcnt vmcnt(0) lgkmcnt(0)
	s_barrier
	s_and_saveexec_b64 s[0:1], vcc
	s_cbranch_execz .LBB60_629
; %bb.628:
	v_mul_f64 v[109:110], v[81:82], v[3:4]
	v_mul_f64 v[3:4], v[83:84], v[3:4]
	v_fma_f64 v[109:110], v[83:84], v[1:2], v[109:110]
	v_fma_f64 v[1:2], v[81:82], v[1:2], -v[3:4]
	ds_read2_b64 v[81:84], v106 offset0:60 offset1:61
	s_waitcnt lgkmcnt(0)
	v_mul_f64 v[3:4], v[83:84], v[109:110]
	v_fma_f64 v[3:4], v[81:82], v[1:2], -v[3:4]
	v_mul_f64 v[81:82], v[81:82], v[109:110]
	v_add_f64 v[121:122], v[121:122], -v[3:4]
	v_fma_f64 v[81:82], v[83:84], v[1:2], v[81:82]
	v_mov_b32_e32 v3, v109
	v_mov_b32_e32 v4, v110
	v_add_f64 v[123:124], v[123:124], -v[81:82]
.LBB60_629:
	s_or_b64 exec, exec, s[0:1]
	v_lshl_add_u32 v81, v108, 4, v106
	s_barrier
	ds_write2_b64 v81, v[121:122], v[123:124] offset1:1
	s_waitcnt lgkmcnt(0)
	s_barrier
	ds_read2_b64 v[81:84], v106 offset0:60 offset1:61
	s_cmp_lt_i32 s3, 32
	v_mov_b32_e32 v109, 30
	s_cbranch_scc1 .LBB60_632
; %bb.630:
	v_add_u32_e32 v106, 0x1f0, v106
	s_mov_b32 s0, 31
	v_mov_b32_e32 v109, 30
.LBB60_631:                             ; =>This Inner Loop Header: Depth=1
	s_waitcnt lgkmcnt(0)
	v_cmp_gt_f64_e32 vcc, 0, v[81:82]
	v_xor_b32_e32 v114, 0x80000000, v82
	ds_read2_b64 v[110:113], v106 offset1:1
	v_xor_b32_e32 v116, 0x80000000, v84
	v_add_u32_e32 v106, 16, v106
	s_waitcnt lgkmcnt(0)
	v_xor_b32_e32 v118, 0x80000000, v113
	v_cndmask_b32_e32 v115, v82, v114, vcc
	v_cmp_gt_f64_e32 vcc, 0, v[83:84]
	v_mov_b32_e32 v114, v81
	v_cndmask_b32_e32 v117, v84, v116, vcc
	v_cmp_gt_f64_e32 vcc, 0, v[110:111]
	v_mov_b32_e32 v116, v83
	v_add_f64 v[114:115], v[114:115], v[116:117]
	v_xor_b32_e32 v116, 0x80000000, v111
	v_cndmask_b32_e32 v117, v111, v116, vcc
	v_cmp_gt_f64_e32 vcc, 0, v[112:113]
	v_mov_b32_e32 v116, v110
	v_cndmask_b32_e32 v119, v113, v118, vcc
	v_mov_b32_e32 v118, v112
	v_add_f64 v[116:117], v[116:117], v[118:119]
	v_cmp_lt_f64_e32 vcc, v[114:115], v[116:117]
	v_cndmask_b32_e32 v81, v81, v110, vcc
	v_mov_b32_e32 v110, s0
	s_add_i32 s0, s0, 1
	v_cndmask_b32_e32 v82, v82, v111, vcc
	v_cndmask_b32_e32 v84, v84, v113, vcc
	;; [unrolled: 1-line block ×4, first 2 shown]
	s_cmp_lg_u32 s3, s0
	s_cbranch_scc1 .LBB60_631
.LBB60_632:
	s_waitcnt lgkmcnt(0)
	v_cmp_eq_f64_e32 vcc, 0, v[81:82]
	v_cmp_eq_f64_e64 s[0:1], 0, v[83:84]
	s_and_b64 s[0:1], vcc, s[0:1]
	s_and_saveexec_b64 s[18:19], s[0:1]
	s_xor_b64 s[0:1], exec, s[18:19]
; %bb.633:
	v_cmp_ne_u32_e32 vcc, 0, v107
	v_cndmask_b32_e32 v107, 31, v107, vcc
; %bb.634:
	s_andn2_saveexec_b64 s[0:1], s[0:1]
	s_cbranch_execz .LBB60_640
; %bb.635:
	v_cmp_ngt_f64_e64 s[18:19], |v[81:82]|, |v[83:84]|
	s_and_saveexec_b64 s[20:21], s[18:19]
	s_xor_b64 s[18:19], exec, s[20:21]
	s_cbranch_execz .LBB60_637
; %bb.636:
	v_div_scale_f64 v[110:111], s[20:21], v[83:84], v[83:84], v[81:82]
	v_rcp_f64_e32 v[112:113], v[110:111]
	v_fma_f64 v[114:115], -v[110:111], v[112:113], 1.0
	v_fma_f64 v[112:113], v[112:113], v[114:115], v[112:113]
	v_div_scale_f64 v[114:115], vcc, v[81:82], v[83:84], v[81:82]
	v_fma_f64 v[116:117], -v[110:111], v[112:113], 1.0
	v_fma_f64 v[112:113], v[112:113], v[116:117], v[112:113]
	v_mul_f64 v[116:117], v[114:115], v[112:113]
	v_fma_f64 v[110:111], -v[110:111], v[116:117], v[114:115]
	v_div_fmas_f64 v[110:111], v[110:111], v[112:113], v[116:117]
	v_div_fixup_f64 v[110:111], v[110:111], v[83:84], v[81:82]
	v_fma_f64 v[81:82], v[81:82], v[110:111], v[83:84]
	v_div_scale_f64 v[83:84], s[20:21], v[81:82], v[81:82], 1.0
	v_div_scale_f64 v[116:117], vcc, 1.0, v[81:82], 1.0
	v_rcp_f64_e32 v[112:113], v[83:84]
	v_fma_f64 v[114:115], -v[83:84], v[112:113], 1.0
	v_fma_f64 v[112:113], v[112:113], v[114:115], v[112:113]
	v_fma_f64 v[114:115], -v[83:84], v[112:113], 1.0
	v_fma_f64 v[112:113], v[112:113], v[114:115], v[112:113]
	v_mul_f64 v[114:115], v[116:117], v[112:113]
	v_fma_f64 v[83:84], -v[83:84], v[114:115], v[116:117]
	v_div_fmas_f64 v[83:84], v[83:84], v[112:113], v[114:115]
	v_div_fixup_f64 v[83:84], v[83:84], v[81:82], 1.0
	v_mul_f64 v[81:82], v[110:111], v[83:84]
	v_xor_b32_e32 v84, 0x80000000, v84
.LBB60_637:
	s_andn2_saveexec_b64 s[18:19], s[18:19]
	s_cbranch_execz .LBB60_639
; %bb.638:
	v_div_scale_f64 v[110:111], s[20:21], v[81:82], v[81:82], v[83:84]
	v_rcp_f64_e32 v[112:113], v[110:111]
	v_fma_f64 v[114:115], -v[110:111], v[112:113], 1.0
	v_fma_f64 v[112:113], v[112:113], v[114:115], v[112:113]
	v_div_scale_f64 v[114:115], vcc, v[83:84], v[81:82], v[83:84]
	v_fma_f64 v[116:117], -v[110:111], v[112:113], 1.0
	v_fma_f64 v[112:113], v[112:113], v[116:117], v[112:113]
	v_mul_f64 v[116:117], v[114:115], v[112:113]
	v_fma_f64 v[110:111], -v[110:111], v[116:117], v[114:115]
	v_div_fmas_f64 v[110:111], v[110:111], v[112:113], v[116:117]
	v_div_fixup_f64 v[110:111], v[110:111], v[81:82], v[83:84]
	v_fma_f64 v[81:82], v[83:84], v[110:111], v[81:82]
	v_div_scale_f64 v[83:84], s[20:21], v[81:82], v[81:82], 1.0
	v_div_scale_f64 v[116:117], vcc, 1.0, v[81:82], 1.0
	v_rcp_f64_e32 v[112:113], v[83:84]
	v_fma_f64 v[114:115], -v[83:84], v[112:113], 1.0
	v_fma_f64 v[112:113], v[112:113], v[114:115], v[112:113]
	v_fma_f64 v[114:115], -v[83:84], v[112:113], 1.0
	v_fma_f64 v[112:113], v[112:113], v[114:115], v[112:113]
	v_mul_f64 v[114:115], v[116:117], v[112:113]
	v_fma_f64 v[83:84], -v[83:84], v[114:115], v[116:117]
	v_div_fmas_f64 v[83:84], v[83:84], v[112:113], v[114:115]
	v_div_fixup_f64 v[81:82], v[83:84], v[81:82], 1.0
	v_mul_f64 v[83:84], v[110:111], -v[81:82]
.LBB60_639:
	s_or_b64 exec, exec, s[18:19]
.LBB60_640:
	s_or_b64 exec, exec, s[0:1]
	v_cmp_ne_u32_e32 vcc, v108, v109
	v_mov_b32_e32 v110, 30
	s_and_saveexec_b64 s[0:1], vcc
	s_cbranch_execz .LBB60_646
; %bb.641:
	v_cmp_eq_u32_e32 vcc, 30, v108
	s_and_saveexec_b64 s[18:19], vcc
	s_cbranch_execz .LBB60_645
; %bb.642:
	v_cmp_ne_u32_e32 vcc, 30, v109
	s_xor_b64 s[6:7], s[6:7], -1
	s_and_b64 s[20:21], s[6:7], vcc
	s_and_saveexec_b64 s[6:7], s[20:21]
	s_cbranch_execz .LBB60_644
; %bb.643:
	buffer_load_dword v112, off, s[24:27], 0 offset:64 ; 4-byte Folded Reload
	buffer_load_dword v113, off, s[24:27], 0 offset:68 ; 4-byte Folded Reload
	v_ashrrev_i32_e32 v110, 31, v109
	v_lshlrev_b64 v[110:111], 2, v[109:110]
	s_waitcnt vmcnt(1)
	v_add_co_u32_e32 v110, vcc, v112, v110
	s_waitcnt vmcnt(0)
	v_addc_co_u32_e32 v111, vcc, v113, v111, vcc
	global_load_dword v0, v[110:111], off
	global_load_dword v106, v[112:113], off offset:120
	s_waitcnt vmcnt(1)
	global_store_dword v[112:113], v0, off offset:120
	s_waitcnt vmcnt(1)
	global_store_dword v[110:111], v106, off
.LBB60_644:
	s_or_b64 exec, exec, s[6:7]
	v_mov_b32_e32 v108, v109
	v_mov_b32_e32 v0, v109
.LBB60_645:
	s_or_b64 exec, exec, s[18:19]
	v_mov_b32_e32 v110, v108
.LBB60_646:
	s_or_b64 exec, exec, s[0:1]
	v_cmp_gt_i32_e32 vcc, 31, v110
	v_ashrrev_i32_e32 v111, 31, v110
	s_waitcnt vmcnt(0)
	s_barrier
	s_barrier
	s_and_saveexec_b64 s[0:1], vcc
	s_cbranch_execz .LBB60_648
; %bb.647:
	buffer_load_dword v108, off, s[24:27], 0 offset:88 ; 4-byte Folded Reload
	buffer_load_dword v109, off, s[24:27], 0 offset:92 ; 4-byte Folded Reload
	v_add3_u32 v0, v0, s17, 1
	s_waitcnt vmcnt(1)
	v_mul_lo_u32 v106, s15, v108
	s_waitcnt vmcnt(0)
	v_mul_lo_u32 v112, s14, v109
	v_mad_u64_u32 v[108:109], s[6:7], s14, v108, 0
	s_lshl_b64 s[6:7], s[12:13], 2
	v_add3_u32 v109, v109, v112, v106
	v_lshlrev_b64 v[108:109], 2, v[108:109]
	v_mov_b32_e32 v106, s11
	v_add_co_u32_e32 v108, vcc, s10, v108
	v_addc_co_u32_e32 v106, vcc, v106, v109, vcc
	v_mov_b32_e32 v109, s7
	v_add_co_u32_e32 v112, vcc, s6, v108
	v_addc_co_u32_e32 v106, vcc, v106, v109, vcc
	v_lshlrev_b64 v[108:109], 2, v[110:111]
	v_add_co_u32_e32 v108, vcc, v112, v108
	v_addc_co_u32_e32 v109, vcc, v106, v109, vcc
	global_store_dword v[108:109], v0, off
.LBB60_648:
	s_or_b64 exec, exec, s[0:1]
	v_cmp_eq_u32_e32 vcc, 0, v110
	s_and_saveexec_b64 s[6:7], vcc
	s_cbranch_execz .LBB60_651
; %bb.649:
	buffer_load_dword v108, off, s[24:27], 0 offset:88 ; 4-byte Folded Reload
	buffer_load_dword v109, off, s[24:27], 0 offset:92 ; 4-byte Folded Reload
	v_mov_b32_e32 v0, s5
	v_cmp_ne_u32_e64 s[0:1], 0, v107
	s_waitcnt vmcnt(0)
	v_lshlrev_b64 v[108:109], 2, v[108:109]
	v_add_co_u32_e32 v112, vcc, s4, v108
	v_addc_co_u32_e32 v113, vcc, v0, v109, vcc
	global_load_dword v0, v[112:113], off
	s_waitcnt vmcnt(0)
	v_cmp_eq_u32_e32 vcc, 0, v0
	s_and_b64 s[0:1], vcc, s[0:1]
	s_and_b64 exec, exec, s[0:1]
	s_cbranch_execz .LBB60_651
; %bb.650:
	v_add_u32_e32 v0, s17, v107
	global_store_dword v[112:113], v0, off
.LBB60_651:
	s_or_b64 exec, exec, s[6:7]
	v_mul_f64 v[106:107], v[81:82], v[123:124]
	v_cmp_lt_i32_e32 vcc, 30, v110
	v_mov_b32_e32 v0, s9
	v_fma_f64 v[106:107], v[83:84], v[121:122], v[106:107]
	v_mul_f64 v[83:84], v[83:84], v[123:124]
	v_fma_f64 v[81:82], v[81:82], v[121:122], -v[83:84]
	v_cndmask_b32_e32 v84, v124, v107, vcc
	v_cndmask_b32_e32 v83, v123, v106, vcc
	v_lshlrev_b64 v[106:107], 4, v[110:111]
	buffer_load_dword v111, off, s[24:27], 0 offset:72 ; 4-byte Folded Reload
	buffer_load_dword v112, off, s[24:27], 0 offset:76 ; 4-byte Folded Reload
	;; [unrolled: 1-line block ×4, first 2 shown]
	v_cndmask_b32_e32 v82, v122, v82, vcc
	v_cndmask_b32_e32 v81, v121, v81, vcc
	v_add_co_u32_e32 v106, vcc, v127, v106
	v_addc_co_u32_e32 v107, vcc, v105, v107, vcc
	s_waitcnt vmcnt(0)
	global_store_dwordx4 v[106:107], v[111:114], off
	buffer_load_dword v111, off, s[24:27], 0 offset:48 ; 4-byte Folded Reload
	s_nop 0
	buffer_load_dword v112, off, s[24:27], 0 offset:52 ; 4-byte Folded Reload
	buffer_load_dword v113, off, s[24:27], 0 offset:56 ; 4-byte Folded Reload
	;; [unrolled: 1-line block ×3, first 2 shown]
	v_add_co_u32_e32 v106, vcc, s8, v106
	v_addc_co_u32_e32 v107, vcc, v107, v0, vcc
	s_waitcnt vmcnt(0)
	global_store_dwordx4 v[106:107], v[111:114], off
	v_add_u32_e32 v106, s16, v110
	buffer_load_dword v109, off, s[24:27], 0 offset:32 ; 4-byte Folded Reload
	buffer_load_dword v110, off, s[24:27], 0 offset:36 ; 4-byte Folded Reload
	;; [unrolled: 1-line block ×4, first 2 shown]
	v_ashrrev_i32_e32 v107, 31, v106
	v_lshlrev_b64 v[107:108], 4, v[106:107]
	v_add_u32_e32 v106, s2, v106
	v_add_co_u32_e32 v107, vcc, v127, v107
	v_addc_co_u32_e32 v108, vcc, v105, v108, vcc
	s_waitcnt vmcnt(0)
	global_store_dwordx4 v[107:108], v[109:112], off
	buffer_load_dword v109, off, s[24:27], 0 offset:16 ; 4-byte Folded Reload
	s_nop 0
	buffer_load_dword v110, off, s[24:27], 0 offset:20 ; 4-byte Folded Reload
	buffer_load_dword v111, off, s[24:27], 0 offset:24 ; 4-byte Folded Reload
	buffer_load_dword v112, off, s[24:27], 0 offset:28 ; 4-byte Folded Reload
	v_ashrrev_i32_e32 v107, 31, v106
	v_lshlrev_b64 v[107:108], 4, v[106:107]
	v_add_u32_e32 v106, s2, v106
	v_add_co_u32_e32 v107, vcc, v127, v107
	v_addc_co_u32_e32 v108, vcc, v105, v108, vcc
	s_waitcnt vmcnt(0)
	global_store_dwordx4 v[107:108], v[109:112], off
	buffer_load_dword v109, off, s[24:27], 0 ; 4-byte Folded Reload
	s_nop 0
	buffer_load_dword v110, off, s[24:27], 0 offset:4 ; 4-byte Folded Reload
	buffer_load_dword v111, off, s[24:27], 0 offset:8 ; 4-byte Folded Reload
	;; [unrolled: 1-line block ×3, first 2 shown]
	v_ashrrev_i32_e32 v107, 31, v106
	v_lshlrev_b64 v[107:108], 4, v[106:107]
	v_add_u32_e32 v106, s2, v106
	v_add_co_u32_e32 v107, vcc, v127, v107
	v_addc_co_u32_e32 v108, vcc, v105, v108, vcc
	s_waitcnt vmcnt(0)
	global_store_dwordx4 v[107:108], v[109:112], off
	v_ashrrev_i32_e32 v107, 31, v106
	v_lshlrev_b64 v[107:108], 4, v[106:107]
	v_add_co_u32_e32 v107, vcc, v127, v107
	v_addc_co_u32_e32 v108, vcc, v105, v108, vcc
	global_store_dwordx4 v[107:108], v[101:104], off
	s_nop 0
	v_add_u32_e32 v101, s2, v106
	v_ashrrev_i32_e32 v102, 31, v101
	v_lshlrev_b64 v[102:103], 4, v[101:102]
	v_add_co_u32_e32 v102, vcc, v127, v102
	v_addc_co_u32_e32 v103, vcc, v105, v103, vcc
	global_store_dwordx4 v[102:103], v[97:100], off
	s_nop 0
	v_add_u32_e32 v97, s2, v101
	v_ashrrev_i32_e32 v98, 31, v97
	v_lshlrev_b64 v[98:99], 4, v[97:98]
	v_add_co_u32_e32 v98, vcc, v127, v98
	v_addc_co_u32_e32 v99, vcc, v105, v99, vcc
	global_store_dwordx4 v[98:99], v[93:96], off
	s_nop 0
	v_add_u32_e32 v93, s2, v97
	v_ashrrev_i32_e32 v94, 31, v93
	v_lshlrev_b64 v[94:95], 4, v[93:94]
	v_add_co_u32_e32 v94, vcc, v127, v94
	v_addc_co_u32_e32 v95, vcc, v105, v95, vcc
	global_store_dwordx4 v[94:95], v[89:92], off
	s_nop 0
	v_add_u32_e32 v89, s2, v93
	v_ashrrev_i32_e32 v90, 31, v89
	v_lshlrev_b64 v[90:91], 4, v[89:90]
	v_add_co_u32_e32 v90, vcc, v127, v90
	v_addc_co_u32_e32 v91, vcc, v105, v91, vcc
	global_store_dwordx4 v[90:91], v[85:88], off
	s_nop 0
	v_add_u32_e32 v85, s2, v89
	v_ashrrev_i32_e32 v86, 31, v85
	v_lshlrev_b64 v[86:87], 4, v[85:86]
	v_add_co_u32_e32 v86, vcc, v127, v86
	v_addc_co_u32_e32 v87, vcc, v105, v87, vcc
	global_store_dwordx4 v[86:87], v[77:80], off
	s_nop 0
	v_add_u32_e32 v77, s2, v85
	v_ashrrev_i32_e32 v78, 31, v77
	v_lshlrev_b64 v[78:79], 4, v[77:78]
	v_add_co_u32_e32 v78, vcc, v127, v78
	v_addc_co_u32_e32 v79, vcc, v105, v79, vcc
	global_store_dwordx4 v[78:79], v[73:76], off
	s_nop 0
	v_add_u32_e32 v73, s2, v77
	v_ashrrev_i32_e32 v74, 31, v73
	v_lshlrev_b64 v[74:75], 4, v[73:74]
	v_add_co_u32_e32 v74, vcc, v127, v74
	v_addc_co_u32_e32 v75, vcc, v105, v75, vcc
	global_store_dwordx4 v[74:75], v[69:72], off
	s_nop 0
	v_add_u32_e32 v69, s2, v73
	v_ashrrev_i32_e32 v70, 31, v69
	v_lshlrev_b64 v[70:71], 4, v[69:70]
	v_add_co_u32_e32 v70, vcc, v127, v70
	v_addc_co_u32_e32 v71, vcc, v105, v71, vcc
	global_store_dwordx4 v[70:71], v[65:68], off
	s_nop 0
	v_add_u32_e32 v65, s2, v69
	v_ashrrev_i32_e32 v66, 31, v65
	v_lshlrev_b64 v[66:67], 4, v[65:66]
	v_add_co_u32_e32 v66, vcc, v127, v66
	v_addc_co_u32_e32 v67, vcc, v105, v67, vcc
	global_store_dwordx4 v[66:67], v[61:64], off
	s_nop 0
	v_add_u32_e32 v61, s2, v65
	v_ashrrev_i32_e32 v62, 31, v61
	v_lshlrev_b64 v[62:63], 4, v[61:62]
	v_add_co_u32_e32 v62, vcc, v127, v62
	v_addc_co_u32_e32 v63, vcc, v105, v63, vcc
	global_store_dwordx4 v[62:63], v[57:60], off
	s_nop 0
	v_add_u32_e32 v57, s2, v61
	v_ashrrev_i32_e32 v58, 31, v57
	v_lshlrev_b64 v[58:59], 4, v[57:58]
	v_add_co_u32_e32 v58, vcc, v127, v58
	v_addc_co_u32_e32 v59, vcc, v105, v59, vcc
	global_store_dwordx4 v[58:59], v[53:56], off
	s_nop 0
	v_add_u32_e32 v53, s2, v57
	v_ashrrev_i32_e32 v54, 31, v53
	v_lshlrev_b64 v[54:55], 4, v[53:54]
	v_add_co_u32_e32 v54, vcc, v127, v54
	v_addc_co_u32_e32 v55, vcc, v105, v55, vcc
	global_store_dwordx4 v[54:55], v[49:52], off
	s_nop 0
	v_add_u32_e32 v49, s2, v53
	v_ashrrev_i32_e32 v50, 31, v49
	v_lshlrev_b64 v[50:51], 4, v[49:50]
	v_add_co_u32_e32 v50, vcc, v127, v50
	v_addc_co_u32_e32 v51, vcc, v105, v51, vcc
	global_store_dwordx4 v[50:51], v[45:48], off
	s_nop 0
	v_add_u32_e32 v45, s2, v49
	v_ashrrev_i32_e32 v46, 31, v45
	v_lshlrev_b64 v[46:47], 4, v[45:46]
	v_add_co_u32_e32 v46, vcc, v127, v46
	v_addc_co_u32_e32 v47, vcc, v105, v47, vcc
	global_store_dwordx4 v[46:47], v[41:44], off
	s_nop 0
	v_add_u32_e32 v41, s2, v45
	v_ashrrev_i32_e32 v42, 31, v41
	v_lshlrev_b64 v[42:43], 4, v[41:42]
	v_add_co_u32_e32 v42, vcc, v127, v42
	v_addc_co_u32_e32 v43, vcc, v105, v43, vcc
	global_store_dwordx4 v[42:43], v[37:40], off
	s_nop 0
	v_add_u32_e32 v37, s2, v41
	v_ashrrev_i32_e32 v38, 31, v37
	v_lshlrev_b64 v[38:39], 4, v[37:38]
	v_add_co_u32_e32 v38, vcc, v127, v38
	v_addc_co_u32_e32 v39, vcc, v105, v39, vcc
	global_store_dwordx4 v[38:39], v[33:36], off
	s_nop 0
	v_add_u32_e32 v33, s2, v37
	v_ashrrev_i32_e32 v34, 31, v33
	v_lshlrev_b64 v[34:35], 4, v[33:34]
	v_add_co_u32_e32 v34, vcc, v127, v34
	v_addc_co_u32_e32 v35, vcc, v105, v35, vcc
	global_store_dwordx4 v[34:35], v[29:32], off
	s_nop 0
	v_add_u32_e32 v29, s2, v33
	v_ashrrev_i32_e32 v30, 31, v29
	v_lshlrev_b64 v[30:31], 4, v[29:30]
	v_add_co_u32_e32 v30, vcc, v127, v30
	v_addc_co_u32_e32 v31, vcc, v105, v31, vcc
	global_store_dwordx4 v[30:31], v[25:28], off
	s_nop 0
	v_add_u32_e32 v25, s2, v29
	v_ashrrev_i32_e32 v26, 31, v25
	v_lshlrev_b64 v[26:27], 4, v[25:26]
	v_add_co_u32_e32 v26, vcc, v127, v26
	v_addc_co_u32_e32 v27, vcc, v105, v27, vcc
	global_store_dwordx4 v[26:27], v[21:24], off
	s_nop 0
	v_add_u32_e32 v21, s2, v25
	v_ashrrev_i32_e32 v22, 31, v21
	v_lshlrev_b64 v[22:23], 4, v[21:22]
	v_add_co_u32_e32 v22, vcc, v127, v22
	v_addc_co_u32_e32 v23, vcc, v105, v23, vcc
	global_store_dwordx4 v[22:23], v[17:20], off
	s_nop 0
	v_add_u32_e32 v17, s2, v21
	v_ashrrev_i32_e32 v18, 31, v17
	v_lshlrev_b64 v[18:19], 4, v[17:18]
	v_add_co_u32_e32 v18, vcc, v127, v18
	v_addc_co_u32_e32 v19, vcc, v105, v19, vcc
	global_store_dwordx4 v[18:19], v[13:16], off
	s_nop 0
	v_add_u32_e32 v13, s2, v17
	v_ashrrev_i32_e32 v14, 31, v13
	v_lshlrev_b64 v[14:15], 4, v[13:14]
	v_add_co_u32_e32 v14, vcc, v127, v14
	v_addc_co_u32_e32 v15, vcc, v105, v15, vcc
	global_store_dwordx4 v[14:15], v[9:12], off
	s_nop 0
	v_add_u32_e32 v9, s2, v13
	v_ashrrev_i32_e32 v10, 31, v9
	v_lshlrev_b64 v[10:11], 4, v[9:10]
	v_add_co_u32_e32 v10, vcc, v127, v10
	v_addc_co_u32_e32 v11, vcc, v105, v11, vcc
	global_store_dwordx4 v[10:11], v[5:8], off
	s_nop 0
	v_add_u32_e32 v5, s2, v9
	v_ashrrev_i32_e32 v6, 31, v5
	v_lshlrev_b64 v[6:7], 4, v[5:6]
	v_add_u32_e32 v0, s2, v5
	v_add_co_u32_e32 v6, vcc, v127, v6
	v_addc_co_u32_e32 v7, vcc, v105, v7, vcc
	global_store_dwordx4 v[6:7], v[1:4], off
	s_nop 0
	v_ashrrev_i32_e32 v1, 31, v0
	v_lshlrev_b64 v[0:1], 4, v[0:1]
	v_add_co_u32_e32 v0, vcc, v127, v0
	v_addc_co_u32_e32 v1, vcc, v105, v1, vcc
	global_store_dwordx4 v[0:1], v[81:84], off
.LBB60_652:
	s_endpgm
	.section	.rodata,"a",@progbits
	.p2align	6, 0x0
	.amdhsa_kernel _ZN9rocsolver6v33100L18getf2_small_kernelILi31E19rocblas_complex_numIdEiiPS3_EEvT1_T3_lS5_lPS5_llPT2_S5_S5_S7_l
		.amdhsa_group_segment_fixed_size 0
		.amdhsa_private_segment_fixed_size 100
		.amdhsa_kernarg_size 352
		.amdhsa_user_sgpr_count 6
		.amdhsa_user_sgpr_private_segment_buffer 1
		.amdhsa_user_sgpr_dispatch_ptr 0
		.amdhsa_user_sgpr_queue_ptr 0
		.amdhsa_user_sgpr_kernarg_segment_ptr 1
		.amdhsa_user_sgpr_dispatch_id 0
		.amdhsa_user_sgpr_flat_scratch_init 0
		.amdhsa_user_sgpr_private_segment_size 0
		.amdhsa_uses_dynamic_stack 0
		.amdhsa_system_sgpr_private_segment_wavefront_offset 1
		.amdhsa_system_sgpr_workgroup_id_x 1
		.amdhsa_system_sgpr_workgroup_id_y 1
		.amdhsa_system_sgpr_workgroup_id_z 0
		.amdhsa_system_sgpr_workgroup_info 0
		.amdhsa_system_vgpr_workitem_id 1
		.amdhsa_next_free_vgpr 128
		.amdhsa_next_free_sgpr 28
		.amdhsa_reserve_vcc 1
		.amdhsa_reserve_flat_scratch 0
		.amdhsa_float_round_mode_32 0
		.amdhsa_float_round_mode_16_64 0
		.amdhsa_float_denorm_mode_32 3
		.amdhsa_float_denorm_mode_16_64 3
		.amdhsa_dx10_clamp 1
		.amdhsa_ieee_mode 1
		.amdhsa_fp16_overflow 0
		.amdhsa_exception_fp_ieee_invalid_op 0
		.amdhsa_exception_fp_denorm_src 0
		.amdhsa_exception_fp_ieee_div_zero 0
		.amdhsa_exception_fp_ieee_overflow 0
		.amdhsa_exception_fp_ieee_underflow 0
		.amdhsa_exception_fp_ieee_inexact 0
		.amdhsa_exception_int_div_zero 0
	.end_amdhsa_kernel
	.section	.text._ZN9rocsolver6v33100L18getf2_small_kernelILi31E19rocblas_complex_numIdEiiPS3_EEvT1_T3_lS5_lPS5_llPT2_S5_S5_S7_l,"axG",@progbits,_ZN9rocsolver6v33100L18getf2_small_kernelILi31E19rocblas_complex_numIdEiiPS3_EEvT1_T3_lS5_lPS5_llPT2_S5_S5_S7_l,comdat
.Lfunc_end60:
	.size	_ZN9rocsolver6v33100L18getf2_small_kernelILi31E19rocblas_complex_numIdEiiPS3_EEvT1_T3_lS5_lPS5_llPT2_S5_S5_S7_l, .Lfunc_end60-_ZN9rocsolver6v33100L18getf2_small_kernelILi31E19rocblas_complex_numIdEiiPS3_EEvT1_T3_lS5_lPS5_llPT2_S5_S5_S7_l
                                        ; -- End function
	.set _ZN9rocsolver6v33100L18getf2_small_kernelILi31E19rocblas_complex_numIdEiiPS3_EEvT1_T3_lS5_lPS5_llPT2_S5_S5_S7_l.num_vgpr, 128
	.set _ZN9rocsolver6v33100L18getf2_small_kernelILi31E19rocblas_complex_numIdEiiPS3_EEvT1_T3_lS5_lPS5_llPT2_S5_S5_S7_l.num_agpr, 0
	.set _ZN9rocsolver6v33100L18getf2_small_kernelILi31E19rocblas_complex_numIdEiiPS3_EEvT1_T3_lS5_lPS5_llPT2_S5_S5_S7_l.numbered_sgpr, 28
	.set _ZN9rocsolver6v33100L18getf2_small_kernelILi31E19rocblas_complex_numIdEiiPS3_EEvT1_T3_lS5_lPS5_llPT2_S5_S5_S7_l.num_named_barrier, 0
	.set _ZN9rocsolver6v33100L18getf2_small_kernelILi31E19rocblas_complex_numIdEiiPS3_EEvT1_T3_lS5_lPS5_llPT2_S5_S5_S7_l.private_seg_size, 100
	.set _ZN9rocsolver6v33100L18getf2_small_kernelILi31E19rocblas_complex_numIdEiiPS3_EEvT1_T3_lS5_lPS5_llPT2_S5_S5_S7_l.uses_vcc, 1
	.set _ZN9rocsolver6v33100L18getf2_small_kernelILi31E19rocblas_complex_numIdEiiPS3_EEvT1_T3_lS5_lPS5_llPT2_S5_S5_S7_l.uses_flat_scratch, 0
	.set _ZN9rocsolver6v33100L18getf2_small_kernelILi31E19rocblas_complex_numIdEiiPS3_EEvT1_T3_lS5_lPS5_llPT2_S5_S5_S7_l.has_dyn_sized_stack, 0
	.set _ZN9rocsolver6v33100L18getf2_small_kernelILi31E19rocblas_complex_numIdEiiPS3_EEvT1_T3_lS5_lPS5_llPT2_S5_S5_S7_l.has_recursion, 0
	.set _ZN9rocsolver6v33100L18getf2_small_kernelILi31E19rocblas_complex_numIdEiiPS3_EEvT1_T3_lS5_lPS5_llPT2_S5_S5_S7_l.has_indirect_call, 0
	.section	.AMDGPU.csdata,"",@progbits
; Kernel info:
; codeLenInByte = 64316
; TotalNumSgprs: 32
; NumVgprs: 128
; ScratchSize: 100
; MemoryBound: 0
; FloatMode: 240
; IeeeMode: 1
; LDSByteSize: 0 bytes/workgroup (compile time only)
; SGPRBlocks: 3
; VGPRBlocks: 31
; NumSGPRsForWavesPerEU: 32
; NumVGPRsForWavesPerEU: 128
; Occupancy: 2
; WaveLimiterHint : 0
; COMPUTE_PGM_RSRC2:SCRATCH_EN: 1
; COMPUTE_PGM_RSRC2:USER_SGPR: 6
; COMPUTE_PGM_RSRC2:TRAP_HANDLER: 0
; COMPUTE_PGM_RSRC2:TGID_X_EN: 1
; COMPUTE_PGM_RSRC2:TGID_Y_EN: 1
; COMPUTE_PGM_RSRC2:TGID_Z_EN: 0
; COMPUTE_PGM_RSRC2:TIDIG_COMP_CNT: 1
	.section	.text._ZN9rocsolver6v33100L23getf2_npvt_small_kernelILi31E19rocblas_complex_numIdEiiPS3_EEvT1_T3_lS5_lPT2_S5_S5_,"axG",@progbits,_ZN9rocsolver6v33100L23getf2_npvt_small_kernelILi31E19rocblas_complex_numIdEiiPS3_EEvT1_T3_lS5_lPT2_S5_S5_,comdat
	.globl	_ZN9rocsolver6v33100L23getf2_npvt_small_kernelILi31E19rocblas_complex_numIdEiiPS3_EEvT1_T3_lS5_lPT2_S5_S5_ ; -- Begin function _ZN9rocsolver6v33100L23getf2_npvt_small_kernelILi31E19rocblas_complex_numIdEiiPS3_EEvT1_T3_lS5_lPT2_S5_S5_
	.p2align	8
	.type	_ZN9rocsolver6v33100L23getf2_npvt_small_kernelILi31E19rocblas_complex_numIdEiiPS3_EEvT1_T3_lS5_lPT2_S5_S5_,@function
_ZN9rocsolver6v33100L23getf2_npvt_small_kernelILi31E19rocblas_complex_numIdEiiPS3_EEvT1_T3_lS5_lPT2_S5_S5_: ; @_ZN9rocsolver6v33100L23getf2_npvt_small_kernelILi31E19rocblas_complex_numIdEiiPS3_EEvT1_T3_lS5_lPT2_S5_S5_
; %bb.0:
	s_mov_b64 s[22:23], s[2:3]
	s_mov_b64 s[20:21], s[0:1]
	s_load_dword s0, s[4:5], 0x44
	s_load_dwordx2 s[12:13], s[4:5], 0x30
	s_add_u32 s20, s20, s8
	s_addc_u32 s21, s21, 0
	s_waitcnt lgkmcnt(0)
	s_lshr_b32 s2, s0, 16
	s_mul_i32 s7, s7, s2
	v_add_u32_e32 v2, s7, v1
	v_cmp_gt_i32_e32 vcc, s12, v2
	s_and_saveexec_b64 s[0:1], vcc
	s_cbranch_execz .LBB61_282
; %bb.1:
	s_load_dwordx4 s[8:11], s[4:5], 0x20
	s_load_dwordx4 s[16:19], s[4:5], 0x8
	v_ashrrev_i32_e32 v3, 31, v2
	s_mulk_i32 s2, 0x1f0
	s_waitcnt lgkmcnt(0)
	v_mul_lo_u32 v4, s9, v2
	v_mul_lo_u32 v5, s8, v3
	buffer_store_dword v2, off, s[20:23], 0 offset:776 ; 4-byte Folded Spill
	s_nop 0
	buffer_store_dword v3, off, s[20:23], 0 offset:780 ; 4-byte Folded Spill
	v_mov_b32_e32 v6, s17
	v_mad_u64_u32 v[2:3], s[0:1], s8, v2, 0
	s_load_dword s0, s[4:5], 0x18
	s_lshl_b64 s[4:5], s[18:19], 4
	v_add3_u32 v3, v3, v5, v4
	v_lshlrev_b64 v[2:3], 4, v[2:3]
	v_mov_b32_e32 v4, s5
	v_add_co_u32_e32 v2, vcc, s16, v2
	v_addc_co_u32_e32 v3, vcc, v6, v3, vcc
	v_add_co_u32_e32 v2, vcc, s4, v2
	s_waitcnt lgkmcnt(0)
	s_add_i32 s1, s0, s0
	v_addc_co_u32_e32 v3, vcc, v3, v4, vcc
	v_add_u32_e32 v4, s1, v0
	v_ashrrev_i32_e32 v5, 31, v4
	v_lshlrev_b64 v[5:6], 4, v[4:5]
	v_add_u32_e32 v4, s0, v4
	v_add_co_u32_e32 v91, vcc, v2, v5
	v_ashrrev_i32_e32 v5, 31, v4
	v_addc_co_u32_e32 v92, vcc, v3, v6, vcc
	v_lshlrev_b64 v[5:6], 4, v[4:5]
	v_add_u32_e32 v4, s0, v4
	v_add_co_u32_e32 v7, vcc, v2, v5
	v_ashrrev_i32_e32 v5, 31, v4
	v_addc_co_u32_e32 v8, vcc, v3, v6, vcc
	;; [unrolled: 5-line block ×27, first 2 shown]
	v_lshlrev_b64 v[5:6], 4, v[4:5]
	v_add_u32_e32 v4, s0, v4
	v_add_co_u32_e32 v105, vcc, v2, v5
	v_ashrrev_i32_e32 v5, 31, v4
	v_lshlrev_b64 v[4:5], 4, v[4:5]
	v_addc_co_u32_e32 v106, vcc, v3, v6, vcc
	v_add_co_u32_e32 v107, vcc, v2, v4
	v_addc_co_u32_e32 v108, vcc, v3, v5, vcc
	v_lshlrev_b32_e32 v4, 4, v0
	v_add_co_u32_e32 v4, vcc, v2, v4
	s_ashr_i32 s1, s0, 31
	v_addc_co_u32_e32 v5, vcc, 0, v3, vcc
	s_lshl_b64 s[0:1], s[0:1], 4
	v_mov_b32_e32 v2, s1
	v_add_co_u32_e32 v41, vcc, s0, v4
	v_addc_co_u32_e32 v42, vcc, v5, v2, vcc
	buffer_store_dword v4, off, s[20:23], 0 offset:360 ; 4-byte Folded Spill
	s_nop 0
	buffer_store_dword v5, off, s[20:23], 0 offset:364 ; 4-byte Folded Spill
	s_movk_i32 s0, 0x1f0
	s_add_i32 s1, s2, 0
	v_mad_u32_u24 v125, v1, s0, 0
	v_lshl_add_u32 v127, v1, 4, s1
	v_cmp_ne_u32_e64 s[2:3], 0, v0
	v_cmp_eq_u32_e64 s[0:1], 0, v0
	global_load_dwordx4 v[1:4], v[4:5], off
	s_waitcnt vmcnt(0)
	buffer_store_dword v1, off, s[20:23], 0 offset:112 ; 4-byte Folded Spill
	s_nop 0
	buffer_store_dword v2, off, s[20:23], 0 offset:116 ; 4-byte Folded Spill
	buffer_store_dword v3, off, s[20:23], 0 offset:120 ; 4-byte Folded Spill
	buffer_store_dword v4, off, s[20:23], 0 offset:124 ; 4-byte Folded Spill
	buffer_store_dword v41, off, s[20:23], 0 offset:368 ; 4-byte Folded Spill
	s_nop 0
	buffer_store_dword v42, off, s[20:23], 0 offset:372 ; 4-byte Folded Spill
	global_load_dwordx4 v[1:4], v[41:42], off
	s_waitcnt vmcnt(0)
	buffer_store_dword v1, off, s[20:23], 0 offset:96 ; 4-byte Folded Spill
	s_nop 0
	buffer_store_dword v2, off, s[20:23], 0 offset:100 ; 4-byte Folded Spill
	buffer_store_dword v3, off, s[20:23], 0 offset:104 ; 4-byte Folded Spill
	buffer_store_dword v4, off, s[20:23], 0 offset:108 ; 4-byte Folded Spill
	global_load_dwordx4 v[1:4], v[91:92], off
	s_waitcnt vmcnt(0)
	buffer_store_dword v1, off, s[20:23], 0 offset:80 ; 4-byte Folded Spill
	s_nop 0
	buffer_store_dword v2, off, s[20:23], 0 offset:84 ; 4-byte Folded Spill
	buffer_store_dword v3, off, s[20:23], 0 offset:88 ; 4-byte Folded Spill
	buffer_store_dword v4, off, s[20:23], 0 offset:92 ; 4-byte Folded Spill
	buffer_store_dword v7, off, s[20:23], 0 offset:128 ; 4-byte Folded Spill
	s_nop 0
	buffer_store_dword v8, off, s[20:23], 0 offset:132 ; 4-byte Folded Spill
	global_load_dwordx4 v[1:4], v[7:8], off
	s_waitcnt vmcnt(0)
	buffer_store_dword v1, off, s[20:23], 0 offset:64 ; 4-byte Folded Spill
	s_nop 0
	buffer_store_dword v2, off, s[20:23], 0 offset:68 ; 4-byte Folded Spill
	buffer_store_dword v3, off, s[20:23], 0 offset:72 ; 4-byte Folded Spill
	buffer_store_dword v4, off, s[20:23], 0 offset:76 ; 4-byte Folded Spill
	;; [unrolled: 17-line block ×3, first 2 shown]
	buffer_store_dword v11, off, s[20:23], 0 offset:144 ; 4-byte Folded Spill
	s_nop 0
	buffer_store_dword v12, off, s[20:23], 0 offset:148 ; 4-byte Folded Spill
	global_load_dwordx4 v[1:4], v[11:12], off
	s_waitcnt vmcnt(0)
	buffer_store_dword v1, off, s[20:23], 0 offset:16 ; 4-byte Folded Spill
	s_nop 0
	buffer_store_dword v2, off, s[20:23], 0 offset:20 ; 4-byte Folded Spill
	buffer_store_dword v3, off, s[20:23], 0 offset:24 ; 4-byte Folded Spill
	;; [unrolled: 1-line block ×4, first 2 shown]
	s_nop 0
	buffer_store_dword v14, off, s[20:23], 0 offset:156 ; 4-byte Folded Spill
	global_load_dwordx4 v[1:4], v[13:14], off
	s_waitcnt vmcnt(0)
	buffer_store_dword v1, off, s[20:23], 0 ; 4-byte Folded Spill
	s_nop 0
	buffer_store_dword v2, off, s[20:23], 0 offset:4 ; 4-byte Folded Spill
	buffer_store_dword v3, off, s[20:23], 0 offset:8 ; 4-byte Folded Spill
	;; [unrolled: 1-line block ×4, first 2 shown]
	s_nop 0
	buffer_store_dword v16, off, s[20:23], 0 offset:164 ; 4-byte Folded Spill
	global_load_dwordx4 v[1:4], v[15:16], off
	s_nop 0
	buffer_store_dword v17, off, s[20:23], 0 offset:168 ; 4-byte Folded Spill
	s_nop 0
	buffer_store_dword v18, off, s[20:23], 0 offset:172 ; 4-byte Folded Spill
	global_load_dwordx4 v[5:8], v[17:18], off
	s_nop 0
	buffer_store_dword v19, off, s[20:23], 0 offset:176 ; 4-byte Folded Spill
	s_nop 0
	buffer_store_dword v20, off, s[20:23], 0 offset:180 ; 4-byte Folded Spill
	global_load_dwordx4 v[77:80], v[19:20], off
	s_nop 0
	buffer_store_dword v21, off, s[20:23], 0 offset:184 ; 4-byte Folded Spill
	s_nop 0
	buffer_store_dword v22, off, s[20:23], 0 offset:188 ; 4-byte Folded Spill
	global_load_dwordx4 v[73:76], v[21:22], off
	s_nop 0
	buffer_store_dword v23, off, s[20:23], 0 offset:192 ; 4-byte Folded Spill
	s_nop 0
	buffer_store_dword v24, off, s[20:23], 0 offset:196 ; 4-byte Folded Spill
	global_load_dwordx4 v[69:72], v[23:24], off
	s_nop 0
	buffer_store_dword v25, off, s[20:23], 0 offset:200 ; 4-byte Folded Spill
	s_nop 0
	buffer_store_dword v26, off, s[20:23], 0 offset:204 ; 4-byte Folded Spill
	global_load_dwordx4 v[65:68], v[25:26], off
	s_nop 0
	buffer_store_dword v27, off, s[20:23], 0 offset:208 ; 4-byte Folded Spill
	s_nop 0
	buffer_store_dword v28, off, s[20:23], 0 offset:212 ; 4-byte Folded Spill
	global_load_dwordx4 v[61:64], v[27:28], off
	s_nop 0
	buffer_store_dword v29, off, s[20:23], 0 offset:216 ; 4-byte Folded Spill
	s_nop 0
	buffer_store_dword v30, off, s[20:23], 0 offset:220 ; 4-byte Folded Spill
	global_load_dwordx4 v[57:60], v[29:30], off
	s_nop 0
	buffer_store_dword v31, off, s[20:23], 0 offset:224 ; 4-byte Folded Spill
	s_nop 0
	buffer_store_dword v32, off, s[20:23], 0 offset:228 ; 4-byte Folded Spill
	global_load_dwordx4 v[53:56], v[31:32], off
	s_nop 0
	buffer_store_dword v33, off, s[20:23], 0 offset:232 ; 4-byte Folded Spill
	s_nop 0
	buffer_store_dword v34, off, s[20:23], 0 offset:236 ; 4-byte Folded Spill
	global_load_dwordx4 v[49:52], v[33:34], off
	s_nop 0
	buffer_store_dword v35, off, s[20:23], 0 offset:240 ; 4-byte Folded Spill
	s_nop 0
	buffer_store_dword v36, off, s[20:23], 0 offset:244 ; 4-byte Folded Spill
	global_load_dwordx4 v[45:48], v[35:36], off
	s_nop 0
	buffer_store_dword v37, off, s[20:23], 0 offset:248 ; 4-byte Folded Spill
	s_nop 0
	buffer_store_dword v38, off, s[20:23], 0 offset:252 ; 4-byte Folded Spill
	global_load_dwordx4 v[41:44], v[37:38], off
	s_nop 0
	buffer_store_dword v39, off, s[20:23], 0 offset:256 ; 4-byte Folded Spill
	s_nop 0
	buffer_store_dword v40, off, s[20:23], 0 offset:260 ; 4-byte Folded Spill
	global_load_dwordx4 v[37:40], v[39:40], off
	s_nop 0
	buffer_store_dword v87, off, s[20:23], 0 offset:264 ; 4-byte Folded Spill
	s_nop 0
	buffer_store_dword v88, off, s[20:23], 0 offset:268 ; 4-byte Folded Spill
	global_load_dwordx4 v[33:36], v[87:88], off
	s_nop 0
	buffer_store_dword v89, off, s[20:23], 0 offset:272 ; 4-byte Folded Spill
	s_nop 0
	buffer_store_dword v90, off, s[20:23], 0 offset:276 ; 4-byte Folded Spill
	global_load_dwordx4 v[29:32], v[89:90], off
	s_nop 0
	buffer_store_dword v93, off, s[20:23], 0 offset:280 ; 4-byte Folded Spill
	s_nop 0
	buffer_store_dword v94, off, s[20:23], 0 offset:284 ; 4-byte Folded Spill
	s_waitcnt vmcnt(44)
	v_mov_b32_e32 v90, v4
	v_mov_b32_e32 v89, v3
	;; [unrolled: 1-line block ×4, first 2 shown]
	global_load_dwordx4 v[25:28], v[93:94], off
	s_nop 0
	buffer_store_dword v95, off, s[20:23], 0 offset:288 ; 4-byte Folded Spill
	s_nop 0
	buffer_store_dword v96, off, s[20:23], 0 offset:292 ; 4-byte Folded Spill
	global_load_dwordx4 v[21:24], v[95:96], off
	s_nop 0
	buffer_store_dword v97, off, s[20:23], 0 offset:296 ; 4-byte Folded Spill
	s_nop 0
	buffer_store_dword v98, off, s[20:23], 0 offset:300 ; 4-byte Folded Spill
	s_waitcnt vmcnt(47)
	v_mov_b32_e32 v96, v8
	v_mov_b32_e32 v95, v7
	;; [unrolled: 1-line block ×4, first 2 shown]
	global_load_dwordx4 v[17:20], v[97:98], off
	s_nop 0
	buffer_store_dword v99, off, s[20:23], 0 offset:304 ; 4-byte Folded Spill
	s_nop 0
	buffer_store_dword v100, off, s[20:23], 0 offset:308 ; 4-byte Folded Spill
	global_load_dwordx4 v[13:16], v[99:100], off
	s_nop 0
	buffer_store_dword v101, off, s[20:23], 0 offset:312 ; 4-byte Folded Spill
	s_nop 0
	buffer_store_dword v102, off, s[20:23], 0 offset:316 ; 4-byte Folded Spill
	;; [unrolled: 5-line block ×5, first 2 shown]
	global_load_dwordx4 v[105:108], v[107:108], off
	s_and_saveexec_b64 s[6:7], s[0:1]
	s_cbranch_execz .LBB61_8
; %bb.2:
	buffer_load_dword v81, off, s[20:23], 0 offset:112 ; 4-byte Folded Reload
	buffer_load_dword v82, off, s[20:23], 0 offset:116 ; 4-byte Folded Reload
	;; [unrolled: 1-line block ×4, first 2 shown]
	s_waitcnt vmcnt(0)
	ds_write2_b64 v127, v[81:82], v[83:84] offset1:1
	buffer_load_dword v81, off, s[20:23], 0 offset:96 ; 4-byte Folded Reload
	buffer_load_dword v82, off, s[20:23], 0 offset:100 ; 4-byte Folded Reload
	buffer_load_dword v83, off, s[20:23], 0 offset:104 ; 4-byte Folded Reload
	buffer_load_dword v84, off, s[20:23], 0 offset:108 ; 4-byte Folded Reload
	s_waitcnt vmcnt(0)
	ds_write2_b64 v125, v[81:82], v[83:84] offset0:2 offset1:3
	buffer_load_dword v81, off, s[20:23], 0 offset:80 ; 4-byte Folded Reload
	buffer_load_dword v82, off, s[20:23], 0 offset:84 ; 4-byte Folded Reload
	buffer_load_dword v83, off, s[20:23], 0 offset:88 ; 4-byte Folded Reload
	buffer_load_dword v84, off, s[20:23], 0 offset:92 ; 4-byte Folded Reload
	s_waitcnt vmcnt(0)
	ds_write2_b64 v125, v[81:82], v[83:84] offset0:4 offset1:5
	;; [unrolled: 6-line block ×6, first 2 shown]
	buffer_load_dword v81, off, s[20:23], 0 ; 4-byte Folded Reload
	buffer_load_dword v82, off, s[20:23], 0 offset:4 ; 4-byte Folded Reload
	buffer_load_dword v83, off, s[20:23], 0 offset:8 ; 4-byte Folded Reload
	buffer_load_dword v84, off, s[20:23], 0 offset:12 ; 4-byte Folded Reload
	s_waitcnt vmcnt(0)
	ds_write2_b64 v125, v[81:82], v[83:84] offset0:14 offset1:15
	ds_write2_b64 v125, v[87:88], v[89:90] offset0:16 offset1:17
	;; [unrolled: 1-line block ×24, first 2 shown]
	ds_read2_b64 v[97:100], v127 offset1:1
	s_waitcnt lgkmcnt(0)
	v_cmp_neq_f64_e32 vcc, 0, v[97:98]
	v_cmp_neq_f64_e64 s[4:5], 0, v[99:100]
	s_or_b64 s[4:5], vcc, s[4:5]
	s_and_b64 exec, exec, s[4:5]
	s_cbranch_execz .LBB61_8
; %bb.3:
	v_cmp_ngt_f64_e64 s[4:5], |v[97:98]|, |v[99:100]|
                                        ; implicit-def: $vgpr101_vgpr102
	s_and_saveexec_b64 s[8:9], s[4:5]
	s_xor_b64 s[4:5], exec, s[8:9]
                                        ; implicit-def: $vgpr103_vgpr104
	s_cbranch_execz .LBB61_5
; %bb.4:
	v_div_scale_f64 v[101:102], s[8:9], v[99:100], v[99:100], v[97:98]
	v_rcp_f64_e32 v[103:104], v[101:102]
	v_fma_f64 v[109:110], -v[101:102], v[103:104], 1.0
	v_fma_f64 v[103:104], v[103:104], v[109:110], v[103:104]
	v_div_scale_f64 v[109:110], vcc, v[97:98], v[99:100], v[97:98]
	v_fma_f64 v[111:112], -v[101:102], v[103:104], 1.0
	v_fma_f64 v[103:104], v[103:104], v[111:112], v[103:104]
	v_mul_f64 v[111:112], v[109:110], v[103:104]
	v_fma_f64 v[101:102], -v[101:102], v[111:112], v[109:110]
	v_div_fmas_f64 v[101:102], v[101:102], v[103:104], v[111:112]
	v_div_fixup_f64 v[101:102], v[101:102], v[99:100], v[97:98]
	v_fma_f64 v[97:98], v[97:98], v[101:102], v[99:100]
	v_div_scale_f64 v[99:100], s[8:9], v[97:98], v[97:98], 1.0
	v_div_scale_f64 v[111:112], vcc, 1.0, v[97:98], 1.0
	v_rcp_f64_e32 v[103:104], v[99:100]
	v_fma_f64 v[109:110], -v[99:100], v[103:104], 1.0
	v_fma_f64 v[103:104], v[103:104], v[109:110], v[103:104]
	v_fma_f64 v[109:110], -v[99:100], v[103:104], 1.0
	v_fma_f64 v[103:104], v[103:104], v[109:110], v[103:104]
	v_mul_f64 v[109:110], v[111:112], v[103:104]
	v_fma_f64 v[99:100], -v[99:100], v[109:110], v[111:112]
	v_div_fmas_f64 v[99:100], v[99:100], v[103:104], v[109:110]
	v_div_fixup_f64 v[103:104], v[99:100], v[97:98], 1.0
                                        ; implicit-def: $vgpr97_vgpr98
	v_mul_f64 v[101:102], v[101:102], v[103:104]
	v_xor_b32_e32 v104, 0x80000000, v104
.LBB61_5:
	s_andn2_saveexec_b64 s[4:5], s[4:5]
	s_cbranch_execz .LBB61_7
; %bb.6:
	v_div_scale_f64 v[101:102], s[8:9], v[97:98], v[97:98], v[99:100]
	v_rcp_f64_e32 v[103:104], v[101:102]
	v_fma_f64 v[109:110], -v[101:102], v[103:104], 1.0
	v_fma_f64 v[103:104], v[103:104], v[109:110], v[103:104]
	v_div_scale_f64 v[109:110], vcc, v[99:100], v[97:98], v[99:100]
	v_fma_f64 v[111:112], -v[101:102], v[103:104], 1.0
	v_fma_f64 v[103:104], v[103:104], v[111:112], v[103:104]
	v_mul_f64 v[111:112], v[109:110], v[103:104]
	v_fma_f64 v[101:102], -v[101:102], v[111:112], v[109:110]
	v_div_fmas_f64 v[101:102], v[101:102], v[103:104], v[111:112]
	v_div_fixup_f64 v[103:104], v[101:102], v[97:98], v[99:100]
	v_fma_f64 v[97:98], v[99:100], v[103:104], v[97:98]
	v_div_scale_f64 v[99:100], s[8:9], v[97:98], v[97:98], 1.0
	v_div_scale_f64 v[111:112], vcc, 1.0, v[97:98], 1.0
	v_rcp_f64_e32 v[101:102], v[99:100]
	v_fma_f64 v[109:110], -v[99:100], v[101:102], 1.0
	v_fma_f64 v[101:102], v[101:102], v[109:110], v[101:102]
	v_fma_f64 v[109:110], -v[99:100], v[101:102], 1.0
	v_fma_f64 v[101:102], v[101:102], v[109:110], v[101:102]
	v_mul_f64 v[109:110], v[111:112], v[101:102]
	v_fma_f64 v[99:100], -v[99:100], v[109:110], v[111:112]
	v_div_fmas_f64 v[99:100], v[99:100], v[101:102], v[109:110]
	v_div_fixup_f64 v[101:102], v[99:100], v[97:98], 1.0
	v_mul_f64 v[103:104], v[103:104], -v[101:102]
.LBB61_7:
	s_or_b64 exec, exec, s[4:5]
	ds_write2_b64 v127, v[101:102], v[103:104] offset1:1
.LBB61_8:
	s_or_b64 exec, exec, s[6:7]
	s_waitcnt vmcnt(0) lgkmcnt(0)
	s_barrier
	ds_read2_b64 v[81:84], v127 offset1:1
	s_waitcnt lgkmcnt(0)
	buffer_store_dword v81, off, s[20:23], 0 offset:376 ; 4-byte Folded Spill
	s_nop 0
	buffer_store_dword v82, off, s[20:23], 0 offset:380 ; 4-byte Folded Spill
	buffer_store_dword v83, off, s[20:23], 0 offset:384 ; 4-byte Folded Spill
	;; [unrolled: 1-line block ×3, first 2 shown]
	s_and_saveexec_b64 s[4:5], s[2:3]
	s_cbranch_execz .LBB61_10
; %bb.9:
	buffer_load_dword v109, off, s[20:23], 0 offset:112 ; 4-byte Folded Reload
	buffer_load_dword v110, off, s[20:23], 0 offset:116 ; 4-byte Folded Reload
	;; [unrolled: 1-line block ×8, first 2 shown]
	s_waitcnt vmcnt(2)
	v_mul_f64 v[99:100], v[81:82], v[111:112]
	s_waitcnt vmcnt(0)
	v_mul_f64 v[97:98], v[83:84], v[111:112]
	v_fma_f64 v[111:112], v[83:84], v[109:110], v[99:100]
	ds_read2_b64 v[99:102], v125 offset0:2 offset1:3
	v_fma_f64 v[97:98], v[81:82], v[109:110], -v[97:98]
	buffer_load_dword v81, off, s[20:23], 0 offset:96 ; 4-byte Folded Reload
	buffer_load_dword v82, off, s[20:23], 0 offset:100 ; 4-byte Folded Reload
	;; [unrolled: 1-line block ×4, first 2 shown]
	s_waitcnt lgkmcnt(0)
	v_mul_f64 v[103:104], v[101:102], v[111:112]
	v_mov_b32_e32 v110, v98
	v_mov_b32_e32 v109, v97
	v_fma_f64 v[103:104], v[99:100], v[97:98], -v[103:104]
	v_mul_f64 v[99:100], v[99:100], v[111:112]
	v_fma_f64 v[99:100], v[101:102], v[97:98], v[99:100]
	s_waitcnt vmcnt(2)
	v_add_f64 v[81:82], v[81:82], -v[103:104]
	s_waitcnt vmcnt(0)
	v_add_f64 v[83:84], v[83:84], -v[99:100]
	buffer_store_dword v81, off, s[20:23], 0 offset:96 ; 4-byte Folded Spill
	s_nop 0
	buffer_store_dword v82, off, s[20:23], 0 offset:100 ; 4-byte Folded Spill
	buffer_store_dword v83, off, s[20:23], 0 offset:104 ; 4-byte Folded Spill
	buffer_store_dword v84, off, s[20:23], 0 offset:108 ; 4-byte Folded Spill
	ds_read2_b64 v[99:102], v125 offset0:4 offset1:5
	buffer_load_dword v81, off, s[20:23], 0 offset:80 ; 4-byte Folded Reload
	buffer_load_dword v82, off, s[20:23], 0 offset:84 ; 4-byte Folded Reload
	buffer_load_dword v83, off, s[20:23], 0 offset:88 ; 4-byte Folded Reload
	buffer_load_dword v84, off, s[20:23], 0 offset:92 ; 4-byte Folded Reload
	s_waitcnt lgkmcnt(0)
	v_mul_f64 v[103:104], v[101:102], v[111:112]
	v_fma_f64 v[103:104], v[99:100], v[97:98], -v[103:104]
	v_mul_f64 v[99:100], v[99:100], v[111:112]
	v_fma_f64 v[99:100], v[101:102], v[97:98], v[99:100]
	s_waitcnt vmcnt(2)
	v_add_f64 v[81:82], v[81:82], -v[103:104]
	s_waitcnt vmcnt(0)
	v_add_f64 v[83:84], v[83:84], -v[99:100]
	buffer_store_dword v81, off, s[20:23], 0 offset:80 ; 4-byte Folded Spill
	s_nop 0
	buffer_store_dword v82, off, s[20:23], 0 offset:84 ; 4-byte Folded Spill
	buffer_store_dword v83, off, s[20:23], 0 offset:88 ; 4-byte Folded Spill
	buffer_store_dword v84, off, s[20:23], 0 offset:92 ; 4-byte Folded Spill
	ds_read2_b64 v[99:102], v125 offset0:6 offset1:7
	buffer_load_dword v81, off, s[20:23], 0 offset:64 ; 4-byte Folded Reload
	buffer_load_dword v82, off, s[20:23], 0 offset:68 ; 4-byte Folded Reload
	buffer_load_dword v83, off, s[20:23], 0 offset:72 ; 4-byte Folded Reload
	buffer_load_dword v84, off, s[20:23], 0 offset:76 ; 4-byte Folded Reload
	s_waitcnt lgkmcnt(0)
	v_mul_f64 v[103:104], v[101:102], v[111:112]
	;; [unrolled: 19-line block ×5, first 2 shown]
	v_fma_f64 v[103:104], v[99:100], v[97:98], -v[103:104]
	v_mul_f64 v[99:100], v[99:100], v[111:112]
	v_fma_f64 v[99:100], v[101:102], v[97:98], v[99:100]
	s_waitcnt vmcnt(2)
	v_add_f64 v[81:82], v[81:82], -v[103:104]
	s_waitcnt vmcnt(0)
	v_add_f64 v[83:84], v[83:84], -v[99:100]
	buffer_store_dword v81, off, s[20:23], 0 offset:16 ; 4-byte Folded Spill
	s_nop 0
	buffer_store_dword v82, off, s[20:23], 0 offset:20 ; 4-byte Folded Spill
	buffer_store_dword v83, off, s[20:23], 0 offset:24 ; 4-byte Folded Spill
	;; [unrolled: 1-line block ×3, first 2 shown]
	ds_read2_b64 v[99:102], v125 offset0:14 offset1:15
	buffer_load_dword v81, off, s[20:23], 0 ; 4-byte Folded Reload
	buffer_load_dword v82, off, s[20:23], 0 offset:4 ; 4-byte Folded Reload
	buffer_load_dword v83, off, s[20:23], 0 offset:8 ; 4-byte Folded Reload
	;; [unrolled: 1-line block ×3, first 2 shown]
	s_waitcnt lgkmcnt(0)
	v_mul_f64 v[103:104], v[101:102], v[111:112]
	v_fma_f64 v[103:104], v[99:100], v[97:98], -v[103:104]
	v_mul_f64 v[99:100], v[99:100], v[111:112]
	v_fma_f64 v[99:100], v[101:102], v[97:98], v[99:100]
	s_waitcnt vmcnt(2)
	v_add_f64 v[81:82], v[81:82], -v[103:104]
	s_waitcnt vmcnt(0)
	v_add_f64 v[83:84], v[83:84], -v[99:100]
	buffer_store_dword v81, off, s[20:23], 0 ; 4-byte Folded Spill
	s_nop 0
	buffer_store_dword v82, off, s[20:23], 0 offset:4 ; 4-byte Folded Spill
	buffer_store_dword v83, off, s[20:23], 0 offset:8 ; 4-byte Folded Spill
	;; [unrolled: 1-line block ×3, first 2 shown]
	ds_read2_b64 v[99:102], v125 offset0:16 offset1:17
	s_waitcnt lgkmcnt(0)
	v_mul_f64 v[103:104], v[101:102], v[111:112]
	v_fma_f64 v[103:104], v[99:100], v[97:98], -v[103:104]
	v_mul_f64 v[99:100], v[99:100], v[111:112]
	v_add_f64 v[87:88], v[87:88], -v[103:104]
	v_fma_f64 v[99:100], v[101:102], v[97:98], v[99:100]
	v_add_f64 v[89:90], v[89:90], -v[99:100]
	ds_read2_b64 v[99:102], v125 offset0:18 offset1:19
	s_waitcnt lgkmcnt(0)
	v_mul_f64 v[103:104], v[101:102], v[111:112]
	v_fma_f64 v[103:104], v[99:100], v[97:98], -v[103:104]
	v_mul_f64 v[99:100], v[99:100], v[111:112]
	v_add_f64 v[93:94], v[93:94], -v[103:104]
	v_fma_f64 v[99:100], v[101:102], v[97:98], v[99:100]
	v_add_f64 v[95:96], v[95:96], -v[99:100]
	;; [unrolled: 8-line block ×22, first 2 shown]
	ds_read2_b64 v[99:102], v125 offset0:60 offset1:61
	s_waitcnt lgkmcnt(0)
	v_mul_f64 v[103:104], v[101:102], v[111:112]
	v_fma_f64 v[103:104], v[99:100], v[97:98], -v[103:104]
	v_mul_f64 v[99:100], v[99:100], v[111:112]
	buffer_store_dword v109, off, s[20:23], 0 offset:112 ; 4-byte Folded Spill
	s_nop 0
	buffer_store_dword v110, off, s[20:23], 0 offset:116 ; 4-byte Folded Spill
	buffer_store_dword v111, off, s[20:23], 0 offset:120 ; 4-byte Folded Spill
	;; [unrolled: 1-line block ×3, first 2 shown]
	v_add_f64 v[105:106], v[105:106], -v[103:104]
	v_fma_f64 v[99:100], v[101:102], v[97:98], v[99:100]
	v_add_f64 v[107:108], v[107:108], -v[99:100]
.LBB61_10:
	s_or_b64 exec, exec, s[4:5]
	v_cmp_eq_u32_e32 vcc, 1, v0
	s_waitcnt vmcnt(0)
	s_barrier
	s_and_saveexec_b64 s[4:5], vcc
	s_cbranch_execz .LBB61_17
; %bb.11:
	buffer_load_dword v81, off, s[20:23], 0 offset:96 ; 4-byte Folded Reload
	buffer_load_dword v82, off, s[20:23], 0 offset:100 ; 4-byte Folded Reload
	;; [unrolled: 1-line block ×4, first 2 shown]
	s_waitcnt vmcnt(0)
	ds_write2_b64 v127, v[81:82], v[83:84] offset1:1
	buffer_load_dword v81, off, s[20:23], 0 offset:80 ; 4-byte Folded Reload
	buffer_load_dword v82, off, s[20:23], 0 offset:84 ; 4-byte Folded Reload
	buffer_load_dword v83, off, s[20:23], 0 offset:88 ; 4-byte Folded Reload
	buffer_load_dword v84, off, s[20:23], 0 offset:92 ; 4-byte Folded Reload
	s_waitcnt vmcnt(0)
	ds_write2_b64 v125, v[81:82], v[83:84] offset0:4 offset1:5
	buffer_load_dword v81, off, s[20:23], 0 offset:64 ; 4-byte Folded Reload
	buffer_load_dword v82, off, s[20:23], 0 offset:68 ; 4-byte Folded Reload
	buffer_load_dword v83, off, s[20:23], 0 offset:72 ; 4-byte Folded Reload
	buffer_load_dword v84, off, s[20:23], 0 offset:76 ; 4-byte Folded Reload
	s_waitcnt vmcnt(0)
	ds_write2_b64 v125, v[81:82], v[83:84] offset0:6 offset1:7
	;; [unrolled: 6-line block ×5, first 2 shown]
	buffer_load_dword v81, off, s[20:23], 0 ; 4-byte Folded Reload
	buffer_load_dword v82, off, s[20:23], 0 offset:4 ; 4-byte Folded Reload
	buffer_load_dword v83, off, s[20:23], 0 offset:8 ; 4-byte Folded Reload
	buffer_load_dword v84, off, s[20:23], 0 offset:12 ; 4-byte Folded Reload
	s_waitcnt vmcnt(0)
	ds_write2_b64 v125, v[81:82], v[83:84] offset0:14 offset1:15
	ds_write2_b64 v125, v[87:88], v[89:90] offset0:16 offset1:17
	;; [unrolled: 1-line block ×24, first 2 shown]
	ds_read2_b64 v[97:100], v127 offset1:1
	s_waitcnt lgkmcnt(0)
	v_cmp_neq_f64_e32 vcc, 0, v[97:98]
	v_cmp_neq_f64_e64 s[2:3], 0, v[99:100]
	s_or_b64 s[2:3], vcc, s[2:3]
	s_and_b64 exec, exec, s[2:3]
	s_cbranch_execz .LBB61_17
; %bb.12:
	v_cmp_ngt_f64_e64 s[2:3], |v[97:98]|, |v[99:100]|
                                        ; implicit-def: $vgpr101_vgpr102
	s_and_saveexec_b64 s[6:7], s[2:3]
	s_xor_b64 s[2:3], exec, s[6:7]
                                        ; implicit-def: $vgpr103_vgpr104
	s_cbranch_execz .LBB61_14
; %bb.13:
	v_div_scale_f64 v[101:102], s[6:7], v[99:100], v[99:100], v[97:98]
	v_rcp_f64_e32 v[103:104], v[101:102]
	v_fma_f64 v[109:110], -v[101:102], v[103:104], 1.0
	v_fma_f64 v[103:104], v[103:104], v[109:110], v[103:104]
	v_div_scale_f64 v[109:110], vcc, v[97:98], v[99:100], v[97:98]
	v_fma_f64 v[111:112], -v[101:102], v[103:104], 1.0
	v_fma_f64 v[103:104], v[103:104], v[111:112], v[103:104]
	v_mul_f64 v[111:112], v[109:110], v[103:104]
	v_fma_f64 v[101:102], -v[101:102], v[111:112], v[109:110]
	v_div_fmas_f64 v[101:102], v[101:102], v[103:104], v[111:112]
	v_div_fixup_f64 v[101:102], v[101:102], v[99:100], v[97:98]
	v_fma_f64 v[97:98], v[97:98], v[101:102], v[99:100]
	v_div_scale_f64 v[99:100], s[6:7], v[97:98], v[97:98], 1.0
	v_div_scale_f64 v[111:112], vcc, 1.0, v[97:98], 1.0
	v_rcp_f64_e32 v[103:104], v[99:100]
	v_fma_f64 v[109:110], -v[99:100], v[103:104], 1.0
	v_fma_f64 v[103:104], v[103:104], v[109:110], v[103:104]
	v_fma_f64 v[109:110], -v[99:100], v[103:104], 1.0
	v_fma_f64 v[103:104], v[103:104], v[109:110], v[103:104]
	v_mul_f64 v[109:110], v[111:112], v[103:104]
	v_fma_f64 v[99:100], -v[99:100], v[109:110], v[111:112]
	v_div_fmas_f64 v[99:100], v[99:100], v[103:104], v[109:110]
	v_div_fixup_f64 v[103:104], v[99:100], v[97:98], 1.0
                                        ; implicit-def: $vgpr97_vgpr98
	v_mul_f64 v[101:102], v[101:102], v[103:104]
	v_xor_b32_e32 v104, 0x80000000, v104
.LBB61_14:
	s_andn2_saveexec_b64 s[2:3], s[2:3]
	s_cbranch_execz .LBB61_16
; %bb.15:
	v_div_scale_f64 v[101:102], s[6:7], v[97:98], v[97:98], v[99:100]
	v_rcp_f64_e32 v[103:104], v[101:102]
	v_fma_f64 v[109:110], -v[101:102], v[103:104], 1.0
	v_fma_f64 v[103:104], v[103:104], v[109:110], v[103:104]
	v_div_scale_f64 v[109:110], vcc, v[99:100], v[97:98], v[99:100]
	v_fma_f64 v[111:112], -v[101:102], v[103:104], 1.0
	v_fma_f64 v[103:104], v[103:104], v[111:112], v[103:104]
	v_mul_f64 v[111:112], v[109:110], v[103:104]
	v_fma_f64 v[101:102], -v[101:102], v[111:112], v[109:110]
	v_div_fmas_f64 v[101:102], v[101:102], v[103:104], v[111:112]
	v_div_fixup_f64 v[103:104], v[101:102], v[97:98], v[99:100]
	v_fma_f64 v[97:98], v[99:100], v[103:104], v[97:98]
	v_div_scale_f64 v[99:100], s[6:7], v[97:98], v[97:98], 1.0
	v_div_scale_f64 v[111:112], vcc, 1.0, v[97:98], 1.0
	v_rcp_f64_e32 v[101:102], v[99:100]
	v_fma_f64 v[109:110], -v[99:100], v[101:102], 1.0
	v_fma_f64 v[101:102], v[101:102], v[109:110], v[101:102]
	v_fma_f64 v[109:110], -v[99:100], v[101:102], 1.0
	v_fma_f64 v[101:102], v[101:102], v[109:110], v[101:102]
	v_mul_f64 v[109:110], v[111:112], v[101:102]
	v_fma_f64 v[99:100], -v[99:100], v[109:110], v[111:112]
	v_div_fmas_f64 v[99:100], v[99:100], v[101:102], v[109:110]
	v_div_fixup_f64 v[101:102], v[99:100], v[97:98], 1.0
	v_mul_f64 v[103:104], v[103:104], -v[101:102]
.LBB61_16:
	s_or_b64 exec, exec, s[2:3]
	ds_write2_b64 v127, v[101:102], v[103:104] offset1:1
.LBB61_17:
	s_or_b64 exec, exec, s[4:5]
	s_waitcnt lgkmcnt(0)
	s_barrier
	ds_read2_b64 v[81:84], v127 offset1:1
	v_cmp_lt_u32_e32 vcc, 1, v0
	s_waitcnt lgkmcnt(0)
	buffer_store_dword v81, off, s[20:23], 0 offset:392 ; 4-byte Folded Spill
	s_nop 0
	buffer_store_dword v82, off, s[20:23], 0 offset:396 ; 4-byte Folded Spill
	buffer_store_dword v83, off, s[20:23], 0 offset:400 ; 4-byte Folded Spill
	;; [unrolled: 1-line block ×3, first 2 shown]
	s_and_saveexec_b64 s[2:3], vcc
	s_cbranch_execz .LBB61_19
; %bb.18:
	buffer_load_dword v109, off, s[20:23], 0 offset:96 ; 4-byte Folded Reload
	buffer_load_dword v110, off, s[20:23], 0 offset:100 ; 4-byte Folded Reload
	;; [unrolled: 1-line block ×8, first 2 shown]
	s_waitcnt vmcnt(2)
	v_mul_f64 v[99:100], v[81:82], v[111:112]
	s_waitcnt vmcnt(0)
	v_mul_f64 v[97:98], v[83:84], v[111:112]
	v_fma_f64 v[111:112], v[83:84], v[109:110], v[99:100]
	ds_read2_b64 v[99:102], v125 offset0:4 offset1:5
	v_fma_f64 v[97:98], v[81:82], v[109:110], -v[97:98]
	buffer_load_dword v81, off, s[20:23], 0 offset:80 ; 4-byte Folded Reload
	buffer_load_dword v82, off, s[20:23], 0 offset:84 ; 4-byte Folded Reload
	;; [unrolled: 1-line block ×4, first 2 shown]
	s_waitcnt lgkmcnt(0)
	v_mul_f64 v[103:104], v[101:102], v[111:112]
	v_mov_b32_e32 v110, v98
	v_mov_b32_e32 v109, v97
	v_fma_f64 v[103:104], v[99:100], v[97:98], -v[103:104]
	v_mul_f64 v[99:100], v[99:100], v[111:112]
	v_fma_f64 v[99:100], v[101:102], v[97:98], v[99:100]
	s_waitcnt vmcnt(2)
	v_add_f64 v[81:82], v[81:82], -v[103:104]
	s_waitcnt vmcnt(0)
	v_add_f64 v[83:84], v[83:84], -v[99:100]
	buffer_store_dword v81, off, s[20:23], 0 offset:80 ; 4-byte Folded Spill
	s_nop 0
	buffer_store_dword v82, off, s[20:23], 0 offset:84 ; 4-byte Folded Spill
	buffer_store_dword v83, off, s[20:23], 0 offset:88 ; 4-byte Folded Spill
	buffer_store_dword v84, off, s[20:23], 0 offset:92 ; 4-byte Folded Spill
	ds_read2_b64 v[99:102], v125 offset0:6 offset1:7
	buffer_load_dword v81, off, s[20:23], 0 offset:64 ; 4-byte Folded Reload
	buffer_load_dword v82, off, s[20:23], 0 offset:68 ; 4-byte Folded Reload
	buffer_load_dword v83, off, s[20:23], 0 offset:72 ; 4-byte Folded Reload
	buffer_load_dword v84, off, s[20:23], 0 offset:76 ; 4-byte Folded Reload
	s_waitcnt lgkmcnt(0)
	v_mul_f64 v[103:104], v[101:102], v[111:112]
	v_fma_f64 v[103:104], v[99:100], v[97:98], -v[103:104]
	v_mul_f64 v[99:100], v[99:100], v[111:112]
	v_fma_f64 v[99:100], v[101:102], v[97:98], v[99:100]
	s_waitcnt vmcnt(2)
	v_add_f64 v[81:82], v[81:82], -v[103:104]
	s_waitcnt vmcnt(0)
	v_add_f64 v[83:84], v[83:84], -v[99:100]
	buffer_store_dword v81, off, s[20:23], 0 offset:64 ; 4-byte Folded Spill
	s_nop 0
	buffer_store_dword v82, off, s[20:23], 0 offset:68 ; 4-byte Folded Spill
	buffer_store_dword v83, off, s[20:23], 0 offset:72 ; 4-byte Folded Spill
	buffer_store_dword v84, off, s[20:23], 0 offset:76 ; 4-byte Folded Spill
	ds_read2_b64 v[99:102], v125 offset0:8 offset1:9
	buffer_load_dword v81, off, s[20:23], 0 offset:48 ; 4-byte Folded Reload
	buffer_load_dword v82, off, s[20:23], 0 offset:52 ; 4-byte Folded Reload
	buffer_load_dword v83, off, s[20:23], 0 offset:56 ; 4-byte Folded Reload
	buffer_load_dword v84, off, s[20:23], 0 offset:60 ; 4-byte Folded Reload
	s_waitcnt lgkmcnt(0)
	v_mul_f64 v[103:104], v[101:102], v[111:112]
	;; [unrolled: 19-line block ×4, first 2 shown]
	v_fma_f64 v[103:104], v[99:100], v[97:98], -v[103:104]
	v_mul_f64 v[99:100], v[99:100], v[111:112]
	v_fma_f64 v[99:100], v[101:102], v[97:98], v[99:100]
	s_waitcnt vmcnt(2)
	v_add_f64 v[81:82], v[81:82], -v[103:104]
	s_waitcnt vmcnt(0)
	v_add_f64 v[83:84], v[83:84], -v[99:100]
	buffer_store_dword v81, off, s[20:23], 0 offset:16 ; 4-byte Folded Spill
	s_nop 0
	buffer_store_dword v82, off, s[20:23], 0 offset:20 ; 4-byte Folded Spill
	buffer_store_dword v83, off, s[20:23], 0 offset:24 ; 4-byte Folded Spill
	;; [unrolled: 1-line block ×3, first 2 shown]
	ds_read2_b64 v[99:102], v125 offset0:14 offset1:15
	buffer_load_dword v81, off, s[20:23], 0 ; 4-byte Folded Reload
	buffer_load_dword v82, off, s[20:23], 0 offset:4 ; 4-byte Folded Reload
	buffer_load_dword v83, off, s[20:23], 0 offset:8 ; 4-byte Folded Reload
	;; [unrolled: 1-line block ×3, first 2 shown]
	s_waitcnt lgkmcnt(0)
	v_mul_f64 v[103:104], v[101:102], v[111:112]
	v_fma_f64 v[103:104], v[99:100], v[97:98], -v[103:104]
	v_mul_f64 v[99:100], v[99:100], v[111:112]
	v_fma_f64 v[99:100], v[101:102], v[97:98], v[99:100]
	s_waitcnt vmcnt(2)
	v_add_f64 v[81:82], v[81:82], -v[103:104]
	s_waitcnt vmcnt(0)
	v_add_f64 v[83:84], v[83:84], -v[99:100]
	buffer_store_dword v81, off, s[20:23], 0 ; 4-byte Folded Spill
	s_nop 0
	buffer_store_dword v82, off, s[20:23], 0 offset:4 ; 4-byte Folded Spill
	buffer_store_dword v83, off, s[20:23], 0 offset:8 ; 4-byte Folded Spill
	buffer_store_dword v84, off, s[20:23], 0 offset:12 ; 4-byte Folded Spill
	ds_read2_b64 v[99:102], v125 offset0:16 offset1:17
	s_waitcnt lgkmcnt(0)
	v_mul_f64 v[103:104], v[101:102], v[111:112]
	v_fma_f64 v[103:104], v[99:100], v[97:98], -v[103:104]
	v_mul_f64 v[99:100], v[99:100], v[111:112]
	v_add_f64 v[87:88], v[87:88], -v[103:104]
	v_fma_f64 v[99:100], v[101:102], v[97:98], v[99:100]
	v_add_f64 v[89:90], v[89:90], -v[99:100]
	ds_read2_b64 v[99:102], v125 offset0:18 offset1:19
	s_waitcnt lgkmcnt(0)
	v_mul_f64 v[103:104], v[101:102], v[111:112]
	v_fma_f64 v[103:104], v[99:100], v[97:98], -v[103:104]
	v_mul_f64 v[99:100], v[99:100], v[111:112]
	v_add_f64 v[93:94], v[93:94], -v[103:104]
	v_fma_f64 v[99:100], v[101:102], v[97:98], v[99:100]
	v_add_f64 v[95:96], v[95:96], -v[99:100]
	;; [unrolled: 8-line block ×22, first 2 shown]
	ds_read2_b64 v[99:102], v125 offset0:60 offset1:61
	s_waitcnt lgkmcnt(0)
	v_mul_f64 v[103:104], v[101:102], v[111:112]
	v_fma_f64 v[103:104], v[99:100], v[97:98], -v[103:104]
	v_mul_f64 v[99:100], v[99:100], v[111:112]
	buffer_store_dword v109, off, s[20:23], 0 offset:96 ; 4-byte Folded Spill
	s_nop 0
	buffer_store_dword v110, off, s[20:23], 0 offset:100 ; 4-byte Folded Spill
	buffer_store_dword v111, off, s[20:23], 0 offset:104 ; 4-byte Folded Spill
	;; [unrolled: 1-line block ×3, first 2 shown]
	v_add_f64 v[105:106], v[105:106], -v[103:104]
	v_fma_f64 v[99:100], v[101:102], v[97:98], v[99:100]
	v_add_f64 v[107:108], v[107:108], -v[99:100]
.LBB61_19:
	s_or_b64 exec, exec, s[2:3]
	v_cmp_eq_u32_e32 vcc, 2, v0
	s_waitcnt vmcnt(0)
	s_barrier
	s_and_saveexec_b64 s[4:5], vcc
	s_cbranch_execz .LBB61_26
; %bb.20:
	buffer_load_dword v81, off, s[20:23], 0 offset:80 ; 4-byte Folded Reload
	buffer_load_dword v82, off, s[20:23], 0 offset:84 ; 4-byte Folded Reload
	;; [unrolled: 1-line block ×4, first 2 shown]
	s_waitcnt vmcnt(0)
	ds_write2_b64 v127, v[81:82], v[83:84] offset1:1
	buffer_load_dword v81, off, s[20:23], 0 offset:64 ; 4-byte Folded Reload
	buffer_load_dword v82, off, s[20:23], 0 offset:68 ; 4-byte Folded Reload
	buffer_load_dword v83, off, s[20:23], 0 offset:72 ; 4-byte Folded Reload
	buffer_load_dword v84, off, s[20:23], 0 offset:76 ; 4-byte Folded Reload
	s_waitcnt vmcnt(0)
	ds_write2_b64 v125, v[81:82], v[83:84] offset0:6 offset1:7
	buffer_load_dword v81, off, s[20:23], 0 offset:48 ; 4-byte Folded Reload
	buffer_load_dword v82, off, s[20:23], 0 offset:52 ; 4-byte Folded Reload
	buffer_load_dword v83, off, s[20:23], 0 offset:56 ; 4-byte Folded Reload
	buffer_load_dword v84, off, s[20:23], 0 offset:60 ; 4-byte Folded Reload
	s_waitcnt vmcnt(0)
	ds_write2_b64 v125, v[81:82], v[83:84] offset0:8 offset1:9
	;; [unrolled: 6-line block ×4, first 2 shown]
	buffer_load_dword v81, off, s[20:23], 0 ; 4-byte Folded Reload
	buffer_load_dword v82, off, s[20:23], 0 offset:4 ; 4-byte Folded Reload
	buffer_load_dword v83, off, s[20:23], 0 offset:8 ; 4-byte Folded Reload
	;; [unrolled: 1-line block ×3, first 2 shown]
	s_waitcnt vmcnt(0)
	ds_write2_b64 v125, v[81:82], v[83:84] offset0:14 offset1:15
	ds_write2_b64 v125, v[87:88], v[89:90] offset0:16 offset1:17
	;; [unrolled: 1-line block ×24, first 2 shown]
	ds_read2_b64 v[97:100], v127 offset1:1
	s_waitcnt lgkmcnt(0)
	v_cmp_neq_f64_e32 vcc, 0, v[97:98]
	v_cmp_neq_f64_e64 s[2:3], 0, v[99:100]
	s_or_b64 s[2:3], vcc, s[2:3]
	s_and_b64 exec, exec, s[2:3]
	s_cbranch_execz .LBB61_26
; %bb.21:
	v_cmp_ngt_f64_e64 s[2:3], |v[97:98]|, |v[99:100]|
                                        ; implicit-def: $vgpr101_vgpr102
	s_and_saveexec_b64 s[6:7], s[2:3]
	s_xor_b64 s[2:3], exec, s[6:7]
                                        ; implicit-def: $vgpr103_vgpr104
	s_cbranch_execz .LBB61_23
; %bb.22:
	v_div_scale_f64 v[101:102], s[6:7], v[99:100], v[99:100], v[97:98]
	v_rcp_f64_e32 v[103:104], v[101:102]
	v_fma_f64 v[109:110], -v[101:102], v[103:104], 1.0
	v_fma_f64 v[103:104], v[103:104], v[109:110], v[103:104]
	v_div_scale_f64 v[109:110], vcc, v[97:98], v[99:100], v[97:98]
	v_fma_f64 v[111:112], -v[101:102], v[103:104], 1.0
	v_fma_f64 v[103:104], v[103:104], v[111:112], v[103:104]
	v_mul_f64 v[111:112], v[109:110], v[103:104]
	v_fma_f64 v[101:102], -v[101:102], v[111:112], v[109:110]
	v_div_fmas_f64 v[101:102], v[101:102], v[103:104], v[111:112]
	v_div_fixup_f64 v[101:102], v[101:102], v[99:100], v[97:98]
	v_fma_f64 v[97:98], v[97:98], v[101:102], v[99:100]
	v_div_scale_f64 v[99:100], s[6:7], v[97:98], v[97:98], 1.0
	v_div_scale_f64 v[111:112], vcc, 1.0, v[97:98], 1.0
	v_rcp_f64_e32 v[103:104], v[99:100]
	v_fma_f64 v[109:110], -v[99:100], v[103:104], 1.0
	v_fma_f64 v[103:104], v[103:104], v[109:110], v[103:104]
	v_fma_f64 v[109:110], -v[99:100], v[103:104], 1.0
	v_fma_f64 v[103:104], v[103:104], v[109:110], v[103:104]
	v_mul_f64 v[109:110], v[111:112], v[103:104]
	v_fma_f64 v[99:100], -v[99:100], v[109:110], v[111:112]
	v_div_fmas_f64 v[99:100], v[99:100], v[103:104], v[109:110]
	v_div_fixup_f64 v[103:104], v[99:100], v[97:98], 1.0
                                        ; implicit-def: $vgpr97_vgpr98
	v_mul_f64 v[101:102], v[101:102], v[103:104]
	v_xor_b32_e32 v104, 0x80000000, v104
.LBB61_23:
	s_andn2_saveexec_b64 s[2:3], s[2:3]
	s_cbranch_execz .LBB61_25
; %bb.24:
	v_div_scale_f64 v[101:102], s[6:7], v[97:98], v[97:98], v[99:100]
	v_rcp_f64_e32 v[103:104], v[101:102]
	v_fma_f64 v[109:110], -v[101:102], v[103:104], 1.0
	v_fma_f64 v[103:104], v[103:104], v[109:110], v[103:104]
	v_div_scale_f64 v[109:110], vcc, v[99:100], v[97:98], v[99:100]
	v_fma_f64 v[111:112], -v[101:102], v[103:104], 1.0
	v_fma_f64 v[103:104], v[103:104], v[111:112], v[103:104]
	v_mul_f64 v[111:112], v[109:110], v[103:104]
	v_fma_f64 v[101:102], -v[101:102], v[111:112], v[109:110]
	v_div_fmas_f64 v[101:102], v[101:102], v[103:104], v[111:112]
	v_div_fixup_f64 v[103:104], v[101:102], v[97:98], v[99:100]
	v_fma_f64 v[97:98], v[99:100], v[103:104], v[97:98]
	v_div_scale_f64 v[99:100], s[6:7], v[97:98], v[97:98], 1.0
	v_div_scale_f64 v[111:112], vcc, 1.0, v[97:98], 1.0
	v_rcp_f64_e32 v[101:102], v[99:100]
	v_fma_f64 v[109:110], -v[99:100], v[101:102], 1.0
	v_fma_f64 v[101:102], v[101:102], v[109:110], v[101:102]
	v_fma_f64 v[109:110], -v[99:100], v[101:102], 1.0
	v_fma_f64 v[101:102], v[101:102], v[109:110], v[101:102]
	v_mul_f64 v[109:110], v[111:112], v[101:102]
	v_fma_f64 v[99:100], -v[99:100], v[109:110], v[111:112]
	v_div_fmas_f64 v[99:100], v[99:100], v[101:102], v[109:110]
	v_div_fixup_f64 v[101:102], v[99:100], v[97:98], 1.0
	v_mul_f64 v[103:104], v[103:104], -v[101:102]
.LBB61_25:
	s_or_b64 exec, exec, s[2:3]
	ds_write2_b64 v127, v[101:102], v[103:104] offset1:1
.LBB61_26:
	s_or_b64 exec, exec, s[4:5]
	s_waitcnt lgkmcnt(0)
	s_barrier
	ds_read2_b64 v[81:84], v127 offset1:1
	v_cmp_lt_u32_e32 vcc, 2, v0
	s_waitcnt lgkmcnt(0)
	buffer_store_dword v81, off, s[20:23], 0 offset:408 ; 4-byte Folded Spill
	s_nop 0
	buffer_store_dword v82, off, s[20:23], 0 offset:412 ; 4-byte Folded Spill
	buffer_store_dword v83, off, s[20:23], 0 offset:416 ; 4-byte Folded Spill
	;; [unrolled: 1-line block ×3, first 2 shown]
	s_and_saveexec_b64 s[2:3], vcc
	s_cbranch_execz .LBB61_28
; %bb.27:
	buffer_load_dword v109, off, s[20:23], 0 offset:80 ; 4-byte Folded Reload
	buffer_load_dword v110, off, s[20:23], 0 offset:84 ; 4-byte Folded Reload
	;; [unrolled: 1-line block ×8, first 2 shown]
	s_waitcnt vmcnt(2)
	v_mul_f64 v[99:100], v[81:82], v[111:112]
	s_waitcnt vmcnt(0)
	v_mul_f64 v[97:98], v[83:84], v[111:112]
	v_fma_f64 v[111:112], v[83:84], v[109:110], v[99:100]
	ds_read2_b64 v[99:102], v125 offset0:6 offset1:7
	v_fma_f64 v[97:98], v[81:82], v[109:110], -v[97:98]
	buffer_load_dword v81, off, s[20:23], 0 offset:64 ; 4-byte Folded Reload
	buffer_load_dword v82, off, s[20:23], 0 offset:68 ; 4-byte Folded Reload
	;; [unrolled: 1-line block ×4, first 2 shown]
	s_waitcnt lgkmcnt(0)
	v_mul_f64 v[103:104], v[101:102], v[111:112]
	v_mov_b32_e32 v110, v98
	v_mov_b32_e32 v109, v97
	v_fma_f64 v[103:104], v[99:100], v[97:98], -v[103:104]
	v_mul_f64 v[99:100], v[99:100], v[111:112]
	v_fma_f64 v[99:100], v[101:102], v[97:98], v[99:100]
	s_waitcnt vmcnt(2)
	v_add_f64 v[81:82], v[81:82], -v[103:104]
	s_waitcnt vmcnt(0)
	v_add_f64 v[83:84], v[83:84], -v[99:100]
	buffer_store_dword v81, off, s[20:23], 0 offset:64 ; 4-byte Folded Spill
	s_nop 0
	buffer_store_dword v82, off, s[20:23], 0 offset:68 ; 4-byte Folded Spill
	buffer_store_dword v83, off, s[20:23], 0 offset:72 ; 4-byte Folded Spill
	buffer_store_dword v84, off, s[20:23], 0 offset:76 ; 4-byte Folded Spill
	ds_read2_b64 v[99:102], v125 offset0:8 offset1:9
	buffer_load_dword v81, off, s[20:23], 0 offset:48 ; 4-byte Folded Reload
	buffer_load_dword v82, off, s[20:23], 0 offset:52 ; 4-byte Folded Reload
	buffer_load_dword v83, off, s[20:23], 0 offset:56 ; 4-byte Folded Reload
	buffer_load_dword v84, off, s[20:23], 0 offset:60 ; 4-byte Folded Reload
	s_waitcnt lgkmcnt(0)
	v_mul_f64 v[103:104], v[101:102], v[111:112]
	v_fma_f64 v[103:104], v[99:100], v[97:98], -v[103:104]
	v_mul_f64 v[99:100], v[99:100], v[111:112]
	v_fma_f64 v[99:100], v[101:102], v[97:98], v[99:100]
	s_waitcnt vmcnt(2)
	v_add_f64 v[81:82], v[81:82], -v[103:104]
	s_waitcnt vmcnt(0)
	v_add_f64 v[83:84], v[83:84], -v[99:100]
	buffer_store_dword v81, off, s[20:23], 0 offset:48 ; 4-byte Folded Spill
	s_nop 0
	buffer_store_dword v82, off, s[20:23], 0 offset:52 ; 4-byte Folded Spill
	buffer_store_dword v83, off, s[20:23], 0 offset:56 ; 4-byte Folded Spill
	buffer_store_dword v84, off, s[20:23], 0 offset:60 ; 4-byte Folded Spill
	ds_read2_b64 v[99:102], v125 offset0:10 offset1:11
	buffer_load_dword v81, off, s[20:23], 0 offset:32 ; 4-byte Folded Reload
	buffer_load_dword v82, off, s[20:23], 0 offset:36 ; 4-byte Folded Reload
	buffer_load_dword v83, off, s[20:23], 0 offset:40 ; 4-byte Folded Reload
	buffer_load_dword v84, off, s[20:23], 0 offset:44 ; 4-byte Folded Reload
	s_waitcnt lgkmcnt(0)
	v_mul_f64 v[103:104], v[101:102], v[111:112]
	;; [unrolled: 19-line block ×3, first 2 shown]
	v_fma_f64 v[103:104], v[99:100], v[97:98], -v[103:104]
	v_mul_f64 v[99:100], v[99:100], v[111:112]
	v_fma_f64 v[99:100], v[101:102], v[97:98], v[99:100]
	s_waitcnt vmcnt(2)
	v_add_f64 v[81:82], v[81:82], -v[103:104]
	s_waitcnt vmcnt(0)
	v_add_f64 v[83:84], v[83:84], -v[99:100]
	buffer_store_dword v81, off, s[20:23], 0 offset:16 ; 4-byte Folded Spill
	s_nop 0
	buffer_store_dword v82, off, s[20:23], 0 offset:20 ; 4-byte Folded Spill
	buffer_store_dword v83, off, s[20:23], 0 offset:24 ; 4-byte Folded Spill
	;; [unrolled: 1-line block ×3, first 2 shown]
	ds_read2_b64 v[99:102], v125 offset0:14 offset1:15
	buffer_load_dword v81, off, s[20:23], 0 ; 4-byte Folded Reload
	buffer_load_dword v82, off, s[20:23], 0 offset:4 ; 4-byte Folded Reload
	buffer_load_dword v83, off, s[20:23], 0 offset:8 ; 4-byte Folded Reload
	;; [unrolled: 1-line block ×3, first 2 shown]
	s_waitcnt lgkmcnt(0)
	v_mul_f64 v[103:104], v[101:102], v[111:112]
	v_fma_f64 v[103:104], v[99:100], v[97:98], -v[103:104]
	v_mul_f64 v[99:100], v[99:100], v[111:112]
	v_fma_f64 v[99:100], v[101:102], v[97:98], v[99:100]
	s_waitcnt vmcnt(2)
	v_add_f64 v[81:82], v[81:82], -v[103:104]
	s_waitcnt vmcnt(0)
	v_add_f64 v[83:84], v[83:84], -v[99:100]
	buffer_store_dword v81, off, s[20:23], 0 ; 4-byte Folded Spill
	s_nop 0
	buffer_store_dword v82, off, s[20:23], 0 offset:4 ; 4-byte Folded Spill
	buffer_store_dword v83, off, s[20:23], 0 offset:8 ; 4-byte Folded Spill
	buffer_store_dword v84, off, s[20:23], 0 offset:12 ; 4-byte Folded Spill
	ds_read2_b64 v[99:102], v125 offset0:16 offset1:17
	s_waitcnt lgkmcnt(0)
	v_mul_f64 v[103:104], v[101:102], v[111:112]
	v_fma_f64 v[103:104], v[99:100], v[97:98], -v[103:104]
	v_mul_f64 v[99:100], v[99:100], v[111:112]
	v_add_f64 v[87:88], v[87:88], -v[103:104]
	v_fma_f64 v[99:100], v[101:102], v[97:98], v[99:100]
	v_add_f64 v[89:90], v[89:90], -v[99:100]
	ds_read2_b64 v[99:102], v125 offset0:18 offset1:19
	s_waitcnt lgkmcnt(0)
	v_mul_f64 v[103:104], v[101:102], v[111:112]
	v_fma_f64 v[103:104], v[99:100], v[97:98], -v[103:104]
	v_mul_f64 v[99:100], v[99:100], v[111:112]
	v_add_f64 v[93:94], v[93:94], -v[103:104]
	v_fma_f64 v[99:100], v[101:102], v[97:98], v[99:100]
	v_add_f64 v[95:96], v[95:96], -v[99:100]
	;; [unrolled: 8-line block ×22, first 2 shown]
	ds_read2_b64 v[99:102], v125 offset0:60 offset1:61
	s_waitcnt lgkmcnt(0)
	v_mul_f64 v[103:104], v[101:102], v[111:112]
	v_fma_f64 v[103:104], v[99:100], v[97:98], -v[103:104]
	v_mul_f64 v[99:100], v[99:100], v[111:112]
	buffer_store_dword v109, off, s[20:23], 0 offset:80 ; 4-byte Folded Spill
	s_nop 0
	buffer_store_dword v110, off, s[20:23], 0 offset:84 ; 4-byte Folded Spill
	buffer_store_dword v111, off, s[20:23], 0 offset:88 ; 4-byte Folded Spill
	;; [unrolled: 1-line block ×3, first 2 shown]
	v_add_f64 v[105:106], v[105:106], -v[103:104]
	v_fma_f64 v[99:100], v[101:102], v[97:98], v[99:100]
	v_add_f64 v[107:108], v[107:108], -v[99:100]
.LBB61_28:
	s_or_b64 exec, exec, s[2:3]
	v_cmp_eq_u32_e32 vcc, 3, v0
	s_waitcnt vmcnt(0)
	s_barrier
	s_and_saveexec_b64 s[4:5], vcc
	s_cbranch_execz .LBB61_35
; %bb.29:
	buffer_load_dword v81, off, s[20:23], 0 offset:64 ; 4-byte Folded Reload
	buffer_load_dword v82, off, s[20:23], 0 offset:68 ; 4-byte Folded Reload
	;; [unrolled: 1-line block ×4, first 2 shown]
	s_waitcnt vmcnt(0)
	ds_write2_b64 v127, v[81:82], v[83:84] offset1:1
	buffer_load_dword v81, off, s[20:23], 0 offset:48 ; 4-byte Folded Reload
	buffer_load_dword v82, off, s[20:23], 0 offset:52 ; 4-byte Folded Reload
	buffer_load_dword v83, off, s[20:23], 0 offset:56 ; 4-byte Folded Reload
	buffer_load_dword v84, off, s[20:23], 0 offset:60 ; 4-byte Folded Reload
	s_waitcnt vmcnt(0)
	ds_write2_b64 v125, v[81:82], v[83:84] offset0:8 offset1:9
	buffer_load_dword v81, off, s[20:23], 0 offset:32 ; 4-byte Folded Reload
	buffer_load_dword v82, off, s[20:23], 0 offset:36 ; 4-byte Folded Reload
	buffer_load_dword v83, off, s[20:23], 0 offset:40 ; 4-byte Folded Reload
	buffer_load_dword v84, off, s[20:23], 0 offset:44 ; 4-byte Folded Reload
	s_waitcnt vmcnt(0)
	ds_write2_b64 v125, v[81:82], v[83:84] offset0:10 offset1:11
	;; [unrolled: 6-line block ×3, first 2 shown]
	buffer_load_dword v81, off, s[20:23], 0 ; 4-byte Folded Reload
	buffer_load_dword v82, off, s[20:23], 0 offset:4 ; 4-byte Folded Reload
	buffer_load_dword v83, off, s[20:23], 0 offset:8 ; 4-byte Folded Reload
	;; [unrolled: 1-line block ×3, first 2 shown]
	s_waitcnt vmcnt(0)
	ds_write2_b64 v125, v[81:82], v[83:84] offset0:14 offset1:15
	ds_write2_b64 v125, v[87:88], v[89:90] offset0:16 offset1:17
	;; [unrolled: 1-line block ×24, first 2 shown]
	ds_read2_b64 v[97:100], v127 offset1:1
	s_waitcnt lgkmcnt(0)
	v_cmp_neq_f64_e32 vcc, 0, v[97:98]
	v_cmp_neq_f64_e64 s[2:3], 0, v[99:100]
	s_or_b64 s[2:3], vcc, s[2:3]
	s_and_b64 exec, exec, s[2:3]
	s_cbranch_execz .LBB61_35
; %bb.30:
	v_cmp_ngt_f64_e64 s[2:3], |v[97:98]|, |v[99:100]|
                                        ; implicit-def: $vgpr101_vgpr102
	s_and_saveexec_b64 s[6:7], s[2:3]
	s_xor_b64 s[2:3], exec, s[6:7]
                                        ; implicit-def: $vgpr103_vgpr104
	s_cbranch_execz .LBB61_32
; %bb.31:
	v_div_scale_f64 v[101:102], s[6:7], v[99:100], v[99:100], v[97:98]
	v_rcp_f64_e32 v[103:104], v[101:102]
	v_fma_f64 v[109:110], -v[101:102], v[103:104], 1.0
	v_fma_f64 v[103:104], v[103:104], v[109:110], v[103:104]
	v_div_scale_f64 v[109:110], vcc, v[97:98], v[99:100], v[97:98]
	v_fma_f64 v[111:112], -v[101:102], v[103:104], 1.0
	v_fma_f64 v[103:104], v[103:104], v[111:112], v[103:104]
	v_mul_f64 v[111:112], v[109:110], v[103:104]
	v_fma_f64 v[101:102], -v[101:102], v[111:112], v[109:110]
	v_div_fmas_f64 v[101:102], v[101:102], v[103:104], v[111:112]
	v_div_fixup_f64 v[101:102], v[101:102], v[99:100], v[97:98]
	v_fma_f64 v[97:98], v[97:98], v[101:102], v[99:100]
	v_div_scale_f64 v[99:100], s[6:7], v[97:98], v[97:98], 1.0
	v_div_scale_f64 v[111:112], vcc, 1.0, v[97:98], 1.0
	v_rcp_f64_e32 v[103:104], v[99:100]
	v_fma_f64 v[109:110], -v[99:100], v[103:104], 1.0
	v_fma_f64 v[103:104], v[103:104], v[109:110], v[103:104]
	v_fma_f64 v[109:110], -v[99:100], v[103:104], 1.0
	v_fma_f64 v[103:104], v[103:104], v[109:110], v[103:104]
	v_mul_f64 v[109:110], v[111:112], v[103:104]
	v_fma_f64 v[99:100], -v[99:100], v[109:110], v[111:112]
	v_div_fmas_f64 v[99:100], v[99:100], v[103:104], v[109:110]
	v_div_fixup_f64 v[103:104], v[99:100], v[97:98], 1.0
                                        ; implicit-def: $vgpr97_vgpr98
	v_mul_f64 v[101:102], v[101:102], v[103:104]
	v_xor_b32_e32 v104, 0x80000000, v104
.LBB61_32:
	s_andn2_saveexec_b64 s[2:3], s[2:3]
	s_cbranch_execz .LBB61_34
; %bb.33:
	v_div_scale_f64 v[101:102], s[6:7], v[97:98], v[97:98], v[99:100]
	v_rcp_f64_e32 v[103:104], v[101:102]
	v_fma_f64 v[109:110], -v[101:102], v[103:104], 1.0
	v_fma_f64 v[103:104], v[103:104], v[109:110], v[103:104]
	v_div_scale_f64 v[109:110], vcc, v[99:100], v[97:98], v[99:100]
	v_fma_f64 v[111:112], -v[101:102], v[103:104], 1.0
	v_fma_f64 v[103:104], v[103:104], v[111:112], v[103:104]
	v_mul_f64 v[111:112], v[109:110], v[103:104]
	v_fma_f64 v[101:102], -v[101:102], v[111:112], v[109:110]
	v_div_fmas_f64 v[101:102], v[101:102], v[103:104], v[111:112]
	v_div_fixup_f64 v[103:104], v[101:102], v[97:98], v[99:100]
	v_fma_f64 v[97:98], v[99:100], v[103:104], v[97:98]
	v_div_scale_f64 v[99:100], s[6:7], v[97:98], v[97:98], 1.0
	v_div_scale_f64 v[111:112], vcc, 1.0, v[97:98], 1.0
	v_rcp_f64_e32 v[101:102], v[99:100]
	v_fma_f64 v[109:110], -v[99:100], v[101:102], 1.0
	v_fma_f64 v[101:102], v[101:102], v[109:110], v[101:102]
	v_fma_f64 v[109:110], -v[99:100], v[101:102], 1.0
	v_fma_f64 v[101:102], v[101:102], v[109:110], v[101:102]
	v_mul_f64 v[109:110], v[111:112], v[101:102]
	v_fma_f64 v[99:100], -v[99:100], v[109:110], v[111:112]
	v_div_fmas_f64 v[99:100], v[99:100], v[101:102], v[109:110]
	v_div_fixup_f64 v[101:102], v[99:100], v[97:98], 1.0
	v_mul_f64 v[103:104], v[103:104], -v[101:102]
.LBB61_34:
	s_or_b64 exec, exec, s[2:3]
	ds_write2_b64 v127, v[101:102], v[103:104] offset1:1
.LBB61_35:
	s_or_b64 exec, exec, s[4:5]
	s_waitcnt lgkmcnt(0)
	s_barrier
	ds_read2_b64 v[81:84], v127 offset1:1
	v_cmp_lt_u32_e32 vcc, 3, v0
	s_waitcnt lgkmcnt(0)
	buffer_store_dword v81, off, s[20:23], 0 offset:424 ; 4-byte Folded Spill
	s_nop 0
	buffer_store_dword v82, off, s[20:23], 0 offset:428 ; 4-byte Folded Spill
	buffer_store_dword v83, off, s[20:23], 0 offset:432 ; 4-byte Folded Spill
	;; [unrolled: 1-line block ×3, first 2 shown]
	s_and_saveexec_b64 s[2:3], vcc
	s_cbranch_execz .LBB61_37
; %bb.36:
	buffer_load_dword v109, off, s[20:23], 0 offset:64 ; 4-byte Folded Reload
	buffer_load_dword v110, off, s[20:23], 0 offset:68 ; 4-byte Folded Reload
	;; [unrolled: 1-line block ×8, first 2 shown]
	s_waitcnt vmcnt(2)
	v_mul_f64 v[99:100], v[81:82], v[111:112]
	s_waitcnt vmcnt(0)
	v_mul_f64 v[97:98], v[83:84], v[111:112]
	v_fma_f64 v[111:112], v[83:84], v[109:110], v[99:100]
	ds_read2_b64 v[99:102], v125 offset0:8 offset1:9
	v_fma_f64 v[97:98], v[81:82], v[109:110], -v[97:98]
	buffer_load_dword v81, off, s[20:23], 0 offset:48 ; 4-byte Folded Reload
	buffer_load_dword v82, off, s[20:23], 0 offset:52 ; 4-byte Folded Reload
	;; [unrolled: 1-line block ×4, first 2 shown]
	s_waitcnt lgkmcnt(0)
	v_mul_f64 v[103:104], v[101:102], v[111:112]
	v_mov_b32_e32 v110, v98
	v_mov_b32_e32 v109, v97
	v_fma_f64 v[103:104], v[99:100], v[97:98], -v[103:104]
	v_mul_f64 v[99:100], v[99:100], v[111:112]
	v_fma_f64 v[99:100], v[101:102], v[97:98], v[99:100]
	s_waitcnt vmcnt(2)
	v_add_f64 v[81:82], v[81:82], -v[103:104]
	s_waitcnt vmcnt(0)
	v_add_f64 v[83:84], v[83:84], -v[99:100]
	buffer_store_dword v81, off, s[20:23], 0 offset:48 ; 4-byte Folded Spill
	s_nop 0
	buffer_store_dword v82, off, s[20:23], 0 offset:52 ; 4-byte Folded Spill
	buffer_store_dword v83, off, s[20:23], 0 offset:56 ; 4-byte Folded Spill
	;; [unrolled: 1-line block ×3, first 2 shown]
	ds_read2_b64 v[99:102], v125 offset0:10 offset1:11
	buffer_load_dword v81, off, s[20:23], 0 offset:32 ; 4-byte Folded Reload
	buffer_load_dword v82, off, s[20:23], 0 offset:36 ; 4-byte Folded Reload
	;; [unrolled: 1-line block ×4, first 2 shown]
	s_waitcnt lgkmcnt(0)
	v_mul_f64 v[103:104], v[101:102], v[111:112]
	v_fma_f64 v[103:104], v[99:100], v[97:98], -v[103:104]
	v_mul_f64 v[99:100], v[99:100], v[111:112]
	v_fma_f64 v[99:100], v[101:102], v[97:98], v[99:100]
	s_waitcnt vmcnt(2)
	v_add_f64 v[81:82], v[81:82], -v[103:104]
	s_waitcnt vmcnt(0)
	v_add_f64 v[83:84], v[83:84], -v[99:100]
	buffer_store_dword v81, off, s[20:23], 0 offset:32 ; 4-byte Folded Spill
	s_nop 0
	buffer_store_dword v82, off, s[20:23], 0 offset:36 ; 4-byte Folded Spill
	buffer_store_dword v83, off, s[20:23], 0 offset:40 ; 4-byte Folded Spill
	;; [unrolled: 1-line block ×3, first 2 shown]
	ds_read2_b64 v[99:102], v125 offset0:12 offset1:13
	buffer_load_dword v81, off, s[20:23], 0 offset:16 ; 4-byte Folded Reload
	buffer_load_dword v82, off, s[20:23], 0 offset:20 ; 4-byte Folded Reload
	;; [unrolled: 1-line block ×4, first 2 shown]
	s_waitcnt lgkmcnt(0)
	v_mul_f64 v[103:104], v[101:102], v[111:112]
	v_fma_f64 v[103:104], v[99:100], v[97:98], -v[103:104]
	v_mul_f64 v[99:100], v[99:100], v[111:112]
	v_fma_f64 v[99:100], v[101:102], v[97:98], v[99:100]
	s_waitcnt vmcnt(2)
	v_add_f64 v[81:82], v[81:82], -v[103:104]
	s_waitcnt vmcnt(0)
	v_add_f64 v[83:84], v[83:84], -v[99:100]
	buffer_store_dword v81, off, s[20:23], 0 offset:16 ; 4-byte Folded Spill
	s_nop 0
	buffer_store_dword v82, off, s[20:23], 0 offset:20 ; 4-byte Folded Spill
	buffer_store_dword v83, off, s[20:23], 0 offset:24 ; 4-byte Folded Spill
	buffer_store_dword v84, off, s[20:23], 0 offset:28 ; 4-byte Folded Spill
	ds_read2_b64 v[99:102], v125 offset0:14 offset1:15
	buffer_load_dword v81, off, s[20:23], 0 ; 4-byte Folded Reload
	buffer_load_dword v82, off, s[20:23], 0 offset:4 ; 4-byte Folded Reload
	buffer_load_dword v83, off, s[20:23], 0 offset:8 ; 4-byte Folded Reload
	;; [unrolled: 1-line block ×3, first 2 shown]
	s_waitcnt lgkmcnt(0)
	v_mul_f64 v[103:104], v[101:102], v[111:112]
	v_fma_f64 v[103:104], v[99:100], v[97:98], -v[103:104]
	v_mul_f64 v[99:100], v[99:100], v[111:112]
	v_fma_f64 v[99:100], v[101:102], v[97:98], v[99:100]
	s_waitcnt vmcnt(2)
	v_add_f64 v[81:82], v[81:82], -v[103:104]
	s_waitcnt vmcnt(0)
	v_add_f64 v[83:84], v[83:84], -v[99:100]
	buffer_store_dword v81, off, s[20:23], 0 ; 4-byte Folded Spill
	s_nop 0
	buffer_store_dword v82, off, s[20:23], 0 offset:4 ; 4-byte Folded Spill
	buffer_store_dword v83, off, s[20:23], 0 offset:8 ; 4-byte Folded Spill
	;; [unrolled: 1-line block ×3, first 2 shown]
	ds_read2_b64 v[99:102], v125 offset0:16 offset1:17
	s_waitcnt lgkmcnt(0)
	v_mul_f64 v[103:104], v[101:102], v[111:112]
	v_fma_f64 v[103:104], v[99:100], v[97:98], -v[103:104]
	v_mul_f64 v[99:100], v[99:100], v[111:112]
	v_add_f64 v[87:88], v[87:88], -v[103:104]
	v_fma_f64 v[99:100], v[101:102], v[97:98], v[99:100]
	v_add_f64 v[89:90], v[89:90], -v[99:100]
	ds_read2_b64 v[99:102], v125 offset0:18 offset1:19
	s_waitcnt lgkmcnt(0)
	v_mul_f64 v[103:104], v[101:102], v[111:112]
	v_fma_f64 v[103:104], v[99:100], v[97:98], -v[103:104]
	v_mul_f64 v[99:100], v[99:100], v[111:112]
	v_add_f64 v[93:94], v[93:94], -v[103:104]
	v_fma_f64 v[99:100], v[101:102], v[97:98], v[99:100]
	v_add_f64 v[95:96], v[95:96], -v[99:100]
	;; [unrolled: 8-line block ×22, first 2 shown]
	ds_read2_b64 v[99:102], v125 offset0:60 offset1:61
	s_waitcnt lgkmcnt(0)
	v_mul_f64 v[103:104], v[101:102], v[111:112]
	v_fma_f64 v[103:104], v[99:100], v[97:98], -v[103:104]
	v_mul_f64 v[99:100], v[99:100], v[111:112]
	buffer_store_dword v109, off, s[20:23], 0 offset:64 ; 4-byte Folded Spill
	s_nop 0
	buffer_store_dword v110, off, s[20:23], 0 offset:68 ; 4-byte Folded Spill
	buffer_store_dword v111, off, s[20:23], 0 offset:72 ; 4-byte Folded Spill
	;; [unrolled: 1-line block ×3, first 2 shown]
	v_add_f64 v[105:106], v[105:106], -v[103:104]
	v_fma_f64 v[99:100], v[101:102], v[97:98], v[99:100]
	v_add_f64 v[107:108], v[107:108], -v[99:100]
.LBB61_37:
	s_or_b64 exec, exec, s[2:3]
	v_cmp_eq_u32_e32 vcc, 4, v0
	s_waitcnt vmcnt(0)
	s_barrier
	s_and_saveexec_b64 s[4:5], vcc
	s_cbranch_execz .LBB61_44
; %bb.38:
	buffer_load_dword v81, off, s[20:23], 0 offset:48 ; 4-byte Folded Reload
	buffer_load_dword v82, off, s[20:23], 0 offset:52 ; 4-byte Folded Reload
	;; [unrolled: 1-line block ×4, first 2 shown]
	s_waitcnt vmcnt(0)
	ds_write2_b64 v127, v[81:82], v[83:84] offset1:1
	buffer_load_dword v81, off, s[20:23], 0 offset:32 ; 4-byte Folded Reload
	buffer_load_dword v82, off, s[20:23], 0 offset:36 ; 4-byte Folded Reload
	;; [unrolled: 1-line block ×4, first 2 shown]
	s_waitcnt vmcnt(0)
	ds_write2_b64 v125, v[81:82], v[83:84] offset0:10 offset1:11
	buffer_load_dword v81, off, s[20:23], 0 offset:16 ; 4-byte Folded Reload
	buffer_load_dword v82, off, s[20:23], 0 offset:20 ; 4-byte Folded Reload
	;; [unrolled: 1-line block ×4, first 2 shown]
	s_waitcnt vmcnt(0)
	ds_write2_b64 v125, v[81:82], v[83:84] offset0:12 offset1:13
	buffer_load_dword v81, off, s[20:23], 0 ; 4-byte Folded Reload
	buffer_load_dword v82, off, s[20:23], 0 offset:4 ; 4-byte Folded Reload
	buffer_load_dword v83, off, s[20:23], 0 offset:8 ; 4-byte Folded Reload
	;; [unrolled: 1-line block ×3, first 2 shown]
	s_waitcnt vmcnt(0)
	ds_write2_b64 v125, v[81:82], v[83:84] offset0:14 offset1:15
	ds_write2_b64 v125, v[87:88], v[89:90] offset0:16 offset1:17
	ds_write2_b64 v125, v[93:94], v[95:96] offset0:18 offset1:19
	ds_write2_b64 v125, v[77:78], v[79:80] offset0:20 offset1:21
	ds_write2_b64 v125, v[73:74], v[75:76] offset0:22 offset1:23
	ds_write2_b64 v125, v[69:70], v[71:72] offset0:24 offset1:25
	ds_write2_b64 v125, v[65:66], v[67:68] offset0:26 offset1:27
	ds_write2_b64 v125, v[61:62], v[63:64] offset0:28 offset1:29
	ds_write2_b64 v125, v[57:58], v[59:60] offset0:30 offset1:31
	ds_write2_b64 v125, v[53:54], v[55:56] offset0:32 offset1:33
	ds_write2_b64 v125, v[49:50], v[51:52] offset0:34 offset1:35
	ds_write2_b64 v125, v[45:46], v[47:48] offset0:36 offset1:37
	ds_write2_b64 v125, v[41:42], v[43:44] offset0:38 offset1:39
	ds_write2_b64 v125, v[37:38], v[39:40] offset0:40 offset1:41
	ds_write2_b64 v125, v[33:34], v[35:36] offset0:42 offset1:43
	ds_write2_b64 v125, v[29:30], v[31:32] offset0:44 offset1:45
	ds_write2_b64 v125, v[25:26], v[27:28] offset0:46 offset1:47
	ds_write2_b64 v125, v[21:22], v[23:24] offset0:48 offset1:49
	ds_write2_b64 v125, v[17:18], v[19:20] offset0:50 offset1:51
	ds_write2_b64 v125, v[13:14], v[15:16] offset0:52 offset1:53
	ds_write2_b64 v125, v[9:10], v[11:12] offset0:54 offset1:55
	ds_write2_b64 v125, v[5:6], v[7:8] offset0:56 offset1:57
	ds_write2_b64 v125, v[1:2], v[3:4] offset0:58 offset1:59
	ds_write2_b64 v125, v[105:106], v[107:108] offset0:60 offset1:61
	ds_read2_b64 v[97:100], v127 offset1:1
	s_waitcnt lgkmcnt(0)
	v_cmp_neq_f64_e32 vcc, 0, v[97:98]
	v_cmp_neq_f64_e64 s[2:3], 0, v[99:100]
	s_or_b64 s[2:3], vcc, s[2:3]
	s_and_b64 exec, exec, s[2:3]
	s_cbranch_execz .LBB61_44
; %bb.39:
	v_cmp_ngt_f64_e64 s[2:3], |v[97:98]|, |v[99:100]|
                                        ; implicit-def: $vgpr101_vgpr102
	s_and_saveexec_b64 s[6:7], s[2:3]
	s_xor_b64 s[2:3], exec, s[6:7]
                                        ; implicit-def: $vgpr103_vgpr104
	s_cbranch_execz .LBB61_41
; %bb.40:
	v_div_scale_f64 v[101:102], s[6:7], v[99:100], v[99:100], v[97:98]
	v_rcp_f64_e32 v[103:104], v[101:102]
	v_fma_f64 v[109:110], -v[101:102], v[103:104], 1.0
	v_fma_f64 v[103:104], v[103:104], v[109:110], v[103:104]
	v_div_scale_f64 v[109:110], vcc, v[97:98], v[99:100], v[97:98]
	v_fma_f64 v[111:112], -v[101:102], v[103:104], 1.0
	v_fma_f64 v[103:104], v[103:104], v[111:112], v[103:104]
	v_mul_f64 v[111:112], v[109:110], v[103:104]
	v_fma_f64 v[101:102], -v[101:102], v[111:112], v[109:110]
	v_div_fmas_f64 v[101:102], v[101:102], v[103:104], v[111:112]
	v_div_fixup_f64 v[101:102], v[101:102], v[99:100], v[97:98]
	v_fma_f64 v[97:98], v[97:98], v[101:102], v[99:100]
	v_div_scale_f64 v[99:100], s[6:7], v[97:98], v[97:98], 1.0
	v_div_scale_f64 v[111:112], vcc, 1.0, v[97:98], 1.0
	v_rcp_f64_e32 v[103:104], v[99:100]
	v_fma_f64 v[109:110], -v[99:100], v[103:104], 1.0
	v_fma_f64 v[103:104], v[103:104], v[109:110], v[103:104]
	v_fma_f64 v[109:110], -v[99:100], v[103:104], 1.0
	v_fma_f64 v[103:104], v[103:104], v[109:110], v[103:104]
	v_mul_f64 v[109:110], v[111:112], v[103:104]
	v_fma_f64 v[99:100], -v[99:100], v[109:110], v[111:112]
	v_div_fmas_f64 v[99:100], v[99:100], v[103:104], v[109:110]
	v_div_fixup_f64 v[103:104], v[99:100], v[97:98], 1.0
                                        ; implicit-def: $vgpr97_vgpr98
	v_mul_f64 v[101:102], v[101:102], v[103:104]
	v_xor_b32_e32 v104, 0x80000000, v104
.LBB61_41:
	s_andn2_saveexec_b64 s[2:3], s[2:3]
	s_cbranch_execz .LBB61_43
; %bb.42:
	v_div_scale_f64 v[101:102], s[6:7], v[97:98], v[97:98], v[99:100]
	v_rcp_f64_e32 v[103:104], v[101:102]
	v_fma_f64 v[109:110], -v[101:102], v[103:104], 1.0
	v_fma_f64 v[103:104], v[103:104], v[109:110], v[103:104]
	v_div_scale_f64 v[109:110], vcc, v[99:100], v[97:98], v[99:100]
	v_fma_f64 v[111:112], -v[101:102], v[103:104], 1.0
	v_fma_f64 v[103:104], v[103:104], v[111:112], v[103:104]
	v_mul_f64 v[111:112], v[109:110], v[103:104]
	v_fma_f64 v[101:102], -v[101:102], v[111:112], v[109:110]
	v_div_fmas_f64 v[101:102], v[101:102], v[103:104], v[111:112]
	v_div_fixup_f64 v[103:104], v[101:102], v[97:98], v[99:100]
	v_fma_f64 v[97:98], v[99:100], v[103:104], v[97:98]
	v_div_scale_f64 v[99:100], s[6:7], v[97:98], v[97:98], 1.0
	v_div_scale_f64 v[111:112], vcc, 1.0, v[97:98], 1.0
	v_rcp_f64_e32 v[101:102], v[99:100]
	v_fma_f64 v[109:110], -v[99:100], v[101:102], 1.0
	v_fma_f64 v[101:102], v[101:102], v[109:110], v[101:102]
	v_fma_f64 v[109:110], -v[99:100], v[101:102], 1.0
	v_fma_f64 v[101:102], v[101:102], v[109:110], v[101:102]
	v_mul_f64 v[109:110], v[111:112], v[101:102]
	v_fma_f64 v[99:100], -v[99:100], v[109:110], v[111:112]
	v_div_fmas_f64 v[99:100], v[99:100], v[101:102], v[109:110]
	v_div_fixup_f64 v[101:102], v[99:100], v[97:98], 1.0
	v_mul_f64 v[103:104], v[103:104], -v[101:102]
.LBB61_43:
	s_or_b64 exec, exec, s[2:3]
	ds_write2_b64 v127, v[101:102], v[103:104] offset1:1
.LBB61_44:
	s_or_b64 exec, exec, s[4:5]
	s_waitcnt lgkmcnt(0)
	s_barrier
	ds_read2_b64 v[81:84], v127 offset1:1
	v_cmp_lt_u32_e32 vcc, 4, v0
	s_waitcnt lgkmcnt(0)
	buffer_store_dword v81, off, s[20:23], 0 offset:440 ; 4-byte Folded Spill
	s_nop 0
	buffer_store_dword v82, off, s[20:23], 0 offset:444 ; 4-byte Folded Spill
	buffer_store_dword v83, off, s[20:23], 0 offset:448 ; 4-byte Folded Spill
	;; [unrolled: 1-line block ×3, first 2 shown]
	s_and_saveexec_b64 s[2:3], vcc
	s_cbranch_execz .LBB61_46
; %bb.45:
	buffer_load_dword v109, off, s[20:23], 0 offset:48 ; 4-byte Folded Reload
	buffer_load_dword v110, off, s[20:23], 0 offset:52 ; 4-byte Folded Reload
	;; [unrolled: 1-line block ×8, first 2 shown]
	s_waitcnt vmcnt(2)
	v_mul_f64 v[99:100], v[81:82], v[111:112]
	s_waitcnt vmcnt(0)
	v_mul_f64 v[97:98], v[83:84], v[111:112]
	v_fma_f64 v[111:112], v[83:84], v[109:110], v[99:100]
	ds_read2_b64 v[99:102], v125 offset0:10 offset1:11
	v_fma_f64 v[97:98], v[81:82], v[109:110], -v[97:98]
	buffer_load_dword v81, off, s[20:23], 0 offset:32 ; 4-byte Folded Reload
	buffer_load_dword v82, off, s[20:23], 0 offset:36 ; 4-byte Folded Reload
	;; [unrolled: 1-line block ×4, first 2 shown]
	s_waitcnt lgkmcnt(0)
	v_mul_f64 v[103:104], v[101:102], v[111:112]
	v_mov_b32_e32 v110, v98
	v_mov_b32_e32 v109, v97
	v_fma_f64 v[103:104], v[99:100], v[97:98], -v[103:104]
	v_mul_f64 v[99:100], v[99:100], v[111:112]
	v_fma_f64 v[99:100], v[101:102], v[97:98], v[99:100]
	s_waitcnt vmcnt(2)
	v_add_f64 v[81:82], v[81:82], -v[103:104]
	s_waitcnt vmcnt(0)
	v_add_f64 v[83:84], v[83:84], -v[99:100]
	buffer_store_dword v81, off, s[20:23], 0 offset:32 ; 4-byte Folded Spill
	s_nop 0
	buffer_store_dword v82, off, s[20:23], 0 offset:36 ; 4-byte Folded Spill
	buffer_store_dword v83, off, s[20:23], 0 offset:40 ; 4-byte Folded Spill
	buffer_store_dword v84, off, s[20:23], 0 offset:44 ; 4-byte Folded Spill
	ds_read2_b64 v[99:102], v125 offset0:12 offset1:13
	buffer_load_dword v81, off, s[20:23], 0 offset:16 ; 4-byte Folded Reload
	buffer_load_dword v82, off, s[20:23], 0 offset:20 ; 4-byte Folded Reload
	;; [unrolled: 1-line block ×4, first 2 shown]
	s_waitcnt lgkmcnt(0)
	v_mul_f64 v[103:104], v[101:102], v[111:112]
	v_fma_f64 v[103:104], v[99:100], v[97:98], -v[103:104]
	v_mul_f64 v[99:100], v[99:100], v[111:112]
	v_fma_f64 v[99:100], v[101:102], v[97:98], v[99:100]
	s_waitcnt vmcnt(2)
	v_add_f64 v[81:82], v[81:82], -v[103:104]
	s_waitcnt vmcnt(0)
	v_add_f64 v[83:84], v[83:84], -v[99:100]
	buffer_store_dword v81, off, s[20:23], 0 offset:16 ; 4-byte Folded Spill
	s_nop 0
	buffer_store_dword v82, off, s[20:23], 0 offset:20 ; 4-byte Folded Spill
	buffer_store_dword v83, off, s[20:23], 0 offset:24 ; 4-byte Folded Spill
	;; [unrolled: 1-line block ×3, first 2 shown]
	ds_read2_b64 v[99:102], v125 offset0:14 offset1:15
	buffer_load_dword v81, off, s[20:23], 0 ; 4-byte Folded Reload
	buffer_load_dword v82, off, s[20:23], 0 offset:4 ; 4-byte Folded Reload
	buffer_load_dword v83, off, s[20:23], 0 offset:8 ; 4-byte Folded Reload
	;; [unrolled: 1-line block ×3, first 2 shown]
	s_waitcnt lgkmcnt(0)
	v_mul_f64 v[103:104], v[101:102], v[111:112]
	v_fma_f64 v[103:104], v[99:100], v[97:98], -v[103:104]
	v_mul_f64 v[99:100], v[99:100], v[111:112]
	v_fma_f64 v[99:100], v[101:102], v[97:98], v[99:100]
	s_waitcnt vmcnt(2)
	v_add_f64 v[81:82], v[81:82], -v[103:104]
	s_waitcnt vmcnt(0)
	v_add_f64 v[83:84], v[83:84], -v[99:100]
	buffer_store_dword v81, off, s[20:23], 0 ; 4-byte Folded Spill
	s_nop 0
	buffer_store_dword v82, off, s[20:23], 0 offset:4 ; 4-byte Folded Spill
	buffer_store_dword v83, off, s[20:23], 0 offset:8 ; 4-byte Folded Spill
	;; [unrolled: 1-line block ×3, first 2 shown]
	ds_read2_b64 v[99:102], v125 offset0:16 offset1:17
	s_waitcnt lgkmcnt(0)
	v_mul_f64 v[103:104], v[101:102], v[111:112]
	v_fma_f64 v[103:104], v[99:100], v[97:98], -v[103:104]
	v_mul_f64 v[99:100], v[99:100], v[111:112]
	v_add_f64 v[87:88], v[87:88], -v[103:104]
	v_fma_f64 v[99:100], v[101:102], v[97:98], v[99:100]
	v_add_f64 v[89:90], v[89:90], -v[99:100]
	ds_read2_b64 v[99:102], v125 offset0:18 offset1:19
	s_waitcnt lgkmcnt(0)
	v_mul_f64 v[103:104], v[101:102], v[111:112]
	v_fma_f64 v[103:104], v[99:100], v[97:98], -v[103:104]
	v_mul_f64 v[99:100], v[99:100], v[111:112]
	v_add_f64 v[93:94], v[93:94], -v[103:104]
	v_fma_f64 v[99:100], v[101:102], v[97:98], v[99:100]
	v_add_f64 v[95:96], v[95:96], -v[99:100]
	;; [unrolled: 8-line block ×22, first 2 shown]
	ds_read2_b64 v[99:102], v125 offset0:60 offset1:61
	s_waitcnt lgkmcnt(0)
	v_mul_f64 v[103:104], v[101:102], v[111:112]
	v_fma_f64 v[103:104], v[99:100], v[97:98], -v[103:104]
	v_mul_f64 v[99:100], v[99:100], v[111:112]
	buffer_store_dword v109, off, s[20:23], 0 offset:48 ; 4-byte Folded Spill
	s_nop 0
	buffer_store_dword v110, off, s[20:23], 0 offset:52 ; 4-byte Folded Spill
	buffer_store_dword v111, off, s[20:23], 0 offset:56 ; 4-byte Folded Spill
	;; [unrolled: 1-line block ×3, first 2 shown]
	v_add_f64 v[105:106], v[105:106], -v[103:104]
	v_fma_f64 v[99:100], v[101:102], v[97:98], v[99:100]
	v_add_f64 v[107:108], v[107:108], -v[99:100]
.LBB61_46:
	s_or_b64 exec, exec, s[2:3]
	v_cmp_eq_u32_e32 vcc, 5, v0
	s_waitcnt vmcnt(0)
	s_barrier
	s_and_saveexec_b64 s[4:5], vcc
	s_cbranch_execz .LBB61_53
; %bb.47:
	buffer_load_dword v81, off, s[20:23], 0 offset:32 ; 4-byte Folded Reload
	buffer_load_dword v82, off, s[20:23], 0 offset:36 ; 4-byte Folded Reload
	;; [unrolled: 1-line block ×4, first 2 shown]
	s_waitcnt vmcnt(0)
	ds_write2_b64 v127, v[81:82], v[83:84] offset1:1
	buffer_load_dword v81, off, s[20:23], 0 offset:16 ; 4-byte Folded Reload
	buffer_load_dword v82, off, s[20:23], 0 offset:20 ; 4-byte Folded Reload
	;; [unrolled: 1-line block ×4, first 2 shown]
	s_waitcnt vmcnt(0)
	ds_write2_b64 v125, v[81:82], v[83:84] offset0:12 offset1:13
	buffer_load_dword v81, off, s[20:23], 0 ; 4-byte Folded Reload
	buffer_load_dword v82, off, s[20:23], 0 offset:4 ; 4-byte Folded Reload
	buffer_load_dword v83, off, s[20:23], 0 offset:8 ; 4-byte Folded Reload
	;; [unrolled: 1-line block ×3, first 2 shown]
	s_waitcnt vmcnt(0)
	ds_write2_b64 v125, v[81:82], v[83:84] offset0:14 offset1:15
	ds_write2_b64 v125, v[87:88], v[89:90] offset0:16 offset1:17
	;; [unrolled: 1-line block ×24, first 2 shown]
	ds_read2_b64 v[97:100], v127 offset1:1
	s_waitcnt lgkmcnt(0)
	v_cmp_neq_f64_e32 vcc, 0, v[97:98]
	v_cmp_neq_f64_e64 s[2:3], 0, v[99:100]
	s_or_b64 s[2:3], vcc, s[2:3]
	s_and_b64 exec, exec, s[2:3]
	s_cbranch_execz .LBB61_53
; %bb.48:
	v_cmp_ngt_f64_e64 s[2:3], |v[97:98]|, |v[99:100]|
                                        ; implicit-def: $vgpr101_vgpr102
	s_and_saveexec_b64 s[6:7], s[2:3]
	s_xor_b64 s[2:3], exec, s[6:7]
                                        ; implicit-def: $vgpr103_vgpr104
	s_cbranch_execz .LBB61_50
; %bb.49:
	v_div_scale_f64 v[101:102], s[6:7], v[99:100], v[99:100], v[97:98]
	v_rcp_f64_e32 v[103:104], v[101:102]
	v_fma_f64 v[109:110], -v[101:102], v[103:104], 1.0
	v_fma_f64 v[103:104], v[103:104], v[109:110], v[103:104]
	v_div_scale_f64 v[109:110], vcc, v[97:98], v[99:100], v[97:98]
	v_fma_f64 v[111:112], -v[101:102], v[103:104], 1.0
	v_fma_f64 v[103:104], v[103:104], v[111:112], v[103:104]
	v_mul_f64 v[111:112], v[109:110], v[103:104]
	v_fma_f64 v[101:102], -v[101:102], v[111:112], v[109:110]
	v_div_fmas_f64 v[101:102], v[101:102], v[103:104], v[111:112]
	v_div_fixup_f64 v[101:102], v[101:102], v[99:100], v[97:98]
	v_fma_f64 v[97:98], v[97:98], v[101:102], v[99:100]
	v_div_scale_f64 v[99:100], s[6:7], v[97:98], v[97:98], 1.0
	v_div_scale_f64 v[111:112], vcc, 1.0, v[97:98], 1.0
	v_rcp_f64_e32 v[103:104], v[99:100]
	v_fma_f64 v[109:110], -v[99:100], v[103:104], 1.0
	v_fma_f64 v[103:104], v[103:104], v[109:110], v[103:104]
	v_fma_f64 v[109:110], -v[99:100], v[103:104], 1.0
	v_fma_f64 v[103:104], v[103:104], v[109:110], v[103:104]
	v_mul_f64 v[109:110], v[111:112], v[103:104]
	v_fma_f64 v[99:100], -v[99:100], v[109:110], v[111:112]
	v_div_fmas_f64 v[99:100], v[99:100], v[103:104], v[109:110]
	v_div_fixup_f64 v[103:104], v[99:100], v[97:98], 1.0
                                        ; implicit-def: $vgpr97_vgpr98
	v_mul_f64 v[101:102], v[101:102], v[103:104]
	v_xor_b32_e32 v104, 0x80000000, v104
.LBB61_50:
	s_andn2_saveexec_b64 s[2:3], s[2:3]
	s_cbranch_execz .LBB61_52
; %bb.51:
	v_div_scale_f64 v[101:102], s[6:7], v[97:98], v[97:98], v[99:100]
	v_rcp_f64_e32 v[103:104], v[101:102]
	v_fma_f64 v[109:110], -v[101:102], v[103:104], 1.0
	v_fma_f64 v[103:104], v[103:104], v[109:110], v[103:104]
	v_div_scale_f64 v[109:110], vcc, v[99:100], v[97:98], v[99:100]
	v_fma_f64 v[111:112], -v[101:102], v[103:104], 1.0
	v_fma_f64 v[103:104], v[103:104], v[111:112], v[103:104]
	v_mul_f64 v[111:112], v[109:110], v[103:104]
	v_fma_f64 v[101:102], -v[101:102], v[111:112], v[109:110]
	v_div_fmas_f64 v[101:102], v[101:102], v[103:104], v[111:112]
	v_div_fixup_f64 v[103:104], v[101:102], v[97:98], v[99:100]
	v_fma_f64 v[97:98], v[99:100], v[103:104], v[97:98]
	v_div_scale_f64 v[99:100], s[6:7], v[97:98], v[97:98], 1.0
	v_div_scale_f64 v[111:112], vcc, 1.0, v[97:98], 1.0
	v_rcp_f64_e32 v[101:102], v[99:100]
	v_fma_f64 v[109:110], -v[99:100], v[101:102], 1.0
	v_fma_f64 v[101:102], v[101:102], v[109:110], v[101:102]
	v_fma_f64 v[109:110], -v[99:100], v[101:102], 1.0
	v_fma_f64 v[101:102], v[101:102], v[109:110], v[101:102]
	v_mul_f64 v[109:110], v[111:112], v[101:102]
	v_fma_f64 v[99:100], -v[99:100], v[109:110], v[111:112]
	v_div_fmas_f64 v[99:100], v[99:100], v[101:102], v[109:110]
	v_div_fixup_f64 v[101:102], v[99:100], v[97:98], 1.0
	v_mul_f64 v[103:104], v[103:104], -v[101:102]
.LBB61_52:
	s_or_b64 exec, exec, s[2:3]
	ds_write2_b64 v127, v[101:102], v[103:104] offset1:1
.LBB61_53:
	s_or_b64 exec, exec, s[4:5]
	s_waitcnt lgkmcnt(0)
	s_barrier
	ds_read2_b64 v[81:84], v127 offset1:1
	v_cmp_lt_u32_e32 vcc, 5, v0
	s_waitcnt lgkmcnt(0)
	buffer_store_dword v81, off, s[20:23], 0 offset:456 ; 4-byte Folded Spill
	s_nop 0
	buffer_store_dword v82, off, s[20:23], 0 offset:460 ; 4-byte Folded Spill
	buffer_store_dword v83, off, s[20:23], 0 offset:464 ; 4-byte Folded Spill
	;; [unrolled: 1-line block ×3, first 2 shown]
	s_and_saveexec_b64 s[2:3], vcc
	s_cbranch_execz .LBB61_55
; %bb.54:
	buffer_load_dword v109, off, s[20:23], 0 offset:32 ; 4-byte Folded Reload
	buffer_load_dword v110, off, s[20:23], 0 offset:36 ; 4-byte Folded Reload
	;; [unrolled: 1-line block ×8, first 2 shown]
	s_waitcnt vmcnt(2)
	v_mul_f64 v[99:100], v[81:82], v[111:112]
	s_waitcnt vmcnt(0)
	v_mul_f64 v[97:98], v[83:84], v[111:112]
	v_fma_f64 v[111:112], v[83:84], v[109:110], v[99:100]
	ds_read2_b64 v[99:102], v125 offset0:12 offset1:13
	v_fma_f64 v[97:98], v[81:82], v[109:110], -v[97:98]
	buffer_load_dword v81, off, s[20:23], 0 offset:16 ; 4-byte Folded Reload
	buffer_load_dword v82, off, s[20:23], 0 offset:20 ; 4-byte Folded Reload
	;; [unrolled: 1-line block ×4, first 2 shown]
	s_waitcnt lgkmcnt(0)
	v_mul_f64 v[103:104], v[101:102], v[111:112]
	v_mov_b32_e32 v110, v98
	v_mov_b32_e32 v109, v97
	v_fma_f64 v[103:104], v[99:100], v[97:98], -v[103:104]
	v_mul_f64 v[99:100], v[99:100], v[111:112]
	v_fma_f64 v[99:100], v[101:102], v[97:98], v[99:100]
	s_waitcnt vmcnt(2)
	v_add_f64 v[81:82], v[81:82], -v[103:104]
	s_waitcnt vmcnt(0)
	v_add_f64 v[83:84], v[83:84], -v[99:100]
	buffer_store_dword v81, off, s[20:23], 0 offset:16 ; 4-byte Folded Spill
	s_nop 0
	buffer_store_dword v82, off, s[20:23], 0 offset:20 ; 4-byte Folded Spill
	buffer_store_dword v83, off, s[20:23], 0 offset:24 ; 4-byte Folded Spill
	buffer_store_dword v84, off, s[20:23], 0 offset:28 ; 4-byte Folded Spill
	ds_read2_b64 v[99:102], v125 offset0:14 offset1:15
	buffer_load_dword v81, off, s[20:23], 0 ; 4-byte Folded Reload
	buffer_load_dword v82, off, s[20:23], 0 offset:4 ; 4-byte Folded Reload
	buffer_load_dword v83, off, s[20:23], 0 offset:8 ; 4-byte Folded Reload
	;; [unrolled: 1-line block ×3, first 2 shown]
	s_waitcnt lgkmcnt(0)
	v_mul_f64 v[103:104], v[101:102], v[111:112]
	v_fma_f64 v[103:104], v[99:100], v[97:98], -v[103:104]
	v_mul_f64 v[99:100], v[99:100], v[111:112]
	v_fma_f64 v[99:100], v[101:102], v[97:98], v[99:100]
	s_waitcnt vmcnt(2)
	v_add_f64 v[81:82], v[81:82], -v[103:104]
	s_waitcnt vmcnt(0)
	v_add_f64 v[83:84], v[83:84], -v[99:100]
	buffer_store_dword v81, off, s[20:23], 0 ; 4-byte Folded Spill
	s_nop 0
	buffer_store_dword v82, off, s[20:23], 0 offset:4 ; 4-byte Folded Spill
	buffer_store_dword v83, off, s[20:23], 0 offset:8 ; 4-byte Folded Spill
	;; [unrolled: 1-line block ×3, first 2 shown]
	ds_read2_b64 v[99:102], v125 offset0:16 offset1:17
	s_waitcnt lgkmcnt(0)
	v_mul_f64 v[103:104], v[101:102], v[111:112]
	v_fma_f64 v[103:104], v[99:100], v[97:98], -v[103:104]
	v_mul_f64 v[99:100], v[99:100], v[111:112]
	v_add_f64 v[87:88], v[87:88], -v[103:104]
	v_fma_f64 v[99:100], v[101:102], v[97:98], v[99:100]
	v_add_f64 v[89:90], v[89:90], -v[99:100]
	ds_read2_b64 v[99:102], v125 offset0:18 offset1:19
	s_waitcnt lgkmcnt(0)
	v_mul_f64 v[103:104], v[101:102], v[111:112]
	v_fma_f64 v[103:104], v[99:100], v[97:98], -v[103:104]
	v_mul_f64 v[99:100], v[99:100], v[111:112]
	v_add_f64 v[93:94], v[93:94], -v[103:104]
	v_fma_f64 v[99:100], v[101:102], v[97:98], v[99:100]
	v_add_f64 v[95:96], v[95:96], -v[99:100]
	;; [unrolled: 8-line block ×22, first 2 shown]
	ds_read2_b64 v[99:102], v125 offset0:60 offset1:61
	s_waitcnt lgkmcnt(0)
	v_mul_f64 v[103:104], v[101:102], v[111:112]
	v_fma_f64 v[103:104], v[99:100], v[97:98], -v[103:104]
	v_mul_f64 v[99:100], v[99:100], v[111:112]
	buffer_store_dword v109, off, s[20:23], 0 offset:32 ; 4-byte Folded Spill
	s_nop 0
	buffer_store_dword v110, off, s[20:23], 0 offset:36 ; 4-byte Folded Spill
	buffer_store_dword v111, off, s[20:23], 0 offset:40 ; 4-byte Folded Spill
	;; [unrolled: 1-line block ×3, first 2 shown]
	v_add_f64 v[105:106], v[105:106], -v[103:104]
	v_fma_f64 v[99:100], v[101:102], v[97:98], v[99:100]
	v_add_f64 v[107:108], v[107:108], -v[99:100]
.LBB61_55:
	s_or_b64 exec, exec, s[2:3]
	v_cmp_eq_u32_e32 vcc, 6, v0
	s_waitcnt vmcnt(0)
	s_barrier
	s_and_saveexec_b64 s[4:5], vcc
	s_cbranch_execz .LBB61_62
; %bb.56:
	buffer_load_dword v81, off, s[20:23], 0 offset:16 ; 4-byte Folded Reload
	buffer_load_dword v82, off, s[20:23], 0 offset:20 ; 4-byte Folded Reload
	buffer_load_dword v83, off, s[20:23], 0 offset:24 ; 4-byte Folded Reload
	buffer_load_dword v84, off, s[20:23], 0 offset:28 ; 4-byte Folded Reload
	s_waitcnt vmcnt(0)
	ds_write2_b64 v127, v[81:82], v[83:84] offset1:1
	buffer_load_dword v81, off, s[20:23], 0 ; 4-byte Folded Reload
	buffer_load_dword v82, off, s[20:23], 0 offset:4 ; 4-byte Folded Reload
	buffer_load_dword v83, off, s[20:23], 0 offset:8 ; 4-byte Folded Reload
	;; [unrolled: 1-line block ×3, first 2 shown]
	s_waitcnt vmcnt(0)
	ds_write2_b64 v125, v[81:82], v[83:84] offset0:14 offset1:15
	ds_write2_b64 v125, v[87:88], v[89:90] offset0:16 offset1:17
	;; [unrolled: 1-line block ×24, first 2 shown]
	ds_read2_b64 v[97:100], v127 offset1:1
	s_waitcnt lgkmcnt(0)
	v_cmp_neq_f64_e32 vcc, 0, v[97:98]
	v_cmp_neq_f64_e64 s[2:3], 0, v[99:100]
	s_or_b64 s[2:3], vcc, s[2:3]
	s_and_b64 exec, exec, s[2:3]
	s_cbranch_execz .LBB61_62
; %bb.57:
	v_cmp_ngt_f64_e64 s[2:3], |v[97:98]|, |v[99:100]|
                                        ; implicit-def: $vgpr101_vgpr102
	s_and_saveexec_b64 s[6:7], s[2:3]
	s_xor_b64 s[2:3], exec, s[6:7]
                                        ; implicit-def: $vgpr103_vgpr104
	s_cbranch_execz .LBB61_59
; %bb.58:
	v_div_scale_f64 v[101:102], s[6:7], v[99:100], v[99:100], v[97:98]
	v_rcp_f64_e32 v[103:104], v[101:102]
	v_fma_f64 v[109:110], -v[101:102], v[103:104], 1.0
	v_fma_f64 v[103:104], v[103:104], v[109:110], v[103:104]
	v_div_scale_f64 v[109:110], vcc, v[97:98], v[99:100], v[97:98]
	v_fma_f64 v[111:112], -v[101:102], v[103:104], 1.0
	v_fma_f64 v[103:104], v[103:104], v[111:112], v[103:104]
	v_mul_f64 v[111:112], v[109:110], v[103:104]
	v_fma_f64 v[101:102], -v[101:102], v[111:112], v[109:110]
	v_div_fmas_f64 v[101:102], v[101:102], v[103:104], v[111:112]
	v_div_fixup_f64 v[101:102], v[101:102], v[99:100], v[97:98]
	v_fma_f64 v[97:98], v[97:98], v[101:102], v[99:100]
	v_div_scale_f64 v[99:100], s[6:7], v[97:98], v[97:98], 1.0
	v_div_scale_f64 v[111:112], vcc, 1.0, v[97:98], 1.0
	v_rcp_f64_e32 v[103:104], v[99:100]
	v_fma_f64 v[109:110], -v[99:100], v[103:104], 1.0
	v_fma_f64 v[103:104], v[103:104], v[109:110], v[103:104]
	v_fma_f64 v[109:110], -v[99:100], v[103:104], 1.0
	v_fma_f64 v[103:104], v[103:104], v[109:110], v[103:104]
	v_mul_f64 v[109:110], v[111:112], v[103:104]
	v_fma_f64 v[99:100], -v[99:100], v[109:110], v[111:112]
	v_div_fmas_f64 v[99:100], v[99:100], v[103:104], v[109:110]
	v_div_fixup_f64 v[103:104], v[99:100], v[97:98], 1.0
                                        ; implicit-def: $vgpr97_vgpr98
	v_mul_f64 v[101:102], v[101:102], v[103:104]
	v_xor_b32_e32 v104, 0x80000000, v104
.LBB61_59:
	s_andn2_saveexec_b64 s[2:3], s[2:3]
	s_cbranch_execz .LBB61_61
; %bb.60:
	v_div_scale_f64 v[101:102], s[6:7], v[97:98], v[97:98], v[99:100]
	v_rcp_f64_e32 v[103:104], v[101:102]
	v_fma_f64 v[109:110], -v[101:102], v[103:104], 1.0
	v_fma_f64 v[103:104], v[103:104], v[109:110], v[103:104]
	v_div_scale_f64 v[109:110], vcc, v[99:100], v[97:98], v[99:100]
	v_fma_f64 v[111:112], -v[101:102], v[103:104], 1.0
	v_fma_f64 v[103:104], v[103:104], v[111:112], v[103:104]
	v_mul_f64 v[111:112], v[109:110], v[103:104]
	v_fma_f64 v[101:102], -v[101:102], v[111:112], v[109:110]
	v_div_fmas_f64 v[101:102], v[101:102], v[103:104], v[111:112]
	v_div_fixup_f64 v[103:104], v[101:102], v[97:98], v[99:100]
	v_fma_f64 v[97:98], v[99:100], v[103:104], v[97:98]
	v_div_scale_f64 v[99:100], s[6:7], v[97:98], v[97:98], 1.0
	v_div_scale_f64 v[111:112], vcc, 1.0, v[97:98], 1.0
	v_rcp_f64_e32 v[101:102], v[99:100]
	v_fma_f64 v[109:110], -v[99:100], v[101:102], 1.0
	v_fma_f64 v[101:102], v[101:102], v[109:110], v[101:102]
	v_fma_f64 v[109:110], -v[99:100], v[101:102], 1.0
	v_fma_f64 v[101:102], v[101:102], v[109:110], v[101:102]
	v_mul_f64 v[109:110], v[111:112], v[101:102]
	v_fma_f64 v[99:100], -v[99:100], v[109:110], v[111:112]
	v_div_fmas_f64 v[99:100], v[99:100], v[101:102], v[109:110]
	v_div_fixup_f64 v[101:102], v[99:100], v[97:98], 1.0
	v_mul_f64 v[103:104], v[103:104], -v[101:102]
.LBB61_61:
	s_or_b64 exec, exec, s[2:3]
	ds_write2_b64 v127, v[101:102], v[103:104] offset1:1
.LBB61_62:
	s_or_b64 exec, exec, s[4:5]
	s_waitcnt lgkmcnt(0)
	s_barrier
	ds_read2_b64 v[81:84], v127 offset1:1
	v_cmp_lt_u32_e32 vcc, 6, v0
	s_waitcnt lgkmcnt(0)
	buffer_store_dword v81, off, s[20:23], 0 offset:472 ; 4-byte Folded Spill
	s_nop 0
	buffer_store_dword v82, off, s[20:23], 0 offset:476 ; 4-byte Folded Spill
	buffer_store_dword v83, off, s[20:23], 0 offset:480 ; 4-byte Folded Spill
	;; [unrolled: 1-line block ×3, first 2 shown]
	s_and_saveexec_b64 s[2:3], vcc
	s_cbranch_execz .LBB61_64
; %bb.63:
	buffer_load_dword v109, off, s[20:23], 0 offset:16 ; 4-byte Folded Reload
	buffer_load_dword v110, off, s[20:23], 0 offset:20 ; 4-byte Folded Reload
	;; [unrolled: 1-line block ×8, first 2 shown]
	v_mov_b32_e32 v81, v93
	v_mov_b32_e32 v82, v94
	;; [unrolled: 1-line block ×4, first 2 shown]
	s_waitcnt vmcnt(2)
	v_mul_f64 v[95:96], v[99:100], v[111:112]
	s_waitcnt vmcnt(0)
	v_mul_f64 v[97:98], v[101:102], v[111:112]
	v_fma_f64 v[111:112], v[101:102], v[109:110], v[95:96]
	v_fma_f64 v[97:98], v[99:100], v[109:110], -v[97:98]
	ds_read2_b64 v[99:102], v125 offset0:14 offset1:15
	s_waitcnt lgkmcnt(0)
	v_mul_f64 v[93:94], v[101:102], v[111:112]
	v_mov_b32_e32 v110, v98
	v_mov_b32_e32 v109, v97
	v_fma_f64 v[93:94], v[99:100], v[97:98], -v[93:94]
	v_mul_f64 v[99:100], v[99:100], v[111:112]
	v_fma_f64 v[99:100], v[101:102], v[97:98], v[99:100]
	buffer_load_dword v101, off, s[20:23], 0 ; 4-byte Folded Reload
	buffer_load_dword v102, off, s[20:23], 0 offset:4 ; 4-byte Folded Reload
	buffer_load_dword v103, off, s[20:23], 0 offset:8 ; 4-byte Folded Reload
	;; [unrolled: 1-line block ×3, first 2 shown]
	s_waitcnt vmcnt(2)
	v_add_f64 v[101:102], v[101:102], -v[93:94]
	s_waitcnt vmcnt(0)
	v_add_f64 v[103:104], v[103:104], -v[99:100]
	buffer_store_dword v101, off, s[20:23], 0 ; 4-byte Folded Spill
	s_nop 0
	buffer_store_dword v102, off, s[20:23], 0 offset:4 ; 4-byte Folded Spill
	buffer_store_dword v103, off, s[20:23], 0 offset:8 ; 4-byte Folded Spill
	;; [unrolled: 1-line block ×3, first 2 shown]
	ds_read2_b64 v[99:102], v125 offset0:16 offset1:17
	s_waitcnt lgkmcnt(0)
	v_mul_f64 v[93:94], v[101:102], v[111:112]
	v_fma_f64 v[93:94], v[99:100], v[97:98], -v[93:94]
	v_mul_f64 v[99:100], v[99:100], v[111:112]
	v_add_f64 v[87:88], v[87:88], -v[93:94]
	v_fma_f64 v[99:100], v[101:102], v[97:98], v[99:100]
	v_add_f64 v[89:90], v[89:90], -v[99:100]
	ds_read2_b64 v[99:102], v125 offset0:18 offset1:19
	s_waitcnt lgkmcnt(0)
	v_mul_f64 v[93:94], v[101:102], v[111:112]
	v_fma_f64 v[93:94], v[99:100], v[97:98], -v[93:94]
	v_mul_f64 v[99:100], v[99:100], v[111:112]
	v_add_f64 v[81:82], v[81:82], -v[93:94]
	v_fma_f64 v[99:100], v[101:102], v[97:98], v[99:100]
	v_add_f64 v[83:84], v[83:84], -v[99:100]
	;; [unrolled: 8-line block ×22, first 2 shown]
	ds_read2_b64 v[99:102], v125 offset0:60 offset1:61
	s_waitcnt lgkmcnt(0)
	v_mul_f64 v[93:94], v[101:102], v[111:112]
	v_fma_f64 v[93:94], v[99:100], v[97:98], -v[93:94]
	v_mul_f64 v[99:100], v[99:100], v[111:112]
	buffer_store_dword v109, off, s[20:23], 0 offset:16 ; 4-byte Folded Spill
	s_nop 0
	buffer_store_dword v110, off, s[20:23], 0 offset:20 ; 4-byte Folded Spill
	buffer_store_dword v111, off, s[20:23], 0 offset:24 ; 4-byte Folded Spill
	;; [unrolled: 1-line block ×3, first 2 shown]
	v_add_f64 v[105:106], v[105:106], -v[93:94]
	v_fma_f64 v[99:100], v[101:102], v[97:98], v[99:100]
	v_mov_b32_e32 v96, v84
	v_mov_b32_e32 v95, v83
	;; [unrolled: 1-line block ×4, first 2 shown]
	v_add_f64 v[107:108], v[107:108], -v[99:100]
.LBB61_64:
	s_or_b64 exec, exec, s[2:3]
	v_cmp_eq_u32_e32 vcc, 7, v0
	s_waitcnt vmcnt(0)
	s_barrier
	s_and_saveexec_b64 s[4:5], vcc
	s_cbranch_execz .LBB61_71
; %bb.65:
	buffer_load_dword v81, off, s[20:23], 0 ; 4-byte Folded Reload
	buffer_load_dword v82, off, s[20:23], 0 offset:4 ; 4-byte Folded Reload
	buffer_load_dword v83, off, s[20:23], 0 offset:8 ; 4-byte Folded Reload
	;; [unrolled: 1-line block ×3, first 2 shown]
	s_waitcnt vmcnt(0)
	ds_write2_b64 v127, v[81:82], v[83:84] offset1:1
	ds_write2_b64 v125, v[87:88], v[89:90] offset0:16 offset1:17
	ds_write2_b64 v125, v[93:94], v[95:96] offset0:18 offset1:19
	;; [unrolled: 1-line block ×23, first 2 shown]
	ds_read2_b64 v[97:100], v127 offset1:1
	s_waitcnt lgkmcnt(0)
	v_cmp_neq_f64_e32 vcc, 0, v[97:98]
	v_cmp_neq_f64_e64 s[2:3], 0, v[99:100]
	s_or_b64 s[2:3], vcc, s[2:3]
	s_and_b64 exec, exec, s[2:3]
	s_cbranch_execz .LBB61_71
; %bb.66:
	v_cmp_ngt_f64_e64 s[2:3], |v[97:98]|, |v[99:100]|
                                        ; implicit-def: $vgpr101_vgpr102
	s_and_saveexec_b64 s[6:7], s[2:3]
	s_xor_b64 s[2:3], exec, s[6:7]
                                        ; implicit-def: $vgpr103_vgpr104
	s_cbranch_execz .LBB61_68
; %bb.67:
	v_div_scale_f64 v[101:102], s[6:7], v[99:100], v[99:100], v[97:98]
	v_rcp_f64_e32 v[103:104], v[101:102]
	v_fma_f64 v[109:110], -v[101:102], v[103:104], 1.0
	v_fma_f64 v[103:104], v[103:104], v[109:110], v[103:104]
	v_div_scale_f64 v[109:110], vcc, v[97:98], v[99:100], v[97:98]
	v_fma_f64 v[111:112], -v[101:102], v[103:104], 1.0
	v_fma_f64 v[103:104], v[103:104], v[111:112], v[103:104]
	v_mul_f64 v[111:112], v[109:110], v[103:104]
	v_fma_f64 v[101:102], -v[101:102], v[111:112], v[109:110]
	v_div_fmas_f64 v[101:102], v[101:102], v[103:104], v[111:112]
	v_div_fixup_f64 v[101:102], v[101:102], v[99:100], v[97:98]
	v_fma_f64 v[97:98], v[97:98], v[101:102], v[99:100]
	v_div_scale_f64 v[99:100], s[6:7], v[97:98], v[97:98], 1.0
	v_div_scale_f64 v[111:112], vcc, 1.0, v[97:98], 1.0
	v_rcp_f64_e32 v[103:104], v[99:100]
	v_fma_f64 v[109:110], -v[99:100], v[103:104], 1.0
	v_fma_f64 v[103:104], v[103:104], v[109:110], v[103:104]
	v_fma_f64 v[109:110], -v[99:100], v[103:104], 1.0
	v_fma_f64 v[103:104], v[103:104], v[109:110], v[103:104]
	v_mul_f64 v[109:110], v[111:112], v[103:104]
	v_fma_f64 v[99:100], -v[99:100], v[109:110], v[111:112]
	v_div_fmas_f64 v[99:100], v[99:100], v[103:104], v[109:110]
	v_div_fixup_f64 v[103:104], v[99:100], v[97:98], 1.0
                                        ; implicit-def: $vgpr97_vgpr98
	v_mul_f64 v[101:102], v[101:102], v[103:104]
	v_xor_b32_e32 v104, 0x80000000, v104
.LBB61_68:
	s_andn2_saveexec_b64 s[2:3], s[2:3]
	s_cbranch_execz .LBB61_70
; %bb.69:
	v_div_scale_f64 v[101:102], s[6:7], v[97:98], v[97:98], v[99:100]
	v_rcp_f64_e32 v[103:104], v[101:102]
	v_fma_f64 v[109:110], -v[101:102], v[103:104], 1.0
	v_fma_f64 v[103:104], v[103:104], v[109:110], v[103:104]
	v_div_scale_f64 v[109:110], vcc, v[99:100], v[97:98], v[99:100]
	v_fma_f64 v[111:112], -v[101:102], v[103:104], 1.0
	v_fma_f64 v[103:104], v[103:104], v[111:112], v[103:104]
	v_mul_f64 v[111:112], v[109:110], v[103:104]
	v_fma_f64 v[101:102], -v[101:102], v[111:112], v[109:110]
	v_div_fmas_f64 v[101:102], v[101:102], v[103:104], v[111:112]
	v_div_fixup_f64 v[103:104], v[101:102], v[97:98], v[99:100]
	v_fma_f64 v[97:98], v[99:100], v[103:104], v[97:98]
	v_div_scale_f64 v[99:100], s[6:7], v[97:98], v[97:98], 1.0
	v_div_scale_f64 v[111:112], vcc, 1.0, v[97:98], 1.0
	v_rcp_f64_e32 v[101:102], v[99:100]
	v_fma_f64 v[109:110], -v[99:100], v[101:102], 1.0
	v_fma_f64 v[101:102], v[101:102], v[109:110], v[101:102]
	v_fma_f64 v[109:110], -v[99:100], v[101:102], 1.0
	v_fma_f64 v[101:102], v[101:102], v[109:110], v[101:102]
	v_mul_f64 v[109:110], v[111:112], v[101:102]
	v_fma_f64 v[99:100], -v[99:100], v[109:110], v[111:112]
	v_div_fmas_f64 v[99:100], v[99:100], v[101:102], v[109:110]
	v_div_fixup_f64 v[101:102], v[99:100], v[97:98], 1.0
	v_mul_f64 v[103:104], v[103:104], -v[101:102]
.LBB61_70:
	s_or_b64 exec, exec, s[2:3]
	ds_write2_b64 v127, v[101:102], v[103:104] offset1:1
.LBB61_71:
	s_or_b64 exec, exec, s[4:5]
	s_waitcnt lgkmcnt(0)
	s_barrier
	ds_read2_b64 v[81:84], v127 offset1:1
	v_cmp_lt_u32_e32 vcc, 7, v0
	s_waitcnt lgkmcnt(0)
	buffer_store_dword v81, off, s[20:23], 0 offset:488 ; 4-byte Folded Spill
	s_nop 0
	buffer_store_dword v82, off, s[20:23], 0 offset:492 ; 4-byte Folded Spill
	buffer_store_dword v83, off, s[20:23], 0 offset:496 ; 4-byte Folded Spill
	;; [unrolled: 1-line block ×3, first 2 shown]
	s_and_saveexec_b64 s[2:3], vcc
	s_cbranch_execz .LBB61_73
; %bb.72:
	buffer_load_dword v101, off, s[20:23], 0 ; 4-byte Folded Reload
	buffer_load_dword v102, off, s[20:23], 0 offset:4 ; 4-byte Folded Reload
	buffer_load_dword v103, off, s[20:23], 0 offset:8 ; 4-byte Folded Reload
	;; [unrolled: 1-line block ×7, first 2 shown]
	v_mov_b32_e32 v81, v87
	v_mov_b32_e32 v82, v88
	;; [unrolled: 1-line block ×6, first 2 shown]
	s_waitcnt vmcnt(2)
	v_mul_f64 v[91:92], v[109:110], v[103:104]
	s_waitcnt vmcnt(0)
	v_mul_f64 v[97:98], v[111:112], v[103:104]
	v_fma_f64 v[103:104], v[111:112], v[101:102], v[91:92]
	v_mov_b32_e32 v92, v90
	v_fma_f64 v[97:98], v[109:110], v[101:102], -v[97:98]
	ds_read2_b64 v[99:102], v125 offset0:16 offset1:17
	v_mov_b32_e32 v91, v89
	s_waitcnt lgkmcnt(0)
	v_mul_f64 v[89:90], v[101:102], v[103:104]
	v_fma_f64 v[89:90], v[99:100], v[97:98], -v[89:90]
	v_mul_f64 v[99:100], v[99:100], v[103:104]
	v_add_f64 v[81:82], v[81:82], -v[89:90]
	v_fma_f64 v[99:100], v[101:102], v[97:98], v[99:100]
	v_add_f64 v[83:84], v[83:84], -v[99:100]
	ds_read2_b64 v[99:102], v125 offset0:18 offset1:19
	s_waitcnt lgkmcnt(0)
	v_mul_f64 v[89:90], v[101:102], v[103:104]
	v_fma_f64 v[89:90], v[99:100], v[97:98], -v[89:90]
	v_mul_f64 v[99:100], v[99:100], v[103:104]
	v_add_f64 v[93:94], v[93:94], -v[89:90]
	v_fma_f64 v[99:100], v[101:102], v[97:98], v[99:100]
	v_add_f64 v[95:96], v[95:96], -v[99:100]
	ds_read2_b64 v[99:102], v125 offset0:20 offset1:21
	;; [unrolled: 8-line block ×22, first 2 shown]
	s_waitcnt lgkmcnt(0)
	v_mul_f64 v[89:90], v[101:102], v[103:104]
	v_fma_f64 v[89:90], v[99:100], v[97:98], -v[89:90]
	v_mul_f64 v[99:100], v[99:100], v[103:104]
	v_add_f64 v[105:106], v[105:106], -v[89:90]
	v_fma_f64 v[99:100], v[101:102], v[97:98], v[99:100]
	v_mov_b32_e32 v90, v84
	v_mov_b32_e32 v102, v98
	;; [unrolled: 1-line block ×6, first 2 shown]
	buffer_store_dword v101, off, s[20:23], 0 ; 4-byte Folded Spill
	s_nop 0
	buffer_store_dword v102, off, s[20:23], 0 offset:4 ; 4-byte Folded Spill
	buffer_store_dword v103, off, s[20:23], 0 offset:8 ; 4-byte Folded Spill
	buffer_store_dword v104, off, s[20:23], 0 offset:12 ; 4-byte Folded Spill
	v_add_f64 v[107:108], v[107:108], -v[99:100]
.LBB61_73:
	s_or_b64 exec, exec, s[2:3]
	v_cmp_eq_u32_e32 vcc, 8, v0
	s_waitcnt vmcnt(0)
	s_barrier
	s_and_saveexec_b64 s[4:5], vcc
	s_cbranch_execz .LBB61_80
; %bb.74:
	ds_write2_b64 v127, v[87:88], v[89:90] offset1:1
	ds_write2_b64 v125, v[93:94], v[95:96] offset0:18 offset1:19
	ds_write2_b64 v125, v[77:78], v[79:80] offset0:20 offset1:21
	;; [unrolled: 1-line block ×22, first 2 shown]
	ds_read2_b64 v[97:100], v127 offset1:1
	s_waitcnt lgkmcnt(0)
	v_cmp_neq_f64_e32 vcc, 0, v[97:98]
	v_cmp_neq_f64_e64 s[2:3], 0, v[99:100]
	s_or_b64 s[2:3], vcc, s[2:3]
	s_and_b64 exec, exec, s[2:3]
	s_cbranch_execz .LBB61_80
; %bb.75:
	v_cmp_ngt_f64_e64 s[2:3], |v[97:98]|, |v[99:100]|
                                        ; implicit-def: $vgpr101_vgpr102
	s_and_saveexec_b64 s[6:7], s[2:3]
	s_xor_b64 s[2:3], exec, s[6:7]
                                        ; implicit-def: $vgpr103_vgpr104
	s_cbranch_execz .LBB61_77
; %bb.76:
	v_div_scale_f64 v[101:102], s[6:7], v[99:100], v[99:100], v[97:98]
	v_rcp_f64_e32 v[103:104], v[101:102]
	v_fma_f64 v[109:110], -v[101:102], v[103:104], 1.0
	v_fma_f64 v[103:104], v[103:104], v[109:110], v[103:104]
	v_div_scale_f64 v[109:110], vcc, v[97:98], v[99:100], v[97:98]
	v_fma_f64 v[111:112], -v[101:102], v[103:104], 1.0
	v_fma_f64 v[103:104], v[103:104], v[111:112], v[103:104]
	v_mul_f64 v[111:112], v[109:110], v[103:104]
	v_fma_f64 v[101:102], -v[101:102], v[111:112], v[109:110]
	v_div_fmas_f64 v[101:102], v[101:102], v[103:104], v[111:112]
	v_div_fixup_f64 v[101:102], v[101:102], v[99:100], v[97:98]
	v_fma_f64 v[97:98], v[97:98], v[101:102], v[99:100]
	v_div_scale_f64 v[99:100], s[6:7], v[97:98], v[97:98], 1.0
	v_div_scale_f64 v[111:112], vcc, 1.0, v[97:98], 1.0
	v_rcp_f64_e32 v[103:104], v[99:100]
	v_fma_f64 v[109:110], -v[99:100], v[103:104], 1.0
	v_fma_f64 v[103:104], v[103:104], v[109:110], v[103:104]
	v_fma_f64 v[109:110], -v[99:100], v[103:104], 1.0
	v_fma_f64 v[103:104], v[103:104], v[109:110], v[103:104]
	v_mul_f64 v[109:110], v[111:112], v[103:104]
	v_fma_f64 v[99:100], -v[99:100], v[109:110], v[111:112]
	v_div_fmas_f64 v[99:100], v[99:100], v[103:104], v[109:110]
	v_div_fixup_f64 v[103:104], v[99:100], v[97:98], 1.0
                                        ; implicit-def: $vgpr97_vgpr98
	v_mul_f64 v[101:102], v[101:102], v[103:104]
	v_xor_b32_e32 v104, 0x80000000, v104
.LBB61_77:
	s_andn2_saveexec_b64 s[2:3], s[2:3]
	s_cbranch_execz .LBB61_79
; %bb.78:
	v_div_scale_f64 v[101:102], s[6:7], v[97:98], v[97:98], v[99:100]
	v_rcp_f64_e32 v[103:104], v[101:102]
	v_fma_f64 v[109:110], -v[101:102], v[103:104], 1.0
	v_fma_f64 v[103:104], v[103:104], v[109:110], v[103:104]
	v_div_scale_f64 v[109:110], vcc, v[99:100], v[97:98], v[99:100]
	v_fma_f64 v[111:112], -v[101:102], v[103:104], 1.0
	v_fma_f64 v[103:104], v[103:104], v[111:112], v[103:104]
	v_mul_f64 v[111:112], v[109:110], v[103:104]
	v_fma_f64 v[101:102], -v[101:102], v[111:112], v[109:110]
	v_div_fmas_f64 v[101:102], v[101:102], v[103:104], v[111:112]
	v_div_fixup_f64 v[103:104], v[101:102], v[97:98], v[99:100]
	v_fma_f64 v[97:98], v[99:100], v[103:104], v[97:98]
	v_div_scale_f64 v[99:100], s[6:7], v[97:98], v[97:98], 1.0
	v_div_scale_f64 v[111:112], vcc, 1.0, v[97:98], 1.0
	v_rcp_f64_e32 v[101:102], v[99:100]
	v_fma_f64 v[109:110], -v[99:100], v[101:102], 1.0
	v_fma_f64 v[101:102], v[101:102], v[109:110], v[101:102]
	v_fma_f64 v[109:110], -v[99:100], v[101:102], 1.0
	v_fma_f64 v[101:102], v[101:102], v[109:110], v[101:102]
	v_mul_f64 v[109:110], v[111:112], v[101:102]
	v_fma_f64 v[99:100], -v[99:100], v[109:110], v[111:112]
	v_div_fmas_f64 v[99:100], v[99:100], v[101:102], v[109:110]
	v_div_fixup_f64 v[101:102], v[99:100], v[97:98], 1.0
	v_mul_f64 v[103:104], v[103:104], -v[101:102]
.LBB61_79:
	s_or_b64 exec, exec, s[2:3]
	ds_write2_b64 v127, v[101:102], v[103:104] offset1:1
.LBB61_80:
	s_or_b64 exec, exec, s[4:5]
	s_waitcnt lgkmcnt(0)
	s_barrier
	ds_read2_b64 v[81:84], v127 offset1:1
	v_cmp_lt_u32_e32 vcc, 8, v0
	s_waitcnt lgkmcnt(0)
	buffer_store_dword v81, off, s[20:23], 0 offset:504 ; 4-byte Folded Spill
	s_nop 0
	buffer_store_dword v82, off, s[20:23], 0 offset:508 ; 4-byte Folded Spill
	buffer_store_dword v83, off, s[20:23], 0 offset:512 ; 4-byte Folded Spill
	;; [unrolled: 1-line block ×3, first 2 shown]
	s_and_saveexec_b64 s[2:3], vcc
	s_cbranch_execz .LBB61_82
; %bb.81:
	buffer_load_dword v99, off, s[20:23], 0 offset:504 ; 4-byte Folded Reload
	buffer_load_dword v100, off, s[20:23], 0 offset:508 ; 4-byte Folded Reload
	;; [unrolled: 1-line block ×4, first 2 shown]
	v_mov_b32_e32 v81, v87
	v_mov_b32_e32 v83, v89
	;; [unrolled: 1-line block ×4, first 2 shown]
	s_waitcnt vmcnt(0)
	v_mul_f64 v[97:98], v[101:102], v[89:90]
	v_mov_b32_e32 v90, v86
	v_mov_b32_e32 v89, v85
	v_fma_f64 v[97:98], v[99:100], v[87:88], -v[97:98]
	v_mul_f64 v[87:88], v[99:100], v[83:84]
	v_fma_f64 v[83:84], v[101:102], v[81:82], v[87:88]
	ds_read2_b64 v[99:102], v125 offset0:18 offset1:19
	v_mov_b32_e32 v87, v97
	v_mov_b32_e32 v88, v98
	s_waitcnt lgkmcnt(0)
	v_mul_f64 v[85:86], v[101:102], v[83:84]
	v_fma_f64 v[85:86], v[99:100], v[97:98], -v[85:86]
	v_mul_f64 v[99:100], v[99:100], v[83:84]
	v_add_f64 v[93:94], v[93:94], -v[85:86]
	v_fma_f64 v[99:100], v[101:102], v[97:98], v[99:100]
	v_add_f64 v[95:96], v[95:96], -v[99:100]
	ds_read2_b64 v[99:102], v125 offset0:20 offset1:21
	s_waitcnt lgkmcnt(0)
	v_mul_f64 v[85:86], v[101:102], v[83:84]
	v_fma_f64 v[85:86], v[99:100], v[97:98], -v[85:86]
	v_mul_f64 v[99:100], v[99:100], v[83:84]
	v_add_f64 v[77:78], v[77:78], -v[85:86]
	v_fma_f64 v[99:100], v[101:102], v[97:98], v[99:100]
	v_add_f64 v[79:80], v[79:80], -v[99:100]
	ds_read2_b64 v[99:102], v125 offset0:22 offset1:23
	;; [unrolled: 8-line block ×21, first 2 shown]
	s_waitcnt lgkmcnt(0)
	v_mul_f64 v[85:86], v[101:102], v[83:84]
	v_fma_f64 v[85:86], v[99:100], v[97:98], -v[85:86]
	v_mul_f64 v[99:100], v[99:100], v[83:84]
	v_add_f64 v[105:106], v[105:106], -v[85:86]
	v_fma_f64 v[99:100], v[101:102], v[97:98], v[99:100]
	v_mov_b32_e32 v85, v89
	v_mov_b32_e32 v86, v90
	;; [unrolled: 1-line block ×4, first 2 shown]
	v_add_f64 v[107:108], v[107:108], -v[99:100]
.LBB61_82:
	s_or_b64 exec, exec, s[2:3]
	v_cmp_eq_u32_e32 vcc, 9, v0
	s_waitcnt vmcnt(0)
	s_barrier
	s_and_saveexec_b64 s[4:5], vcc
	s_cbranch_execz .LBB61_89
; %bb.83:
	ds_write2_b64 v127, v[93:94], v[95:96] offset1:1
	ds_write2_b64 v125, v[77:78], v[79:80] offset0:20 offset1:21
	ds_write2_b64 v125, v[73:74], v[75:76] offset0:22 offset1:23
	;; [unrolled: 1-line block ×21, first 2 shown]
	ds_read2_b64 v[97:100], v127 offset1:1
	s_waitcnt lgkmcnt(0)
	v_cmp_neq_f64_e32 vcc, 0, v[97:98]
	v_cmp_neq_f64_e64 s[2:3], 0, v[99:100]
	s_or_b64 s[2:3], vcc, s[2:3]
	s_and_b64 exec, exec, s[2:3]
	s_cbranch_execz .LBB61_89
; %bb.84:
	v_cmp_ngt_f64_e64 s[2:3], |v[97:98]|, |v[99:100]|
                                        ; implicit-def: $vgpr101_vgpr102
	s_and_saveexec_b64 s[6:7], s[2:3]
	s_xor_b64 s[2:3], exec, s[6:7]
                                        ; implicit-def: $vgpr103_vgpr104
	s_cbranch_execz .LBB61_86
; %bb.85:
	v_div_scale_f64 v[101:102], s[6:7], v[99:100], v[99:100], v[97:98]
	v_rcp_f64_e32 v[103:104], v[101:102]
	v_fma_f64 v[109:110], -v[101:102], v[103:104], 1.0
	v_fma_f64 v[103:104], v[103:104], v[109:110], v[103:104]
	v_div_scale_f64 v[109:110], vcc, v[97:98], v[99:100], v[97:98]
	v_fma_f64 v[111:112], -v[101:102], v[103:104], 1.0
	v_fma_f64 v[103:104], v[103:104], v[111:112], v[103:104]
	v_mul_f64 v[111:112], v[109:110], v[103:104]
	v_fma_f64 v[101:102], -v[101:102], v[111:112], v[109:110]
	v_div_fmas_f64 v[101:102], v[101:102], v[103:104], v[111:112]
	v_div_fixup_f64 v[101:102], v[101:102], v[99:100], v[97:98]
	v_fma_f64 v[97:98], v[97:98], v[101:102], v[99:100]
	v_div_scale_f64 v[99:100], s[6:7], v[97:98], v[97:98], 1.0
	v_div_scale_f64 v[111:112], vcc, 1.0, v[97:98], 1.0
	v_rcp_f64_e32 v[103:104], v[99:100]
	v_fma_f64 v[109:110], -v[99:100], v[103:104], 1.0
	v_fma_f64 v[103:104], v[103:104], v[109:110], v[103:104]
	v_fma_f64 v[109:110], -v[99:100], v[103:104], 1.0
	v_fma_f64 v[103:104], v[103:104], v[109:110], v[103:104]
	v_mul_f64 v[109:110], v[111:112], v[103:104]
	v_fma_f64 v[99:100], -v[99:100], v[109:110], v[111:112]
	v_div_fmas_f64 v[99:100], v[99:100], v[103:104], v[109:110]
	v_div_fixup_f64 v[103:104], v[99:100], v[97:98], 1.0
                                        ; implicit-def: $vgpr97_vgpr98
	v_mul_f64 v[101:102], v[101:102], v[103:104]
	v_xor_b32_e32 v104, 0x80000000, v104
.LBB61_86:
	s_andn2_saveexec_b64 s[2:3], s[2:3]
	s_cbranch_execz .LBB61_88
; %bb.87:
	v_div_scale_f64 v[101:102], s[6:7], v[97:98], v[97:98], v[99:100]
	v_rcp_f64_e32 v[103:104], v[101:102]
	v_fma_f64 v[109:110], -v[101:102], v[103:104], 1.0
	v_fma_f64 v[103:104], v[103:104], v[109:110], v[103:104]
	v_div_scale_f64 v[109:110], vcc, v[99:100], v[97:98], v[99:100]
	v_fma_f64 v[111:112], -v[101:102], v[103:104], 1.0
	v_fma_f64 v[103:104], v[103:104], v[111:112], v[103:104]
	v_mul_f64 v[111:112], v[109:110], v[103:104]
	v_fma_f64 v[101:102], -v[101:102], v[111:112], v[109:110]
	v_div_fmas_f64 v[101:102], v[101:102], v[103:104], v[111:112]
	v_div_fixup_f64 v[103:104], v[101:102], v[97:98], v[99:100]
	v_fma_f64 v[97:98], v[99:100], v[103:104], v[97:98]
	v_div_scale_f64 v[99:100], s[6:7], v[97:98], v[97:98], 1.0
	v_div_scale_f64 v[111:112], vcc, 1.0, v[97:98], 1.0
	v_rcp_f64_e32 v[101:102], v[99:100]
	v_fma_f64 v[109:110], -v[99:100], v[101:102], 1.0
	v_fma_f64 v[101:102], v[101:102], v[109:110], v[101:102]
	v_fma_f64 v[109:110], -v[99:100], v[101:102], 1.0
	v_fma_f64 v[101:102], v[101:102], v[109:110], v[101:102]
	v_mul_f64 v[109:110], v[111:112], v[101:102]
	v_fma_f64 v[99:100], -v[99:100], v[109:110], v[111:112]
	v_div_fmas_f64 v[99:100], v[99:100], v[101:102], v[109:110]
	v_div_fixup_f64 v[101:102], v[99:100], v[97:98], 1.0
	v_mul_f64 v[103:104], v[103:104], -v[101:102]
.LBB61_88:
	s_or_b64 exec, exec, s[2:3]
	ds_write2_b64 v127, v[101:102], v[103:104] offset1:1
.LBB61_89:
	s_or_b64 exec, exec, s[4:5]
	s_waitcnt lgkmcnt(0)
	s_barrier
	ds_read2_b64 v[81:84], v127 offset1:1
	v_cmp_lt_u32_e32 vcc, 9, v0
	s_waitcnt lgkmcnt(0)
	buffer_store_dword v81, off, s[20:23], 0 offset:520 ; 4-byte Folded Spill
	s_nop 0
	buffer_store_dword v82, off, s[20:23], 0 offset:524 ; 4-byte Folded Spill
	buffer_store_dword v83, off, s[20:23], 0 offset:528 ; 4-byte Folded Spill
	;; [unrolled: 1-line block ×3, first 2 shown]
	s_and_saveexec_b64 s[2:3], vcc
	s_cbranch_execz .LBB61_91
; %bb.90:
	buffer_load_dword v99, off, s[20:23], 0 offset:520 ; 4-byte Folded Reload
	buffer_load_dword v100, off, s[20:23], 0 offset:524 ; 4-byte Folded Reload
	buffer_load_dword v101, off, s[20:23], 0 offset:528 ; 4-byte Folded Reload
	buffer_load_dword v102, off, s[20:23], 0 offset:532 ; 4-byte Folded Reload
	s_waitcnt vmcnt(2)
	v_mul_f64 v[83:84], v[99:100], v[95:96]
	s_waitcnt vmcnt(0)
	v_mul_f64 v[97:98], v[101:102], v[95:96]
	v_fma_f64 v[95:96], v[101:102], v[93:94], v[83:84]
	v_fma_f64 v[97:98], v[99:100], v[93:94], -v[97:98]
	ds_read2_b64 v[99:102], v125 offset0:20 offset1:21
	s_waitcnt lgkmcnt(0)
	v_mul_f64 v[81:82], v[101:102], v[95:96]
	v_mov_b32_e32 v93, v97
	v_mov_b32_e32 v94, v98
	v_fma_f64 v[81:82], v[99:100], v[97:98], -v[81:82]
	v_mul_f64 v[99:100], v[99:100], v[95:96]
	v_add_f64 v[77:78], v[77:78], -v[81:82]
	v_fma_f64 v[99:100], v[101:102], v[97:98], v[99:100]
	v_add_f64 v[79:80], v[79:80], -v[99:100]
	ds_read2_b64 v[99:102], v125 offset0:22 offset1:23
	s_waitcnt lgkmcnt(0)
	v_mul_f64 v[81:82], v[101:102], v[95:96]
	v_fma_f64 v[81:82], v[99:100], v[97:98], -v[81:82]
	v_mul_f64 v[99:100], v[99:100], v[95:96]
	v_add_f64 v[73:74], v[73:74], -v[81:82]
	v_fma_f64 v[99:100], v[101:102], v[97:98], v[99:100]
	v_add_f64 v[75:76], v[75:76], -v[99:100]
	ds_read2_b64 v[99:102], v125 offset0:24 offset1:25
	s_waitcnt lgkmcnt(0)
	v_mul_f64 v[81:82], v[101:102], v[95:96]
	;; [unrolled: 8-line block ×20, first 2 shown]
	v_fma_f64 v[81:82], v[99:100], v[97:98], -v[81:82]
	v_mul_f64 v[99:100], v[99:100], v[95:96]
	v_add_f64 v[105:106], v[105:106], -v[81:82]
	v_fma_f64 v[99:100], v[101:102], v[97:98], v[99:100]
	v_add_f64 v[107:108], v[107:108], -v[99:100]
.LBB61_91:
	s_or_b64 exec, exec, s[2:3]
	v_cmp_eq_u32_e32 vcc, 10, v0
	s_waitcnt vmcnt(0)
	s_barrier
	s_and_saveexec_b64 s[4:5], vcc
	s_cbranch_execz .LBB61_98
; %bb.92:
	ds_write2_b64 v127, v[77:78], v[79:80] offset1:1
	ds_write2_b64 v125, v[73:74], v[75:76] offset0:22 offset1:23
	ds_write2_b64 v125, v[69:70], v[71:72] offset0:24 offset1:25
	;; [unrolled: 1-line block ×20, first 2 shown]
	ds_read2_b64 v[97:100], v127 offset1:1
	s_waitcnt lgkmcnt(0)
	v_cmp_neq_f64_e32 vcc, 0, v[97:98]
	v_cmp_neq_f64_e64 s[2:3], 0, v[99:100]
	s_or_b64 s[2:3], vcc, s[2:3]
	s_and_b64 exec, exec, s[2:3]
	s_cbranch_execz .LBB61_98
; %bb.93:
	v_cmp_ngt_f64_e64 s[2:3], |v[97:98]|, |v[99:100]|
                                        ; implicit-def: $vgpr101_vgpr102
	s_and_saveexec_b64 s[6:7], s[2:3]
	s_xor_b64 s[2:3], exec, s[6:7]
                                        ; implicit-def: $vgpr103_vgpr104
	s_cbranch_execz .LBB61_95
; %bb.94:
	v_div_scale_f64 v[101:102], s[6:7], v[99:100], v[99:100], v[97:98]
	v_rcp_f64_e32 v[103:104], v[101:102]
	v_fma_f64 v[109:110], -v[101:102], v[103:104], 1.0
	v_fma_f64 v[103:104], v[103:104], v[109:110], v[103:104]
	v_div_scale_f64 v[109:110], vcc, v[97:98], v[99:100], v[97:98]
	v_fma_f64 v[111:112], -v[101:102], v[103:104], 1.0
	v_fma_f64 v[103:104], v[103:104], v[111:112], v[103:104]
	v_mul_f64 v[111:112], v[109:110], v[103:104]
	v_fma_f64 v[101:102], -v[101:102], v[111:112], v[109:110]
	v_div_fmas_f64 v[101:102], v[101:102], v[103:104], v[111:112]
	v_div_fixup_f64 v[101:102], v[101:102], v[99:100], v[97:98]
	v_fma_f64 v[97:98], v[97:98], v[101:102], v[99:100]
	v_div_scale_f64 v[99:100], s[6:7], v[97:98], v[97:98], 1.0
	v_div_scale_f64 v[111:112], vcc, 1.0, v[97:98], 1.0
	v_rcp_f64_e32 v[103:104], v[99:100]
	v_fma_f64 v[109:110], -v[99:100], v[103:104], 1.0
	v_fma_f64 v[103:104], v[103:104], v[109:110], v[103:104]
	v_fma_f64 v[109:110], -v[99:100], v[103:104], 1.0
	v_fma_f64 v[103:104], v[103:104], v[109:110], v[103:104]
	v_mul_f64 v[109:110], v[111:112], v[103:104]
	v_fma_f64 v[99:100], -v[99:100], v[109:110], v[111:112]
	v_div_fmas_f64 v[99:100], v[99:100], v[103:104], v[109:110]
	v_div_fixup_f64 v[103:104], v[99:100], v[97:98], 1.0
                                        ; implicit-def: $vgpr97_vgpr98
	v_mul_f64 v[101:102], v[101:102], v[103:104]
	v_xor_b32_e32 v104, 0x80000000, v104
.LBB61_95:
	s_andn2_saveexec_b64 s[2:3], s[2:3]
	s_cbranch_execz .LBB61_97
; %bb.96:
	v_div_scale_f64 v[101:102], s[6:7], v[97:98], v[97:98], v[99:100]
	v_rcp_f64_e32 v[103:104], v[101:102]
	v_fma_f64 v[109:110], -v[101:102], v[103:104], 1.0
	v_fma_f64 v[103:104], v[103:104], v[109:110], v[103:104]
	v_div_scale_f64 v[109:110], vcc, v[99:100], v[97:98], v[99:100]
	v_fma_f64 v[111:112], -v[101:102], v[103:104], 1.0
	v_fma_f64 v[103:104], v[103:104], v[111:112], v[103:104]
	v_mul_f64 v[111:112], v[109:110], v[103:104]
	v_fma_f64 v[101:102], -v[101:102], v[111:112], v[109:110]
	v_div_fmas_f64 v[101:102], v[101:102], v[103:104], v[111:112]
	v_div_fixup_f64 v[103:104], v[101:102], v[97:98], v[99:100]
	v_fma_f64 v[97:98], v[99:100], v[103:104], v[97:98]
	v_div_scale_f64 v[99:100], s[6:7], v[97:98], v[97:98], 1.0
	v_div_scale_f64 v[111:112], vcc, 1.0, v[97:98], 1.0
	v_rcp_f64_e32 v[101:102], v[99:100]
	v_fma_f64 v[109:110], -v[99:100], v[101:102], 1.0
	v_fma_f64 v[101:102], v[101:102], v[109:110], v[101:102]
	v_fma_f64 v[109:110], -v[99:100], v[101:102], 1.0
	v_fma_f64 v[101:102], v[101:102], v[109:110], v[101:102]
	v_mul_f64 v[109:110], v[111:112], v[101:102]
	v_fma_f64 v[99:100], -v[99:100], v[109:110], v[111:112]
	v_div_fmas_f64 v[99:100], v[99:100], v[101:102], v[109:110]
	v_div_fixup_f64 v[101:102], v[99:100], v[97:98], 1.0
	v_mul_f64 v[103:104], v[103:104], -v[101:102]
.LBB61_97:
	s_or_b64 exec, exec, s[2:3]
	ds_write2_b64 v127, v[101:102], v[103:104] offset1:1
.LBB61_98:
	s_or_b64 exec, exec, s[4:5]
	s_waitcnt lgkmcnt(0)
	s_barrier
	ds_read2_b64 v[81:84], v127 offset1:1
	v_cmp_lt_u32_e32 vcc, 10, v0
	s_waitcnt lgkmcnt(0)
	buffer_store_dword v81, off, s[20:23], 0 offset:536 ; 4-byte Folded Spill
	s_nop 0
	buffer_store_dword v82, off, s[20:23], 0 offset:540 ; 4-byte Folded Spill
	buffer_store_dword v83, off, s[20:23], 0 offset:544 ; 4-byte Folded Spill
	;; [unrolled: 1-line block ×3, first 2 shown]
	s_and_saveexec_b64 s[2:3], vcc
	s_cbranch_execz .LBB61_100
; %bb.99:
	buffer_load_dword v81, off, s[20:23], 0 offset:536 ; 4-byte Folded Reload
	buffer_load_dword v82, off, s[20:23], 0 offset:540 ; 4-byte Folded Reload
	;; [unrolled: 1-line block ×4, first 2 shown]
	ds_read2_b64 v[99:102], v125 offset0:22 offset1:23
	s_waitcnt vmcnt(0)
	v_mul_f64 v[97:98], v[83:84], v[79:80]
	v_mul_f64 v[79:80], v[81:82], v[79:80]
	v_fma_f64 v[97:98], v[81:82], v[77:78], -v[97:98]
	v_fma_f64 v[79:80], v[83:84], v[77:78], v[79:80]
	s_waitcnt lgkmcnt(0)
	v_mul_f64 v[77:78], v[101:102], v[79:80]
	v_fma_f64 v[77:78], v[99:100], v[97:98], -v[77:78]
	v_mul_f64 v[99:100], v[99:100], v[79:80]
	v_add_f64 v[73:74], v[73:74], -v[77:78]
	v_fma_f64 v[99:100], v[101:102], v[97:98], v[99:100]
	v_add_f64 v[75:76], v[75:76], -v[99:100]
	ds_read2_b64 v[99:102], v125 offset0:24 offset1:25
	s_waitcnt lgkmcnt(0)
	v_mul_f64 v[77:78], v[101:102], v[79:80]
	v_fma_f64 v[77:78], v[99:100], v[97:98], -v[77:78]
	v_mul_f64 v[99:100], v[99:100], v[79:80]
	v_add_f64 v[69:70], v[69:70], -v[77:78]
	v_fma_f64 v[99:100], v[101:102], v[97:98], v[99:100]
	v_add_f64 v[71:72], v[71:72], -v[99:100]
	ds_read2_b64 v[99:102], v125 offset0:26 offset1:27
	;; [unrolled: 8-line block ×19, first 2 shown]
	s_waitcnt lgkmcnt(0)
	v_mul_f64 v[77:78], v[101:102], v[79:80]
	v_fma_f64 v[77:78], v[99:100], v[97:98], -v[77:78]
	v_mul_f64 v[99:100], v[99:100], v[79:80]
	v_add_f64 v[105:106], v[105:106], -v[77:78]
	v_fma_f64 v[99:100], v[101:102], v[97:98], v[99:100]
	v_mov_b32_e32 v77, v97
	v_mov_b32_e32 v78, v98
	v_add_f64 v[107:108], v[107:108], -v[99:100]
.LBB61_100:
	s_or_b64 exec, exec, s[2:3]
	v_cmp_eq_u32_e32 vcc, 11, v0
	s_waitcnt vmcnt(0)
	s_barrier
	s_and_saveexec_b64 s[4:5], vcc
	s_cbranch_execz .LBB61_107
; %bb.101:
	ds_write2_b64 v127, v[73:74], v[75:76] offset1:1
	ds_write2_b64 v125, v[69:70], v[71:72] offset0:24 offset1:25
	ds_write2_b64 v125, v[65:66], v[67:68] offset0:26 offset1:27
	;; [unrolled: 1-line block ×19, first 2 shown]
	ds_read2_b64 v[97:100], v127 offset1:1
	s_waitcnt lgkmcnt(0)
	v_cmp_neq_f64_e32 vcc, 0, v[97:98]
	v_cmp_neq_f64_e64 s[2:3], 0, v[99:100]
	s_or_b64 s[2:3], vcc, s[2:3]
	s_and_b64 exec, exec, s[2:3]
	s_cbranch_execz .LBB61_107
; %bb.102:
	v_cmp_ngt_f64_e64 s[2:3], |v[97:98]|, |v[99:100]|
                                        ; implicit-def: $vgpr101_vgpr102
	s_and_saveexec_b64 s[6:7], s[2:3]
	s_xor_b64 s[2:3], exec, s[6:7]
                                        ; implicit-def: $vgpr103_vgpr104
	s_cbranch_execz .LBB61_104
; %bb.103:
	v_div_scale_f64 v[101:102], s[6:7], v[99:100], v[99:100], v[97:98]
	v_rcp_f64_e32 v[103:104], v[101:102]
	v_fma_f64 v[109:110], -v[101:102], v[103:104], 1.0
	v_fma_f64 v[103:104], v[103:104], v[109:110], v[103:104]
	v_div_scale_f64 v[109:110], vcc, v[97:98], v[99:100], v[97:98]
	v_fma_f64 v[111:112], -v[101:102], v[103:104], 1.0
	v_fma_f64 v[103:104], v[103:104], v[111:112], v[103:104]
	v_mul_f64 v[111:112], v[109:110], v[103:104]
	v_fma_f64 v[101:102], -v[101:102], v[111:112], v[109:110]
	v_div_fmas_f64 v[101:102], v[101:102], v[103:104], v[111:112]
	v_div_fixup_f64 v[101:102], v[101:102], v[99:100], v[97:98]
	v_fma_f64 v[97:98], v[97:98], v[101:102], v[99:100]
	v_div_scale_f64 v[99:100], s[6:7], v[97:98], v[97:98], 1.0
	v_div_scale_f64 v[111:112], vcc, 1.0, v[97:98], 1.0
	v_rcp_f64_e32 v[103:104], v[99:100]
	v_fma_f64 v[109:110], -v[99:100], v[103:104], 1.0
	v_fma_f64 v[103:104], v[103:104], v[109:110], v[103:104]
	v_fma_f64 v[109:110], -v[99:100], v[103:104], 1.0
	v_fma_f64 v[103:104], v[103:104], v[109:110], v[103:104]
	v_mul_f64 v[109:110], v[111:112], v[103:104]
	v_fma_f64 v[99:100], -v[99:100], v[109:110], v[111:112]
	v_div_fmas_f64 v[99:100], v[99:100], v[103:104], v[109:110]
	v_div_fixup_f64 v[103:104], v[99:100], v[97:98], 1.0
                                        ; implicit-def: $vgpr97_vgpr98
	v_mul_f64 v[101:102], v[101:102], v[103:104]
	v_xor_b32_e32 v104, 0x80000000, v104
.LBB61_104:
	s_andn2_saveexec_b64 s[2:3], s[2:3]
	s_cbranch_execz .LBB61_106
; %bb.105:
	v_div_scale_f64 v[101:102], s[6:7], v[97:98], v[97:98], v[99:100]
	v_rcp_f64_e32 v[103:104], v[101:102]
	v_fma_f64 v[109:110], -v[101:102], v[103:104], 1.0
	v_fma_f64 v[103:104], v[103:104], v[109:110], v[103:104]
	v_div_scale_f64 v[109:110], vcc, v[99:100], v[97:98], v[99:100]
	v_fma_f64 v[111:112], -v[101:102], v[103:104], 1.0
	v_fma_f64 v[103:104], v[103:104], v[111:112], v[103:104]
	v_mul_f64 v[111:112], v[109:110], v[103:104]
	v_fma_f64 v[101:102], -v[101:102], v[111:112], v[109:110]
	v_div_fmas_f64 v[101:102], v[101:102], v[103:104], v[111:112]
	v_div_fixup_f64 v[103:104], v[101:102], v[97:98], v[99:100]
	v_fma_f64 v[97:98], v[99:100], v[103:104], v[97:98]
	v_div_scale_f64 v[99:100], s[6:7], v[97:98], v[97:98], 1.0
	v_div_scale_f64 v[111:112], vcc, 1.0, v[97:98], 1.0
	v_rcp_f64_e32 v[101:102], v[99:100]
	v_fma_f64 v[109:110], -v[99:100], v[101:102], 1.0
	v_fma_f64 v[101:102], v[101:102], v[109:110], v[101:102]
	v_fma_f64 v[109:110], -v[99:100], v[101:102], 1.0
	v_fma_f64 v[101:102], v[101:102], v[109:110], v[101:102]
	v_mul_f64 v[109:110], v[111:112], v[101:102]
	v_fma_f64 v[99:100], -v[99:100], v[109:110], v[111:112]
	v_div_fmas_f64 v[99:100], v[99:100], v[101:102], v[109:110]
	v_div_fixup_f64 v[101:102], v[99:100], v[97:98], 1.0
	v_mul_f64 v[103:104], v[103:104], -v[101:102]
.LBB61_106:
	s_or_b64 exec, exec, s[2:3]
	ds_write2_b64 v127, v[101:102], v[103:104] offset1:1
.LBB61_107:
	s_or_b64 exec, exec, s[4:5]
	s_waitcnt lgkmcnt(0)
	s_barrier
	ds_read2_b64 v[81:84], v127 offset1:1
	v_cmp_lt_u32_e32 vcc, 11, v0
	s_waitcnt lgkmcnt(0)
	buffer_store_dword v81, off, s[20:23], 0 offset:552 ; 4-byte Folded Spill
	s_nop 0
	buffer_store_dword v82, off, s[20:23], 0 offset:556 ; 4-byte Folded Spill
	buffer_store_dword v83, off, s[20:23], 0 offset:560 ; 4-byte Folded Spill
	;; [unrolled: 1-line block ×3, first 2 shown]
	s_and_saveexec_b64 s[2:3], vcc
	s_cbranch_execz .LBB61_109
; %bb.108:
	buffer_load_dword v81, off, s[20:23], 0 offset:552 ; 4-byte Folded Reload
	buffer_load_dword v82, off, s[20:23], 0 offset:556 ; 4-byte Folded Reload
	;; [unrolled: 1-line block ×4, first 2 shown]
	ds_read2_b64 v[99:102], v125 offset0:24 offset1:25
	s_waitcnt vmcnt(0)
	v_mul_f64 v[97:98], v[83:84], v[75:76]
	v_mul_f64 v[75:76], v[81:82], v[75:76]
	v_fma_f64 v[97:98], v[81:82], v[73:74], -v[97:98]
	v_fma_f64 v[75:76], v[83:84], v[73:74], v[75:76]
	s_waitcnt lgkmcnt(0)
	v_mul_f64 v[73:74], v[101:102], v[75:76]
	v_fma_f64 v[73:74], v[99:100], v[97:98], -v[73:74]
	v_mul_f64 v[99:100], v[99:100], v[75:76]
	v_add_f64 v[69:70], v[69:70], -v[73:74]
	v_fma_f64 v[99:100], v[101:102], v[97:98], v[99:100]
	v_add_f64 v[71:72], v[71:72], -v[99:100]
	ds_read2_b64 v[99:102], v125 offset0:26 offset1:27
	s_waitcnt lgkmcnt(0)
	v_mul_f64 v[73:74], v[101:102], v[75:76]
	v_fma_f64 v[73:74], v[99:100], v[97:98], -v[73:74]
	v_mul_f64 v[99:100], v[99:100], v[75:76]
	v_add_f64 v[65:66], v[65:66], -v[73:74]
	v_fma_f64 v[99:100], v[101:102], v[97:98], v[99:100]
	v_add_f64 v[67:68], v[67:68], -v[99:100]
	ds_read2_b64 v[99:102], v125 offset0:28 offset1:29
	;; [unrolled: 8-line block ×18, first 2 shown]
	s_waitcnt lgkmcnt(0)
	v_mul_f64 v[73:74], v[101:102], v[75:76]
	v_fma_f64 v[73:74], v[99:100], v[97:98], -v[73:74]
	v_mul_f64 v[99:100], v[99:100], v[75:76]
	v_add_f64 v[105:106], v[105:106], -v[73:74]
	v_fma_f64 v[99:100], v[101:102], v[97:98], v[99:100]
	v_mov_b32_e32 v73, v97
	v_mov_b32_e32 v74, v98
	v_add_f64 v[107:108], v[107:108], -v[99:100]
.LBB61_109:
	s_or_b64 exec, exec, s[2:3]
	v_cmp_eq_u32_e32 vcc, 12, v0
	s_waitcnt vmcnt(0)
	s_barrier
	s_and_saveexec_b64 s[4:5], vcc
	s_cbranch_execz .LBB61_116
; %bb.110:
	ds_write2_b64 v127, v[69:70], v[71:72] offset1:1
	ds_write2_b64 v125, v[65:66], v[67:68] offset0:26 offset1:27
	ds_write2_b64 v125, v[61:62], v[63:64] offset0:28 offset1:29
	;; [unrolled: 1-line block ×18, first 2 shown]
	ds_read2_b64 v[97:100], v127 offset1:1
	s_waitcnt lgkmcnt(0)
	v_cmp_neq_f64_e32 vcc, 0, v[97:98]
	v_cmp_neq_f64_e64 s[2:3], 0, v[99:100]
	s_or_b64 s[2:3], vcc, s[2:3]
	s_and_b64 exec, exec, s[2:3]
	s_cbranch_execz .LBB61_116
; %bb.111:
	v_cmp_ngt_f64_e64 s[2:3], |v[97:98]|, |v[99:100]|
                                        ; implicit-def: $vgpr101_vgpr102
	s_and_saveexec_b64 s[6:7], s[2:3]
	s_xor_b64 s[2:3], exec, s[6:7]
                                        ; implicit-def: $vgpr103_vgpr104
	s_cbranch_execz .LBB61_113
; %bb.112:
	v_div_scale_f64 v[101:102], s[6:7], v[99:100], v[99:100], v[97:98]
	v_rcp_f64_e32 v[103:104], v[101:102]
	v_fma_f64 v[109:110], -v[101:102], v[103:104], 1.0
	v_fma_f64 v[103:104], v[103:104], v[109:110], v[103:104]
	v_div_scale_f64 v[109:110], vcc, v[97:98], v[99:100], v[97:98]
	v_fma_f64 v[111:112], -v[101:102], v[103:104], 1.0
	v_fma_f64 v[103:104], v[103:104], v[111:112], v[103:104]
	v_mul_f64 v[111:112], v[109:110], v[103:104]
	v_fma_f64 v[101:102], -v[101:102], v[111:112], v[109:110]
	v_div_fmas_f64 v[101:102], v[101:102], v[103:104], v[111:112]
	v_div_fixup_f64 v[101:102], v[101:102], v[99:100], v[97:98]
	v_fma_f64 v[97:98], v[97:98], v[101:102], v[99:100]
	v_div_scale_f64 v[99:100], s[6:7], v[97:98], v[97:98], 1.0
	v_div_scale_f64 v[111:112], vcc, 1.0, v[97:98], 1.0
	v_rcp_f64_e32 v[103:104], v[99:100]
	v_fma_f64 v[109:110], -v[99:100], v[103:104], 1.0
	v_fma_f64 v[103:104], v[103:104], v[109:110], v[103:104]
	v_fma_f64 v[109:110], -v[99:100], v[103:104], 1.0
	v_fma_f64 v[103:104], v[103:104], v[109:110], v[103:104]
	v_mul_f64 v[109:110], v[111:112], v[103:104]
	v_fma_f64 v[99:100], -v[99:100], v[109:110], v[111:112]
	v_div_fmas_f64 v[99:100], v[99:100], v[103:104], v[109:110]
	v_div_fixup_f64 v[103:104], v[99:100], v[97:98], 1.0
                                        ; implicit-def: $vgpr97_vgpr98
	v_mul_f64 v[101:102], v[101:102], v[103:104]
	v_xor_b32_e32 v104, 0x80000000, v104
.LBB61_113:
	s_andn2_saveexec_b64 s[2:3], s[2:3]
	s_cbranch_execz .LBB61_115
; %bb.114:
	v_div_scale_f64 v[101:102], s[6:7], v[97:98], v[97:98], v[99:100]
	v_rcp_f64_e32 v[103:104], v[101:102]
	v_fma_f64 v[109:110], -v[101:102], v[103:104], 1.0
	v_fma_f64 v[103:104], v[103:104], v[109:110], v[103:104]
	v_div_scale_f64 v[109:110], vcc, v[99:100], v[97:98], v[99:100]
	v_fma_f64 v[111:112], -v[101:102], v[103:104], 1.0
	v_fma_f64 v[103:104], v[103:104], v[111:112], v[103:104]
	v_mul_f64 v[111:112], v[109:110], v[103:104]
	v_fma_f64 v[101:102], -v[101:102], v[111:112], v[109:110]
	v_div_fmas_f64 v[101:102], v[101:102], v[103:104], v[111:112]
	v_div_fixup_f64 v[103:104], v[101:102], v[97:98], v[99:100]
	v_fma_f64 v[97:98], v[99:100], v[103:104], v[97:98]
	v_div_scale_f64 v[99:100], s[6:7], v[97:98], v[97:98], 1.0
	v_div_scale_f64 v[111:112], vcc, 1.0, v[97:98], 1.0
	v_rcp_f64_e32 v[101:102], v[99:100]
	v_fma_f64 v[109:110], -v[99:100], v[101:102], 1.0
	v_fma_f64 v[101:102], v[101:102], v[109:110], v[101:102]
	v_fma_f64 v[109:110], -v[99:100], v[101:102], 1.0
	v_fma_f64 v[101:102], v[101:102], v[109:110], v[101:102]
	v_mul_f64 v[109:110], v[111:112], v[101:102]
	v_fma_f64 v[99:100], -v[99:100], v[109:110], v[111:112]
	v_div_fmas_f64 v[99:100], v[99:100], v[101:102], v[109:110]
	v_div_fixup_f64 v[101:102], v[99:100], v[97:98], 1.0
	v_mul_f64 v[103:104], v[103:104], -v[101:102]
.LBB61_115:
	s_or_b64 exec, exec, s[2:3]
	ds_write2_b64 v127, v[101:102], v[103:104] offset1:1
.LBB61_116:
	s_or_b64 exec, exec, s[4:5]
	s_waitcnt lgkmcnt(0)
	s_barrier
	ds_read2_b64 v[81:84], v127 offset1:1
	v_cmp_lt_u32_e32 vcc, 12, v0
	s_waitcnt lgkmcnt(0)
	buffer_store_dword v81, off, s[20:23], 0 offset:568 ; 4-byte Folded Spill
	s_nop 0
	buffer_store_dword v82, off, s[20:23], 0 offset:572 ; 4-byte Folded Spill
	buffer_store_dword v83, off, s[20:23], 0 offset:576 ; 4-byte Folded Spill
	;; [unrolled: 1-line block ×3, first 2 shown]
	s_and_saveexec_b64 s[2:3], vcc
	s_cbranch_execz .LBB61_118
; %bb.117:
	buffer_load_dword v81, off, s[20:23], 0 offset:568 ; 4-byte Folded Reload
	buffer_load_dword v82, off, s[20:23], 0 offset:572 ; 4-byte Folded Reload
	;; [unrolled: 1-line block ×4, first 2 shown]
	ds_read2_b64 v[99:102], v125 offset0:26 offset1:27
	s_waitcnt vmcnt(0)
	v_mul_f64 v[97:98], v[83:84], v[71:72]
	v_mul_f64 v[71:72], v[81:82], v[71:72]
	v_fma_f64 v[97:98], v[81:82], v[69:70], -v[97:98]
	v_fma_f64 v[71:72], v[83:84], v[69:70], v[71:72]
	s_waitcnt lgkmcnt(0)
	v_mul_f64 v[69:70], v[101:102], v[71:72]
	v_fma_f64 v[69:70], v[99:100], v[97:98], -v[69:70]
	v_mul_f64 v[99:100], v[99:100], v[71:72]
	v_add_f64 v[65:66], v[65:66], -v[69:70]
	v_fma_f64 v[99:100], v[101:102], v[97:98], v[99:100]
	v_add_f64 v[67:68], v[67:68], -v[99:100]
	ds_read2_b64 v[99:102], v125 offset0:28 offset1:29
	s_waitcnt lgkmcnt(0)
	v_mul_f64 v[69:70], v[101:102], v[71:72]
	v_fma_f64 v[69:70], v[99:100], v[97:98], -v[69:70]
	v_mul_f64 v[99:100], v[99:100], v[71:72]
	v_add_f64 v[61:62], v[61:62], -v[69:70]
	v_fma_f64 v[99:100], v[101:102], v[97:98], v[99:100]
	v_add_f64 v[63:64], v[63:64], -v[99:100]
	ds_read2_b64 v[99:102], v125 offset0:30 offset1:31
	;; [unrolled: 8-line block ×17, first 2 shown]
	s_waitcnt lgkmcnt(0)
	v_mul_f64 v[69:70], v[101:102], v[71:72]
	v_fma_f64 v[69:70], v[99:100], v[97:98], -v[69:70]
	v_mul_f64 v[99:100], v[99:100], v[71:72]
	v_add_f64 v[105:106], v[105:106], -v[69:70]
	v_fma_f64 v[99:100], v[101:102], v[97:98], v[99:100]
	v_mov_b32_e32 v69, v97
	v_mov_b32_e32 v70, v98
	v_add_f64 v[107:108], v[107:108], -v[99:100]
.LBB61_118:
	s_or_b64 exec, exec, s[2:3]
	v_cmp_eq_u32_e32 vcc, 13, v0
	s_waitcnt vmcnt(0)
	s_barrier
	s_and_saveexec_b64 s[4:5], vcc
	s_cbranch_execz .LBB61_125
; %bb.119:
	ds_write2_b64 v127, v[65:66], v[67:68] offset1:1
	ds_write2_b64 v125, v[61:62], v[63:64] offset0:28 offset1:29
	ds_write2_b64 v125, v[57:58], v[59:60] offset0:30 offset1:31
	ds_write2_b64 v125, v[53:54], v[55:56] offset0:32 offset1:33
	ds_write2_b64 v125, v[49:50], v[51:52] offset0:34 offset1:35
	ds_write2_b64 v125, v[45:46], v[47:48] offset0:36 offset1:37
	ds_write2_b64 v125, v[41:42], v[43:44] offset0:38 offset1:39
	ds_write2_b64 v125, v[37:38], v[39:40] offset0:40 offset1:41
	ds_write2_b64 v125, v[33:34], v[35:36] offset0:42 offset1:43
	ds_write2_b64 v125, v[29:30], v[31:32] offset0:44 offset1:45
	ds_write2_b64 v125, v[25:26], v[27:28] offset0:46 offset1:47
	ds_write2_b64 v125, v[21:22], v[23:24] offset0:48 offset1:49
	ds_write2_b64 v125, v[17:18], v[19:20] offset0:50 offset1:51
	ds_write2_b64 v125, v[13:14], v[15:16] offset0:52 offset1:53
	ds_write2_b64 v125, v[9:10], v[11:12] offset0:54 offset1:55
	ds_write2_b64 v125, v[5:6], v[7:8] offset0:56 offset1:57
	ds_write2_b64 v125, v[1:2], v[3:4] offset0:58 offset1:59
	ds_write2_b64 v125, v[105:106], v[107:108] offset0:60 offset1:61
	ds_read2_b64 v[97:100], v127 offset1:1
	s_waitcnt lgkmcnt(0)
	v_cmp_neq_f64_e32 vcc, 0, v[97:98]
	v_cmp_neq_f64_e64 s[2:3], 0, v[99:100]
	s_or_b64 s[2:3], vcc, s[2:3]
	s_and_b64 exec, exec, s[2:3]
	s_cbranch_execz .LBB61_125
; %bb.120:
	v_cmp_ngt_f64_e64 s[2:3], |v[97:98]|, |v[99:100]|
                                        ; implicit-def: $vgpr101_vgpr102
	s_and_saveexec_b64 s[6:7], s[2:3]
	s_xor_b64 s[2:3], exec, s[6:7]
                                        ; implicit-def: $vgpr103_vgpr104
	s_cbranch_execz .LBB61_122
; %bb.121:
	v_div_scale_f64 v[101:102], s[6:7], v[99:100], v[99:100], v[97:98]
	v_rcp_f64_e32 v[103:104], v[101:102]
	v_fma_f64 v[109:110], -v[101:102], v[103:104], 1.0
	v_fma_f64 v[103:104], v[103:104], v[109:110], v[103:104]
	v_div_scale_f64 v[109:110], vcc, v[97:98], v[99:100], v[97:98]
	v_fma_f64 v[111:112], -v[101:102], v[103:104], 1.0
	v_fma_f64 v[103:104], v[103:104], v[111:112], v[103:104]
	v_mul_f64 v[111:112], v[109:110], v[103:104]
	v_fma_f64 v[101:102], -v[101:102], v[111:112], v[109:110]
	v_div_fmas_f64 v[101:102], v[101:102], v[103:104], v[111:112]
	v_div_fixup_f64 v[101:102], v[101:102], v[99:100], v[97:98]
	v_fma_f64 v[97:98], v[97:98], v[101:102], v[99:100]
	v_div_scale_f64 v[99:100], s[6:7], v[97:98], v[97:98], 1.0
	v_div_scale_f64 v[111:112], vcc, 1.0, v[97:98], 1.0
	v_rcp_f64_e32 v[103:104], v[99:100]
	v_fma_f64 v[109:110], -v[99:100], v[103:104], 1.0
	v_fma_f64 v[103:104], v[103:104], v[109:110], v[103:104]
	v_fma_f64 v[109:110], -v[99:100], v[103:104], 1.0
	v_fma_f64 v[103:104], v[103:104], v[109:110], v[103:104]
	v_mul_f64 v[109:110], v[111:112], v[103:104]
	v_fma_f64 v[99:100], -v[99:100], v[109:110], v[111:112]
	v_div_fmas_f64 v[99:100], v[99:100], v[103:104], v[109:110]
	v_div_fixup_f64 v[103:104], v[99:100], v[97:98], 1.0
                                        ; implicit-def: $vgpr97_vgpr98
	v_mul_f64 v[101:102], v[101:102], v[103:104]
	v_xor_b32_e32 v104, 0x80000000, v104
.LBB61_122:
	s_andn2_saveexec_b64 s[2:3], s[2:3]
	s_cbranch_execz .LBB61_124
; %bb.123:
	v_div_scale_f64 v[101:102], s[6:7], v[97:98], v[97:98], v[99:100]
	v_rcp_f64_e32 v[103:104], v[101:102]
	v_fma_f64 v[109:110], -v[101:102], v[103:104], 1.0
	v_fma_f64 v[103:104], v[103:104], v[109:110], v[103:104]
	v_div_scale_f64 v[109:110], vcc, v[99:100], v[97:98], v[99:100]
	v_fma_f64 v[111:112], -v[101:102], v[103:104], 1.0
	v_fma_f64 v[103:104], v[103:104], v[111:112], v[103:104]
	v_mul_f64 v[111:112], v[109:110], v[103:104]
	v_fma_f64 v[101:102], -v[101:102], v[111:112], v[109:110]
	v_div_fmas_f64 v[101:102], v[101:102], v[103:104], v[111:112]
	v_div_fixup_f64 v[103:104], v[101:102], v[97:98], v[99:100]
	v_fma_f64 v[97:98], v[99:100], v[103:104], v[97:98]
	v_div_scale_f64 v[99:100], s[6:7], v[97:98], v[97:98], 1.0
	v_div_scale_f64 v[111:112], vcc, 1.0, v[97:98], 1.0
	v_rcp_f64_e32 v[101:102], v[99:100]
	v_fma_f64 v[109:110], -v[99:100], v[101:102], 1.0
	v_fma_f64 v[101:102], v[101:102], v[109:110], v[101:102]
	v_fma_f64 v[109:110], -v[99:100], v[101:102], 1.0
	v_fma_f64 v[101:102], v[101:102], v[109:110], v[101:102]
	v_mul_f64 v[109:110], v[111:112], v[101:102]
	v_fma_f64 v[99:100], -v[99:100], v[109:110], v[111:112]
	v_div_fmas_f64 v[99:100], v[99:100], v[101:102], v[109:110]
	v_div_fixup_f64 v[101:102], v[99:100], v[97:98], 1.0
	v_mul_f64 v[103:104], v[103:104], -v[101:102]
.LBB61_124:
	s_or_b64 exec, exec, s[2:3]
	ds_write2_b64 v127, v[101:102], v[103:104] offset1:1
.LBB61_125:
	s_or_b64 exec, exec, s[4:5]
	s_waitcnt lgkmcnt(0)
	s_barrier
	ds_read2_b64 v[81:84], v127 offset1:1
	v_cmp_lt_u32_e32 vcc, 13, v0
	s_waitcnt lgkmcnt(0)
	buffer_store_dword v81, off, s[20:23], 0 offset:584 ; 4-byte Folded Spill
	s_nop 0
	buffer_store_dword v82, off, s[20:23], 0 offset:588 ; 4-byte Folded Spill
	buffer_store_dword v83, off, s[20:23], 0 offset:592 ; 4-byte Folded Spill
	;; [unrolled: 1-line block ×3, first 2 shown]
	s_and_saveexec_b64 s[2:3], vcc
	s_cbranch_execz .LBB61_127
; %bb.126:
	buffer_load_dword v81, off, s[20:23], 0 offset:584 ; 4-byte Folded Reload
	buffer_load_dword v82, off, s[20:23], 0 offset:588 ; 4-byte Folded Reload
	;; [unrolled: 1-line block ×4, first 2 shown]
	ds_read2_b64 v[99:102], v125 offset0:28 offset1:29
	s_waitcnt vmcnt(0)
	v_mul_f64 v[97:98], v[83:84], v[67:68]
	v_mul_f64 v[67:68], v[81:82], v[67:68]
	v_fma_f64 v[97:98], v[81:82], v[65:66], -v[97:98]
	v_fma_f64 v[67:68], v[83:84], v[65:66], v[67:68]
	s_waitcnt lgkmcnt(0)
	v_mul_f64 v[65:66], v[101:102], v[67:68]
	v_fma_f64 v[65:66], v[99:100], v[97:98], -v[65:66]
	v_mul_f64 v[99:100], v[99:100], v[67:68]
	v_add_f64 v[61:62], v[61:62], -v[65:66]
	v_fma_f64 v[99:100], v[101:102], v[97:98], v[99:100]
	v_add_f64 v[63:64], v[63:64], -v[99:100]
	ds_read2_b64 v[99:102], v125 offset0:30 offset1:31
	s_waitcnt lgkmcnt(0)
	v_mul_f64 v[65:66], v[101:102], v[67:68]
	v_fma_f64 v[65:66], v[99:100], v[97:98], -v[65:66]
	v_mul_f64 v[99:100], v[99:100], v[67:68]
	v_add_f64 v[57:58], v[57:58], -v[65:66]
	v_fma_f64 v[99:100], v[101:102], v[97:98], v[99:100]
	v_add_f64 v[59:60], v[59:60], -v[99:100]
	ds_read2_b64 v[99:102], v125 offset0:32 offset1:33
	;; [unrolled: 8-line block ×16, first 2 shown]
	s_waitcnt lgkmcnt(0)
	v_mul_f64 v[65:66], v[101:102], v[67:68]
	v_fma_f64 v[65:66], v[99:100], v[97:98], -v[65:66]
	v_mul_f64 v[99:100], v[99:100], v[67:68]
	v_add_f64 v[105:106], v[105:106], -v[65:66]
	v_fma_f64 v[99:100], v[101:102], v[97:98], v[99:100]
	v_mov_b32_e32 v65, v97
	v_mov_b32_e32 v66, v98
	v_add_f64 v[107:108], v[107:108], -v[99:100]
.LBB61_127:
	s_or_b64 exec, exec, s[2:3]
	v_cmp_eq_u32_e32 vcc, 14, v0
	s_waitcnt vmcnt(0)
	s_barrier
	s_and_saveexec_b64 s[4:5], vcc
	s_cbranch_execz .LBB61_134
; %bb.128:
	ds_write2_b64 v127, v[61:62], v[63:64] offset1:1
	ds_write2_b64 v125, v[57:58], v[59:60] offset0:30 offset1:31
	ds_write2_b64 v125, v[53:54], v[55:56] offset0:32 offset1:33
	;; [unrolled: 1-line block ×16, first 2 shown]
	ds_read2_b64 v[97:100], v127 offset1:1
	s_waitcnt lgkmcnt(0)
	v_cmp_neq_f64_e32 vcc, 0, v[97:98]
	v_cmp_neq_f64_e64 s[2:3], 0, v[99:100]
	s_or_b64 s[2:3], vcc, s[2:3]
	s_and_b64 exec, exec, s[2:3]
	s_cbranch_execz .LBB61_134
; %bb.129:
	v_cmp_ngt_f64_e64 s[2:3], |v[97:98]|, |v[99:100]|
                                        ; implicit-def: $vgpr101_vgpr102
	s_and_saveexec_b64 s[6:7], s[2:3]
	s_xor_b64 s[2:3], exec, s[6:7]
                                        ; implicit-def: $vgpr103_vgpr104
	s_cbranch_execz .LBB61_131
; %bb.130:
	v_div_scale_f64 v[101:102], s[6:7], v[99:100], v[99:100], v[97:98]
	v_rcp_f64_e32 v[103:104], v[101:102]
	v_fma_f64 v[109:110], -v[101:102], v[103:104], 1.0
	v_fma_f64 v[103:104], v[103:104], v[109:110], v[103:104]
	v_div_scale_f64 v[109:110], vcc, v[97:98], v[99:100], v[97:98]
	v_fma_f64 v[111:112], -v[101:102], v[103:104], 1.0
	v_fma_f64 v[103:104], v[103:104], v[111:112], v[103:104]
	v_mul_f64 v[111:112], v[109:110], v[103:104]
	v_fma_f64 v[101:102], -v[101:102], v[111:112], v[109:110]
	v_div_fmas_f64 v[101:102], v[101:102], v[103:104], v[111:112]
	v_div_fixup_f64 v[101:102], v[101:102], v[99:100], v[97:98]
	v_fma_f64 v[97:98], v[97:98], v[101:102], v[99:100]
	v_div_scale_f64 v[99:100], s[6:7], v[97:98], v[97:98], 1.0
	v_div_scale_f64 v[111:112], vcc, 1.0, v[97:98], 1.0
	v_rcp_f64_e32 v[103:104], v[99:100]
	v_fma_f64 v[109:110], -v[99:100], v[103:104], 1.0
	v_fma_f64 v[103:104], v[103:104], v[109:110], v[103:104]
	v_fma_f64 v[109:110], -v[99:100], v[103:104], 1.0
	v_fma_f64 v[103:104], v[103:104], v[109:110], v[103:104]
	v_mul_f64 v[109:110], v[111:112], v[103:104]
	v_fma_f64 v[99:100], -v[99:100], v[109:110], v[111:112]
	v_div_fmas_f64 v[99:100], v[99:100], v[103:104], v[109:110]
	v_div_fixup_f64 v[103:104], v[99:100], v[97:98], 1.0
                                        ; implicit-def: $vgpr97_vgpr98
	v_mul_f64 v[101:102], v[101:102], v[103:104]
	v_xor_b32_e32 v104, 0x80000000, v104
.LBB61_131:
	s_andn2_saveexec_b64 s[2:3], s[2:3]
	s_cbranch_execz .LBB61_133
; %bb.132:
	v_div_scale_f64 v[101:102], s[6:7], v[97:98], v[97:98], v[99:100]
	v_rcp_f64_e32 v[103:104], v[101:102]
	v_fma_f64 v[109:110], -v[101:102], v[103:104], 1.0
	v_fma_f64 v[103:104], v[103:104], v[109:110], v[103:104]
	v_div_scale_f64 v[109:110], vcc, v[99:100], v[97:98], v[99:100]
	v_fma_f64 v[111:112], -v[101:102], v[103:104], 1.0
	v_fma_f64 v[103:104], v[103:104], v[111:112], v[103:104]
	v_mul_f64 v[111:112], v[109:110], v[103:104]
	v_fma_f64 v[101:102], -v[101:102], v[111:112], v[109:110]
	v_div_fmas_f64 v[101:102], v[101:102], v[103:104], v[111:112]
	v_div_fixup_f64 v[103:104], v[101:102], v[97:98], v[99:100]
	v_fma_f64 v[97:98], v[99:100], v[103:104], v[97:98]
	v_div_scale_f64 v[99:100], s[6:7], v[97:98], v[97:98], 1.0
	v_div_scale_f64 v[111:112], vcc, 1.0, v[97:98], 1.0
	v_rcp_f64_e32 v[101:102], v[99:100]
	v_fma_f64 v[109:110], -v[99:100], v[101:102], 1.0
	v_fma_f64 v[101:102], v[101:102], v[109:110], v[101:102]
	v_fma_f64 v[109:110], -v[99:100], v[101:102], 1.0
	v_fma_f64 v[101:102], v[101:102], v[109:110], v[101:102]
	v_mul_f64 v[109:110], v[111:112], v[101:102]
	v_fma_f64 v[99:100], -v[99:100], v[109:110], v[111:112]
	v_div_fmas_f64 v[99:100], v[99:100], v[101:102], v[109:110]
	v_div_fixup_f64 v[101:102], v[99:100], v[97:98], 1.0
	v_mul_f64 v[103:104], v[103:104], -v[101:102]
.LBB61_133:
	s_or_b64 exec, exec, s[2:3]
	ds_write2_b64 v127, v[101:102], v[103:104] offset1:1
.LBB61_134:
	s_or_b64 exec, exec, s[4:5]
	s_waitcnt lgkmcnt(0)
	s_barrier
	ds_read2_b64 v[81:84], v127 offset1:1
	v_cmp_lt_u32_e32 vcc, 14, v0
	s_waitcnt lgkmcnt(0)
	buffer_store_dword v81, off, s[20:23], 0 offset:600 ; 4-byte Folded Spill
	s_nop 0
	buffer_store_dword v82, off, s[20:23], 0 offset:604 ; 4-byte Folded Spill
	buffer_store_dword v83, off, s[20:23], 0 offset:608 ; 4-byte Folded Spill
	;; [unrolled: 1-line block ×3, first 2 shown]
	s_and_saveexec_b64 s[2:3], vcc
	s_cbranch_execz .LBB61_136
; %bb.135:
	buffer_load_dword v81, off, s[20:23], 0 offset:600 ; 4-byte Folded Reload
	buffer_load_dword v82, off, s[20:23], 0 offset:604 ; 4-byte Folded Reload
	;; [unrolled: 1-line block ×4, first 2 shown]
	ds_read2_b64 v[99:102], v125 offset0:30 offset1:31
	s_waitcnt vmcnt(2)
	v_mul_f64 v[97:98], v[81:82], v[63:64]
	s_waitcnt vmcnt(0)
	v_mul_f64 v[63:64], v[83:84], v[63:64]
	v_fma_f64 v[97:98], v[83:84], v[61:62], v[97:98]
	v_fma_f64 v[61:62], v[81:82], v[61:62], -v[63:64]
	s_waitcnt lgkmcnt(0)
	v_mul_f64 v[63:64], v[101:102], v[97:98]
	v_fma_f64 v[63:64], v[99:100], v[61:62], -v[63:64]
	v_mul_f64 v[99:100], v[99:100], v[97:98]
	v_add_f64 v[57:58], v[57:58], -v[63:64]
	v_fma_f64 v[99:100], v[101:102], v[61:62], v[99:100]
	v_add_f64 v[59:60], v[59:60], -v[99:100]
	ds_read2_b64 v[99:102], v125 offset0:32 offset1:33
	s_waitcnt lgkmcnt(0)
	v_mul_f64 v[63:64], v[101:102], v[97:98]
	v_fma_f64 v[63:64], v[99:100], v[61:62], -v[63:64]
	v_mul_f64 v[99:100], v[99:100], v[97:98]
	v_add_f64 v[53:54], v[53:54], -v[63:64]
	v_fma_f64 v[99:100], v[101:102], v[61:62], v[99:100]
	v_add_f64 v[55:56], v[55:56], -v[99:100]
	ds_read2_b64 v[99:102], v125 offset0:34 offset1:35
	;; [unrolled: 8-line block ×15, first 2 shown]
	s_waitcnt lgkmcnt(0)
	v_mul_f64 v[63:64], v[101:102], v[97:98]
	v_fma_f64 v[63:64], v[99:100], v[61:62], -v[63:64]
	v_mul_f64 v[99:100], v[99:100], v[97:98]
	v_add_f64 v[105:106], v[105:106], -v[63:64]
	v_fma_f64 v[99:100], v[101:102], v[61:62], v[99:100]
	v_mov_b32_e32 v63, v97
	v_mov_b32_e32 v64, v98
	v_add_f64 v[107:108], v[107:108], -v[99:100]
.LBB61_136:
	s_or_b64 exec, exec, s[2:3]
	v_cmp_eq_u32_e32 vcc, 15, v0
	s_waitcnt vmcnt(0)
	s_barrier
	s_and_saveexec_b64 s[4:5], vcc
	s_cbranch_execz .LBB61_143
; %bb.137:
	ds_write2_b64 v127, v[57:58], v[59:60] offset1:1
	ds_write2_b64 v125, v[53:54], v[55:56] offset0:32 offset1:33
	ds_write2_b64 v125, v[49:50], v[51:52] offset0:34 offset1:35
	;; [unrolled: 1-line block ×15, first 2 shown]
	ds_read2_b64 v[97:100], v127 offset1:1
	s_waitcnt lgkmcnt(0)
	v_cmp_neq_f64_e32 vcc, 0, v[97:98]
	v_cmp_neq_f64_e64 s[2:3], 0, v[99:100]
	s_or_b64 s[2:3], vcc, s[2:3]
	s_and_b64 exec, exec, s[2:3]
	s_cbranch_execz .LBB61_143
; %bb.138:
	v_cmp_ngt_f64_e64 s[2:3], |v[97:98]|, |v[99:100]|
                                        ; implicit-def: $vgpr101_vgpr102
	s_and_saveexec_b64 s[6:7], s[2:3]
	s_xor_b64 s[2:3], exec, s[6:7]
                                        ; implicit-def: $vgpr103_vgpr104
	s_cbranch_execz .LBB61_140
; %bb.139:
	v_div_scale_f64 v[101:102], s[6:7], v[99:100], v[99:100], v[97:98]
	v_rcp_f64_e32 v[103:104], v[101:102]
	v_fma_f64 v[109:110], -v[101:102], v[103:104], 1.0
	v_fma_f64 v[103:104], v[103:104], v[109:110], v[103:104]
	v_div_scale_f64 v[109:110], vcc, v[97:98], v[99:100], v[97:98]
	v_fma_f64 v[111:112], -v[101:102], v[103:104], 1.0
	v_fma_f64 v[103:104], v[103:104], v[111:112], v[103:104]
	v_mul_f64 v[111:112], v[109:110], v[103:104]
	v_fma_f64 v[101:102], -v[101:102], v[111:112], v[109:110]
	v_div_fmas_f64 v[101:102], v[101:102], v[103:104], v[111:112]
	v_div_fixup_f64 v[101:102], v[101:102], v[99:100], v[97:98]
	v_fma_f64 v[97:98], v[97:98], v[101:102], v[99:100]
	v_div_scale_f64 v[99:100], s[6:7], v[97:98], v[97:98], 1.0
	v_div_scale_f64 v[111:112], vcc, 1.0, v[97:98], 1.0
	v_rcp_f64_e32 v[103:104], v[99:100]
	v_fma_f64 v[109:110], -v[99:100], v[103:104], 1.0
	v_fma_f64 v[103:104], v[103:104], v[109:110], v[103:104]
	v_fma_f64 v[109:110], -v[99:100], v[103:104], 1.0
	v_fma_f64 v[103:104], v[103:104], v[109:110], v[103:104]
	v_mul_f64 v[109:110], v[111:112], v[103:104]
	v_fma_f64 v[99:100], -v[99:100], v[109:110], v[111:112]
	v_div_fmas_f64 v[99:100], v[99:100], v[103:104], v[109:110]
	v_div_fixup_f64 v[103:104], v[99:100], v[97:98], 1.0
                                        ; implicit-def: $vgpr97_vgpr98
	v_mul_f64 v[101:102], v[101:102], v[103:104]
	v_xor_b32_e32 v104, 0x80000000, v104
.LBB61_140:
	s_andn2_saveexec_b64 s[2:3], s[2:3]
	s_cbranch_execz .LBB61_142
; %bb.141:
	v_div_scale_f64 v[101:102], s[6:7], v[97:98], v[97:98], v[99:100]
	v_rcp_f64_e32 v[103:104], v[101:102]
	v_fma_f64 v[109:110], -v[101:102], v[103:104], 1.0
	v_fma_f64 v[103:104], v[103:104], v[109:110], v[103:104]
	v_div_scale_f64 v[109:110], vcc, v[99:100], v[97:98], v[99:100]
	v_fma_f64 v[111:112], -v[101:102], v[103:104], 1.0
	v_fma_f64 v[103:104], v[103:104], v[111:112], v[103:104]
	v_mul_f64 v[111:112], v[109:110], v[103:104]
	v_fma_f64 v[101:102], -v[101:102], v[111:112], v[109:110]
	v_div_fmas_f64 v[101:102], v[101:102], v[103:104], v[111:112]
	v_div_fixup_f64 v[103:104], v[101:102], v[97:98], v[99:100]
	v_fma_f64 v[97:98], v[99:100], v[103:104], v[97:98]
	v_div_scale_f64 v[99:100], s[6:7], v[97:98], v[97:98], 1.0
	v_div_scale_f64 v[111:112], vcc, 1.0, v[97:98], 1.0
	v_rcp_f64_e32 v[101:102], v[99:100]
	v_fma_f64 v[109:110], -v[99:100], v[101:102], 1.0
	v_fma_f64 v[101:102], v[101:102], v[109:110], v[101:102]
	v_fma_f64 v[109:110], -v[99:100], v[101:102], 1.0
	v_fma_f64 v[101:102], v[101:102], v[109:110], v[101:102]
	v_mul_f64 v[109:110], v[111:112], v[101:102]
	v_fma_f64 v[99:100], -v[99:100], v[109:110], v[111:112]
	v_div_fmas_f64 v[99:100], v[99:100], v[101:102], v[109:110]
	v_div_fixup_f64 v[101:102], v[99:100], v[97:98], 1.0
	v_mul_f64 v[103:104], v[103:104], -v[101:102]
.LBB61_142:
	s_or_b64 exec, exec, s[2:3]
	ds_write2_b64 v127, v[101:102], v[103:104] offset1:1
.LBB61_143:
	s_or_b64 exec, exec, s[4:5]
	s_waitcnt lgkmcnt(0)
	s_barrier
	ds_read2_b64 v[81:84], v127 offset1:1
	v_cmp_lt_u32_e32 vcc, 15, v0
	s_waitcnt lgkmcnt(0)
	buffer_store_dword v81, off, s[20:23], 0 offset:616 ; 4-byte Folded Spill
	s_nop 0
	buffer_store_dword v82, off, s[20:23], 0 offset:620 ; 4-byte Folded Spill
	buffer_store_dword v83, off, s[20:23], 0 offset:624 ; 4-byte Folded Spill
	;; [unrolled: 1-line block ×3, first 2 shown]
	s_and_saveexec_b64 s[2:3], vcc
	s_cbranch_execz .LBB61_145
; %bb.144:
	buffer_load_dword v81, off, s[20:23], 0 offset:616 ; 4-byte Folded Reload
	buffer_load_dword v82, off, s[20:23], 0 offset:620 ; 4-byte Folded Reload
	;; [unrolled: 1-line block ×4, first 2 shown]
	ds_read2_b64 v[99:102], v125 offset0:32 offset1:33
	s_waitcnt vmcnt(2)
	v_mul_f64 v[97:98], v[81:82], v[59:60]
	s_waitcnt vmcnt(0)
	v_mul_f64 v[59:60], v[83:84], v[59:60]
	v_fma_f64 v[97:98], v[83:84], v[57:58], v[97:98]
	v_fma_f64 v[57:58], v[81:82], v[57:58], -v[59:60]
	s_waitcnt lgkmcnt(0)
	v_mul_f64 v[59:60], v[101:102], v[97:98]
	v_fma_f64 v[59:60], v[99:100], v[57:58], -v[59:60]
	v_mul_f64 v[99:100], v[99:100], v[97:98]
	v_add_f64 v[53:54], v[53:54], -v[59:60]
	v_fma_f64 v[99:100], v[101:102], v[57:58], v[99:100]
	v_add_f64 v[55:56], v[55:56], -v[99:100]
	ds_read2_b64 v[99:102], v125 offset0:34 offset1:35
	s_waitcnt lgkmcnt(0)
	v_mul_f64 v[59:60], v[101:102], v[97:98]
	v_fma_f64 v[59:60], v[99:100], v[57:58], -v[59:60]
	v_mul_f64 v[99:100], v[99:100], v[97:98]
	v_add_f64 v[49:50], v[49:50], -v[59:60]
	v_fma_f64 v[99:100], v[101:102], v[57:58], v[99:100]
	v_add_f64 v[51:52], v[51:52], -v[99:100]
	ds_read2_b64 v[99:102], v125 offset0:36 offset1:37
	s_waitcnt lgkmcnt(0)
	v_mul_f64 v[59:60], v[101:102], v[97:98]
	v_fma_f64 v[59:60], v[99:100], v[57:58], -v[59:60]
	v_mul_f64 v[99:100], v[99:100], v[97:98]
	v_add_f64 v[45:46], v[45:46], -v[59:60]
	v_fma_f64 v[99:100], v[101:102], v[57:58], v[99:100]
	v_add_f64 v[47:48], v[47:48], -v[99:100]
	ds_read2_b64 v[99:102], v125 offset0:38 offset1:39
	s_waitcnt lgkmcnt(0)
	v_mul_f64 v[59:60], v[101:102], v[97:98]
	v_fma_f64 v[59:60], v[99:100], v[57:58], -v[59:60]
	v_mul_f64 v[99:100], v[99:100], v[97:98]
	v_add_f64 v[41:42], v[41:42], -v[59:60]
	v_fma_f64 v[99:100], v[101:102], v[57:58], v[99:100]
	v_add_f64 v[43:44], v[43:44], -v[99:100]
	ds_read2_b64 v[99:102], v125 offset0:40 offset1:41
	s_waitcnt lgkmcnt(0)
	v_mul_f64 v[59:60], v[101:102], v[97:98]
	v_fma_f64 v[59:60], v[99:100], v[57:58], -v[59:60]
	v_mul_f64 v[99:100], v[99:100], v[97:98]
	v_add_f64 v[37:38], v[37:38], -v[59:60]
	v_fma_f64 v[99:100], v[101:102], v[57:58], v[99:100]
	v_add_f64 v[39:40], v[39:40], -v[99:100]
	ds_read2_b64 v[99:102], v125 offset0:42 offset1:43
	s_waitcnt lgkmcnt(0)
	v_mul_f64 v[59:60], v[101:102], v[97:98]
	v_fma_f64 v[59:60], v[99:100], v[57:58], -v[59:60]
	v_mul_f64 v[99:100], v[99:100], v[97:98]
	v_add_f64 v[33:34], v[33:34], -v[59:60]
	v_fma_f64 v[99:100], v[101:102], v[57:58], v[99:100]
	v_add_f64 v[35:36], v[35:36], -v[99:100]
	ds_read2_b64 v[99:102], v125 offset0:44 offset1:45
	s_waitcnt lgkmcnt(0)
	v_mul_f64 v[59:60], v[101:102], v[97:98]
	v_fma_f64 v[59:60], v[99:100], v[57:58], -v[59:60]
	v_mul_f64 v[99:100], v[99:100], v[97:98]
	v_add_f64 v[29:30], v[29:30], -v[59:60]
	v_fma_f64 v[99:100], v[101:102], v[57:58], v[99:100]
	v_add_f64 v[31:32], v[31:32], -v[99:100]
	ds_read2_b64 v[99:102], v125 offset0:46 offset1:47
	s_waitcnt lgkmcnt(0)
	v_mul_f64 v[59:60], v[101:102], v[97:98]
	v_fma_f64 v[59:60], v[99:100], v[57:58], -v[59:60]
	v_mul_f64 v[99:100], v[99:100], v[97:98]
	v_add_f64 v[25:26], v[25:26], -v[59:60]
	v_fma_f64 v[99:100], v[101:102], v[57:58], v[99:100]
	v_add_f64 v[27:28], v[27:28], -v[99:100]
	ds_read2_b64 v[99:102], v125 offset0:48 offset1:49
	s_waitcnt lgkmcnt(0)
	v_mul_f64 v[59:60], v[101:102], v[97:98]
	v_fma_f64 v[59:60], v[99:100], v[57:58], -v[59:60]
	v_mul_f64 v[99:100], v[99:100], v[97:98]
	v_add_f64 v[21:22], v[21:22], -v[59:60]
	v_fma_f64 v[99:100], v[101:102], v[57:58], v[99:100]
	v_add_f64 v[23:24], v[23:24], -v[99:100]
	ds_read2_b64 v[99:102], v125 offset0:50 offset1:51
	s_waitcnt lgkmcnt(0)
	v_mul_f64 v[59:60], v[101:102], v[97:98]
	v_fma_f64 v[59:60], v[99:100], v[57:58], -v[59:60]
	v_mul_f64 v[99:100], v[99:100], v[97:98]
	v_add_f64 v[17:18], v[17:18], -v[59:60]
	v_fma_f64 v[99:100], v[101:102], v[57:58], v[99:100]
	v_add_f64 v[19:20], v[19:20], -v[99:100]
	ds_read2_b64 v[99:102], v125 offset0:52 offset1:53
	s_waitcnt lgkmcnt(0)
	v_mul_f64 v[59:60], v[101:102], v[97:98]
	v_fma_f64 v[59:60], v[99:100], v[57:58], -v[59:60]
	v_mul_f64 v[99:100], v[99:100], v[97:98]
	v_add_f64 v[13:14], v[13:14], -v[59:60]
	v_fma_f64 v[99:100], v[101:102], v[57:58], v[99:100]
	v_add_f64 v[15:16], v[15:16], -v[99:100]
	ds_read2_b64 v[99:102], v125 offset0:54 offset1:55
	s_waitcnt lgkmcnt(0)
	v_mul_f64 v[59:60], v[101:102], v[97:98]
	v_fma_f64 v[59:60], v[99:100], v[57:58], -v[59:60]
	v_mul_f64 v[99:100], v[99:100], v[97:98]
	v_add_f64 v[9:10], v[9:10], -v[59:60]
	v_fma_f64 v[99:100], v[101:102], v[57:58], v[99:100]
	v_add_f64 v[11:12], v[11:12], -v[99:100]
	ds_read2_b64 v[99:102], v125 offset0:56 offset1:57
	s_waitcnt lgkmcnt(0)
	v_mul_f64 v[59:60], v[101:102], v[97:98]
	v_fma_f64 v[59:60], v[99:100], v[57:58], -v[59:60]
	v_mul_f64 v[99:100], v[99:100], v[97:98]
	v_add_f64 v[5:6], v[5:6], -v[59:60]
	v_fma_f64 v[99:100], v[101:102], v[57:58], v[99:100]
	v_add_f64 v[7:8], v[7:8], -v[99:100]
	ds_read2_b64 v[99:102], v125 offset0:58 offset1:59
	s_waitcnt lgkmcnt(0)
	v_mul_f64 v[59:60], v[101:102], v[97:98]
	v_fma_f64 v[59:60], v[99:100], v[57:58], -v[59:60]
	v_mul_f64 v[99:100], v[99:100], v[97:98]
	v_add_f64 v[1:2], v[1:2], -v[59:60]
	v_fma_f64 v[99:100], v[101:102], v[57:58], v[99:100]
	v_add_f64 v[3:4], v[3:4], -v[99:100]
	ds_read2_b64 v[99:102], v125 offset0:60 offset1:61
	s_waitcnt lgkmcnt(0)
	v_mul_f64 v[59:60], v[101:102], v[97:98]
	v_fma_f64 v[59:60], v[99:100], v[57:58], -v[59:60]
	v_mul_f64 v[99:100], v[99:100], v[97:98]
	v_add_f64 v[105:106], v[105:106], -v[59:60]
	v_fma_f64 v[99:100], v[101:102], v[57:58], v[99:100]
	v_mov_b32_e32 v59, v97
	v_mov_b32_e32 v60, v98
	v_add_f64 v[107:108], v[107:108], -v[99:100]
.LBB61_145:
	s_or_b64 exec, exec, s[2:3]
	v_cmp_eq_u32_e32 vcc, 16, v0
	s_waitcnt vmcnt(0)
	s_barrier
	s_and_saveexec_b64 s[4:5], vcc
	s_cbranch_execz .LBB61_152
; %bb.146:
	ds_write2_b64 v127, v[53:54], v[55:56] offset1:1
	ds_write2_b64 v125, v[49:50], v[51:52] offset0:34 offset1:35
	ds_write2_b64 v125, v[45:46], v[47:48] offset0:36 offset1:37
	;; [unrolled: 1-line block ×14, first 2 shown]
	ds_read2_b64 v[97:100], v127 offset1:1
	s_waitcnt lgkmcnt(0)
	v_cmp_neq_f64_e32 vcc, 0, v[97:98]
	v_cmp_neq_f64_e64 s[2:3], 0, v[99:100]
	s_or_b64 s[2:3], vcc, s[2:3]
	s_and_b64 exec, exec, s[2:3]
	s_cbranch_execz .LBB61_152
; %bb.147:
	v_cmp_ngt_f64_e64 s[2:3], |v[97:98]|, |v[99:100]|
                                        ; implicit-def: $vgpr101_vgpr102
	s_and_saveexec_b64 s[6:7], s[2:3]
	s_xor_b64 s[2:3], exec, s[6:7]
                                        ; implicit-def: $vgpr103_vgpr104
	s_cbranch_execz .LBB61_149
; %bb.148:
	v_div_scale_f64 v[101:102], s[6:7], v[99:100], v[99:100], v[97:98]
	v_rcp_f64_e32 v[103:104], v[101:102]
	v_fma_f64 v[109:110], -v[101:102], v[103:104], 1.0
	v_fma_f64 v[103:104], v[103:104], v[109:110], v[103:104]
	v_div_scale_f64 v[109:110], vcc, v[97:98], v[99:100], v[97:98]
	v_fma_f64 v[111:112], -v[101:102], v[103:104], 1.0
	v_fma_f64 v[103:104], v[103:104], v[111:112], v[103:104]
	v_mul_f64 v[111:112], v[109:110], v[103:104]
	v_fma_f64 v[101:102], -v[101:102], v[111:112], v[109:110]
	v_div_fmas_f64 v[101:102], v[101:102], v[103:104], v[111:112]
	v_div_fixup_f64 v[101:102], v[101:102], v[99:100], v[97:98]
	v_fma_f64 v[97:98], v[97:98], v[101:102], v[99:100]
	v_div_scale_f64 v[99:100], s[6:7], v[97:98], v[97:98], 1.0
	v_div_scale_f64 v[111:112], vcc, 1.0, v[97:98], 1.0
	v_rcp_f64_e32 v[103:104], v[99:100]
	v_fma_f64 v[109:110], -v[99:100], v[103:104], 1.0
	v_fma_f64 v[103:104], v[103:104], v[109:110], v[103:104]
	v_fma_f64 v[109:110], -v[99:100], v[103:104], 1.0
	v_fma_f64 v[103:104], v[103:104], v[109:110], v[103:104]
	v_mul_f64 v[109:110], v[111:112], v[103:104]
	v_fma_f64 v[99:100], -v[99:100], v[109:110], v[111:112]
	v_div_fmas_f64 v[99:100], v[99:100], v[103:104], v[109:110]
	v_div_fixup_f64 v[103:104], v[99:100], v[97:98], 1.0
                                        ; implicit-def: $vgpr97_vgpr98
	v_mul_f64 v[101:102], v[101:102], v[103:104]
	v_xor_b32_e32 v104, 0x80000000, v104
.LBB61_149:
	s_andn2_saveexec_b64 s[2:3], s[2:3]
	s_cbranch_execz .LBB61_151
; %bb.150:
	v_div_scale_f64 v[101:102], s[6:7], v[97:98], v[97:98], v[99:100]
	v_rcp_f64_e32 v[103:104], v[101:102]
	v_fma_f64 v[109:110], -v[101:102], v[103:104], 1.0
	v_fma_f64 v[103:104], v[103:104], v[109:110], v[103:104]
	v_div_scale_f64 v[109:110], vcc, v[99:100], v[97:98], v[99:100]
	v_fma_f64 v[111:112], -v[101:102], v[103:104], 1.0
	v_fma_f64 v[103:104], v[103:104], v[111:112], v[103:104]
	v_mul_f64 v[111:112], v[109:110], v[103:104]
	v_fma_f64 v[101:102], -v[101:102], v[111:112], v[109:110]
	v_div_fmas_f64 v[101:102], v[101:102], v[103:104], v[111:112]
	v_div_fixup_f64 v[103:104], v[101:102], v[97:98], v[99:100]
	v_fma_f64 v[97:98], v[99:100], v[103:104], v[97:98]
	v_div_scale_f64 v[99:100], s[6:7], v[97:98], v[97:98], 1.0
	v_div_scale_f64 v[111:112], vcc, 1.0, v[97:98], 1.0
	v_rcp_f64_e32 v[101:102], v[99:100]
	v_fma_f64 v[109:110], -v[99:100], v[101:102], 1.0
	v_fma_f64 v[101:102], v[101:102], v[109:110], v[101:102]
	v_fma_f64 v[109:110], -v[99:100], v[101:102], 1.0
	v_fma_f64 v[101:102], v[101:102], v[109:110], v[101:102]
	v_mul_f64 v[109:110], v[111:112], v[101:102]
	v_fma_f64 v[99:100], -v[99:100], v[109:110], v[111:112]
	v_div_fmas_f64 v[99:100], v[99:100], v[101:102], v[109:110]
	v_div_fixup_f64 v[101:102], v[99:100], v[97:98], 1.0
	v_mul_f64 v[103:104], v[103:104], -v[101:102]
.LBB61_151:
	s_or_b64 exec, exec, s[2:3]
	ds_write2_b64 v127, v[101:102], v[103:104] offset1:1
.LBB61_152:
	s_or_b64 exec, exec, s[4:5]
	s_waitcnt lgkmcnt(0)
	s_barrier
	ds_read2_b64 v[81:84], v127 offset1:1
	v_cmp_lt_u32_e32 vcc, 16, v0
	s_waitcnt lgkmcnt(0)
	buffer_store_dword v81, off, s[20:23], 0 offset:632 ; 4-byte Folded Spill
	s_nop 0
	buffer_store_dword v82, off, s[20:23], 0 offset:636 ; 4-byte Folded Spill
	buffer_store_dword v83, off, s[20:23], 0 offset:640 ; 4-byte Folded Spill
	;; [unrolled: 1-line block ×3, first 2 shown]
	s_and_saveexec_b64 s[2:3], vcc
	s_cbranch_execz .LBB61_154
; %bb.153:
	buffer_load_dword v81, off, s[20:23], 0 offset:632 ; 4-byte Folded Reload
	buffer_load_dword v82, off, s[20:23], 0 offset:636 ; 4-byte Folded Reload
	;; [unrolled: 1-line block ×4, first 2 shown]
	ds_read2_b64 v[99:102], v125 offset0:34 offset1:35
	s_waitcnt vmcnt(2)
	v_mul_f64 v[97:98], v[81:82], v[55:56]
	s_waitcnt vmcnt(0)
	v_mul_f64 v[55:56], v[83:84], v[55:56]
	v_fma_f64 v[97:98], v[83:84], v[53:54], v[97:98]
	v_fma_f64 v[53:54], v[81:82], v[53:54], -v[55:56]
	s_waitcnt lgkmcnt(0)
	v_mul_f64 v[55:56], v[101:102], v[97:98]
	v_fma_f64 v[55:56], v[99:100], v[53:54], -v[55:56]
	v_mul_f64 v[99:100], v[99:100], v[97:98]
	v_add_f64 v[49:50], v[49:50], -v[55:56]
	v_fma_f64 v[99:100], v[101:102], v[53:54], v[99:100]
	v_add_f64 v[51:52], v[51:52], -v[99:100]
	ds_read2_b64 v[99:102], v125 offset0:36 offset1:37
	s_waitcnt lgkmcnt(0)
	v_mul_f64 v[55:56], v[101:102], v[97:98]
	v_fma_f64 v[55:56], v[99:100], v[53:54], -v[55:56]
	v_mul_f64 v[99:100], v[99:100], v[97:98]
	v_add_f64 v[45:46], v[45:46], -v[55:56]
	v_fma_f64 v[99:100], v[101:102], v[53:54], v[99:100]
	v_add_f64 v[47:48], v[47:48], -v[99:100]
	ds_read2_b64 v[99:102], v125 offset0:38 offset1:39
	;; [unrolled: 8-line block ×13, first 2 shown]
	s_waitcnt lgkmcnt(0)
	v_mul_f64 v[55:56], v[101:102], v[97:98]
	v_fma_f64 v[55:56], v[99:100], v[53:54], -v[55:56]
	v_mul_f64 v[99:100], v[99:100], v[97:98]
	v_add_f64 v[105:106], v[105:106], -v[55:56]
	v_fma_f64 v[99:100], v[101:102], v[53:54], v[99:100]
	v_mov_b32_e32 v55, v97
	v_mov_b32_e32 v56, v98
	v_add_f64 v[107:108], v[107:108], -v[99:100]
.LBB61_154:
	s_or_b64 exec, exec, s[2:3]
	v_cmp_eq_u32_e32 vcc, 17, v0
	s_waitcnt vmcnt(0)
	s_barrier
	s_and_saveexec_b64 s[4:5], vcc
	s_cbranch_execz .LBB61_161
; %bb.155:
	ds_write2_b64 v127, v[49:50], v[51:52] offset1:1
	ds_write2_b64 v125, v[45:46], v[47:48] offset0:36 offset1:37
	ds_write2_b64 v125, v[41:42], v[43:44] offset0:38 offset1:39
	;; [unrolled: 1-line block ×13, first 2 shown]
	ds_read2_b64 v[97:100], v127 offset1:1
	s_waitcnt lgkmcnt(0)
	v_cmp_neq_f64_e32 vcc, 0, v[97:98]
	v_cmp_neq_f64_e64 s[2:3], 0, v[99:100]
	s_or_b64 s[2:3], vcc, s[2:3]
	s_and_b64 exec, exec, s[2:3]
	s_cbranch_execz .LBB61_161
; %bb.156:
	v_cmp_ngt_f64_e64 s[2:3], |v[97:98]|, |v[99:100]|
                                        ; implicit-def: $vgpr101_vgpr102
	s_and_saveexec_b64 s[6:7], s[2:3]
	s_xor_b64 s[2:3], exec, s[6:7]
                                        ; implicit-def: $vgpr103_vgpr104
	s_cbranch_execz .LBB61_158
; %bb.157:
	v_div_scale_f64 v[101:102], s[6:7], v[99:100], v[99:100], v[97:98]
	v_rcp_f64_e32 v[103:104], v[101:102]
	v_fma_f64 v[109:110], -v[101:102], v[103:104], 1.0
	v_fma_f64 v[103:104], v[103:104], v[109:110], v[103:104]
	v_div_scale_f64 v[109:110], vcc, v[97:98], v[99:100], v[97:98]
	v_fma_f64 v[111:112], -v[101:102], v[103:104], 1.0
	v_fma_f64 v[103:104], v[103:104], v[111:112], v[103:104]
	v_mul_f64 v[111:112], v[109:110], v[103:104]
	v_fma_f64 v[101:102], -v[101:102], v[111:112], v[109:110]
	v_div_fmas_f64 v[101:102], v[101:102], v[103:104], v[111:112]
	v_div_fixup_f64 v[101:102], v[101:102], v[99:100], v[97:98]
	v_fma_f64 v[97:98], v[97:98], v[101:102], v[99:100]
	v_div_scale_f64 v[99:100], s[6:7], v[97:98], v[97:98], 1.0
	v_div_scale_f64 v[111:112], vcc, 1.0, v[97:98], 1.0
	v_rcp_f64_e32 v[103:104], v[99:100]
	v_fma_f64 v[109:110], -v[99:100], v[103:104], 1.0
	v_fma_f64 v[103:104], v[103:104], v[109:110], v[103:104]
	v_fma_f64 v[109:110], -v[99:100], v[103:104], 1.0
	v_fma_f64 v[103:104], v[103:104], v[109:110], v[103:104]
	v_mul_f64 v[109:110], v[111:112], v[103:104]
	v_fma_f64 v[99:100], -v[99:100], v[109:110], v[111:112]
	v_div_fmas_f64 v[99:100], v[99:100], v[103:104], v[109:110]
	v_div_fixup_f64 v[103:104], v[99:100], v[97:98], 1.0
                                        ; implicit-def: $vgpr97_vgpr98
	v_mul_f64 v[101:102], v[101:102], v[103:104]
	v_xor_b32_e32 v104, 0x80000000, v104
.LBB61_158:
	s_andn2_saveexec_b64 s[2:3], s[2:3]
	s_cbranch_execz .LBB61_160
; %bb.159:
	v_div_scale_f64 v[101:102], s[6:7], v[97:98], v[97:98], v[99:100]
	v_rcp_f64_e32 v[103:104], v[101:102]
	v_fma_f64 v[109:110], -v[101:102], v[103:104], 1.0
	v_fma_f64 v[103:104], v[103:104], v[109:110], v[103:104]
	v_div_scale_f64 v[109:110], vcc, v[99:100], v[97:98], v[99:100]
	v_fma_f64 v[111:112], -v[101:102], v[103:104], 1.0
	v_fma_f64 v[103:104], v[103:104], v[111:112], v[103:104]
	v_mul_f64 v[111:112], v[109:110], v[103:104]
	v_fma_f64 v[101:102], -v[101:102], v[111:112], v[109:110]
	v_div_fmas_f64 v[101:102], v[101:102], v[103:104], v[111:112]
	v_div_fixup_f64 v[103:104], v[101:102], v[97:98], v[99:100]
	v_fma_f64 v[97:98], v[99:100], v[103:104], v[97:98]
	v_div_scale_f64 v[99:100], s[6:7], v[97:98], v[97:98], 1.0
	v_div_scale_f64 v[111:112], vcc, 1.0, v[97:98], 1.0
	v_rcp_f64_e32 v[101:102], v[99:100]
	v_fma_f64 v[109:110], -v[99:100], v[101:102], 1.0
	v_fma_f64 v[101:102], v[101:102], v[109:110], v[101:102]
	v_fma_f64 v[109:110], -v[99:100], v[101:102], 1.0
	v_fma_f64 v[101:102], v[101:102], v[109:110], v[101:102]
	v_mul_f64 v[109:110], v[111:112], v[101:102]
	v_fma_f64 v[99:100], -v[99:100], v[109:110], v[111:112]
	v_div_fmas_f64 v[99:100], v[99:100], v[101:102], v[109:110]
	v_div_fixup_f64 v[101:102], v[99:100], v[97:98], 1.0
	v_mul_f64 v[103:104], v[103:104], -v[101:102]
.LBB61_160:
	s_or_b64 exec, exec, s[2:3]
	ds_write2_b64 v127, v[101:102], v[103:104] offset1:1
.LBB61_161:
	s_or_b64 exec, exec, s[4:5]
	s_waitcnt lgkmcnt(0)
	s_barrier
	ds_read2_b64 v[81:84], v127 offset1:1
	v_cmp_lt_u32_e32 vcc, 17, v0
	s_waitcnt lgkmcnt(0)
	buffer_store_dword v81, off, s[20:23], 0 offset:648 ; 4-byte Folded Spill
	s_nop 0
	buffer_store_dword v82, off, s[20:23], 0 offset:652 ; 4-byte Folded Spill
	buffer_store_dword v83, off, s[20:23], 0 offset:656 ; 4-byte Folded Spill
	;; [unrolled: 1-line block ×3, first 2 shown]
	s_and_saveexec_b64 s[2:3], vcc
	s_cbranch_execz .LBB61_163
; %bb.162:
	buffer_load_dword v81, off, s[20:23], 0 offset:648 ; 4-byte Folded Reload
	buffer_load_dword v82, off, s[20:23], 0 offset:652 ; 4-byte Folded Reload
	;; [unrolled: 1-line block ×4, first 2 shown]
	ds_read2_b64 v[99:102], v125 offset0:36 offset1:37
	s_waitcnt vmcnt(2)
	v_mul_f64 v[97:98], v[81:82], v[51:52]
	s_waitcnt vmcnt(0)
	v_mul_f64 v[51:52], v[83:84], v[51:52]
	v_fma_f64 v[97:98], v[83:84], v[49:50], v[97:98]
	v_fma_f64 v[49:50], v[81:82], v[49:50], -v[51:52]
	s_waitcnt lgkmcnt(0)
	v_mul_f64 v[51:52], v[101:102], v[97:98]
	v_fma_f64 v[51:52], v[99:100], v[49:50], -v[51:52]
	v_mul_f64 v[99:100], v[99:100], v[97:98]
	v_add_f64 v[45:46], v[45:46], -v[51:52]
	v_fma_f64 v[99:100], v[101:102], v[49:50], v[99:100]
	v_add_f64 v[47:48], v[47:48], -v[99:100]
	ds_read2_b64 v[99:102], v125 offset0:38 offset1:39
	s_waitcnt lgkmcnt(0)
	v_mul_f64 v[51:52], v[101:102], v[97:98]
	v_fma_f64 v[51:52], v[99:100], v[49:50], -v[51:52]
	v_mul_f64 v[99:100], v[99:100], v[97:98]
	v_add_f64 v[41:42], v[41:42], -v[51:52]
	v_fma_f64 v[99:100], v[101:102], v[49:50], v[99:100]
	v_add_f64 v[43:44], v[43:44], -v[99:100]
	ds_read2_b64 v[99:102], v125 offset0:40 offset1:41
	;; [unrolled: 8-line block ×12, first 2 shown]
	s_waitcnt lgkmcnt(0)
	v_mul_f64 v[51:52], v[101:102], v[97:98]
	v_fma_f64 v[51:52], v[99:100], v[49:50], -v[51:52]
	v_mul_f64 v[99:100], v[99:100], v[97:98]
	v_add_f64 v[105:106], v[105:106], -v[51:52]
	v_fma_f64 v[99:100], v[101:102], v[49:50], v[99:100]
	v_mov_b32_e32 v51, v97
	v_mov_b32_e32 v52, v98
	v_add_f64 v[107:108], v[107:108], -v[99:100]
.LBB61_163:
	s_or_b64 exec, exec, s[2:3]
	v_cmp_eq_u32_e32 vcc, 18, v0
	s_waitcnt vmcnt(0)
	s_barrier
	s_and_saveexec_b64 s[4:5], vcc
	s_cbranch_execz .LBB61_170
; %bb.164:
	ds_write2_b64 v127, v[45:46], v[47:48] offset1:1
	ds_write2_b64 v125, v[41:42], v[43:44] offset0:38 offset1:39
	ds_write2_b64 v125, v[37:38], v[39:40] offset0:40 offset1:41
	;; [unrolled: 1-line block ×12, first 2 shown]
	ds_read2_b64 v[97:100], v127 offset1:1
	s_waitcnt lgkmcnt(0)
	v_cmp_neq_f64_e32 vcc, 0, v[97:98]
	v_cmp_neq_f64_e64 s[2:3], 0, v[99:100]
	s_or_b64 s[2:3], vcc, s[2:3]
	s_and_b64 exec, exec, s[2:3]
	s_cbranch_execz .LBB61_170
; %bb.165:
	v_cmp_ngt_f64_e64 s[2:3], |v[97:98]|, |v[99:100]|
                                        ; implicit-def: $vgpr101_vgpr102
	s_and_saveexec_b64 s[6:7], s[2:3]
	s_xor_b64 s[2:3], exec, s[6:7]
                                        ; implicit-def: $vgpr103_vgpr104
	s_cbranch_execz .LBB61_167
; %bb.166:
	v_div_scale_f64 v[101:102], s[6:7], v[99:100], v[99:100], v[97:98]
	v_rcp_f64_e32 v[103:104], v[101:102]
	v_fma_f64 v[109:110], -v[101:102], v[103:104], 1.0
	v_fma_f64 v[103:104], v[103:104], v[109:110], v[103:104]
	v_div_scale_f64 v[109:110], vcc, v[97:98], v[99:100], v[97:98]
	v_fma_f64 v[111:112], -v[101:102], v[103:104], 1.0
	v_fma_f64 v[103:104], v[103:104], v[111:112], v[103:104]
	v_mul_f64 v[111:112], v[109:110], v[103:104]
	v_fma_f64 v[101:102], -v[101:102], v[111:112], v[109:110]
	v_div_fmas_f64 v[101:102], v[101:102], v[103:104], v[111:112]
	v_div_fixup_f64 v[101:102], v[101:102], v[99:100], v[97:98]
	v_fma_f64 v[97:98], v[97:98], v[101:102], v[99:100]
	v_div_scale_f64 v[99:100], s[6:7], v[97:98], v[97:98], 1.0
	v_div_scale_f64 v[111:112], vcc, 1.0, v[97:98], 1.0
	v_rcp_f64_e32 v[103:104], v[99:100]
	v_fma_f64 v[109:110], -v[99:100], v[103:104], 1.0
	v_fma_f64 v[103:104], v[103:104], v[109:110], v[103:104]
	v_fma_f64 v[109:110], -v[99:100], v[103:104], 1.0
	v_fma_f64 v[103:104], v[103:104], v[109:110], v[103:104]
	v_mul_f64 v[109:110], v[111:112], v[103:104]
	v_fma_f64 v[99:100], -v[99:100], v[109:110], v[111:112]
	v_div_fmas_f64 v[99:100], v[99:100], v[103:104], v[109:110]
	v_div_fixup_f64 v[103:104], v[99:100], v[97:98], 1.0
                                        ; implicit-def: $vgpr97_vgpr98
	v_mul_f64 v[101:102], v[101:102], v[103:104]
	v_xor_b32_e32 v104, 0x80000000, v104
.LBB61_167:
	s_andn2_saveexec_b64 s[2:3], s[2:3]
	s_cbranch_execz .LBB61_169
; %bb.168:
	v_div_scale_f64 v[101:102], s[6:7], v[97:98], v[97:98], v[99:100]
	v_rcp_f64_e32 v[103:104], v[101:102]
	v_fma_f64 v[109:110], -v[101:102], v[103:104], 1.0
	v_fma_f64 v[103:104], v[103:104], v[109:110], v[103:104]
	v_div_scale_f64 v[109:110], vcc, v[99:100], v[97:98], v[99:100]
	v_fma_f64 v[111:112], -v[101:102], v[103:104], 1.0
	v_fma_f64 v[103:104], v[103:104], v[111:112], v[103:104]
	v_mul_f64 v[111:112], v[109:110], v[103:104]
	v_fma_f64 v[101:102], -v[101:102], v[111:112], v[109:110]
	v_div_fmas_f64 v[101:102], v[101:102], v[103:104], v[111:112]
	v_div_fixup_f64 v[103:104], v[101:102], v[97:98], v[99:100]
	v_fma_f64 v[97:98], v[99:100], v[103:104], v[97:98]
	v_div_scale_f64 v[99:100], s[6:7], v[97:98], v[97:98], 1.0
	v_div_scale_f64 v[111:112], vcc, 1.0, v[97:98], 1.0
	v_rcp_f64_e32 v[101:102], v[99:100]
	v_fma_f64 v[109:110], -v[99:100], v[101:102], 1.0
	v_fma_f64 v[101:102], v[101:102], v[109:110], v[101:102]
	v_fma_f64 v[109:110], -v[99:100], v[101:102], 1.0
	v_fma_f64 v[101:102], v[101:102], v[109:110], v[101:102]
	v_mul_f64 v[109:110], v[111:112], v[101:102]
	v_fma_f64 v[99:100], -v[99:100], v[109:110], v[111:112]
	v_div_fmas_f64 v[99:100], v[99:100], v[101:102], v[109:110]
	v_div_fixup_f64 v[101:102], v[99:100], v[97:98], 1.0
	v_mul_f64 v[103:104], v[103:104], -v[101:102]
.LBB61_169:
	s_or_b64 exec, exec, s[2:3]
	ds_write2_b64 v127, v[101:102], v[103:104] offset1:1
.LBB61_170:
	s_or_b64 exec, exec, s[4:5]
	s_waitcnt lgkmcnt(0)
	s_barrier
	ds_read2_b64 v[81:84], v127 offset1:1
	v_cmp_lt_u32_e32 vcc, 18, v0
	s_waitcnt lgkmcnt(0)
	buffer_store_dword v81, off, s[20:23], 0 offset:664 ; 4-byte Folded Spill
	s_nop 0
	buffer_store_dword v82, off, s[20:23], 0 offset:668 ; 4-byte Folded Spill
	buffer_store_dword v83, off, s[20:23], 0 offset:672 ; 4-byte Folded Spill
	;; [unrolled: 1-line block ×3, first 2 shown]
	s_and_saveexec_b64 s[2:3], vcc
	s_cbranch_execz .LBB61_172
; %bb.171:
	buffer_load_dword v81, off, s[20:23], 0 offset:664 ; 4-byte Folded Reload
	buffer_load_dword v82, off, s[20:23], 0 offset:668 ; 4-byte Folded Reload
	;; [unrolled: 1-line block ×4, first 2 shown]
	ds_read2_b64 v[99:102], v125 offset0:38 offset1:39
	s_waitcnt vmcnt(2)
	v_mul_f64 v[97:98], v[81:82], v[47:48]
	s_waitcnt vmcnt(0)
	v_mul_f64 v[47:48], v[83:84], v[47:48]
	v_fma_f64 v[97:98], v[83:84], v[45:46], v[97:98]
	v_fma_f64 v[45:46], v[81:82], v[45:46], -v[47:48]
	s_waitcnt lgkmcnt(0)
	v_mul_f64 v[47:48], v[101:102], v[97:98]
	v_fma_f64 v[47:48], v[99:100], v[45:46], -v[47:48]
	v_mul_f64 v[99:100], v[99:100], v[97:98]
	v_add_f64 v[41:42], v[41:42], -v[47:48]
	v_fma_f64 v[99:100], v[101:102], v[45:46], v[99:100]
	v_add_f64 v[43:44], v[43:44], -v[99:100]
	ds_read2_b64 v[99:102], v125 offset0:40 offset1:41
	s_waitcnt lgkmcnt(0)
	v_mul_f64 v[47:48], v[101:102], v[97:98]
	v_fma_f64 v[47:48], v[99:100], v[45:46], -v[47:48]
	v_mul_f64 v[99:100], v[99:100], v[97:98]
	v_add_f64 v[37:38], v[37:38], -v[47:48]
	v_fma_f64 v[99:100], v[101:102], v[45:46], v[99:100]
	v_add_f64 v[39:40], v[39:40], -v[99:100]
	ds_read2_b64 v[99:102], v125 offset0:42 offset1:43
	;; [unrolled: 8-line block ×11, first 2 shown]
	s_waitcnt lgkmcnt(0)
	v_mul_f64 v[47:48], v[101:102], v[97:98]
	v_fma_f64 v[47:48], v[99:100], v[45:46], -v[47:48]
	v_mul_f64 v[99:100], v[99:100], v[97:98]
	v_add_f64 v[105:106], v[105:106], -v[47:48]
	v_fma_f64 v[99:100], v[101:102], v[45:46], v[99:100]
	v_mov_b32_e32 v47, v97
	v_mov_b32_e32 v48, v98
	v_add_f64 v[107:108], v[107:108], -v[99:100]
.LBB61_172:
	s_or_b64 exec, exec, s[2:3]
	v_cmp_eq_u32_e32 vcc, 19, v0
	s_waitcnt vmcnt(0)
	s_barrier
	s_and_saveexec_b64 s[4:5], vcc
	s_cbranch_execz .LBB61_179
; %bb.173:
	ds_write2_b64 v127, v[41:42], v[43:44] offset1:1
	ds_write2_b64 v125, v[37:38], v[39:40] offset0:40 offset1:41
	ds_write2_b64 v125, v[33:34], v[35:36] offset0:42 offset1:43
	;; [unrolled: 1-line block ×11, first 2 shown]
	ds_read2_b64 v[97:100], v127 offset1:1
	s_waitcnt lgkmcnt(0)
	v_cmp_neq_f64_e32 vcc, 0, v[97:98]
	v_cmp_neq_f64_e64 s[2:3], 0, v[99:100]
	s_or_b64 s[2:3], vcc, s[2:3]
	s_and_b64 exec, exec, s[2:3]
	s_cbranch_execz .LBB61_179
; %bb.174:
	v_cmp_ngt_f64_e64 s[2:3], |v[97:98]|, |v[99:100]|
                                        ; implicit-def: $vgpr101_vgpr102
	s_and_saveexec_b64 s[6:7], s[2:3]
	s_xor_b64 s[2:3], exec, s[6:7]
                                        ; implicit-def: $vgpr103_vgpr104
	s_cbranch_execz .LBB61_176
; %bb.175:
	v_div_scale_f64 v[101:102], s[6:7], v[99:100], v[99:100], v[97:98]
	v_rcp_f64_e32 v[103:104], v[101:102]
	v_fma_f64 v[109:110], -v[101:102], v[103:104], 1.0
	v_fma_f64 v[103:104], v[103:104], v[109:110], v[103:104]
	v_div_scale_f64 v[109:110], vcc, v[97:98], v[99:100], v[97:98]
	v_fma_f64 v[111:112], -v[101:102], v[103:104], 1.0
	v_fma_f64 v[103:104], v[103:104], v[111:112], v[103:104]
	v_mul_f64 v[111:112], v[109:110], v[103:104]
	v_fma_f64 v[101:102], -v[101:102], v[111:112], v[109:110]
	v_div_fmas_f64 v[101:102], v[101:102], v[103:104], v[111:112]
	v_div_fixup_f64 v[101:102], v[101:102], v[99:100], v[97:98]
	v_fma_f64 v[97:98], v[97:98], v[101:102], v[99:100]
	v_div_scale_f64 v[99:100], s[6:7], v[97:98], v[97:98], 1.0
	v_div_scale_f64 v[111:112], vcc, 1.0, v[97:98], 1.0
	v_rcp_f64_e32 v[103:104], v[99:100]
	v_fma_f64 v[109:110], -v[99:100], v[103:104], 1.0
	v_fma_f64 v[103:104], v[103:104], v[109:110], v[103:104]
	v_fma_f64 v[109:110], -v[99:100], v[103:104], 1.0
	v_fma_f64 v[103:104], v[103:104], v[109:110], v[103:104]
	v_mul_f64 v[109:110], v[111:112], v[103:104]
	v_fma_f64 v[99:100], -v[99:100], v[109:110], v[111:112]
	v_div_fmas_f64 v[99:100], v[99:100], v[103:104], v[109:110]
	v_div_fixup_f64 v[103:104], v[99:100], v[97:98], 1.0
                                        ; implicit-def: $vgpr97_vgpr98
	v_mul_f64 v[101:102], v[101:102], v[103:104]
	v_xor_b32_e32 v104, 0x80000000, v104
.LBB61_176:
	s_andn2_saveexec_b64 s[2:3], s[2:3]
	s_cbranch_execz .LBB61_178
; %bb.177:
	v_div_scale_f64 v[101:102], s[6:7], v[97:98], v[97:98], v[99:100]
	v_rcp_f64_e32 v[103:104], v[101:102]
	v_fma_f64 v[109:110], -v[101:102], v[103:104], 1.0
	v_fma_f64 v[103:104], v[103:104], v[109:110], v[103:104]
	v_div_scale_f64 v[109:110], vcc, v[99:100], v[97:98], v[99:100]
	v_fma_f64 v[111:112], -v[101:102], v[103:104], 1.0
	v_fma_f64 v[103:104], v[103:104], v[111:112], v[103:104]
	v_mul_f64 v[111:112], v[109:110], v[103:104]
	v_fma_f64 v[101:102], -v[101:102], v[111:112], v[109:110]
	v_div_fmas_f64 v[101:102], v[101:102], v[103:104], v[111:112]
	v_div_fixup_f64 v[103:104], v[101:102], v[97:98], v[99:100]
	v_fma_f64 v[97:98], v[99:100], v[103:104], v[97:98]
	v_div_scale_f64 v[99:100], s[6:7], v[97:98], v[97:98], 1.0
	v_div_scale_f64 v[111:112], vcc, 1.0, v[97:98], 1.0
	v_rcp_f64_e32 v[101:102], v[99:100]
	v_fma_f64 v[109:110], -v[99:100], v[101:102], 1.0
	v_fma_f64 v[101:102], v[101:102], v[109:110], v[101:102]
	v_fma_f64 v[109:110], -v[99:100], v[101:102], 1.0
	v_fma_f64 v[101:102], v[101:102], v[109:110], v[101:102]
	v_mul_f64 v[109:110], v[111:112], v[101:102]
	v_fma_f64 v[99:100], -v[99:100], v[109:110], v[111:112]
	v_div_fmas_f64 v[99:100], v[99:100], v[101:102], v[109:110]
	v_div_fixup_f64 v[101:102], v[99:100], v[97:98], 1.0
	v_mul_f64 v[103:104], v[103:104], -v[101:102]
.LBB61_178:
	s_or_b64 exec, exec, s[2:3]
	ds_write2_b64 v127, v[101:102], v[103:104] offset1:1
.LBB61_179:
	s_or_b64 exec, exec, s[4:5]
	s_waitcnt lgkmcnt(0)
	s_barrier
	ds_read2_b64 v[81:84], v127 offset1:1
	v_cmp_lt_u32_e32 vcc, 19, v0
	s_waitcnt lgkmcnt(0)
	buffer_store_dword v81, off, s[20:23], 0 offset:680 ; 4-byte Folded Spill
	s_nop 0
	buffer_store_dword v82, off, s[20:23], 0 offset:684 ; 4-byte Folded Spill
	buffer_store_dword v83, off, s[20:23], 0 offset:688 ; 4-byte Folded Spill
	;; [unrolled: 1-line block ×3, first 2 shown]
	s_and_saveexec_b64 s[2:3], vcc
	s_cbranch_execz .LBB61_181
; %bb.180:
	buffer_load_dword v81, off, s[20:23], 0 offset:680 ; 4-byte Folded Reload
	buffer_load_dword v82, off, s[20:23], 0 offset:684 ; 4-byte Folded Reload
	;; [unrolled: 1-line block ×4, first 2 shown]
	ds_read2_b64 v[99:102], v125 offset0:40 offset1:41
	s_waitcnt vmcnt(2)
	v_mul_f64 v[97:98], v[81:82], v[43:44]
	s_waitcnt vmcnt(0)
	v_mul_f64 v[43:44], v[83:84], v[43:44]
	v_fma_f64 v[97:98], v[83:84], v[41:42], v[97:98]
	v_fma_f64 v[41:42], v[81:82], v[41:42], -v[43:44]
	s_waitcnt lgkmcnt(0)
	v_mul_f64 v[43:44], v[101:102], v[97:98]
	v_fma_f64 v[43:44], v[99:100], v[41:42], -v[43:44]
	v_mul_f64 v[99:100], v[99:100], v[97:98]
	v_add_f64 v[37:38], v[37:38], -v[43:44]
	v_fma_f64 v[99:100], v[101:102], v[41:42], v[99:100]
	v_add_f64 v[39:40], v[39:40], -v[99:100]
	ds_read2_b64 v[99:102], v125 offset0:42 offset1:43
	s_waitcnt lgkmcnt(0)
	v_mul_f64 v[43:44], v[101:102], v[97:98]
	v_fma_f64 v[43:44], v[99:100], v[41:42], -v[43:44]
	v_mul_f64 v[99:100], v[99:100], v[97:98]
	v_add_f64 v[33:34], v[33:34], -v[43:44]
	v_fma_f64 v[99:100], v[101:102], v[41:42], v[99:100]
	v_add_f64 v[35:36], v[35:36], -v[99:100]
	ds_read2_b64 v[99:102], v125 offset0:44 offset1:45
	;; [unrolled: 8-line block ×10, first 2 shown]
	s_waitcnt lgkmcnt(0)
	v_mul_f64 v[43:44], v[101:102], v[97:98]
	v_fma_f64 v[43:44], v[99:100], v[41:42], -v[43:44]
	v_mul_f64 v[99:100], v[99:100], v[97:98]
	v_add_f64 v[105:106], v[105:106], -v[43:44]
	v_fma_f64 v[99:100], v[101:102], v[41:42], v[99:100]
	v_mov_b32_e32 v43, v97
	v_mov_b32_e32 v44, v98
	v_add_f64 v[107:108], v[107:108], -v[99:100]
.LBB61_181:
	s_or_b64 exec, exec, s[2:3]
	v_cmp_eq_u32_e32 vcc, 20, v0
	s_waitcnt vmcnt(0)
	s_barrier
	s_and_saveexec_b64 s[4:5], vcc
	s_cbranch_execz .LBB61_188
; %bb.182:
	ds_write2_b64 v127, v[37:38], v[39:40] offset1:1
	ds_write2_b64 v125, v[33:34], v[35:36] offset0:42 offset1:43
	ds_write2_b64 v125, v[29:30], v[31:32] offset0:44 offset1:45
	;; [unrolled: 1-line block ×10, first 2 shown]
	ds_read2_b64 v[97:100], v127 offset1:1
	s_waitcnt lgkmcnt(0)
	v_cmp_neq_f64_e32 vcc, 0, v[97:98]
	v_cmp_neq_f64_e64 s[2:3], 0, v[99:100]
	s_or_b64 s[2:3], vcc, s[2:3]
	s_and_b64 exec, exec, s[2:3]
	s_cbranch_execz .LBB61_188
; %bb.183:
	v_cmp_ngt_f64_e64 s[2:3], |v[97:98]|, |v[99:100]|
                                        ; implicit-def: $vgpr101_vgpr102
	s_and_saveexec_b64 s[6:7], s[2:3]
	s_xor_b64 s[2:3], exec, s[6:7]
                                        ; implicit-def: $vgpr103_vgpr104
	s_cbranch_execz .LBB61_185
; %bb.184:
	v_div_scale_f64 v[101:102], s[6:7], v[99:100], v[99:100], v[97:98]
	v_rcp_f64_e32 v[103:104], v[101:102]
	v_fma_f64 v[109:110], -v[101:102], v[103:104], 1.0
	v_fma_f64 v[103:104], v[103:104], v[109:110], v[103:104]
	v_div_scale_f64 v[109:110], vcc, v[97:98], v[99:100], v[97:98]
	v_fma_f64 v[111:112], -v[101:102], v[103:104], 1.0
	v_fma_f64 v[103:104], v[103:104], v[111:112], v[103:104]
	v_mul_f64 v[111:112], v[109:110], v[103:104]
	v_fma_f64 v[101:102], -v[101:102], v[111:112], v[109:110]
	v_div_fmas_f64 v[101:102], v[101:102], v[103:104], v[111:112]
	v_div_fixup_f64 v[101:102], v[101:102], v[99:100], v[97:98]
	v_fma_f64 v[97:98], v[97:98], v[101:102], v[99:100]
	v_div_scale_f64 v[99:100], s[6:7], v[97:98], v[97:98], 1.0
	v_div_scale_f64 v[111:112], vcc, 1.0, v[97:98], 1.0
	v_rcp_f64_e32 v[103:104], v[99:100]
	v_fma_f64 v[109:110], -v[99:100], v[103:104], 1.0
	v_fma_f64 v[103:104], v[103:104], v[109:110], v[103:104]
	v_fma_f64 v[109:110], -v[99:100], v[103:104], 1.0
	v_fma_f64 v[103:104], v[103:104], v[109:110], v[103:104]
	v_mul_f64 v[109:110], v[111:112], v[103:104]
	v_fma_f64 v[99:100], -v[99:100], v[109:110], v[111:112]
	v_div_fmas_f64 v[99:100], v[99:100], v[103:104], v[109:110]
	v_div_fixup_f64 v[103:104], v[99:100], v[97:98], 1.0
                                        ; implicit-def: $vgpr97_vgpr98
	v_mul_f64 v[101:102], v[101:102], v[103:104]
	v_xor_b32_e32 v104, 0x80000000, v104
.LBB61_185:
	s_andn2_saveexec_b64 s[2:3], s[2:3]
	s_cbranch_execz .LBB61_187
; %bb.186:
	v_div_scale_f64 v[101:102], s[6:7], v[97:98], v[97:98], v[99:100]
	v_rcp_f64_e32 v[103:104], v[101:102]
	v_fma_f64 v[109:110], -v[101:102], v[103:104], 1.0
	v_fma_f64 v[103:104], v[103:104], v[109:110], v[103:104]
	v_div_scale_f64 v[109:110], vcc, v[99:100], v[97:98], v[99:100]
	v_fma_f64 v[111:112], -v[101:102], v[103:104], 1.0
	v_fma_f64 v[103:104], v[103:104], v[111:112], v[103:104]
	v_mul_f64 v[111:112], v[109:110], v[103:104]
	v_fma_f64 v[101:102], -v[101:102], v[111:112], v[109:110]
	v_div_fmas_f64 v[101:102], v[101:102], v[103:104], v[111:112]
	v_div_fixup_f64 v[103:104], v[101:102], v[97:98], v[99:100]
	v_fma_f64 v[97:98], v[99:100], v[103:104], v[97:98]
	v_div_scale_f64 v[99:100], s[6:7], v[97:98], v[97:98], 1.0
	v_div_scale_f64 v[111:112], vcc, 1.0, v[97:98], 1.0
	v_rcp_f64_e32 v[101:102], v[99:100]
	v_fma_f64 v[109:110], -v[99:100], v[101:102], 1.0
	v_fma_f64 v[101:102], v[101:102], v[109:110], v[101:102]
	v_fma_f64 v[109:110], -v[99:100], v[101:102], 1.0
	v_fma_f64 v[101:102], v[101:102], v[109:110], v[101:102]
	v_mul_f64 v[109:110], v[111:112], v[101:102]
	v_fma_f64 v[99:100], -v[99:100], v[109:110], v[111:112]
	v_div_fmas_f64 v[99:100], v[99:100], v[101:102], v[109:110]
	v_div_fixup_f64 v[101:102], v[99:100], v[97:98], 1.0
	v_mul_f64 v[103:104], v[103:104], -v[101:102]
.LBB61_187:
	s_or_b64 exec, exec, s[2:3]
	ds_write2_b64 v127, v[101:102], v[103:104] offset1:1
.LBB61_188:
	s_or_b64 exec, exec, s[4:5]
	s_waitcnt lgkmcnt(0)
	s_barrier
	ds_read2_b64 v[81:84], v127 offset1:1
	v_cmp_lt_u32_e32 vcc, 20, v0
	s_waitcnt lgkmcnt(0)
	buffer_store_dword v81, off, s[20:23], 0 offset:696 ; 4-byte Folded Spill
	s_nop 0
	buffer_store_dword v82, off, s[20:23], 0 offset:700 ; 4-byte Folded Spill
	buffer_store_dword v83, off, s[20:23], 0 offset:704 ; 4-byte Folded Spill
	;; [unrolled: 1-line block ×3, first 2 shown]
	s_and_saveexec_b64 s[2:3], vcc
	s_cbranch_execz .LBB61_190
; %bb.189:
	buffer_load_dword v81, off, s[20:23], 0 offset:696 ; 4-byte Folded Reload
	buffer_load_dword v82, off, s[20:23], 0 offset:700 ; 4-byte Folded Reload
	;; [unrolled: 1-line block ×4, first 2 shown]
	ds_read2_b64 v[99:102], v125 offset0:42 offset1:43
	s_waitcnt vmcnt(2)
	v_mul_f64 v[97:98], v[81:82], v[39:40]
	s_waitcnt vmcnt(0)
	v_mul_f64 v[39:40], v[83:84], v[39:40]
	v_fma_f64 v[97:98], v[83:84], v[37:38], v[97:98]
	v_fma_f64 v[37:38], v[81:82], v[37:38], -v[39:40]
	s_waitcnt lgkmcnt(0)
	v_mul_f64 v[39:40], v[101:102], v[97:98]
	v_fma_f64 v[39:40], v[99:100], v[37:38], -v[39:40]
	v_mul_f64 v[99:100], v[99:100], v[97:98]
	v_add_f64 v[33:34], v[33:34], -v[39:40]
	v_fma_f64 v[99:100], v[101:102], v[37:38], v[99:100]
	v_add_f64 v[35:36], v[35:36], -v[99:100]
	ds_read2_b64 v[99:102], v125 offset0:44 offset1:45
	s_waitcnt lgkmcnt(0)
	v_mul_f64 v[39:40], v[101:102], v[97:98]
	v_fma_f64 v[39:40], v[99:100], v[37:38], -v[39:40]
	v_mul_f64 v[99:100], v[99:100], v[97:98]
	v_add_f64 v[29:30], v[29:30], -v[39:40]
	v_fma_f64 v[99:100], v[101:102], v[37:38], v[99:100]
	v_add_f64 v[31:32], v[31:32], -v[99:100]
	ds_read2_b64 v[99:102], v125 offset0:46 offset1:47
	;; [unrolled: 8-line block ×9, first 2 shown]
	s_waitcnt lgkmcnt(0)
	v_mul_f64 v[39:40], v[101:102], v[97:98]
	v_fma_f64 v[39:40], v[99:100], v[37:38], -v[39:40]
	v_mul_f64 v[99:100], v[99:100], v[97:98]
	v_add_f64 v[105:106], v[105:106], -v[39:40]
	v_fma_f64 v[99:100], v[101:102], v[37:38], v[99:100]
	v_mov_b32_e32 v39, v97
	v_mov_b32_e32 v40, v98
	v_add_f64 v[107:108], v[107:108], -v[99:100]
.LBB61_190:
	s_or_b64 exec, exec, s[2:3]
	v_cmp_eq_u32_e32 vcc, 21, v0
	s_waitcnt vmcnt(0)
	s_barrier
	s_and_saveexec_b64 s[4:5], vcc
	s_cbranch_execz .LBB61_197
; %bb.191:
	ds_write2_b64 v127, v[33:34], v[35:36] offset1:1
	ds_write2_b64 v125, v[29:30], v[31:32] offset0:44 offset1:45
	ds_write2_b64 v125, v[25:26], v[27:28] offset0:46 offset1:47
	;; [unrolled: 1-line block ×9, first 2 shown]
	ds_read2_b64 v[97:100], v127 offset1:1
	s_waitcnt lgkmcnt(0)
	v_cmp_neq_f64_e32 vcc, 0, v[97:98]
	v_cmp_neq_f64_e64 s[2:3], 0, v[99:100]
	s_or_b64 s[2:3], vcc, s[2:3]
	s_and_b64 exec, exec, s[2:3]
	s_cbranch_execz .LBB61_197
; %bb.192:
	v_cmp_ngt_f64_e64 s[2:3], |v[97:98]|, |v[99:100]|
                                        ; implicit-def: $vgpr101_vgpr102
	s_and_saveexec_b64 s[6:7], s[2:3]
	s_xor_b64 s[2:3], exec, s[6:7]
                                        ; implicit-def: $vgpr103_vgpr104
	s_cbranch_execz .LBB61_194
; %bb.193:
	v_div_scale_f64 v[101:102], s[6:7], v[99:100], v[99:100], v[97:98]
	v_rcp_f64_e32 v[103:104], v[101:102]
	v_fma_f64 v[109:110], -v[101:102], v[103:104], 1.0
	v_fma_f64 v[103:104], v[103:104], v[109:110], v[103:104]
	v_div_scale_f64 v[109:110], vcc, v[97:98], v[99:100], v[97:98]
	v_fma_f64 v[111:112], -v[101:102], v[103:104], 1.0
	v_fma_f64 v[103:104], v[103:104], v[111:112], v[103:104]
	v_mul_f64 v[111:112], v[109:110], v[103:104]
	v_fma_f64 v[101:102], -v[101:102], v[111:112], v[109:110]
	v_div_fmas_f64 v[101:102], v[101:102], v[103:104], v[111:112]
	v_div_fixup_f64 v[101:102], v[101:102], v[99:100], v[97:98]
	v_fma_f64 v[97:98], v[97:98], v[101:102], v[99:100]
	v_div_scale_f64 v[99:100], s[6:7], v[97:98], v[97:98], 1.0
	v_div_scale_f64 v[111:112], vcc, 1.0, v[97:98], 1.0
	v_rcp_f64_e32 v[103:104], v[99:100]
	v_fma_f64 v[109:110], -v[99:100], v[103:104], 1.0
	v_fma_f64 v[103:104], v[103:104], v[109:110], v[103:104]
	v_fma_f64 v[109:110], -v[99:100], v[103:104], 1.0
	v_fma_f64 v[103:104], v[103:104], v[109:110], v[103:104]
	v_mul_f64 v[109:110], v[111:112], v[103:104]
	v_fma_f64 v[99:100], -v[99:100], v[109:110], v[111:112]
	v_div_fmas_f64 v[99:100], v[99:100], v[103:104], v[109:110]
	v_div_fixup_f64 v[103:104], v[99:100], v[97:98], 1.0
                                        ; implicit-def: $vgpr97_vgpr98
	v_mul_f64 v[101:102], v[101:102], v[103:104]
	v_xor_b32_e32 v104, 0x80000000, v104
.LBB61_194:
	s_andn2_saveexec_b64 s[2:3], s[2:3]
	s_cbranch_execz .LBB61_196
; %bb.195:
	v_div_scale_f64 v[101:102], s[6:7], v[97:98], v[97:98], v[99:100]
	v_rcp_f64_e32 v[103:104], v[101:102]
	v_fma_f64 v[109:110], -v[101:102], v[103:104], 1.0
	v_fma_f64 v[103:104], v[103:104], v[109:110], v[103:104]
	v_div_scale_f64 v[109:110], vcc, v[99:100], v[97:98], v[99:100]
	v_fma_f64 v[111:112], -v[101:102], v[103:104], 1.0
	v_fma_f64 v[103:104], v[103:104], v[111:112], v[103:104]
	v_mul_f64 v[111:112], v[109:110], v[103:104]
	v_fma_f64 v[101:102], -v[101:102], v[111:112], v[109:110]
	v_div_fmas_f64 v[101:102], v[101:102], v[103:104], v[111:112]
	v_div_fixup_f64 v[103:104], v[101:102], v[97:98], v[99:100]
	v_fma_f64 v[97:98], v[99:100], v[103:104], v[97:98]
	v_div_scale_f64 v[99:100], s[6:7], v[97:98], v[97:98], 1.0
	v_div_scale_f64 v[111:112], vcc, 1.0, v[97:98], 1.0
	v_rcp_f64_e32 v[101:102], v[99:100]
	v_fma_f64 v[109:110], -v[99:100], v[101:102], 1.0
	v_fma_f64 v[101:102], v[101:102], v[109:110], v[101:102]
	v_fma_f64 v[109:110], -v[99:100], v[101:102], 1.0
	v_fma_f64 v[101:102], v[101:102], v[109:110], v[101:102]
	v_mul_f64 v[109:110], v[111:112], v[101:102]
	v_fma_f64 v[99:100], -v[99:100], v[109:110], v[111:112]
	v_div_fmas_f64 v[99:100], v[99:100], v[101:102], v[109:110]
	v_div_fixup_f64 v[101:102], v[99:100], v[97:98], 1.0
	v_mul_f64 v[103:104], v[103:104], -v[101:102]
.LBB61_196:
	s_or_b64 exec, exec, s[2:3]
	ds_write2_b64 v127, v[101:102], v[103:104] offset1:1
.LBB61_197:
	s_or_b64 exec, exec, s[4:5]
	s_waitcnt lgkmcnt(0)
	s_barrier
	ds_read2_b64 v[81:84], v127 offset1:1
	v_cmp_lt_u32_e32 vcc, 21, v0
	s_waitcnt lgkmcnt(0)
	buffer_store_dword v81, off, s[20:23], 0 offset:712 ; 4-byte Folded Spill
	s_nop 0
	buffer_store_dword v82, off, s[20:23], 0 offset:716 ; 4-byte Folded Spill
	buffer_store_dword v83, off, s[20:23], 0 offset:720 ; 4-byte Folded Spill
	buffer_store_dword v84, off, s[20:23], 0 offset:724 ; 4-byte Folded Spill
	s_and_saveexec_b64 s[2:3], vcc
	s_cbranch_execz .LBB61_199
; %bb.198:
	buffer_load_dword v81, off, s[20:23], 0 offset:712 ; 4-byte Folded Reload
	buffer_load_dword v82, off, s[20:23], 0 offset:716 ; 4-byte Folded Reload
	;; [unrolled: 1-line block ×4, first 2 shown]
	ds_read2_b64 v[99:102], v125 offset0:44 offset1:45
	s_waitcnt vmcnt(2)
	v_mul_f64 v[97:98], v[81:82], v[35:36]
	s_waitcnt vmcnt(0)
	v_mul_f64 v[35:36], v[83:84], v[35:36]
	v_fma_f64 v[97:98], v[83:84], v[33:34], v[97:98]
	v_fma_f64 v[33:34], v[81:82], v[33:34], -v[35:36]
	s_waitcnt lgkmcnt(0)
	v_mul_f64 v[35:36], v[101:102], v[97:98]
	v_fma_f64 v[35:36], v[99:100], v[33:34], -v[35:36]
	v_mul_f64 v[99:100], v[99:100], v[97:98]
	v_add_f64 v[29:30], v[29:30], -v[35:36]
	v_fma_f64 v[99:100], v[101:102], v[33:34], v[99:100]
	v_add_f64 v[31:32], v[31:32], -v[99:100]
	ds_read2_b64 v[99:102], v125 offset0:46 offset1:47
	s_waitcnt lgkmcnt(0)
	v_mul_f64 v[35:36], v[101:102], v[97:98]
	v_fma_f64 v[35:36], v[99:100], v[33:34], -v[35:36]
	v_mul_f64 v[99:100], v[99:100], v[97:98]
	v_add_f64 v[25:26], v[25:26], -v[35:36]
	v_fma_f64 v[99:100], v[101:102], v[33:34], v[99:100]
	v_add_f64 v[27:28], v[27:28], -v[99:100]
	ds_read2_b64 v[99:102], v125 offset0:48 offset1:49
	;; [unrolled: 8-line block ×8, first 2 shown]
	s_waitcnt lgkmcnt(0)
	v_mul_f64 v[35:36], v[101:102], v[97:98]
	v_fma_f64 v[35:36], v[99:100], v[33:34], -v[35:36]
	v_mul_f64 v[99:100], v[99:100], v[97:98]
	v_add_f64 v[105:106], v[105:106], -v[35:36]
	v_fma_f64 v[99:100], v[101:102], v[33:34], v[99:100]
	v_mov_b32_e32 v35, v97
	v_mov_b32_e32 v36, v98
	v_add_f64 v[107:108], v[107:108], -v[99:100]
.LBB61_199:
	s_or_b64 exec, exec, s[2:3]
	v_cmp_eq_u32_e32 vcc, 22, v0
	s_waitcnt vmcnt(0)
	s_barrier
	s_and_saveexec_b64 s[4:5], vcc
	s_cbranch_execz .LBB61_206
; %bb.200:
	ds_write2_b64 v127, v[29:30], v[31:32] offset1:1
	ds_write2_b64 v125, v[25:26], v[27:28] offset0:46 offset1:47
	ds_write2_b64 v125, v[21:22], v[23:24] offset0:48 offset1:49
	;; [unrolled: 1-line block ×8, first 2 shown]
	ds_read2_b64 v[97:100], v127 offset1:1
	s_waitcnt lgkmcnt(0)
	v_cmp_neq_f64_e32 vcc, 0, v[97:98]
	v_cmp_neq_f64_e64 s[2:3], 0, v[99:100]
	s_or_b64 s[2:3], vcc, s[2:3]
	s_and_b64 exec, exec, s[2:3]
	s_cbranch_execz .LBB61_206
; %bb.201:
	v_cmp_ngt_f64_e64 s[2:3], |v[97:98]|, |v[99:100]|
                                        ; implicit-def: $vgpr101_vgpr102
	s_and_saveexec_b64 s[6:7], s[2:3]
	s_xor_b64 s[2:3], exec, s[6:7]
                                        ; implicit-def: $vgpr103_vgpr104
	s_cbranch_execz .LBB61_203
; %bb.202:
	v_div_scale_f64 v[101:102], s[6:7], v[99:100], v[99:100], v[97:98]
	v_rcp_f64_e32 v[103:104], v[101:102]
	v_fma_f64 v[109:110], -v[101:102], v[103:104], 1.0
	v_fma_f64 v[103:104], v[103:104], v[109:110], v[103:104]
	v_div_scale_f64 v[109:110], vcc, v[97:98], v[99:100], v[97:98]
	v_fma_f64 v[111:112], -v[101:102], v[103:104], 1.0
	v_fma_f64 v[103:104], v[103:104], v[111:112], v[103:104]
	v_mul_f64 v[111:112], v[109:110], v[103:104]
	v_fma_f64 v[101:102], -v[101:102], v[111:112], v[109:110]
	v_div_fmas_f64 v[101:102], v[101:102], v[103:104], v[111:112]
	v_div_fixup_f64 v[101:102], v[101:102], v[99:100], v[97:98]
	v_fma_f64 v[97:98], v[97:98], v[101:102], v[99:100]
	v_div_scale_f64 v[99:100], s[6:7], v[97:98], v[97:98], 1.0
	v_div_scale_f64 v[111:112], vcc, 1.0, v[97:98], 1.0
	v_rcp_f64_e32 v[103:104], v[99:100]
	v_fma_f64 v[109:110], -v[99:100], v[103:104], 1.0
	v_fma_f64 v[103:104], v[103:104], v[109:110], v[103:104]
	v_fma_f64 v[109:110], -v[99:100], v[103:104], 1.0
	v_fma_f64 v[103:104], v[103:104], v[109:110], v[103:104]
	v_mul_f64 v[109:110], v[111:112], v[103:104]
	v_fma_f64 v[99:100], -v[99:100], v[109:110], v[111:112]
	v_div_fmas_f64 v[99:100], v[99:100], v[103:104], v[109:110]
	v_div_fixup_f64 v[103:104], v[99:100], v[97:98], 1.0
                                        ; implicit-def: $vgpr97_vgpr98
	v_mul_f64 v[101:102], v[101:102], v[103:104]
	v_xor_b32_e32 v104, 0x80000000, v104
.LBB61_203:
	s_andn2_saveexec_b64 s[2:3], s[2:3]
	s_cbranch_execz .LBB61_205
; %bb.204:
	v_div_scale_f64 v[101:102], s[6:7], v[97:98], v[97:98], v[99:100]
	v_rcp_f64_e32 v[103:104], v[101:102]
	v_fma_f64 v[109:110], -v[101:102], v[103:104], 1.0
	v_fma_f64 v[103:104], v[103:104], v[109:110], v[103:104]
	v_div_scale_f64 v[109:110], vcc, v[99:100], v[97:98], v[99:100]
	v_fma_f64 v[111:112], -v[101:102], v[103:104], 1.0
	v_fma_f64 v[103:104], v[103:104], v[111:112], v[103:104]
	v_mul_f64 v[111:112], v[109:110], v[103:104]
	v_fma_f64 v[101:102], -v[101:102], v[111:112], v[109:110]
	v_div_fmas_f64 v[101:102], v[101:102], v[103:104], v[111:112]
	v_div_fixup_f64 v[103:104], v[101:102], v[97:98], v[99:100]
	v_fma_f64 v[97:98], v[99:100], v[103:104], v[97:98]
	v_div_scale_f64 v[99:100], s[6:7], v[97:98], v[97:98], 1.0
	v_div_scale_f64 v[111:112], vcc, 1.0, v[97:98], 1.0
	v_rcp_f64_e32 v[101:102], v[99:100]
	v_fma_f64 v[109:110], -v[99:100], v[101:102], 1.0
	v_fma_f64 v[101:102], v[101:102], v[109:110], v[101:102]
	v_fma_f64 v[109:110], -v[99:100], v[101:102], 1.0
	v_fma_f64 v[101:102], v[101:102], v[109:110], v[101:102]
	v_mul_f64 v[109:110], v[111:112], v[101:102]
	v_fma_f64 v[99:100], -v[99:100], v[109:110], v[111:112]
	v_div_fmas_f64 v[99:100], v[99:100], v[101:102], v[109:110]
	v_div_fixup_f64 v[101:102], v[99:100], v[97:98], 1.0
	v_mul_f64 v[103:104], v[103:104], -v[101:102]
.LBB61_205:
	s_or_b64 exec, exec, s[2:3]
	ds_write2_b64 v127, v[101:102], v[103:104] offset1:1
.LBB61_206:
	s_or_b64 exec, exec, s[4:5]
	s_waitcnt lgkmcnt(0)
	s_barrier
	ds_read2_b64 v[81:84], v127 offset1:1
	v_cmp_lt_u32_e32 vcc, 22, v0
	s_waitcnt lgkmcnt(0)
	buffer_store_dword v81, off, s[20:23], 0 offset:728 ; 4-byte Folded Spill
	s_nop 0
	buffer_store_dword v82, off, s[20:23], 0 offset:732 ; 4-byte Folded Spill
	buffer_store_dword v83, off, s[20:23], 0 offset:736 ; 4-byte Folded Spill
	;; [unrolled: 1-line block ×3, first 2 shown]
	s_and_saveexec_b64 s[2:3], vcc
	s_cbranch_execz .LBB61_208
; %bb.207:
	buffer_load_dword v81, off, s[20:23], 0 offset:728 ; 4-byte Folded Reload
	buffer_load_dword v82, off, s[20:23], 0 offset:732 ; 4-byte Folded Reload
	buffer_load_dword v83, off, s[20:23], 0 offset:736 ; 4-byte Folded Reload
	buffer_load_dword v84, off, s[20:23], 0 offset:740 ; 4-byte Folded Reload
	ds_read2_b64 v[99:102], v125 offset0:46 offset1:47
	s_waitcnt vmcnt(2)
	v_mul_f64 v[97:98], v[81:82], v[31:32]
	s_waitcnt vmcnt(0)
	v_mul_f64 v[31:32], v[83:84], v[31:32]
	v_fma_f64 v[97:98], v[83:84], v[29:30], v[97:98]
	v_fma_f64 v[29:30], v[81:82], v[29:30], -v[31:32]
	s_waitcnt lgkmcnt(0)
	v_mul_f64 v[31:32], v[101:102], v[97:98]
	v_fma_f64 v[31:32], v[99:100], v[29:30], -v[31:32]
	v_mul_f64 v[99:100], v[99:100], v[97:98]
	v_add_f64 v[25:26], v[25:26], -v[31:32]
	v_fma_f64 v[99:100], v[101:102], v[29:30], v[99:100]
	v_add_f64 v[27:28], v[27:28], -v[99:100]
	ds_read2_b64 v[99:102], v125 offset0:48 offset1:49
	s_waitcnt lgkmcnt(0)
	v_mul_f64 v[31:32], v[101:102], v[97:98]
	v_fma_f64 v[31:32], v[99:100], v[29:30], -v[31:32]
	v_mul_f64 v[99:100], v[99:100], v[97:98]
	v_add_f64 v[21:22], v[21:22], -v[31:32]
	v_fma_f64 v[99:100], v[101:102], v[29:30], v[99:100]
	v_add_f64 v[23:24], v[23:24], -v[99:100]
	ds_read2_b64 v[99:102], v125 offset0:50 offset1:51
	;; [unrolled: 8-line block ×7, first 2 shown]
	s_waitcnt lgkmcnt(0)
	v_mul_f64 v[31:32], v[101:102], v[97:98]
	v_fma_f64 v[31:32], v[99:100], v[29:30], -v[31:32]
	v_mul_f64 v[99:100], v[99:100], v[97:98]
	v_add_f64 v[105:106], v[105:106], -v[31:32]
	v_fma_f64 v[99:100], v[101:102], v[29:30], v[99:100]
	v_mov_b32_e32 v31, v97
	v_mov_b32_e32 v32, v98
	v_add_f64 v[107:108], v[107:108], -v[99:100]
.LBB61_208:
	s_or_b64 exec, exec, s[2:3]
	v_cmp_eq_u32_e32 vcc, 23, v0
	s_waitcnt vmcnt(0)
	s_barrier
	s_and_saveexec_b64 s[4:5], vcc
	s_cbranch_execz .LBB61_215
; %bb.209:
	ds_write2_b64 v127, v[25:26], v[27:28] offset1:1
	ds_write2_b64 v125, v[21:22], v[23:24] offset0:48 offset1:49
	ds_write2_b64 v125, v[17:18], v[19:20] offset0:50 offset1:51
	ds_write2_b64 v125, v[13:14], v[15:16] offset0:52 offset1:53
	ds_write2_b64 v125, v[9:10], v[11:12] offset0:54 offset1:55
	ds_write2_b64 v125, v[5:6], v[7:8] offset0:56 offset1:57
	ds_write2_b64 v125, v[1:2], v[3:4] offset0:58 offset1:59
	ds_write2_b64 v125, v[105:106], v[107:108] offset0:60 offset1:61
	ds_read2_b64 v[97:100], v127 offset1:1
	s_waitcnt lgkmcnt(0)
	v_cmp_neq_f64_e32 vcc, 0, v[97:98]
	v_cmp_neq_f64_e64 s[2:3], 0, v[99:100]
	s_or_b64 s[2:3], vcc, s[2:3]
	s_and_b64 exec, exec, s[2:3]
	s_cbranch_execz .LBB61_215
; %bb.210:
	v_cmp_ngt_f64_e64 s[2:3], |v[97:98]|, |v[99:100]|
                                        ; implicit-def: $vgpr101_vgpr102
	s_and_saveexec_b64 s[6:7], s[2:3]
	s_xor_b64 s[2:3], exec, s[6:7]
                                        ; implicit-def: $vgpr103_vgpr104
	s_cbranch_execz .LBB61_212
; %bb.211:
	v_div_scale_f64 v[101:102], s[6:7], v[99:100], v[99:100], v[97:98]
	v_rcp_f64_e32 v[103:104], v[101:102]
	v_fma_f64 v[109:110], -v[101:102], v[103:104], 1.0
	v_fma_f64 v[103:104], v[103:104], v[109:110], v[103:104]
	v_div_scale_f64 v[109:110], vcc, v[97:98], v[99:100], v[97:98]
	v_fma_f64 v[111:112], -v[101:102], v[103:104], 1.0
	v_fma_f64 v[103:104], v[103:104], v[111:112], v[103:104]
	v_mul_f64 v[111:112], v[109:110], v[103:104]
	v_fma_f64 v[101:102], -v[101:102], v[111:112], v[109:110]
	v_div_fmas_f64 v[101:102], v[101:102], v[103:104], v[111:112]
	v_div_fixup_f64 v[101:102], v[101:102], v[99:100], v[97:98]
	v_fma_f64 v[97:98], v[97:98], v[101:102], v[99:100]
	v_div_scale_f64 v[99:100], s[6:7], v[97:98], v[97:98], 1.0
	v_div_scale_f64 v[111:112], vcc, 1.0, v[97:98], 1.0
	v_rcp_f64_e32 v[103:104], v[99:100]
	v_fma_f64 v[109:110], -v[99:100], v[103:104], 1.0
	v_fma_f64 v[103:104], v[103:104], v[109:110], v[103:104]
	v_fma_f64 v[109:110], -v[99:100], v[103:104], 1.0
	v_fma_f64 v[103:104], v[103:104], v[109:110], v[103:104]
	v_mul_f64 v[109:110], v[111:112], v[103:104]
	v_fma_f64 v[99:100], -v[99:100], v[109:110], v[111:112]
	v_div_fmas_f64 v[99:100], v[99:100], v[103:104], v[109:110]
	v_div_fixup_f64 v[103:104], v[99:100], v[97:98], 1.0
                                        ; implicit-def: $vgpr97_vgpr98
	v_mul_f64 v[101:102], v[101:102], v[103:104]
	v_xor_b32_e32 v104, 0x80000000, v104
.LBB61_212:
	s_andn2_saveexec_b64 s[2:3], s[2:3]
	s_cbranch_execz .LBB61_214
; %bb.213:
	v_div_scale_f64 v[101:102], s[6:7], v[97:98], v[97:98], v[99:100]
	v_rcp_f64_e32 v[103:104], v[101:102]
	v_fma_f64 v[109:110], -v[101:102], v[103:104], 1.0
	v_fma_f64 v[103:104], v[103:104], v[109:110], v[103:104]
	v_div_scale_f64 v[109:110], vcc, v[99:100], v[97:98], v[99:100]
	v_fma_f64 v[111:112], -v[101:102], v[103:104], 1.0
	v_fma_f64 v[103:104], v[103:104], v[111:112], v[103:104]
	v_mul_f64 v[111:112], v[109:110], v[103:104]
	v_fma_f64 v[101:102], -v[101:102], v[111:112], v[109:110]
	v_div_fmas_f64 v[101:102], v[101:102], v[103:104], v[111:112]
	v_div_fixup_f64 v[103:104], v[101:102], v[97:98], v[99:100]
	v_fma_f64 v[97:98], v[99:100], v[103:104], v[97:98]
	v_div_scale_f64 v[99:100], s[6:7], v[97:98], v[97:98], 1.0
	v_div_scale_f64 v[111:112], vcc, 1.0, v[97:98], 1.0
	v_rcp_f64_e32 v[101:102], v[99:100]
	v_fma_f64 v[109:110], -v[99:100], v[101:102], 1.0
	v_fma_f64 v[101:102], v[101:102], v[109:110], v[101:102]
	v_fma_f64 v[109:110], -v[99:100], v[101:102], 1.0
	v_fma_f64 v[101:102], v[101:102], v[109:110], v[101:102]
	v_mul_f64 v[109:110], v[111:112], v[101:102]
	v_fma_f64 v[99:100], -v[99:100], v[109:110], v[111:112]
	v_div_fmas_f64 v[99:100], v[99:100], v[101:102], v[109:110]
	v_div_fixup_f64 v[101:102], v[99:100], v[97:98], 1.0
	v_mul_f64 v[103:104], v[103:104], -v[101:102]
.LBB61_214:
	s_or_b64 exec, exec, s[2:3]
	ds_write2_b64 v127, v[101:102], v[103:104] offset1:1
.LBB61_215:
	s_or_b64 exec, exec, s[4:5]
	s_waitcnt lgkmcnt(0)
	s_barrier
	ds_read2_b64 v[81:84], v127 offset1:1
	v_cmp_lt_u32_e32 vcc, 23, v0
	s_waitcnt lgkmcnt(0)
	buffer_store_dword v81, off, s[20:23], 0 offset:744 ; 4-byte Folded Spill
	s_nop 0
	buffer_store_dword v82, off, s[20:23], 0 offset:748 ; 4-byte Folded Spill
	buffer_store_dword v83, off, s[20:23], 0 offset:752 ; 4-byte Folded Spill
	;; [unrolled: 1-line block ×3, first 2 shown]
	s_and_saveexec_b64 s[2:3], vcc
	s_cbranch_execz .LBB61_217
; %bb.216:
	buffer_load_dword v81, off, s[20:23], 0 offset:744 ; 4-byte Folded Reload
	buffer_load_dword v82, off, s[20:23], 0 offset:748 ; 4-byte Folded Reload
	;; [unrolled: 1-line block ×4, first 2 shown]
	ds_read2_b64 v[99:102], v125 offset0:48 offset1:49
	s_waitcnt vmcnt(2)
	v_mul_f64 v[97:98], v[81:82], v[27:28]
	s_waitcnt vmcnt(0)
	v_mul_f64 v[27:28], v[83:84], v[27:28]
	v_fma_f64 v[97:98], v[83:84], v[25:26], v[97:98]
	v_fma_f64 v[25:26], v[81:82], v[25:26], -v[27:28]
	s_waitcnt lgkmcnt(0)
	v_mul_f64 v[27:28], v[101:102], v[97:98]
	v_fma_f64 v[27:28], v[99:100], v[25:26], -v[27:28]
	v_mul_f64 v[99:100], v[99:100], v[97:98]
	v_add_f64 v[21:22], v[21:22], -v[27:28]
	v_fma_f64 v[99:100], v[101:102], v[25:26], v[99:100]
	v_add_f64 v[23:24], v[23:24], -v[99:100]
	ds_read2_b64 v[99:102], v125 offset0:50 offset1:51
	s_waitcnt lgkmcnt(0)
	v_mul_f64 v[27:28], v[101:102], v[97:98]
	v_fma_f64 v[27:28], v[99:100], v[25:26], -v[27:28]
	v_mul_f64 v[99:100], v[99:100], v[97:98]
	v_add_f64 v[17:18], v[17:18], -v[27:28]
	v_fma_f64 v[99:100], v[101:102], v[25:26], v[99:100]
	v_add_f64 v[19:20], v[19:20], -v[99:100]
	ds_read2_b64 v[99:102], v125 offset0:52 offset1:53
	;; [unrolled: 8-line block ×6, first 2 shown]
	s_waitcnt lgkmcnt(0)
	v_mul_f64 v[27:28], v[101:102], v[97:98]
	v_fma_f64 v[27:28], v[99:100], v[25:26], -v[27:28]
	v_mul_f64 v[99:100], v[99:100], v[97:98]
	v_add_f64 v[105:106], v[105:106], -v[27:28]
	v_fma_f64 v[99:100], v[101:102], v[25:26], v[99:100]
	v_mov_b32_e32 v27, v97
	v_mov_b32_e32 v28, v98
	v_add_f64 v[107:108], v[107:108], -v[99:100]
.LBB61_217:
	s_or_b64 exec, exec, s[2:3]
	v_cmp_eq_u32_e32 vcc, 24, v0
	s_waitcnt vmcnt(0)
	s_barrier
	s_and_saveexec_b64 s[4:5], vcc
	s_cbranch_execz .LBB61_224
; %bb.218:
	ds_write2_b64 v127, v[21:22], v[23:24] offset1:1
	ds_write2_b64 v125, v[17:18], v[19:20] offset0:50 offset1:51
	ds_write2_b64 v125, v[13:14], v[15:16] offset0:52 offset1:53
	;; [unrolled: 1-line block ×6, first 2 shown]
	ds_read2_b64 v[97:100], v127 offset1:1
	s_waitcnt lgkmcnt(0)
	v_cmp_neq_f64_e32 vcc, 0, v[97:98]
	v_cmp_neq_f64_e64 s[2:3], 0, v[99:100]
	s_or_b64 s[2:3], vcc, s[2:3]
	s_and_b64 exec, exec, s[2:3]
	s_cbranch_execz .LBB61_224
; %bb.219:
	v_cmp_ngt_f64_e64 s[2:3], |v[97:98]|, |v[99:100]|
                                        ; implicit-def: $vgpr101_vgpr102
	s_and_saveexec_b64 s[6:7], s[2:3]
	s_xor_b64 s[2:3], exec, s[6:7]
                                        ; implicit-def: $vgpr103_vgpr104
	s_cbranch_execz .LBB61_221
; %bb.220:
	v_div_scale_f64 v[101:102], s[6:7], v[99:100], v[99:100], v[97:98]
	v_rcp_f64_e32 v[103:104], v[101:102]
	v_fma_f64 v[109:110], -v[101:102], v[103:104], 1.0
	v_fma_f64 v[103:104], v[103:104], v[109:110], v[103:104]
	v_div_scale_f64 v[109:110], vcc, v[97:98], v[99:100], v[97:98]
	v_fma_f64 v[111:112], -v[101:102], v[103:104], 1.0
	v_fma_f64 v[103:104], v[103:104], v[111:112], v[103:104]
	v_mul_f64 v[111:112], v[109:110], v[103:104]
	v_fma_f64 v[101:102], -v[101:102], v[111:112], v[109:110]
	v_div_fmas_f64 v[101:102], v[101:102], v[103:104], v[111:112]
	v_div_fixup_f64 v[101:102], v[101:102], v[99:100], v[97:98]
	v_fma_f64 v[97:98], v[97:98], v[101:102], v[99:100]
	v_div_scale_f64 v[99:100], s[6:7], v[97:98], v[97:98], 1.0
	v_div_scale_f64 v[111:112], vcc, 1.0, v[97:98], 1.0
	v_rcp_f64_e32 v[103:104], v[99:100]
	v_fma_f64 v[109:110], -v[99:100], v[103:104], 1.0
	v_fma_f64 v[103:104], v[103:104], v[109:110], v[103:104]
	v_fma_f64 v[109:110], -v[99:100], v[103:104], 1.0
	v_fma_f64 v[103:104], v[103:104], v[109:110], v[103:104]
	v_mul_f64 v[109:110], v[111:112], v[103:104]
	v_fma_f64 v[99:100], -v[99:100], v[109:110], v[111:112]
	v_div_fmas_f64 v[99:100], v[99:100], v[103:104], v[109:110]
	v_div_fixup_f64 v[103:104], v[99:100], v[97:98], 1.0
                                        ; implicit-def: $vgpr97_vgpr98
	v_mul_f64 v[101:102], v[101:102], v[103:104]
	v_xor_b32_e32 v104, 0x80000000, v104
.LBB61_221:
	s_andn2_saveexec_b64 s[2:3], s[2:3]
	s_cbranch_execz .LBB61_223
; %bb.222:
	v_div_scale_f64 v[101:102], s[6:7], v[97:98], v[97:98], v[99:100]
	v_rcp_f64_e32 v[103:104], v[101:102]
	v_fma_f64 v[109:110], -v[101:102], v[103:104], 1.0
	v_fma_f64 v[103:104], v[103:104], v[109:110], v[103:104]
	v_div_scale_f64 v[109:110], vcc, v[99:100], v[97:98], v[99:100]
	v_fma_f64 v[111:112], -v[101:102], v[103:104], 1.0
	v_fma_f64 v[103:104], v[103:104], v[111:112], v[103:104]
	v_mul_f64 v[111:112], v[109:110], v[103:104]
	v_fma_f64 v[101:102], -v[101:102], v[111:112], v[109:110]
	v_div_fmas_f64 v[101:102], v[101:102], v[103:104], v[111:112]
	v_div_fixup_f64 v[103:104], v[101:102], v[97:98], v[99:100]
	v_fma_f64 v[97:98], v[99:100], v[103:104], v[97:98]
	v_div_scale_f64 v[99:100], s[6:7], v[97:98], v[97:98], 1.0
	v_div_scale_f64 v[111:112], vcc, 1.0, v[97:98], 1.0
	v_rcp_f64_e32 v[101:102], v[99:100]
	v_fma_f64 v[109:110], -v[99:100], v[101:102], 1.0
	v_fma_f64 v[101:102], v[101:102], v[109:110], v[101:102]
	v_fma_f64 v[109:110], -v[99:100], v[101:102], 1.0
	v_fma_f64 v[101:102], v[101:102], v[109:110], v[101:102]
	v_mul_f64 v[109:110], v[111:112], v[101:102]
	v_fma_f64 v[99:100], -v[99:100], v[109:110], v[111:112]
	v_div_fmas_f64 v[99:100], v[99:100], v[101:102], v[109:110]
	v_div_fixup_f64 v[101:102], v[99:100], v[97:98], 1.0
	v_mul_f64 v[103:104], v[103:104], -v[101:102]
.LBB61_223:
	s_or_b64 exec, exec, s[2:3]
	ds_write2_b64 v127, v[101:102], v[103:104] offset1:1
.LBB61_224:
	s_or_b64 exec, exec, s[4:5]
	s_waitcnt lgkmcnt(0)
	s_barrier
	ds_read2_b64 v[81:84], v127 offset1:1
	v_cmp_lt_u32_e32 vcc, 24, v0
	s_waitcnt lgkmcnt(0)
	buffer_store_dword v81, off, s[20:23], 0 offset:760 ; 4-byte Folded Spill
	s_nop 0
	buffer_store_dword v82, off, s[20:23], 0 offset:764 ; 4-byte Folded Spill
	buffer_store_dword v83, off, s[20:23], 0 offset:768 ; 4-byte Folded Spill
	;; [unrolled: 1-line block ×3, first 2 shown]
	s_and_saveexec_b64 s[2:3], vcc
	s_cbranch_execz .LBB61_226
; %bb.225:
	buffer_load_dword v81, off, s[20:23], 0 offset:760 ; 4-byte Folded Reload
	buffer_load_dword v82, off, s[20:23], 0 offset:764 ; 4-byte Folded Reload
	;; [unrolled: 1-line block ×4, first 2 shown]
	ds_read2_b64 v[99:102], v125 offset0:50 offset1:51
	s_waitcnt vmcnt(2)
	v_mul_f64 v[97:98], v[81:82], v[23:24]
	s_waitcnt vmcnt(0)
	v_mul_f64 v[23:24], v[83:84], v[23:24]
	v_fma_f64 v[97:98], v[83:84], v[21:22], v[97:98]
	v_fma_f64 v[21:22], v[81:82], v[21:22], -v[23:24]
	s_waitcnt lgkmcnt(0)
	v_mul_f64 v[23:24], v[101:102], v[97:98]
	v_fma_f64 v[23:24], v[99:100], v[21:22], -v[23:24]
	v_mul_f64 v[99:100], v[99:100], v[97:98]
	v_add_f64 v[17:18], v[17:18], -v[23:24]
	v_fma_f64 v[99:100], v[101:102], v[21:22], v[99:100]
	v_add_f64 v[19:20], v[19:20], -v[99:100]
	ds_read2_b64 v[99:102], v125 offset0:52 offset1:53
	s_waitcnt lgkmcnt(0)
	v_mul_f64 v[23:24], v[101:102], v[97:98]
	v_fma_f64 v[23:24], v[99:100], v[21:22], -v[23:24]
	v_mul_f64 v[99:100], v[99:100], v[97:98]
	v_add_f64 v[13:14], v[13:14], -v[23:24]
	v_fma_f64 v[99:100], v[101:102], v[21:22], v[99:100]
	v_add_f64 v[15:16], v[15:16], -v[99:100]
	ds_read2_b64 v[99:102], v125 offset0:54 offset1:55
	;; [unrolled: 8-line block ×5, first 2 shown]
	s_waitcnt lgkmcnt(0)
	v_mul_f64 v[23:24], v[101:102], v[97:98]
	v_fma_f64 v[23:24], v[99:100], v[21:22], -v[23:24]
	v_mul_f64 v[99:100], v[99:100], v[97:98]
	v_add_f64 v[105:106], v[105:106], -v[23:24]
	v_fma_f64 v[99:100], v[101:102], v[21:22], v[99:100]
	v_mov_b32_e32 v23, v97
	v_mov_b32_e32 v24, v98
	v_add_f64 v[107:108], v[107:108], -v[99:100]
.LBB61_226:
	s_or_b64 exec, exec, s[2:3]
	v_cmp_eq_u32_e32 vcc, 25, v0
	s_waitcnt vmcnt(0)
	s_barrier
	s_and_saveexec_b64 s[4:5], vcc
	s_cbranch_execz .LBB61_233
; %bb.227:
	ds_write2_b64 v127, v[17:18], v[19:20] offset1:1
	ds_write2_b64 v125, v[13:14], v[15:16] offset0:52 offset1:53
	ds_write2_b64 v125, v[9:10], v[11:12] offset0:54 offset1:55
	;; [unrolled: 1-line block ×5, first 2 shown]
	ds_read2_b64 v[97:100], v127 offset1:1
	s_waitcnt lgkmcnt(0)
	v_cmp_neq_f64_e32 vcc, 0, v[97:98]
	v_cmp_neq_f64_e64 s[2:3], 0, v[99:100]
	s_or_b64 s[2:3], vcc, s[2:3]
	s_and_b64 exec, exec, s[2:3]
	s_cbranch_execz .LBB61_233
; %bb.228:
	v_cmp_ngt_f64_e64 s[2:3], |v[97:98]|, |v[99:100]|
                                        ; implicit-def: $vgpr101_vgpr102
	s_and_saveexec_b64 s[6:7], s[2:3]
	s_xor_b64 s[2:3], exec, s[6:7]
                                        ; implicit-def: $vgpr103_vgpr104
	s_cbranch_execz .LBB61_230
; %bb.229:
	v_div_scale_f64 v[101:102], s[6:7], v[99:100], v[99:100], v[97:98]
	v_rcp_f64_e32 v[103:104], v[101:102]
	v_fma_f64 v[109:110], -v[101:102], v[103:104], 1.0
	v_fma_f64 v[103:104], v[103:104], v[109:110], v[103:104]
	v_div_scale_f64 v[109:110], vcc, v[97:98], v[99:100], v[97:98]
	v_fma_f64 v[111:112], -v[101:102], v[103:104], 1.0
	v_fma_f64 v[103:104], v[103:104], v[111:112], v[103:104]
	v_mul_f64 v[111:112], v[109:110], v[103:104]
	v_fma_f64 v[101:102], -v[101:102], v[111:112], v[109:110]
	v_div_fmas_f64 v[101:102], v[101:102], v[103:104], v[111:112]
	v_div_fixup_f64 v[101:102], v[101:102], v[99:100], v[97:98]
	v_fma_f64 v[97:98], v[97:98], v[101:102], v[99:100]
	v_div_scale_f64 v[99:100], s[6:7], v[97:98], v[97:98], 1.0
	v_div_scale_f64 v[111:112], vcc, 1.0, v[97:98], 1.0
	v_rcp_f64_e32 v[103:104], v[99:100]
	v_fma_f64 v[109:110], -v[99:100], v[103:104], 1.0
	v_fma_f64 v[103:104], v[103:104], v[109:110], v[103:104]
	v_fma_f64 v[109:110], -v[99:100], v[103:104], 1.0
	v_fma_f64 v[103:104], v[103:104], v[109:110], v[103:104]
	v_mul_f64 v[109:110], v[111:112], v[103:104]
	v_fma_f64 v[99:100], -v[99:100], v[109:110], v[111:112]
	v_div_fmas_f64 v[99:100], v[99:100], v[103:104], v[109:110]
	v_div_fixup_f64 v[103:104], v[99:100], v[97:98], 1.0
                                        ; implicit-def: $vgpr97_vgpr98
	v_mul_f64 v[101:102], v[101:102], v[103:104]
	v_xor_b32_e32 v104, 0x80000000, v104
.LBB61_230:
	s_andn2_saveexec_b64 s[2:3], s[2:3]
	s_cbranch_execz .LBB61_232
; %bb.231:
	v_div_scale_f64 v[101:102], s[6:7], v[97:98], v[97:98], v[99:100]
	v_rcp_f64_e32 v[103:104], v[101:102]
	v_fma_f64 v[109:110], -v[101:102], v[103:104], 1.0
	v_fma_f64 v[103:104], v[103:104], v[109:110], v[103:104]
	v_div_scale_f64 v[109:110], vcc, v[99:100], v[97:98], v[99:100]
	v_fma_f64 v[111:112], -v[101:102], v[103:104], 1.0
	v_fma_f64 v[103:104], v[103:104], v[111:112], v[103:104]
	v_mul_f64 v[111:112], v[109:110], v[103:104]
	v_fma_f64 v[101:102], -v[101:102], v[111:112], v[109:110]
	v_div_fmas_f64 v[101:102], v[101:102], v[103:104], v[111:112]
	v_div_fixup_f64 v[103:104], v[101:102], v[97:98], v[99:100]
	v_fma_f64 v[97:98], v[99:100], v[103:104], v[97:98]
	v_div_scale_f64 v[99:100], s[6:7], v[97:98], v[97:98], 1.0
	v_div_scale_f64 v[111:112], vcc, 1.0, v[97:98], 1.0
	v_rcp_f64_e32 v[101:102], v[99:100]
	v_fma_f64 v[109:110], -v[99:100], v[101:102], 1.0
	v_fma_f64 v[101:102], v[101:102], v[109:110], v[101:102]
	v_fma_f64 v[109:110], -v[99:100], v[101:102], 1.0
	v_fma_f64 v[101:102], v[101:102], v[109:110], v[101:102]
	v_mul_f64 v[109:110], v[111:112], v[101:102]
	v_fma_f64 v[99:100], -v[99:100], v[109:110], v[111:112]
	v_div_fmas_f64 v[99:100], v[99:100], v[101:102], v[109:110]
	v_div_fixup_f64 v[101:102], v[99:100], v[97:98], 1.0
	v_mul_f64 v[103:104], v[103:104], -v[101:102]
.LBB61_232:
	s_or_b64 exec, exec, s[2:3]
	ds_write2_b64 v127, v[101:102], v[103:104] offset1:1
.LBB61_233:
	s_or_b64 exec, exec, s[4:5]
	s_waitcnt lgkmcnt(0)
	s_barrier
	ds_read2_b64 v[117:120], v127 offset1:1
	v_cmp_lt_u32_e32 vcc, 25, v0
	s_and_saveexec_b64 s[2:3], vcc
	s_cbranch_execz .LBB61_235
; %bb.234:
	s_waitcnt lgkmcnt(0)
	v_mul_f64 v[97:98], v[117:118], v[19:20]
	v_mul_f64 v[19:20], v[119:120], v[19:20]
	v_fma_f64 v[101:102], v[119:120], v[17:18], v[97:98]
	ds_read2_b64 v[97:100], v125 offset0:52 offset1:53
	v_fma_f64 v[17:18], v[117:118], v[17:18], -v[19:20]
	s_waitcnt lgkmcnt(0)
	v_mul_f64 v[19:20], v[99:100], v[101:102]
	v_fma_f64 v[19:20], v[97:98], v[17:18], -v[19:20]
	v_mul_f64 v[97:98], v[97:98], v[101:102]
	v_add_f64 v[13:14], v[13:14], -v[19:20]
	v_fma_f64 v[97:98], v[99:100], v[17:18], v[97:98]
	v_add_f64 v[15:16], v[15:16], -v[97:98]
	ds_read2_b64 v[97:100], v125 offset0:54 offset1:55
	s_waitcnt lgkmcnt(0)
	v_mul_f64 v[19:20], v[99:100], v[101:102]
	v_fma_f64 v[19:20], v[97:98], v[17:18], -v[19:20]
	v_mul_f64 v[97:98], v[97:98], v[101:102]
	v_add_f64 v[9:10], v[9:10], -v[19:20]
	v_fma_f64 v[97:98], v[99:100], v[17:18], v[97:98]
	v_add_f64 v[11:12], v[11:12], -v[97:98]
	ds_read2_b64 v[97:100], v125 offset0:56 offset1:57
	;; [unrolled: 8-line block ×4, first 2 shown]
	s_waitcnt lgkmcnt(0)
	v_mul_f64 v[19:20], v[99:100], v[101:102]
	v_fma_f64 v[19:20], v[97:98], v[17:18], -v[19:20]
	v_mul_f64 v[97:98], v[97:98], v[101:102]
	v_add_f64 v[105:106], v[105:106], -v[19:20]
	v_fma_f64 v[97:98], v[99:100], v[17:18], v[97:98]
	v_mov_b32_e32 v19, v101
	v_mov_b32_e32 v20, v102
	v_add_f64 v[107:108], v[107:108], -v[97:98]
.LBB61_235:
	s_or_b64 exec, exec, s[2:3]
	v_cmp_eq_u32_e32 vcc, 26, v0
	s_waitcnt lgkmcnt(0)
	s_barrier
	s_and_saveexec_b64 s[4:5], vcc
	s_cbranch_execz .LBB61_242
; %bb.236:
	ds_write2_b64 v127, v[13:14], v[15:16] offset1:1
	ds_write2_b64 v125, v[9:10], v[11:12] offset0:54 offset1:55
	ds_write2_b64 v125, v[5:6], v[7:8] offset0:56 offset1:57
	;; [unrolled: 1-line block ×4, first 2 shown]
	ds_read2_b64 v[97:100], v127 offset1:1
	s_waitcnt lgkmcnt(0)
	v_cmp_neq_f64_e32 vcc, 0, v[97:98]
	v_cmp_neq_f64_e64 s[2:3], 0, v[99:100]
	s_or_b64 s[2:3], vcc, s[2:3]
	s_and_b64 exec, exec, s[2:3]
	s_cbranch_execz .LBB61_242
; %bb.237:
	v_cmp_ngt_f64_e64 s[2:3], |v[97:98]|, |v[99:100]|
                                        ; implicit-def: $vgpr101_vgpr102
	s_and_saveexec_b64 s[6:7], s[2:3]
	s_xor_b64 s[2:3], exec, s[6:7]
                                        ; implicit-def: $vgpr103_vgpr104
	s_cbranch_execz .LBB61_239
; %bb.238:
	v_div_scale_f64 v[101:102], s[6:7], v[99:100], v[99:100], v[97:98]
	v_rcp_f64_e32 v[103:104], v[101:102]
	v_fma_f64 v[109:110], -v[101:102], v[103:104], 1.0
	v_fma_f64 v[103:104], v[103:104], v[109:110], v[103:104]
	v_div_scale_f64 v[109:110], vcc, v[97:98], v[99:100], v[97:98]
	v_fma_f64 v[111:112], -v[101:102], v[103:104], 1.0
	v_fma_f64 v[103:104], v[103:104], v[111:112], v[103:104]
	v_mul_f64 v[111:112], v[109:110], v[103:104]
	v_fma_f64 v[101:102], -v[101:102], v[111:112], v[109:110]
	v_div_fmas_f64 v[101:102], v[101:102], v[103:104], v[111:112]
	v_div_fixup_f64 v[101:102], v[101:102], v[99:100], v[97:98]
	v_fma_f64 v[97:98], v[97:98], v[101:102], v[99:100]
	v_div_scale_f64 v[99:100], s[6:7], v[97:98], v[97:98], 1.0
	v_div_scale_f64 v[111:112], vcc, 1.0, v[97:98], 1.0
	v_rcp_f64_e32 v[103:104], v[99:100]
	v_fma_f64 v[109:110], -v[99:100], v[103:104], 1.0
	v_fma_f64 v[103:104], v[103:104], v[109:110], v[103:104]
	v_fma_f64 v[109:110], -v[99:100], v[103:104], 1.0
	v_fma_f64 v[103:104], v[103:104], v[109:110], v[103:104]
	v_mul_f64 v[109:110], v[111:112], v[103:104]
	v_fma_f64 v[99:100], -v[99:100], v[109:110], v[111:112]
	v_div_fmas_f64 v[99:100], v[99:100], v[103:104], v[109:110]
	v_div_fixup_f64 v[103:104], v[99:100], v[97:98], 1.0
                                        ; implicit-def: $vgpr97_vgpr98
	v_mul_f64 v[101:102], v[101:102], v[103:104]
	v_xor_b32_e32 v104, 0x80000000, v104
.LBB61_239:
	s_andn2_saveexec_b64 s[2:3], s[2:3]
	s_cbranch_execz .LBB61_241
; %bb.240:
	v_div_scale_f64 v[101:102], s[6:7], v[97:98], v[97:98], v[99:100]
	v_rcp_f64_e32 v[103:104], v[101:102]
	v_fma_f64 v[109:110], -v[101:102], v[103:104], 1.0
	v_fma_f64 v[103:104], v[103:104], v[109:110], v[103:104]
	v_div_scale_f64 v[109:110], vcc, v[99:100], v[97:98], v[99:100]
	v_fma_f64 v[111:112], -v[101:102], v[103:104], 1.0
	v_fma_f64 v[103:104], v[103:104], v[111:112], v[103:104]
	v_mul_f64 v[111:112], v[109:110], v[103:104]
	v_fma_f64 v[101:102], -v[101:102], v[111:112], v[109:110]
	v_div_fmas_f64 v[101:102], v[101:102], v[103:104], v[111:112]
	v_div_fixup_f64 v[103:104], v[101:102], v[97:98], v[99:100]
	v_fma_f64 v[97:98], v[99:100], v[103:104], v[97:98]
	v_div_scale_f64 v[99:100], s[6:7], v[97:98], v[97:98], 1.0
	v_div_scale_f64 v[111:112], vcc, 1.0, v[97:98], 1.0
	v_rcp_f64_e32 v[101:102], v[99:100]
	v_fma_f64 v[109:110], -v[99:100], v[101:102], 1.0
	v_fma_f64 v[101:102], v[101:102], v[109:110], v[101:102]
	v_fma_f64 v[109:110], -v[99:100], v[101:102], 1.0
	v_fma_f64 v[101:102], v[101:102], v[109:110], v[101:102]
	v_mul_f64 v[109:110], v[111:112], v[101:102]
	v_fma_f64 v[99:100], -v[99:100], v[109:110], v[111:112]
	v_div_fmas_f64 v[99:100], v[99:100], v[101:102], v[109:110]
	v_div_fixup_f64 v[101:102], v[99:100], v[97:98], 1.0
	v_mul_f64 v[103:104], v[103:104], -v[101:102]
.LBB61_241:
	s_or_b64 exec, exec, s[2:3]
	ds_write2_b64 v127, v[101:102], v[103:104] offset1:1
.LBB61_242:
	s_or_b64 exec, exec, s[4:5]
	s_waitcnt lgkmcnt(0)
	s_barrier
	ds_read2_b64 v[113:116], v127 offset1:1
	v_cmp_lt_u32_e32 vcc, 26, v0
	s_and_saveexec_b64 s[2:3], vcc
	s_cbranch_execz .LBB61_244
; %bb.243:
	s_waitcnt lgkmcnt(0)
	v_mul_f64 v[97:98], v[113:114], v[15:16]
	v_mul_f64 v[15:16], v[115:116], v[15:16]
	v_fma_f64 v[101:102], v[115:116], v[13:14], v[97:98]
	ds_read2_b64 v[97:100], v125 offset0:54 offset1:55
	v_fma_f64 v[13:14], v[113:114], v[13:14], -v[15:16]
	s_waitcnt lgkmcnt(0)
	v_mul_f64 v[15:16], v[99:100], v[101:102]
	v_fma_f64 v[15:16], v[97:98], v[13:14], -v[15:16]
	v_mul_f64 v[97:98], v[97:98], v[101:102]
	v_add_f64 v[9:10], v[9:10], -v[15:16]
	v_fma_f64 v[97:98], v[99:100], v[13:14], v[97:98]
	v_add_f64 v[11:12], v[11:12], -v[97:98]
	ds_read2_b64 v[97:100], v125 offset0:56 offset1:57
	s_waitcnt lgkmcnt(0)
	v_mul_f64 v[15:16], v[99:100], v[101:102]
	v_fma_f64 v[15:16], v[97:98], v[13:14], -v[15:16]
	v_mul_f64 v[97:98], v[97:98], v[101:102]
	v_add_f64 v[5:6], v[5:6], -v[15:16]
	v_fma_f64 v[97:98], v[99:100], v[13:14], v[97:98]
	v_add_f64 v[7:8], v[7:8], -v[97:98]
	ds_read2_b64 v[97:100], v125 offset0:58 offset1:59
	;; [unrolled: 8-line block ×3, first 2 shown]
	s_waitcnt lgkmcnt(0)
	v_mul_f64 v[15:16], v[99:100], v[101:102]
	v_fma_f64 v[15:16], v[97:98], v[13:14], -v[15:16]
	v_mul_f64 v[97:98], v[97:98], v[101:102]
	v_add_f64 v[105:106], v[105:106], -v[15:16]
	v_fma_f64 v[97:98], v[99:100], v[13:14], v[97:98]
	v_mov_b32_e32 v15, v101
	v_mov_b32_e32 v16, v102
	v_add_f64 v[107:108], v[107:108], -v[97:98]
.LBB61_244:
	s_or_b64 exec, exec, s[2:3]
	v_cmp_eq_u32_e32 vcc, 27, v0
	s_waitcnt lgkmcnt(0)
	s_barrier
	s_and_saveexec_b64 s[4:5], vcc
	s_cbranch_execz .LBB61_251
; %bb.245:
	ds_write2_b64 v127, v[9:10], v[11:12] offset1:1
	ds_write2_b64 v125, v[5:6], v[7:8] offset0:56 offset1:57
	ds_write2_b64 v125, v[1:2], v[3:4] offset0:58 offset1:59
	;; [unrolled: 1-line block ×3, first 2 shown]
	ds_read2_b64 v[97:100], v127 offset1:1
	s_waitcnt lgkmcnt(0)
	v_cmp_neq_f64_e32 vcc, 0, v[97:98]
	v_cmp_neq_f64_e64 s[2:3], 0, v[99:100]
	s_or_b64 s[2:3], vcc, s[2:3]
	s_and_b64 exec, exec, s[2:3]
	s_cbranch_execz .LBB61_251
; %bb.246:
	v_cmp_ngt_f64_e64 s[2:3], |v[97:98]|, |v[99:100]|
                                        ; implicit-def: $vgpr101_vgpr102
	s_and_saveexec_b64 s[6:7], s[2:3]
	s_xor_b64 s[2:3], exec, s[6:7]
                                        ; implicit-def: $vgpr103_vgpr104
	s_cbranch_execz .LBB61_248
; %bb.247:
	v_div_scale_f64 v[101:102], s[6:7], v[99:100], v[99:100], v[97:98]
	v_rcp_f64_e32 v[103:104], v[101:102]
	v_fma_f64 v[109:110], -v[101:102], v[103:104], 1.0
	v_fma_f64 v[103:104], v[103:104], v[109:110], v[103:104]
	v_div_scale_f64 v[109:110], vcc, v[97:98], v[99:100], v[97:98]
	v_fma_f64 v[111:112], -v[101:102], v[103:104], 1.0
	v_fma_f64 v[103:104], v[103:104], v[111:112], v[103:104]
	v_mul_f64 v[111:112], v[109:110], v[103:104]
	v_fma_f64 v[101:102], -v[101:102], v[111:112], v[109:110]
	v_div_fmas_f64 v[101:102], v[101:102], v[103:104], v[111:112]
	v_div_fixup_f64 v[101:102], v[101:102], v[99:100], v[97:98]
	v_fma_f64 v[97:98], v[97:98], v[101:102], v[99:100]
	v_div_scale_f64 v[99:100], s[6:7], v[97:98], v[97:98], 1.0
	v_div_scale_f64 v[111:112], vcc, 1.0, v[97:98], 1.0
	v_rcp_f64_e32 v[103:104], v[99:100]
	v_fma_f64 v[109:110], -v[99:100], v[103:104], 1.0
	v_fma_f64 v[103:104], v[103:104], v[109:110], v[103:104]
	v_fma_f64 v[109:110], -v[99:100], v[103:104], 1.0
	v_fma_f64 v[103:104], v[103:104], v[109:110], v[103:104]
	v_mul_f64 v[109:110], v[111:112], v[103:104]
	v_fma_f64 v[99:100], -v[99:100], v[109:110], v[111:112]
	v_div_fmas_f64 v[99:100], v[99:100], v[103:104], v[109:110]
	v_div_fixup_f64 v[103:104], v[99:100], v[97:98], 1.0
                                        ; implicit-def: $vgpr97_vgpr98
	v_mul_f64 v[101:102], v[101:102], v[103:104]
	v_xor_b32_e32 v104, 0x80000000, v104
.LBB61_248:
	s_andn2_saveexec_b64 s[2:3], s[2:3]
	s_cbranch_execz .LBB61_250
; %bb.249:
	v_div_scale_f64 v[101:102], s[6:7], v[97:98], v[97:98], v[99:100]
	v_rcp_f64_e32 v[103:104], v[101:102]
	v_fma_f64 v[109:110], -v[101:102], v[103:104], 1.0
	v_fma_f64 v[103:104], v[103:104], v[109:110], v[103:104]
	v_div_scale_f64 v[109:110], vcc, v[99:100], v[97:98], v[99:100]
	v_fma_f64 v[111:112], -v[101:102], v[103:104], 1.0
	v_fma_f64 v[103:104], v[103:104], v[111:112], v[103:104]
	v_mul_f64 v[111:112], v[109:110], v[103:104]
	v_fma_f64 v[101:102], -v[101:102], v[111:112], v[109:110]
	v_div_fmas_f64 v[101:102], v[101:102], v[103:104], v[111:112]
	v_div_fixup_f64 v[103:104], v[101:102], v[97:98], v[99:100]
	v_fma_f64 v[97:98], v[99:100], v[103:104], v[97:98]
	v_div_scale_f64 v[99:100], s[6:7], v[97:98], v[97:98], 1.0
	v_div_scale_f64 v[111:112], vcc, 1.0, v[97:98], 1.0
	v_rcp_f64_e32 v[101:102], v[99:100]
	v_fma_f64 v[109:110], -v[99:100], v[101:102], 1.0
	v_fma_f64 v[101:102], v[101:102], v[109:110], v[101:102]
	v_fma_f64 v[109:110], -v[99:100], v[101:102], 1.0
	v_fma_f64 v[101:102], v[101:102], v[109:110], v[101:102]
	v_mul_f64 v[109:110], v[111:112], v[101:102]
	v_fma_f64 v[99:100], -v[99:100], v[109:110], v[111:112]
	v_div_fmas_f64 v[99:100], v[99:100], v[101:102], v[109:110]
	v_div_fixup_f64 v[101:102], v[99:100], v[97:98], 1.0
	v_mul_f64 v[103:104], v[103:104], -v[101:102]
.LBB61_250:
	s_or_b64 exec, exec, s[2:3]
	ds_write2_b64 v127, v[101:102], v[103:104] offset1:1
.LBB61_251:
	s_or_b64 exec, exec, s[4:5]
	s_waitcnt lgkmcnt(0)
	s_barrier
	ds_read2_b64 v[109:112], v127 offset1:1
	v_cmp_lt_u32_e32 vcc, 27, v0
	s_and_saveexec_b64 s[2:3], vcc
	s_cbranch_execz .LBB61_253
; %bb.252:
	s_waitcnt lgkmcnt(0)
	v_mul_f64 v[97:98], v[109:110], v[11:12]
	v_mul_f64 v[11:12], v[111:112], v[11:12]
	v_fma_f64 v[101:102], v[111:112], v[9:10], v[97:98]
	ds_read2_b64 v[97:100], v125 offset0:56 offset1:57
	v_fma_f64 v[9:10], v[109:110], v[9:10], -v[11:12]
	s_waitcnt lgkmcnt(0)
	v_mul_f64 v[11:12], v[99:100], v[101:102]
	v_fma_f64 v[11:12], v[97:98], v[9:10], -v[11:12]
	v_mul_f64 v[97:98], v[97:98], v[101:102]
	v_add_f64 v[5:6], v[5:6], -v[11:12]
	v_fma_f64 v[97:98], v[99:100], v[9:10], v[97:98]
	v_add_f64 v[7:8], v[7:8], -v[97:98]
	ds_read2_b64 v[97:100], v125 offset0:58 offset1:59
	s_waitcnt lgkmcnt(0)
	v_mul_f64 v[11:12], v[99:100], v[101:102]
	v_fma_f64 v[11:12], v[97:98], v[9:10], -v[11:12]
	v_mul_f64 v[97:98], v[97:98], v[101:102]
	v_add_f64 v[1:2], v[1:2], -v[11:12]
	v_fma_f64 v[97:98], v[99:100], v[9:10], v[97:98]
	v_add_f64 v[3:4], v[3:4], -v[97:98]
	ds_read2_b64 v[97:100], v125 offset0:60 offset1:61
	s_waitcnt lgkmcnt(0)
	v_mul_f64 v[11:12], v[99:100], v[101:102]
	v_fma_f64 v[11:12], v[97:98], v[9:10], -v[11:12]
	v_mul_f64 v[97:98], v[97:98], v[101:102]
	v_add_f64 v[105:106], v[105:106], -v[11:12]
	v_fma_f64 v[97:98], v[99:100], v[9:10], v[97:98]
	v_mov_b32_e32 v11, v101
	v_mov_b32_e32 v12, v102
	v_add_f64 v[107:108], v[107:108], -v[97:98]
.LBB61_253:
	s_or_b64 exec, exec, s[2:3]
	v_cmp_eq_u32_e32 vcc, 28, v0
	s_waitcnt lgkmcnt(0)
	s_barrier
	s_and_saveexec_b64 s[4:5], vcc
	s_cbranch_execz .LBB61_260
; %bb.254:
	ds_write2_b64 v127, v[5:6], v[7:8] offset1:1
	ds_write2_b64 v125, v[1:2], v[3:4] offset0:58 offset1:59
	ds_write2_b64 v125, v[105:106], v[107:108] offset0:60 offset1:61
	ds_read2_b64 v[97:100], v127 offset1:1
	s_waitcnt lgkmcnt(0)
	v_cmp_neq_f64_e32 vcc, 0, v[97:98]
	v_cmp_neq_f64_e64 s[2:3], 0, v[99:100]
	s_or_b64 s[2:3], vcc, s[2:3]
	s_and_b64 exec, exec, s[2:3]
	s_cbranch_execz .LBB61_260
; %bb.255:
	v_cmp_ngt_f64_e64 s[2:3], |v[97:98]|, |v[99:100]|
                                        ; implicit-def: $vgpr101_vgpr102
	s_and_saveexec_b64 s[6:7], s[2:3]
	s_xor_b64 s[2:3], exec, s[6:7]
                                        ; implicit-def: $vgpr103_vgpr104
	s_cbranch_execz .LBB61_257
; %bb.256:
	v_div_scale_f64 v[101:102], s[6:7], v[99:100], v[99:100], v[97:98]
	v_rcp_f64_e32 v[103:104], v[101:102]
	v_fma_f64 v[121:122], -v[101:102], v[103:104], 1.0
	v_fma_f64 v[103:104], v[103:104], v[121:122], v[103:104]
	v_div_scale_f64 v[121:122], vcc, v[97:98], v[99:100], v[97:98]
	v_fma_f64 v[123:124], -v[101:102], v[103:104], 1.0
	v_fma_f64 v[103:104], v[103:104], v[123:124], v[103:104]
	v_mul_f64 v[123:124], v[121:122], v[103:104]
	v_fma_f64 v[101:102], -v[101:102], v[123:124], v[121:122]
	v_div_fmas_f64 v[101:102], v[101:102], v[103:104], v[123:124]
	v_div_fixup_f64 v[101:102], v[101:102], v[99:100], v[97:98]
	v_fma_f64 v[97:98], v[97:98], v[101:102], v[99:100]
	v_div_scale_f64 v[99:100], s[6:7], v[97:98], v[97:98], 1.0
	v_div_scale_f64 v[123:124], vcc, 1.0, v[97:98], 1.0
	v_rcp_f64_e32 v[103:104], v[99:100]
	v_fma_f64 v[121:122], -v[99:100], v[103:104], 1.0
	v_fma_f64 v[103:104], v[103:104], v[121:122], v[103:104]
	v_fma_f64 v[121:122], -v[99:100], v[103:104], 1.0
	v_fma_f64 v[103:104], v[103:104], v[121:122], v[103:104]
	v_mul_f64 v[121:122], v[123:124], v[103:104]
	v_fma_f64 v[99:100], -v[99:100], v[121:122], v[123:124]
	v_div_fmas_f64 v[99:100], v[99:100], v[103:104], v[121:122]
	v_div_fixup_f64 v[103:104], v[99:100], v[97:98], 1.0
                                        ; implicit-def: $vgpr97_vgpr98
	v_mul_f64 v[101:102], v[101:102], v[103:104]
	v_xor_b32_e32 v104, 0x80000000, v104
.LBB61_257:
	s_andn2_saveexec_b64 s[2:3], s[2:3]
	s_cbranch_execz .LBB61_259
; %bb.258:
	v_div_scale_f64 v[101:102], s[6:7], v[97:98], v[97:98], v[99:100]
	v_rcp_f64_e32 v[103:104], v[101:102]
	v_fma_f64 v[121:122], -v[101:102], v[103:104], 1.0
	v_fma_f64 v[103:104], v[103:104], v[121:122], v[103:104]
	v_div_scale_f64 v[121:122], vcc, v[99:100], v[97:98], v[99:100]
	v_fma_f64 v[123:124], -v[101:102], v[103:104], 1.0
	v_fma_f64 v[103:104], v[103:104], v[123:124], v[103:104]
	v_mul_f64 v[123:124], v[121:122], v[103:104]
	v_fma_f64 v[101:102], -v[101:102], v[123:124], v[121:122]
	v_div_fmas_f64 v[101:102], v[101:102], v[103:104], v[123:124]
	v_div_fixup_f64 v[103:104], v[101:102], v[97:98], v[99:100]
	v_fma_f64 v[97:98], v[99:100], v[103:104], v[97:98]
	v_div_scale_f64 v[99:100], s[6:7], v[97:98], v[97:98], 1.0
	v_div_scale_f64 v[123:124], vcc, 1.0, v[97:98], 1.0
	v_rcp_f64_e32 v[101:102], v[99:100]
	v_fma_f64 v[121:122], -v[99:100], v[101:102], 1.0
	v_fma_f64 v[101:102], v[101:102], v[121:122], v[101:102]
	v_fma_f64 v[121:122], -v[99:100], v[101:102], 1.0
	v_fma_f64 v[101:102], v[101:102], v[121:122], v[101:102]
	v_mul_f64 v[121:122], v[123:124], v[101:102]
	v_fma_f64 v[99:100], -v[99:100], v[121:122], v[123:124]
	v_div_fmas_f64 v[99:100], v[99:100], v[101:102], v[121:122]
	v_div_fixup_f64 v[101:102], v[99:100], v[97:98], 1.0
	v_mul_f64 v[103:104], v[103:104], -v[101:102]
.LBB61_259:
	s_or_b64 exec, exec, s[2:3]
	ds_write2_b64 v127, v[101:102], v[103:104] offset1:1
.LBB61_260:
	s_or_b64 exec, exec, s[4:5]
	s_waitcnt lgkmcnt(0)
	s_barrier
	ds_read2_b64 v[97:100], v127 offset1:1
	v_cmp_lt_u32_e32 vcc, 28, v0
	s_and_saveexec_b64 s[2:3], vcc
	s_cbranch_execz .LBB61_262
; %bb.261:
	s_waitcnt lgkmcnt(0)
	v_mul_f64 v[101:102], v[97:98], v[7:8]
	v_mul_f64 v[7:8], v[99:100], v[7:8]
	v_fma_f64 v[121:122], v[99:100], v[5:6], v[101:102]
	ds_read2_b64 v[101:104], v125 offset0:58 offset1:59
	v_fma_f64 v[5:6], v[97:98], v[5:6], -v[7:8]
	s_waitcnt lgkmcnt(0)
	v_mul_f64 v[7:8], v[103:104], v[121:122]
	v_fma_f64 v[7:8], v[101:102], v[5:6], -v[7:8]
	v_mul_f64 v[101:102], v[101:102], v[121:122]
	v_add_f64 v[1:2], v[1:2], -v[7:8]
	v_fma_f64 v[101:102], v[103:104], v[5:6], v[101:102]
	v_add_f64 v[3:4], v[3:4], -v[101:102]
	ds_read2_b64 v[101:104], v125 offset0:60 offset1:61
	s_waitcnt lgkmcnt(0)
	v_mul_f64 v[7:8], v[103:104], v[121:122]
	v_fma_f64 v[7:8], v[101:102], v[5:6], -v[7:8]
	v_mul_f64 v[101:102], v[101:102], v[121:122]
	v_add_f64 v[105:106], v[105:106], -v[7:8]
	v_fma_f64 v[101:102], v[103:104], v[5:6], v[101:102]
	v_mov_b32_e32 v7, v121
	v_mov_b32_e32 v8, v122
	v_add_f64 v[107:108], v[107:108], -v[101:102]
.LBB61_262:
	s_or_b64 exec, exec, s[2:3]
	s_waitcnt lgkmcnt(0)
	s_barrier
	v_cmp_eq_u32_e32 vcc, 29, v0
	s_mov_b64 s[4:5], exec
	s_and_b64 s[2:3], s[4:5], vcc
	buffer_store_dword v93, off, s[20:23], 0 offset:344 ; 4-byte Folded Spill
	s_nop 0
	buffer_store_dword v94, off, s[20:23], 0 offset:348 ; 4-byte Folded Spill
	buffer_store_dword v95, off, s[20:23], 0 offset:352 ; 4-byte Folded Spill
	;; [unrolled: 1-line block ×3, first 2 shown]
	s_mov_b64 exec, s[2:3]
	s_cbranch_execz .LBB61_269
; %bb.263:
	ds_write2_b64 v127, v[1:2], v[3:4] offset1:1
	ds_write2_b64 v125, v[105:106], v[107:108] offset0:60 offset1:61
	ds_read2_b64 v[101:104], v127 offset1:1
	s_waitcnt lgkmcnt(0)
	v_cmp_neq_f64_e32 vcc, 0, v[101:102]
	v_cmp_neq_f64_e64 s[2:3], 0, v[103:104]
	s_or_b64 s[2:3], vcc, s[2:3]
	s_and_b64 exec, exec, s[2:3]
	s_cbranch_execz .LBB61_269
; %bb.264:
	v_cmp_ngt_f64_e64 s[2:3], |v[101:102]|, |v[103:104]|
                                        ; implicit-def: $vgpr121_vgpr122
	s_and_saveexec_b64 s[6:7], s[2:3]
	s_xor_b64 s[2:3], exec, s[6:7]
                                        ; implicit-def: $vgpr123_vgpr124
	s_cbranch_execz .LBB61_266
; %bb.265:
	v_div_scale_f64 v[121:122], s[6:7], v[103:104], v[103:104], v[101:102]
	v_div_scale_f64 v[95:96], vcc, v[101:102], v[103:104], v[101:102]
	v_rcp_f64_e32 v[123:124], v[121:122]
	v_fma_f64 v[93:94], -v[121:122], v[123:124], 1.0
	v_fma_f64 v[93:94], v[123:124], v[93:94], v[123:124]
	v_fma_f64 v[123:124], -v[121:122], v[93:94], 1.0
	v_fma_f64 v[93:94], v[93:94], v[123:124], v[93:94]
	v_mul_f64 v[123:124], v[95:96], v[93:94]
	v_fma_f64 v[95:96], -v[121:122], v[123:124], v[95:96]
	v_div_fmas_f64 v[93:94], v[95:96], v[93:94], v[123:124]
	v_div_fixup_f64 v[93:94], v[93:94], v[103:104], v[101:102]
	v_fma_f64 v[95:96], v[101:102], v[93:94], v[103:104]
	v_div_scale_f64 v[101:102], s[6:7], v[95:96], v[95:96], 1.0
	v_div_scale_f64 v[123:124], vcc, 1.0, v[95:96], 1.0
	v_rcp_f64_e32 v[103:104], v[101:102]
	v_fma_f64 v[121:122], -v[101:102], v[103:104], 1.0
	v_fma_f64 v[103:104], v[103:104], v[121:122], v[103:104]
	v_fma_f64 v[121:122], -v[101:102], v[103:104], 1.0
	v_fma_f64 v[103:104], v[103:104], v[121:122], v[103:104]
	v_mul_f64 v[121:122], v[123:124], v[103:104]
	v_fma_f64 v[101:102], -v[101:102], v[121:122], v[123:124]
	v_div_fmas_f64 v[101:102], v[101:102], v[103:104], v[121:122]
	v_div_fixup_f64 v[123:124], v[101:102], v[95:96], 1.0
                                        ; implicit-def: $vgpr101_vgpr102
	v_mul_f64 v[121:122], v[93:94], v[123:124]
	v_xor_b32_e32 v124, 0x80000000, v124
.LBB61_266:
	s_andn2_saveexec_b64 s[2:3], s[2:3]
	s_cbranch_execz .LBB61_268
; %bb.267:
	v_div_scale_f64 v[93:94], s[6:7], v[101:102], v[101:102], v[103:104]
	v_rcp_f64_e32 v[95:96], v[93:94]
	v_fma_f64 v[121:122], -v[93:94], v[95:96], 1.0
	v_fma_f64 v[95:96], v[95:96], v[121:122], v[95:96]
	v_div_scale_f64 v[121:122], vcc, v[103:104], v[101:102], v[103:104]
	v_fma_f64 v[123:124], -v[93:94], v[95:96], 1.0
	v_fma_f64 v[95:96], v[95:96], v[123:124], v[95:96]
	v_mul_f64 v[123:124], v[121:122], v[95:96]
	v_fma_f64 v[93:94], -v[93:94], v[123:124], v[121:122]
	v_div_fmas_f64 v[93:94], v[93:94], v[95:96], v[123:124]
	v_div_fixup_f64 v[93:94], v[93:94], v[101:102], v[103:104]
	v_fma_f64 v[95:96], v[103:104], v[93:94], v[101:102]
	v_div_scale_f64 v[101:102], s[6:7], v[95:96], v[95:96], 1.0
	v_div_scale_f64 v[123:124], vcc, 1.0, v[95:96], 1.0
	v_rcp_f64_e32 v[103:104], v[101:102]
	v_fma_f64 v[121:122], -v[101:102], v[103:104], 1.0
	v_fma_f64 v[103:104], v[103:104], v[121:122], v[103:104]
	v_fma_f64 v[121:122], -v[101:102], v[103:104], 1.0
	v_fma_f64 v[103:104], v[103:104], v[121:122], v[103:104]
	v_mul_f64 v[121:122], v[123:124], v[103:104]
	v_fma_f64 v[101:102], -v[101:102], v[121:122], v[123:124]
	v_div_fmas_f64 v[101:102], v[101:102], v[103:104], v[121:122]
	v_div_fixup_f64 v[121:122], v[101:102], v[95:96], 1.0
	v_mul_f64 v[123:124], v[93:94], -v[121:122]
.LBB61_268:
	s_or_b64 exec, exec, s[2:3]
	ds_write2_b64 v127, v[121:122], v[123:124] offset1:1
.LBB61_269:
	s_or_b64 exec, exec, s[4:5]
	s_waitcnt vmcnt(0) lgkmcnt(0)
	s_barrier
	ds_read2_b64 v[121:124], v127 offset1:1
	v_cmp_lt_u32_e32 vcc, 29, v0
	s_and_saveexec_b64 s[2:3], vcc
	s_cbranch_execz .LBB61_271
; %bb.270:
	s_waitcnt lgkmcnt(0)
	v_mul_f64 v[93:94], v[121:122], v[3:4]
	v_mul_f64 v[3:4], v[123:124], v[3:4]
	ds_read2_b64 v[101:104], v125 offset0:60 offset1:61
	v_fma_f64 v[93:94], v[123:124], v[1:2], v[93:94]
	v_fma_f64 v[1:2], v[121:122], v[1:2], -v[3:4]
	s_waitcnt lgkmcnt(0)
	v_mul_f64 v[3:4], v[103:104], v[93:94]
	v_mul_f64 v[95:96], v[101:102], v[93:94]
	v_fma_f64 v[3:4], v[101:102], v[1:2], -v[3:4]
	v_fma_f64 v[95:96], v[103:104], v[1:2], v[95:96]
	v_add_f64 v[105:106], v[105:106], -v[3:4]
	v_add_f64 v[107:108], v[107:108], -v[95:96]
	v_mov_b32_e32 v3, v93
	v_mov_b32_e32 v4, v94
.LBB61_271:
	s_or_b64 exec, exec, s[2:3]
	v_cmp_eq_u32_e32 vcc, 30, v0
	s_waitcnt lgkmcnt(0)
	s_barrier
	s_and_saveexec_b64 s[4:5], vcc
	s_cbranch_execz .LBB61_278
; %bb.272:
	v_cmp_neq_f64_e32 vcc, 0, v[105:106]
	v_cmp_neq_f64_e64 s[2:3], 0, v[107:108]
	ds_write2_b64 v127, v[105:106], v[107:108] offset1:1
	s_or_b64 s[2:3], vcc, s[2:3]
	s_and_b64 exec, exec, s[2:3]
	s_cbranch_execz .LBB61_278
; %bb.273:
	v_cmp_ngt_f64_e64 s[2:3], |v[105:106]|, |v[107:108]|
                                        ; implicit-def: $vgpr101_vgpr102
	s_and_saveexec_b64 s[6:7], s[2:3]
	s_xor_b64 s[2:3], exec, s[6:7]
                                        ; implicit-def: $vgpr103_vgpr104
	s_cbranch_execz .LBB61_275
; %bb.274:
	v_div_scale_f64 v[93:94], s[6:7], v[107:108], v[107:108], v[105:106]
	v_mov_b32_e32 v81, v87
	v_mov_b32_e32 v82, v88
	;; [unrolled: 1-line block ×8, first 2 shown]
	v_rcp_f64_e32 v[95:96], v[93:94]
	v_fma_f64 v[101:102], -v[93:94], v[95:96], 1.0
	v_fma_f64 v[95:96], v[95:96], v[101:102], v[95:96]
	v_div_scale_f64 v[101:102], vcc, v[105:106], v[107:108], v[105:106]
	v_fma_f64 v[103:104], -v[93:94], v[95:96], 1.0
	v_fma_f64 v[95:96], v[95:96], v[103:104], v[95:96]
	v_mul_f64 v[103:104], v[101:102], v[95:96]
	v_fma_f64 v[93:94], -v[93:94], v[103:104], v[101:102]
	v_div_fmas_f64 v[93:94], v[93:94], v[95:96], v[103:104]
	v_div_fixup_f64 v[93:94], v[93:94], v[107:108], v[105:106]
	v_fma_f64 v[95:96], v[105:106], v[93:94], v[107:108]
	v_div_scale_f64 v[101:102], s[6:7], v[95:96], v[95:96], 1.0
	v_div_scale_f64 v[89:90], vcc, 1.0, v[95:96], 1.0
	v_rcp_f64_e32 v[103:104], v[101:102]
	v_fma_f64 v[125:126], -v[101:102], v[103:104], 1.0
	v_fma_f64 v[103:104], v[103:104], v[125:126], v[103:104]
	v_fma_f64 v[125:126], -v[101:102], v[103:104], 1.0
	v_fma_f64 v[91:92], v[103:104], v[125:126], v[103:104]
	v_mul_f64 v[103:104], v[89:90], v[91:92]
	v_fma_f64 v[89:90], -v[101:102], v[103:104], v[89:90]
	v_div_fmas_f64 v[89:90], v[89:90], v[91:92], v[103:104]
	v_mov_b32_e32 v92, v86
	v_mov_b32_e32 v91, v85
	;; [unrolled: 1-line block ×4, first 2 shown]
	v_div_fixup_f64 v[103:104], v[89:90], v[95:96], 1.0
	v_mov_b32_e32 v90, v84
	v_mov_b32_e32 v89, v83
	;; [unrolled: 1-line block ×4, first 2 shown]
	v_mul_f64 v[101:102], v[93:94], v[103:104]
	v_xor_b32_e32 v104, 0x80000000, v104
.LBB61_275:
	s_andn2_saveexec_b64 s[2:3], s[2:3]
	s_cbranch_execz .LBB61_277
; %bb.276:
	v_mov_b32_e32 v81, v87
	v_mov_b32_e32 v82, v88
	;; [unrolled: 1-line block ×4, first 2 shown]
	v_div_scale_f64 v[89:90], s[6:7], v[105:106], v[105:106], v[107:108]
	v_mov_b32_e32 v126, v92
	v_mov_b32_e32 v125, v91
	v_rcp_f64_e32 v[91:92], v[89:90]
	v_fma_f64 v[93:94], -v[89:90], v[91:92], 1.0
	v_fma_f64 v[91:92], v[91:92], v[93:94], v[91:92]
	v_div_scale_f64 v[93:94], vcc, v[107:108], v[105:106], v[107:108]
	v_fma_f64 v[95:96], -v[89:90], v[91:92], 1.0
	v_fma_f64 v[91:92], v[91:92], v[95:96], v[91:92]
	v_mul_f64 v[95:96], v[93:94], v[91:92]
	v_fma_f64 v[89:90], -v[89:90], v[95:96], v[93:94]
	v_div_fmas_f64 v[89:90], v[89:90], v[91:92], v[95:96]
	v_div_fixup_f64 v[89:90], v[89:90], v[105:106], v[107:108]
	v_fma_f64 v[91:92], v[107:108], v[89:90], v[105:106]
	v_div_scale_f64 v[93:94], s[6:7], v[91:92], v[91:92], 1.0
	v_div_scale_f64 v[103:104], vcc, 1.0, v[91:92], 1.0
	v_rcp_f64_e32 v[95:96], v[93:94]
	v_fma_f64 v[101:102], -v[93:94], v[95:96], 1.0
	v_fma_f64 v[95:96], v[95:96], v[101:102], v[95:96]
	v_fma_f64 v[101:102], -v[93:94], v[95:96], 1.0
	v_fma_f64 v[95:96], v[95:96], v[101:102], v[95:96]
	v_mul_f64 v[101:102], v[103:104], v[95:96]
	v_fma_f64 v[93:94], -v[93:94], v[101:102], v[103:104]
	v_div_fmas_f64 v[93:94], v[93:94], v[95:96], v[101:102]
	v_div_fixup_f64 v[101:102], v[93:94], v[91:92], 1.0
	v_mov_b32_e32 v91, v125
	v_mov_b32_e32 v92, v126
	v_mul_f64 v[103:104], v[89:90], -v[101:102]
	v_mov_b32_e32 v90, v84
	v_mov_b32_e32 v89, v83
	;; [unrolled: 1-line block ×4, first 2 shown]
.LBB61_277:
	s_or_b64 exec, exec, s[2:3]
	ds_write2_b64 v127, v[101:102], v[103:104] offset1:1
.LBB61_278:
	s_or_b64 exec, exec, s[4:5]
	s_waitcnt lgkmcnt(0)
	s_barrier
	ds_read2_b64 v[101:104], v127 offset1:1
	v_mov_b32_e32 v81, v87
	v_mov_b32_e32 v82, v88
	;; [unrolled: 1-line block ×4, first 2 shown]
	s_waitcnt lgkmcnt(0)
	s_barrier
	s_and_saveexec_b64 s[2:3], s[0:1]
	s_cbranch_execz .LBB61_281
; %bb.279:
	buffer_load_dword v87, off, s[20:23], 0 offset:376 ; 4-byte Folded Reload
	buffer_load_dword v88, off, s[20:23], 0 offset:380 ; 4-byte Folded Reload
	;; [unrolled: 1-line block ×8, first 2 shown]
	s_waitcnt vmcnt(6)
	v_cmp_eq_f64_e32 vcc, 0, v[87:88]
	s_waitcnt vmcnt(4)
	v_cmp_eq_f64_e64 s[0:1], 0, v[89:90]
	s_and_b64 s[4:5], vcc, s[0:1]
	s_waitcnt vmcnt(2)
	v_cmp_neq_f64_e32 vcc, 0, v[93:94]
	s_waitcnt vmcnt(0)
	v_cmp_neq_f64_e64 s[0:1], 0, v[95:96]
	buffer_load_dword v93, off, s[20:23], 0 offset:408 ; 4-byte Folded Reload
	buffer_load_dword v94, off, s[20:23], 0 offset:412 ; 4-byte Folded Reload
	;; [unrolled: 1-line block ×4, first 2 shown]
	v_cndmask_b32_e64 v89, 0, 1, s[4:5]
	s_or_b64 s[0:1], vcc, s[0:1]
	s_or_b64 vcc, s[0:1], s[4:5]
	v_cndmask_b32_e32 v89, 2, v89, vcc
	s_waitcnt vmcnt(2)
	v_cmp_eq_f64_e32 vcc, 0, v[93:94]
	s_waitcnt vmcnt(0)
	v_cmp_eq_f64_e64 s[0:1], 0, v[95:96]
	buffer_load_dword v93, off, s[20:23], 0 offset:424 ; 4-byte Folded Reload
	buffer_load_dword v94, off, s[20:23], 0 offset:428 ; 4-byte Folded Reload
	buffer_load_dword v95, off, s[20:23], 0 offset:432 ; 4-byte Folded Reload
	buffer_load_dword v96, off, s[20:23], 0 offset:436 ; 4-byte Folded Reload
	s_and_b64 s[0:1], vcc, s[0:1]
	v_cmp_eq_u32_e32 vcc, 0, v89
	s_and_b64 s[0:1], s[0:1], vcc
	v_cndmask_b32_e64 v89, v89, 3, s[0:1]
	s_waitcnt vmcnt(2)
	v_cmp_eq_f64_e32 vcc, 0, v[93:94]
	s_waitcnt vmcnt(0)
	v_cmp_eq_f64_e64 s[0:1], 0, v[95:96]
	buffer_load_dword v93, off, s[20:23], 0 offset:440 ; 4-byte Folded Reload
	buffer_load_dword v94, off, s[20:23], 0 offset:444 ; 4-byte Folded Reload
	buffer_load_dword v95, off, s[20:23], 0 offset:448 ; 4-byte Folded Reload
	buffer_load_dword v96, off, s[20:23], 0 offset:452 ; 4-byte Folded Reload
	s_and_b64 s[0:1], vcc, s[0:1]
	v_cmp_eq_u32_e32 vcc, 0, v89
	s_and_b64 s[0:1], s[0:1], vcc
	v_cndmask_b32_e64 v89, v89, 4, s[0:1]
	;; [unrolled: 12-line block ×21, first 2 shown]
	s_waitcnt vmcnt(2)
	v_cmp_eq_f64_e32 vcc, 0, v[93:94]
	s_waitcnt vmcnt(0)
	v_cmp_eq_f64_e64 s[0:1], 0, v[95:96]
	buffer_load_dword v93, off, s[20:23], 0 offset:760 ; 4-byte Folded Reload
	buffer_load_dword v94, off, s[20:23], 0 offset:764 ; 4-byte Folded Reload
	;; [unrolled: 1-line block ×6, first 2 shown]
	s_and_b64 s[0:1], vcc, s[0:1]
	v_cmp_eq_u32_e32 vcc, 0, v89
	s_and_b64 s[0:1], s[0:1], vcc
	v_cndmask_b32_e64 v89, v89, 24, s[0:1]
	s_waitcnt vmcnt(4)
	v_cmp_eq_f64_e32 vcc, 0, v[93:94]
	s_waitcnt vmcnt(2)
	v_cmp_eq_f64_e64 s[0:1], 0, v[95:96]
	s_and_b64 s[0:1], vcc, s[0:1]
	v_cmp_eq_u32_e32 vcc, 0, v89
	s_and_b64 s[0:1], s[0:1], vcc
	v_cndmask_b32_e64 v89, v89, 25, s[0:1]
	v_cmp_eq_f64_e32 vcc, 0, v[117:118]
	v_cmp_eq_f64_e64 s[0:1], 0, v[119:120]
	s_and_b64 s[0:1], vcc, s[0:1]
	v_cmp_eq_u32_e32 vcc, 0, v89
	s_and_b64 s[0:1], s[0:1], vcc
	v_cndmask_b32_e64 v89, v89, 26, s[0:1]
	v_cmp_eq_f64_e32 vcc, 0, v[113:114]
	v_cmp_eq_f64_e64 s[0:1], 0, v[115:116]
	s_and_b64 s[0:1], vcc, s[0:1]
	v_cmp_eq_u32_e32 vcc, 0, v89
	s_and_b64 s[0:1], s[0:1], vcc
	v_cndmask_b32_e64 v89, v89, 27, s[0:1]
	v_cmp_eq_f64_e32 vcc, 0, v[109:110]
	v_cmp_eq_f64_e64 s[0:1], 0, v[111:112]
	s_and_b64 s[0:1], vcc, s[0:1]
	v_cmp_eq_u32_e32 vcc, 0, v89
	s_and_b64 s[0:1], s[0:1], vcc
	v_cndmask_b32_e64 v89, v89, 28, s[0:1]
	v_cmp_eq_f64_e32 vcc, 0, v[97:98]
	v_cmp_eq_f64_e64 s[0:1], 0, v[99:100]
	s_and_b64 s[0:1], vcc, s[0:1]
	v_cmp_eq_u32_e32 vcc, 0, v89
	s_and_b64 s[0:1], s[0:1], vcc
	v_cndmask_b32_e64 v89, v89, 29, s[0:1]
	v_cmp_eq_f64_e32 vcc, 0, v[121:122]
	v_cmp_eq_f64_e64 s[0:1], 0, v[123:124]
	s_and_b64 s[0:1], vcc, s[0:1]
	v_cmp_eq_u32_e32 vcc, 0, v89
	s_and_b64 s[0:1], s[0:1], vcc
	v_cndmask_b32_e64 v89, v89, 30, s[0:1]
	v_cmp_eq_f64_e32 vcc, 0, v[101:102]
	v_cmp_eq_f64_e64 s[0:1], 0, v[103:104]
	s_and_b64 s[0:1], vcc, s[0:1]
	v_cmp_eq_u32_e32 vcc, 0, v89
	s_and_b64 s[0:1], s[0:1], vcc
	v_cndmask_b32_e64 v99, v89, 31, s[0:1]
	s_waitcnt vmcnt(0)
	v_lshlrev_b64 v[89:90], 2, v[87:88]
	v_cmp_ne_u32_e64 s[0:1], 0, v99
	v_add_co_u32_e32 v97, vcc, s10, v89
	v_mov_b32_e32 v89, s11
	v_addc_co_u32_e32 v98, vcc, v89, v90, vcc
	global_load_dword v89, v[97:98], off
	s_waitcnt vmcnt(0)
	v_cmp_eq_u32_e32 vcc, 0, v89
	s_and_b64 s[0:1], vcc, s[0:1]
	s_and_b64 exec, exec, s[0:1]
	s_cbranch_execz .LBB61_281
; %bb.280:
	v_add_u32_e32 v89, s13, v99
	global_store_dword v[97:98], v89, off
.LBB61_281:
	s_or_b64 exec, exec, s[2:3]
	buffer_load_dword v87, off, s[20:23], 0 offset:360 ; 4-byte Folded Reload
	buffer_load_dword v88, off, s[20:23], 0 offset:364 ; 4-byte Folded Reload
	;; [unrolled: 1-line block ×6, first 2 shown]
	v_cmp_lt_u32_e32 vcc, 30, v0
	s_waitcnt vmcnt(0)
	global_store_dwordx4 v[87:88], v[93:96], off
	buffer_load_dword v87, off, s[20:23], 0 offset:368 ; 4-byte Folded Reload
	s_nop 0
	buffer_load_dword v88, off, s[20:23], 0 offset:372 ; 4-byte Folded Reload
	buffer_load_dword v93, off, s[20:23], 0 offset:96 ; 4-byte Folded Reload
	;; [unrolled: 1-line block ×5, first 2 shown]
	s_waitcnt vmcnt(0)
	global_store_dwordx4 v[87:88], v[93:96], off
	buffer_load_dword v87, off, s[20:23], 0 offset:80 ; 4-byte Folded Reload
	s_nop 0
	buffer_load_dword v88, off, s[20:23], 0 offset:84 ; 4-byte Folded Reload
	buffer_load_dword v89, off, s[20:23], 0 offset:88 ; 4-byte Folded Reload
	;; [unrolled: 1-line block ×3, first 2 shown]
	s_waitcnt vmcnt(0)
	global_store_dwordx4 v[91:92], v[87:90], off
	buffer_load_dword v87, off, s[20:23], 0 offset:128 ; 4-byte Folded Reload
	s_nop 0
	buffer_load_dword v88, off, s[20:23], 0 offset:132 ; 4-byte Folded Reload
	buffer_load_dword v89, off, s[20:23], 0 offset:64 ; 4-byte Folded Reload
	;; [unrolled: 1-line block ×5, first 2 shown]
	s_waitcnt vmcnt(0)
	global_store_dwordx4 v[87:88], v[89:92], off
	buffer_load_dword v87, off, s[20:23], 0 offset:48 ; 4-byte Folded Reload
	s_nop 0
	buffer_load_dword v88, off, s[20:23], 0 offset:52 ; 4-byte Folded Reload
	buffer_load_dword v89, off, s[20:23], 0 offset:56 ; 4-byte Folded Reload
	;; [unrolled: 1-line block ×3, first 2 shown]
	v_mul_f64 v[91:92], v[103:104], v[107:108]
	v_fma_f64 v[93:94], v[101:102], v[105:106], -v[91:92]
	s_waitcnt vmcnt(0)
	global_store_dwordx4 v[85:86], v[87:90], off
	buffer_load_dword v85, off, s[20:23], 0 offset:136 ; 4-byte Folded Reload
	s_nop 0
	buffer_load_dword v86, off, s[20:23], 0 offset:140 ; 4-byte Folded Reload
	buffer_load_dword v87, off, s[20:23], 0 offset:32 ; 4-byte Folded Reload
	;; [unrolled: 1-line block ×5, first 2 shown]
	s_waitcnt vmcnt(0)
	global_store_dwordx4 v[85:86], v[87:90], off
	buffer_load_dword v85, off, s[20:23], 0 offset:144 ; 4-byte Folded Reload
	s_nop 0
	buffer_load_dword v86, off, s[20:23], 0 offset:148 ; 4-byte Folded Reload
	buffer_load_dword v87, off, s[20:23], 0 offset:16 ; 4-byte Folded Reload
	buffer_load_dword v88, off, s[20:23], 0 offset:20 ; 4-byte Folded Reload
	buffer_load_dword v89, off, s[20:23], 0 offset:24 ; 4-byte Folded Reload
	buffer_load_dword v90, off, s[20:23], 0 offset:28 ; 4-byte Folded Reload
	s_waitcnt vmcnt(0)
	global_store_dwordx4 v[85:86], v[87:90], off
	buffer_load_dword v85, off, s[20:23], 0 offset:152 ; 4-byte Folded Reload
	s_nop 0
	buffer_load_dword v86, off, s[20:23], 0 offset:156 ; 4-byte Folded Reload
	buffer_load_dword v87, off, s[20:23], 0 ; 4-byte Folded Reload
	buffer_load_dword v88, off, s[20:23], 0 offset:4 ; 4-byte Folded Reload
	buffer_load_dword v89, off, s[20:23], 0 offset:8 ; 4-byte Folded Reload
	;; [unrolled: 1-line block ×3, first 2 shown]
	s_waitcnt vmcnt(0)
	global_store_dwordx4 v[85:86], v[87:90], off
	buffer_load_dword v85, off, s[20:23], 0 offset:160 ; 4-byte Folded Reload
	s_nop 0
	buffer_load_dword v86, off, s[20:23], 0 offset:164 ; 4-byte Folded Reload
	v_mul_f64 v[89:90], v[101:102], v[107:108]
	v_fma_f64 v[89:90], v[103:104], v[105:106], v[89:90]
	v_cndmask_b32_e32 v92, v108, v90, vcc
	v_cndmask_b32_e32 v91, v107, v89, vcc
	;; [unrolled: 1-line block ×4, first 2 shown]
	s_waitcnt vmcnt(0)
	global_store_dwordx4 v[85:86], v[81:84], off
	buffer_load_dword v85, off, s[20:23], 0 offset:168 ; 4-byte Folded Reload
	s_nop 0
	buffer_load_dword v86, off, s[20:23], 0 offset:172 ; 4-byte Folded Reload
	buffer_load_dword v81, off, s[20:23], 0 offset:344 ; 4-byte Folded Reload
	;; [unrolled: 1-line block ×5, first 2 shown]
	s_waitcnt vmcnt(0)
	global_store_dwordx4 v[85:86], v[81:84], off
	buffer_load_dword v81, off, s[20:23], 0 offset:176 ; 4-byte Folded Reload
	s_nop 0
	buffer_load_dword v82, off, s[20:23], 0 offset:180 ; 4-byte Folded Reload
	s_waitcnt vmcnt(0)
	global_store_dwordx4 v[81:82], v[77:80], off
	buffer_load_dword v77, off, s[20:23], 0 offset:184 ; 4-byte Folded Reload
	s_nop 0
	buffer_load_dword v78, off, s[20:23], 0 offset:188 ; 4-byte Folded Reload
	;; [unrolled: 5-line block ×21, first 2 shown]
	s_waitcnt vmcnt(0)
	global_store_dwordx4 v[0:1], v[89:92], off
.LBB61_282:
	s_endpgm
	.section	.rodata,"a",@progbits
	.p2align	6, 0x0
	.amdhsa_kernel _ZN9rocsolver6v33100L23getf2_npvt_small_kernelILi31E19rocblas_complex_numIdEiiPS3_EEvT1_T3_lS5_lPT2_S5_S5_
		.amdhsa_group_segment_fixed_size 0
		.amdhsa_private_segment_fixed_size 788
		.amdhsa_kernarg_size 312
		.amdhsa_user_sgpr_count 6
		.amdhsa_user_sgpr_private_segment_buffer 1
		.amdhsa_user_sgpr_dispatch_ptr 0
		.amdhsa_user_sgpr_queue_ptr 0
		.amdhsa_user_sgpr_kernarg_segment_ptr 1
		.amdhsa_user_sgpr_dispatch_id 0
		.amdhsa_user_sgpr_flat_scratch_init 0
		.amdhsa_user_sgpr_private_segment_size 0
		.amdhsa_uses_dynamic_stack 0
		.amdhsa_system_sgpr_private_segment_wavefront_offset 1
		.amdhsa_system_sgpr_workgroup_id_x 1
		.amdhsa_system_sgpr_workgroup_id_y 1
		.amdhsa_system_sgpr_workgroup_id_z 0
		.amdhsa_system_sgpr_workgroup_info 0
		.amdhsa_system_vgpr_workitem_id 1
		.amdhsa_next_free_vgpr 128
		.amdhsa_next_free_sgpr 24
		.amdhsa_reserve_vcc 1
		.amdhsa_reserve_flat_scratch 0
		.amdhsa_float_round_mode_32 0
		.amdhsa_float_round_mode_16_64 0
		.amdhsa_float_denorm_mode_32 3
		.amdhsa_float_denorm_mode_16_64 3
		.amdhsa_dx10_clamp 1
		.amdhsa_ieee_mode 1
		.amdhsa_fp16_overflow 0
		.amdhsa_exception_fp_ieee_invalid_op 0
		.amdhsa_exception_fp_denorm_src 0
		.amdhsa_exception_fp_ieee_div_zero 0
		.amdhsa_exception_fp_ieee_overflow 0
		.amdhsa_exception_fp_ieee_underflow 0
		.amdhsa_exception_fp_ieee_inexact 0
		.amdhsa_exception_int_div_zero 0
	.end_amdhsa_kernel
	.section	.text._ZN9rocsolver6v33100L23getf2_npvt_small_kernelILi31E19rocblas_complex_numIdEiiPS3_EEvT1_T3_lS5_lPT2_S5_S5_,"axG",@progbits,_ZN9rocsolver6v33100L23getf2_npvt_small_kernelILi31E19rocblas_complex_numIdEiiPS3_EEvT1_T3_lS5_lPT2_S5_S5_,comdat
.Lfunc_end61:
	.size	_ZN9rocsolver6v33100L23getf2_npvt_small_kernelILi31E19rocblas_complex_numIdEiiPS3_EEvT1_T3_lS5_lPT2_S5_S5_, .Lfunc_end61-_ZN9rocsolver6v33100L23getf2_npvt_small_kernelILi31E19rocblas_complex_numIdEiiPS3_EEvT1_T3_lS5_lPT2_S5_S5_
                                        ; -- End function
	.set _ZN9rocsolver6v33100L23getf2_npvt_small_kernelILi31E19rocblas_complex_numIdEiiPS3_EEvT1_T3_lS5_lPT2_S5_S5_.num_vgpr, 128
	.set _ZN9rocsolver6v33100L23getf2_npvt_small_kernelILi31E19rocblas_complex_numIdEiiPS3_EEvT1_T3_lS5_lPT2_S5_S5_.num_agpr, 0
	.set _ZN9rocsolver6v33100L23getf2_npvt_small_kernelILi31E19rocblas_complex_numIdEiiPS3_EEvT1_T3_lS5_lPT2_S5_S5_.numbered_sgpr, 24
	.set _ZN9rocsolver6v33100L23getf2_npvt_small_kernelILi31E19rocblas_complex_numIdEiiPS3_EEvT1_T3_lS5_lPT2_S5_S5_.num_named_barrier, 0
	.set _ZN9rocsolver6v33100L23getf2_npvt_small_kernelILi31E19rocblas_complex_numIdEiiPS3_EEvT1_T3_lS5_lPT2_S5_S5_.private_seg_size, 788
	.set _ZN9rocsolver6v33100L23getf2_npvt_small_kernelILi31E19rocblas_complex_numIdEiiPS3_EEvT1_T3_lS5_lPT2_S5_S5_.uses_vcc, 1
	.set _ZN9rocsolver6v33100L23getf2_npvt_small_kernelILi31E19rocblas_complex_numIdEiiPS3_EEvT1_T3_lS5_lPT2_S5_S5_.uses_flat_scratch, 0
	.set _ZN9rocsolver6v33100L23getf2_npvt_small_kernelILi31E19rocblas_complex_numIdEiiPS3_EEvT1_T3_lS5_lPT2_S5_S5_.has_dyn_sized_stack, 0
	.set _ZN9rocsolver6v33100L23getf2_npvt_small_kernelILi31E19rocblas_complex_numIdEiiPS3_EEvT1_T3_lS5_lPT2_S5_S5_.has_recursion, 0
	.set _ZN9rocsolver6v33100L23getf2_npvt_small_kernelILi31E19rocblas_complex_numIdEiiPS3_EEvT1_T3_lS5_lPT2_S5_S5_.has_indirect_call, 0
	.section	.AMDGPU.csdata,"",@progbits
; Kernel info:
; codeLenInByte = 60652
; TotalNumSgprs: 28
; NumVgprs: 128
; ScratchSize: 788
; MemoryBound: 1
; FloatMode: 240
; IeeeMode: 1
; LDSByteSize: 0 bytes/workgroup (compile time only)
; SGPRBlocks: 3
; VGPRBlocks: 31
; NumSGPRsForWavesPerEU: 28
; NumVGPRsForWavesPerEU: 128
; Occupancy: 2
; WaveLimiterHint : 0
; COMPUTE_PGM_RSRC2:SCRATCH_EN: 1
; COMPUTE_PGM_RSRC2:USER_SGPR: 6
; COMPUTE_PGM_RSRC2:TRAP_HANDLER: 0
; COMPUTE_PGM_RSRC2:TGID_X_EN: 1
; COMPUTE_PGM_RSRC2:TGID_Y_EN: 1
; COMPUTE_PGM_RSRC2:TGID_Z_EN: 0
; COMPUTE_PGM_RSRC2:TIDIG_COMP_CNT: 1
	.section	.text._ZN9rocsolver6v33100L18getf2_small_kernelILi32E19rocblas_complex_numIdEiiPS3_EEvT1_T3_lS5_lPS5_llPT2_S5_S5_S7_l,"axG",@progbits,_ZN9rocsolver6v33100L18getf2_small_kernelILi32E19rocblas_complex_numIdEiiPS3_EEvT1_T3_lS5_lPS5_llPT2_S5_S5_S7_l,comdat
	.globl	_ZN9rocsolver6v33100L18getf2_small_kernelILi32E19rocblas_complex_numIdEiiPS3_EEvT1_T3_lS5_lPS5_llPT2_S5_S5_S7_l ; -- Begin function _ZN9rocsolver6v33100L18getf2_small_kernelILi32E19rocblas_complex_numIdEiiPS3_EEvT1_T3_lS5_lPS5_llPT2_S5_S5_S7_l
	.p2align	8
	.type	_ZN9rocsolver6v33100L18getf2_small_kernelILi32E19rocblas_complex_numIdEiiPS3_EEvT1_T3_lS5_lPS5_llPT2_S5_S5_S7_l,@function
_ZN9rocsolver6v33100L18getf2_small_kernelILi32E19rocblas_complex_numIdEiiPS3_EEvT1_T3_lS5_lPS5_llPT2_S5_S5_S7_l: ; @_ZN9rocsolver6v33100L18getf2_small_kernelILi32E19rocblas_complex_numIdEiiPS3_EEvT1_T3_lS5_lPS5_llPT2_S5_S5_S7_l
; %bb.0:
	s_mov_b64 s[26:27], s[2:3]
	s_mov_b64 s[24:25], s[0:1]
	s_load_dword s0, s[4:5], 0x6c
	s_load_dwordx2 s[16:17], s[4:5], 0x48
	s_add_u32 s24, s24, s8
	s_addc_u32 s25, s25, 0
	s_waitcnt lgkmcnt(0)
	s_lshr_b32 s0, s0, 16
	s_mul_i32 s7, s7, s0
	v_add_u32_e32 v6, s7, v1
	v_cmp_gt_i32_e32 vcc, s16, v6
	s_and_saveexec_b64 s[0:1], vcc
	s_cbranch_execz .LBB62_673
; %bb.1:
	s_load_dwordx4 s[0:3], s[4:5], 0x50
	v_mov_b32_e32 v2, 0
	v_ashrrev_i32_e32 v7, 31, v6
	v_mov_b32_e32 v3, 0
	buffer_store_dword v2, off, s[24:27], 0 offset:64 ; 4-byte Folded Spill
	s_nop 0
	buffer_store_dword v3, off, s[24:27], 0 offset:68 ; 4-byte Folded Spill
	s_waitcnt lgkmcnt(0)
	s_cmp_eq_u64 s[0:1], 0
	s_cselect_b64 s[6:7], -1, 0
	s_and_b64 vcc, exec, s[6:7]
	s_cbranch_vccnz .LBB62_3
; %bb.2:
	v_mul_lo_u32 v4, s3, v6
	v_mul_lo_u32 v5, s2, v7
	v_mad_u64_u32 v[2:3], s[2:3], s2, v6, 0
	v_add3_u32 v3, v3, v5, v4
	v_lshlrev_b64 v[2:3], 2, v[2:3]
	v_mov_b32_e32 v4, s1
	v_add_co_u32_e32 v2, vcc, s0, v2
	v_addc_co_u32_e32 v3, vcc, v4, v3, vcc
	buffer_store_dword v2, off, s[24:27], 0 offset:64 ; 4-byte Folded Spill
	s_nop 0
	buffer_store_dword v3, off, s[24:27], 0 offset:68 ; 4-byte Folded Spill
.LBB62_3:
	s_load_dwordx8 s[8:15], s[4:5], 0x20
	s_load_dwordx4 s[20:23], s[4:5], 0x8
	s_load_dword s2, s[4:5], 0x18
	v_lshlrev_b32_e32 v44, 4, v0
	s_waitcnt lgkmcnt(0)
	v_mul_lo_u32 v4, s9, v6
	v_mul_lo_u32 v5, s8, v7
	buffer_store_dword v6, off, s[24:27], 0 offset:104 ; 4-byte Folded Spill
	s_nop 0
	buffer_store_dword v7, off, s[24:27], 0 offset:108 ; 4-byte Folded Spill
	s_add_i32 s16, s2, s2
	s_ashr_i32 s3, s2, 31
	v_mad_u64_u32 v[2:3], s[0:1], s8, v6, 0
	v_mov_b32_e32 v6, s21
	s_lshl_b64 s[0:1], s[22:23], 4
	v_add3_u32 v3, v3, v5, v4
	v_lshlrev_b64 v[2:3], 4, v[2:3]
	v_mov_b32_e32 v4, s1
	v_add_co_u32_e32 v2, vcc, s20, v2
	v_addc_co_u32_e32 v3, vcc, v6, v3, vcc
	v_add_co_u32_e32 v127, vcc, s0, v2
	v_addc_co_u32_e32 v105, vcc, v3, v4, vcc
	v_add_u32_e32 v4, s16, v0
	v_ashrrev_i32_e32 v5, 31, v4
	v_lshlrev_b64 v[2:3], 4, v[4:5]
	v_add_u32_e32 v6, s2, v4
	v_ashrrev_i32_e32 v7, 31, v6
	v_add_co_u32_e32 v2, vcc, v127, v2
	v_lshlrev_b64 v[4:5], 4, v[6:7]
	v_add_u32_e32 v8, s2, v6
	v_addc_co_u32_e32 v3, vcc, v105, v3, vcc
	v_ashrrev_i32_e32 v9, 31, v8
	v_add_co_u32_e32 v4, vcc, v127, v4
	v_lshlrev_b64 v[6:7], 4, v[8:9]
	v_add_u32_e32 v10, s2, v8
	v_addc_co_u32_e32 v5, vcc, v105, v5, vcc
	;; [unrolled: 5-line block ×18, first 2 shown]
	v_ashrrev_i32_e32 v41, 31, v40
	v_add_co_u32_e32 v38, vcc, v127, v38
	v_lshlrev_b64 v[41:42], 4, v[40:41]
	v_addc_co_u32_e32 v39, vcc, v105, v39, vcc
	v_add_u32_e32 v40, s2, v40
	v_add_co_u32_e32 v85, vcc, v127, v41
	v_ashrrev_i32_e32 v41, 31, v40
	v_addc_co_u32_e32 v86, vcc, v105, v42, vcc
	v_lshlrev_b64 v[41:42], 4, v[40:41]
	v_add_u32_e32 v40, s2, v40
	v_add_co_u32_e32 v87, vcc, v127, v41
	v_ashrrev_i32_e32 v41, 31, v40
	v_addc_co_u32_e32 v88, vcc, v105, v42, vcc
	v_lshlrev_b64 v[41:42], 4, v[40:41]
	;; [unrolled: 5-line block ×8, first 2 shown]
	v_add_u32_e32 v40, s2, v40
	v_add_co_u32_e32 v115, vcc, v127, v41
	v_ashrrev_i32_e32 v41, 31, v40
	s_lshl_b64 s[8:9], s[2:3], 4
	s_load_dword s3, s[4:5], 0x0
	v_addc_co_u32_e32 v116, vcc, v105, v42, vcc
	v_lshlrev_b64 v[41:42], 4, v[40:41]
	v_add_u32_e32 v40, s2, v40
	v_add_co_u32_e32 v109, vcc, v127, v41
	v_ashrrev_i32_e32 v41, 31, v40
	v_lshlrev_b64 v[40:41], 4, v[40:41]
	v_addc_co_u32_e32 v110, vcc, v105, v42, vcc
	s_waitcnt lgkmcnt(0)
	s_max_i32 s0, s3, 32
	v_add_co_u32_e32 v111, vcc, v127, v40
	v_mul_lo_u32 v107, s0, v1
	v_addc_co_u32_e32 v112, vcc, v105, v41, vcc
	v_add_co_u32_e32 v42, vcc, v127, v44
	v_addc_co_u32_e32 v43, vcc, 0, v105, vcc
	v_mov_b32_e32 v41, s9
	v_add_co_u32_e32 v40, vcc, s8, v42
	v_lshl_add_u32 v106, v107, 4, 0
	v_addc_co_u32_e32 v41, vcc, v43, v41, vcc
	v_add_u32_e32 v1, v106, v44
	global_load_dwordx4 v[42:45], v[42:43], off
	s_nop 0
	global_load_dwordx4 v[46:49], v[40:41], off
	s_waitcnt vmcnt(0)
	buffer_store_dword v46, off, s[24:27], 0 offset:72 ; 4-byte Folded Spill
	s_nop 0
	buffer_store_dword v47, off, s[24:27], 0 offset:76 ; 4-byte Folded Spill
	buffer_store_dword v48, off, s[24:27], 0 offset:80 ; 4-byte Folded Spill
	;; [unrolled: 1-line block ×4, first 2 shown]
	s_nop 0
	buffer_store_dword v43, off, s[24:27], 0 offset:92 ; 4-byte Folded Spill
	buffer_store_dword v44, off, s[24:27], 0 offset:96 ; 4-byte Folded Spill
	;; [unrolled: 1-line block ×3, first 2 shown]
	s_load_dwordx2 s[4:5], s[4:5], 0x40
	s_cmp_lt_i32 s3, 2
	ds_write2_b64 v1, v[42:43], v[44:45] offset1:1
	global_load_dwordx4 v[40:43], v[2:3], off
	s_waitcnt vmcnt(0)
	buffer_store_dword v40, off, s[24:27], 0 offset:48 ; 4-byte Folded Spill
	s_nop 0
	buffer_store_dword v41, off, s[24:27], 0 offset:52 ; 4-byte Folded Spill
	buffer_store_dword v42, off, s[24:27], 0 offset:56 ; 4-byte Folded Spill
	buffer_store_dword v43, off, s[24:27], 0 offset:60 ; 4-byte Folded Spill
	global_load_dwordx4 v[1:4], v[4:5], off
	s_waitcnt vmcnt(0)
	buffer_store_dword v1, off, s[24:27], 0 offset:32 ; 4-byte Folded Spill
	s_nop 0
	buffer_store_dword v2, off, s[24:27], 0 offset:36 ; 4-byte Folded Spill
	buffer_store_dword v3, off, s[24:27], 0 offset:40 ; 4-byte Folded Spill
	buffer_store_dword v4, off, s[24:27], 0 offset:44 ; 4-byte Folded Spill
	global_load_dwordx4 v[1:4], v[6:7], off
	s_waitcnt vmcnt(0)
	buffer_store_dword v1, off, s[24:27], 0 offset:16 ; 4-byte Folded Spill
	s_nop 0
	buffer_store_dword v2, off, s[24:27], 0 offset:20 ; 4-byte Folded Spill
	buffer_store_dword v3, off, s[24:27], 0 offset:24 ; 4-byte Folded Spill
	buffer_store_dword v4, off, s[24:27], 0 offset:28 ; 4-byte Folded Spill
	global_load_dwordx4 v[1:4], v[8:9], off
	s_waitcnt vmcnt(0)
	buffer_store_dword v1, off, s[24:27], 0 ; 4-byte Folded Spill
	s_nop 0
	buffer_store_dword v2, off, s[24:27], 0 offset:4 ; 4-byte Folded Spill
	buffer_store_dword v3, off, s[24:27], 0 offset:8 ; 4-byte Folded Spill
	;; [unrolled: 1-line block ×3, first 2 shown]
	global_load_dwordx4 v[101:104], v[10:11], off
	global_load_dwordx4 v[97:100], v[12:13], off
	global_load_dwordx4 v[93:96], v[14:15], off
	global_load_dwordx4 v[89:92], v[16:17], off
	global_load_dwordx4 v[81:84], v[18:19], off
	global_load_dwordx4 v[77:80], v[20:21], off
	global_load_dwordx4 v[73:76], v[22:23], off
	global_load_dwordx4 v[69:72], v[24:25], off
	global_load_dwordx4 v[65:68], v[26:27], off
	global_load_dwordx4 v[61:64], v[28:29], off
	global_load_dwordx4 v[57:60], v[30:31], off
	global_load_dwordx4 v[53:56], v[32:33], off
	global_load_dwordx4 v[49:52], v[34:35], off
	global_load_dwordx4 v[45:48], v[36:37], off
	global_load_dwordx4 v[41:44], v[38:39], off
	s_nop 0
	global_load_dwordx4 v[37:40], v[85:86], off
	global_load_dwordx4 v[33:36], v[87:88], off
	;; [unrolled: 1-line block ×11, first 2 shown]
	s_waitcnt vmcnt(0) lgkmcnt(0)
	s_barrier
	ds_read2_b64 v[121:124], v106 offset1:1
	v_lshlrev_b32_e32 v111, 4, v107
	v_mov_b32_e32 v109, 0
	s_cbranch_scc1 .LBB62_6
; %bb.4:
	v_add3_u32 v107, v111, 0, 16
	s_mov_b32 s0, 1
	v_mov_b32_e32 v109, 0
.LBB62_5:                               ; =>This Inner Loop Header: Depth=1
	s_waitcnt lgkmcnt(0)
	v_cmp_gt_f64_e32 vcc, 0, v[121:122]
	v_xor_b32_e32 v108, 0x80000000, v122
	ds_read2_b64 v[112:115], v107 offset1:1
	v_mov_b32_e32 v116, v121
	v_mov_b32_e32 v118, v123
	v_add_u32_e32 v107, 16, v107
	s_waitcnt lgkmcnt(0)
	v_mov_b32_e32 v125, v114
	v_cndmask_b32_e32 v117, v122, v108, vcc
	v_cmp_gt_f64_e32 vcc, 0, v[123:124]
	v_xor_b32_e32 v108, 0x80000000, v124
	v_cndmask_b32_e32 v119, v124, v108, vcc
	v_cmp_gt_f64_e32 vcc, 0, v[112:113]
	v_xor_b32_e32 v108, 0x80000000, v113
	v_add_f64 v[116:117], v[116:117], v[118:119]
	v_mov_b32_e32 v118, v112
	v_cndmask_b32_e32 v119, v113, v108, vcc
	v_cmp_gt_f64_e32 vcc, 0, v[114:115]
	v_xor_b32_e32 v108, 0x80000000, v115
	v_cndmask_b32_e32 v126, v115, v108, vcc
	v_add_f64 v[118:119], v[118:119], v[125:126]
	v_mov_b32_e32 v108, s0
	s_add_i32 s0, s0, 1
	s_cmp_eq_u32 s3, s0
	v_cmp_lt_f64_e32 vcc, v[116:117], v[118:119]
	v_cndmask_b32_e32 v122, v122, v113, vcc
	v_cndmask_b32_e32 v121, v121, v112, vcc
	;; [unrolled: 1-line block ×5, first 2 shown]
	s_cbranch_scc0 .LBB62_5
.LBB62_6:
	s_waitcnt lgkmcnt(0)
	v_cmp_neq_f64_e32 vcc, 0, v[121:122]
	v_cmp_neq_f64_e64 s[0:1], 0, v[123:124]
	v_mov_b32_e32 v107, 1
	v_mov_b32_e32 v112, 1
	s_or_b64 s[18:19], vcc, s[0:1]
	s_and_saveexec_b64 s[0:1], s[18:19]
	s_cbranch_execz .LBB62_12
; %bb.7:
	v_cmp_ngt_f64_e64 s[18:19], |v[121:122]|, |v[123:124]|
	s_and_saveexec_b64 s[20:21], s[18:19]
	s_xor_b64 s[18:19], exec, s[20:21]
	s_cbranch_execz .LBB62_9
; %bb.8:
	v_div_scale_f64 v[107:108], s[20:21], v[123:124], v[123:124], v[121:122]
	v_rcp_f64_e32 v[112:113], v[107:108]
	v_fma_f64 v[114:115], -v[107:108], v[112:113], 1.0
	v_fma_f64 v[112:113], v[112:113], v[114:115], v[112:113]
	v_div_scale_f64 v[114:115], vcc, v[121:122], v[123:124], v[121:122]
	v_fma_f64 v[116:117], -v[107:108], v[112:113], 1.0
	v_fma_f64 v[112:113], v[112:113], v[116:117], v[112:113]
	v_mul_f64 v[116:117], v[114:115], v[112:113]
	v_fma_f64 v[107:108], -v[107:108], v[116:117], v[114:115]
	v_div_fmas_f64 v[107:108], v[107:108], v[112:113], v[116:117]
	v_div_fixup_f64 v[107:108], v[107:108], v[123:124], v[121:122]
	v_fma_f64 v[112:113], v[121:122], v[107:108], v[123:124]
	v_div_scale_f64 v[114:115], s[20:21], v[112:113], v[112:113], 1.0
	v_div_scale_f64 v[120:121], vcc, 1.0, v[112:113], 1.0
	v_rcp_f64_e32 v[116:117], v[114:115]
	v_fma_f64 v[118:119], -v[114:115], v[116:117], 1.0
	v_fma_f64 v[116:117], v[116:117], v[118:119], v[116:117]
	v_fma_f64 v[118:119], -v[114:115], v[116:117], 1.0
	v_fma_f64 v[116:117], v[116:117], v[118:119], v[116:117]
	v_mul_f64 v[118:119], v[120:121], v[116:117]
	v_fma_f64 v[114:115], -v[114:115], v[118:119], v[120:121]
	v_div_fmas_f64 v[114:115], v[114:115], v[116:117], v[118:119]
	v_div_fixup_f64 v[123:124], v[114:115], v[112:113], 1.0
	v_mul_f64 v[121:122], v[107:108], v[123:124]
	v_xor_b32_e32 v124, 0x80000000, v124
.LBB62_9:
	s_andn2_saveexec_b64 s[18:19], s[18:19]
	s_cbranch_execz .LBB62_11
; %bb.10:
	v_div_scale_f64 v[107:108], s[20:21], v[121:122], v[121:122], v[123:124]
	v_rcp_f64_e32 v[112:113], v[107:108]
	v_fma_f64 v[114:115], -v[107:108], v[112:113], 1.0
	v_fma_f64 v[112:113], v[112:113], v[114:115], v[112:113]
	v_div_scale_f64 v[114:115], vcc, v[123:124], v[121:122], v[123:124]
	v_fma_f64 v[116:117], -v[107:108], v[112:113], 1.0
	v_fma_f64 v[112:113], v[112:113], v[116:117], v[112:113]
	v_mul_f64 v[116:117], v[114:115], v[112:113]
	v_fma_f64 v[107:108], -v[107:108], v[116:117], v[114:115]
	v_div_fmas_f64 v[107:108], v[107:108], v[112:113], v[116:117]
	v_div_fixup_f64 v[107:108], v[107:108], v[121:122], v[123:124]
	v_fma_f64 v[112:113], v[123:124], v[107:108], v[121:122]
	v_div_scale_f64 v[114:115], s[20:21], v[112:113], v[112:113], 1.0
	v_div_scale_f64 v[120:121], vcc, 1.0, v[112:113], 1.0
	v_rcp_f64_e32 v[116:117], v[114:115]
	v_fma_f64 v[118:119], -v[114:115], v[116:117], 1.0
	v_fma_f64 v[116:117], v[116:117], v[118:119], v[116:117]
	v_fma_f64 v[118:119], -v[114:115], v[116:117], 1.0
	v_fma_f64 v[116:117], v[116:117], v[118:119], v[116:117]
	v_mul_f64 v[118:119], v[120:121], v[116:117]
	v_fma_f64 v[114:115], -v[114:115], v[118:119], v[120:121]
	v_div_fmas_f64 v[114:115], v[114:115], v[116:117], v[118:119]
	v_div_fixup_f64 v[121:122], v[114:115], v[112:113], 1.0
	v_mul_f64 v[123:124], v[107:108], -v[121:122]
.LBB62_11:
	s_or_b64 exec, exec, s[18:19]
	v_mov_b32_e32 v112, 0
	v_mov_b32_e32 v107, 2
.LBB62_12:
	s_or_b64 exec, exec, s[0:1]
	v_cmp_ne_u32_e32 vcc, v0, v109
	s_and_saveexec_b64 s[0:1], vcc
	s_xor_b64 s[0:1], exec, s[0:1]
	s_cbranch_execz .LBB62_18
; %bb.13:
	v_cmp_eq_u32_e32 vcc, 0, v0
	s_and_saveexec_b64 s[18:19], vcc
	s_cbranch_execz .LBB62_17
; %bb.14:
	v_cmp_ne_u32_e32 vcc, 0, v109
	s_xor_b64 s[20:21], s[6:7], -1
	s_and_b64 s[22:23], s[20:21], vcc
	s_and_saveexec_b64 s[20:21], s[22:23]
	s_cbranch_execz .LBB62_16
; %bb.15:
	buffer_load_dword v115, off, s[24:27], 0 offset:64 ; 4-byte Folded Reload
	buffer_load_dword v116, off, s[24:27], 0 offset:68 ; 4-byte Folded Reload
	v_ashrrev_i32_e32 v110, 31, v109
	v_lshlrev_b64 v[113:114], 2, v[109:110]
	s_waitcnt vmcnt(1)
	v_add_co_u32_e32 v113, vcc, v115, v113
	s_waitcnt vmcnt(0)
	v_addc_co_u32_e32 v114, vcc, v116, v114, vcc
	global_load_dword v0, v[113:114], off
	global_load_dword v108, v[115:116], off
	s_waitcnt vmcnt(1)
	global_store_dword v[115:116], v0, off
	s_waitcnt vmcnt(1)
	global_store_dword v[113:114], v108, off
.LBB62_16:
	s_or_b64 exec, exec, s[20:21]
	v_mov_b32_e32 v0, v109
.LBB62_17:
	s_or_b64 exec, exec, s[18:19]
.LBB62_18:
	s_or_saveexec_b64 s[0:1], s[0:1]
	v_mov_b32_e32 v108, v0
	s_xor_b64 exec, exec, s[0:1]
	s_cbranch_execz .LBB62_20
; %bb.19:
	buffer_load_dword v113, off, s[24:27], 0 offset:72 ; 4-byte Folded Reload
	buffer_load_dword v114, off, s[24:27], 0 offset:76 ; 4-byte Folded Reload
	;; [unrolled: 1-line block ×4, first 2 shown]
	v_mov_b32_e32 v108, 0
	s_waitcnt vmcnt(0)
	ds_write2_b64 v106, v[113:114], v[115:116] offset0:2 offset1:3
	buffer_load_dword v113, off, s[24:27], 0 offset:48 ; 4-byte Folded Reload
	buffer_load_dword v114, off, s[24:27], 0 offset:52 ; 4-byte Folded Reload
	buffer_load_dword v115, off, s[24:27], 0 offset:56 ; 4-byte Folded Reload
	buffer_load_dword v116, off, s[24:27], 0 offset:60 ; 4-byte Folded Reload
	s_waitcnt vmcnt(0)
	ds_write2_b64 v106, v[113:114], v[115:116] offset0:4 offset1:5
	buffer_load_dword v113, off, s[24:27], 0 offset:32 ; 4-byte Folded Reload
	buffer_load_dword v114, off, s[24:27], 0 offset:36 ; 4-byte Folded Reload
	buffer_load_dword v115, off, s[24:27], 0 offset:40 ; 4-byte Folded Reload
	buffer_load_dword v116, off, s[24:27], 0 offset:44 ; 4-byte Folded Reload
	;; [unrolled: 6-line block ×3, first 2 shown]
	s_waitcnt vmcnt(0)
	ds_write2_b64 v106, v[113:114], v[115:116] offset0:8 offset1:9
	buffer_load_dword v113, off, s[24:27], 0 ; 4-byte Folded Reload
	buffer_load_dword v114, off, s[24:27], 0 offset:4 ; 4-byte Folded Reload
	buffer_load_dword v115, off, s[24:27], 0 offset:8 ; 4-byte Folded Reload
	;; [unrolled: 1-line block ×3, first 2 shown]
	s_waitcnt vmcnt(0)
	ds_write2_b64 v106, v[113:114], v[115:116] offset0:10 offset1:11
	ds_write2_b64 v106, v[101:102], v[103:104] offset0:12 offset1:13
	;; [unrolled: 1-line block ×27, first 2 shown]
.LBB62_20:
	s_or_b64 exec, exec, s[0:1]
	v_cmp_lt_i32_e32 vcc, 0, v108
	s_waitcnt vmcnt(0) lgkmcnt(0)
	s_barrier
	s_and_saveexec_b64 s[0:1], vcc
	s_cbranch_execz .LBB62_22
; %bb.21:
	buffer_load_dword v115, off, s[24:27], 0 offset:88 ; 4-byte Folded Reload
	buffer_load_dword v116, off, s[24:27], 0 offset:92 ; 4-byte Folded Reload
	;; [unrolled: 1-line block ×4, first 2 shown]
	s_waitcnt vmcnt(0)
	v_mul_f64 v[109:110], v[123:124], v[117:118]
	v_fma_f64 v[125:126], v[121:122], v[115:116], -v[109:110]
	v_mul_f64 v[109:110], v[121:122], v[117:118]
	v_fma_f64 v[117:118], v[123:124], v[115:116], v[109:110]
	ds_read2_b64 v[113:116], v106 offset0:2 offset1:3
	buffer_load_dword v119, off, s[24:27], 0 offset:72 ; 4-byte Folded Reload
	buffer_load_dword v120, off, s[24:27], 0 offset:76 ; 4-byte Folded Reload
	buffer_load_dword v121, off, s[24:27], 0 offset:80 ; 4-byte Folded Reload
	buffer_load_dword v122, off, s[24:27], 0 offset:84 ; 4-byte Folded Reload
	s_waitcnt lgkmcnt(0)
	v_mul_f64 v[109:110], v[115:116], v[117:118]
	v_fma_f64 v[109:110], v[113:114], v[125:126], -v[109:110]
	v_mul_f64 v[113:114], v[113:114], v[117:118]
	v_fma_f64 v[113:114], v[115:116], v[125:126], v[113:114]
	s_waitcnt vmcnt(2)
	v_add_f64 v[119:120], v[119:120], -v[109:110]
	s_waitcnt vmcnt(0)
	v_add_f64 v[121:122], v[121:122], -v[113:114]
	buffer_store_dword v119, off, s[24:27], 0 offset:72 ; 4-byte Folded Spill
	s_nop 0
	buffer_store_dword v120, off, s[24:27], 0 offset:76 ; 4-byte Folded Spill
	buffer_store_dword v121, off, s[24:27], 0 offset:80 ; 4-byte Folded Spill
	buffer_store_dword v122, off, s[24:27], 0 offset:84 ; 4-byte Folded Spill
	ds_read2_b64 v[113:116], v106 offset0:4 offset1:5
	buffer_load_dword v119, off, s[24:27], 0 offset:48 ; 4-byte Folded Reload
	buffer_load_dword v120, off, s[24:27], 0 offset:52 ; 4-byte Folded Reload
	buffer_load_dword v121, off, s[24:27], 0 offset:56 ; 4-byte Folded Reload
	buffer_load_dword v122, off, s[24:27], 0 offset:60 ; 4-byte Folded Reload
	s_waitcnt lgkmcnt(0)
	v_mul_f64 v[109:110], v[115:116], v[117:118]
	v_fma_f64 v[109:110], v[113:114], v[125:126], -v[109:110]
	v_mul_f64 v[113:114], v[113:114], v[117:118]
	v_fma_f64 v[113:114], v[115:116], v[125:126], v[113:114]
	s_waitcnt vmcnt(2)
	v_add_f64 v[119:120], v[119:120], -v[109:110]
	s_waitcnt vmcnt(0)
	v_add_f64 v[121:122], v[121:122], -v[113:114]
	buffer_store_dword v119, off, s[24:27], 0 offset:48 ; 4-byte Folded Spill
	s_nop 0
	buffer_store_dword v120, off, s[24:27], 0 offset:52 ; 4-byte Folded Spill
	buffer_store_dword v121, off, s[24:27], 0 offset:56 ; 4-byte Folded Spill
	buffer_store_dword v122, off, s[24:27], 0 offset:60 ; 4-byte Folded Spill
	ds_read2_b64 v[113:116], v106 offset0:6 offset1:7
	buffer_load_dword v119, off, s[24:27], 0 offset:32 ; 4-byte Folded Reload
	buffer_load_dword v120, off, s[24:27], 0 offset:36 ; 4-byte Folded Reload
	buffer_load_dword v121, off, s[24:27], 0 offset:40 ; 4-byte Folded Reload
	buffer_load_dword v122, off, s[24:27], 0 offset:44 ; 4-byte Folded Reload
	s_waitcnt lgkmcnt(0)
	v_mul_f64 v[109:110], v[115:116], v[117:118]
	v_fma_f64 v[109:110], v[113:114], v[125:126], -v[109:110]
	v_mul_f64 v[113:114], v[113:114], v[117:118]
	v_fma_f64 v[113:114], v[115:116], v[125:126], v[113:114]
	s_waitcnt vmcnt(2)
	v_add_f64 v[119:120], v[119:120], -v[109:110]
	s_waitcnt vmcnt(0)
	v_add_f64 v[121:122], v[121:122], -v[113:114]
	buffer_store_dword v119, off, s[24:27], 0 offset:32 ; 4-byte Folded Spill
	s_nop 0
	buffer_store_dword v120, off, s[24:27], 0 offset:36 ; 4-byte Folded Spill
	buffer_store_dword v121, off, s[24:27], 0 offset:40 ; 4-byte Folded Spill
	buffer_store_dword v122, off, s[24:27], 0 offset:44 ; 4-byte Folded Spill
	ds_read2_b64 v[113:116], v106 offset0:8 offset1:9
	buffer_load_dword v119, off, s[24:27], 0 offset:16 ; 4-byte Folded Reload
	buffer_load_dword v120, off, s[24:27], 0 offset:20 ; 4-byte Folded Reload
	buffer_load_dword v121, off, s[24:27], 0 offset:24 ; 4-byte Folded Reload
	buffer_load_dword v122, off, s[24:27], 0 offset:28 ; 4-byte Folded Reload
	s_waitcnt lgkmcnt(0)
	v_mul_f64 v[109:110], v[115:116], v[117:118]
	v_fma_f64 v[109:110], v[113:114], v[125:126], -v[109:110]
	v_mul_f64 v[113:114], v[113:114], v[117:118]
	v_fma_f64 v[113:114], v[115:116], v[125:126], v[113:114]
	s_waitcnt vmcnt(2)
	v_add_f64 v[119:120], v[119:120], -v[109:110]
	s_waitcnt vmcnt(0)
	v_add_f64 v[121:122], v[121:122], -v[113:114]
	buffer_store_dword v119, off, s[24:27], 0 offset:16 ; 4-byte Folded Spill
	s_nop 0
	buffer_store_dword v120, off, s[24:27], 0 offset:20 ; 4-byte Folded Spill
	buffer_store_dword v121, off, s[24:27], 0 offset:24 ; 4-byte Folded Spill
	buffer_store_dword v122, off, s[24:27], 0 offset:28 ; 4-byte Folded Spill
	ds_read2_b64 v[113:116], v106 offset0:10 offset1:11
	buffer_load_dword v119, off, s[24:27], 0 ; 4-byte Folded Reload
	buffer_load_dword v120, off, s[24:27], 0 offset:4 ; 4-byte Folded Reload
	buffer_load_dword v121, off, s[24:27], 0 offset:8 ; 4-byte Folded Reload
	;; [unrolled: 1-line block ×3, first 2 shown]
	s_waitcnt lgkmcnt(0)
	v_mul_f64 v[109:110], v[115:116], v[117:118]
	v_fma_f64 v[109:110], v[113:114], v[125:126], -v[109:110]
	v_mul_f64 v[113:114], v[113:114], v[117:118]
	v_fma_f64 v[113:114], v[115:116], v[125:126], v[113:114]
	s_waitcnt vmcnt(2)
	v_add_f64 v[119:120], v[119:120], -v[109:110]
	s_waitcnt vmcnt(0)
	v_add_f64 v[121:122], v[121:122], -v[113:114]
	buffer_store_dword v119, off, s[24:27], 0 ; 4-byte Folded Spill
	s_nop 0
	buffer_store_dword v120, off, s[24:27], 0 offset:4 ; 4-byte Folded Spill
	buffer_store_dword v121, off, s[24:27], 0 offset:8 ; 4-byte Folded Spill
	;; [unrolled: 1-line block ×3, first 2 shown]
	ds_read2_b64 v[113:116], v106 offset0:12 offset1:13
	s_waitcnt lgkmcnt(0)
	v_mul_f64 v[109:110], v[115:116], v[117:118]
	v_fma_f64 v[109:110], v[113:114], v[125:126], -v[109:110]
	v_mul_f64 v[113:114], v[113:114], v[117:118]
	v_add_f64 v[101:102], v[101:102], -v[109:110]
	v_fma_f64 v[113:114], v[115:116], v[125:126], v[113:114]
	v_add_f64 v[103:104], v[103:104], -v[113:114]
	ds_read2_b64 v[113:116], v106 offset0:14 offset1:15
	s_waitcnt lgkmcnt(0)
	v_mul_f64 v[109:110], v[115:116], v[117:118]
	v_fma_f64 v[109:110], v[113:114], v[125:126], -v[109:110]
	v_mul_f64 v[113:114], v[113:114], v[117:118]
	v_add_f64 v[97:98], v[97:98], -v[109:110]
	v_fma_f64 v[113:114], v[115:116], v[125:126], v[113:114]
	v_add_f64 v[99:100], v[99:100], -v[113:114]
	;; [unrolled: 8-line block ×25, first 2 shown]
	ds_read2_b64 v[113:116], v106 offset0:62 offset1:63
	s_waitcnt lgkmcnt(0)
	v_mul_f64 v[109:110], v[115:116], v[117:118]
	v_fma_f64 v[109:110], v[113:114], v[125:126], -v[109:110]
	v_mul_f64 v[113:114], v[113:114], v[117:118]
	v_add_f64 v[85:86], v[85:86], -v[109:110]
	v_fma_f64 v[113:114], v[115:116], v[125:126], v[113:114]
	v_mov_b32_e32 v115, v125
	v_mov_b32_e32 v116, v126
	buffer_store_dword v115, off, s[24:27], 0 offset:88 ; 4-byte Folded Spill
	s_nop 0
	buffer_store_dword v116, off, s[24:27], 0 offset:92 ; 4-byte Folded Spill
	buffer_store_dword v117, off, s[24:27], 0 offset:96 ; 4-byte Folded Spill
	;; [unrolled: 1-line block ×3, first 2 shown]
	v_add_f64 v[87:88], v[87:88], -v[113:114]
.LBB62_22:
	s_or_b64 exec, exec, s[0:1]
	s_waitcnt vmcnt(0)
	s_barrier
	buffer_load_dword v113, off, s[24:27], 0 offset:72 ; 4-byte Folded Reload
	buffer_load_dword v114, off, s[24:27], 0 offset:76 ; 4-byte Folded Reload
	;; [unrolled: 1-line block ×4, first 2 shown]
	v_lshl_add_u32 v109, v108, 4, v106
	s_cmp_lt_i32 s3, 3
	s_waitcnt vmcnt(0)
	ds_write2_b64 v109, v[113:114], v[115:116] offset1:1
	s_waitcnt lgkmcnt(0)
	s_barrier
	ds_read2_b64 v[121:124], v106 offset0:2 offset1:3
	v_mov_b32_e32 v109, 1
	s_cbranch_scc1 .LBB62_25
; %bb.23:
	v_add3_u32 v110, v111, 0, 32
	s_mov_b32 s0, 2
	v_mov_b32_e32 v109, 1
.LBB62_24:                              ; =>This Inner Loop Header: Depth=1
	s_waitcnt lgkmcnt(0)
	v_cmp_gt_f64_e32 vcc, 0, v[121:122]
	v_xor_b32_e32 v117, 0x80000000, v122
	ds_read2_b64 v[113:116], v110 offset1:1
	v_xor_b32_e32 v119, 0x80000000, v124
	v_add_u32_e32 v110, 16, v110
	s_waitcnt lgkmcnt(0)
	v_xor_b32_e32 v125, 0x80000000, v116
	v_cndmask_b32_e32 v118, v122, v117, vcc
	v_cmp_gt_f64_e32 vcc, 0, v[123:124]
	v_mov_b32_e32 v117, v121
	v_cndmask_b32_e32 v120, v124, v119, vcc
	v_cmp_gt_f64_e32 vcc, 0, v[113:114]
	v_mov_b32_e32 v119, v123
	v_add_f64 v[117:118], v[117:118], v[119:120]
	v_xor_b32_e32 v119, 0x80000000, v114
	v_cndmask_b32_e32 v120, v114, v119, vcc
	v_cmp_gt_f64_e32 vcc, 0, v[115:116]
	v_mov_b32_e32 v119, v113
	v_cndmask_b32_e32 v126, v116, v125, vcc
	v_mov_b32_e32 v125, v115
	v_add_f64 v[119:120], v[119:120], v[125:126]
	v_cmp_lt_f64_e32 vcc, v[117:118], v[119:120]
	v_cndmask_b32_e32 v121, v121, v113, vcc
	v_mov_b32_e32 v113, s0
	s_add_i32 s0, s0, 1
	v_cndmask_b32_e32 v122, v122, v114, vcc
	v_cndmask_b32_e32 v124, v124, v116, vcc
	;; [unrolled: 1-line block ×4, first 2 shown]
	s_cmp_lg_u32 s3, s0
	s_cbranch_scc1 .LBB62_24
.LBB62_25:
	s_waitcnt lgkmcnt(0)
	v_cmp_neq_f64_e32 vcc, 0, v[121:122]
	v_cmp_neq_f64_e64 s[0:1], 0, v[123:124]
	s_or_b64 s[18:19], vcc, s[0:1]
	s_and_saveexec_b64 s[0:1], s[18:19]
	s_cbranch_execz .LBB62_31
; %bb.26:
	v_cmp_ngt_f64_e64 s[18:19], |v[121:122]|, |v[123:124]|
	s_and_saveexec_b64 s[20:21], s[18:19]
	s_xor_b64 s[18:19], exec, s[20:21]
	s_cbranch_execz .LBB62_28
; %bb.27:
	v_div_scale_f64 v[113:114], s[20:21], v[123:124], v[123:124], v[121:122]
	v_rcp_f64_e32 v[115:116], v[113:114]
	v_fma_f64 v[117:118], -v[113:114], v[115:116], 1.0
	v_fma_f64 v[115:116], v[115:116], v[117:118], v[115:116]
	v_div_scale_f64 v[117:118], vcc, v[121:122], v[123:124], v[121:122]
	v_fma_f64 v[119:120], -v[113:114], v[115:116], 1.0
	v_fma_f64 v[115:116], v[115:116], v[119:120], v[115:116]
	v_mul_f64 v[119:120], v[117:118], v[115:116]
	v_fma_f64 v[113:114], -v[113:114], v[119:120], v[117:118]
	v_div_fmas_f64 v[113:114], v[113:114], v[115:116], v[119:120]
	v_div_fixup_f64 v[113:114], v[113:114], v[123:124], v[121:122]
	v_fma_f64 v[115:116], v[121:122], v[113:114], v[123:124]
	v_div_scale_f64 v[117:118], s[20:21], v[115:116], v[115:116], 1.0
	v_div_scale_f64 v[123:124], vcc, 1.0, v[115:116], 1.0
	v_rcp_f64_e32 v[119:120], v[117:118]
	v_fma_f64 v[121:122], -v[117:118], v[119:120], 1.0
	v_fma_f64 v[119:120], v[119:120], v[121:122], v[119:120]
	v_fma_f64 v[121:122], -v[117:118], v[119:120], 1.0
	v_fma_f64 v[119:120], v[119:120], v[121:122], v[119:120]
	v_mul_f64 v[121:122], v[123:124], v[119:120]
	v_fma_f64 v[117:118], -v[117:118], v[121:122], v[123:124]
	v_div_fmas_f64 v[117:118], v[117:118], v[119:120], v[121:122]
	v_div_fixup_f64 v[123:124], v[117:118], v[115:116], 1.0
	v_mul_f64 v[121:122], v[113:114], v[123:124]
	v_xor_b32_e32 v124, 0x80000000, v124
.LBB62_28:
	s_andn2_saveexec_b64 s[18:19], s[18:19]
	s_cbranch_execz .LBB62_30
; %bb.29:
	v_div_scale_f64 v[113:114], s[20:21], v[121:122], v[121:122], v[123:124]
	v_rcp_f64_e32 v[115:116], v[113:114]
	v_fma_f64 v[117:118], -v[113:114], v[115:116], 1.0
	v_fma_f64 v[115:116], v[115:116], v[117:118], v[115:116]
	v_div_scale_f64 v[117:118], vcc, v[123:124], v[121:122], v[123:124]
	v_fma_f64 v[119:120], -v[113:114], v[115:116], 1.0
	v_fma_f64 v[115:116], v[115:116], v[119:120], v[115:116]
	v_mul_f64 v[119:120], v[117:118], v[115:116]
	v_fma_f64 v[113:114], -v[113:114], v[119:120], v[117:118]
	v_div_fmas_f64 v[113:114], v[113:114], v[115:116], v[119:120]
	v_div_fixup_f64 v[113:114], v[113:114], v[121:122], v[123:124]
	v_fma_f64 v[115:116], v[123:124], v[113:114], v[121:122]
	v_div_scale_f64 v[117:118], s[20:21], v[115:116], v[115:116], 1.0
	v_div_scale_f64 v[123:124], vcc, 1.0, v[115:116], 1.0
	v_rcp_f64_e32 v[119:120], v[117:118]
	v_fma_f64 v[121:122], -v[117:118], v[119:120], 1.0
	v_fma_f64 v[119:120], v[119:120], v[121:122], v[119:120]
	v_fma_f64 v[121:122], -v[117:118], v[119:120], 1.0
	v_fma_f64 v[119:120], v[119:120], v[121:122], v[119:120]
	v_mul_f64 v[121:122], v[123:124], v[119:120]
	v_fma_f64 v[117:118], -v[117:118], v[121:122], v[123:124]
	v_div_fmas_f64 v[117:118], v[117:118], v[119:120], v[121:122]
	v_div_fixup_f64 v[121:122], v[117:118], v[115:116], 1.0
	v_mul_f64 v[123:124], v[113:114], -v[121:122]
.LBB62_30:
	s_or_b64 exec, exec, s[18:19]
	v_mov_b32_e32 v107, v112
.LBB62_31:
	s_or_b64 exec, exec, s[0:1]
	v_cmp_ne_u32_e32 vcc, v108, v109
	s_and_saveexec_b64 s[0:1], vcc
	s_xor_b64 s[0:1], exec, s[0:1]
	s_cbranch_execz .LBB62_37
; %bb.32:
	v_cmp_eq_u32_e32 vcc, 1, v108
	s_and_saveexec_b64 s[18:19], vcc
	s_cbranch_execz .LBB62_36
; %bb.33:
	v_cmp_ne_u32_e32 vcc, 1, v109
	s_xor_b64 s[20:21], s[6:7], -1
	s_and_b64 s[22:23], s[20:21], vcc
	s_and_saveexec_b64 s[20:21], s[22:23]
	s_cbranch_execz .LBB62_35
; %bb.34:
	buffer_load_dword v114, off, s[24:27], 0 offset:64 ; 4-byte Folded Reload
	buffer_load_dword v115, off, s[24:27], 0 offset:68 ; 4-byte Folded Reload
	v_ashrrev_i32_e32 v110, 31, v109
	v_lshlrev_b64 v[112:113], 2, v[109:110]
	s_waitcnt vmcnt(1)
	v_add_co_u32_e32 v112, vcc, v114, v112
	s_waitcnt vmcnt(0)
	v_addc_co_u32_e32 v113, vcc, v115, v113, vcc
	global_load_dword v0, v[112:113], off
	global_load_dword v108, v[114:115], off offset:4
	s_waitcnt vmcnt(1)
	global_store_dword v[114:115], v0, off offset:4
	s_waitcnt vmcnt(1)
	global_store_dword v[112:113], v108, off
.LBB62_35:
	s_or_b64 exec, exec, s[20:21]
	v_mov_b32_e32 v108, v109
	v_mov_b32_e32 v0, v109
.LBB62_36:
	s_or_b64 exec, exec, s[18:19]
.LBB62_37:
	s_andn2_saveexec_b64 s[0:1], s[0:1]
	s_cbranch_execz .LBB62_39
; %bb.38:
	buffer_load_dword v112, off, s[24:27], 0 offset:48 ; 4-byte Folded Reload
	buffer_load_dword v113, off, s[24:27], 0 offset:52 ; 4-byte Folded Reload
	;; [unrolled: 1-line block ×4, first 2 shown]
	v_mov_b32_e32 v108, 1
	s_waitcnt vmcnt(0)
	ds_write2_b64 v106, v[112:113], v[114:115] offset0:4 offset1:5
	buffer_load_dword v112, off, s[24:27], 0 offset:32 ; 4-byte Folded Reload
	buffer_load_dword v113, off, s[24:27], 0 offset:36 ; 4-byte Folded Reload
	;; [unrolled: 1-line block ×4, first 2 shown]
	s_waitcnt vmcnt(0)
	ds_write2_b64 v106, v[112:113], v[114:115] offset0:6 offset1:7
	buffer_load_dword v112, off, s[24:27], 0 offset:16 ; 4-byte Folded Reload
	buffer_load_dword v113, off, s[24:27], 0 offset:20 ; 4-byte Folded Reload
	;; [unrolled: 1-line block ×4, first 2 shown]
	s_waitcnt vmcnt(0)
	ds_write2_b64 v106, v[112:113], v[114:115] offset0:8 offset1:9
	buffer_load_dword v112, off, s[24:27], 0 ; 4-byte Folded Reload
	buffer_load_dword v113, off, s[24:27], 0 offset:4 ; 4-byte Folded Reload
	buffer_load_dword v114, off, s[24:27], 0 offset:8 ; 4-byte Folded Reload
	;; [unrolled: 1-line block ×3, first 2 shown]
	s_waitcnt vmcnt(0)
	ds_write2_b64 v106, v[112:113], v[114:115] offset0:10 offset1:11
	ds_write2_b64 v106, v[101:102], v[103:104] offset0:12 offset1:13
	;; [unrolled: 1-line block ×27, first 2 shown]
.LBB62_39:
	s_or_b64 exec, exec, s[0:1]
	v_cmp_lt_i32_e32 vcc, 1, v108
	s_waitcnt vmcnt(0) lgkmcnt(0)
	s_barrier
	s_and_saveexec_b64 s[0:1], vcc
	s_cbranch_execz .LBB62_41
; %bb.40:
	buffer_load_dword v116, off, s[24:27], 0 offset:72 ; 4-byte Folded Reload
	buffer_load_dword v117, off, s[24:27], 0 offset:76 ; 4-byte Folded Reload
	;; [unrolled: 1-line block ×4, first 2 shown]
	ds_read2_b64 v[112:115], v106 offset0:4 offset1:5
	s_waitcnt vmcnt(0)
	v_mul_f64 v[109:110], v[123:124], v[118:119]
	v_fma_f64 v[125:126], v[121:122], v[116:117], -v[109:110]
	v_mul_f64 v[109:110], v[121:122], v[118:119]
	v_fma_f64 v[118:119], v[123:124], v[116:117], v[109:110]
	s_waitcnt lgkmcnt(0)
	v_mul_f64 v[109:110], v[114:115], v[118:119]
	v_fma_f64 v[109:110], v[112:113], v[125:126], -v[109:110]
	v_mul_f64 v[112:113], v[112:113], v[118:119]
	v_fma_f64 v[112:113], v[114:115], v[125:126], v[112:113]
	buffer_load_dword v114, off, s[24:27], 0 offset:48 ; 4-byte Folded Reload
	buffer_load_dword v115, off, s[24:27], 0 offset:52 ; 4-byte Folded Reload
	buffer_load_dword v116, off, s[24:27], 0 offset:56 ; 4-byte Folded Reload
	buffer_load_dword v117, off, s[24:27], 0 offset:60 ; 4-byte Folded Reload
	s_waitcnt vmcnt(2)
	v_add_f64 v[114:115], v[114:115], -v[109:110]
	s_waitcnt vmcnt(0)
	v_add_f64 v[116:117], v[116:117], -v[112:113]
	buffer_store_dword v114, off, s[24:27], 0 offset:48 ; 4-byte Folded Spill
	s_nop 0
	buffer_store_dword v115, off, s[24:27], 0 offset:52 ; 4-byte Folded Spill
	buffer_store_dword v116, off, s[24:27], 0 offset:56 ; 4-byte Folded Spill
	buffer_store_dword v117, off, s[24:27], 0 offset:60 ; 4-byte Folded Spill
	ds_read2_b64 v[112:115], v106 offset0:6 offset1:7
	s_waitcnt lgkmcnt(0)
	v_mul_f64 v[109:110], v[114:115], v[118:119]
	v_fma_f64 v[109:110], v[112:113], v[125:126], -v[109:110]
	v_mul_f64 v[112:113], v[112:113], v[118:119]
	v_fma_f64 v[112:113], v[114:115], v[125:126], v[112:113]
	buffer_load_dword v114, off, s[24:27], 0 offset:32 ; 4-byte Folded Reload
	buffer_load_dword v115, off, s[24:27], 0 offset:36 ; 4-byte Folded Reload
	buffer_load_dword v116, off, s[24:27], 0 offset:40 ; 4-byte Folded Reload
	buffer_load_dword v117, off, s[24:27], 0 offset:44 ; 4-byte Folded Reload
	s_waitcnt vmcnt(2)
	v_add_f64 v[114:115], v[114:115], -v[109:110]
	s_waitcnt vmcnt(0)
	v_add_f64 v[116:117], v[116:117], -v[112:113]
	buffer_store_dword v114, off, s[24:27], 0 offset:32 ; 4-byte Folded Spill
	s_nop 0
	buffer_store_dword v115, off, s[24:27], 0 offset:36 ; 4-byte Folded Spill
	buffer_store_dword v116, off, s[24:27], 0 offset:40 ; 4-byte Folded Spill
	buffer_store_dword v117, off, s[24:27], 0 offset:44 ; 4-byte Folded Spill
	ds_read2_b64 v[112:115], v106 offset0:8 offset1:9
	;; [unrolled: 19-line block ×3, first 2 shown]
	s_waitcnt lgkmcnt(0)
	v_mul_f64 v[109:110], v[114:115], v[118:119]
	v_fma_f64 v[109:110], v[112:113], v[125:126], -v[109:110]
	v_mul_f64 v[112:113], v[112:113], v[118:119]
	v_fma_f64 v[112:113], v[114:115], v[125:126], v[112:113]
	buffer_load_dword v114, off, s[24:27], 0 ; 4-byte Folded Reload
	buffer_load_dword v115, off, s[24:27], 0 offset:4 ; 4-byte Folded Reload
	buffer_load_dword v116, off, s[24:27], 0 offset:8 ; 4-byte Folded Reload
	;; [unrolled: 1-line block ×3, first 2 shown]
	s_waitcnt vmcnt(2)
	v_add_f64 v[114:115], v[114:115], -v[109:110]
	s_waitcnt vmcnt(0)
	v_add_f64 v[116:117], v[116:117], -v[112:113]
	buffer_store_dword v114, off, s[24:27], 0 ; 4-byte Folded Spill
	s_nop 0
	buffer_store_dword v115, off, s[24:27], 0 offset:4 ; 4-byte Folded Spill
	buffer_store_dword v116, off, s[24:27], 0 offset:8 ; 4-byte Folded Spill
	;; [unrolled: 1-line block ×3, first 2 shown]
	ds_read2_b64 v[112:115], v106 offset0:12 offset1:13
	v_mov_b32_e32 v116, v125
	v_mov_b32_e32 v117, v126
	s_waitcnt lgkmcnt(0)
	v_mul_f64 v[109:110], v[114:115], v[118:119]
	v_fma_f64 v[109:110], v[112:113], v[125:126], -v[109:110]
	v_mul_f64 v[112:113], v[112:113], v[118:119]
	v_add_f64 v[101:102], v[101:102], -v[109:110]
	v_fma_f64 v[112:113], v[114:115], v[125:126], v[112:113]
	v_add_f64 v[103:104], v[103:104], -v[112:113]
	ds_read2_b64 v[112:115], v106 offset0:14 offset1:15
	s_waitcnt lgkmcnt(0)
	v_mul_f64 v[109:110], v[114:115], v[118:119]
	v_fma_f64 v[109:110], v[112:113], v[125:126], -v[109:110]
	v_mul_f64 v[112:113], v[112:113], v[118:119]
	v_add_f64 v[97:98], v[97:98], -v[109:110]
	v_fma_f64 v[112:113], v[114:115], v[125:126], v[112:113]
	v_add_f64 v[99:100], v[99:100], -v[112:113]
	ds_read2_b64 v[112:115], v106 offset0:16 offset1:17
	s_waitcnt lgkmcnt(0)
	v_mul_f64 v[109:110], v[114:115], v[118:119]
	v_fma_f64 v[109:110], v[112:113], v[125:126], -v[109:110]
	v_mul_f64 v[112:113], v[112:113], v[118:119]
	v_add_f64 v[93:94], v[93:94], -v[109:110]
	v_fma_f64 v[112:113], v[114:115], v[125:126], v[112:113]
	v_add_f64 v[95:96], v[95:96], -v[112:113]
	ds_read2_b64 v[112:115], v106 offset0:18 offset1:19
	s_waitcnt lgkmcnt(0)
	v_mul_f64 v[109:110], v[114:115], v[118:119]
	v_fma_f64 v[109:110], v[112:113], v[125:126], -v[109:110]
	v_mul_f64 v[112:113], v[112:113], v[118:119]
	v_add_f64 v[89:90], v[89:90], -v[109:110]
	v_fma_f64 v[112:113], v[114:115], v[125:126], v[112:113]
	v_add_f64 v[91:92], v[91:92], -v[112:113]
	ds_read2_b64 v[112:115], v106 offset0:20 offset1:21
	s_waitcnt lgkmcnt(0)
	v_mul_f64 v[109:110], v[114:115], v[118:119]
	v_fma_f64 v[109:110], v[112:113], v[125:126], -v[109:110]
	v_mul_f64 v[112:113], v[112:113], v[118:119]
	v_add_f64 v[81:82], v[81:82], -v[109:110]
	v_fma_f64 v[112:113], v[114:115], v[125:126], v[112:113]
	v_add_f64 v[83:84], v[83:84], -v[112:113]
	ds_read2_b64 v[112:115], v106 offset0:22 offset1:23
	s_waitcnt lgkmcnt(0)
	v_mul_f64 v[109:110], v[114:115], v[118:119]
	v_fma_f64 v[109:110], v[112:113], v[125:126], -v[109:110]
	v_mul_f64 v[112:113], v[112:113], v[118:119]
	v_add_f64 v[77:78], v[77:78], -v[109:110]
	v_fma_f64 v[112:113], v[114:115], v[125:126], v[112:113]
	v_add_f64 v[79:80], v[79:80], -v[112:113]
	ds_read2_b64 v[112:115], v106 offset0:24 offset1:25
	s_waitcnt lgkmcnt(0)
	v_mul_f64 v[109:110], v[114:115], v[118:119]
	v_fma_f64 v[109:110], v[112:113], v[125:126], -v[109:110]
	v_mul_f64 v[112:113], v[112:113], v[118:119]
	v_add_f64 v[73:74], v[73:74], -v[109:110]
	v_fma_f64 v[112:113], v[114:115], v[125:126], v[112:113]
	v_add_f64 v[75:76], v[75:76], -v[112:113]
	ds_read2_b64 v[112:115], v106 offset0:26 offset1:27
	s_waitcnt lgkmcnt(0)
	v_mul_f64 v[109:110], v[114:115], v[118:119]
	v_fma_f64 v[109:110], v[112:113], v[125:126], -v[109:110]
	v_mul_f64 v[112:113], v[112:113], v[118:119]
	v_add_f64 v[69:70], v[69:70], -v[109:110]
	v_fma_f64 v[112:113], v[114:115], v[125:126], v[112:113]
	v_add_f64 v[71:72], v[71:72], -v[112:113]
	ds_read2_b64 v[112:115], v106 offset0:28 offset1:29
	s_waitcnt lgkmcnt(0)
	v_mul_f64 v[109:110], v[114:115], v[118:119]
	v_fma_f64 v[109:110], v[112:113], v[125:126], -v[109:110]
	v_mul_f64 v[112:113], v[112:113], v[118:119]
	v_add_f64 v[65:66], v[65:66], -v[109:110]
	v_fma_f64 v[112:113], v[114:115], v[125:126], v[112:113]
	v_add_f64 v[67:68], v[67:68], -v[112:113]
	ds_read2_b64 v[112:115], v106 offset0:30 offset1:31
	s_waitcnt lgkmcnt(0)
	v_mul_f64 v[109:110], v[114:115], v[118:119]
	v_fma_f64 v[109:110], v[112:113], v[125:126], -v[109:110]
	v_mul_f64 v[112:113], v[112:113], v[118:119]
	v_add_f64 v[61:62], v[61:62], -v[109:110]
	v_fma_f64 v[112:113], v[114:115], v[125:126], v[112:113]
	v_add_f64 v[63:64], v[63:64], -v[112:113]
	ds_read2_b64 v[112:115], v106 offset0:32 offset1:33
	s_waitcnt lgkmcnt(0)
	v_mul_f64 v[109:110], v[114:115], v[118:119]
	v_fma_f64 v[109:110], v[112:113], v[125:126], -v[109:110]
	v_mul_f64 v[112:113], v[112:113], v[118:119]
	v_add_f64 v[57:58], v[57:58], -v[109:110]
	v_fma_f64 v[112:113], v[114:115], v[125:126], v[112:113]
	v_add_f64 v[59:60], v[59:60], -v[112:113]
	ds_read2_b64 v[112:115], v106 offset0:34 offset1:35
	s_waitcnt lgkmcnt(0)
	v_mul_f64 v[109:110], v[114:115], v[118:119]
	v_fma_f64 v[109:110], v[112:113], v[125:126], -v[109:110]
	v_mul_f64 v[112:113], v[112:113], v[118:119]
	v_add_f64 v[53:54], v[53:54], -v[109:110]
	v_fma_f64 v[112:113], v[114:115], v[125:126], v[112:113]
	v_add_f64 v[55:56], v[55:56], -v[112:113]
	ds_read2_b64 v[112:115], v106 offset0:36 offset1:37
	s_waitcnt lgkmcnt(0)
	v_mul_f64 v[109:110], v[114:115], v[118:119]
	v_fma_f64 v[109:110], v[112:113], v[125:126], -v[109:110]
	v_mul_f64 v[112:113], v[112:113], v[118:119]
	v_add_f64 v[49:50], v[49:50], -v[109:110]
	v_fma_f64 v[112:113], v[114:115], v[125:126], v[112:113]
	v_add_f64 v[51:52], v[51:52], -v[112:113]
	ds_read2_b64 v[112:115], v106 offset0:38 offset1:39
	s_waitcnt lgkmcnt(0)
	v_mul_f64 v[109:110], v[114:115], v[118:119]
	v_fma_f64 v[109:110], v[112:113], v[125:126], -v[109:110]
	v_mul_f64 v[112:113], v[112:113], v[118:119]
	v_add_f64 v[45:46], v[45:46], -v[109:110]
	v_fma_f64 v[112:113], v[114:115], v[125:126], v[112:113]
	v_add_f64 v[47:48], v[47:48], -v[112:113]
	ds_read2_b64 v[112:115], v106 offset0:40 offset1:41
	s_waitcnt lgkmcnt(0)
	v_mul_f64 v[109:110], v[114:115], v[118:119]
	v_fma_f64 v[109:110], v[112:113], v[125:126], -v[109:110]
	v_mul_f64 v[112:113], v[112:113], v[118:119]
	v_add_f64 v[41:42], v[41:42], -v[109:110]
	v_fma_f64 v[112:113], v[114:115], v[125:126], v[112:113]
	v_add_f64 v[43:44], v[43:44], -v[112:113]
	ds_read2_b64 v[112:115], v106 offset0:42 offset1:43
	s_waitcnt lgkmcnt(0)
	v_mul_f64 v[109:110], v[114:115], v[118:119]
	v_fma_f64 v[109:110], v[112:113], v[125:126], -v[109:110]
	v_mul_f64 v[112:113], v[112:113], v[118:119]
	v_add_f64 v[37:38], v[37:38], -v[109:110]
	v_fma_f64 v[112:113], v[114:115], v[125:126], v[112:113]
	v_add_f64 v[39:40], v[39:40], -v[112:113]
	ds_read2_b64 v[112:115], v106 offset0:44 offset1:45
	s_waitcnt lgkmcnt(0)
	v_mul_f64 v[109:110], v[114:115], v[118:119]
	v_fma_f64 v[109:110], v[112:113], v[125:126], -v[109:110]
	v_mul_f64 v[112:113], v[112:113], v[118:119]
	v_add_f64 v[33:34], v[33:34], -v[109:110]
	v_fma_f64 v[112:113], v[114:115], v[125:126], v[112:113]
	v_add_f64 v[35:36], v[35:36], -v[112:113]
	ds_read2_b64 v[112:115], v106 offset0:46 offset1:47
	s_waitcnt lgkmcnt(0)
	v_mul_f64 v[109:110], v[114:115], v[118:119]
	v_fma_f64 v[109:110], v[112:113], v[125:126], -v[109:110]
	v_mul_f64 v[112:113], v[112:113], v[118:119]
	v_add_f64 v[29:30], v[29:30], -v[109:110]
	v_fma_f64 v[112:113], v[114:115], v[125:126], v[112:113]
	v_add_f64 v[31:32], v[31:32], -v[112:113]
	ds_read2_b64 v[112:115], v106 offset0:48 offset1:49
	s_waitcnt lgkmcnt(0)
	v_mul_f64 v[109:110], v[114:115], v[118:119]
	v_fma_f64 v[109:110], v[112:113], v[125:126], -v[109:110]
	v_mul_f64 v[112:113], v[112:113], v[118:119]
	v_add_f64 v[25:26], v[25:26], -v[109:110]
	v_fma_f64 v[112:113], v[114:115], v[125:126], v[112:113]
	v_add_f64 v[27:28], v[27:28], -v[112:113]
	ds_read2_b64 v[112:115], v106 offset0:50 offset1:51
	s_waitcnt lgkmcnt(0)
	v_mul_f64 v[109:110], v[114:115], v[118:119]
	v_fma_f64 v[109:110], v[112:113], v[125:126], -v[109:110]
	v_mul_f64 v[112:113], v[112:113], v[118:119]
	v_add_f64 v[21:22], v[21:22], -v[109:110]
	v_fma_f64 v[112:113], v[114:115], v[125:126], v[112:113]
	v_add_f64 v[23:24], v[23:24], -v[112:113]
	ds_read2_b64 v[112:115], v106 offset0:52 offset1:53
	s_waitcnt lgkmcnt(0)
	v_mul_f64 v[109:110], v[114:115], v[118:119]
	v_fma_f64 v[109:110], v[112:113], v[125:126], -v[109:110]
	v_mul_f64 v[112:113], v[112:113], v[118:119]
	v_add_f64 v[17:18], v[17:18], -v[109:110]
	v_fma_f64 v[112:113], v[114:115], v[125:126], v[112:113]
	v_add_f64 v[19:20], v[19:20], -v[112:113]
	ds_read2_b64 v[112:115], v106 offset0:54 offset1:55
	s_waitcnt lgkmcnt(0)
	v_mul_f64 v[109:110], v[114:115], v[118:119]
	v_fma_f64 v[109:110], v[112:113], v[125:126], -v[109:110]
	v_mul_f64 v[112:113], v[112:113], v[118:119]
	v_add_f64 v[13:14], v[13:14], -v[109:110]
	v_fma_f64 v[112:113], v[114:115], v[125:126], v[112:113]
	v_add_f64 v[15:16], v[15:16], -v[112:113]
	ds_read2_b64 v[112:115], v106 offset0:56 offset1:57
	s_waitcnt lgkmcnt(0)
	v_mul_f64 v[109:110], v[114:115], v[118:119]
	v_fma_f64 v[109:110], v[112:113], v[125:126], -v[109:110]
	v_mul_f64 v[112:113], v[112:113], v[118:119]
	v_add_f64 v[9:10], v[9:10], -v[109:110]
	v_fma_f64 v[112:113], v[114:115], v[125:126], v[112:113]
	v_add_f64 v[11:12], v[11:12], -v[112:113]
	ds_read2_b64 v[112:115], v106 offset0:58 offset1:59
	s_waitcnt lgkmcnt(0)
	v_mul_f64 v[109:110], v[114:115], v[118:119]
	v_fma_f64 v[109:110], v[112:113], v[125:126], -v[109:110]
	v_mul_f64 v[112:113], v[112:113], v[118:119]
	v_add_f64 v[5:6], v[5:6], -v[109:110]
	v_fma_f64 v[112:113], v[114:115], v[125:126], v[112:113]
	v_add_f64 v[7:8], v[7:8], -v[112:113]
	ds_read2_b64 v[112:115], v106 offset0:60 offset1:61
	s_waitcnt lgkmcnt(0)
	v_mul_f64 v[109:110], v[114:115], v[118:119]
	v_fma_f64 v[109:110], v[112:113], v[125:126], -v[109:110]
	v_mul_f64 v[112:113], v[112:113], v[118:119]
	v_add_f64 v[1:2], v[1:2], -v[109:110]
	v_fma_f64 v[112:113], v[114:115], v[125:126], v[112:113]
	v_add_f64 v[3:4], v[3:4], -v[112:113]
	ds_read2_b64 v[112:115], v106 offset0:62 offset1:63
	s_waitcnt lgkmcnt(0)
	v_mul_f64 v[109:110], v[114:115], v[118:119]
	v_fma_f64 v[109:110], v[112:113], v[125:126], -v[109:110]
	v_mul_f64 v[112:113], v[112:113], v[118:119]
	buffer_store_dword v116, off, s[24:27], 0 offset:72 ; 4-byte Folded Spill
	s_nop 0
	buffer_store_dword v117, off, s[24:27], 0 offset:76 ; 4-byte Folded Spill
	buffer_store_dword v118, off, s[24:27], 0 offset:80 ; 4-byte Folded Spill
	buffer_store_dword v119, off, s[24:27], 0 offset:84 ; 4-byte Folded Spill
	v_add_f64 v[85:86], v[85:86], -v[109:110]
	v_fma_f64 v[112:113], v[114:115], v[125:126], v[112:113]
	v_add_f64 v[87:88], v[87:88], -v[112:113]
.LBB62_41:
	s_or_b64 exec, exec, s[0:1]
	s_waitcnt vmcnt(0)
	s_barrier
	buffer_load_dword v112, off, s[24:27], 0 offset:48 ; 4-byte Folded Reload
	buffer_load_dword v113, off, s[24:27], 0 offset:52 ; 4-byte Folded Reload
	;; [unrolled: 1-line block ×4, first 2 shown]
	v_lshl_add_u32 v109, v108, 4, v106
	s_cmp_lt_i32 s3, 4
	s_waitcnt vmcnt(0)
	ds_write2_b64 v109, v[112:113], v[114:115] offset1:1
	s_waitcnt lgkmcnt(0)
	s_barrier
	ds_read2_b64 v[121:124], v106 offset0:4 offset1:5
	v_mov_b32_e32 v109, 2
	s_cbranch_scc1 .LBB62_44
; %bb.42:
	v_add3_u32 v110, v111, 0, 48
	s_mov_b32 s0, 3
	v_mov_b32_e32 v109, 2
.LBB62_43:                              ; =>This Inner Loop Header: Depth=1
	s_waitcnt lgkmcnt(0)
	v_cmp_gt_f64_e32 vcc, 0, v[121:122]
	v_xor_b32_e32 v116, 0x80000000, v122
	ds_read2_b64 v[112:115], v110 offset1:1
	v_xor_b32_e32 v118, 0x80000000, v124
	v_add_u32_e32 v110, 16, v110
	s_waitcnt lgkmcnt(0)
	v_xor_b32_e32 v120, 0x80000000, v115
	v_cndmask_b32_e32 v117, v122, v116, vcc
	v_cmp_gt_f64_e32 vcc, 0, v[123:124]
	v_mov_b32_e32 v116, v121
	v_mov_b32_e32 v125, v114
	v_cndmask_b32_e32 v119, v124, v118, vcc
	v_cmp_gt_f64_e32 vcc, 0, v[112:113]
	v_mov_b32_e32 v118, v123
	v_add_f64 v[116:117], v[116:117], v[118:119]
	v_xor_b32_e32 v118, 0x80000000, v113
	v_cndmask_b32_e32 v119, v113, v118, vcc
	v_cmp_gt_f64_e32 vcc, 0, v[114:115]
	v_mov_b32_e32 v118, v112
	v_cndmask_b32_e32 v126, v115, v120, vcc
	v_add_f64 v[118:119], v[118:119], v[125:126]
	v_cmp_lt_f64_e32 vcc, v[116:117], v[118:119]
	v_cndmask_b32_e32 v121, v121, v112, vcc
	v_mov_b32_e32 v112, s0
	s_add_i32 s0, s0, 1
	v_cndmask_b32_e32 v122, v122, v113, vcc
	v_cndmask_b32_e32 v124, v124, v115, vcc
	;; [unrolled: 1-line block ×4, first 2 shown]
	s_cmp_lg_u32 s3, s0
	s_cbranch_scc1 .LBB62_43
.LBB62_44:
	s_waitcnt lgkmcnt(0)
	v_cmp_eq_f64_e32 vcc, 0, v[121:122]
	v_cmp_eq_f64_e64 s[0:1], 0, v[123:124]
	s_and_b64 s[0:1], vcc, s[0:1]
	s_and_saveexec_b64 s[18:19], s[0:1]
	s_xor_b64 s[0:1], exec, s[18:19]
; %bb.45:
	v_cmp_ne_u32_e32 vcc, 0, v107
	v_cndmask_b32_e32 v107, 3, v107, vcc
; %bb.46:
	s_andn2_saveexec_b64 s[0:1], s[0:1]
	s_cbranch_execz .LBB62_52
; %bb.47:
	v_cmp_ngt_f64_e64 s[18:19], |v[121:122]|, |v[123:124]|
	s_and_saveexec_b64 s[20:21], s[18:19]
	s_xor_b64 s[18:19], exec, s[20:21]
	s_cbranch_execz .LBB62_49
; %bb.48:
	v_div_scale_f64 v[112:113], s[20:21], v[123:124], v[123:124], v[121:122]
	v_rcp_f64_e32 v[114:115], v[112:113]
	v_fma_f64 v[116:117], -v[112:113], v[114:115], 1.0
	v_fma_f64 v[114:115], v[114:115], v[116:117], v[114:115]
	v_div_scale_f64 v[116:117], vcc, v[121:122], v[123:124], v[121:122]
	v_fma_f64 v[118:119], -v[112:113], v[114:115], 1.0
	v_fma_f64 v[114:115], v[114:115], v[118:119], v[114:115]
	v_mul_f64 v[118:119], v[116:117], v[114:115]
	v_fma_f64 v[112:113], -v[112:113], v[118:119], v[116:117]
	v_div_fmas_f64 v[112:113], v[112:113], v[114:115], v[118:119]
	v_div_fixup_f64 v[112:113], v[112:113], v[123:124], v[121:122]
	v_fma_f64 v[114:115], v[121:122], v[112:113], v[123:124]
	v_div_scale_f64 v[116:117], s[20:21], v[114:115], v[114:115], 1.0
	v_div_scale_f64 v[122:123], vcc, 1.0, v[114:115], 1.0
	v_rcp_f64_e32 v[118:119], v[116:117]
	v_fma_f64 v[120:121], -v[116:117], v[118:119], 1.0
	v_fma_f64 v[118:119], v[118:119], v[120:121], v[118:119]
	v_fma_f64 v[120:121], -v[116:117], v[118:119], 1.0
	v_fma_f64 v[118:119], v[118:119], v[120:121], v[118:119]
	v_mul_f64 v[120:121], v[122:123], v[118:119]
	v_fma_f64 v[116:117], -v[116:117], v[120:121], v[122:123]
	v_div_fmas_f64 v[116:117], v[116:117], v[118:119], v[120:121]
	v_div_fixup_f64 v[123:124], v[116:117], v[114:115], 1.0
	v_mul_f64 v[121:122], v[112:113], v[123:124]
	v_xor_b32_e32 v124, 0x80000000, v124
.LBB62_49:
	s_andn2_saveexec_b64 s[18:19], s[18:19]
	s_cbranch_execz .LBB62_51
; %bb.50:
	v_div_scale_f64 v[112:113], s[20:21], v[121:122], v[121:122], v[123:124]
	v_rcp_f64_e32 v[114:115], v[112:113]
	v_fma_f64 v[116:117], -v[112:113], v[114:115], 1.0
	v_fma_f64 v[114:115], v[114:115], v[116:117], v[114:115]
	v_div_scale_f64 v[116:117], vcc, v[123:124], v[121:122], v[123:124]
	v_fma_f64 v[118:119], -v[112:113], v[114:115], 1.0
	v_fma_f64 v[114:115], v[114:115], v[118:119], v[114:115]
	v_mul_f64 v[118:119], v[116:117], v[114:115]
	v_fma_f64 v[112:113], -v[112:113], v[118:119], v[116:117]
	v_div_fmas_f64 v[112:113], v[112:113], v[114:115], v[118:119]
	v_div_fixup_f64 v[112:113], v[112:113], v[121:122], v[123:124]
	v_fma_f64 v[114:115], v[123:124], v[112:113], v[121:122]
	v_div_scale_f64 v[116:117], s[20:21], v[114:115], v[114:115], 1.0
	v_div_scale_f64 v[122:123], vcc, 1.0, v[114:115], 1.0
	v_rcp_f64_e32 v[118:119], v[116:117]
	v_fma_f64 v[120:121], -v[116:117], v[118:119], 1.0
	v_fma_f64 v[118:119], v[118:119], v[120:121], v[118:119]
	v_fma_f64 v[120:121], -v[116:117], v[118:119], 1.0
	v_fma_f64 v[118:119], v[118:119], v[120:121], v[118:119]
	v_mul_f64 v[120:121], v[122:123], v[118:119]
	v_fma_f64 v[116:117], -v[116:117], v[120:121], v[122:123]
	v_div_fmas_f64 v[116:117], v[116:117], v[118:119], v[120:121]
	v_div_fixup_f64 v[121:122], v[116:117], v[114:115], 1.0
	v_mul_f64 v[123:124], v[112:113], -v[121:122]
.LBB62_51:
	s_or_b64 exec, exec, s[18:19]
.LBB62_52:
	s_or_b64 exec, exec, s[0:1]
	v_cmp_ne_u32_e32 vcc, v108, v109
	s_and_saveexec_b64 s[0:1], vcc
	s_xor_b64 s[0:1], exec, s[0:1]
	s_cbranch_execz .LBB62_58
; %bb.53:
	v_cmp_eq_u32_e32 vcc, 2, v108
	s_and_saveexec_b64 s[18:19], vcc
	s_cbranch_execz .LBB62_57
; %bb.54:
	v_cmp_ne_u32_e32 vcc, 2, v109
	s_xor_b64 s[20:21], s[6:7], -1
	s_and_b64 s[22:23], s[20:21], vcc
	s_and_saveexec_b64 s[20:21], s[22:23]
	s_cbranch_execz .LBB62_56
; %bb.55:
	buffer_load_dword v114, off, s[24:27], 0 offset:64 ; 4-byte Folded Reload
	buffer_load_dword v115, off, s[24:27], 0 offset:68 ; 4-byte Folded Reload
	v_ashrrev_i32_e32 v110, 31, v109
	v_lshlrev_b64 v[112:113], 2, v[109:110]
	s_waitcnt vmcnt(1)
	v_add_co_u32_e32 v112, vcc, v114, v112
	s_waitcnt vmcnt(0)
	v_addc_co_u32_e32 v113, vcc, v115, v113, vcc
	global_load_dword v0, v[112:113], off
	global_load_dword v108, v[114:115], off offset:8
	s_waitcnt vmcnt(1)
	global_store_dword v[114:115], v0, off offset:8
	s_waitcnt vmcnt(1)
	global_store_dword v[112:113], v108, off
.LBB62_56:
	s_or_b64 exec, exec, s[20:21]
	v_mov_b32_e32 v108, v109
	v_mov_b32_e32 v0, v109
.LBB62_57:
	s_or_b64 exec, exec, s[18:19]
.LBB62_58:
	s_andn2_saveexec_b64 s[0:1], s[0:1]
	s_cbranch_execz .LBB62_60
; %bb.59:
	buffer_load_dword v112, off, s[24:27], 0 offset:32 ; 4-byte Folded Reload
	buffer_load_dword v113, off, s[24:27], 0 offset:36 ; 4-byte Folded Reload
	;; [unrolled: 1-line block ×4, first 2 shown]
	v_mov_b32_e32 v108, 2
	s_waitcnt vmcnt(0)
	ds_write2_b64 v106, v[112:113], v[114:115] offset0:6 offset1:7
	buffer_load_dword v112, off, s[24:27], 0 offset:16 ; 4-byte Folded Reload
	buffer_load_dword v113, off, s[24:27], 0 offset:20 ; 4-byte Folded Reload
	;; [unrolled: 1-line block ×4, first 2 shown]
	s_waitcnt vmcnt(0)
	ds_write2_b64 v106, v[112:113], v[114:115] offset0:8 offset1:9
	buffer_load_dword v112, off, s[24:27], 0 ; 4-byte Folded Reload
	buffer_load_dword v113, off, s[24:27], 0 offset:4 ; 4-byte Folded Reload
	buffer_load_dword v114, off, s[24:27], 0 offset:8 ; 4-byte Folded Reload
	;; [unrolled: 1-line block ×3, first 2 shown]
	s_waitcnt vmcnt(0)
	ds_write2_b64 v106, v[112:113], v[114:115] offset0:10 offset1:11
	ds_write2_b64 v106, v[101:102], v[103:104] offset0:12 offset1:13
	;; [unrolled: 1-line block ×27, first 2 shown]
.LBB62_60:
	s_or_b64 exec, exec, s[0:1]
	v_cmp_lt_i32_e32 vcc, 2, v108
	s_waitcnt vmcnt(0) lgkmcnt(0)
	s_barrier
	s_and_saveexec_b64 s[0:1], vcc
	s_cbranch_execz .LBB62_62
; %bb.61:
	buffer_load_dword v116, off, s[24:27], 0 offset:48 ; 4-byte Folded Reload
	buffer_load_dword v117, off, s[24:27], 0 offset:52 ; 4-byte Folded Reload
	;; [unrolled: 1-line block ×4, first 2 shown]
	ds_read2_b64 v[112:115], v106 offset0:6 offset1:7
	s_waitcnt vmcnt(0)
	v_mul_f64 v[109:110], v[123:124], v[118:119]
	v_fma_f64 v[125:126], v[121:122], v[116:117], -v[109:110]
	v_mul_f64 v[109:110], v[121:122], v[118:119]
	v_fma_f64 v[118:119], v[123:124], v[116:117], v[109:110]
	s_waitcnt lgkmcnt(0)
	v_mul_f64 v[109:110], v[114:115], v[118:119]
	v_fma_f64 v[109:110], v[112:113], v[125:126], -v[109:110]
	v_mul_f64 v[112:113], v[112:113], v[118:119]
	v_fma_f64 v[112:113], v[114:115], v[125:126], v[112:113]
	buffer_load_dword v114, off, s[24:27], 0 offset:32 ; 4-byte Folded Reload
	buffer_load_dword v115, off, s[24:27], 0 offset:36 ; 4-byte Folded Reload
	;; [unrolled: 1-line block ×4, first 2 shown]
	s_waitcnt vmcnt(2)
	v_add_f64 v[114:115], v[114:115], -v[109:110]
	s_waitcnt vmcnt(0)
	v_add_f64 v[116:117], v[116:117], -v[112:113]
	buffer_store_dword v114, off, s[24:27], 0 offset:32 ; 4-byte Folded Spill
	s_nop 0
	buffer_store_dword v115, off, s[24:27], 0 offset:36 ; 4-byte Folded Spill
	buffer_store_dword v116, off, s[24:27], 0 offset:40 ; 4-byte Folded Spill
	;; [unrolled: 1-line block ×3, first 2 shown]
	ds_read2_b64 v[112:115], v106 offset0:8 offset1:9
	s_waitcnt lgkmcnt(0)
	v_mul_f64 v[109:110], v[114:115], v[118:119]
	v_fma_f64 v[109:110], v[112:113], v[125:126], -v[109:110]
	v_mul_f64 v[112:113], v[112:113], v[118:119]
	v_fma_f64 v[112:113], v[114:115], v[125:126], v[112:113]
	buffer_load_dword v114, off, s[24:27], 0 offset:16 ; 4-byte Folded Reload
	buffer_load_dword v115, off, s[24:27], 0 offset:20 ; 4-byte Folded Reload
	buffer_load_dword v116, off, s[24:27], 0 offset:24 ; 4-byte Folded Reload
	buffer_load_dword v117, off, s[24:27], 0 offset:28 ; 4-byte Folded Reload
	s_waitcnt vmcnt(2)
	v_add_f64 v[114:115], v[114:115], -v[109:110]
	s_waitcnt vmcnt(0)
	v_add_f64 v[116:117], v[116:117], -v[112:113]
	buffer_store_dword v114, off, s[24:27], 0 offset:16 ; 4-byte Folded Spill
	s_nop 0
	buffer_store_dword v115, off, s[24:27], 0 offset:20 ; 4-byte Folded Spill
	buffer_store_dword v116, off, s[24:27], 0 offset:24 ; 4-byte Folded Spill
	;; [unrolled: 1-line block ×3, first 2 shown]
	ds_read2_b64 v[112:115], v106 offset0:10 offset1:11
	s_waitcnt lgkmcnt(0)
	v_mul_f64 v[109:110], v[114:115], v[118:119]
	v_fma_f64 v[109:110], v[112:113], v[125:126], -v[109:110]
	v_mul_f64 v[112:113], v[112:113], v[118:119]
	v_fma_f64 v[112:113], v[114:115], v[125:126], v[112:113]
	buffer_load_dword v114, off, s[24:27], 0 ; 4-byte Folded Reload
	buffer_load_dword v115, off, s[24:27], 0 offset:4 ; 4-byte Folded Reload
	buffer_load_dword v116, off, s[24:27], 0 offset:8 ; 4-byte Folded Reload
	;; [unrolled: 1-line block ×3, first 2 shown]
	s_waitcnt vmcnt(2)
	v_add_f64 v[114:115], v[114:115], -v[109:110]
	s_waitcnt vmcnt(0)
	v_add_f64 v[116:117], v[116:117], -v[112:113]
	buffer_store_dword v114, off, s[24:27], 0 ; 4-byte Folded Spill
	s_nop 0
	buffer_store_dword v115, off, s[24:27], 0 offset:4 ; 4-byte Folded Spill
	buffer_store_dword v116, off, s[24:27], 0 offset:8 ; 4-byte Folded Spill
	;; [unrolled: 1-line block ×3, first 2 shown]
	ds_read2_b64 v[112:115], v106 offset0:12 offset1:13
	v_mov_b32_e32 v116, v125
	v_mov_b32_e32 v117, v126
	s_waitcnt lgkmcnt(0)
	v_mul_f64 v[109:110], v[114:115], v[118:119]
	v_fma_f64 v[109:110], v[112:113], v[125:126], -v[109:110]
	v_mul_f64 v[112:113], v[112:113], v[118:119]
	v_add_f64 v[101:102], v[101:102], -v[109:110]
	v_fma_f64 v[112:113], v[114:115], v[125:126], v[112:113]
	v_add_f64 v[103:104], v[103:104], -v[112:113]
	ds_read2_b64 v[112:115], v106 offset0:14 offset1:15
	s_waitcnt lgkmcnt(0)
	v_mul_f64 v[109:110], v[114:115], v[118:119]
	v_fma_f64 v[109:110], v[112:113], v[125:126], -v[109:110]
	v_mul_f64 v[112:113], v[112:113], v[118:119]
	v_add_f64 v[97:98], v[97:98], -v[109:110]
	v_fma_f64 v[112:113], v[114:115], v[125:126], v[112:113]
	v_add_f64 v[99:100], v[99:100], -v[112:113]
	ds_read2_b64 v[112:115], v106 offset0:16 offset1:17
	;; [unrolled: 8-line block ×25, first 2 shown]
	s_waitcnt lgkmcnt(0)
	v_mul_f64 v[109:110], v[114:115], v[118:119]
	v_fma_f64 v[109:110], v[112:113], v[125:126], -v[109:110]
	v_mul_f64 v[112:113], v[112:113], v[118:119]
	buffer_store_dword v116, off, s[24:27], 0 offset:48 ; 4-byte Folded Spill
	s_nop 0
	buffer_store_dword v117, off, s[24:27], 0 offset:52 ; 4-byte Folded Spill
	buffer_store_dword v118, off, s[24:27], 0 offset:56 ; 4-byte Folded Spill
	;; [unrolled: 1-line block ×3, first 2 shown]
	v_add_f64 v[85:86], v[85:86], -v[109:110]
	v_fma_f64 v[112:113], v[114:115], v[125:126], v[112:113]
	v_add_f64 v[87:88], v[87:88], -v[112:113]
.LBB62_62:
	s_or_b64 exec, exec, s[0:1]
	s_waitcnt vmcnt(0)
	s_barrier
	buffer_load_dword v112, off, s[24:27], 0 offset:32 ; 4-byte Folded Reload
	buffer_load_dword v113, off, s[24:27], 0 offset:36 ; 4-byte Folded Reload
	;; [unrolled: 1-line block ×4, first 2 shown]
	v_lshl_add_u32 v109, v108, 4, v106
	s_mov_b32 s0, 4
	s_cmp_lt_i32 s3, 5
	s_waitcnt vmcnt(0)
	ds_write2_b64 v109, v[112:113], v[114:115] offset1:1
	s_waitcnt lgkmcnt(0)
	s_barrier
	ds_read2_b64 v[121:124], v106 offset0:6 offset1:7
	v_mov_b32_e32 v109, 3
	s_cbranch_scc1 .LBB62_65
; %bb.63:
	v_add3_u32 v110, v111, 0, 64
	v_mov_b32_e32 v109, 3
.LBB62_64:                              ; =>This Inner Loop Header: Depth=1
	s_waitcnt lgkmcnt(0)
	v_cmp_gt_f64_e32 vcc, 0, v[121:122]
	v_xor_b32_e32 v115, 0x80000000, v122
	ds_read2_b64 v[111:114], v110 offset1:1
	v_xor_b32_e32 v117, 0x80000000, v124
	v_add_u32_e32 v110, 16, v110
	s_waitcnt lgkmcnt(0)
	v_xor_b32_e32 v119, 0x80000000, v114
	v_cndmask_b32_e32 v116, v122, v115, vcc
	v_cmp_gt_f64_e32 vcc, 0, v[123:124]
	v_mov_b32_e32 v115, v121
	v_cndmask_b32_e32 v118, v124, v117, vcc
	v_cmp_gt_f64_e32 vcc, 0, v[111:112]
	v_mov_b32_e32 v117, v123
	v_add_f64 v[115:116], v[115:116], v[117:118]
	v_xor_b32_e32 v117, 0x80000000, v112
	v_cndmask_b32_e32 v118, v112, v117, vcc
	v_cmp_gt_f64_e32 vcc, 0, v[113:114]
	v_mov_b32_e32 v117, v111
	v_cndmask_b32_e32 v120, v114, v119, vcc
	v_mov_b32_e32 v119, v113
	v_add_f64 v[117:118], v[117:118], v[119:120]
	v_cmp_lt_f64_e32 vcc, v[115:116], v[117:118]
	v_cndmask_b32_e32 v121, v121, v111, vcc
	v_mov_b32_e32 v111, s0
	s_add_i32 s0, s0, 1
	v_cndmask_b32_e32 v122, v122, v112, vcc
	v_cndmask_b32_e32 v124, v124, v114, vcc
	;; [unrolled: 1-line block ×4, first 2 shown]
	s_cmp_lg_u32 s3, s0
	s_cbranch_scc1 .LBB62_64
.LBB62_65:
	s_waitcnt lgkmcnt(0)
	v_cmp_eq_f64_e32 vcc, 0, v[121:122]
	v_cmp_eq_f64_e64 s[0:1], 0, v[123:124]
	s_and_b64 s[0:1], vcc, s[0:1]
	s_and_saveexec_b64 s[18:19], s[0:1]
	s_xor_b64 s[0:1], exec, s[18:19]
; %bb.66:
	v_cmp_ne_u32_e32 vcc, 0, v107
	v_cndmask_b32_e32 v107, 4, v107, vcc
; %bb.67:
	s_andn2_saveexec_b64 s[0:1], s[0:1]
	s_cbranch_execz .LBB62_73
; %bb.68:
	v_cmp_ngt_f64_e64 s[18:19], |v[121:122]|, |v[123:124]|
	s_and_saveexec_b64 s[20:21], s[18:19]
	s_xor_b64 s[18:19], exec, s[20:21]
	s_cbranch_execz .LBB62_70
; %bb.69:
	v_div_scale_f64 v[110:111], s[20:21], v[123:124], v[123:124], v[121:122]
	v_rcp_f64_e32 v[112:113], v[110:111]
	v_fma_f64 v[114:115], -v[110:111], v[112:113], 1.0
	v_fma_f64 v[112:113], v[112:113], v[114:115], v[112:113]
	v_div_scale_f64 v[114:115], vcc, v[121:122], v[123:124], v[121:122]
	v_fma_f64 v[116:117], -v[110:111], v[112:113], 1.0
	v_fma_f64 v[112:113], v[112:113], v[116:117], v[112:113]
	v_mul_f64 v[116:117], v[114:115], v[112:113]
	v_fma_f64 v[110:111], -v[110:111], v[116:117], v[114:115]
	v_div_fmas_f64 v[110:111], v[110:111], v[112:113], v[116:117]
	v_div_fixup_f64 v[110:111], v[110:111], v[123:124], v[121:122]
	v_fma_f64 v[112:113], v[121:122], v[110:111], v[123:124]
	v_div_scale_f64 v[114:115], s[20:21], v[112:113], v[112:113], 1.0
	v_div_scale_f64 v[120:121], vcc, 1.0, v[112:113], 1.0
	v_rcp_f64_e32 v[116:117], v[114:115]
	v_fma_f64 v[118:119], -v[114:115], v[116:117], 1.0
	v_fma_f64 v[116:117], v[116:117], v[118:119], v[116:117]
	v_fma_f64 v[118:119], -v[114:115], v[116:117], 1.0
	v_fma_f64 v[116:117], v[116:117], v[118:119], v[116:117]
	v_mul_f64 v[118:119], v[120:121], v[116:117]
	v_fma_f64 v[114:115], -v[114:115], v[118:119], v[120:121]
	v_div_fmas_f64 v[114:115], v[114:115], v[116:117], v[118:119]
	v_div_fixup_f64 v[123:124], v[114:115], v[112:113], 1.0
	v_mul_f64 v[121:122], v[110:111], v[123:124]
	v_xor_b32_e32 v124, 0x80000000, v124
.LBB62_70:
	s_andn2_saveexec_b64 s[18:19], s[18:19]
	s_cbranch_execz .LBB62_72
; %bb.71:
	v_div_scale_f64 v[110:111], s[20:21], v[121:122], v[121:122], v[123:124]
	v_rcp_f64_e32 v[112:113], v[110:111]
	v_fma_f64 v[114:115], -v[110:111], v[112:113], 1.0
	v_fma_f64 v[112:113], v[112:113], v[114:115], v[112:113]
	v_div_scale_f64 v[114:115], vcc, v[123:124], v[121:122], v[123:124]
	v_fma_f64 v[116:117], -v[110:111], v[112:113], 1.0
	v_fma_f64 v[112:113], v[112:113], v[116:117], v[112:113]
	v_mul_f64 v[116:117], v[114:115], v[112:113]
	v_fma_f64 v[110:111], -v[110:111], v[116:117], v[114:115]
	v_div_fmas_f64 v[110:111], v[110:111], v[112:113], v[116:117]
	v_div_fixup_f64 v[110:111], v[110:111], v[121:122], v[123:124]
	v_fma_f64 v[112:113], v[123:124], v[110:111], v[121:122]
	v_div_scale_f64 v[114:115], s[20:21], v[112:113], v[112:113], 1.0
	v_div_scale_f64 v[120:121], vcc, 1.0, v[112:113], 1.0
	v_rcp_f64_e32 v[116:117], v[114:115]
	v_fma_f64 v[118:119], -v[114:115], v[116:117], 1.0
	v_fma_f64 v[116:117], v[116:117], v[118:119], v[116:117]
	v_fma_f64 v[118:119], -v[114:115], v[116:117], 1.0
	v_fma_f64 v[116:117], v[116:117], v[118:119], v[116:117]
	v_mul_f64 v[118:119], v[120:121], v[116:117]
	v_fma_f64 v[114:115], -v[114:115], v[118:119], v[120:121]
	v_div_fmas_f64 v[114:115], v[114:115], v[116:117], v[118:119]
	v_div_fixup_f64 v[121:122], v[114:115], v[112:113], 1.0
	v_mul_f64 v[123:124], v[110:111], -v[121:122]
.LBB62_72:
	s_or_b64 exec, exec, s[18:19]
.LBB62_73:
	s_or_b64 exec, exec, s[0:1]
	v_cmp_ne_u32_e32 vcc, v108, v109
	s_and_saveexec_b64 s[0:1], vcc
	s_xor_b64 s[0:1], exec, s[0:1]
	s_cbranch_execz .LBB62_79
; %bb.74:
	v_cmp_eq_u32_e32 vcc, 3, v108
	s_and_saveexec_b64 s[18:19], vcc
	s_cbranch_execz .LBB62_78
; %bb.75:
	v_cmp_ne_u32_e32 vcc, 3, v109
	s_xor_b64 s[20:21], s[6:7], -1
	s_and_b64 s[22:23], s[20:21], vcc
	s_and_saveexec_b64 s[20:21], s[22:23]
	s_cbranch_execz .LBB62_77
; %bb.76:
	buffer_load_dword v112, off, s[24:27], 0 offset:64 ; 4-byte Folded Reload
	buffer_load_dword v113, off, s[24:27], 0 offset:68 ; 4-byte Folded Reload
	v_ashrrev_i32_e32 v110, 31, v109
	v_lshlrev_b64 v[110:111], 2, v[109:110]
	s_waitcnt vmcnt(1)
	v_add_co_u32_e32 v110, vcc, v112, v110
	s_waitcnt vmcnt(0)
	v_addc_co_u32_e32 v111, vcc, v113, v111, vcc
	global_load_dword v0, v[110:111], off
	global_load_dword v108, v[112:113], off offset:12
	s_waitcnt vmcnt(1)
	global_store_dword v[112:113], v0, off offset:12
	s_waitcnt vmcnt(1)
	global_store_dword v[110:111], v108, off
.LBB62_77:
	s_or_b64 exec, exec, s[20:21]
	v_mov_b32_e32 v108, v109
	v_mov_b32_e32 v0, v109
.LBB62_78:
	s_or_b64 exec, exec, s[18:19]
.LBB62_79:
	s_andn2_saveexec_b64 s[0:1], s[0:1]
	s_cbranch_execz .LBB62_81
; %bb.80:
	buffer_load_dword v108, off, s[24:27], 0 offset:16 ; 4-byte Folded Reload
	buffer_load_dword v109, off, s[24:27], 0 offset:20 ; 4-byte Folded Reload
	;; [unrolled: 1-line block ×4, first 2 shown]
	s_waitcnt vmcnt(0)
	ds_write2_b64 v106, v[108:109], v[110:111] offset0:8 offset1:9
	buffer_load_dword v108, off, s[24:27], 0 ; 4-byte Folded Reload
	buffer_load_dword v109, off, s[24:27], 0 offset:4 ; 4-byte Folded Reload
	buffer_load_dword v110, off, s[24:27], 0 offset:8 ; 4-byte Folded Reload
	;; [unrolled: 1-line block ×3, first 2 shown]
	s_waitcnt vmcnt(0)
	ds_write2_b64 v106, v[108:109], v[110:111] offset0:10 offset1:11
	ds_write2_b64 v106, v[101:102], v[103:104] offset0:12 offset1:13
	;; [unrolled: 1-line block ×27, first 2 shown]
	v_mov_b32_e32 v108, 3
.LBB62_81:
	s_or_b64 exec, exec, s[0:1]
	v_cmp_lt_i32_e32 vcc, 3, v108
	s_waitcnt vmcnt(0) lgkmcnt(0)
	s_barrier
	s_and_saveexec_b64 s[0:1], vcc
	s_cbranch_execz .LBB62_83
; %bb.82:
	buffer_load_dword v117, off, s[24:27], 0 offset:32 ; 4-byte Folded Reload
	buffer_load_dword v118, off, s[24:27], 0 offset:36 ; 4-byte Folded Reload
	;; [unrolled: 1-line block ×4, first 2 shown]
	s_waitcnt vmcnt(0)
	v_mul_f64 v[109:110], v[123:124], v[119:120]
	v_fma_f64 v[125:126], v[121:122], v[117:118], -v[109:110]
	v_mul_f64 v[109:110], v[121:122], v[119:120]
	v_fma_f64 v[119:120], v[123:124], v[117:118], v[109:110]
	ds_read2_b64 v[109:112], v106 offset0:8 offset1:9
	buffer_load_dword v115, off, s[24:27], 0 offset:16 ; 4-byte Folded Reload
	buffer_load_dword v116, off, s[24:27], 0 offset:20 ; 4-byte Folded Reload
	;; [unrolled: 1-line block ×4, first 2 shown]
	s_waitcnt lgkmcnt(0)
	v_mul_f64 v[113:114], v[111:112], v[119:120]
	v_fma_f64 v[113:114], v[109:110], v[125:126], -v[113:114]
	v_mul_f64 v[109:110], v[109:110], v[119:120]
	v_fma_f64 v[109:110], v[111:112], v[125:126], v[109:110]
	s_waitcnt vmcnt(2)
	v_add_f64 v[115:116], v[115:116], -v[113:114]
	s_waitcnt vmcnt(0)
	v_add_f64 v[117:118], v[117:118], -v[109:110]
	buffer_store_dword v115, off, s[24:27], 0 offset:16 ; 4-byte Folded Spill
	s_nop 0
	buffer_store_dword v116, off, s[24:27], 0 offset:20 ; 4-byte Folded Spill
	buffer_store_dword v117, off, s[24:27], 0 offset:24 ; 4-byte Folded Spill
	;; [unrolled: 1-line block ×3, first 2 shown]
	ds_read2_b64 v[109:112], v106 offset0:10 offset1:11
	buffer_load_dword v115, off, s[24:27], 0 ; 4-byte Folded Reload
	buffer_load_dword v116, off, s[24:27], 0 offset:4 ; 4-byte Folded Reload
	buffer_load_dword v117, off, s[24:27], 0 offset:8 ; 4-byte Folded Reload
	;; [unrolled: 1-line block ×3, first 2 shown]
	s_waitcnt lgkmcnt(0)
	v_mul_f64 v[113:114], v[111:112], v[119:120]
	v_fma_f64 v[113:114], v[109:110], v[125:126], -v[113:114]
	v_mul_f64 v[109:110], v[109:110], v[119:120]
	v_fma_f64 v[109:110], v[111:112], v[125:126], v[109:110]
	s_waitcnt vmcnt(2)
	v_add_f64 v[115:116], v[115:116], -v[113:114]
	s_waitcnt vmcnt(0)
	v_add_f64 v[117:118], v[117:118], -v[109:110]
	buffer_store_dword v115, off, s[24:27], 0 ; 4-byte Folded Spill
	s_nop 0
	buffer_store_dword v116, off, s[24:27], 0 offset:4 ; 4-byte Folded Spill
	buffer_store_dword v117, off, s[24:27], 0 offset:8 ; 4-byte Folded Spill
	;; [unrolled: 1-line block ×3, first 2 shown]
	ds_read2_b64 v[109:112], v106 offset0:12 offset1:13
	v_mov_b32_e32 v117, v125
	v_mov_b32_e32 v118, v126
	s_waitcnt lgkmcnt(0)
	v_mul_f64 v[113:114], v[111:112], v[119:120]
	v_fma_f64 v[113:114], v[109:110], v[125:126], -v[113:114]
	v_mul_f64 v[109:110], v[109:110], v[119:120]
	v_add_f64 v[101:102], v[101:102], -v[113:114]
	v_fma_f64 v[109:110], v[111:112], v[125:126], v[109:110]
	v_add_f64 v[103:104], v[103:104], -v[109:110]
	ds_read2_b64 v[109:112], v106 offset0:14 offset1:15
	s_waitcnt lgkmcnt(0)
	v_mul_f64 v[113:114], v[111:112], v[119:120]
	v_fma_f64 v[113:114], v[109:110], v[125:126], -v[113:114]
	v_mul_f64 v[109:110], v[109:110], v[119:120]
	v_add_f64 v[97:98], v[97:98], -v[113:114]
	v_fma_f64 v[109:110], v[111:112], v[125:126], v[109:110]
	v_add_f64 v[99:100], v[99:100], -v[109:110]
	ds_read2_b64 v[109:112], v106 offset0:16 offset1:17
	;; [unrolled: 8-line block ×25, first 2 shown]
	s_waitcnt lgkmcnt(0)
	v_mul_f64 v[113:114], v[111:112], v[119:120]
	v_fma_f64 v[113:114], v[109:110], v[125:126], -v[113:114]
	v_mul_f64 v[109:110], v[109:110], v[119:120]
	buffer_store_dword v117, off, s[24:27], 0 offset:32 ; 4-byte Folded Spill
	s_nop 0
	buffer_store_dword v118, off, s[24:27], 0 offset:36 ; 4-byte Folded Spill
	buffer_store_dword v119, off, s[24:27], 0 offset:40 ; 4-byte Folded Spill
	;; [unrolled: 1-line block ×3, first 2 shown]
	v_add_f64 v[85:86], v[85:86], -v[113:114]
	v_fma_f64 v[109:110], v[111:112], v[125:126], v[109:110]
	v_add_f64 v[87:88], v[87:88], -v[109:110]
.LBB62_83:
	s_or_b64 exec, exec, s[0:1]
	s_waitcnt vmcnt(0)
	s_barrier
	buffer_load_dword v110, off, s[24:27], 0 offset:16 ; 4-byte Folded Reload
	buffer_load_dword v111, off, s[24:27], 0 offset:20 ; 4-byte Folded Reload
	;; [unrolled: 1-line block ×4, first 2 shown]
	v_lshl_add_u32 v109, v108, 4, v106
	s_cmp_lt_i32 s3, 6
	s_waitcnt vmcnt(0)
	ds_write2_b64 v109, v[110:111], v[112:113] offset1:1
	s_waitcnt lgkmcnt(0)
	s_barrier
	ds_read2_b64 v[121:124], v106 offset0:8 offset1:9
	v_mov_b32_e32 v109, 4
	s_cbranch_scc1 .LBB62_86
; %bb.84:
	v_mov_b32_e32 v109, 4
	v_add_u32_e32 v110, 0x50, v106
	s_mov_b32 s0, 5
.LBB62_85:                              ; =>This Inner Loop Header: Depth=1
	s_waitcnt lgkmcnt(0)
	v_cmp_gt_f64_e32 vcc, 0, v[121:122]
	v_xor_b32_e32 v115, 0x80000000, v122
	ds_read2_b64 v[111:114], v110 offset1:1
	v_xor_b32_e32 v117, 0x80000000, v124
	v_add_u32_e32 v110, 16, v110
	s_waitcnt lgkmcnt(0)
	v_xor_b32_e32 v119, 0x80000000, v114
	v_cndmask_b32_e32 v116, v122, v115, vcc
	v_cmp_gt_f64_e32 vcc, 0, v[123:124]
	v_mov_b32_e32 v115, v121
	v_cndmask_b32_e32 v118, v124, v117, vcc
	v_cmp_gt_f64_e32 vcc, 0, v[111:112]
	v_mov_b32_e32 v117, v123
	v_add_f64 v[115:116], v[115:116], v[117:118]
	v_xor_b32_e32 v117, 0x80000000, v112
	v_cndmask_b32_e32 v118, v112, v117, vcc
	v_cmp_gt_f64_e32 vcc, 0, v[113:114]
	v_mov_b32_e32 v117, v111
	v_cndmask_b32_e32 v120, v114, v119, vcc
	v_mov_b32_e32 v119, v113
	v_add_f64 v[117:118], v[117:118], v[119:120]
	v_cmp_lt_f64_e32 vcc, v[115:116], v[117:118]
	v_cndmask_b32_e32 v121, v121, v111, vcc
	v_mov_b32_e32 v111, s0
	s_add_i32 s0, s0, 1
	v_cndmask_b32_e32 v122, v122, v112, vcc
	v_cndmask_b32_e32 v124, v124, v114, vcc
	;; [unrolled: 1-line block ×4, first 2 shown]
	s_cmp_lg_u32 s3, s0
	s_cbranch_scc1 .LBB62_85
.LBB62_86:
	s_waitcnt lgkmcnt(0)
	v_cmp_eq_f64_e32 vcc, 0, v[121:122]
	v_cmp_eq_f64_e64 s[0:1], 0, v[123:124]
	s_and_b64 s[0:1], vcc, s[0:1]
	s_and_saveexec_b64 s[18:19], s[0:1]
	s_xor_b64 s[0:1], exec, s[18:19]
; %bb.87:
	v_cmp_ne_u32_e32 vcc, 0, v107
	v_cndmask_b32_e32 v107, 5, v107, vcc
; %bb.88:
	s_andn2_saveexec_b64 s[0:1], s[0:1]
	s_cbranch_execz .LBB62_94
; %bb.89:
	v_cmp_ngt_f64_e64 s[18:19], |v[121:122]|, |v[123:124]|
	s_and_saveexec_b64 s[20:21], s[18:19]
	s_xor_b64 s[18:19], exec, s[20:21]
	s_cbranch_execz .LBB62_91
; %bb.90:
	v_div_scale_f64 v[110:111], s[20:21], v[123:124], v[123:124], v[121:122]
	v_rcp_f64_e32 v[112:113], v[110:111]
	v_fma_f64 v[114:115], -v[110:111], v[112:113], 1.0
	v_fma_f64 v[112:113], v[112:113], v[114:115], v[112:113]
	v_div_scale_f64 v[114:115], vcc, v[121:122], v[123:124], v[121:122]
	v_fma_f64 v[116:117], -v[110:111], v[112:113], 1.0
	v_fma_f64 v[112:113], v[112:113], v[116:117], v[112:113]
	v_mul_f64 v[116:117], v[114:115], v[112:113]
	v_fma_f64 v[110:111], -v[110:111], v[116:117], v[114:115]
	v_div_fmas_f64 v[110:111], v[110:111], v[112:113], v[116:117]
	v_div_fixup_f64 v[110:111], v[110:111], v[123:124], v[121:122]
	v_fma_f64 v[112:113], v[121:122], v[110:111], v[123:124]
	v_div_scale_f64 v[114:115], s[20:21], v[112:113], v[112:113], 1.0
	v_div_scale_f64 v[120:121], vcc, 1.0, v[112:113], 1.0
	v_rcp_f64_e32 v[116:117], v[114:115]
	v_fma_f64 v[118:119], -v[114:115], v[116:117], 1.0
	v_fma_f64 v[116:117], v[116:117], v[118:119], v[116:117]
	v_fma_f64 v[118:119], -v[114:115], v[116:117], 1.0
	v_fma_f64 v[116:117], v[116:117], v[118:119], v[116:117]
	v_mul_f64 v[118:119], v[120:121], v[116:117]
	v_fma_f64 v[114:115], -v[114:115], v[118:119], v[120:121]
	v_div_fmas_f64 v[114:115], v[114:115], v[116:117], v[118:119]
	v_div_fixup_f64 v[123:124], v[114:115], v[112:113], 1.0
	v_mul_f64 v[121:122], v[110:111], v[123:124]
	v_xor_b32_e32 v124, 0x80000000, v124
.LBB62_91:
	s_andn2_saveexec_b64 s[18:19], s[18:19]
	s_cbranch_execz .LBB62_93
; %bb.92:
	v_div_scale_f64 v[110:111], s[20:21], v[121:122], v[121:122], v[123:124]
	v_rcp_f64_e32 v[112:113], v[110:111]
	v_fma_f64 v[114:115], -v[110:111], v[112:113], 1.0
	v_fma_f64 v[112:113], v[112:113], v[114:115], v[112:113]
	v_div_scale_f64 v[114:115], vcc, v[123:124], v[121:122], v[123:124]
	v_fma_f64 v[116:117], -v[110:111], v[112:113], 1.0
	v_fma_f64 v[112:113], v[112:113], v[116:117], v[112:113]
	v_mul_f64 v[116:117], v[114:115], v[112:113]
	v_fma_f64 v[110:111], -v[110:111], v[116:117], v[114:115]
	v_div_fmas_f64 v[110:111], v[110:111], v[112:113], v[116:117]
	v_div_fixup_f64 v[110:111], v[110:111], v[121:122], v[123:124]
	v_fma_f64 v[112:113], v[123:124], v[110:111], v[121:122]
	v_div_scale_f64 v[114:115], s[20:21], v[112:113], v[112:113], 1.0
	v_div_scale_f64 v[120:121], vcc, 1.0, v[112:113], 1.0
	v_rcp_f64_e32 v[116:117], v[114:115]
	v_fma_f64 v[118:119], -v[114:115], v[116:117], 1.0
	v_fma_f64 v[116:117], v[116:117], v[118:119], v[116:117]
	v_fma_f64 v[118:119], -v[114:115], v[116:117], 1.0
	v_fma_f64 v[116:117], v[116:117], v[118:119], v[116:117]
	v_mul_f64 v[118:119], v[120:121], v[116:117]
	v_fma_f64 v[114:115], -v[114:115], v[118:119], v[120:121]
	v_div_fmas_f64 v[114:115], v[114:115], v[116:117], v[118:119]
	v_div_fixup_f64 v[121:122], v[114:115], v[112:113], 1.0
	v_mul_f64 v[123:124], v[110:111], -v[121:122]
.LBB62_93:
	s_or_b64 exec, exec, s[18:19]
.LBB62_94:
	s_or_b64 exec, exec, s[0:1]
	v_cmp_ne_u32_e32 vcc, v108, v109
	s_and_saveexec_b64 s[0:1], vcc
	s_xor_b64 s[0:1], exec, s[0:1]
	s_cbranch_execz .LBB62_100
; %bb.95:
	v_cmp_eq_u32_e32 vcc, 4, v108
	s_and_saveexec_b64 s[18:19], vcc
	s_cbranch_execz .LBB62_99
; %bb.96:
	v_cmp_ne_u32_e32 vcc, 4, v109
	s_xor_b64 s[20:21], s[6:7], -1
	s_and_b64 s[22:23], s[20:21], vcc
	s_and_saveexec_b64 s[20:21], s[22:23]
	s_cbranch_execz .LBB62_98
; %bb.97:
	buffer_load_dword v112, off, s[24:27], 0 offset:64 ; 4-byte Folded Reload
	buffer_load_dword v113, off, s[24:27], 0 offset:68 ; 4-byte Folded Reload
	v_ashrrev_i32_e32 v110, 31, v109
	v_lshlrev_b64 v[110:111], 2, v[109:110]
	s_waitcnt vmcnt(1)
	v_add_co_u32_e32 v110, vcc, v112, v110
	s_waitcnt vmcnt(0)
	v_addc_co_u32_e32 v111, vcc, v113, v111, vcc
	global_load_dword v0, v[110:111], off
	global_load_dword v108, v[112:113], off offset:16
	s_waitcnt vmcnt(1)
	global_store_dword v[112:113], v0, off offset:16
	s_waitcnt vmcnt(1)
	global_store_dword v[110:111], v108, off
.LBB62_98:
	s_or_b64 exec, exec, s[20:21]
	v_mov_b32_e32 v108, v109
	v_mov_b32_e32 v0, v109
.LBB62_99:
	s_or_b64 exec, exec, s[18:19]
.LBB62_100:
	s_andn2_saveexec_b64 s[0:1], s[0:1]
	s_cbranch_execz .LBB62_102
; %bb.101:
	buffer_load_dword v108, off, s[24:27], 0 ; 4-byte Folded Reload
	buffer_load_dword v109, off, s[24:27], 0 offset:4 ; 4-byte Folded Reload
	buffer_load_dword v110, off, s[24:27], 0 offset:8 ; 4-byte Folded Reload
	;; [unrolled: 1-line block ×3, first 2 shown]
	s_waitcnt vmcnt(0)
	ds_write2_b64 v106, v[108:109], v[110:111] offset0:10 offset1:11
	ds_write2_b64 v106, v[101:102], v[103:104] offset0:12 offset1:13
	;; [unrolled: 1-line block ×27, first 2 shown]
	v_mov_b32_e32 v108, 4
.LBB62_102:
	s_or_b64 exec, exec, s[0:1]
	v_cmp_lt_i32_e32 vcc, 4, v108
	s_waitcnt vmcnt(0) lgkmcnt(0)
	s_barrier
	s_and_saveexec_b64 s[0:1], vcc
	s_cbranch_execz .LBB62_104
; %bb.103:
	buffer_load_dword v117, off, s[24:27], 0 offset:16 ; 4-byte Folded Reload
	buffer_load_dword v118, off, s[24:27], 0 offset:20 ; 4-byte Folded Reload
	;; [unrolled: 1-line block ×4, first 2 shown]
	s_waitcnt vmcnt(0)
	v_mul_f64 v[109:110], v[123:124], v[119:120]
	v_fma_f64 v[125:126], v[121:122], v[117:118], -v[109:110]
	v_mul_f64 v[109:110], v[121:122], v[119:120]
	v_fma_f64 v[119:120], v[123:124], v[117:118], v[109:110]
	ds_read2_b64 v[109:112], v106 offset0:10 offset1:11
	buffer_load_dword v115, off, s[24:27], 0 ; 4-byte Folded Reload
	buffer_load_dword v116, off, s[24:27], 0 offset:4 ; 4-byte Folded Reload
	buffer_load_dword v117, off, s[24:27], 0 offset:8 ; 4-byte Folded Reload
	;; [unrolled: 1-line block ×3, first 2 shown]
	s_waitcnt lgkmcnt(0)
	v_mul_f64 v[113:114], v[111:112], v[119:120]
	v_fma_f64 v[113:114], v[109:110], v[125:126], -v[113:114]
	v_mul_f64 v[109:110], v[109:110], v[119:120]
	v_fma_f64 v[109:110], v[111:112], v[125:126], v[109:110]
	s_waitcnt vmcnt(2)
	v_add_f64 v[115:116], v[115:116], -v[113:114]
	s_waitcnt vmcnt(0)
	v_add_f64 v[117:118], v[117:118], -v[109:110]
	buffer_store_dword v115, off, s[24:27], 0 ; 4-byte Folded Spill
	s_nop 0
	buffer_store_dword v116, off, s[24:27], 0 offset:4 ; 4-byte Folded Spill
	buffer_store_dword v117, off, s[24:27], 0 offset:8 ; 4-byte Folded Spill
	;; [unrolled: 1-line block ×3, first 2 shown]
	ds_read2_b64 v[109:112], v106 offset0:12 offset1:13
	v_mov_b32_e32 v117, v125
	v_mov_b32_e32 v118, v126
	s_waitcnt lgkmcnt(0)
	v_mul_f64 v[113:114], v[111:112], v[119:120]
	v_fma_f64 v[113:114], v[109:110], v[125:126], -v[113:114]
	v_mul_f64 v[109:110], v[109:110], v[119:120]
	v_add_f64 v[101:102], v[101:102], -v[113:114]
	v_fma_f64 v[109:110], v[111:112], v[125:126], v[109:110]
	v_add_f64 v[103:104], v[103:104], -v[109:110]
	ds_read2_b64 v[109:112], v106 offset0:14 offset1:15
	s_waitcnt lgkmcnt(0)
	v_mul_f64 v[113:114], v[111:112], v[119:120]
	v_fma_f64 v[113:114], v[109:110], v[125:126], -v[113:114]
	v_mul_f64 v[109:110], v[109:110], v[119:120]
	v_add_f64 v[97:98], v[97:98], -v[113:114]
	v_fma_f64 v[109:110], v[111:112], v[125:126], v[109:110]
	v_add_f64 v[99:100], v[99:100], -v[109:110]
	ds_read2_b64 v[109:112], v106 offset0:16 offset1:17
	;; [unrolled: 8-line block ×25, first 2 shown]
	s_waitcnt lgkmcnt(0)
	v_mul_f64 v[113:114], v[111:112], v[119:120]
	v_fma_f64 v[113:114], v[109:110], v[125:126], -v[113:114]
	v_mul_f64 v[109:110], v[109:110], v[119:120]
	buffer_store_dword v117, off, s[24:27], 0 offset:16 ; 4-byte Folded Spill
	s_nop 0
	buffer_store_dword v118, off, s[24:27], 0 offset:20 ; 4-byte Folded Spill
	buffer_store_dword v119, off, s[24:27], 0 offset:24 ; 4-byte Folded Spill
	;; [unrolled: 1-line block ×3, first 2 shown]
	v_add_f64 v[85:86], v[85:86], -v[113:114]
	v_fma_f64 v[109:110], v[111:112], v[125:126], v[109:110]
	v_add_f64 v[87:88], v[87:88], -v[109:110]
.LBB62_104:
	s_or_b64 exec, exec, s[0:1]
	s_waitcnt vmcnt(0)
	s_barrier
	buffer_load_dword v110, off, s[24:27], 0 ; 4-byte Folded Reload
	buffer_load_dword v111, off, s[24:27], 0 offset:4 ; 4-byte Folded Reload
	buffer_load_dword v112, off, s[24:27], 0 offset:8 ; 4-byte Folded Reload
	;; [unrolled: 1-line block ×3, first 2 shown]
	v_lshl_add_u32 v109, v108, 4, v106
	s_cmp_lt_i32 s3, 7
	s_waitcnt vmcnt(0)
	ds_write2_b64 v109, v[110:111], v[112:113] offset1:1
	s_waitcnt lgkmcnt(0)
	s_barrier
	ds_read2_b64 v[121:124], v106 offset0:10 offset1:11
	v_mov_b32_e32 v109, 5
	s_cbranch_scc1 .LBB62_107
; %bb.105:
	v_add_u32_e32 v110, 0x60, v106
	s_mov_b32 s0, 6
	v_mov_b32_e32 v109, 5
.LBB62_106:                             ; =>This Inner Loop Header: Depth=1
	s_waitcnt lgkmcnt(0)
	v_cmp_gt_f64_e32 vcc, 0, v[121:122]
	v_xor_b32_e32 v115, 0x80000000, v122
	ds_read2_b64 v[111:114], v110 offset1:1
	v_xor_b32_e32 v117, 0x80000000, v124
	v_add_u32_e32 v110, 16, v110
	s_waitcnt lgkmcnt(0)
	v_xor_b32_e32 v119, 0x80000000, v114
	v_cndmask_b32_e32 v116, v122, v115, vcc
	v_cmp_gt_f64_e32 vcc, 0, v[123:124]
	v_mov_b32_e32 v115, v121
	v_cndmask_b32_e32 v118, v124, v117, vcc
	v_cmp_gt_f64_e32 vcc, 0, v[111:112]
	v_mov_b32_e32 v117, v123
	v_add_f64 v[115:116], v[115:116], v[117:118]
	v_xor_b32_e32 v117, 0x80000000, v112
	v_cndmask_b32_e32 v118, v112, v117, vcc
	v_cmp_gt_f64_e32 vcc, 0, v[113:114]
	v_mov_b32_e32 v117, v111
	v_cndmask_b32_e32 v120, v114, v119, vcc
	v_mov_b32_e32 v119, v113
	v_add_f64 v[117:118], v[117:118], v[119:120]
	v_cmp_lt_f64_e32 vcc, v[115:116], v[117:118]
	v_cndmask_b32_e32 v121, v121, v111, vcc
	v_mov_b32_e32 v111, s0
	s_add_i32 s0, s0, 1
	v_cndmask_b32_e32 v122, v122, v112, vcc
	v_cndmask_b32_e32 v124, v124, v114, vcc
	;; [unrolled: 1-line block ×4, first 2 shown]
	s_cmp_lg_u32 s3, s0
	s_cbranch_scc1 .LBB62_106
.LBB62_107:
	s_waitcnt lgkmcnt(0)
	v_cmp_eq_f64_e32 vcc, 0, v[121:122]
	v_cmp_eq_f64_e64 s[0:1], 0, v[123:124]
	s_and_b64 s[0:1], vcc, s[0:1]
	s_and_saveexec_b64 s[18:19], s[0:1]
	s_xor_b64 s[0:1], exec, s[18:19]
; %bb.108:
	v_cmp_ne_u32_e32 vcc, 0, v107
	v_cndmask_b32_e32 v107, 6, v107, vcc
; %bb.109:
	s_andn2_saveexec_b64 s[0:1], s[0:1]
	s_cbranch_execz .LBB62_115
; %bb.110:
	v_cmp_ngt_f64_e64 s[18:19], |v[121:122]|, |v[123:124]|
	s_and_saveexec_b64 s[20:21], s[18:19]
	s_xor_b64 s[18:19], exec, s[20:21]
	s_cbranch_execz .LBB62_112
; %bb.111:
	v_div_scale_f64 v[110:111], s[20:21], v[123:124], v[123:124], v[121:122]
	v_rcp_f64_e32 v[112:113], v[110:111]
	v_fma_f64 v[114:115], -v[110:111], v[112:113], 1.0
	v_fma_f64 v[112:113], v[112:113], v[114:115], v[112:113]
	v_div_scale_f64 v[114:115], vcc, v[121:122], v[123:124], v[121:122]
	v_fma_f64 v[116:117], -v[110:111], v[112:113], 1.0
	v_fma_f64 v[112:113], v[112:113], v[116:117], v[112:113]
	v_mul_f64 v[116:117], v[114:115], v[112:113]
	v_fma_f64 v[110:111], -v[110:111], v[116:117], v[114:115]
	v_div_fmas_f64 v[110:111], v[110:111], v[112:113], v[116:117]
	v_div_fixup_f64 v[110:111], v[110:111], v[123:124], v[121:122]
	v_fma_f64 v[112:113], v[121:122], v[110:111], v[123:124]
	v_div_scale_f64 v[114:115], s[20:21], v[112:113], v[112:113], 1.0
	v_div_scale_f64 v[120:121], vcc, 1.0, v[112:113], 1.0
	v_rcp_f64_e32 v[116:117], v[114:115]
	v_fma_f64 v[118:119], -v[114:115], v[116:117], 1.0
	v_fma_f64 v[116:117], v[116:117], v[118:119], v[116:117]
	v_fma_f64 v[118:119], -v[114:115], v[116:117], 1.0
	v_fma_f64 v[116:117], v[116:117], v[118:119], v[116:117]
	v_mul_f64 v[118:119], v[120:121], v[116:117]
	v_fma_f64 v[114:115], -v[114:115], v[118:119], v[120:121]
	v_div_fmas_f64 v[114:115], v[114:115], v[116:117], v[118:119]
	v_div_fixup_f64 v[123:124], v[114:115], v[112:113], 1.0
	v_mul_f64 v[121:122], v[110:111], v[123:124]
	v_xor_b32_e32 v124, 0x80000000, v124
.LBB62_112:
	s_andn2_saveexec_b64 s[18:19], s[18:19]
	s_cbranch_execz .LBB62_114
; %bb.113:
	v_div_scale_f64 v[110:111], s[20:21], v[121:122], v[121:122], v[123:124]
	v_rcp_f64_e32 v[112:113], v[110:111]
	v_fma_f64 v[114:115], -v[110:111], v[112:113], 1.0
	v_fma_f64 v[112:113], v[112:113], v[114:115], v[112:113]
	v_div_scale_f64 v[114:115], vcc, v[123:124], v[121:122], v[123:124]
	v_fma_f64 v[116:117], -v[110:111], v[112:113], 1.0
	v_fma_f64 v[112:113], v[112:113], v[116:117], v[112:113]
	v_mul_f64 v[116:117], v[114:115], v[112:113]
	v_fma_f64 v[110:111], -v[110:111], v[116:117], v[114:115]
	v_div_fmas_f64 v[110:111], v[110:111], v[112:113], v[116:117]
	v_div_fixup_f64 v[110:111], v[110:111], v[121:122], v[123:124]
	v_fma_f64 v[112:113], v[123:124], v[110:111], v[121:122]
	v_div_scale_f64 v[114:115], s[20:21], v[112:113], v[112:113], 1.0
	v_div_scale_f64 v[120:121], vcc, 1.0, v[112:113], 1.0
	v_rcp_f64_e32 v[116:117], v[114:115]
	v_fma_f64 v[118:119], -v[114:115], v[116:117], 1.0
	v_fma_f64 v[116:117], v[116:117], v[118:119], v[116:117]
	v_fma_f64 v[118:119], -v[114:115], v[116:117], 1.0
	v_fma_f64 v[116:117], v[116:117], v[118:119], v[116:117]
	v_mul_f64 v[118:119], v[120:121], v[116:117]
	v_fma_f64 v[114:115], -v[114:115], v[118:119], v[120:121]
	v_div_fmas_f64 v[114:115], v[114:115], v[116:117], v[118:119]
	v_div_fixup_f64 v[121:122], v[114:115], v[112:113], 1.0
	v_mul_f64 v[123:124], v[110:111], -v[121:122]
.LBB62_114:
	s_or_b64 exec, exec, s[18:19]
.LBB62_115:
	s_or_b64 exec, exec, s[0:1]
	v_cmp_ne_u32_e32 vcc, v108, v109
	s_and_saveexec_b64 s[0:1], vcc
	s_xor_b64 s[0:1], exec, s[0:1]
	s_cbranch_execz .LBB62_121
; %bb.116:
	v_cmp_eq_u32_e32 vcc, 5, v108
	s_and_saveexec_b64 s[18:19], vcc
	s_cbranch_execz .LBB62_120
; %bb.117:
	v_cmp_ne_u32_e32 vcc, 5, v109
	s_xor_b64 s[20:21], s[6:7], -1
	s_and_b64 s[22:23], s[20:21], vcc
	s_and_saveexec_b64 s[20:21], s[22:23]
	s_cbranch_execz .LBB62_119
; %bb.118:
	buffer_load_dword v112, off, s[24:27], 0 offset:64 ; 4-byte Folded Reload
	buffer_load_dword v113, off, s[24:27], 0 offset:68 ; 4-byte Folded Reload
	v_ashrrev_i32_e32 v110, 31, v109
	v_lshlrev_b64 v[110:111], 2, v[109:110]
	s_waitcnt vmcnt(1)
	v_add_co_u32_e32 v110, vcc, v112, v110
	s_waitcnt vmcnt(0)
	v_addc_co_u32_e32 v111, vcc, v113, v111, vcc
	global_load_dword v0, v[110:111], off
	global_load_dword v108, v[112:113], off offset:20
	s_waitcnt vmcnt(1)
	global_store_dword v[112:113], v0, off offset:20
	s_waitcnt vmcnt(1)
	global_store_dword v[110:111], v108, off
.LBB62_119:
	s_or_b64 exec, exec, s[20:21]
	v_mov_b32_e32 v108, v109
	v_mov_b32_e32 v0, v109
.LBB62_120:
	s_or_b64 exec, exec, s[18:19]
.LBB62_121:
	s_andn2_saveexec_b64 s[0:1], s[0:1]
	s_cbranch_execz .LBB62_123
; %bb.122:
	v_mov_b32_e32 v108, 5
	ds_write2_b64 v106, v[101:102], v[103:104] offset0:12 offset1:13
	ds_write2_b64 v106, v[97:98], v[99:100] offset0:14 offset1:15
	;; [unrolled: 1-line block ×26, first 2 shown]
.LBB62_123:
	s_or_b64 exec, exec, s[0:1]
	v_cmp_lt_i32_e32 vcc, 5, v108
	s_waitcnt vmcnt(0) lgkmcnt(0)
	s_barrier
	s_and_saveexec_b64 s[0:1], vcc
	s_cbranch_execz .LBB62_125
; %bb.124:
	buffer_load_dword v113, off, s[24:27], 0 ; 4-byte Folded Reload
	buffer_load_dword v114, off, s[24:27], 0 offset:4 ; 4-byte Folded Reload
	buffer_load_dword v115, off, s[24:27], 0 offset:8 ; 4-byte Folded Reload
	;; [unrolled: 1-line block ×3, first 2 shown]
	s_waitcnt vmcnt(0)
	v_mul_f64 v[109:110], v[123:124], v[115:116]
	v_fma_f64 v[125:126], v[121:122], v[113:114], -v[109:110]
	v_mul_f64 v[109:110], v[121:122], v[115:116]
	v_fma_f64 v[115:116], v[123:124], v[113:114], v[109:110]
	ds_read2_b64 v[109:112], v106 offset0:12 offset1:13
	s_waitcnt lgkmcnt(0)
	v_mul_f64 v[113:114], v[111:112], v[115:116]
	v_fma_f64 v[113:114], v[109:110], v[125:126], -v[113:114]
	v_mul_f64 v[109:110], v[109:110], v[115:116]
	v_add_f64 v[101:102], v[101:102], -v[113:114]
	v_fma_f64 v[109:110], v[111:112], v[125:126], v[109:110]
	v_add_f64 v[103:104], v[103:104], -v[109:110]
	ds_read2_b64 v[109:112], v106 offset0:14 offset1:15
	s_waitcnt lgkmcnt(0)
	v_mul_f64 v[113:114], v[111:112], v[115:116]
	v_fma_f64 v[113:114], v[109:110], v[125:126], -v[113:114]
	v_mul_f64 v[109:110], v[109:110], v[115:116]
	v_add_f64 v[97:98], v[97:98], -v[113:114]
	v_fma_f64 v[109:110], v[111:112], v[125:126], v[109:110]
	v_add_f64 v[99:100], v[99:100], -v[109:110]
	;; [unrolled: 8-line block ×25, first 2 shown]
	ds_read2_b64 v[109:112], v106 offset0:62 offset1:63
	s_waitcnt lgkmcnt(0)
	v_mul_f64 v[113:114], v[111:112], v[115:116]
	v_fma_f64 v[113:114], v[109:110], v[125:126], -v[113:114]
	v_mul_f64 v[109:110], v[109:110], v[115:116]
	v_add_f64 v[85:86], v[85:86], -v[113:114]
	v_fma_f64 v[109:110], v[111:112], v[125:126], v[109:110]
	v_mov_b32_e32 v113, v125
	v_mov_b32_e32 v114, v126
	buffer_store_dword v113, off, s[24:27], 0 ; 4-byte Folded Spill
	s_nop 0
	buffer_store_dword v114, off, s[24:27], 0 offset:4 ; 4-byte Folded Spill
	buffer_store_dword v115, off, s[24:27], 0 offset:8 ; 4-byte Folded Spill
	;; [unrolled: 1-line block ×3, first 2 shown]
	v_add_f64 v[87:88], v[87:88], -v[109:110]
.LBB62_125:
	s_or_b64 exec, exec, s[0:1]
	v_lshl_add_u32 v109, v108, 4, v106
	s_waitcnt vmcnt(0)
	s_barrier
	ds_write2_b64 v109, v[101:102], v[103:104] offset1:1
	s_waitcnt lgkmcnt(0)
	s_barrier
	ds_read2_b64 v[121:124], v106 offset0:12 offset1:13
	s_cmp_lt_i32 s3, 8
	v_mov_b32_e32 v109, 6
	s_cbranch_scc1 .LBB62_128
; %bb.126:
	v_add_u32_e32 v110, 0x70, v106
	s_mov_b32 s0, 7
	v_mov_b32_e32 v109, 6
.LBB62_127:                             ; =>This Inner Loop Header: Depth=1
	s_waitcnt lgkmcnt(0)
	v_cmp_gt_f64_e32 vcc, 0, v[121:122]
	v_xor_b32_e32 v115, 0x80000000, v122
	ds_read2_b64 v[111:114], v110 offset1:1
	v_xor_b32_e32 v117, 0x80000000, v124
	v_add_u32_e32 v110, 16, v110
	s_waitcnt lgkmcnt(0)
	v_xor_b32_e32 v119, 0x80000000, v114
	v_cndmask_b32_e32 v116, v122, v115, vcc
	v_cmp_gt_f64_e32 vcc, 0, v[123:124]
	v_mov_b32_e32 v115, v121
	v_cndmask_b32_e32 v118, v124, v117, vcc
	v_cmp_gt_f64_e32 vcc, 0, v[111:112]
	v_mov_b32_e32 v117, v123
	v_add_f64 v[115:116], v[115:116], v[117:118]
	v_xor_b32_e32 v117, 0x80000000, v112
	v_cndmask_b32_e32 v118, v112, v117, vcc
	v_cmp_gt_f64_e32 vcc, 0, v[113:114]
	v_mov_b32_e32 v117, v111
	v_cndmask_b32_e32 v120, v114, v119, vcc
	v_mov_b32_e32 v119, v113
	v_add_f64 v[117:118], v[117:118], v[119:120]
	v_cmp_lt_f64_e32 vcc, v[115:116], v[117:118]
	v_cndmask_b32_e32 v121, v121, v111, vcc
	v_mov_b32_e32 v111, s0
	s_add_i32 s0, s0, 1
	v_cndmask_b32_e32 v122, v122, v112, vcc
	v_cndmask_b32_e32 v124, v124, v114, vcc
	;; [unrolled: 1-line block ×4, first 2 shown]
	s_cmp_lg_u32 s3, s0
	s_cbranch_scc1 .LBB62_127
.LBB62_128:
	s_waitcnt lgkmcnt(0)
	v_cmp_eq_f64_e32 vcc, 0, v[121:122]
	v_cmp_eq_f64_e64 s[0:1], 0, v[123:124]
	s_and_b64 s[0:1], vcc, s[0:1]
	s_and_saveexec_b64 s[18:19], s[0:1]
	s_xor_b64 s[0:1], exec, s[18:19]
; %bb.129:
	v_cmp_ne_u32_e32 vcc, 0, v107
	v_cndmask_b32_e32 v107, 7, v107, vcc
; %bb.130:
	s_andn2_saveexec_b64 s[0:1], s[0:1]
	s_cbranch_execz .LBB62_136
; %bb.131:
	v_cmp_ngt_f64_e64 s[18:19], |v[121:122]|, |v[123:124]|
	s_and_saveexec_b64 s[20:21], s[18:19]
	s_xor_b64 s[18:19], exec, s[20:21]
	s_cbranch_execz .LBB62_133
; %bb.132:
	v_div_scale_f64 v[110:111], s[20:21], v[123:124], v[123:124], v[121:122]
	v_rcp_f64_e32 v[112:113], v[110:111]
	v_fma_f64 v[114:115], -v[110:111], v[112:113], 1.0
	v_fma_f64 v[112:113], v[112:113], v[114:115], v[112:113]
	v_div_scale_f64 v[114:115], vcc, v[121:122], v[123:124], v[121:122]
	v_fma_f64 v[116:117], -v[110:111], v[112:113], 1.0
	v_fma_f64 v[112:113], v[112:113], v[116:117], v[112:113]
	v_mul_f64 v[116:117], v[114:115], v[112:113]
	v_fma_f64 v[110:111], -v[110:111], v[116:117], v[114:115]
	v_div_fmas_f64 v[110:111], v[110:111], v[112:113], v[116:117]
	v_div_fixup_f64 v[110:111], v[110:111], v[123:124], v[121:122]
	v_fma_f64 v[112:113], v[121:122], v[110:111], v[123:124]
	v_div_scale_f64 v[114:115], s[20:21], v[112:113], v[112:113], 1.0
	v_div_scale_f64 v[120:121], vcc, 1.0, v[112:113], 1.0
	v_rcp_f64_e32 v[116:117], v[114:115]
	v_fma_f64 v[118:119], -v[114:115], v[116:117], 1.0
	v_fma_f64 v[116:117], v[116:117], v[118:119], v[116:117]
	v_fma_f64 v[118:119], -v[114:115], v[116:117], 1.0
	v_fma_f64 v[116:117], v[116:117], v[118:119], v[116:117]
	v_mul_f64 v[118:119], v[120:121], v[116:117]
	v_fma_f64 v[114:115], -v[114:115], v[118:119], v[120:121]
	v_div_fmas_f64 v[114:115], v[114:115], v[116:117], v[118:119]
	v_div_fixup_f64 v[123:124], v[114:115], v[112:113], 1.0
	v_mul_f64 v[121:122], v[110:111], v[123:124]
	v_xor_b32_e32 v124, 0x80000000, v124
.LBB62_133:
	s_andn2_saveexec_b64 s[18:19], s[18:19]
	s_cbranch_execz .LBB62_135
; %bb.134:
	v_div_scale_f64 v[110:111], s[20:21], v[121:122], v[121:122], v[123:124]
	v_rcp_f64_e32 v[112:113], v[110:111]
	v_fma_f64 v[114:115], -v[110:111], v[112:113], 1.0
	v_fma_f64 v[112:113], v[112:113], v[114:115], v[112:113]
	v_div_scale_f64 v[114:115], vcc, v[123:124], v[121:122], v[123:124]
	v_fma_f64 v[116:117], -v[110:111], v[112:113], 1.0
	v_fma_f64 v[112:113], v[112:113], v[116:117], v[112:113]
	v_mul_f64 v[116:117], v[114:115], v[112:113]
	v_fma_f64 v[110:111], -v[110:111], v[116:117], v[114:115]
	v_div_fmas_f64 v[110:111], v[110:111], v[112:113], v[116:117]
	v_div_fixup_f64 v[110:111], v[110:111], v[121:122], v[123:124]
	v_fma_f64 v[112:113], v[123:124], v[110:111], v[121:122]
	v_div_scale_f64 v[114:115], s[20:21], v[112:113], v[112:113], 1.0
	v_div_scale_f64 v[120:121], vcc, 1.0, v[112:113], 1.0
	v_rcp_f64_e32 v[116:117], v[114:115]
	v_fma_f64 v[118:119], -v[114:115], v[116:117], 1.0
	v_fma_f64 v[116:117], v[116:117], v[118:119], v[116:117]
	v_fma_f64 v[118:119], -v[114:115], v[116:117], 1.0
	v_fma_f64 v[116:117], v[116:117], v[118:119], v[116:117]
	v_mul_f64 v[118:119], v[120:121], v[116:117]
	v_fma_f64 v[114:115], -v[114:115], v[118:119], v[120:121]
	v_div_fmas_f64 v[114:115], v[114:115], v[116:117], v[118:119]
	v_div_fixup_f64 v[121:122], v[114:115], v[112:113], 1.0
	v_mul_f64 v[123:124], v[110:111], -v[121:122]
.LBB62_135:
	s_or_b64 exec, exec, s[18:19]
.LBB62_136:
	s_or_b64 exec, exec, s[0:1]
	v_cmp_ne_u32_e32 vcc, v108, v109
	s_and_saveexec_b64 s[0:1], vcc
	s_xor_b64 s[0:1], exec, s[0:1]
	s_cbranch_execz .LBB62_142
; %bb.137:
	v_cmp_eq_u32_e32 vcc, 6, v108
	s_and_saveexec_b64 s[18:19], vcc
	s_cbranch_execz .LBB62_141
; %bb.138:
	v_cmp_ne_u32_e32 vcc, 6, v109
	s_xor_b64 s[20:21], s[6:7], -1
	s_and_b64 s[22:23], s[20:21], vcc
	s_and_saveexec_b64 s[20:21], s[22:23]
	s_cbranch_execz .LBB62_140
; %bb.139:
	buffer_load_dword v112, off, s[24:27], 0 offset:64 ; 4-byte Folded Reload
	buffer_load_dword v113, off, s[24:27], 0 offset:68 ; 4-byte Folded Reload
	v_ashrrev_i32_e32 v110, 31, v109
	v_lshlrev_b64 v[110:111], 2, v[109:110]
	s_waitcnt vmcnt(1)
	v_add_co_u32_e32 v110, vcc, v112, v110
	s_waitcnt vmcnt(0)
	v_addc_co_u32_e32 v111, vcc, v113, v111, vcc
	global_load_dword v0, v[110:111], off
	global_load_dword v108, v[112:113], off offset:24
	s_waitcnt vmcnt(1)
	global_store_dword v[112:113], v0, off offset:24
	s_waitcnt vmcnt(1)
	global_store_dword v[110:111], v108, off
.LBB62_140:
	s_or_b64 exec, exec, s[20:21]
	v_mov_b32_e32 v108, v109
	v_mov_b32_e32 v0, v109
.LBB62_141:
	s_or_b64 exec, exec, s[18:19]
.LBB62_142:
	s_andn2_saveexec_b64 s[0:1], s[0:1]
	s_cbranch_execz .LBB62_144
; %bb.143:
	v_mov_b32_e32 v108, 6
	ds_write2_b64 v106, v[97:98], v[99:100] offset0:14 offset1:15
	ds_write2_b64 v106, v[93:94], v[95:96] offset0:16 offset1:17
	;; [unrolled: 1-line block ×25, first 2 shown]
.LBB62_144:
	s_or_b64 exec, exec, s[0:1]
	v_cmp_lt_i32_e32 vcc, 6, v108
	s_waitcnt vmcnt(0) lgkmcnt(0)
	s_barrier
	s_and_saveexec_b64 s[0:1], vcc
	s_cbranch_execz .LBB62_146
; %bb.145:
	v_mul_f64 v[109:110], v[123:124], v[103:104]
	v_mul_f64 v[103:104], v[121:122], v[103:104]
	v_fma_f64 v[125:126], v[121:122], v[101:102], -v[109:110]
	v_fma_f64 v[103:104], v[123:124], v[101:102], v[103:104]
	ds_read2_b64 v[109:112], v106 offset0:14 offset1:15
	s_waitcnt lgkmcnt(0)
	v_mul_f64 v[101:102], v[111:112], v[103:104]
	v_fma_f64 v[101:102], v[109:110], v[125:126], -v[101:102]
	v_mul_f64 v[109:110], v[109:110], v[103:104]
	v_add_f64 v[97:98], v[97:98], -v[101:102]
	v_fma_f64 v[109:110], v[111:112], v[125:126], v[109:110]
	v_add_f64 v[99:100], v[99:100], -v[109:110]
	ds_read2_b64 v[109:112], v106 offset0:16 offset1:17
	s_waitcnt lgkmcnt(0)
	v_mul_f64 v[101:102], v[111:112], v[103:104]
	v_fma_f64 v[101:102], v[109:110], v[125:126], -v[101:102]
	v_mul_f64 v[109:110], v[109:110], v[103:104]
	v_add_f64 v[93:94], v[93:94], -v[101:102]
	v_fma_f64 v[109:110], v[111:112], v[125:126], v[109:110]
	v_add_f64 v[95:96], v[95:96], -v[109:110]
	;; [unrolled: 8-line block ×24, first 2 shown]
	ds_read2_b64 v[109:112], v106 offset0:62 offset1:63
	s_waitcnt lgkmcnt(0)
	v_mul_f64 v[101:102], v[111:112], v[103:104]
	v_fma_f64 v[101:102], v[109:110], v[125:126], -v[101:102]
	v_mul_f64 v[109:110], v[109:110], v[103:104]
	v_add_f64 v[85:86], v[85:86], -v[101:102]
	v_fma_f64 v[109:110], v[111:112], v[125:126], v[109:110]
	v_mov_b32_e32 v101, v125
	v_mov_b32_e32 v102, v126
	v_add_f64 v[87:88], v[87:88], -v[109:110]
.LBB62_146:
	s_or_b64 exec, exec, s[0:1]
	v_lshl_add_u32 v109, v108, 4, v106
	s_barrier
	ds_write2_b64 v109, v[97:98], v[99:100] offset1:1
	s_waitcnt lgkmcnt(0)
	s_barrier
	ds_read2_b64 v[121:124], v106 offset0:14 offset1:15
	s_cmp_lt_i32 s3, 9
	v_mov_b32_e32 v109, 7
	s_cbranch_scc1 .LBB62_149
; %bb.147:
	v_add_u32_e32 v110, 0x80, v106
	s_mov_b32 s0, 8
	v_mov_b32_e32 v109, 7
.LBB62_148:                             ; =>This Inner Loop Header: Depth=1
	s_waitcnt lgkmcnt(0)
	v_cmp_gt_f64_e32 vcc, 0, v[121:122]
	v_xor_b32_e32 v115, 0x80000000, v122
	ds_read2_b64 v[111:114], v110 offset1:1
	v_xor_b32_e32 v117, 0x80000000, v124
	v_add_u32_e32 v110, 16, v110
	s_waitcnt lgkmcnt(0)
	v_xor_b32_e32 v119, 0x80000000, v114
	v_cndmask_b32_e32 v116, v122, v115, vcc
	v_cmp_gt_f64_e32 vcc, 0, v[123:124]
	v_mov_b32_e32 v115, v121
	v_cndmask_b32_e32 v118, v124, v117, vcc
	v_cmp_gt_f64_e32 vcc, 0, v[111:112]
	v_mov_b32_e32 v117, v123
	v_add_f64 v[115:116], v[115:116], v[117:118]
	v_xor_b32_e32 v117, 0x80000000, v112
	v_cndmask_b32_e32 v118, v112, v117, vcc
	v_cmp_gt_f64_e32 vcc, 0, v[113:114]
	v_mov_b32_e32 v117, v111
	v_cndmask_b32_e32 v120, v114, v119, vcc
	v_mov_b32_e32 v119, v113
	v_add_f64 v[117:118], v[117:118], v[119:120]
	v_cmp_lt_f64_e32 vcc, v[115:116], v[117:118]
	v_cndmask_b32_e32 v121, v121, v111, vcc
	v_mov_b32_e32 v111, s0
	s_add_i32 s0, s0, 1
	v_cndmask_b32_e32 v122, v122, v112, vcc
	v_cndmask_b32_e32 v124, v124, v114, vcc
	v_cndmask_b32_e32 v123, v123, v113, vcc
	v_cndmask_b32_e32 v109, v109, v111, vcc
	s_cmp_lg_u32 s3, s0
	s_cbranch_scc1 .LBB62_148
.LBB62_149:
	s_waitcnt lgkmcnt(0)
	v_cmp_eq_f64_e32 vcc, 0, v[121:122]
	v_cmp_eq_f64_e64 s[0:1], 0, v[123:124]
	s_and_b64 s[0:1], vcc, s[0:1]
	s_and_saveexec_b64 s[18:19], s[0:1]
	s_xor_b64 s[0:1], exec, s[18:19]
; %bb.150:
	v_cmp_ne_u32_e32 vcc, 0, v107
	v_cndmask_b32_e32 v107, 8, v107, vcc
; %bb.151:
	s_andn2_saveexec_b64 s[0:1], s[0:1]
	s_cbranch_execz .LBB62_157
; %bb.152:
	v_cmp_ngt_f64_e64 s[18:19], |v[121:122]|, |v[123:124]|
	s_and_saveexec_b64 s[20:21], s[18:19]
	s_xor_b64 s[18:19], exec, s[20:21]
	s_cbranch_execz .LBB62_154
; %bb.153:
	v_div_scale_f64 v[110:111], s[20:21], v[123:124], v[123:124], v[121:122]
	v_rcp_f64_e32 v[112:113], v[110:111]
	v_fma_f64 v[114:115], -v[110:111], v[112:113], 1.0
	v_fma_f64 v[112:113], v[112:113], v[114:115], v[112:113]
	v_div_scale_f64 v[114:115], vcc, v[121:122], v[123:124], v[121:122]
	v_fma_f64 v[116:117], -v[110:111], v[112:113], 1.0
	v_fma_f64 v[112:113], v[112:113], v[116:117], v[112:113]
	v_mul_f64 v[116:117], v[114:115], v[112:113]
	v_fma_f64 v[110:111], -v[110:111], v[116:117], v[114:115]
	v_div_fmas_f64 v[110:111], v[110:111], v[112:113], v[116:117]
	v_div_fixup_f64 v[110:111], v[110:111], v[123:124], v[121:122]
	v_fma_f64 v[112:113], v[121:122], v[110:111], v[123:124]
	v_div_scale_f64 v[114:115], s[20:21], v[112:113], v[112:113], 1.0
	v_div_scale_f64 v[120:121], vcc, 1.0, v[112:113], 1.0
	v_rcp_f64_e32 v[116:117], v[114:115]
	v_fma_f64 v[118:119], -v[114:115], v[116:117], 1.0
	v_fma_f64 v[116:117], v[116:117], v[118:119], v[116:117]
	v_fma_f64 v[118:119], -v[114:115], v[116:117], 1.0
	v_fma_f64 v[116:117], v[116:117], v[118:119], v[116:117]
	v_mul_f64 v[118:119], v[120:121], v[116:117]
	v_fma_f64 v[114:115], -v[114:115], v[118:119], v[120:121]
	v_div_fmas_f64 v[114:115], v[114:115], v[116:117], v[118:119]
	v_div_fixup_f64 v[123:124], v[114:115], v[112:113], 1.0
	v_mul_f64 v[121:122], v[110:111], v[123:124]
	v_xor_b32_e32 v124, 0x80000000, v124
.LBB62_154:
	s_andn2_saveexec_b64 s[18:19], s[18:19]
	s_cbranch_execz .LBB62_156
; %bb.155:
	v_div_scale_f64 v[110:111], s[20:21], v[121:122], v[121:122], v[123:124]
	v_rcp_f64_e32 v[112:113], v[110:111]
	v_fma_f64 v[114:115], -v[110:111], v[112:113], 1.0
	v_fma_f64 v[112:113], v[112:113], v[114:115], v[112:113]
	v_div_scale_f64 v[114:115], vcc, v[123:124], v[121:122], v[123:124]
	v_fma_f64 v[116:117], -v[110:111], v[112:113], 1.0
	v_fma_f64 v[112:113], v[112:113], v[116:117], v[112:113]
	v_mul_f64 v[116:117], v[114:115], v[112:113]
	v_fma_f64 v[110:111], -v[110:111], v[116:117], v[114:115]
	v_div_fmas_f64 v[110:111], v[110:111], v[112:113], v[116:117]
	v_div_fixup_f64 v[110:111], v[110:111], v[121:122], v[123:124]
	v_fma_f64 v[112:113], v[123:124], v[110:111], v[121:122]
	v_div_scale_f64 v[114:115], s[20:21], v[112:113], v[112:113], 1.0
	v_div_scale_f64 v[120:121], vcc, 1.0, v[112:113], 1.0
	v_rcp_f64_e32 v[116:117], v[114:115]
	v_fma_f64 v[118:119], -v[114:115], v[116:117], 1.0
	v_fma_f64 v[116:117], v[116:117], v[118:119], v[116:117]
	v_fma_f64 v[118:119], -v[114:115], v[116:117], 1.0
	v_fma_f64 v[116:117], v[116:117], v[118:119], v[116:117]
	v_mul_f64 v[118:119], v[120:121], v[116:117]
	v_fma_f64 v[114:115], -v[114:115], v[118:119], v[120:121]
	v_div_fmas_f64 v[114:115], v[114:115], v[116:117], v[118:119]
	v_div_fixup_f64 v[121:122], v[114:115], v[112:113], 1.0
	v_mul_f64 v[123:124], v[110:111], -v[121:122]
.LBB62_156:
	s_or_b64 exec, exec, s[18:19]
.LBB62_157:
	s_or_b64 exec, exec, s[0:1]
	v_cmp_ne_u32_e32 vcc, v108, v109
	s_and_saveexec_b64 s[0:1], vcc
	s_xor_b64 s[0:1], exec, s[0:1]
	s_cbranch_execz .LBB62_163
; %bb.158:
	v_cmp_eq_u32_e32 vcc, 7, v108
	s_and_saveexec_b64 s[18:19], vcc
	s_cbranch_execz .LBB62_162
; %bb.159:
	v_cmp_ne_u32_e32 vcc, 7, v109
	s_xor_b64 s[20:21], s[6:7], -1
	s_and_b64 s[22:23], s[20:21], vcc
	s_and_saveexec_b64 s[20:21], s[22:23]
	s_cbranch_execz .LBB62_161
; %bb.160:
	buffer_load_dword v112, off, s[24:27], 0 offset:64 ; 4-byte Folded Reload
	buffer_load_dword v113, off, s[24:27], 0 offset:68 ; 4-byte Folded Reload
	v_ashrrev_i32_e32 v110, 31, v109
	v_lshlrev_b64 v[110:111], 2, v[109:110]
	s_waitcnt vmcnt(1)
	v_add_co_u32_e32 v110, vcc, v112, v110
	s_waitcnt vmcnt(0)
	v_addc_co_u32_e32 v111, vcc, v113, v111, vcc
	global_load_dword v0, v[110:111], off
	global_load_dword v108, v[112:113], off offset:28
	s_waitcnt vmcnt(1)
	global_store_dword v[112:113], v0, off offset:28
	s_waitcnt vmcnt(1)
	global_store_dword v[110:111], v108, off
.LBB62_161:
	s_or_b64 exec, exec, s[20:21]
	v_mov_b32_e32 v108, v109
	v_mov_b32_e32 v0, v109
.LBB62_162:
	s_or_b64 exec, exec, s[18:19]
.LBB62_163:
	s_andn2_saveexec_b64 s[0:1], s[0:1]
	s_cbranch_execz .LBB62_165
; %bb.164:
	v_mov_b32_e32 v108, 7
	ds_write2_b64 v106, v[93:94], v[95:96] offset0:16 offset1:17
	ds_write2_b64 v106, v[89:90], v[91:92] offset0:18 offset1:19
	;; [unrolled: 1-line block ×24, first 2 shown]
.LBB62_165:
	s_or_b64 exec, exec, s[0:1]
	v_cmp_lt_i32_e32 vcc, 7, v108
	s_waitcnt vmcnt(0) lgkmcnt(0)
	s_barrier
	s_and_saveexec_b64 s[0:1], vcc
	s_cbranch_execz .LBB62_167
; %bb.166:
	v_mul_f64 v[109:110], v[123:124], v[99:100]
	v_mul_f64 v[99:100], v[121:122], v[99:100]
	v_fma_f64 v[125:126], v[121:122], v[97:98], -v[109:110]
	v_fma_f64 v[99:100], v[123:124], v[97:98], v[99:100]
	ds_read2_b64 v[109:112], v106 offset0:16 offset1:17
	s_waitcnt lgkmcnt(0)
	v_mul_f64 v[97:98], v[111:112], v[99:100]
	v_fma_f64 v[97:98], v[109:110], v[125:126], -v[97:98]
	v_mul_f64 v[109:110], v[109:110], v[99:100]
	v_add_f64 v[93:94], v[93:94], -v[97:98]
	v_fma_f64 v[109:110], v[111:112], v[125:126], v[109:110]
	v_add_f64 v[95:96], v[95:96], -v[109:110]
	ds_read2_b64 v[109:112], v106 offset0:18 offset1:19
	s_waitcnt lgkmcnt(0)
	v_mul_f64 v[97:98], v[111:112], v[99:100]
	v_fma_f64 v[97:98], v[109:110], v[125:126], -v[97:98]
	v_mul_f64 v[109:110], v[109:110], v[99:100]
	v_add_f64 v[89:90], v[89:90], -v[97:98]
	v_fma_f64 v[109:110], v[111:112], v[125:126], v[109:110]
	v_add_f64 v[91:92], v[91:92], -v[109:110]
	;; [unrolled: 8-line block ×23, first 2 shown]
	ds_read2_b64 v[109:112], v106 offset0:62 offset1:63
	s_waitcnt lgkmcnt(0)
	v_mul_f64 v[97:98], v[111:112], v[99:100]
	v_fma_f64 v[97:98], v[109:110], v[125:126], -v[97:98]
	v_mul_f64 v[109:110], v[109:110], v[99:100]
	v_add_f64 v[85:86], v[85:86], -v[97:98]
	v_fma_f64 v[109:110], v[111:112], v[125:126], v[109:110]
	v_mov_b32_e32 v97, v125
	v_mov_b32_e32 v98, v126
	v_add_f64 v[87:88], v[87:88], -v[109:110]
.LBB62_167:
	s_or_b64 exec, exec, s[0:1]
	v_lshl_add_u32 v109, v108, 4, v106
	s_barrier
	ds_write2_b64 v109, v[93:94], v[95:96] offset1:1
	s_waitcnt lgkmcnt(0)
	s_barrier
	ds_read2_b64 v[121:124], v106 offset0:16 offset1:17
	s_cmp_lt_i32 s3, 10
	v_mov_b32_e32 v109, 8
	s_cbranch_scc1 .LBB62_170
; %bb.168:
	v_add_u32_e32 v110, 0x90, v106
	s_mov_b32 s0, 9
	v_mov_b32_e32 v109, 8
.LBB62_169:                             ; =>This Inner Loop Header: Depth=1
	s_waitcnt lgkmcnt(0)
	v_cmp_gt_f64_e32 vcc, 0, v[121:122]
	v_xor_b32_e32 v115, 0x80000000, v122
	ds_read2_b64 v[111:114], v110 offset1:1
	v_xor_b32_e32 v117, 0x80000000, v124
	v_add_u32_e32 v110, 16, v110
	s_waitcnt lgkmcnt(0)
	v_xor_b32_e32 v119, 0x80000000, v114
	v_cndmask_b32_e32 v116, v122, v115, vcc
	v_cmp_gt_f64_e32 vcc, 0, v[123:124]
	v_mov_b32_e32 v115, v121
	v_cndmask_b32_e32 v118, v124, v117, vcc
	v_cmp_gt_f64_e32 vcc, 0, v[111:112]
	v_mov_b32_e32 v117, v123
	v_add_f64 v[115:116], v[115:116], v[117:118]
	v_xor_b32_e32 v117, 0x80000000, v112
	v_cndmask_b32_e32 v118, v112, v117, vcc
	v_cmp_gt_f64_e32 vcc, 0, v[113:114]
	v_mov_b32_e32 v117, v111
	v_cndmask_b32_e32 v120, v114, v119, vcc
	v_mov_b32_e32 v119, v113
	v_add_f64 v[117:118], v[117:118], v[119:120]
	v_cmp_lt_f64_e32 vcc, v[115:116], v[117:118]
	v_cndmask_b32_e32 v121, v121, v111, vcc
	v_mov_b32_e32 v111, s0
	s_add_i32 s0, s0, 1
	v_cndmask_b32_e32 v122, v122, v112, vcc
	v_cndmask_b32_e32 v124, v124, v114, vcc
	;; [unrolled: 1-line block ×4, first 2 shown]
	s_cmp_lg_u32 s3, s0
	s_cbranch_scc1 .LBB62_169
.LBB62_170:
	s_waitcnt lgkmcnt(0)
	v_cmp_eq_f64_e32 vcc, 0, v[121:122]
	v_cmp_eq_f64_e64 s[0:1], 0, v[123:124]
	s_and_b64 s[0:1], vcc, s[0:1]
	s_and_saveexec_b64 s[18:19], s[0:1]
	s_xor_b64 s[0:1], exec, s[18:19]
; %bb.171:
	v_cmp_ne_u32_e32 vcc, 0, v107
	v_cndmask_b32_e32 v107, 9, v107, vcc
; %bb.172:
	s_andn2_saveexec_b64 s[0:1], s[0:1]
	s_cbranch_execz .LBB62_178
; %bb.173:
	v_cmp_ngt_f64_e64 s[18:19], |v[121:122]|, |v[123:124]|
	s_and_saveexec_b64 s[20:21], s[18:19]
	s_xor_b64 s[18:19], exec, s[20:21]
	s_cbranch_execz .LBB62_175
; %bb.174:
	v_div_scale_f64 v[110:111], s[20:21], v[123:124], v[123:124], v[121:122]
	v_rcp_f64_e32 v[112:113], v[110:111]
	v_fma_f64 v[114:115], -v[110:111], v[112:113], 1.0
	v_fma_f64 v[112:113], v[112:113], v[114:115], v[112:113]
	v_div_scale_f64 v[114:115], vcc, v[121:122], v[123:124], v[121:122]
	v_fma_f64 v[116:117], -v[110:111], v[112:113], 1.0
	v_fma_f64 v[112:113], v[112:113], v[116:117], v[112:113]
	v_mul_f64 v[116:117], v[114:115], v[112:113]
	v_fma_f64 v[110:111], -v[110:111], v[116:117], v[114:115]
	v_div_fmas_f64 v[110:111], v[110:111], v[112:113], v[116:117]
	v_div_fixup_f64 v[110:111], v[110:111], v[123:124], v[121:122]
	v_fma_f64 v[112:113], v[121:122], v[110:111], v[123:124]
	v_div_scale_f64 v[114:115], s[20:21], v[112:113], v[112:113], 1.0
	v_div_scale_f64 v[120:121], vcc, 1.0, v[112:113], 1.0
	v_rcp_f64_e32 v[116:117], v[114:115]
	v_fma_f64 v[118:119], -v[114:115], v[116:117], 1.0
	v_fma_f64 v[116:117], v[116:117], v[118:119], v[116:117]
	v_fma_f64 v[118:119], -v[114:115], v[116:117], 1.0
	v_fma_f64 v[116:117], v[116:117], v[118:119], v[116:117]
	v_mul_f64 v[118:119], v[120:121], v[116:117]
	v_fma_f64 v[114:115], -v[114:115], v[118:119], v[120:121]
	v_div_fmas_f64 v[114:115], v[114:115], v[116:117], v[118:119]
	v_div_fixup_f64 v[123:124], v[114:115], v[112:113], 1.0
	v_mul_f64 v[121:122], v[110:111], v[123:124]
	v_xor_b32_e32 v124, 0x80000000, v124
.LBB62_175:
	s_andn2_saveexec_b64 s[18:19], s[18:19]
	s_cbranch_execz .LBB62_177
; %bb.176:
	v_div_scale_f64 v[110:111], s[20:21], v[121:122], v[121:122], v[123:124]
	v_rcp_f64_e32 v[112:113], v[110:111]
	v_fma_f64 v[114:115], -v[110:111], v[112:113], 1.0
	v_fma_f64 v[112:113], v[112:113], v[114:115], v[112:113]
	v_div_scale_f64 v[114:115], vcc, v[123:124], v[121:122], v[123:124]
	v_fma_f64 v[116:117], -v[110:111], v[112:113], 1.0
	v_fma_f64 v[112:113], v[112:113], v[116:117], v[112:113]
	v_mul_f64 v[116:117], v[114:115], v[112:113]
	v_fma_f64 v[110:111], -v[110:111], v[116:117], v[114:115]
	v_div_fmas_f64 v[110:111], v[110:111], v[112:113], v[116:117]
	v_div_fixup_f64 v[110:111], v[110:111], v[121:122], v[123:124]
	v_fma_f64 v[112:113], v[123:124], v[110:111], v[121:122]
	v_div_scale_f64 v[114:115], s[20:21], v[112:113], v[112:113], 1.0
	v_div_scale_f64 v[120:121], vcc, 1.0, v[112:113], 1.0
	v_rcp_f64_e32 v[116:117], v[114:115]
	v_fma_f64 v[118:119], -v[114:115], v[116:117], 1.0
	v_fma_f64 v[116:117], v[116:117], v[118:119], v[116:117]
	v_fma_f64 v[118:119], -v[114:115], v[116:117], 1.0
	v_fma_f64 v[116:117], v[116:117], v[118:119], v[116:117]
	v_mul_f64 v[118:119], v[120:121], v[116:117]
	v_fma_f64 v[114:115], -v[114:115], v[118:119], v[120:121]
	v_div_fmas_f64 v[114:115], v[114:115], v[116:117], v[118:119]
	v_div_fixup_f64 v[121:122], v[114:115], v[112:113], 1.0
	v_mul_f64 v[123:124], v[110:111], -v[121:122]
.LBB62_177:
	s_or_b64 exec, exec, s[18:19]
.LBB62_178:
	s_or_b64 exec, exec, s[0:1]
	v_cmp_ne_u32_e32 vcc, v108, v109
	s_and_saveexec_b64 s[0:1], vcc
	s_xor_b64 s[0:1], exec, s[0:1]
	s_cbranch_execz .LBB62_184
; %bb.179:
	v_cmp_eq_u32_e32 vcc, 8, v108
	s_and_saveexec_b64 s[18:19], vcc
	s_cbranch_execz .LBB62_183
; %bb.180:
	v_cmp_ne_u32_e32 vcc, 8, v109
	s_xor_b64 s[20:21], s[6:7], -1
	s_and_b64 s[22:23], s[20:21], vcc
	s_and_saveexec_b64 s[20:21], s[22:23]
	s_cbranch_execz .LBB62_182
; %bb.181:
	buffer_load_dword v112, off, s[24:27], 0 offset:64 ; 4-byte Folded Reload
	buffer_load_dword v113, off, s[24:27], 0 offset:68 ; 4-byte Folded Reload
	v_ashrrev_i32_e32 v110, 31, v109
	v_lshlrev_b64 v[110:111], 2, v[109:110]
	s_waitcnt vmcnt(1)
	v_add_co_u32_e32 v110, vcc, v112, v110
	s_waitcnt vmcnt(0)
	v_addc_co_u32_e32 v111, vcc, v113, v111, vcc
	global_load_dword v0, v[110:111], off
	global_load_dword v108, v[112:113], off offset:32
	s_waitcnt vmcnt(1)
	global_store_dword v[112:113], v0, off offset:32
	s_waitcnt vmcnt(1)
	global_store_dword v[110:111], v108, off
.LBB62_182:
	s_or_b64 exec, exec, s[20:21]
	v_mov_b32_e32 v108, v109
	v_mov_b32_e32 v0, v109
.LBB62_183:
	s_or_b64 exec, exec, s[18:19]
.LBB62_184:
	s_andn2_saveexec_b64 s[0:1], s[0:1]
	s_cbranch_execz .LBB62_186
; %bb.185:
	v_mov_b32_e32 v108, 8
	ds_write2_b64 v106, v[89:90], v[91:92] offset0:18 offset1:19
	ds_write2_b64 v106, v[81:82], v[83:84] offset0:20 offset1:21
	;; [unrolled: 1-line block ×23, first 2 shown]
.LBB62_186:
	s_or_b64 exec, exec, s[0:1]
	v_cmp_lt_i32_e32 vcc, 8, v108
	s_waitcnt vmcnt(0) lgkmcnt(0)
	s_barrier
	s_and_saveexec_b64 s[0:1], vcc
	s_cbranch_execz .LBB62_188
; %bb.187:
	v_mul_f64 v[109:110], v[123:124], v[95:96]
	v_mul_f64 v[95:96], v[121:122], v[95:96]
	v_fma_f64 v[125:126], v[121:122], v[93:94], -v[109:110]
	v_fma_f64 v[95:96], v[123:124], v[93:94], v[95:96]
	ds_read2_b64 v[109:112], v106 offset0:18 offset1:19
	s_waitcnt lgkmcnt(0)
	v_mul_f64 v[93:94], v[111:112], v[95:96]
	v_fma_f64 v[93:94], v[109:110], v[125:126], -v[93:94]
	v_mul_f64 v[109:110], v[109:110], v[95:96]
	v_add_f64 v[89:90], v[89:90], -v[93:94]
	v_fma_f64 v[109:110], v[111:112], v[125:126], v[109:110]
	v_add_f64 v[91:92], v[91:92], -v[109:110]
	ds_read2_b64 v[109:112], v106 offset0:20 offset1:21
	s_waitcnt lgkmcnt(0)
	v_mul_f64 v[93:94], v[111:112], v[95:96]
	v_fma_f64 v[93:94], v[109:110], v[125:126], -v[93:94]
	v_mul_f64 v[109:110], v[109:110], v[95:96]
	v_add_f64 v[81:82], v[81:82], -v[93:94]
	v_fma_f64 v[109:110], v[111:112], v[125:126], v[109:110]
	v_add_f64 v[83:84], v[83:84], -v[109:110]
	;; [unrolled: 8-line block ×22, first 2 shown]
	ds_read2_b64 v[109:112], v106 offset0:62 offset1:63
	s_waitcnt lgkmcnt(0)
	v_mul_f64 v[93:94], v[111:112], v[95:96]
	v_fma_f64 v[93:94], v[109:110], v[125:126], -v[93:94]
	v_mul_f64 v[109:110], v[109:110], v[95:96]
	v_add_f64 v[85:86], v[85:86], -v[93:94]
	v_fma_f64 v[109:110], v[111:112], v[125:126], v[109:110]
	v_mov_b32_e32 v93, v125
	v_mov_b32_e32 v94, v126
	v_add_f64 v[87:88], v[87:88], -v[109:110]
.LBB62_188:
	s_or_b64 exec, exec, s[0:1]
	v_lshl_add_u32 v109, v108, 4, v106
	s_barrier
	ds_write2_b64 v109, v[89:90], v[91:92] offset1:1
	s_waitcnt lgkmcnt(0)
	s_barrier
	ds_read2_b64 v[121:124], v106 offset0:18 offset1:19
	s_cmp_lt_i32 s3, 11
	v_mov_b32_e32 v109, 9
	s_cbranch_scc1 .LBB62_191
; %bb.189:
	v_add_u32_e32 v110, 0xa0, v106
	s_mov_b32 s0, 10
	v_mov_b32_e32 v109, 9
.LBB62_190:                             ; =>This Inner Loop Header: Depth=1
	s_waitcnt lgkmcnt(0)
	v_cmp_gt_f64_e32 vcc, 0, v[121:122]
	v_xor_b32_e32 v115, 0x80000000, v122
	ds_read2_b64 v[111:114], v110 offset1:1
	v_xor_b32_e32 v117, 0x80000000, v124
	v_add_u32_e32 v110, 16, v110
	s_waitcnt lgkmcnt(0)
	v_xor_b32_e32 v119, 0x80000000, v114
	v_cndmask_b32_e32 v116, v122, v115, vcc
	v_cmp_gt_f64_e32 vcc, 0, v[123:124]
	v_mov_b32_e32 v115, v121
	v_cndmask_b32_e32 v118, v124, v117, vcc
	v_cmp_gt_f64_e32 vcc, 0, v[111:112]
	v_mov_b32_e32 v117, v123
	v_add_f64 v[115:116], v[115:116], v[117:118]
	v_xor_b32_e32 v117, 0x80000000, v112
	v_cndmask_b32_e32 v118, v112, v117, vcc
	v_cmp_gt_f64_e32 vcc, 0, v[113:114]
	v_mov_b32_e32 v117, v111
	v_cndmask_b32_e32 v120, v114, v119, vcc
	v_mov_b32_e32 v119, v113
	v_add_f64 v[117:118], v[117:118], v[119:120]
	v_cmp_lt_f64_e32 vcc, v[115:116], v[117:118]
	v_cndmask_b32_e32 v121, v121, v111, vcc
	v_mov_b32_e32 v111, s0
	s_add_i32 s0, s0, 1
	v_cndmask_b32_e32 v122, v122, v112, vcc
	v_cndmask_b32_e32 v124, v124, v114, vcc
	v_cndmask_b32_e32 v123, v123, v113, vcc
	v_cndmask_b32_e32 v109, v109, v111, vcc
	s_cmp_lg_u32 s3, s0
	s_cbranch_scc1 .LBB62_190
.LBB62_191:
	s_waitcnt lgkmcnt(0)
	v_cmp_eq_f64_e32 vcc, 0, v[121:122]
	v_cmp_eq_f64_e64 s[0:1], 0, v[123:124]
	s_and_b64 s[0:1], vcc, s[0:1]
	s_and_saveexec_b64 s[18:19], s[0:1]
	s_xor_b64 s[0:1], exec, s[18:19]
; %bb.192:
	v_cmp_ne_u32_e32 vcc, 0, v107
	v_cndmask_b32_e32 v107, 10, v107, vcc
; %bb.193:
	s_andn2_saveexec_b64 s[0:1], s[0:1]
	s_cbranch_execz .LBB62_199
; %bb.194:
	v_cmp_ngt_f64_e64 s[18:19], |v[121:122]|, |v[123:124]|
	s_and_saveexec_b64 s[20:21], s[18:19]
	s_xor_b64 s[18:19], exec, s[20:21]
	s_cbranch_execz .LBB62_196
; %bb.195:
	v_div_scale_f64 v[110:111], s[20:21], v[123:124], v[123:124], v[121:122]
	v_rcp_f64_e32 v[112:113], v[110:111]
	v_fma_f64 v[114:115], -v[110:111], v[112:113], 1.0
	v_fma_f64 v[112:113], v[112:113], v[114:115], v[112:113]
	v_div_scale_f64 v[114:115], vcc, v[121:122], v[123:124], v[121:122]
	v_fma_f64 v[116:117], -v[110:111], v[112:113], 1.0
	v_fma_f64 v[112:113], v[112:113], v[116:117], v[112:113]
	v_mul_f64 v[116:117], v[114:115], v[112:113]
	v_fma_f64 v[110:111], -v[110:111], v[116:117], v[114:115]
	v_div_fmas_f64 v[110:111], v[110:111], v[112:113], v[116:117]
	v_div_fixup_f64 v[110:111], v[110:111], v[123:124], v[121:122]
	v_fma_f64 v[112:113], v[121:122], v[110:111], v[123:124]
	v_div_scale_f64 v[114:115], s[20:21], v[112:113], v[112:113], 1.0
	v_div_scale_f64 v[120:121], vcc, 1.0, v[112:113], 1.0
	v_rcp_f64_e32 v[116:117], v[114:115]
	v_fma_f64 v[118:119], -v[114:115], v[116:117], 1.0
	v_fma_f64 v[116:117], v[116:117], v[118:119], v[116:117]
	v_fma_f64 v[118:119], -v[114:115], v[116:117], 1.0
	v_fma_f64 v[116:117], v[116:117], v[118:119], v[116:117]
	v_mul_f64 v[118:119], v[120:121], v[116:117]
	v_fma_f64 v[114:115], -v[114:115], v[118:119], v[120:121]
	v_div_fmas_f64 v[114:115], v[114:115], v[116:117], v[118:119]
	v_div_fixup_f64 v[123:124], v[114:115], v[112:113], 1.0
	v_mul_f64 v[121:122], v[110:111], v[123:124]
	v_xor_b32_e32 v124, 0x80000000, v124
.LBB62_196:
	s_andn2_saveexec_b64 s[18:19], s[18:19]
	s_cbranch_execz .LBB62_198
; %bb.197:
	v_div_scale_f64 v[110:111], s[20:21], v[121:122], v[121:122], v[123:124]
	v_rcp_f64_e32 v[112:113], v[110:111]
	v_fma_f64 v[114:115], -v[110:111], v[112:113], 1.0
	v_fma_f64 v[112:113], v[112:113], v[114:115], v[112:113]
	v_div_scale_f64 v[114:115], vcc, v[123:124], v[121:122], v[123:124]
	v_fma_f64 v[116:117], -v[110:111], v[112:113], 1.0
	v_fma_f64 v[112:113], v[112:113], v[116:117], v[112:113]
	v_mul_f64 v[116:117], v[114:115], v[112:113]
	v_fma_f64 v[110:111], -v[110:111], v[116:117], v[114:115]
	v_div_fmas_f64 v[110:111], v[110:111], v[112:113], v[116:117]
	v_div_fixup_f64 v[110:111], v[110:111], v[121:122], v[123:124]
	v_fma_f64 v[112:113], v[123:124], v[110:111], v[121:122]
	v_div_scale_f64 v[114:115], s[20:21], v[112:113], v[112:113], 1.0
	v_div_scale_f64 v[120:121], vcc, 1.0, v[112:113], 1.0
	v_rcp_f64_e32 v[116:117], v[114:115]
	v_fma_f64 v[118:119], -v[114:115], v[116:117], 1.0
	v_fma_f64 v[116:117], v[116:117], v[118:119], v[116:117]
	v_fma_f64 v[118:119], -v[114:115], v[116:117], 1.0
	v_fma_f64 v[116:117], v[116:117], v[118:119], v[116:117]
	v_mul_f64 v[118:119], v[120:121], v[116:117]
	v_fma_f64 v[114:115], -v[114:115], v[118:119], v[120:121]
	v_div_fmas_f64 v[114:115], v[114:115], v[116:117], v[118:119]
	v_div_fixup_f64 v[121:122], v[114:115], v[112:113], 1.0
	v_mul_f64 v[123:124], v[110:111], -v[121:122]
.LBB62_198:
	s_or_b64 exec, exec, s[18:19]
.LBB62_199:
	s_or_b64 exec, exec, s[0:1]
	v_cmp_ne_u32_e32 vcc, v108, v109
	s_and_saveexec_b64 s[0:1], vcc
	s_xor_b64 s[0:1], exec, s[0:1]
	s_cbranch_execz .LBB62_205
; %bb.200:
	v_cmp_eq_u32_e32 vcc, 9, v108
	s_and_saveexec_b64 s[18:19], vcc
	s_cbranch_execz .LBB62_204
; %bb.201:
	v_cmp_ne_u32_e32 vcc, 9, v109
	s_xor_b64 s[20:21], s[6:7], -1
	s_and_b64 s[22:23], s[20:21], vcc
	s_and_saveexec_b64 s[20:21], s[22:23]
	s_cbranch_execz .LBB62_203
; %bb.202:
	buffer_load_dword v112, off, s[24:27], 0 offset:64 ; 4-byte Folded Reload
	buffer_load_dword v113, off, s[24:27], 0 offset:68 ; 4-byte Folded Reload
	v_ashrrev_i32_e32 v110, 31, v109
	v_lshlrev_b64 v[110:111], 2, v[109:110]
	s_waitcnt vmcnt(1)
	v_add_co_u32_e32 v110, vcc, v112, v110
	s_waitcnt vmcnt(0)
	v_addc_co_u32_e32 v111, vcc, v113, v111, vcc
	global_load_dword v0, v[110:111], off
	global_load_dword v108, v[112:113], off offset:36
	s_waitcnt vmcnt(1)
	global_store_dword v[112:113], v0, off offset:36
	s_waitcnt vmcnt(1)
	global_store_dword v[110:111], v108, off
.LBB62_203:
	s_or_b64 exec, exec, s[20:21]
	v_mov_b32_e32 v108, v109
	v_mov_b32_e32 v0, v109
.LBB62_204:
	s_or_b64 exec, exec, s[18:19]
.LBB62_205:
	s_andn2_saveexec_b64 s[0:1], s[0:1]
	s_cbranch_execz .LBB62_207
; %bb.206:
	v_mov_b32_e32 v108, 9
	ds_write2_b64 v106, v[81:82], v[83:84] offset0:20 offset1:21
	ds_write2_b64 v106, v[77:78], v[79:80] offset0:22 offset1:23
	;; [unrolled: 1-line block ×22, first 2 shown]
.LBB62_207:
	s_or_b64 exec, exec, s[0:1]
	v_cmp_lt_i32_e32 vcc, 9, v108
	s_waitcnt vmcnt(0) lgkmcnt(0)
	s_barrier
	s_and_saveexec_b64 s[0:1], vcc
	s_cbranch_execz .LBB62_209
; %bb.208:
	v_mul_f64 v[109:110], v[123:124], v[91:92]
	v_mul_f64 v[91:92], v[121:122], v[91:92]
	v_fma_f64 v[125:126], v[121:122], v[89:90], -v[109:110]
	v_fma_f64 v[91:92], v[123:124], v[89:90], v[91:92]
	ds_read2_b64 v[109:112], v106 offset0:20 offset1:21
	s_waitcnt lgkmcnt(0)
	v_mul_f64 v[89:90], v[111:112], v[91:92]
	v_fma_f64 v[89:90], v[109:110], v[125:126], -v[89:90]
	v_mul_f64 v[109:110], v[109:110], v[91:92]
	v_add_f64 v[81:82], v[81:82], -v[89:90]
	v_fma_f64 v[109:110], v[111:112], v[125:126], v[109:110]
	v_add_f64 v[83:84], v[83:84], -v[109:110]
	ds_read2_b64 v[109:112], v106 offset0:22 offset1:23
	s_waitcnt lgkmcnt(0)
	v_mul_f64 v[89:90], v[111:112], v[91:92]
	v_fma_f64 v[89:90], v[109:110], v[125:126], -v[89:90]
	v_mul_f64 v[109:110], v[109:110], v[91:92]
	v_add_f64 v[77:78], v[77:78], -v[89:90]
	v_fma_f64 v[109:110], v[111:112], v[125:126], v[109:110]
	v_add_f64 v[79:80], v[79:80], -v[109:110]
	ds_read2_b64 v[109:112], v106 offset0:24 offset1:25
	s_waitcnt lgkmcnt(0)
	v_mul_f64 v[89:90], v[111:112], v[91:92]
	v_fma_f64 v[89:90], v[109:110], v[125:126], -v[89:90]
	v_mul_f64 v[109:110], v[109:110], v[91:92]
	v_add_f64 v[73:74], v[73:74], -v[89:90]
	v_fma_f64 v[109:110], v[111:112], v[125:126], v[109:110]
	v_add_f64 v[75:76], v[75:76], -v[109:110]
	ds_read2_b64 v[109:112], v106 offset0:26 offset1:27
	s_waitcnt lgkmcnt(0)
	v_mul_f64 v[89:90], v[111:112], v[91:92]
	v_fma_f64 v[89:90], v[109:110], v[125:126], -v[89:90]
	v_mul_f64 v[109:110], v[109:110], v[91:92]
	v_add_f64 v[69:70], v[69:70], -v[89:90]
	v_fma_f64 v[109:110], v[111:112], v[125:126], v[109:110]
	v_add_f64 v[71:72], v[71:72], -v[109:110]
	ds_read2_b64 v[109:112], v106 offset0:28 offset1:29
	s_waitcnt lgkmcnt(0)
	v_mul_f64 v[89:90], v[111:112], v[91:92]
	v_fma_f64 v[89:90], v[109:110], v[125:126], -v[89:90]
	v_mul_f64 v[109:110], v[109:110], v[91:92]
	v_add_f64 v[65:66], v[65:66], -v[89:90]
	v_fma_f64 v[109:110], v[111:112], v[125:126], v[109:110]
	v_add_f64 v[67:68], v[67:68], -v[109:110]
	ds_read2_b64 v[109:112], v106 offset0:30 offset1:31
	s_waitcnt lgkmcnt(0)
	v_mul_f64 v[89:90], v[111:112], v[91:92]
	v_fma_f64 v[89:90], v[109:110], v[125:126], -v[89:90]
	v_mul_f64 v[109:110], v[109:110], v[91:92]
	v_add_f64 v[61:62], v[61:62], -v[89:90]
	v_fma_f64 v[109:110], v[111:112], v[125:126], v[109:110]
	v_add_f64 v[63:64], v[63:64], -v[109:110]
	ds_read2_b64 v[109:112], v106 offset0:32 offset1:33
	s_waitcnt lgkmcnt(0)
	v_mul_f64 v[89:90], v[111:112], v[91:92]
	v_fma_f64 v[89:90], v[109:110], v[125:126], -v[89:90]
	v_mul_f64 v[109:110], v[109:110], v[91:92]
	v_add_f64 v[57:58], v[57:58], -v[89:90]
	v_fma_f64 v[109:110], v[111:112], v[125:126], v[109:110]
	v_add_f64 v[59:60], v[59:60], -v[109:110]
	ds_read2_b64 v[109:112], v106 offset0:34 offset1:35
	s_waitcnt lgkmcnt(0)
	v_mul_f64 v[89:90], v[111:112], v[91:92]
	v_fma_f64 v[89:90], v[109:110], v[125:126], -v[89:90]
	v_mul_f64 v[109:110], v[109:110], v[91:92]
	v_add_f64 v[53:54], v[53:54], -v[89:90]
	v_fma_f64 v[109:110], v[111:112], v[125:126], v[109:110]
	v_add_f64 v[55:56], v[55:56], -v[109:110]
	ds_read2_b64 v[109:112], v106 offset0:36 offset1:37
	s_waitcnt lgkmcnt(0)
	v_mul_f64 v[89:90], v[111:112], v[91:92]
	v_fma_f64 v[89:90], v[109:110], v[125:126], -v[89:90]
	v_mul_f64 v[109:110], v[109:110], v[91:92]
	v_add_f64 v[49:50], v[49:50], -v[89:90]
	v_fma_f64 v[109:110], v[111:112], v[125:126], v[109:110]
	v_add_f64 v[51:52], v[51:52], -v[109:110]
	ds_read2_b64 v[109:112], v106 offset0:38 offset1:39
	s_waitcnt lgkmcnt(0)
	v_mul_f64 v[89:90], v[111:112], v[91:92]
	v_fma_f64 v[89:90], v[109:110], v[125:126], -v[89:90]
	v_mul_f64 v[109:110], v[109:110], v[91:92]
	v_add_f64 v[45:46], v[45:46], -v[89:90]
	v_fma_f64 v[109:110], v[111:112], v[125:126], v[109:110]
	v_add_f64 v[47:48], v[47:48], -v[109:110]
	ds_read2_b64 v[109:112], v106 offset0:40 offset1:41
	s_waitcnt lgkmcnt(0)
	v_mul_f64 v[89:90], v[111:112], v[91:92]
	v_fma_f64 v[89:90], v[109:110], v[125:126], -v[89:90]
	v_mul_f64 v[109:110], v[109:110], v[91:92]
	v_add_f64 v[41:42], v[41:42], -v[89:90]
	v_fma_f64 v[109:110], v[111:112], v[125:126], v[109:110]
	v_add_f64 v[43:44], v[43:44], -v[109:110]
	ds_read2_b64 v[109:112], v106 offset0:42 offset1:43
	s_waitcnt lgkmcnt(0)
	v_mul_f64 v[89:90], v[111:112], v[91:92]
	v_fma_f64 v[89:90], v[109:110], v[125:126], -v[89:90]
	v_mul_f64 v[109:110], v[109:110], v[91:92]
	v_add_f64 v[37:38], v[37:38], -v[89:90]
	v_fma_f64 v[109:110], v[111:112], v[125:126], v[109:110]
	v_add_f64 v[39:40], v[39:40], -v[109:110]
	ds_read2_b64 v[109:112], v106 offset0:44 offset1:45
	s_waitcnt lgkmcnt(0)
	v_mul_f64 v[89:90], v[111:112], v[91:92]
	v_fma_f64 v[89:90], v[109:110], v[125:126], -v[89:90]
	v_mul_f64 v[109:110], v[109:110], v[91:92]
	v_add_f64 v[33:34], v[33:34], -v[89:90]
	v_fma_f64 v[109:110], v[111:112], v[125:126], v[109:110]
	v_add_f64 v[35:36], v[35:36], -v[109:110]
	ds_read2_b64 v[109:112], v106 offset0:46 offset1:47
	s_waitcnt lgkmcnt(0)
	v_mul_f64 v[89:90], v[111:112], v[91:92]
	v_fma_f64 v[89:90], v[109:110], v[125:126], -v[89:90]
	v_mul_f64 v[109:110], v[109:110], v[91:92]
	v_add_f64 v[29:30], v[29:30], -v[89:90]
	v_fma_f64 v[109:110], v[111:112], v[125:126], v[109:110]
	v_add_f64 v[31:32], v[31:32], -v[109:110]
	ds_read2_b64 v[109:112], v106 offset0:48 offset1:49
	s_waitcnt lgkmcnt(0)
	v_mul_f64 v[89:90], v[111:112], v[91:92]
	v_fma_f64 v[89:90], v[109:110], v[125:126], -v[89:90]
	v_mul_f64 v[109:110], v[109:110], v[91:92]
	v_add_f64 v[25:26], v[25:26], -v[89:90]
	v_fma_f64 v[109:110], v[111:112], v[125:126], v[109:110]
	v_add_f64 v[27:28], v[27:28], -v[109:110]
	ds_read2_b64 v[109:112], v106 offset0:50 offset1:51
	s_waitcnt lgkmcnt(0)
	v_mul_f64 v[89:90], v[111:112], v[91:92]
	v_fma_f64 v[89:90], v[109:110], v[125:126], -v[89:90]
	v_mul_f64 v[109:110], v[109:110], v[91:92]
	v_add_f64 v[21:22], v[21:22], -v[89:90]
	v_fma_f64 v[109:110], v[111:112], v[125:126], v[109:110]
	v_add_f64 v[23:24], v[23:24], -v[109:110]
	ds_read2_b64 v[109:112], v106 offset0:52 offset1:53
	s_waitcnt lgkmcnt(0)
	v_mul_f64 v[89:90], v[111:112], v[91:92]
	v_fma_f64 v[89:90], v[109:110], v[125:126], -v[89:90]
	v_mul_f64 v[109:110], v[109:110], v[91:92]
	v_add_f64 v[17:18], v[17:18], -v[89:90]
	v_fma_f64 v[109:110], v[111:112], v[125:126], v[109:110]
	v_add_f64 v[19:20], v[19:20], -v[109:110]
	ds_read2_b64 v[109:112], v106 offset0:54 offset1:55
	s_waitcnt lgkmcnt(0)
	v_mul_f64 v[89:90], v[111:112], v[91:92]
	v_fma_f64 v[89:90], v[109:110], v[125:126], -v[89:90]
	v_mul_f64 v[109:110], v[109:110], v[91:92]
	v_add_f64 v[13:14], v[13:14], -v[89:90]
	v_fma_f64 v[109:110], v[111:112], v[125:126], v[109:110]
	v_add_f64 v[15:16], v[15:16], -v[109:110]
	ds_read2_b64 v[109:112], v106 offset0:56 offset1:57
	s_waitcnt lgkmcnt(0)
	v_mul_f64 v[89:90], v[111:112], v[91:92]
	v_fma_f64 v[89:90], v[109:110], v[125:126], -v[89:90]
	v_mul_f64 v[109:110], v[109:110], v[91:92]
	v_add_f64 v[9:10], v[9:10], -v[89:90]
	v_fma_f64 v[109:110], v[111:112], v[125:126], v[109:110]
	v_add_f64 v[11:12], v[11:12], -v[109:110]
	ds_read2_b64 v[109:112], v106 offset0:58 offset1:59
	s_waitcnt lgkmcnt(0)
	v_mul_f64 v[89:90], v[111:112], v[91:92]
	v_fma_f64 v[89:90], v[109:110], v[125:126], -v[89:90]
	v_mul_f64 v[109:110], v[109:110], v[91:92]
	v_add_f64 v[5:6], v[5:6], -v[89:90]
	v_fma_f64 v[109:110], v[111:112], v[125:126], v[109:110]
	v_add_f64 v[7:8], v[7:8], -v[109:110]
	ds_read2_b64 v[109:112], v106 offset0:60 offset1:61
	s_waitcnt lgkmcnt(0)
	v_mul_f64 v[89:90], v[111:112], v[91:92]
	v_fma_f64 v[89:90], v[109:110], v[125:126], -v[89:90]
	v_mul_f64 v[109:110], v[109:110], v[91:92]
	v_add_f64 v[1:2], v[1:2], -v[89:90]
	v_fma_f64 v[109:110], v[111:112], v[125:126], v[109:110]
	v_add_f64 v[3:4], v[3:4], -v[109:110]
	ds_read2_b64 v[109:112], v106 offset0:62 offset1:63
	s_waitcnt lgkmcnt(0)
	v_mul_f64 v[89:90], v[111:112], v[91:92]
	v_fma_f64 v[89:90], v[109:110], v[125:126], -v[89:90]
	v_mul_f64 v[109:110], v[109:110], v[91:92]
	v_add_f64 v[85:86], v[85:86], -v[89:90]
	v_fma_f64 v[109:110], v[111:112], v[125:126], v[109:110]
	v_mov_b32_e32 v89, v125
	v_mov_b32_e32 v90, v126
	v_add_f64 v[87:88], v[87:88], -v[109:110]
.LBB62_209:
	s_or_b64 exec, exec, s[0:1]
	v_lshl_add_u32 v109, v108, 4, v106
	s_barrier
	ds_write2_b64 v109, v[81:82], v[83:84] offset1:1
	s_waitcnt lgkmcnt(0)
	s_barrier
	ds_read2_b64 v[121:124], v106 offset0:20 offset1:21
	s_cmp_lt_i32 s3, 12
	v_mov_b32_e32 v109, 10
	s_cbranch_scc1 .LBB62_212
; %bb.210:
	v_add_u32_e32 v110, 0xb0, v106
	s_mov_b32 s0, 11
	v_mov_b32_e32 v109, 10
.LBB62_211:                             ; =>This Inner Loop Header: Depth=1
	s_waitcnt lgkmcnt(0)
	v_cmp_gt_f64_e32 vcc, 0, v[121:122]
	v_xor_b32_e32 v115, 0x80000000, v122
	ds_read2_b64 v[111:114], v110 offset1:1
	v_xor_b32_e32 v117, 0x80000000, v124
	v_add_u32_e32 v110, 16, v110
	s_waitcnt lgkmcnt(0)
	v_xor_b32_e32 v119, 0x80000000, v114
	v_cndmask_b32_e32 v116, v122, v115, vcc
	v_cmp_gt_f64_e32 vcc, 0, v[123:124]
	v_mov_b32_e32 v115, v121
	v_cndmask_b32_e32 v118, v124, v117, vcc
	v_cmp_gt_f64_e32 vcc, 0, v[111:112]
	v_mov_b32_e32 v117, v123
	v_add_f64 v[115:116], v[115:116], v[117:118]
	v_xor_b32_e32 v117, 0x80000000, v112
	v_cndmask_b32_e32 v118, v112, v117, vcc
	v_cmp_gt_f64_e32 vcc, 0, v[113:114]
	v_mov_b32_e32 v117, v111
	v_cndmask_b32_e32 v120, v114, v119, vcc
	v_mov_b32_e32 v119, v113
	v_add_f64 v[117:118], v[117:118], v[119:120]
	v_cmp_lt_f64_e32 vcc, v[115:116], v[117:118]
	v_cndmask_b32_e32 v121, v121, v111, vcc
	v_mov_b32_e32 v111, s0
	s_add_i32 s0, s0, 1
	v_cndmask_b32_e32 v122, v122, v112, vcc
	v_cndmask_b32_e32 v124, v124, v114, vcc
	;; [unrolled: 1-line block ×4, first 2 shown]
	s_cmp_lg_u32 s3, s0
	s_cbranch_scc1 .LBB62_211
.LBB62_212:
	s_waitcnt lgkmcnt(0)
	v_cmp_eq_f64_e32 vcc, 0, v[121:122]
	v_cmp_eq_f64_e64 s[0:1], 0, v[123:124]
	s_and_b64 s[0:1], vcc, s[0:1]
	s_and_saveexec_b64 s[18:19], s[0:1]
	s_xor_b64 s[0:1], exec, s[18:19]
; %bb.213:
	v_cmp_ne_u32_e32 vcc, 0, v107
	v_cndmask_b32_e32 v107, 11, v107, vcc
; %bb.214:
	s_andn2_saveexec_b64 s[0:1], s[0:1]
	s_cbranch_execz .LBB62_220
; %bb.215:
	v_cmp_ngt_f64_e64 s[18:19], |v[121:122]|, |v[123:124]|
	s_and_saveexec_b64 s[20:21], s[18:19]
	s_xor_b64 s[18:19], exec, s[20:21]
	s_cbranch_execz .LBB62_217
; %bb.216:
	v_div_scale_f64 v[110:111], s[20:21], v[123:124], v[123:124], v[121:122]
	v_rcp_f64_e32 v[112:113], v[110:111]
	v_fma_f64 v[114:115], -v[110:111], v[112:113], 1.0
	v_fma_f64 v[112:113], v[112:113], v[114:115], v[112:113]
	v_div_scale_f64 v[114:115], vcc, v[121:122], v[123:124], v[121:122]
	v_fma_f64 v[116:117], -v[110:111], v[112:113], 1.0
	v_fma_f64 v[112:113], v[112:113], v[116:117], v[112:113]
	v_mul_f64 v[116:117], v[114:115], v[112:113]
	v_fma_f64 v[110:111], -v[110:111], v[116:117], v[114:115]
	v_div_fmas_f64 v[110:111], v[110:111], v[112:113], v[116:117]
	v_div_fixup_f64 v[110:111], v[110:111], v[123:124], v[121:122]
	v_fma_f64 v[112:113], v[121:122], v[110:111], v[123:124]
	v_div_scale_f64 v[114:115], s[20:21], v[112:113], v[112:113], 1.0
	v_div_scale_f64 v[120:121], vcc, 1.0, v[112:113], 1.0
	v_rcp_f64_e32 v[116:117], v[114:115]
	v_fma_f64 v[118:119], -v[114:115], v[116:117], 1.0
	v_fma_f64 v[116:117], v[116:117], v[118:119], v[116:117]
	v_fma_f64 v[118:119], -v[114:115], v[116:117], 1.0
	v_fma_f64 v[116:117], v[116:117], v[118:119], v[116:117]
	v_mul_f64 v[118:119], v[120:121], v[116:117]
	v_fma_f64 v[114:115], -v[114:115], v[118:119], v[120:121]
	v_div_fmas_f64 v[114:115], v[114:115], v[116:117], v[118:119]
	v_div_fixup_f64 v[123:124], v[114:115], v[112:113], 1.0
	v_mul_f64 v[121:122], v[110:111], v[123:124]
	v_xor_b32_e32 v124, 0x80000000, v124
.LBB62_217:
	s_andn2_saveexec_b64 s[18:19], s[18:19]
	s_cbranch_execz .LBB62_219
; %bb.218:
	v_div_scale_f64 v[110:111], s[20:21], v[121:122], v[121:122], v[123:124]
	v_rcp_f64_e32 v[112:113], v[110:111]
	v_fma_f64 v[114:115], -v[110:111], v[112:113], 1.0
	v_fma_f64 v[112:113], v[112:113], v[114:115], v[112:113]
	v_div_scale_f64 v[114:115], vcc, v[123:124], v[121:122], v[123:124]
	v_fma_f64 v[116:117], -v[110:111], v[112:113], 1.0
	v_fma_f64 v[112:113], v[112:113], v[116:117], v[112:113]
	v_mul_f64 v[116:117], v[114:115], v[112:113]
	v_fma_f64 v[110:111], -v[110:111], v[116:117], v[114:115]
	v_div_fmas_f64 v[110:111], v[110:111], v[112:113], v[116:117]
	v_div_fixup_f64 v[110:111], v[110:111], v[121:122], v[123:124]
	v_fma_f64 v[112:113], v[123:124], v[110:111], v[121:122]
	v_div_scale_f64 v[114:115], s[20:21], v[112:113], v[112:113], 1.0
	v_div_scale_f64 v[120:121], vcc, 1.0, v[112:113], 1.0
	v_rcp_f64_e32 v[116:117], v[114:115]
	v_fma_f64 v[118:119], -v[114:115], v[116:117], 1.0
	v_fma_f64 v[116:117], v[116:117], v[118:119], v[116:117]
	v_fma_f64 v[118:119], -v[114:115], v[116:117], 1.0
	v_fma_f64 v[116:117], v[116:117], v[118:119], v[116:117]
	v_mul_f64 v[118:119], v[120:121], v[116:117]
	v_fma_f64 v[114:115], -v[114:115], v[118:119], v[120:121]
	v_div_fmas_f64 v[114:115], v[114:115], v[116:117], v[118:119]
	v_div_fixup_f64 v[121:122], v[114:115], v[112:113], 1.0
	v_mul_f64 v[123:124], v[110:111], -v[121:122]
.LBB62_219:
	s_or_b64 exec, exec, s[18:19]
.LBB62_220:
	s_or_b64 exec, exec, s[0:1]
	v_cmp_ne_u32_e32 vcc, v108, v109
	s_and_saveexec_b64 s[0:1], vcc
	s_xor_b64 s[0:1], exec, s[0:1]
	s_cbranch_execz .LBB62_226
; %bb.221:
	v_cmp_eq_u32_e32 vcc, 10, v108
	s_and_saveexec_b64 s[18:19], vcc
	s_cbranch_execz .LBB62_225
; %bb.222:
	v_cmp_ne_u32_e32 vcc, 10, v109
	s_xor_b64 s[20:21], s[6:7], -1
	s_and_b64 s[22:23], s[20:21], vcc
	s_and_saveexec_b64 s[20:21], s[22:23]
	s_cbranch_execz .LBB62_224
; %bb.223:
	buffer_load_dword v112, off, s[24:27], 0 offset:64 ; 4-byte Folded Reload
	buffer_load_dword v113, off, s[24:27], 0 offset:68 ; 4-byte Folded Reload
	v_ashrrev_i32_e32 v110, 31, v109
	v_lshlrev_b64 v[110:111], 2, v[109:110]
	s_waitcnt vmcnt(1)
	v_add_co_u32_e32 v110, vcc, v112, v110
	s_waitcnt vmcnt(0)
	v_addc_co_u32_e32 v111, vcc, v113, v111, vcc
	global_load_dword v0, v[110:111], off
	global_load_dword v108, v[112:113], off offset:40
	s_waitcnt vmcnt(1)
	global_store_dword v[112:113], v0, off offset:40
	s_waitcnt vmcnt(1)
	global_store_dword v[110:111], v108, off
.LBB62_224:
	s_or_b64 exec, exec, s[20:21]
	v_mov_b32_e32 v108, v109
	v_mov_b32_e32 v0, v109
.LBB62_225:
	s_or_b64 exec, exec, s[18:19]
.LBB62_226:
	s_andn2_saveexec_b64 s[0:1], s[0:1]
	s_cbranch_execz .LBB62_228
; %bb.227:
	v_mov_b32_e32 v108, 10
	ds_write2_b64 v106, v[77:78], v[79:80] offset0:22 offset1:23
	ds_write2_b64 v106, v[73:74], v[75:76] offset0:24 offset1:25
	;; [unrolled: 1-line block ×21, first 2 shown]
.LBB62_228:
	s_or_b64 exec, exec, s[0:1]
	v_cmp_lt_i32_e32 vcc, 10, v108
	s_waitcnt vmcnt(0) lgkmcnt(0)
	s_barrier
	s_and_saveexec_b64 s[0:1], vcc
	s_cbranch_execz .LBB62_230
; %bb.229:
	v_mul_f64 v[109:110], v[123:124], v[83:84]
	v_mul_f64 v[83:84], v[121:122], v[83:84]
	v_fma_f64 v[125:126], v[121:122], v[81:82], -v[109:110]
	v_fma_f64 v[83:84], v[123:124], v[81:82], v[83:84]
	ds_read2_b64 v[109:112], v106 offset0:22 offset1:23
	s_waitcnt lgkmcnt(0)
	v_mul_f64 v[81:82], v[111:112], v[83:84]
	v_fma_f64 v[81:82], v[109:110], v[125:126], -v[81:82]
	v_mul_f64 v[109:110], v[109:110], v[83:84]
	v_add_f64 v[77:78], v[77:78], -v[81:82]
	v_fma_f64 v[109:110], v[111:112], v[125:126], v[109:110]
	v_add_f64 v[79:80], v[79:80], -v[109:110]
	ds_read2_b64 v[109:112], v106 offset0:24 offset1:25
	s_waitcnt lgkmcnt(0)
	v_mul_f64 v[81:82], v[111:112], v[83:84]
	v_fma_f64 v[81:82], v[109:110], v[125:126], -v[81:82]
	v_mul_f64 v[109:110], v[109:110], v[83:84]
	v_add_f64 v[73:74], v[73:74], -v[81:82]
	v_fma_f64 v[109:110], v[111:112], v[125:126], v[109:110]
	v_add_f64 v[75:76], v[75:76], -v[109:110]
	;; [unrolled: 8-line block ×20, first 2 shown]
	ds_read2_b64 v[109:112], v106 offset0:62 offset1:63
	s_waitcnt lgkmcnt(0)
	v_mul_f64 v[81:82], v[111:112], v[83:84]
	v_fma_f64 v[81:82], v[109:110], v[125:126], -v[81:82]
	v_mul_f64 v[109:110], v[109:110], v[83:84]
	v_add_f64 v[85:86], v[85:86], -v[81:82]
	v_fma_f64 v[109:110], v[111:112], v[125:126], v[109:110]
	v_mov_b32_e32 v81, v125
	v_mov_b32_e32 v82, v126
	v_add_f64 v[87:88], v[87:88], -v[109:110]
.LBB62_230:
	s_or_b64 exec, exec, s[0:1]
	v_lshl_add_u32 v109, v108, 4, v106
	s_barrier
	ds_write2_b64 v109, v[77:78], v[79:80] offset1:1
	s_waitcnt lgkmcnt(0)
	s_barrier
	ds_read2_b64 v[121:124], v106 offset0:22 offset1:23
	s_cmp_lt_i32 s3, 13
	v_mov_b32_e32 v109, 11
	s_cbranch_scc1 .LBB62_233
; %bb.231:
	v_add_u32_e32 v110, 0xc0, v106
	s_mov_b32 s0, 12
	v_mov_b32_e32 v109, 11
.LBB62_232:                             ; =>This Inner Loop Header: Depth=1
	s_waitcnt lgkmcnt(0)
	v_cmp_gt_f64_e32 vcc, 0, v[121:122]
	v_xor_b32_e32 v115, 0x80000000, v122
	ds_read2_b64 v[111:114], v110 offset1:1
	v_xor_b32_e32 v117, 0x80000000, v124
	v_add_u32_e32 v110, 16, v110
	s_waitcnt lgkmcnt(0)
	v_xor_b32_e32 v119, 0x80000000, v114
	v_cndmask_b32_e32 v116, v122, v115, vcc
	v_cmp_gt_f64_e32 vcc, 0, v[123:124]
	v_mov_b32_e32 v115, v121
	v_cndmask_b32_e32 v118, v124, v117, vcc
	v_cmp_gt_f64_e32 vcc, 0, v[111:112]
	v_mov_b32_e32 v117, v123
	v_add_f64 v[115:116], v[115:116], v[117:118]
	v_xor_b32_e32 v117, 0x80000000, v112
	v_cndmask_b32_e32 v118, v112, v117, vcc
	v_cmp_gt_f64_e32 vcc, 0, v[113:114]
	v_mov_b32_e32 v117, v111
	v_cndmask_b32_e32 v120, v114, v119, vcc
	v_mov_b32_e32 v119, v113
	v_add_f64 v[117:118], v[117:118], v[119:120]
	v_cmp_lt_f64_e32 vcc, v[115:116], v[117:118]
	v_cndmask_b32_e32 v121, v121, v111, vcc
	v_mov_b32_e32 v111, s0
	s_add_i32 s0, s0, 1
	v_cndmask_b32_e32 v122, v122, v112, vcc
	v_cndmask_b32_e32 v124, v124, v114, vcc
	;; [unrolled: 1-line block ×4, first 2 shown]
	s_cmp_lg_u32 s3, s0
	s_cbranch_scc1 .LBB62_232
.LBB62_233:
	s_waitcnt lgkmcnt(0)
	v_cmp_eq_f64_e32 vcc, 0, v[121:122]
	v_cmp_eq_f64_e64 s[0:1], 0, v[123:124]
	s_and_b64 s[0:1], vcc, s[0:1]
	s_and_saveexec_b64 s[18:19], s[0:1]
	s_xor_b64 s[0:1], exec, s[18:19]
; %bb.234:
	v_cmp_ne_u32_e32 vcc, 0, v107
	v_cndmask_b32_e32 v107, 12, v107, vcc
; %bb.235:
	s_andn2_saveexec_b64 s[0:1], s[0:1]
	s_cbranch_execz .LBB62_241
; %bb.236:
	v_cmp_ngt_f64_e64 s[18:19], |v[121:122]|, |v[123:124]|
	s_and_saveexec_b64 s[20:21], s[18:19]
	s_xor_b64 s[18:19], exec, s[20:21]
	s_cbranch_execz .LBB62_238
; %bb.237:
	v_div_scale_f64 v[110:111], s[20:21], v[123:124], v[123:124], v[121:122]
	v_rcp_f64_e32 v[112:113], v[110:111]
	v_fma_f64 v[114:115], -v[110:111], v[112:113], 1.0
	v_fma_f64 v[112:113], v[112:113], v[114:115], v[112:113]
	v_div_scale_f64 v[114:115], vcc, v[121:122], v[123:124], v[121:122]
	v_fma_f64 v[116:117], -v[110:111], v[112:113], 1.0
	v_fma_f64 v[112:113], v[112:113], v[116:117], v[112:113]
	v_mul_f64 v[116:117], v[114:115], v[112:113]
	v_fma_f64 v[110:111], -v[110:111], v[116:117], v[114:115]
	v_div_fmas_f64 v[110:111], v[110:111], v[112:113], v[116:117]
	v_div_fixup_f64 v[110:111], v[110:111], v[123:124], v[121:122]
	v_fma_f64 v[112:113], v[121:122], v[110:111], v[123:124]
	v_div_scale_f64 v[114:115], s[20:21], v[112:113], v[112:113], 1.0
	v_div_scale_f64 v[120:121], vcc, 1.0, v[112:113], 1.0
	v_rcp_f64_e32 v[116:117], v[114:115]
	v_fma_f64 v[118:119], -v[114:115], v[116:117], 1.0
	v_fma_f64 v[116:117], v[116:117], v[118:119], v[116:117]
	v_fma_f64 v[118:119], -v[114:115], v[116:117], 1.0
	v_fma_f64 v[116:117], v[116:117], v[118:119], v[116:117]
	v_mul_f64 v[118:119], v[120:121], v[116:117]
	v_fma_f64 v[114:115], -v[114:115], v[118:119], v[120:121]
	v_div_fmas_f64 v[114:115], v[114:115], v[116:117], v[118:119]
	v_div_fixup_f64 v[123:124], v[114:115], v[112:113], 1.0
	v_mul_f64 v[121:122], v[110:111], v[123:124]
	v_xor_b32_e32 v124, 0x80000000, v124
.LBB62_238:
	s_andn2_saveexec_b64 s[18:19], s[18:19]
	s_cbranch_execz .LBB62_240
; %bb.239:
	v_div_scale_f64 v[110:111], s[20:21], v[121:122], v[121:122], v[123:124]
	v_rcp_f64_e32 v[112:113], v[110:111]
	v_fma_f64 v[114:115], -v[110:111], v[112:113], 1.0
	v_fma_f64 v[112:113], v[112:113], v[114:115], v[112:113]
	v_div_scale_f64 v[114:115], vcc, v[123:124], v[121:122], v[123:124]
	v_fma_f64 v[116:117], -v[110:111], v[112:113], 1.0
	v_fma_f64 v[112:113], v[112:113], v[116:117], v[112:113]
	v_mul_f64 v[116:117], v[114:115], v[112:113]
	v_fma_f64 v[110:111], -v[110:111], v[116:117], v[114:115]
	v_div_fmas_f64 v[110:111], v[110:111], v[112:113], v[116:117]
	v_div_fixup_f64 v[110:111], v[110:111], v[121:122], v[123:124]
	v_fma_f64 v[112:113], v[123:124], v[110:111], v[121:122]
	v_div_scale_f64 v[114:115], s[20:21], v[112:113], v[112:113], 1.0
	v_div_scale_f64 v[120:121], vcc, 1.0, v[112:113], 1.0
	v_rcp_f64_e32 v[116:117], v[114:115]
	v_fma_f64 v[118:119], -v[114:115], v[116:117], 1.0
	v_fma_f64 v[116:117], v[116:117], v[118:119], v[116:117]
	v_fma_f64 v[118:119], -v[114:115], v[116:117], 1.0
	v_fma_f64 v[116:117], v[116:117], v[118:119], v[116:117]
	v_mul_f64 v[118:119], v[120:121], v[116:117]
	v_fma_f64 v[114:115], -v[114:115], v[118:119], v[120:121]
	v_div_fmas_f64 v[114:115], v[114:115], v[116:117], v[118:119]
	v_div_fixup_f64 v[121:122], v[114:115], v[112:113], 1.0
	v_mul_f64 v[123:124], v[110:111], -v[121:122]
.LBB62_240:
	s_or_b64 exec, exec, s[18:19]
.LBB62_241:
	s_or_b64 exec, exec, s[0:1]
	v_cmp_ne_u32_e32 vcc, v108, v109
	s_and_saveexec_b64 s[0:1], vcc
	s_xor_b64 s[0:1], exec, s[0:1]
	s_cbranch_execz .LBB62_247
; %bb.242:
	v_cmp_eq_u32_e32 vcc, 11, v108
	s_and_saveexec_b64 s[18:19], vcc
	s_cbranch_execz .LBB62_246
; %bb.243:
	v_cmp_ne_u32_e32 vcc, 11, v109
	s_xor_b64 s[20:21], s[6:7], -1
	s_and_b64 s[22:23], s[20:21], vcc
	s_and_saveexec_b64 s[20:21], s[22:23]
	s_cbranch_execz .LBB62_245
; %bb.244:
	buffer_load_dword v112, off, s[24:27], 0 offset:64 ; 4-byte Folded Reload
	buffer_load_dword v113, off, s[24:27], 0 offset:68 ; 4-byte Folded Reload
	v_ashrrev_i32_e32 v110, 31, v109
	v_lshlrev_b64 v[110:111], 2, v[109:110]
	s_waitcnt vmcnt(1)
	v_add_co_u32_e32 v110, vcc, v112, v110
	s_waitcnt vmcnt(0)
	v_addc_co_u32_e32 v111, vcc, v113, v111, vcc
	global_load_dword v0, v[110:111], off
	global_load_dword v108, v[112:113], off offset:44
	s_waitcnt vmcnt(1)
	global_store_dword v[112:113], v0, off offset:44
	s_waitcnt vmcnt(1)
	global_store_dword v[110:111], v108, off
.LBB62_245:
	s_or_b64 exec, exec, s[20:21]
	v_mov_b32_e32 v108, v109
	v_mov_b32_e32 v0, v109
.LBB62_246:
	s_or_b64 exec, exec, s[18:19]
.LBB62_247:
	s_andn2_saveexec_b64 s[0:1], s[0:1]
	s_cbranch_execz .LBB62_249
; %bb.248:
	v_mov_b32_e32 v108, 11
	ds_write2_b64 v106, v[73:74], v[75:76] offset0:24 offset1:25
	ds_write2_b64 v106, v[69:70], v[71:72] offset0:26 offset1:27
	;; [unrolled: 1-line block ×20, first 2 shown]
.LBB62_249:
	s_or_b64 exec, exec, s[0:1]
	v_cmp_lt_i32_e32 vcc, 11, v108
	s_waitcnt vmcnt(0) lgkmcnt(0)
	s_barrier
	s_and_saveexec_b64 s[0:1], vcc
	s_cbranch_execz .LBB62_251
; %bb.250:
	v_mul_f64 v[109:110], v[123:124], v[79:80]
	v_mul_f64 v[79:80], v[121:122], v[79:80]
	v_fma_f64 v[125:126], v[121:122], v[77:78], -v[109:110]
	v_fma_f64 v[79:80], v[123:124], v[77:78], v[79:80]
	ds_read2_b64 v[109:112], v106 offset0:24 offset1:25
	s_waitcnt lgkmcnt(0)
	v_mul_f64 v[77:78], v[111:112], v[79:80]
	v_fma_f64 v[77:78], v[109:110], v[125:126], -v[77:78]
	v_mul_f64 v[109:110], v[109:110], v[79:80]
	v_add_f64 v[73:74], v[73:74], -v[77:78]
	v_fma_f64 v[109:110], v[111:112], v[125:126], v[109:110]
	v_add_f64 v[75:76], v[75:76], -v[109:110]
	ds_read2_b64 v[109:112], v106 offset0:26 offset1:27
	s_waitcnt lgkmcnt(0)
	v_mul_f64 v[77:78], v[111:112], v[79:80]
	v_fma_f64 v[77:78], v[109:110], v[125:126], -v[77:78]
	v_mul_f64 v[109:110], v[109:110], v[79:80]
	v_add_f64 v[69:70], v[69:70], -v[77:78]
	v_fma_f64 v[109:110], v[111:112], v[125:126], v[109:110]
	v_add_f64 v[71:72], v[71:72], -v[109:110]
	;; [unrolled: 8-line block ×19, first 2 shown]
	ds_read2_b64 v[109:112], v106 offset0:62 offset1:63
	s_waitcnt lgkmcnt(0)
	v_mul_f64 v[77:78], v[111:112], v[79:80]
	v_fma_f64 v[77:78], v[109:110], v[125:126], -v[77:78]
	v_mul_f64 v[109:110], v[109:110], v[79:80]
	v_add_f64 v[85:86], v[85:86], -v[77:78]
	v_fma_f64 v[109:110], v[111:112], v[125:126], v[109:110]
	v_mov_b32_e32 v77, v125
	v_mov_b32_e32 v78, v126
	v_add_f64 v[87:88], v[87:88], -v[109:110]
.LBB62_251:
	s_or_b64 exec, exec, s[0:1]
	v_lshl_add_u32 v109, v108, 4, v106
	s_barrier
	ds_write2_b64 v109, v[73:74], v[75:76] offset1:1
	s_waitcnt lgkmcnt(0)
	s_barrier
	ds_read2_b64 v[121:124], v106 offset0:24 offset1:25
	s_cmp_lt_i32 s3, 14
	v_mov_b32_e32 v109, 12
	s_cbranch_scc1 .LBB62_254
; %bb.252:
	v_add_u32_e32 v110, 0xd0, v106
	s_mov_b32 s0, 13
	v_mov_b32_e32 v109, 12
.LBB62_253:                             ; =>This Inner Loop Header: Depth=1
	s_waitcnt lgkmcnt(0)
	v_cmp_gt_f64_e32 vcc, 0, v[121:122]
	v_xor_b32_e32 v115, 0x80000000, v122
	ds_read2_b64 v[111:114], v110 offset1:1
	v_xor_b32_e32 v117, 0x80000000, v124
	v_add_u32_e32 v110, 16, v110
	s_waitcnt lgkmcnt(0)
	v_xor_b32_e32 v119, 0x80000000, v114
	v_cndmask_b32_e32 v116, v122, v115, vcc
	v_cmp_gt_f64_e32 vcc, 0, v[123:124]
	v_mov_b32_e32 v115, v121
	v_cndmask_b32_e32 v118, v124, v117, vcc
	v_cmp_gt_f64_e32 vcc, 0, v[111:112]
	v_mov_b32_e32 v117, v123
	v_add_f64 v[115:116], v[115:116], v[117:118]
	v_xor_b32_e32 v117, 0x80000000, v112
	v_cndmask_b32_e32 v118, v112, v117, vcc
	v_cmp_gt_f64_e32 vcc, 0, v[113:114]
	v_mov_b32_e32 v117, v111
	v_cndmask_b32_e32 v120, v114, v119, vcc
	v_mov_b32_e32 v119, v113
	v_add_f64 v[117:118], v[117:118], v[119:120]
	v_cmp_lt_f64_e32 vcc, v[115:116], v[117:118]
	v_cndmask_b32_e32 v121, v121, v111, vcc
	v_mov_b32_e32 v111, s0
	s_add_i32 s0, s0, 1
	v_cndmask_b32_e32 v122, v122, v112, vcc
	v_cndmask_b32_e32 v124, v124, v114, vcc
	;; [unrolled: 1-line block ×4, first 2 shown]
	s_cmp_lg_u32 s3, s0
	s_cbranch_scc1 .LBB62_253
.LBB62_254:
	s_waitcnt lgkmcnt(0)
	v_cmp_eq_f64_e32 vcc, 0, v[121:122]
	v_cmp_eq_f64_e64 s[0:1], 0, v[123:124]
	s_and_b64 s[0:1], vcc, s[0:1]
	s_and_saveexec_b64 s[18:19], s[0:1]
	s_xor_b64 s[0:1], exec, s[18:19]
; %bb.255:
	v_cmp_ne_u32_e32 vcc, 0, v107
	v_cndmask_b32_e32 v107, 13, v107, vcc
; %bb.256:
	s_andn2_saveexec_b64 s[0:1], s[0:1]
	s_cbranch_execz .LBB62_262
; %bb.257:
	v_cmp_ngt_f64_e64 s[18:19], |v[121:122]|, |v[123:124]|
	s_and_saveexec_b64 s[20:21], s[18:19]
	s_xor_b64 s[18:19], exec, s[20:21]
	s_cbranch_execz .LBB62_259
; %bb.258:
	v_div_scale_f64 v[110:111], s[20:21], v[123:124], v[123:124], v[121:122]
	v_rcp_f64_e32 v[112:113], v[110:111]
	v_fma_f64 v[114:115], -v[110:111], v[112:113], 1.0
	v_fma_f64 v[112:113], v[112:113], v[114:115], v[112:113]
	v_div_scale_f64 v[114:115], vcc, v[121:122], v[123:124], v[121:122]
	v_fma_f64 v[116:117], -v[110:111], v[112:113], 1.0
	v_fma_f64 v[112:113], v[112:113], v[116:117], v[112:113]
	v_mul_f64 v[116:117], v[114:115], v[112:113]
	v_fma_f64 v[110:111], -v[110:111], v[116:117], v[114:115]
	v_div_fmas_f64 v[110:111], v[110:111], v[112:113], v[116:117]
	v_div_fixup_f64 v[110:111], v[110:111], v[123:124], v[121:122]
	v_fma_f64 v[112:113], v[121:122], v[110:111], v[123:124]
	v_div_scale_f64 v[114:115], s[20:21], v[112:113], v[112:113], 1.0
	v_div_scale_f64 v[120:121], vcc, 1.0, v[112:113], 1.0
	v_rcp_f64_e32 v[116:117], v[114:115]
	v_fma_f64 v[118:119], -v[114:115], v[116:117], 1.0
	v_fma_f64 v[116:117], v[116:117], v[118:119], v[116:117]
	v_fma_f64 v[118:119], -v[114:115], v[116:117], 1.0
	v_fma_f64 v[116:117], v[116:117], v[118:119], v[116:117]
	v_mul_f64 v[118:119], v[120:121], v[116:117]
	v_fma_f64 v[114:115], -v[114:115], v[118:119], v[120:121]
	v_div_fmas_f64 v[114:115], v[114:115], v[116:117], v[118:119]
	v_div_fixup_f64 v[123:124], v[114:115], v[112:113], 1.0
	v_mul_f64 v[121:122], v[110:111], v[123:124]
	v_xor_b32_e32 v124, 0x80000000, v124
.LBB62_259:
	s_andn2_saveexec_b64 s[18:19], s[18:19]
	s_cbranch_execz .LBB62_261
; %bb.260:
	v_div_scale_f64 v[110:111], s[20:21], v[121:122], v[121:122], v[123:124]
	v_rcp_f64_e32 v[112:113], v[110:111]
	v_fma_f64 v[114:115], -v[110:111], v[112:113], 1.0
	v_fma_f64 v[112:113], v[112:113], v[114:115], v[112:113]
	v_div_scale_f64 v[114:115], vcc, v[123:124], v[121:122], v[123:124]
	v_fma_f64 v[116:117], -v[110:111], v[112:113], 1.0
	v_fma_f64 v[112:113], v[112:113], v[116:117], v[112:113]
	v_mul_f64 v[116:117], v[114:115], v[112:113]
	v_fma_f64 v[110:111], -v[110:111], v[116:117], v[114:115]
	v_div_fmas_f64 v[110:111], v[110:111], v[112:113], v[116:117]
	v_div_fixup_f64 v[110:111], v[110:111], v[121:122], v[123:124]
	v_fma_f64 v[112:113], v[123:124], v[110:111], v[121:122]
	v_div_scale_f64 v[114:115], s[20:21], v[112:113], v[112:113], 1.0
	v_div_scale_f64 v[120:121], vcc, 1.0, v[112:113], 1.0
	v_rcp_f64_e32 v[116:117], v[114:115]
	v_fma_f64 v[118:119], -v[114:115], v[116:117], 1.0
	v_fma_f64 v[116:117], v[116:117], v[118:119], v[116:117]
	v_fma_f64 v[118:119], -v[114:115], v[116:117], 1.0
	v_fma_f64 v[116:117], v[116:117], v[118:119], v[116:117]
	v_mul_f64 v[118:119], v[120:121], v[116:117]
	v_fma_f64 v[114:115], -v[114:115], v[118:119], v[120:121]
	v_div_fmas_f64 v[114:115], v[114:115], v[116:117], v[118:119]
	v_div_fixup_f64 v[121:122], v[114:115], v[112:113], 1.0
	v_mul_f64 v[123:124], v[110:111], -v[121:122]
.LBB62_261:
	s_or_b64 exec, exec, s[18:19]
.LBB62_262:
	s_or_b64 exec, exec, s[0:1]
	v_cmp_ne_u32_e32 vcc, v108, v109
	s_and_saveexec_b64 s[0:1], vcc
	s_xor_b64 s[0:1], exec, s[0:1]
	s_cbranch_execz .LBB62_268
; %bb.263:
	v_cmp_eq_u32_e32 vcc, 12, v108
	s_and_saveexec_b64 s[18:19], vcc
	s_cbranch_execz .LBB62_267
; %bb.264:
	v_cmp_ne_u32_e32 vcc, 12, v109
	s_xor_b64 s[20:21], s[6:7], -1
	s_and_b64 s[22:23], s[20:21], vcc
	s_and_saveexec_b64 s[20:21], s[22:23]
	s_cbranch_execz .LBB62_266
; %bb.265:
	buffer_load_dword v112, off, s[24:27], 0 offset:64 ; 4-byte Folded Reload
	buffer_load_dword v113, off, s[24:27], 0 offset:68 ; 4-byte Folded Reload
	v_ashrrev_i32_e32 v110, 31, v109
	v_lshlrev_b64 v[110:111], 2, v[109:110]
	s_waitcnt vmcnt(1)
	v_add_co_u32_e32 v110, vcc, v112, v110
	s_waitcnt vmcnt(0)
	v_addc_co_u32_e32 v111, vcc, v113, v111, vcc
	global_load_dword v0, v[110:111], off
	global_load_dword v108, v[112:113], off offset:48
	s_waitcnt vmcnt(1)
	global_store_dword v[112:113], v0, off offset:48
	s_waitcnt vmcnt(1)
	global_store_dword v[110:111], v108, off
.LBB62_266:
	s_or_b64 exec, exec, s[20:21]
	v_mov_b32_e32 v108, v109
	v_mov_b32_e32 v0, v109
.LBB62_267:
	s_or_b64 exec, exec, s[18:19]
.LBB62_268:
	s_andn2_saveexec_b64 s[0:1], s[0:1]
	s_cbranch_execz .LBB62_270
; %bb.269:
	v_mov_b32_e32 v108, 12
	ds_write2_b64 v106, v[69:70], v[71:72] offset0:26 offset1:27
	ds_write2_b64 v106, v[65:66], v[67:68] offset0:28 offset1:29
	;; [unrolled: 1-line block ×19, first 2 shown]
.LBB62_270:
	s_or_b64 exec, exec, s[0:1]
	v_cmp_lt_i32_e32 vcc, 12, v108
	s_waitcnt vmcnt(0) lgkmcnt(0)
	s_barrier
	s_and_saveexec_b64 s[0:1], vcc
	s_cbranch_execz .LBB62_272
; %bb.271:
	v_mul_f64 v[109:110], v[123:124], v[75:76]
	v_mul_f64 v[75:76], v[121:122], v[75:76]
	v_fma_f64 v[125:126], v[121:122], v[73:74], -v[109:110]
	v_fma_f64 v[75:76], v[123:124], v[73:74], v[75:76]
	ds_read2_b64 v[109:112], v106 offset0:26 offset1:27
	s_waitcnt lgkmcnt(0)
	v_mul_f64 v[73:74], v[111:112], v[75:76]
	v_fma_f64 v[73:74], v[109:110], v[125:126], -v[73:74]
	v_mul_f64 v[109:110], v[109:110], v[75:76]
	v_add_f64 v[69:70], v[69:70], -v[73:74]
	v_fma_f64 v[109:110], v[111:112], v[125:126], v[109:110]
	v_add_f64 v[71:72], v[71:72], -v[109:110]
	ds_read2_b64 v[109:112], v106 offset0:28 offset1:29
	s_waitcnt lgkmcnt(0)
	v_mul_f64 v[73:74], v[111:112], v[75:76]
	v_fma_f64 v[73:74], v[109:110], v[125:126], -v[73:74]
	v_mul_f64 v[109:110], v[109:110], v[75:76]
	v_add_f64 v[65:66], v[65:66], -v[73:74]
	v_fma_f64 v[109:110], v[111:112], v[125:126], v[109:110]
	v_add_f64 v[67:68], v[67:68], -v[109:110]
	;; [unrolled: 8-line block ×18, first 2 shown]
	ds_read2_b64 v[109:112], v106 offset0:62 offset1:63
	s_waitcnt lgkmcnt(0)
	v_mul_f64 v[73:74], v[111:112], v[75:76]
	v_fma_f64 v[73:74], v[109:110], v[125:126], -v[73:74]
	v_mul_f64 v[109:110], v[109:110], v[75:76]
	v_add_f64 v[85:86], v[85:86], -v[73:74]
	v_fma_f64 v[109:110], v[111:112], v[125:126], v[109:110]
	v_mov_b32_e32 v73, v125
	v_mov_b32_e32 v74, v126
	v_add_f64 v[87:88], v[87:88], -v[109:110]
.LBB62_272:
	s_or_b64 exec, exec, s[0:1]
	v_lshl_add_u32 v109, v108, 4, v106
	s_barrier
	ds_write2_b64 v109, v[69:70], v[71:72] offset1:1
	s_waitcnt lgkmcnt(0)
	s_barrier
	ds_read2_b64 v[121:124], v106 offset0:26 offset1:27
	s_cmp_lt_i32 s3, 15
	v_mov_b32_e32 v109, 13
	s_cbranch_scc1 .LBB62_275
; %bb.273:
	v_add_u32_e32 v110, 0xe0, v106
	s_mov_b32 s0, 14
	v_mov_b32_e32 v109, 13
.LBB62_274:                             ; =>This Inner Loop Header: Depth=1
	s_waitcnt lgkmcnt(0)
	v_cmp_gt_f64_e32 vcc, 0, v[121:122]
	v_xor_b32_e32 v115, 0x80000000, v122
	ds_read2_b64 v[111:114], v110 offset1:1
	v_xor_b32_e32 v117, 0x80000000, v124
	v_add_u32_e32 v110, 16, v110
	s_waitcnt lgkmcnt(0)
	v_xor_b32_e32 v119, 0x80000000, v114
	v_cndmask_b32_e32 v116, v122, v115, vcc
	v_cmp_gt_f64_e32 vcc, 0, v[123:124]
	v_mov_b32_e32 v115, v121
	v_cndmask_b32_e32 v118, v124, v117, vcc
	v_cmp_gt_f64_e32 vcc, 0, v[111:112]
	v_mov_b32_e32 v117, v123
	v_add_f64 v[115:116], v[115:116], v[117:118]
	v_xor_b32_e32 v117, 0x80000000, v112
	v_cndmask_b32_e32 v118, v112, v117, vcc
	v_cmp_gt_f64_e32 vcc, 0, v[113:114]
	v_mov_b32_e32 v117, v111
	v_cndmask_b32_e32 v120, v114, v119, vcc
	v_mov_b32_e32 v119, v113
	v_add_f64 v[117:118], v[117:118], v[119:120]
	v_cmp_lt_f64_e32 vcc, v[115:116], v[117:118]
	v_cndmask_b32_e32 v121, v121, v111, vcc
	v_mov_b32_e32 v111, s0
	s_add_i32 s0, s0, 1
	v_cndmask_b32_e32 v122, v122, v112, vcc
	v_cndmask_b32_e32 v124, v124, v114, vcc
	;; [unrolled: 1-line block ×4, first 2 shown]
	s_cmp_lg_u32 s3, s0
	s_cbranch_scc1 .LBB62_274
.LBB62_275:
	s_waitcnt lgkmcnt(0)
	v_cmp_eq_f64_e32 vcc, 0, v[121:122]
	v_cmp_eq_f64_e64 s[0:1], 0, v[123:124]
	s_and_b64 s[0:1], vcc, s[0:1]
	s_and_saveexec_b64 s[18:19], s[0:1]
	s_xor_b64 s[0:1], exec, s[18:19]
; %bb.276:
	v_cmp_ne_u32_e32 vcc, 0, v107
	v_cndmask_b32_e32 v107, 14, v107, vcc
; %bb.277:
	s_andn2_saveexec_b64 s[0:1], s[0:1]
	s_cbranch_execz .LBB62_283
; %bb.278:
	v_cmp_ngt_f64_e64 s[18:19], |v[121:122]|, |v[123:124]|
	s_and_saveexec_b64 s[20:21], s[18:19]
	s_xor_b64 s[18:19], exec, s[20:21]
	s_cbranch_execz .LBB62_280
; %bb.279:
	v_div_scale_f64 v[110:111], s[20:21], v[123:124], v[123:124], v[121:122]
	v_rcp_f64_e32 v[112:113], v[110:111]
	v_fma_f64 v[114:115], -v[110:111], v[112:113], 1.0
	v_fma_f64 v[112:113], v[112:113], v[114:115], v[112:113]
	v_div_scale_f64 v[114:115], vcc, v[121:122], v[123:124], v[121:122]
	v_fma_f64 v[116:117], -v[110:111], v[112:113], 1.0
	v_fma_f64 v[112:113], v[112:113], v[116:117], v[112:113]
	v_mul_f64 v[116:117], v[114:115], v[112:113]
	v_fma_f64 v[110:111], -v[110:111], v[116:117], v[114:115]
	v_div_fmas_f64 v[110:111], v[110:111], v[112:113], v[116:117]
	v_div_fixup_f64 v[110:111], v[110:111], v[123:124], v[121:122]
	v_fma_f64 v[112:113], v[121:122], v[110:111], v[123:124]
	v_div_scale_f64 v[114:115], s[20:21], v[112:113], v[112:113], 1.0
	v_div_scale_f64 v[120:121], vcc, 1.0, v[112:113], 1.0
	v_rcp_f64_e32 v[116:117], v[114:115]
	v_fma_f64 v[118:119], -v[114:115], v[116:117], 1.0
	v_fma_f64 v[116:117], v[116:117], v[118:119], v[116:117]
	v_fma_f64 v[118:119], -v[114:115], v[116:117], 1.0
	v_fma_f64 v[116:117], v[116:117], v[118:119], v[116:117]
	v_mul_f64 v[118:119], v[120:121], v[116:117]
	v_fma_f64 v[114:115], -v[114:115], v[118:119], v[120:121]
	v_div_fmas_f64 v[114:115], v[114:115], v[116:117], v[118:119]
	v_div_fixup_f64 v[123:124], v[114:115], v[112:113], 1.0
	v_mul_f64 v[121:122], v[110:111], v[123:124]
	v_xor_b32_e32 v124, 0x80000000, v124
.LBB62_280:
	s_andn2_saveexec_b64 s[18:19], s[18:19]
	s_cbranch_execz .LBB62_282
; %bb.281:
	v_div_scale_f64 v[110:111], s[20:21], v[121:122], v[121:122], v[123:124]
	v_rcp_f64_e32 v[112:113], v[110:111]
	v_fma_f64 v[114:115], -v[110:111], v[112:113], 1.0
	v_fma_f64 v[112:113], v[112:113], v[114:115], v[112:113]
	v_div_scale_f64 v[114:115], vcc, v[123:124], v[121:122], v[123:124]
	v_fma_f64 v[116:117], -v[110:111], v[112:113], 1.0
	v_fma_f64 v[112:113], v[112:113], v[116:117], v[112:113]
	v_mul_f64 v[116:117], v[114:115], v[112:113]
	v_fma_f64 v[110:111], -v[110:111], v[116:117], v[114:115]
	v_div_fmas_f64 v[110:111], v[110:111], v[112:113], v[116:117]
	v_div_fixup_f64 v[110:111], v[110:111], v[121:122], v[123:124]
	v_fma_f64 v[112:113], v[123:124], v[110:111], v[121:122]
	v_div_scale_f64 v[114:115], s[20:21], v[112:113], v[112:113], 1.0
	v_div_scale_f64 v[120:121], vcc, 1.0, v[112:113], 1.0
	v_rcp_f64_e32 v[116:117], v[114:115]
	v_fma_f64 v[118:119], -v[114:115], v[116:117], 1.0
	v_fma_f64 v[116:117], v[116:117], v[118:119], v[116:117]
	v_fma_f64 v[118:119], -v[114:115], v[116:117], 1.0
	v_fma_f64 v[116:117], v[116:117], v[118:119], v[116:117]
	v_mul_f64 v[118:119], v[120:121], v[116:117]
	v_fma_f64 v[114:115], -v[114:115], v[118:119], v[120:121]
	v_div_fmas_f64 v[114:115], v[114:115], v[116:117], v[118:119]
	v_div_fixup_f64 v[121:122], v[114:115], v[112:113], 1.0
	v_mul_f64 v[123:124], v[110:111], -v[121:122]
.LBB62_282:
	s_or_b64 exec, exec, s[18:19]
.LBB62_283:
	s_or_b64 exec, exec, s[0:1]
	v_cmp_ne_u32_e32 vcc, v108, v109
	s_and_saveexec_b64 s[0:1], vcc
	s_xor_b64 s[0:1], exec, s[0:1]
	s_cbranch_execz .LBB62_289
; %bb.284:
	v_cmp_eq_u32_e32 vcc, 13, v108
	s_and_saveexec_b64 s[18:19], vcc
	s_cbranch_execz .LBB62_288
; %bb.285:
	v_cmp_ne_u32_e32 vcc, 13, v109
	s_xor_b64 s[20:21], s[6:7], -1
	s_and_b64 s[22:23], s[20:21], vcc
	s_and_saveexec_b64 s[20:21], s[22:23]
	s_cbranch_execz .LBB62_287
; %bb.286:
	buffer_load_dword v112, off, s[24:27], 0 offset:64 ; 4-byte Folded Reload
	buffer_load_dword v113, off, s[24:27], 0 offset:68 ; 4-byte Folded Reload
	v_ashrrev_i32_e32 v110, 31, v109
	v_lshlrev_b64 v[110:111], 2, v[109:110]
	s_waitcnt vmcnt(1)
	v_add_co_u32_e32 v110, vcc, v112, v110
	s_waitcnt vmcnt(0)
	v_addc_co_u32_e32 v111, vcc, v113, v111, vcc
	global_load_dword v0, v[110:111], off
	global_load_dword v108, v[112:113], off offset:52
	s_waitcnt vmcnt(1)
	global_store_dword v[112:113], v0, off offset:52
	s_waitcnt vmcnt(1)
	global_store_dword v[110:111], v108, off
.LBB62_287:
	s_or_b64 exec, exec, s[20:21]
	v_mov_b32_e32 v108, v109
	v_mov_b32_e32 v0, v109
.LBB62_288:
	s_or_b64 exec, exec, s[18:19]
.LBB62_289:
	s_andn2_saveexec_b64 s[0:1], s[0:1]
	s_cbranch_execz .LBB62_291
; %bb.290:
	v_mov_b32_e32 v108, 13
	ds_write2_b64 v106, v[65:66], v[67:68] offset0:28 offset1:29
	ds_write2_b64 v106, v[61:62], v[63:64] offset0:30 offset1:31
	;; [unrolled: 1-line block ×18, first 2 shown]
.LBB62_291:
	s_or_b64 exec, exec, s[0:1]
	v_cmp_lt_i32_e32 vcc, 13, v108
	s_waitcnt vmcnt(0) lgkmcnt(0)
	s_barrier
	s_and_saveexec_b64 s[0:1], vcc
	s_cbranch_execz .LBB62_293
; %bb.292:
	v_mul_f64 v[109:110], v[123:124], v[71:72]
	v_mul_f64 v[71:72], v[121:122], v[71:72]
	v_fma_f64 v[125:126], v[121:122], v[69:70], -v[109:110]
	v_fma_f64 v[71:72], v[123:124], v[69:70], v[71:72]
	ds_read2_b64 v[109:112], v106 offset0:28 offset1:29
	s_waitcnt lgkmcnt(0)
	v_mul_f64 v[69:70], v[111:112], v[71:72]
	v_fma_f64 v[69:70], v[109:110], v[125:126], -v[69:70]
	v_mul_f64 v[109:110], v[109:110], v[71:72]
	v_add_f64 v[65:66], v[65:66], -v[69:70]
	v_fma_f64 v[109:110], v[111:112], v[125:126], v[109:110]
	v_add_f64 v[67:68], v[67:68], -v[109:110]
	ds_read2_b64 v[109:112], v106 offset0:30 offset1:31
	s_waitcnt lgkmcnt(0)
	v_mul_f64 v[69:70], v[111:112], v[71:72]
	v_fma_f64 v[69:70], v[109:110], v[125:126], -v[69:70]
	v_mul_f64 v[109:110], v[109:110], v[71:72]
	v_add_f64 v[61:62], v[61:62], -v[69:70]
	v_fma_f64 v[109:110], v[111:112], v[125:126], v[109:110]
	v_add_f64 v[63:64], v[63:64], -v[109:110]
	ds_read2_b64 v[109:112], v106 offset0:32 offset1:33
	s_waitcnt lgkmcnt(0)
	v_mul_f64 v[69:70], v[111:112], v[71:72]
	v_fma_f64 v[69:70], v[109:110], v[125:126], -v[69:70]
	v_mul_f64 v[109:110], v[109:110], v[71:72]
	v_add_f64 v[57:58], v[57:58], -v[69:70]
	v_fma_f64 v[109:110], v[111:112], v[125:126], v[109:110]
	v_add_f64 v[59:60], v[59:60], -v[109:110]
	ds_read2_b64 v[109:112], v106 offset0:34 offset1:35
	s_waitcnt lgkmcnt(0)
	v_mul_f64 v[69:70], v[111:112], v[71:72]
	v_fma_f64 v[69:70], v[109:110], v[125:126], -v[69:70]
	v_mul_f64 v[109:110], v[109:110], v[71:72]
	v_add_f64 v[53:54], v[53:54], -v[69:70]
	v_fma_f64 v[109:110], v[111:112], v[125:126], v[109:110]
	v_add_f64 v[55:56], v[55:56], -v[109:110]
	ds_read2_b64 v[109:112], v106 offset0:36 offset1:37
	s_waitcnt lgkmcnt(0)
	v_mul_f64 v[69:70], v[111:112], v[71:72]
	v_fma_f64 v[69:70], v[109:110], v[125:126], -v[69:70]
	v_mul_f64 v[109:110], v[109:110], v[71:72]
	v_add_f64 v[49:50], v[49:50], -v[69:70]
	v_fma_f64 v[109:110], v[111:112], v[125:126], v[109:110]
	v_add_f64 v[51:52], v[51:52], -v[109:110]
	ds_read2_b64 v[109:112], v106 offset0:38 offset1:39
	s_waitcnt lgkmcnt(0)
	v_mul_f64 v[69:70], v[111:112], v[71:72]
	v_fma_f64 v[69:70], v[109:110], v[125:126], -v[69:70]
	v_mul_f64 v[109:110], v[109:110], v[71:72]
	v_add_f64 v[45:46], v[45:46], -v[69:70]
	v_fma_f64 v[109:110], v[111:112], v[125:126], v[109:110]
	v_add_f64 v[47:48], v[47:48], -v[109:110]
	ds_read2_b64 v[109:112], v106 offset0:40 offset1:41
	s_waitcnt lgkmcnt(0)
	v_mul_f64 v[69:70], v[111:112], v[71:72]
	v_fma_f64 v[69:70], v[109:110], v[125:126], -v[69:70]
	v_mul_f64 v[109:110], v[109:110], v[71:72]
	v_add_f64 v[41:42], v[41:42], -v[69:70]
	v_fma_f64 v[109:110], v[111:112], v[125:126], v[109:110]
	v_add_f64 v[43:44], v[43:44], -v[109:110]
	ds_read2_b64 v[109:112], v106 offset0:42 offset1:43
	s_waitcnt lgkmcnt(0)
	v_mul_f64 v[69:70], v[111:112], v[71:72]
	v_fma_f64 v[69:70], v[109:110], v[125:126], -v[69:70]
	v_mul_f64 v[109:110], v[109:110], v[71:72]
	v_add_f64 v[37:38], v[37:38], -v[69:70]
	v_fma_f64 v[109:110], v[111:112], v[125:126], v[109:110]
	v_add_f64 v[39:40], v[39:40], -v[109:110]
	ds_read2_b64 v[109:112], v106 offset0:44 offset1:45
	s_waitcnt lgkmcnt(0)
	v_mul_f64 v[69:70], v[111:112], v[71:72]
	v_fma_f64 v[69:70], v[109:110], v[125:126], -v[69:70]
	v_mul_f64 v[109:110], v[109:110], v[71:72]
	v_add_f64 v[33:34], v[33:34], -v[69:70]
	v_fma_f64 v[109:110], v[111:112], v[125:126], v[109:110]
	v_add_f64 v[35:36], v[35:36], -v[109:110]
	ds_read2_b64 v[109:112], v106 offset0:46 offset1:47
	s_waitcnt lgkmcnt(0)
	v_mul_f64 v[69:70], v[111:112], v[71:72]
	v_fma_f64 v[69:70], v[109:110], v[125:126], -v[69:70]
	v_mul_f64 v[109:110], v[109:110], v[71:72]
	v_add_f64 v[29:30], v[29:30], -v[69:70]
	v_fma_f64 v[109:110], v[111:112], v[125:126], v[109:110]
	v_add_f64 v[31:32], v[31:32], -v[109:110]
	ds_read2_b64 v[109:112], v106 offset0:48 offset1:49
	s_waitcnt lgkmcnt(0)
	v_mul_f64 v[69:70], v[111:112], v[71:72]
	v_fma_f64 v[69:70], v[109:110], v[125:126], -v[69:70]
	v_mul_f64 v[109:110], v[109:110], v[71:72]
	v_add_f64 v[25:26], v[25:26], -v[69:70]
	v_fma_f64 v[109:110], v[111:112], v[125:126], v[109:110]
	v_add_f64 v[27:28], v[27:28], -v[109:110]
	ds_read2_b64 v[109:112], v106 offset0:50 offset1:51
	s_waitcnt lgkmcnt(0)
	v_mul_f64 v[69:70], v[111:112], v[71:72]
	v_fma_f64 v[69:70], v[109:110], v[125:126], -v[69:70]
	v_mul_f64 v[109:110], v[109:110], v[71:72]
	v_add_f64 v[21:22], v[21:22], -v[69:70]
	v_fma_f64 v[109:110], v[111:112], v[125:126], v[109:110]
	v_add_f64 v[23:24], v[23:24], -v[109:110]
	ds_read2_b64 v[109:112], v106 offset0:52 offset1:53
	s_waitcnt lgkmcnt(0)
	v_mul_f64 v[69:70], v[111:112], v[71:72]
	v_fma_f64 v[69:70], v[109:110], v[125:126], -v[69:70]
	v_mul_f64 v[109:110], v[109:110], v[71:72]
	v_add_f64 v[17:18], v[17:18], -v[69:70]
	v_fma_f64 v[109:110], v[111:112], v[125:126], v[109:110]
	v_add_f64 v[19:20], v[19:20], -v[109:110]
	ds_read2_b64 v[109:112], v106 offset0:54 offset1:55
	s_waitcnt lgkmcnt(0)
	v_mul_f64 v[69:70], v[111:112], v[71:72]
	v_fma_f64 v[69:70], v[109:110], v[125:126], -v[69:70]
	v_mul_f64 v[109:110], v[109:110], v[71:72]
	v_add_f64 v[13:14], v[13:14], -v[69:70]
	v_fma_f64 v[109:110], v[111:112], v[125:126], v[109:110]
	v_add_f64 v[15:16], v[15:16], -v[109:110]
	ds_read2_b64 v[109:112], v106 offset0:56 offset1:57
	s_waitcnt lgkmcnt(0)
	v_mul_f64 v[69:70], v[111:112], v[71:72]
	v_fma_f64 v[69:70], v[109:110], v[125:126], -v[69:70]
	v_mul_f64 v[109:110], v[109:110], v[71:72]
	v_add_f64 v[9:10], v[9:10], -v[69:70]
	v_fma_f64 v[109:110], v[111:112], v[125:126], v[109:110]
	v_add_f64 v[11:12], v[11:12], -v[109:110]
	ds_read2_b64 v[109:112], v106 offset0:58 offset1:59
	s_waitcnt lgkmcnt(0)
	v_mul_f64 v[69:70], v[111:112], v[71:72]
	v_fma_f64 v[69:70], v[109:110], v[125:126], -v[69:70]
	v_mul_f64 v[109:110], v[109:110], v[71:72]
	v_add_f64 v[5:6], v[5:6], -v[69:70]
	v_fma_f64 v[109:110], v[111:112], v[125:126], v[109:110]
	v_add_f64 v[7:8], v[7:8], -v[109:110]
	ds_read2_b64 v[109:112], v106 offset0:60 offset1:61
	s_waitcnt lgkmcnt(0)
	v_mul_f64 v[69:70], v[111:112], v[71:72]
	v_fma_f64 v[69:70], v[109:110], v[125:126], -v[69:70]
	v_mul_f64 v[109:110], v[109:110], v[71:72]
	v_add_f64 v[1:2], v[1:2], -v[69:70]
	v_fma_f64 v[109:110], v[111:112], v[125:126], v[109:110]
	v_add_f64 v[3:4], v[3:4], -v[109:110]
	ds_read2_b64 v[109:112], v106 offset0:62 offset1:63
	s_waitcnt lgkmcnt(0)
	v_mul_f64 v[69:70], v[111:112], v[71:72]
	v_fma_f64 v[69:70], v[109:110], v[125:126], -v[69:70]
	v_mul_f64 v[109:110], v[109:110], v[71:72]
	v_add_f64 v[85:86], v[85:86], -v[69:70]
	v_fma_f64 v[109:110], v[111:112], v[125:126], v[109:110]
	v_mov_b32_e32 v69, v125
	v_mov_b32_e32 v70, v126
	v_add_f64 v[87:88], v[87:88], -v[109:110]
.LBB62_293:
	s_or_b64 exec, exec, s[0:1]
	v_lshl_add_u32 v109, v108, 4, v106
	s_barrier
	ds_write2_b64 v109, v[65:66], v[67:68] offset1:1
	s_waitcnt lgkmcnt(0)
	s_barrier
	ds_read2_b64 v[121:124], v106 offset0:28 offset1:29
	s_cmp_lt_i32 s3, 16
	v_mov_b32_e32 v109, 14
	s_cbranch_scc1 .LBB62_296
; %bb.294:
	v_add_u32_e32 v110, 0xf0, v106
	s_mov_b32 s0, 15
	v_mov_b32_e32 v109, 14
.LBB62_295:                             ; =>This Inner Loop Header: Depth=1
	s_waitcnt lgkmcnt(0)
	v_cmp_gt_f64_e32 vcc, 0, v[121:122]
	v_xor_b32_e32 v115, 0x80000000, v122
	ds_read2_b64 v[111:114], v110 offset1:1
	v_xor_b32_e32 v117, 0x80000000, v124
	v_add_u32_e32 v110, 16, v110
	s_waitcnt lgkmcnt(0)
	v_xor_b32_e32 v119, 0x80000000, v114
	v_cndmask_b32_e32 v116, v122, v115, vcc
	v_cmp_gt_f64_e32 vcc, 0, v[123:124]
	v_mov_b32_e32 v115, v121
	v_cndmask_b32_e32 v118, v124, v117, vcc
	v_cmp_gt_f64_e32 vcc, 0, v[111:112]
	v_mov_b32_e32 v117, v123
	v_add_f64 v[115:116], v[115:116], v[117:118]
	v_xor_b32_e32 v117, 0x80000000, v112
	v_cndmask_b32_e32 v118, v112, v117, vcc
	v_cmp_gt_f64_e32 vcc, 0, v[113:114]
	v_mov_b32_e32 v117, v111
	v_cndmask_b32_e32 v120, v114, v119, vcc
	v_mov_b32_e32 v119, v113
	v_add_f64 v[117:118], v[117:118], v[119:120]
	v_cmp_lt_f64_e32 vcc, v[115:116], v[117:118]
	v_cndmask_b32_e32 v121, v121, v111, vcc
	v_mov_b32_e32 v111, s0
	s_add_i32 s0, s0, 1
	v_cndmask_b32_e32 v122, v122, v112, vcc
	v_cndmask_b32_e32 v124, v124, v114, vcc
	;; [unrolled: 1-line block ×4, first 2 shown]
	s_cmp_lg_u32 s3, s0
	s_cbranch_scc1 .LBB62_295
.LBB62_296:
	s_waitcnt lgkmcnt(0)
	v_cmp_eq_f64_e32 vcc, 0, v[121:122]
	v_cmp_eq_f64_e64 s[0:1], 0, v[123:124]
	s_and_b64 s[0:1], vcc, s[0:1]
	s_and_saveexec_b64 s[18:19], s[0:1]
	s_xor_b64 s[0:1], exec, s[18:19]
; %bb.297:
	v_cmp_ne_u32_e32 vcc, 0, v107
	v_cndmask_b32_e32 v107, 15, v107, vcc
; %bb.298:
	s_andn2_saveexec_b64 s[0:1], s[0:1]
	s_cbranch_execz .LBB62_304
; %bb.299:
	v_cmp_ngt_f64_e64 s[18:19], |v[121:122]|, |v[123:124]|
	s_and_saveexec_b64 s[20:21], s[18:19]
	s_xor_b64 s[18:19], exec, s[20:21]
	s_cbranch_execz .LBB62_301
; %bb.300:
	v_div_scale_f64 v[110:111], s[20:21], v[123:124], v[123:124], v[121:122]
	v_rcp_f64_e32 v[112:113], v[110:111]
	v_fma_f64 v[114:115], -v[110:111], v[112:113], 1.0
	v_fma_f64 v[112:113], v[112:113], v[114:115], v[112:113]
	v_div_scale_f64 v[114:115], vcc, v[121:122], v[123:124], v[121:122]
	v_fma_f64 v[116:117], -v[110:111], v[112:113], 1.0
	v_fma_f64 v[112:113], v[112:113], v[116:117], v[112:113]
	v_mul_f64 v[116:117], v[114:115], v[112:113]
	v_fma_f64 v[110:111], -v[110:111], v[116:117], v[114:115]
	v_div_fmas_f64 v[110:111], v[110:111], v[112:113], v[116:117]
	v_div_fixup_f64 v[110:111], v[110:111], v[123:124], v[121:122]
	v_fma_f64 v[112:113], v[121:122], v[110:111], v[123:124]
	v_div_scale_f64 v[114:115], s[20:21], v[112:113], v[112:113], 1.0
	v_div_scale_f64 v[120:121], vcc, 1.0, v[112:113], 1.0
	v_rcp_f64_e32 v[116:117], v[114:115]
	v_fma_f64 v[118:119], -v[114:115], v[116:117], 1.0
	v_fma_f64 v[116:117], v[116:117], v[118:119], v[116:117]
	v_fma_f64 v[118:119], -v[114:115], v[116:117], 1.0
	v_fma_f64 v[116:117], v[116:117], v[118:119], v[116:117]
	v_mul_f64 v[118:119], v[120:121], v[116:117]
	v_fma_f64 v[114:115], -v[114:115], v[118:119], v[120:121]
	v_div_fmas_f64 v[114:115], v[114:115], v[116:117], v[118:119]
	v_div_fixup_f64 v[123:124], v[114:115], v[112:113], 1.0
	v_mul_f64 v[121:122], v[110:111], v[123:124]
	v_xor_b32_e32 v124, 0x80000000, v124
.LBB62_301:
	s_andn2_saveexec_b64 s[18:19], s[18:19]
	s_cbranch_execz .LBB62_303
; %bb.302:
	v_div_scale_f64 v[110:111], s[20:21], v[121:122], v[121:122], v[123:124]
	v_rcp_f64_e32 v[112:113], v[110:111]
	v_fma_f64 v[114:115], -v[110:111], v[112:113], 1.0
	v_fma_f64 v[112:113], v[112:113], v[114:115], v[112:113]
	v_div_scale_f64 v[114:115], vcc, v[123:124], v[121:122], v[123:124]
	v_fma_f64 v[116:117], -v[110:111], v[112:113], 1.0
	v_fma_f64 v[112:113], v[112:113], v[116:117], v[112:113]
	v_mul_f64 v[116:117], v[114:115], v[112:113]
	v_fma_f64 v[110:111], -v[110:111], v[116:117], v[114:115]
	v_div_fmas_f64 v[110:111], v[110:111], v[112:113], v[116:117]
	v_div_fixup_f64 v[110:111], v[110:111], v[121:122], v[123:124]
	v_fma_f64 v[112:113], v[123:124], v[110:111], v[121:122]
	v_div_scale_f64 v[114:115], s[20:21], v[112:113], v[112:113], 1.0
	v_div_scale_f64 v[120:121], vcc, 1.0, v[112:113], 1.0
	v_rcp_f64_e32 v[116:117], v[114:115]
	v_fma_f64 v[118:119], -v[114:115], v[116:117], 1.0
	v_fma_f64 v[116:117], v[116:117], v[118:119], v[116:117]
	v_fma_f64 v[118:119], -v[114:115], v[116:117], 1.0
	v_fma_f64 v[116:117], v[116:117], v[118:119], v[116:117]
	v_mul_f64 v[118:119], v[120:121], v[116:117]
	v_fma_f64 v[114:115], -v[114:115], v[118:119], v[120:121]
	v_div_fmas_f64 v[114:115], v[114:115], v[116:117], v[118:119]
	v_div_fixup_f64 v[121:122], v[114:115], v[112:113], 1.0
	v_mul_f64 v[123:124], v[110:111], -v[121:122]
.LBB62_303:
	s_or_b64 exec, exec, s[18:19]
.LBB62_304:
	s_or_b64 exec, exec, s[0:1]
	v_cmp_ne_u32_e32 vcc, v108, v109
	s_and_saveexec_b64 s[0:1], vcc
	s_xor_b64 s[0:1], exec, s[0:1]
	s_cbranch_execz .LBB62_310
; %bb.305:
	v_cmp_eq_u32_e32 vcc, 14, v108
	s_and_saveexec_b64 s[18:19], vcc
	s_cbranch_execz .LBB62_309
; %bb.306:
	v_cmp_ne_u32_e32 vcc, 14, v109
	s_xor_b64 s[20:21], s[6:7], -1
	s_and_b64 s[22:23], s[20:21], vcc
	s_and_saveexec_b64 s[20:21], s[22:23]
	s_cbranch_execz .LBB62_308
; %bb.307:
	buffer_load_dword v112, off, s[24:27], 0 offset:64 ; 4-byte Folded Reload
	buffer_load_dword v113, off, s[24:27], 0 offset:68 ; 4-byte Folded Reload
	v_ashrrev_i32_e32 v110, 31, v109
	v_lshlrev_b64 v[110:111], 2, v[109:110]
	s_waitcnt vmcnt(1)
	v_add_co_u32_e32 v110, vcc, v112, v110
	s_waitcnt vmcnt(0)
	v_addc_co_u32_e32 v111, vcc, v113, v111, vcc
	global_load_dword v0, v[110:111], off
	global_load_dword v108, v[112:113], off offset:56
	s_waitcnt vmcnt(1)
	global_store_dword v[112:113], v0, off offset:56
	s_waitcnt vmcnt(1)
	global_store_dword v[110:111], v108, off
.LBB62_308:
	s_or_b64 exec, exec, s[20:21]
	v_mov_b32_e32 v108, v109
	v_mov_b32_e32 v0, v109
.LBB62_309:
	s_or_b64 exec, exec, s[18:19]
.LBB62_310:
	s_andn2_saveexec_b64 s[0:1], s[0:1]
	s_cbranch_execz .LBB62_312
; %bb.311:
	v_mov_b32_e32 v108, 14
	ds_write2_b64 v106, v[61:62], v[63:64] offset0:30 offset1:31
	ds_write2_b64 v106, v[57:58], v[59:60] offset0:32 offset1:33
	ds_write2_b64 v106, v[53:54], v[55:56] offset0:34 offset1:35
	ds_write2_b64 v106, v[49:50], v[51:52] offset0:36 offset1:37
	ds_write2_b64 v106, v[45:46], v[47:48] offset0:38 offset1:39
	ds_write2_b64 v106, v[41:42], v[43:44] offset0:40 offset1:41
	ds_write2_b64 v106, v[37:38], v[39:40] offset0:42 offset1:43
	ds_write2_b64 v106, v[33:34], v[35:36] offset0:44 offset1:45
	ds_write2_b64 v106, v[29:30], v[31:32] offset0:46 offset1:47
	ds_write2_b64 v106, v[25:26], v[27:28] offset0:48 offset1:49
	ds_write2_b64 v106, v[21:22], v[23:24] offset0:50 offset1:51
	ds_write2_b64 v106, v[17:18], v[19:20] offset0:52 offset1:53
	ds_write2_b64 v106, v[13:14], v[15:16] offset0:54 offset1:55
	ds_write2_b64 v106, v[9:10], v[11:12] offset0:56 offset1:57
	ds_write2_b64 v106, v[5:6], v[7:8] offset0:58 offset1:59
	ds_write2_b64 v106, v[1:2], v[3:4] offset0:60 offset1:61
	ds_write2_b64 v106, v[85:86], v[87:88] offset0:62 offset1:63
.LBB62_312:
	s_or_b64 exec, exec, s[0:1]
	v_cmp_lt_i32_e32 vcc, 14, v108
	s_waitcnt vmcnt(0) lgkmcnt(0)
	s_barrier
	s_and_saveexec_b64 s[0:1], vcc
	s_cbranch_execz .LBB62_314
; %bb.313:
	v_mul_f64 v[109:110], v[123:124], v[67:68]
	v_mul_f64 v[67:68], v[121:122], v[67:68]
	v_fma_f64 v[125:126], v[121:122], v[65:66], -v[109:110]
	v_fma_f64 v[67:68], v[123:124], v[65:66], v[67:68]
	ds_read2_b64 v[109:112], v106 offset0:30 offset1:31
	s_waitcnt lgkmcnt(0)
	v_mul_f64 v[65:66], v[111:112], v[67:68]
	v_fma_f64 v[65:66], v[109:110], v[125:126], -v[65:66]
	v_mul_f64 v[109:110], v[109:110], v[67:68]
	v_add_f64 v[61:62], v[61:62], -v[65:66]
	v_fma_f64 v[109:110], v[111:112], v[125:126], v[109:110]
	v_add_f64 v[63:64], v[63:64], -v[109:110]
	ds_read2_b64 v[109:112], v106 offset0:32 offset1:33
	s_waitcnt lgkmcnt(0)
	v_mul_f64 v[65:66], v[111:112], v[67:68]
	v_fma_f64 v[65:66], v[109:110], v[125:126], -v[65:66]
	v_mul_f64 v[109:110], v[109:110], v[67:68]
	v_add_f64 v[57:58], v[57:58], -v[65:66]
	v_fma_f64 v[109:110], v[111:112], v[125:126], v[109:110]
	v_add_f64 v[59:60], v[59:60], -v[109:110]
	;; [unrolled: 8-line block ×16, first 2 shown]
	ds_read2_b64 v[109:112], v106 offset0:62 offset1:63
	s_waitcnt lgkmcnt(0)
	v_mul_f64 v[65:66], v[111:112], v[67:68]
	v_fma_f64 v[65:66], v[109:110], v[125:126], -v[65:66]
	v_mul_f64 v[109:110], v[109:110], v[67:68]
	v_add_f64 v[85:86], v[85:86], -v[65:66]
	v_fma_f64 v[109:110], v[111:112], v[125:126], v[109:110]
	v_mov_b32_e32 v65, v125
	v_mov_b32_e32 v66, v126
	v_add_f64 v[87:88], v[87:88], -v[109:110]
.LBB62_314:
	s_or_b64 exec, exec, s[0:1]
	v_lshl_add_u32 v109, v108, 4, v106
	s_barrier
	ds_write2_b64 v109, v[61:62], v[63:64] offset1:1
	s_waitcnt lgkmcnt(0)
	s_barrier
	ds_read2_b64 v[121:124], v106 offset0:30 offset1:31
	s_cmp_lt_i32 s3, 17
	v_mov_b32_e32 v109, 15
	s_cbranch_scc1 .LBB62_317
; %bb.315:
	v_add_u32_e32 v110, 0x100, v106
	s_mov_b32 s0, 16
	v_mov_b32_e32 v109, 15
.LBB62_316:                             ; =>This Inner Loop Header: Depth=1
	s_waitcnt lgkmcnt(0)
	v_cmp_gt_f64_e32 vcc, 0, v[121:122]
	v_xor_b32_e32 v115, 0x80000000, v122
	ds_read2_b64 v[111:114], v110 offset1:1
	v_xor_b32_e32 v117, 0x80000000, v124
	v_add_u32_e32 v110, 16, v110
	s_waitcnt lgkmcnt(0)
	v_xor_b32_e32 v119, 0x80000000, v114
	v_cndmask_b32_e32 v116, v122, v115, vcc
	v_cmp_gt_f64_e32 vcc, 0, v[123:124]
	v_mov_b32_e32 v115, v121
	v_cndmask_b32_e32 v118, v124, v117, vcc
	v_cmp_gt_f64_e32 vcc, 0, v[111:112]
	v_mov_b32_e32 v117, v123
	v_add_f64 v[115:116], v[115:116], v[117:118]
	v_xor_b32_e32 v117, 0x80000000, v112
	v_cndmask_b32_e32 v118, v112, v117, vcc
	v_cmp_gt_f64_e32 vcc, 0, v[113:114]
	v_mov_b32_e32 v117, v111
	v_cndmask_b32_e32 v120, v114, v119, vcc
	v_mov_b32_e32 v119, v113
	v_add_f64 v[117:118], v[117:118], v[119:120]
	v_cmp_lt_f64_e32 vcc, v[115:116], v[117:118]
	v_cndmask_b32_e32 v121, v121, v111, vcc
	v_mov_b32_e32 v111, s0
	s_add_i32 s0, s0, 1
	v_cndmask_b32_e32 v122, v122, v112, vcc
	v_cndmask_b32_e32 v124, v124, v114, vcc
	;; [unrolled: 1-line block ×4, first 2 shown]
	s_cmp_lg_u32 s3, s0
	s_cbranch_scc1 .LBB62_316
.LBB62_317:
	s_waitcnt lgkmcnt(0)
	v_cmp_eq_f64_e32 vcc, 0, v[121:122]
	v_cmp_eq_f64_e64 s[0:1], 0, v[123:124]
	s_and_b64 s[0:1], vcc, s[0:1]
	s_and_saveexec_b64 s[18:19], s[0:1]
	s_xor_b64 s[0:1], exec, s[18:19]
; %bb.318:
	v_cmp_ne_u32_e32 vcc, 0, v107
	v_cndmask_b32_e32 v107, 16, v107, vcc
; %bb.319:
	s_andn2_saveexec_b64 s[0:1], s[0:1]
	s_cbranch_execz .LBB62_325
; %bb.320:
	v_cmp_ngt_f64_e64 s[18:19], |v[121:122]|, |v[123:124]|
	s_and_saveexec_b64 s[20:21], s[18:19]
	s_xor_b64 s[18:19], exec, s[20:21]
	s_cbranch_execz .LBB62_322
; %bb.321:
	v_div_scale_f64 v[110:111], s[20:21], v[123:124], v[123:124], v[121:122]
	v_rcp_f64_e32 v[112:113], v[110:111]
	v_fma_f64 v[114:115], -v[110:111], v[112:113], 1.0
	v_fma_f64 v[112:113], v[112:113], v[114:115], v[112:113]
	v_div_scale_f64 v[114:115], vcc, v[121:122], v[123:124], v[121:122]
	v_fma_f64 v[116:117], -v[110:111], v[112:113], 1.0
	v_fma_f64 v[112:113], v[112:113], v[116:117], v[112:113]
	v_mul_f64 v[116:117], v[114:115], v[112:113]
	v_fma_f64 v[110:111], -v[110:111], v[116:117], v[114:115]
	v_div_fmas_f64 v[110:111], v[110:111], v[112:113], v[116:117]
	v_div_fixup_f64 v[110:111], v[110:111], v[123:124], v[121:122]
	v_fma_f64 v[112:113], v[121:122], v[110:111], v[123:124]
	v_div_scale_f64 v[114:115], s[20:21], v[112:113], v[112:113], 1.0
	v_div_scale_f64 v[120:121], vcc, 1.0, v[112:113], 1.0
	v_rcp_f64_e32 v[116:117], v[114:115]
	v_fma_f64 v[118:119], -v[114:115], v[116:117], 1.0
	v_fma_f64 v[116:117], v[116:117], v[118:119], v[116:117]
	v_fma_f64 v[118:119], -v[114:115], v[116:117], 1.0
	v_fma_f64 v[116:117], v[116:117], v[118:119], v[116:117]
	v_mul_f64 v[118:119], v[120:121], v[116:117]
	v_fma_f64 v[114:115], -v[114:115], v[118:119], v[120:121]
	v_div_fmas_f64 v[114:115], v[114:115], v[116:117], v[118:119]
	v_div_fixup_f64 v[123:124], v[114:115], v[112:113], 1.0
	v_mul_f64 v[121:122], v[110:111], v[123:124]
	v_xor_b32_e32 v124, 0x80000000, v124
.LBB62_322:
	s_andn2_saveexec_b64 s[18:19], s[18:19]
	s_cbranch_execz .LBB62_324
; %bb.323:
	v_div_scale_f64 v[110:111], s[20:21], v[121:122], v[121:122], v[123:124]
	v_rcp_f64_e32 v[112:113], v[110:111]
	v_fma_f64 v[114:115], -v[110:111], v[112:113], 1.0
	v_fma_f64 v[112:113], v[112:113], v[114:115], v[112:113]
	v_div_scale_f64 v[114:115], vcc, v[123:124], v[121:122], v[123:124]
	v_fma_f64 v[116:117], -v[110:111], v[112:113], 1.0
	v_fma_f64 v[112:113], v[112:113], v[116:117], v[112:113]
	v_mul_f64 v[116:117], v[114:115], v[112:113]
	v_fma_f64 v[110:111], -v[110:111], v[116:117], v[114:115]
	v_div_fmas_f64 v[110:111], v[110:111], v[112:113], v[116:117]
	v_div_fixup_f64 v[110:111], v[110:111], v[121:122], v[123:124]
	v_fma_f64 v[112:113], v[123:124], v[110:111], v[121:122]
	v_div_scale_f64 v[114:115], s[20:21], v[112:113], v[112:113], 1.0
	v_div_scale_f64 v[120:121], vcc, 1.0, v[112:113], 1.0
	v_rcp_f64_e32 v[116:117], v[114:115]
	v_fma_f64 v[118:119], -v[114:115], v[116:117], 1.0
	v_fma_f64 v[116:117], v[116:117], v[118:119], v[116:117]
	v_fma_f64 v[118:119], -v[114:115], v[116:117], 1.0
	v_fma_f64 v[116:117], v[116:117], v[118:119], v[116:117]
	v_mul_f64 v[118:119], v[120:121], v[116:117]
	v_fma_f64 v[114:115], -v[114:115], v[118:119], v[120:121]
	v_div_fmas_f64 v[114:115], v[114:115], v[116:117], v[118:119]
	v_div_fixup_f64 v[121:122], v[114:115], v[112:113], 1.0
	v_mul_f64 v[123:124], v[110:111], -v[121:122]
.LBB62_324:
	s_or_b64 exec, exec, s[18:19]
.LBB62_325:
	s_or_b64 exec, exec, s[0:1]
	v_cmp_ne_u32_e32 vcc, v108, v109
	s_and_saveexec_b64 s[0:1], vcc
	s_xor_b64 s[0:1], exec, s[0:1]
	s_cbranch_execz .LBB62_331
; %bb.326:
	v_cmp_eq_u32_e32 vcc, 15, v108
	s_and_saveexec_b64 s[18:19], vcc
	s_cbranch_execz .LBB62_330
; %bb.327:
	v_cmp_ne_u32_e32 vcc, 15, v109
	s_xor_b64 s[20:21], s[6:7], -1
	s_and_b64 s[22:23], s[20:21], vcc
	s_and_saveexec_b64 s[20:21], s[22:23]
	s_cbranch_execz .LBB62_329
; %bb.328:
	buffer_load_dword v112, off, s[24:27], 0 offset:64 ; 4-byte Folded Reload
	buffer_load_dword v113, off, s[24:27], 0 offset:68 ; 4-byte Folded Reload
	v_ashrrev_i32_e32 v110, 31, v109
	v_lshlrev_b64 v[110:111], 2, v[109:110]
	s_waitcnt vmcnt(1)
	v_add_co_u32_e32 v110, vcc, v112, v110
	s_waitcnt vmcnt(0)
	v_addc_co_u32_e32 v111, vcc, v113, v111, vcc
	global_load_dword v0, v[110:111], off
	global_load_dword v108, v[112:113], off offset:60
	s_waitcnt vmcnt(1)
	global_store_dword v[112:113], v0, off offset:60
	s_waitcnt vmcnt(1)
	global_store_dword v[110:111], v108, off
.LBB62_329:
	s_or_b64 exec, exec, s[20:21]
	v_mov_b32_e32 v108, v109
	v_mov_b32_e32 v0, v109
.LBB62_330:
	s_or_b64 exec, exec, s[18:19]
.LBB62_331:
	s_andn2_saveexec_b64 s[0:1], s[0:1]
	s_cbranch_execz .LBB62_333
; %bb.332:
	v_mov_b32_e32 v108, 15
	ds_write2_b64 v106, v[57:58], v[59:60] offset0:32 offset1:33
	ds_write2_b64 v106, v[53:54], v[55:56] offset0:34 offset1:35
	;; [unrolled: 1-line block ×16, first 2 shown]
.LBB62_333:
	s_or_b64 exec, exec, s[0:1]
	v_cmp_lt_i32_e32 vcc, 15, v108
	s_waitcnt vmcnt(0) lgkmcnt(0)
	s_barrier
	s_and_saveexec_b64 s[0:1], vcc
	s_cbranch_execz .LBB62_335
; %bb.334:
	v_mul_f64 v[109:110], v[121:122], v[63:64]
	v_mul_f64 v[63:64], v[123:124], v[63:64]
	v_fma_f64 v[125:126], v[123:124], v[61:62], v[109:110]
	ds_read2_b64 v[109:112], v106 offset0:32 offset1:33
	v_fma_f64 v[61:62], v[121:122], v[61:62], -v[63:64]
	s_waitcnt lgkmcnt(0)
	v_mul_f64 v[63:64], v[111:112], v[125:126]
	v_fma_f64 v[63:64], v[109:110], v[61:62], -v[63:64]
	v_mul_f64 v[109:110], v[109:110], v[125:126]
	v_add_f64 v[57:58], v[57:58], -v[63:64]
	v_fma_f64 v[109:110], v[111:112], v[61:62], v[109:110]
	v_add_f64 v[59:60], v[59:60], -v[109:110]
	ds_read2_b64 v[109:112], v106 offset0:34 offset1:35
	s_waitcnt lgkmcnt(0)
	v_mul_f64 v[63:64], v[111:112], v[125:126]
	v_fma_f64 v[63:64], v[109:110], v[61:62], -v[63:64]
	v_mul_f64 v[109:110], v[109:110], v[125:126]
	v_add_f64 v[53:54], v[53:54], -v[63:64]
	v_fma_f64 v[109:110], v[111:112], v[61:62], v[109:110]
	v_add_f64 v[55:56], v[55:56], -v[109:110]
	ds_read2_b64 v[109:112], v106 offset0:36 offset1:37
	s_waitcnt lgkmcnt(0)
	v_mul_f64 v[63:64], v[111:112], v[125:126]
	v_fma_f64 v[63:64], v[109:110], v[61:62], -v[63:64]
	v_mul_f64 v[109:110], v[109:110], v[125:126]
	v_add_f64 v[49:50], v[49:50], -v[63:64]
	v_fma_f64 v[109:110], v[111:112], v[61:62], v[109:110]
	v_add_f64 v[51:52], v[51:52], -v[109:110]
	ds_read2_b64 v[109:112], v106 offset0:38 offset1:39
	s_waitcnt lgkmcnt(0)
	v_mul_f64 v[63:64], v[111:112], v[125:126]
	v_fma_f64 v[63:64], v[109:110], v[61:62], -v[63:64]
	v_mul_f64 v[109:110], v[109:110], v[125:126]
	v_add_f64 v[45:46], v[45:46], -v[63:64]
	v_fma_f64 v[109:110], v[111:112], v[61:62], v[109:110]
	v_add_f64 v[47:48], v[47:48], -v[109:110]
	ds_read2_b64 v[109:112], v106 offset0:40 offset1:41
	s_waitcnt lgkmcnt(0)
	v_mul_f64 v[63:64], v[111:112], v[125:126]
	v_fma_f64 v[63:64], v[109:110], v[61:62], -v[63:64]
	v_mul_f64 v[109:110], v[109:110], v[125:126]
	v_add_f64 v[41:42], v[41:42], -v[63:64]
	v_fma_f64 v[109:110], v[111:112], v[61:62], v[109:110]
	v_add_f64 v[43:44], v[43:44], -v[109:110]
	ds_read2_b64 v[109:112], v106 offset0:42 offset1:43
	s_waitcnt lgkmcnt(0)
	v_mul_f64 v[63:64], v[111:112], v[125:126]
	v_fma_f64 v[63:64], v[109:110], v[61:62], -v[63:64]
	v_mul_f64 v[109:110], v[109:110], v[125:126]
	v_add_f64 v[37:38], v[37:38], -v[63:64]
	v_fma_f64 v[109:110], v[111:112], v[61:62], v[109:110]
	v_add_f64 v[39:40], v[39:40], -v[109:110]
	ds_read2_b64 v[109:112], v106 offset0:44 offset1:45
	s_waitcnt lgkmcnt(0)
	v_mul_f64 v[63:64], v[111:112], v[125:126]
	v_fma_f64 v[63:64], v[109:110], v[61:62], -v[63:64]
	v_mul_f64 v[109:110], v[109:110], v[125:126]
	v_add_f64 v[33:34], v[33:34], -v[63:64]
	v_fma_f64 v[109:110], v[111:112], v[61:62], v[109:110]
	v_add_f64 v[35:36], v[35:36], -v[109:110]
	ds_read2_b64 v[109:112], v106 offset0:46 offset1:47
	s_waitcnt lgkmcnt(0)
	v_mul_f64 v[63:64], v[111:112], v[125:126]
	v_fma_f64 v[63:64], v[109:110], v[61:62], -v[63:64]
	v_mul_f64 v[109:110], v[109:110], v[125:126]
	v_add_f64 v[29:30], v[29:30], -v[63:64]
	v_fma_f64 v[109:110], v[111:112], v[61:62], v[109:110]
	v_add_f64 v[31:32], v[31:32], -v[109:110]
	ds_read2_b64 v[109:112], v106 offset0:48 offset1:49
	s_waitcnt lgkmcnt(0)
	v_mul_f64 v[63:64], v[111:112], v[125:126]
	v_fma_f64 v[63:64], v[109:110], v[61:62], -v[63:64]
	v_mul_f64 v[109:110], v[109:110], v[125:126]
	v_add_f64 v[25:26], v[25:26], -v[63:64]
	v_fma_f64 v[109:110], v[111:112], v[61:62], v[109:110]
	v_add_f64 v[27:28], v[27:28], -v[109:110]
	ds_read2_b64 v[109:112], v106 offset0:50 offset1:51
	s_waitcnt lgkmcnt(0)
	v_mul_f64 v[63:64], v[111:112], v[125:126]
	v_fma_f64 v[63:64], v[109:110], v[61:62], -v[63:64]
	v_mul_f64 v[109:110], v[109:110], v[125:126]
	v_add_f64 v[21:22], v[21:22], -v[63:64]
	v_fma_f64 v[109:110], v[111:112], v[61:62], v[109:110]
	v_add_f64 v[23:24], v[23:24], -v[109:110]
	ds_read2_b64 v[109:112], v106 offset0:52 offset1:53
	s_waitcnt lgkmcnt(0)
	v_mul_f64 v[63:64], v[111:112], v[125:126]
	v_fma_f64 v[63:64], v[109:110], v[61:62], -v[63:64]
	v_mul_f64 v[109:110], v[109:110], v[125:126]
	v_add_f64 v[17:18], v[17:18], -v[63:64]
	v_fma_f64 v[109:110], v[111:112], v[61:62], v[109:110]
	v_add_f64 v[19:20], v[19:20], -v[109:110]
	ds_read2_b64 v[109:112], v106 offset0:54 offset1:55
	s_waitcnt lgkmcnt(0)
	v_mul_f64 v[63:64], v[111:112], v[125:126]
	v_fma_f64 v[63:64], v[109:110], v[61:62], -v[63:64]
	v_mul_f64 v[109:110], v[109:110], v[125:126]
	v_add_f64 v[13:14], v[13:14], -v[63:64]
	v_fma_f64 v[109:110], v[111:112], v[61:62], v[109:110]
	v_add_f64 v[15:16], v[15:16], -v[109:110]
	ds_read2_b64 v[109:112], v106 offset0:56 offset1:57
	s_waitcnt lgkmcnt(0)
	v_mul_f64 v[63:64], v[111:112], v[125:126]
	v_fma_f64 v[63:64], v[109:110], v[61:62], -v[63:64]
	v_mul_f64 v[109:110], v[109:110], v[125:126]
	v_add_f64 v[9:10], v[9:10], -v[63:64]
	v_fma_f64 v[109:110], v[111:112], v[61:62], v[109:110]
	v_add_f64 v[11:12], v[11:12], -v[109:110]
	ds_read2_b64 v[109:112], v106 offset0:58 offset1:59
	s_waitcnt lgkmcnt(0)
	v_mul_f64 v[63:64], v[111:112], v[125:126]
	v_fma_f64 v[63:64], v[109:110], v[61:62], -v[63:64]
	v_mul_f64 v[109:110], v[109:110], v[125:126]
	v_add_f64 v[5:6], v[5:6], -v[63:64]
	v_fma_f64 v[109:110], v[111:112], v[61:62], v[109:110]
	v_add_f64 v[7:8], v[7:8], -v[109:110]
	ds_read2_b64 v[109:112], v106 offset0:60 offset1:61
	s_waitcnt lgkmcnt(0)
	v_mul_f64 v[63:64], v[111:112], v[125:126]
	v_fma_f64 v[63:64], v[109:110], v[61:62], -v[63:64]
	v_mul_f64 v[109:110], v[109:110], v[125:126]
	v_add_f64 v[1:2], v[1:2], -v[63:64]
	v_fma_f64 v[109:110], v[111:112], v[61:62], v[109:110]
	v_add_f64 v[3:4], v[3:4], -v[109:110]
	ds_read2_b64 v[109:112], v106 offset0:62 offset1:63
	s_waitcnt lgkmcnt(0)
	v_mul_f64 v[63:64], v[111:112], v[125:126]
	v_fma_f64 v[63:64], v[109:110], v[61:62], -v[63:64]
	v_mul_f64 v[109:110], v[109:110], v[125:126]
	v_add_f64 v[85:86], v[85:86], -v[63:64]
	v_fma_f64 v[109:110], v[111:112], v[61:62], v[109:110]
	v_mov_b32_e32 v63, v125
	v_mov_b32_e32 v64, v126
	v_add_f64 v[87:88], v[87:88], -v[109:110]
.LBB62_335:
	s_or_b64 exec, exec, s[0:1]
	v_lshl_add_u32 v109, v108, 4, v106
	s_barrier
	ds_write2_b64 v109, v[57:58], v[59:60] offset1:1
	s_waitcnt lgkmcnt(0)
	s_barrier
	ds_read2_b64 v[121:124], v106 offset0:32 offset1:33
	s_cmp_lt_i32 s3, 18
	v_mov_b32_e32 v109, 16
	s_cbranch_scc1 .LBB62_338
; %bb.336:
	v_add_u32_e32 v110, 0x110, v106
	s_mov_b32 s0, 17
	v_mov_b32_e32 v109, 16
.LBB62_337:                             ; =>This Inner Loop Header: Depth=1
	s_waitcnt lgkmcnt(0)
	v_cmp_gt_f64_e32 vcc, 0, v[121:122]
	v_xor_b32_e32 v115, 0x80000000, v122
	ds_read2_b64 v[111:114], v110 offset1:1
	v_xor_b32_e32 v117, 0x80000000, v124
	v_add_u32_e32 v110, 16, v110
	s_waitcnt lgkmcnt(0)
	v_xor_b32_e32 v119, 0x80000000, v114
	v_cndmask_b32_e32 v116, v122, v115, vcc
	v_cmp_gt_f64_e32 vcc, 0, v[123:124]
	v_mov_b32_e32 v115, v121
	v_cndmask_b32_e32 v118, v124, v117, vcc
	v_cmp_gt_f64_e32 vcc, 0, v[111:112]
	v_mov_b32_e32 v117, v123
	v_add_f64 v[115:116], v[115:116], v[117:118]
	v_xor_b32_e32 v117, 0x80000000, v112
	v_cndmask_b32_e32 v118, v112, v117, vcc
	v_cmp_gt_f64_e32 vcc, 0, v[113:114]
	v_mov_b32_e32 v117, v111
	v_cndmask_b32_e32 v120, v114, v119, vcc
	v_mov_b32_e32 v119, v113
	v_add_f64 v[117:118], v[117:118], v[119:120]
	v_cmp_lt_f64_e32 vcc, v[115:116], v[117:118]
	v_cndmask_b32_e32 v121, v121, v111, vcc
	v_mov_b32_e32 v111, s0
	s_add_i32 s0, s0, 1
	v_cndmask_b32_e32 v122, v122, v112, vcc
	v_cndmask_b32_e32 v124, v124, v114, vcc
	;; [unrolled: 1-line block ×4, first 2 shown]
	s_cmp_lg_u32 s3, s0
	s_cbranch_scc1 .LBB62_337
.LBB62_338:
	s_waitcnt lgkmcnt(0)
	v_cmp_eq_f64_e32 vcc, 0, v[121:122]
	v_cmp_eq_f64_e64 s[0:1], 0, v[123:124]
	s_and_b64 s[0:1], vcc, s[0:1]
	s_and_saveexec_b64 s[18:19], s[0:1]
	s_xor_b64 s[0:1], exec, s[18:19]
; %bb.339:
	v_cmp_ne_u32_e32 vcc, 0, v107
	v_cndmask_b32_e32 v107, 17, v107, vcc
; %bb.340:
	s_andn2_saveexec_b64 s[0:1], s[0:1]
	s_cbranch_execz .LBB62_346
; %bb.341:
	v_cmp_ngt_f64_e64 s[18:19], |v[121:122]|, |v[123:124]|
	s_and_saveexec_b64 s[20:21], s[18:19]
	s_xor_b64 s[18:19], exec, s[20:21]
	s_cbranch_execz .LBB62_343
; %bb.342:
	v_div_scale_f64 v[110:111], s[20:21], v[123:124], v[123:124], v[121:122]
	v_rcp_f64_e32 v[112:113], v[110:111]
	v_fma_f64 v[114:115], -v[110:111], v[112:113], 1.0
	v_fma_f64 v[112:113], v[112:113], v[114:115], v[112:113]
	v_div_scale_f64 v[114:115], vcc, v[121:122], v[123:124], v[121:122]
	v_fma_f64 v[116:117], -v[110:111], v[112:113], 1.0
	v_fma_f64 v[112:113], v[112:113], v[116:117], v[112:113]
	v_mul_f64 v[116:117], v[114:115], v[112:113]
	v_fma_f64 v[110:111], -v[110:111], v[116:117], v[114:115]
	v_div_fmas_f64 v[110:111], v[110:111], v[112:113], v[116:117]
	v_div_fixup_f64 v[110:111], v[110:111], v[123:124], v[121:122]
	v_fma_f64 v[112:113], v[121:122], v[110:111], v[123:124]
	v_div_scale_f64 v[114:115], s[20:21], v[112:113], v[112:113], 1.0
	v_div_scale_f64 v[120:121], vcc, 1.0, v[112:113], 1.0
	v_rcp_f64_e32 v[116:117], v[114:115]
	v_fma_f64 v[118:119], -v[114:115], v[116:117], 1.0
	v_fma_f64 v[116:117], v[116:117], v[118:119], v[116:117]
	v_fma_f64 v[118:119], -v[114:115], v[116:117], 1.0
	v_fma_f64 v[116:117], v[116:117], v[118:119], v[116:117]
	v_mul_f64 v[118:119], v[120:121], v[116:117]
	v_fma_f64 v[114:115], -v[114:115], v[118:119], v[120:121]
	v_div_fmas_f64 v[114:115], v[114:115], v[116:117], v[118:119]
	v_div_fixup_f64 v[123:124], v[114:115], v[112:113], 1.0
	v_mul_f64 v[121:122], v[110:111], v[123:124]
	v_xor_b32_e32 v124, 0x80000000, v124
.LBB62_343:
	s_andn2_saveexec_b64 s[18:19], s[18:19]
	s_cbranch_execz .LBB62_345
; %bb.344:
	v_div_scale_f64 v[110:111], s[20:21], v[121:122], v[121:122], v[123:124]
	v_rcp_f64_e32 v[112:113], v[110:111]
	v_fma_f64 v[114:115], -v[110:111], v[112:113], 1.0
	v_fma_f64 v[112:113], v[112:113], v[114:115], v[112:113]
	v_div_scale_f64 v[114:115], vcc, v[123:124], v[121:122], v[123:124]
	v_fma_f64 v[116:117], -v[110:111], v[112:113], 1.0
	v_fma_f64 v[112:113], v[112:113], v[116:117], v[112:113]
	v_mul_f64 v[116:117], v[114:115], v[112:113]
	v_fma_f64 v[110:111], -v[110:111], v[116:117], v[114:115]
	v_div_fmas_f64 v[110:111], v[110:111], v[112:113], v[116:117]
	v_div_fixup_f64 v[110:111], v[110:111], v[121:122], v[123:124]
	v_fma_f64 v[112:113], v[123:124], v[110:111], v[121:122]
	v_div_scale_f64 v[114:115], s[20:21], v[112:113], v[112:113], 1.0
	v_div_scale_f64 v[120:121], vcc, 1.0, v[112:113], 1.0
	v_rcp_f64_e32 v[116:117], v[114:115]
	v_fma_f64 v[118:119], -v[114:115], v[116:117], 1.0
	v_fma_f64 v[116:117], v[116:117], v[118:119], v[116:117]
	v_fma_f64 v[118:119], -v[114:115], v[116:117], 1.0
	v_fma_f64 v[116:117], v[116:117], v[118:119], v[116:117]
	v_mul_f64 v[118:119], v[120:121], v[116:117]
	v_fma_f64 v[114:115], -v[114:115], v[118:119], v[120:121]
	v_div_fmas_f64 v[114:115], v[114:115], v[116:117], v[118:119]
	v_div_fixup_f64 v[121:122], v[114:115], v[112:113], 1.0
	v_mul_f64 v[123:124], v[110:111], -v[121:122]
.LBB62_345:
	s_or_b64 exec, exec, s[18:19]
.LBB62_346:
	s_or_b64 exec, exec, s[0:1]
	v_cmp_ne_u32_e32 vcc, v108, v109
	s_and_saveexec_b64 s[0:1], vcc
	s_xor_b64 s[0:1], exec, s[0:1]
	s_cbranch_execz .LBB62_352
; %bb.347:
	v_cmp_eq_u32_e32 vcc, 16, v108
	s_and_saveexec_b64 s[18:19], vcc
	s_cbranch_execz .LBB62_351
; %bb.348:
	v_cmp_ne_u32_e32 vcc, 16, v109
	s_xor_b64 s[20:21], s[6:7], -1
	s_and_b64 s[22:23], s[20:21], vcc
	s_and_saveexec_b64 s[20:21], s[22:23]
	s_cbranch_execz .LBB62_350
; %bb.349:
	buffer_load_dword v112, off, s[24:27], 0 offset:64 ; 4-byte Folded Reload
	buffer_load_dword v113, off, s[24:27], 0 offset:68 ; 4-byte Folded Reload
	v_ashrrev_i32_e32 v110, 31, v109
	v_lshlrev_b64 v[110:111], 2, v[109:110]
	s_waitcnt vmcnt(1)
	v_add_co_u32_e32 v110, vcc, v112, v110
	s_waitcnt vmcnt(0)
	v_addc_co_u32_e32 v111, vcc, v113, v111, vcc
	global_load_dword v0, v[110:111], off
	global_load_dword v108, v[112:113], off offset:64
	s_waitcnt vmcnt(1)
	global_store_dword v[112:113], v0, off offset:64
	s_waitcnt vmcnt(1)
	global_store_dword v[110:111], v108, off
.LBB62_350:
	s_or_b64 exec, exec, s[20:21]
	v_mov_b32_e32 v108, v109
	v_mov_b32_e32 v0, v109
.LBB62_351:
	s_or_b64 exec, exec, s[18:19]
.LBB62_352:
	s_andn2_saveexec_b64 s[0:1], s[0:1]
	s_cbranch_execz .LBB62_354
; %bb.353:
	v_mov_b32_e32 v108, 16
	ds_write2_b64 v106, v[53:54], v[55:56] offset0:34 offset1:35
	ds_write2_b64 v106, v[49:50], v[51:52] offset0:36 offset1:37
	;; [unrolled: 1-line block ×15, first 2 shown]
.LBB62_354:
	s_or_b64 exec, exec, s[0:1]
	v_cmp_lt_i32_e32 vcc, 16, v108
	s_waitcnt vmcnt(0) lgkmcnt(0)
	s_barrier
	s_and_saveexec_b64 s[0:1], vcc
	s_cbranch_execz .LBB62_356
; %bb.355:
	v_mul_f64 v[109:110], v[121:122], v[59:60]
	v_mul_f64 v[59:60], v[123:124], v[59:60]
	v_fma_f64 v[125:126], v[123:124], v[57:58], v[109:110]
	ds_read2_b64 v[109:112], v106 offset0:34 offset1:35
	v_fma_f64 v[57:58], v[121:122], v[57:58], -v[59:60]
	s_waitcnt lgkmcnt(0)
	v_mul_f64 v[59:60], v[111:112], v[125:126]
	v_fma_f64 v[59:60], v[109:110], v[57:58], -v[59:60]
	v_mul_f64 v[109:110], v[109:110], v[125:126]
	v_add_f64 v[53:54], v[53:54], -v[59:60]
	v_fma_f64 v[109:110], v[111:112], v[57:58], v[109:110]
	v_add_f64 v[55:56], v[55:56], -v[109:110]
	ds_read2_b64 v[109:112], v106 offset0:36 offset1:37
	s_waitcnt lgkmcnt(0)
	v_mul_f64 v[59:60], v[111:112], v[125:126]
	v_fma_f64 v[59:60], v[109:110], v[57:58], -v[59:60]
	v_mul_f64 v[109:110], v[109:110], v[125:126]
	v_add_f64 v[49:50], v[49:50], -v[59:60]
	v_fma_f64 v[109:110], v[111:112], v[57:58], v[109:110]
	v_add_f64 v[51:52], v[51:52], -v[109:110]
	ds_read2_b64 v[109:112], v106 offset0:38 offset1:39
	;; [unrolled: 8-line block ×14, first 2 shown]
	s_waitcnt lgkmcnt(0)
	v_mul_f64 v[59:60], v[111:112], v[125:126]
	v_fma_f64 v[59:60], v[109:110], v[57:58], -v[59:60]
	v_mul_f64 v[109:110], v[109:110], v[125:126]
	v_add_f64 v[85:86], v[85:86], -v[59:60]
	v_fma_f64 v[109:110], v[111:112], v[57:58], v[109:110]
	v_mov_b32_e32 v59, v125
	v_mov_b32_e32 v60, v126
	v_add_f64 v[87:88], v[87:88], -v[109:110]
.LBB62_356:
	s_or_b64 exec, exec, s[0:1]
	v_lshl_add_u32 v109, v108, 4, v106
	s_barrier
	ds_write2_b64 v109, v[53:54], v[55:56] offset1:1
	s_waitcnt lgkmcnt(0)
	s_barrier
	ds_read2_b64 v[121:124], v106 offset0:34 offset1:35
	s_cmp_lt_i32 s3, 19
	v_mov_b32_e32 v109, 17
	s_cbranch_scc1 .LBB62_359
; %bb.357:
	v_add_u32_e32 v110, 0x120, v106
	s_mov_b32 s0, 18
	v_mov_b32_e32 v109, 17
.LBB62_358:                             ; =>This Inner Loop Header: Depth=1
	s_waitcnt lgkmcnt(0)
	v_cmp_gt_f64_e32 vcc, 0, v[121:122]
	v_xor_b32_e32 v115, 0x80000000, v122
	ds_read2_b64 v[111:114], v110 offset1:1
	v_xor_b32_e32 v117, 0x80000000, v124
	v_add_u32_e32 v110, 16, v110
	s_waitcnt lgkmcnt(0)
	v_xor_b32_e32 v119, 0x80000000, v114
	v_cndmask_b32_e32 v116, v122, v115, vcc
	v_cmp_gt_f64_e32 vcc, 0, v[123:124]
	v_mov_b32_e32 v115, v121
	v_cndmask_b32_e32 v118, v124, v117, vcc
	v_cmp_gt_f64_e32 vcc, 0, v[111:112]
	v_mov_b32_e32 v117, v123
	v_add_f64 v[115:116], v[115:116], v[117:118]
	v_xor_b32_e32 v117, 0x80000000, v112
	v_cndmask_b32_e32 v118, v112, v117, vcc
	v_cmp_gt_f64_e32 vcc, 0, v[113:114]
	v_mov_b32_e32 v117, v111
	v_cndmask_b32_e32 v120, v114, v119, vcc
	v_mov_b32_e32 v119, v113
	v_add_f64 v[117:118], v[117:118], v[119:120]
	v_cmp_lt_f64_e32 vcc, v[115:116], v[117:118]
	v_cndmask_b32_e32 v121, v121, v111, vcc
	v_mov_b32_e32 v111, s0
	s_add_i32 s0, s0, 1
	v_cndmask_b32_e32 v122, v122, v112, vcc
	v_cndmask_b32_e32 v124, v124, v114, vcc
	;; [unrolled: 1-line block ×4, first 2 shown]
	s_cmp_lg_u32 s3, s0
	s_cbranch_scc1 .LBB62_358
.LBB62_359:
	s_waitcnt lgkmcnt(0)
	v_cmp_eq_f64_e32 vcc, 0, v[121:122]
	v_cmp_eq_f64_e64 s[0:1], 0, v[123:124]
	s_and_b64 s[0:1], vcc, s[0:1]
	s_and_saveexec_b64 s[18:19], s[0:1]
	s_xor_b64 s[0:1], exec, s[18:19]
; %bb.360:
	v_cmp_ne_u32_e32 vcc, 0, v107
	v_cndmask_b32_e32 v107, 18, v107, vcc
; %bb.361:
	s_andn2_saveexec_b64 s[0:1], s[0:1]
	s_cbranch_execz .LBB62_367
; %bb.362:
	v_cmp_ngt_f64_e64 s[18:19], |v[121:122]|, |v[123:124]|
	s_and_saveexec_b64 s[20:21], s[18:19]
	s_xor_b64 s[18:19], exec, s[20:21]
	s_cbranch_execz .LBB62_364
; %bb.363:
	v_div_scale_f64 v[110:111], s[20:21], v[123:124], v[123:124], v[121:122]
	v_rcp_f64_e32 v[112:113], v[110:111]
	v_fma_f64 v[114:115], -v[110:111], v[112:113], 1.0
	v_fma_f64 v[112:113], v[112:113], v[114:115], v[112:113]
	v_div_scale_f64 v[114:115], vcc, v[121:122], v[123:124], v[121:122]
	v_fma_f64 v[116:117], -v[110:111], v[112:113], 1.0
	v_fma_f64 v[112:113], v[112:113], v[116:117], v[112:113]
	v_mul_f64 v[116:117], v[114:115], v[112:113]
	v_fma_f64 v[110:111], -v[110:111], v[116:117], v[114:115]
	v_div_fmas_f64 v[110:111], v[110:111], v[112:113], v[116:117]
	v_div_fixup_f64 v[110:111], v[110:111], v[123:124], v[121:122]
	v_fma_f64 v[112:113], v[121:122], v[110:111], v[123:124]
	v_div_scale_f64 v[114:115], s[20:21], v[112:113], v[112:113], 1.0
	v_div_scale_f64 v[120:121], vcc, 1.0, v[112:113], 1.0
	v_rcp_f64_e32 v[116:117], v[114:115]
	v_fma_f64 v[118:119], -v[114:115], v[116:117], 1.0
	v_fma_f64 v[116:117], v[116:117], v[118:119], v[116:117]
	v_fma_f64 v[118:119], -v[114:115], v[116:117], 1.0
	v_fma_f64 v[116:117], v[116:117], v[118:119], v[116:117]
	v_mul_f64 v[118:119], v[120:121], v[116:117]
	v_fma_f64 v[114:115], -v[114:115], v[118:119], v[120:121]
	v_div_fmas_f64 v[114:115], v[114:115], v[116:117], v[118:119]
	v_div_fixup_f64 v[123:124], v[114:115], v[112:113], 1.0
	v_mul_f64 v[121:122], v[110:111], v[123:124]
	v_xor_b32_e32 v124, 0x80000000, v124
.LBB62_364:
	s_andn2_saveexec_b64 s[18:19], s[18:19]
	s_cbranch_execz .LBB62_366
; %bb.365:
	v_div_scale_f64 v[110:111], s[20:21], v[121:122], v[121:122], v[123:124]
	v_rcp_f64_e32 v[112:113], v[110:111]
	v_fma_f64 v[114:115], -v[110:111], v[112:113], 1.0
	v_fma_f64 v[112:113], v[112:113], v[114:115], v[112:113]
	v_div_scale_f64 v[114:115], vcc, v[123:124], v[121:122], v[123:124]
	v_fma_f64 v[116:117], -v[110:111], v[112:113], 1.0
	v_fma_f64 v[112:113], v[112:113], v[116:117], v[112:113]
	v_mul_f64 v[116:117], v[114:115], v[112:113]
	v_fma_f64 v[110:111], -v[110:111], v[116:117], v[114:115]
	v_div_fmas_f64 v[110:111], v[110:111], v[112:113], v[116:117]
	v_div_fixup_f64 v[110:111], v[110:111], v[121:122], v[123:124]
	v_fma_f64 v[112:113], v[123:124], v[110:111], v[121:122]
	v_div_scale_f64 v[114:115], s[20:21], v[112:113], v[112:113], 1.0
	v_div_scale_f64 v[120:121], vcc, 1.0, v[112:113], 1.0
	v_rcp_f64_e32 v[116:117], v[114:115]
	v_fma_f64 v[118:119], -v[114:115], v[116:117], 1.0
	v_fma_f64 v[116:117], v[116:117], v[118:119], v[116:117]
	v_fma_f64 v[118:119], -v[114:115], v[116:117], 1.0
	v_fma_f64 v[116:117], v[116:117], v[118:119], v[116:117]
	v_mul_f64 v[118:119], v[120:121], v[116:117]
	v_fma_f64 v[114:115], -v[114:115], v[118:119], v[120:121]
	v_div_fmas_f64 v[114:115], v[114:115], v[116:117], v[118:119]
	v_div_fixup_f64 v[121:122], v[114:115], v[112:113], 1.0
	v_mul_f64 v[123:124], v[110:111], -v[121:122]
.LBB62_366:
	s_or_b64 exec, exec, s[18:19]
.LBB62_367:
	s_or_b64 exec, exec, s[0:1]
	v_cmp_ne_u32_e32 vcc, v108, v109
	s_and_saveexec_b64 s[0:1], vcc
	s_xor_b64 s[0:1], exec, s[0:1]
	s_cbranch_execz .LBB62_373
; %bb.368:
	v_cmp_eq_u32_e32 vcc, 17, v108
	s_and_saveexec_b64 s[18:19], vcc
	s_cbranch_execz .LBB62_372
; %bb.369:
	v_cmp_ne_u32_e32 vcc, 17, v109
	s_xor_b64 s[20:21], s[6:7], -1
	s_and_b64 s[22:23], s[20:21], vcc
	s_and_saveexec_b64 s[20:21], s[22:23]
	s_cbranch_execz .LBB62_371
; %bb.370:
	buffer_load_dword v112, off, s[24:27], 0 offset:64 ; 4-byte Folded Reload
	buffer_load_dword v113, off, s[24:27], 0 offset:68 ; 4-byte Folded Reload
	v_ashrrev_i32_e32 v110, 31, v109
	v_lshlrev_b64 v[110:111], 2, v[109:110]
	s_waitcnt vmcnt(1)
	v_add_co_u32_e32 v110, vcc, v112, v110
	s_waitcnt vmcnt(0)
	v_addc_co_u32_e32 v111, vcc, v113, v111, vcc
	global_load_dword v0, v[110:111], off
	global_load_dword v108, v[112:113], off offset:68
	s_waitcnt vmcnt(1)
	global_store_dword v[112:113], v0, off offset:68
	s_waitcnt vmcnt(1)
	global_store_dword v[110:111], v108, off
.LBB62_371:
	s_or_b64 exec, exec, s[20:21]
	v_mov_b32_e32 v108, v109
	v_mov_b32_e32 v0, v109
.LBB62_372:
	s_or_b64 exec, exec, s[18:19]
.LBB62_373:
	s_andn2_saveexec_b64 s[0:1], s[0:1]
	s_cbranch_execz .LBB62_375
; %bb.374:
	v_mov_b32_e32 v108, 17
	ds_write2_b64 v106, v[49:50], v[51:52] offset0:36 offset1:37
	ds_write2_b64 v106, v[45:46], v[47:48] offset0:38 offset1:39
	;; [unrolled: 1-line block ×14, first 2 shown]
.LBB62_375:
	s_or_b64 exec, exec, s[0:1]
	v_cmp_lt_i32_e32 vcc, 17, v108
	s_waitcnt vmcnt(0) lgkmcnt(0)
	s_barrier
	s_and_saveexec_b64 s[0:1], vcc
	s_cbranch_execz .LBB62_377
; %bb.376:
	v_mul_f64 v[109:110], v[121:122], v[55:56]
	v_mul_f64 v[55:56], v[123:124], v[55:56]
	ds_read2_b64 v[111:114], v106 offset0:36 offset1:37
	v_fma_f64 v[109:110], v[123:124], v[53:54], v[109:110]
	v_fma_f64 v[53:54], v[121:122], v[53:54], -v[55:56]
	s_waitcnt lgkmcnt(0)
	v_mul_f64 v[55:56], v[113:114], v[109:110]
	v_fma_f64 v[55:56], v[111:112], v[53:54], -v[55:56]
	v_mul_f64 v[111:112], v[111:112], v[109:110]
	v_add_f64 v[49:50], v[49:50], -v[55:56]
	v_fma_f64 v[111:112], v[113:114], v[53:54], v[111:112]
	v_add_f64 v[51:52], v[51:52], -v[111:112]
	ds_read2_b64 v[111:114], v106 offset0:38 offset1:39
	s_waitcnt lgkmcnt(0)
	v_mul_f64 v[55:56], v[113:114], v[109:110]
	v_fma_f64 v[55:56], v[111:112], v[53:54], -v[55:56]
	v_mul_f64 v[111:112], v[111:112], v[109:110]
	v_add_f64 v[45:46], v[45:46], -v[55:56]
	v_fma_f64 v[111:112], v[113:114], v[53:54], v[111:112]
	v_add_f64 v[47:48], v[47:48], -v[111:112]
	ds_read2_b64 v[111:114], v106 offset0:40 offset1:41
	;; [unrolled: 8-line block ×13, first 2 shown]
	s_waitcnt lgkmcnt(0)
	v_mul_f64 v[55:56], v[113:114], v[109:110]
	v_fma_f64 v[55:56], v[111:112], v[53:54], -v[55:56]
	v_mul_f64 v[111:112], v[111:112], v[109:110]
	v_add_f64 v[85:86], v[85:86], -v[55:56]
	v_fma_f64 v[111:112], v[113:114], v[53:54], v[111:112]
	v_mov_b32_e32 v55, v109
	v_mov_b32_e32 v56, v110
	v_add_f64 v[87:88], v[87:88], -v[111:112]
.LBB62_377:
	s_or_b64 exec, exec, s[0:1]
	v_lshl_add_u32 v109, v108, 4, v106
	s_barrier
	ds_write2_b64 v109, v[49:50], v[51:52] offset1:1
	s_waitcnt lgkmcnt(0)
	s_barrier
	ds_read2_b64 v[121:124], v106 offset0:36 offset1:37
	s_cmp_lt_i32 s3, 20
	v_mov_b32_e32 v109, 18
	s_cbranch_scc1 .LBB62_380
; %bb.378:
	v_add_u32_e32 v110, 0x130, v106
	s_mov_b32 s0, 19
	v_mov_b32_e32 v109, 18
.LBB62_379:                             ; =>This Inner Loop Header: Depth=1
	s_waitcnt lgkmcnt(0)
	v_cmp_gt_f64_e32 vcc, 0, v[121:122]
	v_xor_b32_e32 v115, 0x80000000, v122
	ds_read2_b64 v[111:114], v110 offset1:1
	v_xor_b32_e32 v117, 0x80000000, v124
	v_add_u32_e32 v110, 16, v110
	s_waitcnt lgkmcnt(0)
	v_xor_b32_e32 v119, 0x80000000, v114
	v_cndmask_b32_e32 v116, v122, v115, vcc
	v_cmp_gt_f64_e32 vcc, 0, v[123:124]
	v_mov_b32_e32 v115, v121
	v_cndmask_b32_e32 v118, v124, v117, vcc
	v_cmp_gt_f64_e32 vcc, 0, v[111:112]
	v_mov_b32_e32 v117, v123
	v_add_f64 v[115:116], v[115:116], v[117:118]
	v_xor_b32_e32 v117, 0x80000000, v112
	v_cndmask_b32_e32 v118, v112, v117, vcc
	v_cmp_gt_f64_e32 vcc, 0, v[113:114]
	v_mov_b32_e32 v117, v111
	v_cndmask_b32_e32 v120, v114, v119, vcc
	v_mov_b32_e32 v119, v113
	v_add_f64 v[117:118], v[117:118], v[119:120]
	v_cmp_lt_f64_e32 vcc, v[115:116], v[117:118]
	v_cndmask_b32_e32 v121, v121, v111, vcc
	v_mov_b32_e32 v111, s0
	s_add_i32 s0, s0, 1
	v_cndmask_b32_e32 v122, v122, v112, vcc
	v_cndmask_b32_e32 v124, v124, v114, vcc
	;; [unrolled: 1-line block ×4, first 2 shown]
	s_cmp_lg_u32 s3, s0
	s_cbranch_scc1 .LBB62_379
.LBB62_380:
	s_waitcnt lgkmcnt(0)
	v_cmp_eq_f64_e32 vcc, 0, v[121:122]
	v_cmp_eq_f64_e64 s[0:1], 0, v[123:124]
	s_and_b64 s[0:1], vcc, s[0:1]
	s_and_saveexec_b64 s[18:19], s[0:1]
	s_xor_b64 s[0:1], exec, s[18:19]
; %bb.381:
	v_cmp_ne_u32_e32 vcc, 0, v107
	v_cndmask_b32_e32 v107, 19, v107, vcc
; %bb.382:
	s_andn2_saveexec_b64 s[0:1], s[0:1]
	s_cbranch_execz .LBB62_388
; %bb.383:
	v_cmp_ngt_f64_e64 s[18:19], |v[121:122]|, |v[123:124]|
	s_and_saveexec_b64 s[20:21], s[18:19]
	s_xor_b64 s[18:19], exec, s[20:21]
	s_cbranch_execz .LBB62_385
; %bb.384:
	v_div_scale_f64 v[110:111], s[20:21], v[123:124], v[123:124], v[121:122]
	v_rcp_f64_e32 v[112:113], v[110:111]
	v_fma_f64 v[114:115], -v[110:111], v[112:113], 1.0
	v_fma_f64 v[112:113], v[112:113], v[114:115], v[112:113]
	v_div_scale_f64 v[114:115], vcc, v[121:122], v[123:124], v[121:122]
	v_fma_f64 v[116:117], -v[110:111], v[112:113], 1.0
	v_fma_f64 v[112:113], v[112:113], v[116:117], v[112:113]
	v_mul_f64 v[116:117], v[114:115], v[112:113]
	v_fma_f64 v[110:111], -v[110:111], v[116:117], v[114:115]
	v_div_fmas_f64 v[110:111], v[110:111], v[112:113], v[116:117]
	v_div_fixup_f64 v[110:111], v[110:111], v[123:124], v[121:122]
	v_fma_f64 v[112:113], v[121:122], v[110:111], v[123:124]
	v_div_scale_f64 v[114:115], s[20:21], v[112:113], v[112:113], 1.0
	v_div_scale_f64 v[120:121], vcc, 1.0, v[112:113], 1.0
	v_rcp_f64_e32 v[116:117], v[114:115]
	v_fma_f64 v[118:119], -v[114:115], v[116:117], 1.0
	v_fma_f64 v[116:117], v[116:117], v[118:119], v[116:117]
	v_fma_f64 v[118:119], -v[114:115], v[116:117], 1.0
	v_fma_f64 v[116:117], v[116:117], v[118:119], v[116:117]
	v_mul_f64 v[118:119], v[120:121], v[116:117]
	v_fma_f64 v[114:115], -v[114:115], v[118:119], v[120:121]
	v_div_fmas_f64 v[114:115], v[114:115], v[116:117], v[118:119]
	v_div_fixup_f64 v[123:124], v[114:115], v[112:113], 1.0
	v_mul_f64 v[121:122], v[110:111], v[123:124]
	v_xor_b32_e32 v124, 0x80000000, v124
.LBB62_385:
	s_andn2_saveexec_b64 s[18:19], s[18:19]
	s_cbranch_execz .LBB62_387
; %bb.386:
	v_div_scale_f64 v[110:111], s[20:21], v[121:122], v[121:122], v[123:124]
	v_rcp_f64_e32 v[112:113], v[110:111]
	v_fma_f64 v[114:115], -v[110:111], v[112:113], 1.0
	v_fma_f64 v[112:113], v[112:113], v[114:115], v[112:113]
	v_div_scale_f64 v[114:115], vcc, v[123:124], v[121:122], v[123:124]
	v_fma_f64 v[116:117], -v[110:111], v[112:113], 1.0
	v_fma_f64 v[112:113], v[112:113], v[116:117], v[112:113]
	v_mul_f64 v[116:117], v[114:115], v[112:113]
	v_fma_f64 v[110:111], -v[110:111], v[116:117], v[114:115]
	v_div_fmas_f64 v[110:111], v[110:111], v[112:113], v[116:117]
	v_div_fixup_f64 v[110:111], v[110:111], v[121:122], v[123:124]
	v_fma_f64 v[112:113], v[123:124], v[110:111], v[121:122]
	v_div_scale_f64 v[114:115], s[20:21], v[112:113], v[112:113], 1.0
	v_div_scale_f64 v[120:121], vcc, 1.0, v[112:113], 1.0
	v_rcp_f64_e32 v[116:117], v[114:115]
	v_fma_f64 v[118:119], -v[114:115], v[116:117], 1.0
	v_fma_f64 v[116:117], v[116:117], v[118:119], v[116:117]
	v_fma_f64 v[118:119], -v[114:115], v[116:117], 1.0
	v_fma_f64 v[116:117], v[116:117], v[118:119], v[116:117]
	v_mul_f64 v[118:119], v[120:121], v[116:117]
	v_fma_f64 v[114:115], -v[114:115], v[118:119], v[120:121]
	v_div_fmas_f64 v[114:115], v[114:115], v[116:117], v[118:119]
	v_div_fixup_f64 v[121:122], v[114:115], v[112:113], 1.0
	v_mul_f64 v[123:124], v[110:111], -v[121:122]
.LBB62_387:
	s_or_b64 exec, exec, s[18:19]
.LBB62_388:
	s_or_b64 exec, exec, s[0:1]
	v_cmp_ne_u32_e32 vcc, v108, v109
	s_and_saveexec_b64 s[0:1], vcc
	s_xor_b64 s[0:1], exec, s[0:1]
	s_cbranch_execz .LBB62_394
; %bb.389:
	v_cmp_eq_u32_e32 vcc, 18, v108
	s_and_saveexec_b64 s[18:19], vcc
	s_cbranch_execz .LBB62_393
; %bb.390:
	v_cmp_ne_u32_e32 vcc, 18, v109
	s_xor_b64 s[20:21], s[6:7], -1
	s_and_b64 s[22:23], s[20:21], vcc
	s_and_saveexec_b64 s[20:21], s[22:23]
	s_cbranch_execz .LBB62_392
; %bb.391:
	buffer_load_dword v112, off, s[24:27], 0 offset:64 ; 4-byte Folded Reload
	buffer_load_dword v113, off, s[24:27], 0 offset:68 ; 4-byte Folded Reload
	v_ashrrev_i32_e32 v110, 31, v109
	v_lshlrev_b64 v[110:111], 2, v[109:110]
	s_waitcnt vmcnt(1)
	v_add_co_u32_e32 v110, vcc, v112, v110
	s_waitcnt vmcnt(0)
	v_addc_co_u32_e32 v111, vcc, v113, v111, vcc
	global_load_dword v0, v[110:111], off
	global_load_dword v108, v[112:113], off offset:72
	s_waitcnt vmcnt(1)
	global_store_dword v[112:113], v0, off offset:72
	s_waitcnt vmcnt(1)
	global_store_dword v[110:111], v108, off
.LBB62_392:
	s_or_b64 exec, exec, s[20:21]
	v_mov_b32_e32 v108, v109
	v_mov_b32_e32 v0, v109
.LBB62_393:
	s_or_b64 exec, exec, s[18:19]
.LBB62_394:
	s_andn2_saveexec_b64 s[0:1], s[0:1]
	s_cbranch_execz .LBB62_396
; %bb.395:
	v_mov_b32_e32 v108, 18
	ds_write2_b64 v106, v[45:46], v[47:48] offset0:38 offset1:39
	ds_write2_b64 v106, v[41:42], v[43:44] offset0:40 offset1:41
	;; [unrolled: 1-line block ×13, first 2 shown]
.LBB62_396:
	s_or_b64 exec, exec, s[0:1]
	v_cmp_lt_i32_e32 vcc, 18, v108
	s_waitcnt vmcnt(0) lgkmcnt(0)
	s_barrier
	s_and_saveexec_b64 s[0:1], vcc
	s_cbranch_execz .LBB62_398
; %bb.397:
	v_mul_f64 v[109:110], v[121:122], v[51:52]
	v_mul_f64 v[51:52], v[123:124], v[51:52]
	ds_read2_b64 v[111:114], v106 offset0:38 offset1:39
	v_fma_f64 v[109:110], v[123:124], v[49:50], v[109:110]
	v_fma_f64 v[49:50], v[121:122], v[49:50], -v[51:52]
	s_waitcnt lgkmcnt(0)
	v_mul_f64 v[51:52], v[113:114], v[109:110]
	v_fma_f64 v[51:52], v[111:112], v[49:50], -v[51:52]
	v_mul_f64 v[111:112], v[111:112], v[109:110]
	v_add_f64 v[45:46], v[45:46], -v[51:52]
	v_fma_f64 v[111:112], v[113:114], v[49:50], v[111:112]
	v_add_f64 v[47:48], v[47:48], -v[111:112]
	ds_read2_b64 v[111:114], v106 offset0:40 offset1:41
	s_waitcnt lgkmcnt(0)
	v_mul_f64 v[51:52], v[113:114], v[109:110]
	v_fma_f64 v[51:52], v[111:112], v[49:50], -v[51:52]
	v_mul_f64 v[111:112], v[111:112], v[109:110]
	v_add_f64 v[41:42], v[41:42], -v[51:52]
	v_fma_f64 v[111:112], v[113:114], v[49:50], v[111:112]
	v_add_f64 v[43:44], v[43:44], -v[111:112]
	ds_read2_b64 v[111:114], v106 offset0:42 offset1:43
	;; [unrolled: 8-line block ×12, first 2 shown]
	s_waitcnt lgkmcnt(0)
	v_mul_f64 v[51:52], v[113:114], v[109:110]
	v_fma_f64 v[51:52], v[111:112], v[49:50], -v[51:52]
	v_mul_f64 v[111:112], v[111:112], v[109:110]
	v_add_f64 v[85:86], v[85:86], -v[51:52]
	v_fma_f64 v[111:112], v[113:114], v[49:50], v[111:112]
	v_mov_b32_e32 v51, v109
	v_mov_b32_e32 v52, v110
	v_add_f64 v[87:88], v[87:88], -v[111:112]
.LBB62_398:
	s_or_b64 exec, exec, s[0:1]
	v_lshl_add_u32 v109, v108, 4, v106
	s_barrier
	ds_write2_b64 v109, v[45:46], v[47:48] offset1:1
	s_waitcnt lgkmcnt(0)
	s_barrier
	ds_read2_b64 v[121:124], v106 offset0:38 offset1:39
	s_cmp_lt_i32 s3, 21
	v_mov_b32_e32 v109, 19
	s_cbranch_scc1 .LBB62_401
; %bb.399:
	v_add_u32_e32 v110, 0x140, v106
	s_mov_b32 s0, 20
	v_mov_b32_e32 v109, 19
.LBB62_400:                             ; =>This Inner Loop Header: Depth=1
	s_waitcnt lgkmcnt(0)
	v_cmp_gt_f64_e32 vcc, 0, v[121:122]
	v_xor_b32_e32 v115, 0x80000000, v122
	ds_read2_b64 v[111:114], v110 offset1:1
	v_xor_b32_e32 v117, 0x80000000, v124
	v_add_u32_e32 v110, 16, v110
	s_waitcnt lgkmcnt(0)
	v_xor_b32_e32 v119, 0x80000000, v114
	v_cndmask_b32_e32 v116, v122, v115, vcc
	v_cmp_gt_f64_e32 vcc, 0, v[123:124]
	v_mov_b32_e32 v115, v121
	v_cndmask_b32_e32 v118, v124, v117, vcc
	v_cmp_gt_f64_e32 vcc, 0, v[111:112]
	v_mov_b32_e32 v117, v123
	v_add_f64 v[115:116], v[115:116], v[117:118]
	v_xor_b32_e32 v117, 0x80000000, v112
	v_cndmask_b32_e32 v118, v112, v117, vcc
	v_cmp_gt_f64_e32 vcc, 0, v[113:114]
	v_mov_b32_e32 v117, v111
	v_cndmask_b32_e32 v120, v114, v119, vcc
	v_mov_b32_e32 v119, v113
	v_add_f64 v[117:118], v[117:118], v[119:120]
	v_cmp_lt_f64_e32 vcc, v[115:116], v[117:118]
	v_cndmask_b32_e32 v121, v121, v111, vcc
	v_mov_b32_e32 v111, s0
	s_add_i32 s0, s0, 1
	v_cndmask_b32_e32 v122, v122, v112, vcc
	v_cndmask_b32_e32 v124, v124, v114, vcc
	;; [unrolled: 1-line block ×4, first 2 shown]
	s_cmp_lg_u32 s3, s0
	s_cbranch_scc1 .LBB62_400
.LBB62_401:
	s_waitcnt lgkmcnt(0)
	v_cmp_eq_f64_e32 vcc, 0, v[121:122]
	v_cmp_eq_f64_e64 s[0:1], 0, v[123:124]
	s_and_b64 s[0:1], vcc, s[0:1]
	s_and_saveexec_b64 s[18:19], s[0:1]
	s_xor_b64 s[0:1], exec, s[18:19]
; %bb.402:
	v_cmp_ne_u32_e32 vcc, 0, v107
	v_cndmask_b32_e32 v107, 20, v107, vcc
; %bb.403:
	s_andn2_saveexec_b64 s[0:1], s[0:1]
	s_cbranch_execz .LBB62_409
; %bb.404:
	v_cmp_ngt_f64_e64 s[18:19], |v[121:122]|, |v[123:124]|
	s_and_saveexec_b64 s[20:21], s[18:19]
	s_xor_b64 s[18:19], exec, s[20:21]
	s_cbranch_execz .LBB62_406
; %bb.405:
	v_div_scale_f64 v[110:111], s[20:21], v[123:124], v[123:124], v[121:122]
	v_rcp_f64_e32 v[112:113], v[110:111]
	v_fma_f64 v[114:115], -v[110:111], v[112:113], 1.0
	v_fma_f64 v[112:113], v[112:113], v[114:115], v[112:113]
	v_div_scale_f64 v[114:115], vcc, v[121:122], v[123:124], v[121:122]
	v_fma_f64 v[116:117], -v[110:111], v[112:113], 1.0
	v_fma_f64 v[112:113], v[112:113], v[116:117], v[112:113]
	v_mul_f64 v[116:117], v[114:115], v[112:113]
	v_fma_f64 v[110:111], -v[110:111], v[116:117], v[114:115]
	v_div_fmas_f64 v[110:111], v[110:111], v[112:113], v[116:117]
	v_div_fixup_f64 v[110:111], v[110:111], v[123:124], v[121:122]
	v_fma_f64 v[112:113], v[121:122], v[110:111], v[123:124]
	v_div_scale_f64 v[114:115], s[20:21], v[112:113], v[112:113], 1.0
	v_div_scale_f64 v[120:121], vcc, 1.0, v[112:113], 1.0
	v_rcp_f64_e32 v[116:117], v[114:115]
	v_fma_f64 v[118:119], -v[114:115], v[116:117], 1.0
	v_fma_f64 v[116:117], v[116:117], v[118:119], v[116:117]
	v_fma_f64 v[118:119], -v[114:115], v[116:117], 1.0
	v_fma_f64 v[116:117], v[116:117], v[118:119], v[116:117]
	v_mul_f64 v[118:119], v[120:121], v[116:117]
	v_fma_f64 v[114:115], -v[114:115], v[118:119], v[120:121]
	v_div_fmas_f64 v[114:115], v[114:115], v[116:117], v[118:119]
	v_div_fixup_f64 v[123:124], v[114:115], v[112:113], 1.0
	v_mul_f64 v[121:122], v[110:111], v[123:124]
	v_xor_b32_e32 v124, 0x80000000, v124
.LBB62_406:
	s_andn2_saveexec_b64 s[18:19], s[18:19]
	s_cbranch_execz .LBB62_408
; %bb.407:
	v_div_scale_f64 v[110:111], s[20:21], v[121:122], v[121:122], v[123:124]
	v_rcp_f64_e32 v[112:113], v[110:111]
	v_fma_f64 v[114:115], -v[110:111], v[112:113], 1.0
	v_fma_f64 v[112:113], v[112:113], v[114:115], v[112:113]
	v_div_scale_f64 v[114:115], vcc, v[123:124], v[121:122], v[123:124]
	v_fma_f64 v[116:117], -v[110:111], v[112:113], 1.0
	v_fma_f64 v[112:113], v[112:113], v[116:117], v[112:113]
	v_mul_f64 v[116:117], v[114:115], v[112:113]
	v_fma_f64 v[110:111], -v[110:111], v[116:117], v[114:115]
	v_div_fmas_f64 v[110:111], v[110:111], v[112:113], v[116:117]
	v_div_fixup_f64 v[110:111], v[110:111], v[121:122], v[123:124]
	v_fma_f64 v[112:113], v[123:124], v[110:111], v[121:122]
	v_div_scale_f64 v[114:115], s[20:21], v[112:113], v[112:113], 1.0
	v_div_scale_f64 v[120:121], vcc, 1.0, v[112:113], 1.0
	v_rcp_f64_e32 v[116:117], v[114:115]
	v_fma_f64 v[118:119], -v[114:115], v[116:117], 1.0
	v_fma_f64 v[116:117], v[116:117], v[118:119], v[116:117]
	v_fma_f64 v[118:119], -v[114:115], v[116:117], 1.0
	v_fma_f64 v[116:117], v[116:117], v[118:119], v[116:117]
	v_mul_f64 v[118:119], v[120:121], v[116:117]
	v_fma_f64 v[114:115], -v[114:115], v[118:119], v[120:121]
	v_div_fmas_f64 v[114:115], v[114:115], v[116:117], v[118:119]
	v_div_fixup_f64 v[121:122], v[114:115], v[112:113], 1.0
	v_mul_f64 v[123:124], v[110:111], -v[121:122]
.LBB62_408:
	s_or_b64 exec, exec, s[18:19]
.LBB62_409:
	s_or_b64 exec, exec, s[0:1]
	v_cmp_ne_u32_e32 vcc, v108, v109
	s_and_saveexec_b64 s[0:1], vcc
	s_xor_b64 s[0:1], exec, s[0:1]
	s_cbranch_execz .LBB62_415
; %bb.410:
	v_cmp_eq_u32_e32 vcc, 19, v108
	s_and_saveexec_b64 s[18:19], vcc
	s_cbranch_execz .LBB62_414
; %bb.411:
	v_cmp_ne_u32_e32 vcc, 19, v109
	s_xor_b64 s[20:21], s[6:7], -1
	s_and_b64 s[22:23], s[20:21], vcc
	s_and_saveexec_b64 s[20:21], s[22:23]
	s_cbranch_execz .LBB62_413
; %bb.412:
	buffer_load_dword v112, off, s[24:27], 0 offset:64 ; 4-byte Folded Reload
	buffer_load_dword v113, off, s[24:27], 0 offset:68 ; 4-byte Folded Reload
	v_ashrrev_i32_e32 v110, 31, v109
	v_lshlrev_b64 v[110:111], 2, v[109:110]
	s_waitcnt vmcnt(1)
	v_add_co_u32_e32 v110, vcc, v112, v110
	s_waitcnt vmcnt(0)
	v_addc_co_u32_e32 v111, vcc, v113, v111, vcc
	global_load_dword v0, v[110:111], off
	global_load_dword v108, v[112:113], off offset:76
	s_waitcnt vmcnt(1)
	global_store_dword v[112:113], v0, off offset:76
	s_waitcnt vmcnt(1)
	global_store_dword v[110:111], v108, off
.LBB62_413:
	s_or_b64 exec, exec, s[20:21]
	v_mov_b32_e32 v108, v109
	v_mov_b32_e32 v0, v109
.LBB62_414:
	s_or_b64 exec, exec, s[18:19]
.LBB62_415:
	s_andn2_saveexec_b64 s[0:1], s[0:1]
	s_cbranch_execz .LBB62_417
; %bb.416:
	v_mov_b32_e32 v108, 19
	ds_write2_b64 v106, v[41:42], v[43:44] offset0:40 offset1:41
	ds_write2_b64 v106, v[37:38], v[39:40] offset0:42 offset1:43
	;; [unrolled: 1-line block ×12, first 2 shown]
.LBB62_417:
	s_or_b64 exec, exec, s[0:1]
	v_cmp_lt_i32_e32 vcc, 19, v108
	s_waitcnt vmcnt(0) lgkmcnt(0)
	s_barrier
	s_and_saveexec_b64 s[0:1], vcc
	s_cbranch_execz .LBB62_419
; %bb.418:
	v_mul_f64 v[109:110], v[121:122], v[47:48]
	v_mul_f64 v[47:48], v[123:124], v[47:48]
	ds_read2_b64 v[111:114], v106 offset0:40 offset1:41
	v_fma_f64 v[109:110], v[123:124], v[45:46], v[109:110]
	v_fma_f64 v[45:46], v[121:122], v[45:46], -v[47:48]
	s_waitcnt lgkmcnt(0)
	v_mul_f64 v[47:48], v[113:114], v[109:110]
	v_fma_f64 v[47:48], v[111:112], v[45:46], -v[47:48]
	v_mul_f64 v[111:112], v[111:112], v[109:110]
	v_add_f64 v[41:42], v[41:42], -v[47:48]
	v_fma_f64 v[111:112], v[113:114], v[45:46], v[111:112]
	v_add_f64 v[43:44], v[43:44], -v[111:112]
	ds_read2_b64 v[111:114], v106 offset0:42 offset1:43
	s_waitcnt lgkmcnt(0)
	v_mul_f64 v[47:48], v[113:114], v[109:110]
	v_fma_f64 v[47:48], v[111:112], v[45:46], -v[47:48]
	v_mul_f64 v[111:112], v[111:112], v[109:110]
	v_add_f64 v[37:38], v[37:38], -v[47:48]
	v_fma_f64 v[111:112], v[113:114], v[45:46], v[111:112]
	v_add_f64 v[39:40], v[39:40], -v[111:112]
	ds_read2_b64 v[111:114], v106 offset0:44 offset1:45
	;; [unrolled: 8-line block ×11, first 2 shown]
	s_waitcnt lgkmcnt(0)
	v_mul_f64 v[47:48], v[113:114], v[109:110]
	v_fma_f64 v[47:48], v[111:112], v[45:46], -v[47:48]
	v_mul_f64 v[111:112], v[111:112], v[109:110]
	v_add_f64 v[85:86], v[85:86], -v[47:48]
	v_fma_f64 v[111:112], v[113:114], v[45:46], v[111:112]
	v_mov_b32_e32 v47, v109
	v_mov_b32_e32 v48, v110
	v_add_f64 v[87:88], v[87:88], -v[111:112]
.LBB62_419:
	s_or_b64 exec, exec, s[0:1]
	v_lshl_add_u32 v109, v108, 4, v106
	s_barrier
	ds_write2_b64 v109, v[41:42], v[43:44] offset1:1
	s_waitcnt lgkmcnt(0)
	s_barrier
	ds_read2_b64 v[121:124], v106 offset0:40 offset1:41
	s_cmp_lt_i32 s3, 22
	v_mov_b32_e32 v109, 20
	s_cbranch_scc1 .LBB62_422
; %bb.420:
	v_add_u32_e32 v110, 0x150, v106
	s_mov_b32 s0, 21
	v_mov_b32_e32 v109, 20
.LBB62_421:                             ; =>This Inner Loop Header: Depth=1
	s_waitcnt lgkmcnt(0)
	v_cmp_gt_f64_e32 vcc, 0, v[121:122]
	v_xor_b32_e32 v115, 0x80000000, v122
	ds_read2_b64 v[111:114], v110 offset1:1
	v_xor_b32_e32 v117, 0x80000000, v124
	v_add_u32_e32 v110, 16, v110
	s_waitcnt lgkmcnt(0)
	v_xor_b32_e32 v119, 0x80000000, v114
	v_cndmask_b32_e32 v116, v122, v115, vcc
	v_cmp_gt_f64_e32 vcc, 0, v[123:124]
	v_mov_b32_e32 v115, v121
	v_cndmask_b32_e32 v118, v124, v117, vcc
	v_cmp_gt_f64_e32 vcc, 0, v[111:112]
	v_mov_b32_e32 v117, v123
	v_add_f64 v[115:116], v[115:116], v[117:118]
	v_xor_b32_e32 v117, 0x80000000, v112
	v_cndmask_b32_e32 v118, v112, v117, vcc
	v_cmp_gt_f64_e32 vcc, 0, v[113:114]
	v_mov_b32_e32 v117, v111
	v_cndmask_b32_e32 v120, v114, v119, vcc
	v_mov_b32_e32 v119, v113
	v_add_f64 v[117:118], v[117:118], v[119:120]
	v_cmp_lt_f64_e32 vcc, v[115:116], v[117:118]
	v_cndmask_b32_e32 v121, v121, v111, vcc
	v_mov_b32_e32 v111, s0
	s_add_i32 s0, s0, 1
	v_cndmask_b32_e32 v122, v122, v112, vcc
	v_cndmask_b32_e32 v124, v124, v114, vcc
	;; [unrolled: 1-line block ×4, first 2 shown]
	s_cmp_lg_u32 s3, s0
	s_cbranch_scc1 .LBB62_421
.LBB62_422:
	s_waitcnt lgkmcnt(0)
	v_cmp_eq_f64_e32 vcc, 0, v[121:122]
	v_cmp_eq_f64_e64 s[0:1], 0, v[123:124]
	s_and_b64 s[0:1], vcc, s[0:1]
	s_and_saveexec_b64 s[18:19], s[0:1]
	s_xor_b64 s[0:1], exec, s[18:19]
; %bb.423:
	v_cmp_ne_u32_e32 vcc, 0, v107
	v_cndmask_b32_e32 v107, 21, v107, vcc
; %bb.424:
	s_andn2_saveexec_b64 s[0:1], s[0:1]
	s_cbranch_execz .LBB62_430
; %bb.425:
	v_cmp_ngt_f64_e64 s[18:19], |v[121:122]|, |v[123:124]|
	s_and_saveexec_b64 s[20:21], s[18:19]
	s_xor_b64 s[18:19], exec, s[20:21]
	s_cbranch_execz .LBB62_427
; %bb.426:
	v_div_scale_f64 v[110:111], s[20:21], v[123:124], v[123:124], v[121:122]
	v_rcp_f64_e32 v[112:113], v[110:111]
	v_fma_f64 v[114:115], -v[110:111], v[112:113], 1.0
	v_fma_f64 v[112:113], v[112:113], v[114:115], v[112:113]
	v_div_scale_f64 v[114:115], vcc, v[121:122], v[123:124], v[121:122]
	v_fma_f64 v[116:117], -v[110:111], v[112:113], 1.0
	v_fma_f64 v[112:113], v[112:113], v[116:117], v[112:113]
	v_mul_f64 v[116:117], v[114:115], v[112:113]
	v_fma_f64 v[110:111], -v[110:111], v[116:117], v[114:115]
	v_div_fmas_f64 v[110:111], v[110:111], v[112:113], v[116:117]
	v_div_fixup_f64 v[110:111], v[110:111], v[123:124], v[121:122]
	v_fma_f64 v[112:113], v[121:122], v[110:111], v[123:124]
	v_div_scale_f64 v[114:115], s[20:21], v[112:113], v[112:113], 1.0
	v_div_scale_f64 v[120:121], vcc, 1.0, v[112:113], 1.0
	v_rcp_f64_e32 v[116:117], v[114:115]
	v_fma_f64 v[118:119], -v[114:115], v[116:117], 1.0
	v_fma_f64 v[116:117], v[116:117], v[118:119], v[116:117]
	v_fma_f64 v[118:119], -v[114:115], v[116:117], 1.0
	v_fma_f64 v[116:117], v[116:117], v[118:119], v[116:117]
	v_mul_f64 v[118:119], v[120:121], v[116:117]
	v_fma_f64 v[114:115], -v[114:115], v[118:119], v[120:121]
	v_div_fmas_f64 v[114:115], v[114:115], v[116:117], v[118:119]
	v_div_fixup_f64 v[123:124], v[114:115], v[112:113], 1.0
	v_mul_f64 v[121:122], v[110:111], v[123:124]
	v_xor_b32_e32 v124, 0x80000000, v124
.LBB62_427:
	s_andn2_saveexec_b64 s[18:19], s[18:19]
	s_cbranch_execz .LBB62_429
; %bb.428:
	v_div_scale_f64 v[110:111], s[20:21], v[121:122], v[121:122], v[123:124]
	v_rcp_f64_e32 v[112:113], v[110:111]
	v_fma_f64 v[114:115], -v[110:111], v[112:113], 1.0
	v_fma_f64 v[112:113], v[112:113], v[114:115], v[112:113]
	v_div_scale_f64 v[114:115], vcc, v[123:124], v[121:122], v[123:124]
	v_fma_f64 v[116:117], -v[110:111], v[112:113], 1.0
	v_fma_f64 v[112:113], v[112:113], v[116:117], v[112:113]
	v_mul_f64 v[116:117], v[114:115], v[112:113]
	v_fma_f64 v[110:111], -v[110:111], v[116:117], v[114:115]
	v_div_fmas_f64 v[110:111], v[110:111], v[112:113], v[116:117]
	v_div_fixup_f64 v[110:111], v[110:111], v[121:122], v[123:124]
	v_fma_f64 v[112:113], v[123:124], v[110:111], v[121:122]
	v_div_scale_f64 v[114:115], s[20:21], v[112:113], v[112:113], 1.0
	v_div_scale_f64 v[120:121], vcc, 1.0, v[112:113], 1.0
	v_rcp_f64_e32 v[116:117], v[114:115]
	v_fma_f64 v[118:119], -v[114:115], v[116:117], 1.0
	v_fma_f64 v[116:117], v[116:117], v[118:119], v[116:117]
	v_fma_f64 v[118:119], -v[114:115], v[116:117], 1.0
	v_fma_f64 v[116:117], v[116:117], v[118:119], v[116:117]
	v_mul_f64 v[118:119], v[120:121], v[116:117]
	v_fma_f64 v[114:115], -v[114:115], v[118:119], v[120:121]
	v_div_fmas_f64 v[114:115], v[114:115], v[116:117], v[118:119]
	v_div_fixup_f64 v[121:122], v[114:115], v[112:113], 1.0
	v_mul_f64 v[123:124], v[110:111], -v[121:122]
.LBB62_429:
	s_or_b64 exec, exec, s[18:19]
.LBB62_430:
	s_or_b64 exec, exec, s[0:1]
	v_cmp_ne_u32_e32 vcc, v108, v109
	s_and_saveexec_b64 s[0:1], vcc
	s_xor_b64 s[0:1], exec, s[0:1]
	s_cbranch_execz .LBB62_436
; %bb.431:
	v_cmp_eq_u32_e32 vcc, 20, v108
	s_and_saveexec_b64 s[18:19], vcc
	s_cbranch_execz .LBB62_435
; %bb.432:
	v_cmp_ne_u32_e32 vcc, 20, v109
	s_xor_b64 s[20:21], s[6:7], -1
	s_and_b64 s[22:23], s[20:21], vcc
	s_and_saveexec_b64 s[20:21], s[22:23]
	s_cbranch_execz .LBB62_434
; %bb.433:
	buffer_load_dword v112, off, s[24:27], 0 offset:64 ; 4-byte Folded Reload
	buffer_load_dword v113, off, s[24:27], 0 offset:68 ; 4-byte Folded Reload
	v_ashrrev_i32_e32 v110, 31, v109
	v_lshlrev_b64 v[110:111], 2, v[109:110]
	s_waitcnt vmcnt(1)
	v_add_co_u32_e32 v110, vcc, v112, v110
	s_waitcnt vmcnt(0)
	v_addc_co_u32_e32 v111, vcc, v113, v111, vcc
	global_load_dword v0, v[110:111], off
	global_load_dword v108, v[112:113], off offset:80
	s_waitcnt vmcnt(1)
	global_store_dword v[112:113], v0, off offset:80
	s_waitcnt vmcnt(1)
	global_store_dword v[110:111], v108, off
.LBB62_434:
	s_or_b64 exec, exec, s[20:21]
	v_mov_b32_e32 v108, v109
	v_mov_b32_e32 v0, v109
.LBB62_435:
	s_or_b64 exec, exec, s[18:19]
.LBB62_436:
	s_andn2_saveexec_b64 s[0:1], s[0:1]
	s_cbranch_execz .LBB62_438
; %bb.437:
	v_mov_b32_e32 v108, 20
	ds_write2_b64 v106, v[37:38], v[39:40] offset0:42 offset1:43
	ds_write2_b64 v106, v[33:34], v[35:36] offset0:44 offset1:45
	;; [unrolled: 1-line block ×11, first 2 shown]
.LBB62_438:
	s_or_b64 exec, exec, s[0:1]
	v_cmp_lt_i32_e32 vcc, 20, v108
	s_waitcnt vmcnt(0) lgkmcnt(0)
	s_barrier
	s_and_saveexec_b64 s[0:1], vcc
	s_cbranch_execz .LBB62_440
; %bb.439:
	v_mul_f64 v[109:110], v[121:122], v[43:44]
	v_mul_f64 v[43:44], v[123:124], v[43:44]
	ds_read2_b64 v[111:114], v106 offset0:42 offset1:43
	v_fma_f64 v[109:110], v[123:124], v[41:42], v[109:110]
	v_fma_f64 v[41:42], v[121:122], v[41:42], -v[43:44]
	s_waitcnt lgkmcnt(0)
	v_mul_f64 v[43:44], v[113:114], v[109:110]
	v_fma_f64 v[43:44], v[111:112], v[41:42], -v[43:44]
	v_mul_f64 v[111:112], v[111:112], v[109:110]
	v_add_f64 v[37:38], v[37:38], -v[43:44]
	v_fma_f64 v[111:112], v[113:114], v[41:42], v[111:112]
	v_add_f64 v[39:40], v[39:40], -v[111:112]
	ds_read2_b64 v[111:114], v106 offset0:44 offset1:45
	s_waitcnt lgkmcnt(0)
	v_mul_f64 v[43:44], v[113:114], v[109:110]
	v_fma_f64 v[43:44], v[111:112], v[41:42], -v[43:44]
	v_mul_f64 v[111:112], v[111:112], v[109:110]
	v_add_f64 v[33:34], v[33:34], -v[43:44]
	v_fma_f64 v[111:112], v[113:114], v[41:42], v[111:112]
	v_add_f64 v[35:36], v[35:36], -v[111:112]
	ds_read2_b64 v[111:114], v106 offset0:46 offset1:47
	;; [unrolled: 8-line block ×10, first 2 shown]
	s_waitcnt lgkmcnt(0)
	v_mul_f64 v[43:44], v[113:114], v[109:110]
	v_fma_f64 v[43:44], v[111:112], v[41:42], -v[43:44]
	v_mul_f64 v[111:112], v[111:112], v[109:110]
	v_add_f64 v[85:86], v[85:86], -v[43:44]
	v_fma_f64 v[111:112], v[113:114], v[41:42], v[111:112]
	v_mov_b32_e32 v43, v109
	v_mov_b32_e32 v44, v110
	v_add_f64 v[87:88], v[87:88], -v[111:112]
.LBB62_440:
	s_or_b64 exec, exec, s[0:1]
	v_lshl_add_u32 v109, v108, 4, v106
	s_barrier
	ds_write2_b64 v109, v[37:38], v[39:40] offset1:1
	s_waitcnt lgkmcnt(0)
	s_barrier
	ds_read2_b64 v[121:124], v106 offset0:42 offset1:43
	s_cmp_lt_i32 s3, 23
	v_mov_b32_e32 v109, 21
	s_cbranch_scc1 .LBB62_443
; %bb.441:
	v_add_u32_e32 v110, 0x160, v106
	s_mov_b32 s0, 22
	v_mov_b32_e32 v109, 21
.LBB62_442:                             ; =>This Inner Loop Header: Depth=1
	s_waitcnt lgkmcnt(0)
	v_cmp_gt_f64_e32 vcc, 0, v[121:122]
	v_xor_b32_e32 v115, 0x80000000, v122
	ds_read2_b64 v[111:114], v110 offset1:1
	v_xor_b32_e32 v117, 0x80000000, v124
	v_add_u32_e32 v110, 16, v110
	s_waitcnt lgkmcnt(0)
	v_xor_b32_e32 v119, 0x80000000, v114
	v_cndmask_b32_e32 v116, v122, v115, vcc
	v_cmp_gt_f64_e32 vcc, 0, v[123:124]
	v_mov_b32_e32 v115, v121
	v_cndmask_b32_e32 v118, v124, v117, vcc
	v_cmp_gt_f64_e32 vcc, 0, v[111:112]
	v_mov_b32_e32 v117, v123
	v_add_f64 v[115:116], v[115:116], v[117:118]
	v_xor_b32_e32 v117, 0x80000000, v112
	v_cndmask_b32_e32 v118, v112, v117, vcc
	v_cmp_gt_f64_e32 vcc, 0, v[113:114]
	v_mov_b32_e32 v117, v111
	v_cndmask_b32_e32 v120, v114, v119, vcc
	v_mov_b32_e32 v119, v113
	v_add_f64 v[117:118], v[117:118], v[119:120]
	v_cmp_lt_f64_e32 vcc, v[115:116], v[117:118]
	v_cndmask_b32_e32 v121, v121, v111, vcc
	v_mov_b32_e32 v111, s0
	s_add_i32 s0, s0, 1
	v_cndmask_b32_e32 v122, v122, v112, vcc
	v_cndmask_b32_e32 v124, v124, v114, vcc
	;; [unrolled: 1-line block ×4, first 2 shown]
	s_cmp_lg_u32 s3, s0
	s_cbranch_scc1 .LBB62_442
.LBB62_443:
	s_waitcnt lgkmcnt(0)
	v_cmp_eq_f64_e32 vcc, 0, v[121:122]
	v_cmp_eq_f64_e64 s[0:1], 0, v[123:124]
	s_and_b64 s[0:1], vcc, s[0:1]
	s_and_saveexec_b64 s[18:19], s[0:1]
	s_xor_b64 s[0:1], exec, s[18:19]
; %bb.444:
	v_cmp_ne_u32_e32 vcc, 0, v107
	v_cndmask_b32_e32 v107, 22, v107, vcc
; %bb.445:
	s_andn2_saveexec_b64 s[0:1], s[0:1]
	s_cbranch_execz .LBB62_451
; %bb.446:
	v_cmp_ngt_f64_e64 s[18:19], |v[121:122]|, |v[123:124]|
	s_and_saveexec_b64 s[20:21], s[18:19]
	s_xor_b64 s[18:19], exec, s[20:21]
	s_cbranch_execz .LBB62_448
; %bb.447:
	v_div_scale_f64 v[110:111], s[20:21], v[123:124], v[123:124], v[121:122]
	v_rcp_f64_e32 v[112:113], v[110:111]
	v_fma_f64 v[114:115], -v[110:111], v[112:113], 1.0
	v_fma_f64 v[112:113], v[112:113], v[114:115], v[112:113]
	v_div_scale_f64 v[114:115], vcc, v[121:122], v[123:124], v[121:122]
	v_fma_f64 v[116:117], -v[110:111], v[112:113], 1.0
	v_fma_f64 v[112:113], v[112:113], v[116:117], v[112:113]
	v_mul_f64 v[116:117], v[114:115], v[112:113]
	v_fma_f64 v[110:111], -v[110:111], v[116:117], v[114:115]
	v_div_fmas_f64 v[110:111], v[110:111], v[112:113], v[116:117]
	v_div_fixup_f64 v[110:111], v[110:111], v[123:124], v[121:122]
	v_fma_f64 v[112:113], v[121:122], v[110:111], v[123:124]
	v_div_scale_f64 v[114:115], s[20:21], v[112:113], v[112:113], 1.0
	v_div_scale_f64 v[120:121], vcc, 1.0, v[112:113], 1.0
	v_rcp_f64_e32 v[116:117], v[114:115]
	v_fma_f64 v[118:119], -v[114:115], v[116:117], 1.0
	v_fma_f64 v[116:117], v[116:117], v[118:119], v[116:117]
	v_fma_f64 v[118:119], -v[114:115], v[116:117], 1.0
	v_fma_f64 v[116:117], v[116:117], v[118:119], v[116:117]
	v_mul_f64 v[118:119], v[120:121], v[116:117]
	v_fma_f64 v[114:115], -v[114:115], v[118:119], v[120:121]
	v_div_fmas_f64 v[114:115], v[114:115], v[116:117], v[118:119]
	v_div_fixup_f64 v[123:124], v[114:115], v[112:113], 1.0
	v_mul_f64 v[121:122], v[110:111], v[123:124]
	v_xor_b32_e32 v124, 0x80000000, v124
.LBB62_448:
	s_andn2_saveexec_b64 s[18:19], s[18:19]
	s_cbranch_execz .LBB62_450
; %bb.449:
	v_div_scale_f64 v[110:111], s[20:21], v[121:122], v[121:122], v[123:124]
	v_rcp_f64_e32 v[112:113], v[110:111]
	v_fma_f64 v[114:115], -v[110:111], v[112:113], 1.0
	v_fma_f64 v[112:113], v[112:113], v[114:115], v[112:113]
	v_div_scale_f64 v[114:115], vcc, v[123:124], v[121:122], v[123:124]
	v_fma_f64 v[116:117], -v[110:111], v[112:113], 1.0
	v_fma_f64 v[112:113], v[112:113], v[116:117], v[112:113]
	v_mul_f64 v[116:117], v[114:115], v[112:113]
	v_fma_f64 v[110:111], -v[110:111], v[116:117], v[114:115]
	v_div_fmas_f64 v[110:111], v[110:111], v[112:113], v[116:117]
	v_div_fixup_f64 v[110:111], v[110:111], v[121:122], v[123:124]
	v_fma_f64 v[112:113], v[123:124], v[110:111], v[121:122]
	v_div_scale_f64 v[114:115], s[20:21], v[112:113], v[112:113], 1.0
	v_div_scale_f64 v[120:121], vcc, 1.0, v[112:113], 1.0
	v_rcp_f64_e32 v[116:117], v[114:115]
	v_fma_f64 v[118:119], -v[114:115], v[116:117], 1.0
	v_fma_f64 v[116:117], v[116:117], v[118:119], v[116:117]
	v_fma_f64 v[118:119], -v[114:115], v[116:117], 1.0
	v_fma_f64 v[116:117], v[116:117], v[118:119], v[116:117]
	v_mul_f64 v[118:119], v[120:121], v[116:117]
	v_fma_f64 v[114:115], -v[114:115], v[118:119], v[120:121]
	v_div_fmas_f64 v[114:115], v[114:115], v[116:117], v[118:119]
	v_div_fixup_f64 v[121:122], v[114:115], v[112:113], 1.0
	v_mul_f64 v[123:124], v[110:111], -v[121:122]
.LBB62_450:
	s_or_b64 exec, exec, s[18:19]
.LBB62_451:
	s_or_b64 exec, exec, s[0:1]
	v_cmp_ne_u32_e32 vcc, v108, v109
	s_and_saveexec_b64 s[0:1], vcc
	s_xor_b64 s[0:1], exec, s[0:1]
	s_cbranch_execz .LBB62_457
; %bb.452:
	v_cmp_eq_u32_e32 vcc, 21, v108
	s_and_saveexec_b64 s[18:19], vcc
	s_cbranch_execz .LBB62_456
; %bb.453:
	v_cmp_ne_u32_e32 vcc, 21, v109
	s_xor_b64 s[20:21], s[6:7], -1
	s_and_b64 s[22:23], s[20:21], vcc
	s_and_saveexec_b64 s[20:21], s[22:23]
	s_cbranch_execz .LBB62_455
; %bb.454:
	buffer_load_dword v112, off, s[24:27], 0 offset:64 ; 4-byte Folded Reload
	buffer_load_dword v113, off, s[24:27], 0 offset:68 ; 4-byte Folded Reload
	v_ashrrev_i32_e32 v110, 31, v109
	v_lshlrev_b64 v[110:111], 2, v[109:110]
	s_waitcnt vmcnt(1)
	v_add_co_u32_e32 v110, vcc, v112, v110
	s_waitcnt vmcnt(0)
	v_addc_co_u32_e32 v111, vcc, v113, v111, vcc
	global_load_dword v0, v[110:111], off
	global_load_dword v108, v[112:113], off offset:84
	s_waitcnt vmcnt(1)
	global_store_dword v[112:113], v0, off offset:84
	s_waitcnt vmcnt(1)
	global_store_dword v[110:111], v108, off
.LBB62_455:
	s_or_b64 exec, exec, s[20:21]
	v_mov_b32_e32 v108, v109
	v_mov_b32_e32 v0, v109
.LBB62_456:
	s_or_b64 exec, exec, s[18:19]
.LBB62_457:
	s_andn2_saveexec_b64 s[0:1], s[0:1]
	s_cbranch_execz .LBB62_459
; %bb.458:
	v_mov_b32_e32 v108, 21
	ds_write2_b64 v106, v[33:34], v[35:36] offset0:44 offset1:45
	ds_write2_b64 v106, v[29:30], v[31:32] offset0:46 offset1:47
	;; [unrolled: 1-line block ×10, first 2 shown]
.LBB62_459:
	s_or_b64 exec, exec, s[0:1]
	v_cmp_lt_i32_e32 vcc, 21, v108
	s_waitcnt vmcnt(0) lgkmcnt(0)
	s_barrier
	s_and_saveexec_b64 s[0:1], vcc
	s_cbranch_execz .LBB62_461
; %bb.460:
	v_mul_f64 v[109:110], v[121:122], v[39:40]
	v_mul_f64 v[39:40], v[123:124], v[39:40]
	ds_read2_b64 v[111:114], v106 offset0:44 offset1:45
	v_fma_f64 v[109:110], v[123:124], v[37:38], v[109:110]
	v_fma_f64 v[37:38], v[121:122], v[37:38], -v[39:40]
	s_waitcnt lgkmcnt(0)
	v_mul_f64 v[39:40], v[113:114], v[109:110]
	v_fma_f64 v[39:40], v[111:112], v[37:38], -v[39:40]
	v_mul_f64 v[111:112], v[111:112], v[109:110]
	v_add_f64 v[33:34], v[33:34], -v[39:40]
	v_fma_f64 v[111:112], v[113:114], v[37:38], v[111:112]
	v_add_f64 v[35:36], v[35:36], -v[111:112]
	ds_read2_b64 v[111:114], v106 offset0:46 offset1:47
	s_waitcnt lgkmcnt(0)
	v_mul_f64 v[39:40], v[113:114], v[109:110]
	v_fma_f64 v[39:40], v[111:112], v[37:38], -v[39:40]
	v_mul_f64 v[111:112], v[111:112], v[109:110]
	v_add_f64 v[29:30], v[29:30], -v[39:40]
	v_fma_f64 v[111:112], v[113:114], v[37:38], v[111:112]
	v_add_f64 v[31:32], v[31:32], -v[111:112]
	ds_read2_b64 v[111:114], v106 offset0:48 offset1:49
	;; [unrolled: 8-line block ×9, first 2 shown]
	s_waitcnt lgkmcnt(0)
	v_mul_f64 v[39:40], v[113:114], v[109:110]
	v_fma_f64 v[39:40], v[111:112], v[37:38], -v[39:40]
	v_mul_f64 v[111:112], v[111:112], v[109:110]
	v_add_f64 v[85:86], v[85:86], -v[39:40]
	v_fma_f64 v[111:112], v[113:114], v[37:38], v[111:112]
	v_mov_b32_e32 v39, v109
	v_mov_b32_e32 v40, v110
	v_add_f64 v[87:88], v[87:88], -v[111:112]
.LBB62_461:
	s_or_b64 exec, exec, s[0:1]
	v_lshl_add_u32 v109, v108, 4, v106
	s_barrier
	ds_write2_b64 v109, v[33:34], v[35:36] offset1:1
	s_waitcnt lgkmcnt(0)
	s_barrier
	ds_read2_b64 v[121:124], v106 offset0:44 offset1:45
	s_cmp_lt_i32 s3, 24
	v_mov_b32_e32 v109, 22
	s_cbranch_scc1 .LBB62_464
; %bb.462:
	v_add_u32_e32 v110, 0x170, v106
	s_mov_b32 s0, 23
	v_mov_b32_e32 v109, 22
.LBB62_463:                             ; =>This Inner Loop Header: Depth=1
	s_waitcnt lgkmcnt(0)
	v_cmp_gt_f64_e32 vcc, 0, v[121:122]
	v_xor_b32_e32 v115, 0x80000000, v122
	ds_read2_b64 v[111:114], v110 offset1:1
	v_xor_b32_e32 v117, 0x80000000, v124
	v_add_u32_e32 v110, 16, v110
	s_waitcnt lgkmcnt(0)
	v_xor_b32_e32 v119, 0x80000000, v114
	v_cndmask_b32_e32 v116, v122, v115, vcc
	v_cmp_gt_f64_e32 vcc, 0, v[123:124]
	v_mov_b32_e32 v115, v121
	v_cndmask_b32_e32 v118, v124, v117, vcc
	v_cmp_gt_f64_e32 vcc, 0, v[111:112]
	v_mov_b32_e32 v117, v123
	v_add_f64 v[115:116], v[115:116], v[117:118]
	v_xor_b32_e32 v117, 0x80000000, v112
	v_cndmask_b32_e32 v118, v112, v117, vcc
	v_cmp_gt_f64_e32 vcc, 0, v[113:114]
	v_mov_b32_e32 v117, v111
	v_cndmask_b32_e32 v120, v114, v119, vcc
	v_mov_b32_e32 v119, v113
	v_add_f64 v[117:118], v[117:118], v[119:120]
	v_cmp_lt_f64_e32 vcc, v[115:116], v[117:118]
	v_cndmask_b32_e32 v121, v121, v111, vcc
	v_mov_b32_e32 v111, s0
	s_add_i32 s0, s0, 1
	v_cndmask_b32_e32 v122, v122, v112, vcc
	v_cndmask_b32_e32 v124, v124, v114, vcc
	;; [unrolled: 1-line block ×4, first 2 shown]
	s_cmp_lg_u32 s3, s0
	s_cbranch_scc1 .LBB62_463
.LBB62_464:
	s_waitcnt lgkmcnt(0)
	v_cmp_eq_f64_e32 vcc, 0, v[121:122]
	v_cmp_eq_f64_e64 s[0:1], 0, v[123:124]
	s_and_b64 s[0:1], vcc, s[0:1]
	s_and_saveexec_b64 s[18:19], s[0:1]
	s_xor_b64 s[0:1], exec, s[18:19]
; %bb.465:
	v_cmp_ne_u32_e32 vcc, 0, v107
	v_cndmask_b32_e32 v107, 23, v107, vcc
; %bb.466:
	s_andn2_saveexec_b64 s[0:1], s[0:1]
	s_cbranch_execz .LBB62_472
; %bb.467:
	v_cmp_ngt_f64_e64 s[18:19], |v[121:122]|, |v[123:124]|
	s_and_saveexec_b64 s[20:21], s[18:19]
	s_xor_b64 s[18:19], exec, s[20:21]
	s_cbranch_execz .LBB62_469
; %bb.468:
	v_div_scale_f64 v[110:111], s[20:21], v[123:124], v[123:124], v[121:122]
	v_rcp_f64_e32 v[112:113], v[110:111]
	v_fma_f64 v[114:115], -v[110:111], v[112:113], 1.0
	v_fma_f64 v[112:113], v[112:113], v[114:115], v[112:113]
	v_div_scale_f64 v[114:115], vcc, v[121:122], v[123:124], v[121:122]
	v_fma_f64 v[116:117], -v[110:111], v[112:113], 1.0
	v_fma_f64 v[112:113], v[112:113], v[116:117], v[112:113]
	v_mul_f64 v[116:117], v[114:115], v[112:113]
	v_fma_f64 v[110:111], -v[110:111], v[116:117], v[114:115]
	v_div_fmas_f64 v[110:111], v[110:111], v[112:113], v[116:117]
	v_div_fixup_f64 v[110:111], v[110:111], v[123:124], v[121:122]
	v_fma_f64 v[112:113], v[121:122], v[110:111], v[123:124]
	v_div_scale_f64 v[114:115], s[20:21], v[112:113], v[112:113], 1.0
	v_div_scale_f64 v[120:121], vcc, 1.0, v[112:113], 1.0
	v_rcp_f64_e32 v[116:117], v[114:115]
	v_fma_f64 v[118:119], -v[114:115], v[116:117], 1.0
	v_fma_f64 v[116:117], v[116:117], v[118:119], v[116:117]
	v_fma_f64 v[118:119], -v[114:115], v[116:117], 1.0
	v_fma_f64 v[116:117], v[116:117], v[118:119], v[116:117]
	v_mul_f64 v[118:119], v[120:121], v[116:117]
	v_fma_f64 v[114:115], -v[114:115], v[118:119], v[120:121]
	v_div_fmas_f64 v[114:115], v[114:115], v[116:117], v[118:119]
	v_div_fixup_f64 v[123:124], v[114:115], v[112:113], 1.0
	v_mul_f64 v[121:122], v[110:111], v[123:124]
	v_xor_b32_e32 v124, 0x80000000, v124
.LBB62_469:
	s_andn2_saveexec_b64 s[18:19], s[18:19]
	s_cbranch_execz .LBB62_471
; %bb.470:
	v_div_scale_f64 v[110:111], s[20:21], v[121:122], v[121:122], v[123:124]
	v_rcp_f64_e32 v[112:113], v[110:111]
	v_fma_f64 v[114:115], -v[110:111], v[112:113], 1.0
	v_fma_f64 v[112:113], v[112:113], v[114:115], v[112:113]
	v_div_scale_f64 v[114:115], vcc, v[123:124], v[121:122], v[123:124]
	v_fma_f64 v[116:117], -v[110:111], v[112:113], 1.0
	v_fma_f64 v[112:113], v[112:113], v[116:117], v[112:113]
	v_mul_f64 v[116:117], v[114:115], v[112:113]
	v_fma_f64 v[110:111], -v[110:111], v[116:117], v[114:115]
	v_div_fmas_f64 v[110:111], v[110:111], v[112:113], v[116:117]
	v_div_fixup_f64 v[110:111], v[110:111], v[121:122], v[123:124]
	v_fma_f64 v[112:113], v[123:124], v[110:111], v[121:122]
	v_div_scale_f64 v[114:115], s[20:21], v[112:113], v[112:113], 1.0
	v_div_scale_f64 v[120:121], vcc, 1.0, v[112:113], 1.0
	v_rcp_f64_e32 v[116:117], v[114:115]
	v_fma_f64 v[118:119], -v[114:115], v[116:117], 1.0
	v_fma_f64 v[116:117], v[116:117], v[118:119], v[116:117]
	v_fma_f64 v[118:119], -v[114:115], v[116:117], 1.0
	v_fma_f64 v[116:117], v[116:117], v[118:119], v[116:117]
	v_mul_f64 v[118:119], v[120:121], v[116:117]
	v_fma_f64 v[114:115], -v[114:115], v[118:119], v[120:121]
	v_div_fmas_f64 v[114:115], v[114:115], v[116:117], v[118:119]
	v_div_fixup_f64 v[121:122], v[114:115], v[112:113], 1.0
	v_mul_f64 v[123:124], v[110:111], -v[121:122]
.LBB62_471:
	s_or_b64 exec, exec, s[18:19]
.LBB62_472:
	s_or_b64 exec, exec, s[0:1]
	v_cmp_ne_u32_e32 vcc, v108, v109
	s_and_saveexec_b64 s[0:1], vcc
	s_xor_b64 s[0:1], exec, s[0:1]
	s_cbranch_execz .LBB62_478
; %bb.473:
	v_cmp_eq_u32_e32 vcc, 22, v108
	s_and_saveexec_b64 s[18:19], vcc
	s_cbranch_execz .LBB62_477
; %bb.474:
	v_cmp_ne_u32_e32 vcc, 22, v109
	s_xor_b64 s[20:21], s[6:7], -1
	s_and_b64 s[22:23], s[20:21], vcc
	s_and_saveexec_b64 s[20:21], s[22:23]
	s_cbranch_execz .LBB62_476
; %bb.475:
	buffer_load_dword v112, off, s[24:27], 0 offset:64 ; 4-byte Folded Reload
	buffer_load_dword v113, off, s[24:27], 0 offset:68 ; 4-byte Folded Reload
	v_ashrrev_i32_e32 v110, 31, v109
	v_lshlrev_b64 v[110:111], 2, v[109:110]
	s_waitcnt vmcnt(1)
	v_add_co_u32_e32 v110, vcc, v112, v110
	s_waitcnt vmcnt(0)
	v_addc_co_u32_e32 v111, vcc, v113, v111, vcc
	global_load_dword v0, v[110:111], off
	global_load_dword v108, v[112:113], off offset:88
	s_waitcnt vmcnt(1)
	global_store_dword v[112:113], v0, off offset:88
	s_waitcnt vmcnt(1)
	global_store_dword v[110:111], v108, off
.LBB62_476:
	s_or_b64 exec, exec, s[20:21]
	v_mov_b32_e32 v108, v109
	v_mov_b32_e32 v0, v109
.LBB62_477:
	s_or_b64 exec, exec, s[18:19]
.LBB62_478:
	s_andn2_saveexec_b64 s[0:1], s[0:1]
	s_cbranch_execz .LBB62_480
; %bb.479:
	v_mov_b32_e32 v108, 22
	ds_write2_b64 v106, v[29:30], v[31:32] offset0:46 offset1:47
	ds_write2_b64 v106, v[25:26], v[27:28] offset0:48 offset1:49
	;; [unrolled: 1-line block ×9, first 2 shown]
.LBB62_480:
	s_or_b64 exec, exec, s[0:1]
	v_cmp_lt_i32_e32 vcc, 22, v108
	s_waitcnt vmcnt(0) lgkmcnt(0)
	s_barrier
	s_and_saveexec_b64 s[0:1], vcc
	s_cbranch_execz .LBB62_482
; %bb.481:
	v_mul_f64 v[109:110], v[121:122], v[35:36]
	v_mul_f64 v[35:36], v[123:124], v[35:36]
	ds_read2_b64 v[111:114], v106 offset0:46 offset1:47
	v_fma_f64 v[109:110], v[123:124], v[33:34], v[109:110]
	v_fma_f64 v[33:34], v[121:122], v[33:34], -v[35:36]
	s_waitcnt lgkmcnt(0)
	v_mul_f64 v[35:36], v[113:114], v[109:110]
	v_fma_f64 v[35:36], v[111:112], v[33:34], -v[35:36]
	v_mul_f64 v[111:112], v[111:112], v[109:110]
	v_add_f64 v[29:30], v[29:30], -v[35:36]
	v_fma_f64 v[111:112], v[113:114], v[33:34], v[111:112]
	v_add_f64 v[31:32], v[31:32], -v[111:112]
	ds_read2_b64 v[111:114], v106 offset0:48 offset1:49
	s_waitcnt lgkmcnt(0)
	v_mul_f64 v[35:36], v[113:114], v[109:110]
	v_fma_f64 v[35:36], v[111:112], v[33:34], -v[35:36]
	v_mul_f64 v[111:112], v[111:112], v[109:110]
	v_add_f64 v[25:26], v[25:26], -v[35:36]
	v_fma_f64 v[111:112], v[113:114], v[33:34], v[111:112]
	v_add_f64 v[27:28], v[27:28], -v[111:112]
	ds_read2_b64 v[111:114], v106 offset0:50 offset1:51
	;; [unrolled: 8-line block ×8, first 2 shown]
	s_waitcnt lgkmcnt(0)
	v_mul_f64 v[35:36], v[113:114], v[109:110]
	v_fma_f64 v[35:36], v[111:112], v[33:34], -v[35:36]
	v_mul_f64 v[111:112], v[111:112], v[109:110]
	v_add_f64 v[85:86], v[85:86], -v[35:36]
	v_fma_f64 v[111:112], v[113:114], v[33:34], v[111:112]
	v_mov_b32_e32 v35, v109
	v_mov_b32_e32 v36, v110
	v_add_f64 v[87:88], v[87:88], -v[111:112]
.LBB62_482:
	s_or_b64 exec, exec, s[0:1]
	v_lshl_add_u32 v109, v108, 4, v106
	s_barrier
	ds_write2_b64 v109, v[29:30], v[31:32] offset1:1
	s_waitcnt lgkmcnt(0)
	s_barrier
	ds_read2_b64 v[121:124], v106 offset0:46 offset1:47
	s_cmp_lt_i32 s3, 25
	v_mov_b32_e32 v109, 23
	s_cbranch_scc1 .LBB62_485
; %bb.483:
	v_add_u32_e32 v110, 0x180, v106
	s_mov_b32 s0, 24
	v_mov_b32_e32 v109, 23
.LBB62_484:                             ; =>This Inner Loop Header: Depth=1
	s_waitcnt lgkmcnt(0)
	v_cmp_gt_f64_e32 vcc, 0, v[121:122]
	v_xor_b32_e32 v115, 0x80000000, v122
	ds_read2_b64 v[111:114], v110 offset1:1
	v_xor_b32_e32 v117, 0x80000000, v124
	v_add_u32_e32 v110, 16, v110
	s_waitcnt lgkmcnt(0)
	v_xor_b32_e32 v119, 0x80000000, v114
	v_cndmask_b32_e32 v116, v122, v115, vcc
	v_cmp_gt_f64_e32 vcc, 0, v[123:124]
	v_mov_b32_e32 v115, v121
	v_cndmask_b32_e32 v118, v124, v117, vcc
	v_cmp_gt_f64_e32 vcc, 0, v[111:112]
	v_mov_b32_e32 v117, v123
	v_add_f64 v[115:116], v[115:116], v[117:118]
	v_xor_b32_e32 v117, 0x80000000, v112
	v_cndmask_b32_e32 v118, v112, v117, vcc
	v_cmp_gt_f64_e32 vcc, 0, v[113:114]
	v_mov_b32_e32 v117, v111
	v_cndmask_b32_e32 v120, v114, v119, vcc
	v_mov_b32_e32 v119, v113
	v_add_f64 v[117:118], v[117:118], v[119:120]
	v_cmp_lt_f64_e32 vcc, v[115:116], v[117:118]
	v_cndmask_b32_e32 v121, v121, v111, vcc
	v_mov_b32_e32 v111, s0
	s_add_i32 s0, s0, 1
	v_cndmask_b32_e32 v122, v122, v112, vcc
	v_cndmask_b32_e32 v124, v124, v114, vcc
	;; [unrolled: 1-line block ×4, first 2 shown]
	s_cmp_lg_u32 s3, s0
	s_cbranch_scc1 .LBB62_484
.LBB62_485:
	s_waitcnt lgkmcnt(0)
	v_cmp_eq_f64_e32 vcc, 0, v[121:122]
	v_cmp_eq_f64_e64 s[0:1], 0, v[123:124]
	s_and_b64 s[0:1], vcc, s[0:1]
	s_and_saveexec_b64 s[18:19], s[0:1]
	s_xor_b64 s[0:1], exec, s[18:19]
; %bb.486:
	v_cmp_ne_u32_e32 vcc, 0, v107
	v_cndmask_b32_e32 v107, 24, v107, vcc
; %bb.487:
	s_andn2_saveexec_b64 s[0:1], s[0:1]
	s_cbranch_execz .LBB62_493
; %bb.488:
	v_cmp_ngt_f64_e64 s[18:19], |v[121:122]|, |v[123:124]|
	s_and_saveexec_b64 s[20:21], s[18:19]
	s_xor_b64 s[18:19], exec, s[20:21]
	s_cbranch_execz .LBB62_490
; %bb.489:
	v_div_scale_f64 v[110:111], s[20:21], v[123:124], v[123:124], v[121:122]
	v_rcp_f64_e32 v[112:113], v[110:111]
	v_fma_f64 v[114:115], -v[110:111], v[112:113], 1.0
	v_fma_f64 v[112:113], v[112:113], v[114:115], v[112:113]
	v_div_scale_f64 v[114:115], vcc, v[121:122], v[123:124], v[121:122]
	v_fma_f64 v[116:117], -v[110:111], v[112:113], 1.0
	v_fma_f64 v[112:113], v[112:113], v[116:117], v[112:113]
	v_mul_f64 v[116:117], v[114:115], v[112:113]
	v_fma_f64 v[110:111], -v[110:111], v[116:117], v[114:115]
	v_div_fmas_f64 v[110:111], v[110:111], v[112:113], v[116:117]
	v_div_fixup_f64 v[110:111], v[110:111], v[123:124], v[121:122]
	v_fma_f64 v[112:113], v[121:122], v[110:111], v[123:124]
	v_div_scale_f64 v[114:115], s[20:21], v[112:113], v[112:113], 1.0
	v_div_scale_f64 v[120:121], vcc, 1.0, v[112:113], 1.0
	v_rcp_f64_e32 v[116:117], v[114:115]
	v_fma_f64 v[118:119], -v[114:115], v[116:117], 1.0
	v_fma_f64 v[116:117], v[116:117], v[118:119], v[116:117]
	v_fma_f64 v[118:119], -v[114:115], v[116:117], 1.0
	v_fma_f64 v[116:117], v[116:117], v[118:119], v[116:117]
	v_mul_f64 v[118:119], v[120:121], v[116:117]
	v_fma_f64 v[114:115], -v[114:115], v[118:119], v[120:121]
	v_div_fmas_f64 v[114:115], v[114:115], v[116:117], v[118:119]
	v_div_fixup_f64 v[123:124], v[114:115], v[112:113], 1.0
	v_mul_f64 v[121:122], v[110:111], v[123:124]
	v_xor_b32_e32 v124, 0x80000000, v124
.LBB62_490:
	s_andn2_saveexec_b64 s[18:19], s[18:19]
	s_cbranch_execz .LBB62_492
; %bb.491:
	v_div_scale_f64 v[110:111], s[20:21], v[121:122], v[121:122], v[123:124]
	v_rcp_f64_e32 v[112:113], v[110:111]
	v_fma_f64 v[114:115], -v[110:111], v[112:113], 1.0
	v_fma_f64 v[112:113], v[112:113], v[114:115], v[112:113]
	v_div_scale_f64 v[114:115], vcc, v[123:124], v[121:122], v[123:124]
	v_fma_f64 v[116:117], -v[110:111], v[112:113], 1.0
	v_fma_f64 v[112:113], v[112:113], v[116:117], v[112:113]
	v_mul_f64 v[116:117], v[114:115], v[112:113]
	v_fma_f64 v[110:111], -v[110:111], v[116:117], v[114:115]
	v_div_fmas_f64 v[110:111], v[110:111], v[112:113], v[116:117]
	v_div_fixup_f64 v[110:111], v[110:111], v[121:122], v[123:124]
	v_fma_f64 v[112:113], v[123:124], v[110:111], v[121:122]
	v_div_scale_f64 v[114:115], s[20:21], v[112:113], v[112:113], 1.0
	v_div_scale_f64 v[120:121], vcc, 1.0, v[112:113], 1.0
	v_rcp_f64_e32 v[116:117], v[114:115]
	v_fma_f64 v[118:119], -v[114:115], v[116:117], 1.0
	v_fma_f64 v[116:117], v[116:117], v[118:119], v[116:117]
	v_fma_f64 v[118:119], -v[114:115], v[116:117], 1.0
	v_fma_f64 v[116:117], v[116:117], v[118:119], v[116:117]
	v_mul_f64 v[118:119], v[120:121], v[116:117]
	v_fma_f64 v[114:115], -v[114:115], v[118:119], v[120:121]
	v_div_fmas_f64 v[114:115], v[114:115], v[116:117], v[118:119]
	v_div_fixup_f64 v[121:122], v[114:115], v[112:113], 1.0
	v_mul_f64 v[123:124], v[110:111], -v[121:122]
.LBB62_492:
	s_or_b64 exec, exec, s[18:19]
.LBB62_493:
	s_or_b64 exec, exec, s[0:1]
	v_cmp_ne_u32_e32 vcc, v108, v109
	s_and_saveexec_b64 s[0:1], vcc
	s_xor_b64 s[0:1], exec, s[0:1]
	s_cbranch_execz .LBB62_499
; %bb.494:
	v_cmp_eq_u32_e32 vcc, 23, v108
	s_and_saveexec_b64 s[18:19], vcc
	s_cbranch_execz .LBB62_498
; %bb.495:
	v_cmp_ne_u32_e32 vcc, 23, v109
	s_xor_b64 s[20:21], s[6:7], -1
	s_and_b64 s[22:23], s[20:21], vcc
	s_and_saveexec_b64 s[20:21], s[22:23]
	s_cbranch_execz .LBB62_497
; %bb.496:
	buffer_load_dword v112, off, s[24:27], 0 offset:64 ; 4-byte Folded Reload
	buffer_load_dword v113, off, s[24:27], 0 offset:68 ; 4-byte Folded Reload
	v_ashrrev_i32_e32 v110, 31, v109
	v_lshlrev_b64 v[110:111], 2, v[109:110]
	s_waitcnt vmcnt(1)
	v_add_co_u32_e32 v110, vcc, v112, v110
	s_waitcnt vmcnt(0)
	v_addc_co_u32_e32 v111, vcc, v113, v111, vcc
	global_load_dword v0, v[110:111], off
	global_load_dword v108, v[112:113], off offset:92
	s_waitcnt vmcnt(1)
	global_store_dword v[112:113], v0, off offset:92
	s_waitcnt vmcnt(1)
	global_store_dword v[110:111], v108, off
.LBB62_497:
	s_or_b64 exec, exec, s[20:21]
	v_mov_b32_e32 v108, v109
	v_mov_b32_e32 v0, v109
.LBB62_498:
	s_or_b64 exec, exec, s[18:19]
.LBB62_499:
	s_andn2_saveexec_b64 s[0:1], s[0:1]
	s_cbranch_execz .LBB62_501
; %bb.500:
	v_mov_b32_e32 v108, 23
	ds_write2_b64 v106, v[25:26], v[27:28] offset0:48 offset1:49
	ds_write2_b64 v106, v[21:22], v[23:24] offset0:50 offset1:51
	;; [unrolled: 1-line block ×8, first 2 shown]
.LBB62_501:
	s_or_b64 exec, exec, s[0:1]
	v_cmp_lt_i32_e32 vcc, 23, v108
	s_waitcnt vmcnt(0) lgkmcnt(0)
	s_barrier
	s_and_saveexec_b64 s[0:1], vcc
	s_cbranch_execz .LBB62_503
; %bb.502:
	v_mul_f64 v[109:110], v[121:122], v[31:32]
	v_mul_f64 v[31:32], v[123:124], v[31:32]
	ds_read2_b64 v[111:114], v106 offset0:48 offset1:49
	v_fma_f64 v[109:110], v[123:124], v[29:30], v[109:110]
	v_fma_f64 v[29:30], v[121:122], v[29:30], -v[31:32]
	s_waitcnt lgkmcnt(0)
	v_mul_f64 v[31:32], v[113:114], v[109:110]
	v_fma_f64 v[31:32], v[111:112], v[29:30], -v[31:32]
	v_mul_f64 v[111:112], v[111:112], v[109:110]
	v_add_f64 v[25:26], v[25:26], -v[31:32]
	v_fma_f64 v[111:112], v[113:114], v[29:30], v[111:112]
	v_add_f64 v[27:28], v[27:28], -v[111:112]
	ds_read2_b64 v[111:114], v106 offset0:50 offset1:51
	s_waitcnt lgkmcnt(0)
	v_mul_f64 v[31:32], v[113:114], v[109:110]
	v_fma_f64 v[31:32], v[111:112], v[29:30], -v[31:32]
	v_mul_f64 v[111:112], v[111:112], v[109:110]
	v_add_f64 v[21:22], v[21:22], -v[31:32]
	v_fma_f64 v[111:112], v[113:114], v[29:30], v[111:112]
	v_add_f64 v[23:24], v[23:24], -v[111:112]
	ds_read2_b64 v[111:114], v106 offset0:52 offset1:53
	;; [unrolled: 8-line block ×7, first 2 shown]
	s_waitcnt lgkmcnt(0)
	v_mul_f64 v[31:32], v[113:114], v[109:110]
	v_fma_f64 v[31:32], v[111:112], v[29:30], -v[31:32]
	v_mul_f64 v[111:112], v[111:112], v[109:110]
	v_add_f64 v[85:86], v[85:86], -v[31:32]
	v_fma_f64 v[111:112], v[113:114], v[29:30], v[111:112]
	v_mov_b32_e32 v31, v109
	v_mov_b32_e32 v32, v110
	v_add_f64 v[87:88], v[87:88], -v[111:112]
.LBB62_503:
	s_or_b64 exec, exec, s[0:1]
	v_lshl_add_u32 v109, v108, 4, v106
	s_barrier
	ds_write2_b64 v109, v[25:26], v[27:28] offset1:1
	s_waitcnt lgkmcnt(0)
	s_barrier
	ds_read2_b64 v[121:124], v106 offset0:48 offset1:49
	s_cmp_lt_i32 s3, 26
	v_mov_b32_e32 v109, 24
	s_cbranch_scc1 .LBB62_506
; %bb.504:
	v_add_u32_e32 v110, 0x190, v106
	s_mov_b32 s0, 25
	v_mov_b32_e32 v109, 24
.LBB62_505:                             ; =>This Inner Loop Header: Depth=1
	s_waitcnt lgkmcnt(0)
	v_cmp_gt_f64_e32 vcc, 0, v[121:122]
	v_xor_b32_e32 v115, 0x80000000, v122
	ds_read2_b64 v[111:114], v110 offset1:1
	v_xor_b32_e32 v117, 0x80000000, v124
	v_add_u32_e32 v110, 16, v110
	s_waitcnt lgkmcnt(0)
	v_xor_b32_e32 v119, 0x80000000, v114
	v_cndmask_b32_e32 v116, v122, v115, vcc
	v_cmp_gt_f64_e32 vcc, 0, v[123:124]
	v_mov_b32_e32 v115, v121
	v_cndmask_b32_e32 v118, v124, v117, vcc
	v_cmp_gt_f64_e32 vcc, 0, v[111:112]
	v_mov_b32_e32 v117, v123
	v_add_f64 v[115:116], v[115:116], v[117:118]
	v_xor_b32_e32 v117, 0x80000000, v112
	v_cndmask_b32_e32 v118, v112, v117, vcc
	v_cmp_gt_f64_e32 vcc, 0, v[113:114]
	v_mov_b32_e32 v117, v111
	v_cndmask_b32_e32 v120, v114, v119, vcc
	v_mov_b32_e32 v119, v113
	v_add_f64 v[117:118], v[117:118], v[119:120]
	v_cmp_lt_f64_e32 vcc, v[115:116], v[117:118]
	v_cndmask_b32_e32 v121, v121, v111, vcc
	v_mov_b32_e32 v111, s0
	s_add_i32 s0, s0, 1
	v_cndmask_b32_e32 v122, v122, v112, vcc
	v_cndmask_b32_e32 v124, v124, v114, vcc
	;; [unrolled: 1-line block ×4, first 2 shown]
	s_cmp_lg_u32 s3, s0
	s_cbranch_scc1 .LBB62_505
.LBB62_506:
	s_waitcnt lgkmcnt(0)
	v_cmp_eq_f64_e32 vcc, 0, v[121:122]
	v_cmp_eq_f64_e64 s[0:1], 0, v[123:124]
	s_and_b64 s[0:1], vcc, s[0:1]
	s_and_saveexec_b64 s[18:19], s[0:1]
	s_xor_b64 s[0:1], exec, s[18:19]
; %bb.507:
	v_cmp_ne_u32_e32 vcc, 0, v107
	v_cndmask_b32_e32 v107, 25, v107, vcc
; %bb.508:
	s_andn2_saveexec_b64 s[0:1], s[0:1]
	s_cbranch_execz .LBB62_514
; %bb.509:
	v_cmp_ngt_f64_e64 s[18:19], |v[121:122]|, |v[123:124]|
	s_and_saveexec_b64 s[20:21], s[18:19]
	s_xor_b64 s[18:19], exec, s[20:21]
	s_cbranch_execz .LBB62_511
; %bb.510:
	v_div_scale_f64 v[110:111], s[20:21], v[123:124], v[123:124], v[121:122]
	v_rcp_f64_e32 v[112:113], v[110:111]
	v_fma_f64 v[114:115], -v[110:111], v[112:113], 1.0
	v_fma_f64 v[112:113], v[112:113], v[114:115], v[112:113]
	v_div_scale_f64 v[114:115], vcc, v[121:122], v[123:124], v[121:122]
	v_fma_f64 v[116:117], -v[110:111], v[112:113], 1.0
	v_fma_f64 v[112:113], v[112:113], v[116:117], v[112:113]
	v_mul_f64 v[116:117], v[114:115], v[112:113]
	v_fma_f64 v[110:111], -v[110:111], v[116:117], v[114:115]
	v_div_fmas_f64 v[110:111], v[110:111], v[112:113], v[116:117]
	v_div_fixup_f64 v[110:111], v[110:111], v[123:124], v[121:122]
	v_fma_f64 v[112:113], v[121:122], v[110:111], v[123:124]
	v_div_scale_f64 v[114:115], s[20:21], v[112:113], v[112:113], 1.0
	v_div_scale_f64 v[120:121], vcc, 1.0, v[112:113], 1.0
	v_rcp_f64_e32 v[116:117], v[114:115]
	v_fma_f64 v[118:119], -v[114:115], v[116:117], 1.0
	v_fma_f64 v[116:117], v[116:117], v[118:119], v[116:117]
	v_fma_f64 v[118:119], -v[114:115], v[116:117], 1.0
	v_fma_f64 v[116:117], v[116:117], v[118:119], v[116:117]
	v_mul_f64 v[118:119], v[120:121], v[116:117]
	v_fma_f64 v[114:115], -v[114:115], v[118:119], v[120:121]
	v_div_fmas_f64 v[114:115], v[114:115], v[116:117], v[118:119]
	v_div_fixup_f64 v[123:124], v[114:115], v[112:113], 1.0
	v_mul_f64 v[121:122], v[110:111], v[123:124]
	v_xor_b32_e32 v124, 0x80000000, v124
.LBB62_511:
	s_andn2_saveexec_b64 s[18:19], s[18:19]
	s_cbranch_execz .LBB62_513
; %bb.512:
	v_div_scale_f64 v[110:111], s[20:21], v[121:122], v[121:122], v[123:124]
	v_rcp_f64_e32 v[112:113], v[110:111]
	v_fma_f64 v[114:115], -v[110:111], v[112:113], 1.0
	v_fma_f64 v[112:113], v[112:113], v[114:115], v[112:113]
	v_div_scale_f64 v[114:115], vcc, v[123:124], v[121:122], v[123:124]
	v_fma_f64 v[116:117], -v[110:111], v[112:113], 1.0
	v_fma_f64 v[112:113], v[112:113], v[116:117], v[112:113]
	v_mul_f64 v[116:117], v[114:115], v[112:113]
	v_fma_f64 v[110:111], -v[110:111], v[116:117], v[114:115]
	v_div_fmas_f64 v[110:111], v[110:111], v[112:113], v[116:117]
	v_div_fixup_f64 v[110:111], v[110:111], v[121:122], v[123:124]
	v_fma_f64 v[112:113], v[123:124], v[110:111], v[121:122]
	v_div_scale_f64 v[114:115], s[20:21], v[112:113], v[112:113], 1.0
	v_div_scale_f64 v[120:121], vcc, 1.0, v[112:113], 1.0
	v_rcp_f64_e32 v[116:117], v[114:115]
	v_fma_f64 v[118:119], -v[114:115], v[116:117], 1.0
	v_fma_f64 v[116:117], v[116:117], v[118:119], v[116:117]
	v_fma_f64 v[118:119], -v[114:115], v[116:117], 1.0
	v_fma_f64 v[116:117], v[116:117], v[118:119], v[116:117]
	v_mul_f64 v[118:119], v[120:121], v[116:117]
	v_fma_f64 v[114:115], -v[114:115], v[118:119], v[120:121]
	v_div_fmas_f64 v[114:115], v[114:115], v[116:117], v[118:119]
	v_div_fixup_f64 v[121:122], v[114:115], v[112:113], 1.0
	v_mul_f64 v[123:124], v[110:111], -v[121:122]
.LBB62_513:
	s_or_b64 exec, exec, s[18:19]
.LBB62_514:
	s_or_b64 exec, exec, s[0:1]
	v_cmp_ne_u32_e32 vcc, v108, v109
	s_and_saveexec_b64 s[0:1], vcc
	s_xor_b64 s[0:1], exec, s[0:1]
	s_cbranch_execz .LBB62_520
; %bb.515:
	v_cmp_eq_u32_e32 vcc, 24, v108
	s_and_saveexec_b64 s[18:19], vcc
	s_cbranch_execz .LBB62_519
; %bb.516:
	v_cmp_ne_u32_e32 vcc, 24, v109
	s_xor_b64 s[20:21], s[6:7], -1
	s_and_b64 s[22:23], s[20:21], vcc
	s_and_saveexec_b64 s[20:21], s[22:23]
	s_cbranch_execz .LBB62_518
; %bb.517:
	buffer_load_dword v112, off, s[24:27], 0 offset:64 ; 4-byte Folded Reload
	buffer_load_dword v113, off, s[24:27], 0 offset:68 ; 4-byte Folded Reload
	v_ashrrev_i32_e32 v110, 31, v109
	v_lshlrev_b64 v[110:111], 2, v[109:110]
	s_waitcnt vmcnt(1)
	v_add_co_u32_e32 v110, vcc, v112, v110
	s_waitcnt vmcnt(0)
	v_addc_co_u32_e32 v111, vcc, v113, v111, vcc
	global_load_dword v0, v[110:111], off
	global_load_dword v108, v[112:113], off offset:96
	s_waitcnt vmcnt(1)
	global_store_dword v[112:113], v0, off offset:96
	s_waitcnt vmcnt(1)
	global_store_dword v[110:111], v108, off
.LBB62_518:
	s_or_b64 exec, exec, s[20:21]
	v_mov_b32_e32 v108, v109
	v_mov_b32_e32 v0, v109
.LBB62_519:
	s_or_b64 exec, exec, s[18:19]
.LBB62_520:
	s_andn2_saveexec_b64 s[0:1], s[0:1]
	s_cbranch_execz .LBB62_522
; %bb.521:
	v_mov_b32_e32 v108, 24
	ds_write2_b64 v106, v[21:22], v[23:24] offset0:50 offset1:51
	ds_write2_b64 v106, v[17:18], v[19:20] offset0:52 offset1:53
	;; [unrolled: 1-line block ×7, first 2 shown]
.LBB62_522:
	s_or_b64 exec, exec, s[0:1]
	v_cmp_lt_i32_e32 vcc, 24, v108
	s_waitcnt vmcnt(0) lgkmcnt(0)
	s_barrier
	s_and_saveexec_b64 s[0:1], vcc
	s_cbranch_execz .LBB62_524
; %bb.523:
	v_mul_f64 v[109:110], v[121:122], v[27:28]
	v_mul_f64 v[27:28], v[123:124], v[27:28]
	ds_read2_b64 v[111:114], v106 offset0:50 offset1:51
	v_fma_f64 v[109:110], v[123:124], v[25:26], v[109:110]
	v_fma_f64 v[25:26], v[121:122], v[25:26], -v[27:28]
	s_waitcnt lgkmcnt(0)
	v_mul_f64 v[27:28], v[113:114], v[109:110]
	v_fma_f64 v[27:28], v[111:112], v[25:26], -v[27:28]
	v_mul_f64 v[111:112], v[111:112], v[109:110]
	v_add_f64 v[21:22], v[21:22], -v[27:28]
	v_fma_f64 v[111:112], v[113:114], v[25:26], v[111:112]
	v_add_f64 v[23:24], v[23:24], -v[111:112]
	ds_read2_b64 v[111:114], v106 offset0:52 offset1:53
	s_waitcnt lgkmcnt(0)
	v_mul_f64 v[27:28], v[113:114], v[109:110]
	v_fma_f64 v[27:28], v[111:112], v[25:26], -v[27:28]
	v_mul_f64 v[111:112], v[111:112], v[109:110]
	v_add_f64 v[17:18], v[17:18], -v[27:28]
	v_fma_f64 v[111:112], v[113:114], v[25:26], v[111:112]
	v_add_f64 v[19:20], v[19:20], -v[111:112]
	ds_read2_b64 v[111:114], v106 offset0:54 offset1:55
	;; [unrolled: 8-line block ×6, first 2 shown]
	s_waitcnt lgkmcnt(0)
	v_mul_f64 v[27:28], v[113:114], v[109:110]
	v_fma_f64 v[27:28], v[111:112], v[25:26], -v[27:28]
	v_mul_f64 v[111:112], v[111:112], v[109:110]
	v_add_f64 v[85:86], v[85:86], -v[27:28]
	v_fma_f64 v[111:112], v[113:114], v[25:26], v[111:112]
	v_mov_b32_e32 v27, v109
	v_mov_b32_e32 v28, v110
	v_add_f64 v[87:88], v[87:88], -v[111:112]
.LBB62_524:
	s_or_b64 exec, exec, s[0:1]
	v_lshl_add_u32 v109, v108, 4, v106
	s_barrier
	ds_write2_b64 v109, v[21:22], v[23:24] offset1:1
	s_waitcnt lgkmcnt(0)
	s_barrier
	ds_read2_b64 v[121:124], v106 offset0:50 offset1:51
	s_cmp_lt_i32 s3, 27
	v_mov_b32_e32 v109, 25
	s_cbranch_scc1 .LBB62_527
; %bb.525:
	v_add_u32_e32 v110, 0x1a0, v106
	s_mov_b32 s0, 26
	v_mov_b32_e32 v109, 25
.LBB62_526:                             ; =>This Inner Loop Header: Depth=1
	s_waitcnt lgkmcnt(0)
	v_cmp_gt_f64_e32 vcc, 0, v[121:122]
	v_xor_b32_e32 v115, 0x80000000, v122
	ds_read2_b64 v[111:114], v110 offset1:1
	v_xor_b32_e32 v117, 0x80000000, v124
	v_add_u32_e32 v110, 16, v110
	s_waitcnt lgkmcnt(0)
	v_xor_b32_e32 v119, 0x80000000, v114
	v_cndmask_b32_e32 v116, v122, v115, vcc
	v_cmp_gt_f64_e32 vcc, 0, v[123:124]
	v_mov_b32_e32 v115, v121
	v_cndmask_b32_e32 v118, v124, v117, vcc
	v_cmp_gt_f64_e32 vcc, 0, v[111:112]
	v_mov_b32_e32 v117, v123
	v_add_f64 v[115:116], v[115:116], v[117:118]
	v_xor_b32_e32 v117, 0x80000000, v112
	v_cndmask_b32_e32 v118, v112, v117, vcc
	v_cmp_gt_f64_e32 vcc, 0, v[113:114]
	v_mov_b32_e32 v117, v111
	v_cndmask_b32_e32 v120, v114, v119, vcc
	v_mov_b32_e32 v119, v113
	v_add_f64 v[117:118], v[117:118], v[119:120]
	v_cmp_lt_f64_e32 vcc, v[115:116], v[117:118]
	v_cndmask_b32_e32 v121, v121, v111, vcc
	v_mov_b32_e32 v111, s0
	s_add_i32 s0, s0, 1
	v_cndmask_b32_e32 v122, v122, v112, vcc
	v_cndmask_b32_e32 v124, v124, v114, vcc
	;; [unrolled: 1-line block ×4, first 2 shown]
	s_cmp_lg_u32 s3, s0
	s_cbranch_scc1 .LBB62_526
.LBB62_527:
	s_waitcnt lgkmcnt(0)
	v_cmp_eq_f64_e32 vcc, 0, v[121:122]
	v_cmp_eq_f64_e64 s[0:1], 0, v[123:124]
	s_and_b64 s[0:1], vcc, s[0:1]
	s_and_saveexec_b64 s[18:19], s[0:1]
	s_xor_b64 s[0:1], exec, s[18:19]
; %bb.528:
	v_cmp_ne_u32_e32 vcc, 0, v107
	v_cndmask_b32_e32 v107, 26, v107, vcc
; %bb.529:
	s_andn2_saveexec_b64 s[0:1], s[0:1]
	s_cbranch_execz .LBB62_535
; %bb.530:
	v_cmp_ngt_f64_e64 s[18:19], |v[121:122]|, |v[123:124]|
	s_and_saveexec_b64 s[20:21], s[18:19]
	s_xor_b64 s[18:19], exec, s[20:21]
	s_cbranch_execz .LBB62_532
; %bb.531:
	v_div_scale_f64 v[110:111], s[20:21], v[123:124], v[123:124], v[121:122]
	v_rcp_f64_e32 v[112:113], v[110:111]
	v_fma_f64 v[114:115], -v[110:111], v[112:113], 1.0
	v_fma_f64 v[112:113], v[112:113], v[114:115], v[112:113]
	v_div_scale_f64 v[114:115], vcc, v[121:122], v[123:124], v[121:122]
	v_fma_f64 v[116:117], -v[110:111], v[112:113], 1.0
	v_fma_f64 v[112:113], v[112:113], v[116:117], v[112:113]
	v_mul_f64 v[116:117], v[114:115], v[112:113]
	v_fma_f64 v[110:111], -v[110:111], v[116:117], v[114:115]
	v_div_fmas_f64 v[110:111], v[110:111], v[112:113], v[116:117]
	v_div_fixup_f64 v[110:111], v[110:111], v[123:124], v[121:122]
	v_fma_f64 v[112:113], v[121:122], v[110:111], v[123:124]
	v_div_scale_f64 v[114:115], s[20:21], v[112:113], v[112:113], 1.0
	v_div_scale_f64 v[120:121], vcc, 1.0, v[112:113], 1.0
	v_rcp_f64_e32 v[116:117], v[114:115]
	v_fma_f64 v[118:119], -v[114:115], v[116:117], 1.0
	v_fma_f64 v[116:117], v[116:117], v[118:119], v[116:117]
	v_fma_f64 v[118:119], -v[114:115], v[116:117], 1.0
	v_fma_f64 v[116:117], v[116:117], v[118:119], v[116:117]
	v_mul_f64 v[118:119], v[120:121], v[116:117]
	v_fma_f64 v[114:115], -v[114:115], v[118:119], v[120:121]
	v_div_fmas_f64 v[114:115], v[114:115], v[116:117], v[118:119]
	v_div_fixup_f64 v[123:124], v[114:115], v[112:113], 1.0
	v_mul_f64 v[121:122], v[110:111], v[123:124]
	v_xor_b32_e32 v124, 0x80000000, v124
.LBB62_532:
	s_andn2_saveexec_b64 s[18:19], s[18:19]
	s_cbranch_execz .LBB62_534
; %bb.533:
	v_div_scale_f64 v[110:111], s[20:21], v[121:122], v[121:122], v[123:124]
	v_rcp_f64_e32 v[112:113], v[110:111]
	v_fma_f64 v[114:115], -v[110:111], v[112:113], 1.0
	v_fma_f64 v[112:113], v[112:113], v[114:115], v[112:113]
	v_div_scale_f64 v[114:115], vcc, v[123:124], v[121:122], v[123:124]
	v_fma_f64 v[116:117], -v[110:111], v[112:113], 1.0
	v_fma_f64 v[112:113], v[112:113], v[116:117], v[112:113]
	v_mul_f64 v[116:117], v[114:115], v[112:113]
	v_fma_f64 v[110:111], -v[110:111], v[116:117], v[114:115]
	v_div_fmas_f64 v[110:111], v[110:111], v[112:113], v[116:117]
	v_div_fixup_f64 v[110:111], v[110:111], v[121:122], v[123:124]
	v_fma_f64 v[112:113], v[123:124], v[110:111], v[121:122]
	v_div_scale_f64 v[114:115], s[20:21], v[112:113], v[112:113], 1.0
	v_div_scale_f64 v[120:121], vcc, 1.0, v[112:113], 1.0
	v_rcp_f64_e32 v[116:117], v[114:115]
	v_fma_f64 v[118:119], -v[114:115], v[116:117], 1.0
	v_fma_f64 v[116:117], v[116:117], v[118:119], v[116:117]
	v_fma_f64 v[118:119], -v[114:115], v[116:117], 1.0
	v_fma_f64 v[116:117], v[116:117], v[118:119], v[116:117]
	v_mul_f64 v[118:119], v[120:121], v[116:117]
	v_fma_f64 v[114:115], -v[114:115], v[118:119], v[120:121]
	v_div_fmas_f64 v[114:115], v[114:115], v[116:117], v[118:119]
	v_div_fixup_f64 v[121:122], v[114:115], v[112:113], 1.0
	v_mul_f64 v[123:124], v[110:111], -v[121:122]
.LBB62_534:
	s_or_b64 exec, exec, s[18:19]
.LBB62_535:
	s_or_b64 exec, exec, s[0:1]
	v_cmp_ne_u32_e32 vcc, v108, v109
	s_and_saveexec_b64 s[0:1], vcc
	s_xor_b64 s[0:1], exec, s[0:1]
	s_cbranch_execz .LBB62_541
; %bb.536:
	v_cmp_eq_u32_e32 vcc, 25, v108
	s_and_saveexec_b64 s[18:19], vcc
	s_cbranch_execz .LBB62_540
; %bb.537:
	v_cmp_ne_u32_e32 vcc, 25, v109
	s_xor_b64 s[20:21], s[6:7], -1
	s_and_b64 s[22:23], s[20:21], vcc
	s_and_saveexec_b64 s[20:21], s[22:23]
	s_cbranch_execz .LBB62_539
; %bb.538:
	buffer_load_dword v112, off, s[24:27], 0 offset:64 ; 4-byte Folded Reload
	buffer_load_dword v113, off, s[24:27], 0 offset:68 ; 4-byte Folded Reload
	v_ashrrev_i32_e32 v110, 31, v109
	v_lshlrev_b64 v[110:111], 2, v[109:110]
	s_waitcnt vmcnt(1)
	v_add_co_u32_e32 v110, vcc, v112, v110
	s_waitcnt vmcnt(0)
	v_addc_co_u32_e32 v111, vcc, v113, v111, vcc
	global_load_dword v0, v[110:111], off
	global_load_dword v108, v[112:113], off offset:100
	s_waitcnt vmcnt(1)
	global_store_dword v[112:113], v0, off offset:100
	s_waitcnt vmcnt(1)
	global_store_dword v[110:111], v108, off
.LBB62_539:
	s_or_b64 exec, exec, s[20:21]
	v_mov_b32_e32 v108, v109
	v_mov_b32_e32 v0, v109
.LBB62_540:
	s_or_b64 exec, exec, s[18:19]
.LBB62_541:
	s_andn2_saveexec_b64 s[0:1], s[0:1]
	s_cbranch_execz .LBB62_543
; %bb.542:
	v_mov_b32_e32 v108, 25
	ds_write2_b64 v106, v[17:18], v[19:20] offset0:52 offset1:53
	ds_write2_b64 v106, v[13:14], v[15:16] offset0:54 offset1:55
	ds_write2_b64 v106, v[9:10], v[11:12] offset0:56 offset1:57
	ds_write2_b64 v106, v[5:6], v[7:8] offset0:58 offset1:59
	ds_write2_b64 v106, v[1:2], v[3:4] offset0:60 offset1:61
	ds_write2_b64 v106, v[85:86], v[87:88] offset0:62 offset1:63
.LBB62_543:
	s_or_b64 exec, exec, s[0:1]
	v_cmp_lt_i32_e32 vcc, 25, v108
	s_waitcnt vmcnt(0) lgkmcnt(0)
	s_barrier
	s_and_saveexec_b64 s[0:1], vcc
	s_cbranch_execz .LBB62_545
; %bb.544:
	v_mul_f64 v[109:110], v[121:122], v[23:24]
	v_mul_f64 v[23:24], v[123:124], v[23:24]
	ds_read2_b64 v[111:114], v106 offset0:52 offset1:53
	v_fma_f64 v[109:110], v[123:124], v[21:22], v[109:110]
	v_fma_f64 v[21:22], v[121:122], v[21:22], -v[23:24]
	s_waitcnt lgkmcnt(0)
	v_mul_f64 v[23:24], v[113:114], v[109:110]
	v_fma_f64 v[23:24], v[111:112], v[21:22], -v[23:24]
	v_mul_f64 v[111:112], v[111:112], v[109:110]
	v_add_f64 v[17:18], v[17:18], -v[23:24]
	v_fma_f64 v[111:112], v[113:114], v[21:22], v[111:112]
	v_add_f64 v[19:20], v[19:20], -v[111:112]
	ds_read2_b64 v[111:114], v106 offset0:54 offset1:55
	s_waitcnt lgkmcnt(0)
	v_mul_f64 v[23:24], v[113:114], v[109:110]
	v_fma_f64 v[23:24], v[111:112], v[21:22], -v[23:24]
	v_mul_f64 v[111:112], v[111:112], v[109:110]
	v_add_f64 v[13:14], v[13:14], -v[23:24]
	v_fma_f64 v[111:112], v[113:114], v[21:22], v[111:112]
	v_add_f64 v[15:16], v[15:16], -v[111:112]
	ds_read2_b64 v[111:114], v106 offset0:56 offset1:57
	;; [unrolled: 8-line block ×5, first 2 shown]
	s_waitcnt lgkmcnt(0)
	v_mul_f64 v[23:24], v[113:114], v[109:110]
	v_fma_f64 v[23:24], v[111:112], v[21:22], -v[23:24]
	v_mul_f64 v[111:112], v[111:112], v[109:110]
	v_add_f64 v[85:86], v[85:86], -v[23:24]
	v_fma_f64 v[111:112], v[113:114], v[21:22], v[111:112]
	v_mov_b32_e32 v23, v109
	v_mov_b32_e32 v24, v110
	v_add_f64 v[87:88], v[87:88], -v[111:112]
.LBB62_545:
	s_or_b64 exec, exec, s[0:1]
	v_lshl_add_u32 v109, v108, 4, v106
	s_barrier
	ds_write2_b64 v109, v[17:18], v[19:20] offset1:1
	s_waitcnt lgkmcnt(0)
	s_barrier
	ds_read2_b64 v[121:124], v106 offset0:52 offset1:53
	s_cmp_lt_i32 s3, 28
	v_mov_b32_e32 v109, 26
	s_cbranch_scc1 .LBB62_548
; %bb.546:
	v_add_u32_e32 v110, 0x1b0, v106
	s_mov_b32 s0, 27
	v_mov_b32_e32 v109, 26
.LBB62_547:                             ; =>This Inner Loop Header: Depth=1
	s_waitcnt lgkmcnt(0)
	v_cmp_gt_f64_e32 vcc, 0, v[121:122]
	v_xor_b32_e32 v115, 0x80000000, v122
	ds_read2_b64 v[111:114], v110 offset1:1
	v_xor_b32_e32 v117, 0x80000000, v124
	v_add_u32_e32 v110, 16, v110
	s_waitcnt lgkmcnt(0)
	v_xor_b32_e32 v119, 0x80000000, v114
	v_cndmask_b32_e32 v116, v122, v115, vcc
	v_cmp_gt_f64_e32 vcc, 0, v[123:124]
	v_mov_b32_e32 v115, v121
	v_cndmask_b32_e32 v118, v124, v117, vcc
	v_cmp_gt_f64_e32 vcc, 0, v[111:112]
	v_mov_b32_e32 v117, v123
	v_add_f64 v[115:116], v[115:116], v[117:118]
	v_xor_b32_e32 v117, 0x80000000, v112
	v_cndmask_b32_e32 v118, v112, v117, vcc
	v_cmp_gt_f64_e32 vcc, 0, v[113:114]
	v_mov_b32_e32 v117, v111
	v_cndmask_b32_e32 v120, v114, v119, vcc
	v_mov_b32_e32 v119, v113
	v_add_f64 v[117:118], v[117:118], v[119:120]
	v_cmp_lt_f64_e32 vcc, v[115:116], v[117:118]
	v_cndmask_b32_e32 v121, v121, v111, vcc
	v_mov_b32_e32 v111, s0
	s_add_i32 s0, s0, 1
	v_cndmask_b32_e32 v122, v122, v112, vcc
	v_cndmask_b32_e32 v124, v124, v114, vcc
	;; [unrolled: 1-line block ×4, first 2 shown]
	s_cmp_lg_u32 s3, s0
	s_cbranch_scc1 .LBB62_547
.LBB62_548:
	s_waitcnt lgkmcnt(0)
	v_cmp_eq_f64_e32 vcc, 0, v[121:122]
	v_cmp_eq_f64_e64 s[0:1], 0, v[123:124]
	s_and_b64 s[0:1], vcc, s[0:1]
	s_and_saveexec_b64 s[18:19], s[0:1]
	s_xor_b64 s[0:1], exec, s[18:19]
; %bb.549:
	v_cmp_ne_u32_e32 vcc, 0, v107
	v_cndmask_b32_e32 v107, 27, v107, vcc
; %bb.550:
	s_andn2_saveexec_b64 s[0:1], s[0:1]
	s_cbranch_execz .LBB62_556
; %bb.551:
	v_cmp_ngt_f64_e64 s[18:19], |v[121:122]|, |v[123:124]|
	s_and_saveexec_b64 s[20:21], s[18:19]
	s_xor_b64 s[18:19], exec, s[20:21]
	s_cbranch_execz .LBB62_553
; %bb.552:
	v_div_scale_f64 v[110:111], s[20:21], v[123:124], v[123:124], v[121:122]
	v_rcp_f64_e32 v[112:113], v[110:111]
	v_fma_f64 v[114:115], -v[110:111], v[112:113], 1.0
	v_fma_f64 v[112:113], v[112:113], v[114:115], v[112:113]
	v_div_scale_f64 v[114:115], vcc, v[121:122], v[123:124], v[121:122]
	v_fma_f64 v[116:117], -v[110:111], v[112:113], 1.0
	v_fma_f64 v[112:113], v[112:113], v[116:117], v[112:113]
	v_mul_f64 v[116:117], v[114:115], v[112:113]
	v_fma_f64 v[110:111], -v[110:111], v[116:117], v[114:115]
	v_div_fmas_f64 v[110:111], v[110:111], v[112:113], v[116:117]
	v_div_fixup_f64 v[110:111], v[110:111], v[123:124], v[121:122]
	v_fma_f64 v[112:113], v[121:122], v[110:111], v[123:124]
	v_div_scale_f64 v[114:115], s[20:21], v[112:113], v[112:113], 1.0
	v_div_scale_f64 v[120:121], vcc, 1.0, v[112:113], 1.0
	v_rcp_f64_e32 v[116:117], v[114:115]
	v_fma_f64 v[118:119], -v[114:115], v[116:117], 1.0
	v_fma_f64 v[116:117], v[116:117], v[118:119], v[116:117]
	v_fma_f64 v[118:119], -v[114:115], v[116:117], 1.0
	v_fma_f64 v[116:117], v[116:117], v[118:119], v[116:117]
	v_mul_f64 v[118:119], v[120:121], v[116:117]
	v_fma_f64 v[114:115], -v[114:115], v[118:119], v[120:121]
	v_div_fmas_f64 v[114:115], v[114:115], v[116:117], v[118:119]
	v_div_fixup_f64 v[123:124], v[114:115], v[112:113], 1.0
	v_mul_f64 v[121:122], v[110:111], v[123:124]
	v_xor_b32_e32 v124, 0x80000000, v124
.LBB62_553:
	s_andn2_saveexec_b64 s[18:19], s[18:19]
	s_cbranch_execz .LBB62_555
; %bb.554:
	v_div_scale_f64 v[110:111], s[20:21], v[121:122], v[121:122], v[123:124]
	v_rcp_f64_e32 v[112:113], v[110:111]
	v_fma_f64 v[114:115], -v[110:111], v[112:113], 1.0
	v_fma_f64 v[112:113], v[112:113], v[114:115], v[112:113]
	v_div_scale_f64 v[114:115], vcc, v[123:124], v[121:122], v[123:124]
	v_fma_f64 v[116:117], -v[110:111], v[112:113], 1.0
	v_fma_f64 v[112:113], v[112:113], v[116:117], v[112:113]
	v_mul_f64 v[116:117], v[114:115], v[112:113]
	v_fma_f64 v[110:111], -v[110:111], v[116:117], v[114:115]
	v_div_fmas_f64 v[110:111], v[110:111], v[112:113], v[116:117]
	v_div_fixup_f64 v[110:111], v[110:111], v[121:122], v[123:124]
	v_fma_f64 v[112:113], v[123:124], v[110:111], v[121:122]
	v_div_scale_f64 v[114:115], s[20:21], v[112:113], v[112:113], 1.0
	v_div_scale_f64 v[120:121], vcc, 1.0, v[112:113], 1.0
	v_rcp_f64_e32 v[116:117], v[114:115]
	v_fma_f64 v[118:119], -v[114:115], v[116:117], 1.0
	v_fma_f64 v[116:117], v[116:117], v[118:119], v[116:117]
	v_fma_f64 v[118:119], -v[114:115], v[116:117], 1.0
	v_fma_f64 v[116:117], v[116:117], v[118:119], v[116:117]
	v_mul_f64 v[118:119], v[120:121], v[116:117]
	v_fma_f64 v[114:115], -v[114:115], v[118:119], v[120:121]
	v_div_fmas_f64 v[114:115], v[114:115], v[116:117], v[118:119]
	v_div_fixup_f64 v[121:122], v[114:115], v[112:113], 1.0
	v_mul_f64 v[123:124], v[110:111], -v[121:122]
.LBB62_555:
	s_or_b64 exec, exec, s[18:19]
.LBB62_556:
	s_or_b64 exec, exec, s[0:1]
	v_cmp_ne_u32_e32 vcc, v108, v109
	s_and_saveexec_b64 s[0:1], vcc
	s_xor_b64 s[0:1], exec, s[0:1]
	s_cbranch_execz .LBB62_562
; %bb.557:
	v_cmp_eq_u32_e32 vcc, 26, v108
	s_and_saveexec_b64 s[18:19], vcc
	s_cbranch_execz .LBB62_561
; %bb.558:
	v_cmp_ne_u32_e32 vcc, 26, v109
	s_xor_b64 s[20:21], s[6:7], -1
	s_and_b64 s[22:23], s[20:21], vcc
	s_and_saveexec_b64 s[20:21], s[22:23]
	s_cbranch_execz .LBB62_560
; %bb.559:
	buffer_load_dword v112, off, s[24:27], 0 offset:64 ; 4-byte Folded Reload
	buffer_load_dword v113, off, s[24:27], 0 offset:68 ; 4-byte Folded Reload
	v_ashrrev_i32_e32 v110, 31, v109
	v_lshlrev_b64 v[110:111], 2, v[109:110]
	s_waitcnt vmcnt(1)
	v_add_co_u32_e32 v110, vcc, v112, v110
	s_waitcnt vmcnt(0)
	v_addc_co_u32_e32 v111, vcc, v113, v111, vcc
	global_load_dword v0, v[110:111], off
	global_load_dword v108, v[112:113], off offset:104
	s_waitcnt vmcnt(1)
	global_store_dword v[112:113], v0, off offset:104
	s_waitcnt vmcnt(1)
	global_store_dword v[110:111], v108, off
.LBB62_560:
	s_or_b64 exec, exec, s[20:21]
	v_mov_b32_e32 v108, v109
	v_mov_b32_e32 v0, v109
.LBB62_561:
	s_or_b64 exec, exec, s[18:19]
.LBB62_562:
	s_andn2_saveexec_b64 s[0:1], s[0:1]
	s_cbranch_execz .LBB62_564
; %bb.563:
	v_mov_b32_e32 v108, 26
	ds_write2_b64 v106, v[13:14], v[15:16] offset0:54 offset1:55
	ds_write2_b64 v106, v[9:10], v[11:12] offset0:56 offset1:57
	;; [unrolled: 1-line block ×5, first 2 shown]
.LBB62_564:
	s_or_b64 exec, exec, s[0:1]
	v_cmp_lt_i32_e32 vcc, 26, v108
	s_waitcnt vmcnt(0) lgkmcnt(0)
	s_barrier
	s_and_saveexec_b64 s[0:1], vcc
	s_cbranch_execz .LBB62_566
; %bb.565:
	v_mul_f64 v[109:110], v[121:122], v[19:20]
	v_mul_f64 v[19:20], v[123:124], v[19:20]
	v_fma_f64 v[113:114], v[123:124], v[17:18], v[109:110]
	ds_read2_b64 v[109:112], v106 offset0:54 offset1:55
	v_fma_f64 v[17:18], v[121:122], v[17:18], -v[19:20]
	s_waitcnt lgkmcnt(0)
	v_mul_f64 v[19:20], v[111:112], v[113:114]
	v_fma_f64 v[19:20], v[109:110], v[17:18], -v[19:20]
	v_mul_f64 v[109:110], v[109:110], v[113:114]
	v_add_f64 v[13:14], v[13:14], -v[19:20]
	v_fma_f64 v[109:110], v[111:112], v[17:18], v[109:110]
	v_add_f64 v[15:16], v[15:16], -v[109:110]
	ds_read2_b64 v[109:112], v106 offset0:56 offset1:57
	s_waitcnt lgkmcnt(0)
	v_mul_f64 v[19:20], v[111:112], v[113:114]
	v_fma_f64 v[19:20], v[109:110], v[17:18], -v[19:20]
	v_mul_f64 v[109:110], v[109:110], v[113:114]
	v_add_f64 v[9:10], v[9:10], -v[19:20]
	v_fma_f64 v[109:110], v[111:112], v[17:18], v[109:110]
	v_add_f64 v[11:12], v[11:12], -v[109:110]
	ds_read2_b64 v[109:112], v106 offset0:58 offset1:59
	;; [unrolled: 8-line block ×4, first 2 shown]
	s_waitcnt lgkmcnt(0)
	v_mul_f64 v[19:20], v[111:112], v[113:114]
	v_fma_f64 v[19:20], v[109:110], v[17:18], -v[19:20]
	v_mul_f64 v[109:110], v[109:110], v[113:114]
	v_add_f64 v[85:86], v[85:86], -v[19:20]
	v_fma_f64 v[109:110], v[111:112], v[17:18], v[109:110]
	v_mov_b32_e32 v19, v113
	v_mov_b32_e32 v20, v114
	v_add_f64 v[87:88], v[87:88], -v[109:110]
.LBB62_566:
	s_or_b64 exec, exec, s[0:1]
	v_lshl_add_u32 v109, v108, 4, v106
	s_barrier
	ds_write2_b64 v109, v[13:14], v[15:16] offset1:1
	s_waitcnt lgkmcnt(0)
	s_barrier
	ds_read2_b64 v[121:124], v106 offset0:54 offset1:55
	s_cmp_lt_i32 s3, 29
	v_mov_b32_e32 v109, 27
	s_cbranch_scc1 .LBB62_569
; %bb.567:
	v_add_u32_e32 v110, 0x1c0, v106
	s_mov_b32 s0, 28
	v_mov_b32_e32 v109, 27
.LBB62_568:                             ; =>This Inner Loop Header: Depth=1
	s_waitcnt lgkmcnt(0)
	v_cmp_gt_f64_e32 vcc, 0, v[121:122]
	v_xor_b32_e32 v115, 0x80000000, v122
	ds_read2_b64 v[111:114], v110 offset1:1
	v_xor_b32_e32 v117, 0x80000000, v124
	v_add_u32_e32 v110, 16, v110
	s_waitcnt lgkmcnt(0)
	v_xor_b32_e32 v119, 0x80000000, v114
	v_cndmask_b32_e32 v116, v122, v115, vcc
	v_cmp_gt_f64_e32 vcc, 0, v[123:124]
	v_mov_b32_e32 v115, v121
	v_cndmask_b32_e32 v118, v124, v117, vcc
	v_cmp_gt_f64_e32 vcc, 0, v[111:112]
	v_mov_b32_e32 v117, v123
	v_add_f64 v[115:116], v[115:116], v[117:118]
	v_xor_b32_e32 v117, 0x80000000, v112
	v_cndmask_b32_e32 v118, v112, v117, vcc
	v_cmp_gt_f64_e32 vcc, 0, v[113:114]
	v_mov_b32_e32 v117, v111
	v_cndmask_b32_e32 v120, v114, v119, vcc
	v_mov_b32_e32 v119, v113
	v_add_f64 v[117:118], v[117:118], v[119:120]
	v_cmp_lt_f64_e32 vcc, v[115:116], v[117:118]
	v_cndmask_b32_e32 v121, v121, v111, vcc
	v_mov_b32_e32 v111, s0
	s_add_i32 s0, s0, 1
	v_cndmask_b32_e32 v122, v122, v112, vcc
	v_cndmask_b32_e32 v124, v124, v114, vcc
	;; [unrolled: 1-line block ×4, first 2 shown]
	s_cmp_lg_u32 s3, s0
	s_cbranch_scc1 .LBB62_568
.LBB62_569:
	s_waitcnt lgkmcnt(0)
	v_cmp_eq_f64_e32 vcc, 0, v[121:122]
	v_cmp_eq_f64_e64 s[0:1], 0, v[123:124]
	s_and_b64 s[0:1], vcc, s[0:1]
	s_and_saveexec_b64 s[18:19], s[0:1]
	s_xor_b64 s[0:1], exec, s[18:19]
; %bb.570:
	v_cmp_ne_u32_e32 vcc, 0, v107
	v_cndmask_b32_e32 v107, 28, v107, vcc
; %bb.571:
	s_andn2_saveexec_b64 s[0:1], s[0:1]
	s_cbranch_execz .LBB62_577
; %bb.572:
	v_cmp_ngt_f64_e64 s[18:19], |v[121:122]|, |v[123:124]|
	s_and_saveexec_b64 s[20:21], s[18:19]
	s_xor_b64 s[18:19], exec, s[20:21]
	s_cbranch_execz .LBB62_574
; %bb.573:
	v_div_scale_f64 v[110:111], s[20:21], v[123:124], v[123:124], v[121:122]
	v_rcp_f64_e32 v[112:113], v[110:111]
	v_fma_f64 v[114:115], -v[110:111], v[112:113], 1.0
	v_fma_f64 v[112:113], v[112:113], v[114:115], v[112:113]
	v_div_scale_f64 v[114:115], vcc, v[121:122], v[123:124], v[121:122]
	v_fma_f64 v[116:117], -v[110:111], v[112:113], 1.0
	v_fma_f64 v[112:113], v[112:113], v[116:117], v[112:113]
	v_mul_f64 v[116:117], v[114:115], v[112:113]
	v_fma_f64 v[110:111], -v[110:111], v[116:117], v[114:115]
	v_div_fmas_f64 v[110:111], v[110:111], v[112:113], v[116:117]
	v_div_fixup_f64 v[110:111], v[110:111], v[123:124], v[121:122]
	v_fma_f64 v[112:113], v[121:122], v[110:111], v[123:124]
	v_div_scale_f64 v[114:115], s[20:21], v[112:113], v[112:113], 1.0
	v_div_scale_f64 v[120:121], vcc, 1.0, v[112:113], 1.0
	v_rcp_f64_e32 v[116:117], v[114:115]
	v_fma_f64 v[118:119], -v[114:115], v[116:117], 1.0
	v_fma_f64 v[116:117], v[116:117], v[118:119], v[116:117]
	v_fma_f64 v[118:119], -v[114:115], v[116:117], 1.0
	v_fma_f64 v[116:117], v[116:117], v[118:119], v[116:117]
	v_mul_f64 v[118:119], v[120:121], v[116:117]
	v_fma_f64 v[114:115], -v[114:115], v[118:119], v[120:121]
	v_div_fmas_f64 v[114:115], v[114:115], v[116:117], v[118:119]
	v_div_fixup_f64 v[123:124], v[114:115], v[112:113], 1.0
	v_mul_f64 v[121:122], v[110:111], v[123:124]
	v_xor_b32_e32 v124, 0x80000000, v124
.LBB62_574:
	s_andn2_saveexec_b64 s[18:19], s[18:19]
	s_cbranch_execz .LBB62_576
; %bb.575:
	v_div_scale_f64 v[110:111], s[20:21], v[121:122], v[121:122], v[123:124]
	v_rcp_f64_e32 v[112:113], v[110:111]
	v_fma_f64 v[114:115], -v[110:111], v[112:113], 1.0
	v_fma_f64 v[112:113], v[112:113], v[114:115], v[112:113]
	v_div_scale_f64 v[114:115], vcc, v[123:124], v[121:122], v[123:124]
	v_fma_f64 v[116:117], -v[110:111], v[112:113], 1.0
	v_fma_f64 v[112:113], v[112:113], v[116:117], v[112:113]
	v_mul_f64 v[116:117], v[114:115], v[112:113]
	v_fma_f64 v[110:111], -v[110:111], v[116:117], v[114:115]
	v_div_fmas_f64 v[110:111], v[110:111], v[112:113], v[116:117]
	v_div_fixup_f64 v[110:111], v[110:111], v[121:122], v[123:124]
	v_fma_f64 v[112:113], v[123:124], v[110:111], v[121:122]
	v_div_scale_f64 v[114:115], s[20:21], v[112:113], v[112:113], 1.0
	v_div_scale_f64 v[120:121], vcc, 1.0, v[112:113], 1.0
	v_rcp_f64_e32 v[116:117], v[114:115]
	v_fma_f64 v[118:119], -v[114:115], v[116:117], 1.0
	v_fma_f64 v[116:117], v[116:117], v[118:119], v[116:117]
	v_fma_f64 v[118:119], -v[114:115], v[116:117], 1.0
	v_fma_f64 v[116:117], v[116:117], v[118:119], v[116:117]
	v_mul_f64 v[118:119], v[120:121], v[116:117]
	v_fma_f64 v[114:115], -v[114:115], v[118:119], v[120:121]
	v_div_fmas_f64 v[114:115], v[114:115], v[116:117], v[118:119]
	v_div_fixup_f64 v[121:122], v[114:115], v[112:113], 1.0
	v_mul_f64 v[123:124], v[110:111], -v[121:122]
.LBB62_576:
	s_or_b64 exec, exec, s[18:19]
.LBB62_577:
	s_or_b64 exec, exec, s[0:1]
	v_cmp_ne_u32_e32 vcc, v108, v109
	s_and_saveexec_b64 s[0:1], vcc
	s_xor_b64 s[0:1], exec, s[0:1]
	s_cbranch_execz .LBB62_583
; %bb.578:
	v_cmp_eq_u32_e32 vcc, 27, v108
	s_and_saveexec_b64 s[18:19], vcc
	s_cbranch_execz .LBB62_582
; %bb.579:
	v_cmp_ne_u32_e32 vcc, 27, v109
	s_xor_b64 s[20:21], s[6:7], -1
	s_and_b64 s[22:23], s[20:21], vcc
	s_and_saveexec_b64 s[20:21], s[22:23]
	s_cbranch_execz .LBB62_581
; %bb.580:
	buffer_load_dword v112, off, s[24:27], 0 offset:64 ; 4-byte Folded Reload
	buffer_load_dword v113, off, s[24:27], 0 offset:68 ; 4-byte Folded Reload
	v_ashrrev_i32_e32 v110, 31, v109
	v_lshlrev_b64 v[110:111], 2, v[109:110]
	s_waitcnt vmcnt(1)
	v_add_co_u32_e32 v110, vcc, v112, v110
	s_waitcnt vmcnt(0)
	v_addc_co_u32_e32 v111, vcc, v113, v111, vcc
	global_load_dword v0, v[110:111], off
	global_load_dword v108, v[112:113], off offset:108
	s_waitcnt vmcnt(1)
	global_store_dword v[112:113], v0, off offset:108
	s_waitcnt vmcnt(1)
	global_store_dword v[110:111], v108, off
.LBB62_581:
	s_or_b64 exec, exec, s[20:21]
	v_mov_b32_e32 v108, v109
	v_mov_b32_e32 v0, v109
.LBB62_582:
	s_or_b64 exec, exec, s[18:19]
.LBB62_583:
	s_andn2_saveexec_b64 s[0:1], s[0:1]
	s_cbranch_execz .LBB62_585
; %bb.584:
	v_mov_b32_e32 v108, 27
	ds_write2_b64 v106, v[9:10], v[11:12] offset0:56 offset1:57
	ds_write2_b64 v106, v[5:6], v[7:8] offset0:58 offset1:59
	;; [unrolled: 1-line block ×4, first 2 shown]
.LBB62_585:
	s_or_b64 exec, exec, s[0:1]
	v_cmp_lt_i32_e32 vcc, 27, v108
	s_waitcnt vmcnt(0) lgkmcnt(0)
	s_barrier
	s_and_saveexec_b64 s[0:1], vcc
	s_cbranch_execz .LBB62_587
; %bb.586:
	v_mul_f64 v[109:110], v[121:122], v[15:16]
	v_mul_f64 v[15:16], v[123:124], v[15:16]
	v_fma_f64 v[113:114], v[123:124], v[13:14], v[109:110]
	ds_read2_b64 v[109:112], v106 offset0:56 offset1:57
	v_fma_f64 v[13:14], v[121:122], v[13:14], -v[15:16]
	s_waitcnt lgkmcnt(0)
	v_mul_f64 v[15:16], v[111:112], v[113:114]
	v_fma_f64 v[15:16], v[109:110], v[13:14], -v[15:16]
	v_mul_f64 v[109:110], v[109:110], v[113:114]
	v_add_f64 v[9:10], v[9:10], -v[15:16]
	v_fma_f64 v[109:110], v[111:112], v[13:14], v[109:110]
	v_add_f64 v[11:12], v[11:12], -v[109:110]
	ds_read2_b64 v[109:112], v106 offset0:58 offset1:59
	s_waitcnt lgkmcnt(0)
	v_mul_f64 v[15:16], v[111:112], v[113:114]
	v_fma_f64 v[15:16], v[109:110], v[13:14], -v[15:16]
	v_mul_f64 v[109:110], v[109:110], v[113:114]
	v_add_f64 v[5:6], v[5:6], -v[15:16]
	v_fma_f64 v[109:110], v[111:112], v[13:14], v[109:110]
	v_add_f64 v[7:8], v[7:8], -v[109:110]
	ds_read2_b64 v[109:112], v106 offset0:60 offset1:61
	;; [unrolled: 8-line block ×3, first 2 shown]
	s_waitcnt lgkmcnt(0)
	v_mul_f64 v[15:16], v[111:112], v[113:114]
	v_fma_f64 v[15:16], v[109:110], v[13:14], -v[15:16]
	v_mul_f64 v[109:110], v[109:110], v[113:114]
	v_add_f64 v[85:86], v[85:86], -v[15:16]
	v_fma_f64 v[109:110], v[111:112], v[13:14], v[109:110]
	v_mov_b32_e32 v15, v113
	v_mov_b32_e32 v16, v114
	v_add_f64 v[87:88], v[87:88], -v[109:110]
.LBB62_587:
	s_or_b64 exec, exec, s[0:1]
	v_lshl_add_u32 v109, v108, 4, v106
	s_barrier
	ds_write2_b64 v109, v[9:10], v[11:12] offset1:1
	s_waitcnt lgkmcnt(0)
	s_barrier
	ds_read2_b64 v[121:124], v106 offset0:56 offset1:57
	s_cmp_lt_i32 s3, 30
	v_mov_b32_e32 v109, 28
	s_cbranch_scc1 .LBB62_590
; %bb.588:
	v_add_u32_e32 v110, 0x1d0, v106
	s_mov_b32 s0, 29
	v_mov_b32_e32 v109, 28
.LBB62_589:                             ; =>This Inner Loop Header: Depth=1
	s_waitcnt lgkmcnt(0)
	v_cmp_gt_f64_e32 vcc, 0, v[121:122]
	v_xor_b32_e32 v115, 0x80000000, v122
	ds_read2_b64 v[111:114], v110 offset1:1
	v_xor_b32_e32 v117, 0x80000000, v124
	v_add_u32_e32 v110, 16, v110
	s_waitcnt lgkmcnt(0)
	v_xor_b32_e32 v119, 0x80000000, v114
	v_cndmask_b32_e32 v116, v122, v115, vcc
	v_cmp_gt_f64_e32 vcc, 0, v[123:124]
	v_mov_b32_e32 v115, v121
	v_cndmask_b32_e32 v118, v124, v117, vcc
	v_cmp_gt_f64_e32 vcc, 0, v[111:112]
	v_mov_b32_e32 v117, v123
	v_add_f64 v[115:116], v[115:116], v[117:118]
	v_xor_b32_e32 v117, 0x80000000, v112
	v_cndmask_b32_e32 v118, v112, v117, vcc
	v_cmp_gt_f64_e32 vcc, 0, v[113:114]
	v_mov_b32_e32 v117, v111
	v_cndmask_b32_e32 v120, v114, v119, vcc
	v_mov_b32_e32 v119, v113
	v_add_f64 v[117:118], v[117:118], v[119:120]
	v_cmp_lt_f64_e32 vcc, v[115:116], v[117:118]
	v_cndmask_b32_e32 v121, v121, v111, vcc
	v_mov_b32_e32 v111, s0
	s_add_i32 s0, s0, 1
	v_cndmask_b32_e32 v122, v122, v112, vcc
	v_cndmask_b32_e32 v124, v124, v114, vcc
	;; [unrolled: 1-line block ×4, first 2 shown]
	s_cmp_lg_u32 s3, s0
	s_cbranch_scc1 .LBB62_589
.LBB62_590:
	s_waitcnt lgkmcnt(0)
	v_cmp_eq_f64_e32 vcc, 0, v[121:122]
	v_cmp_eq_f64_e64 s[0:1], 0, v[123:124]
	s_and_b64 s[0:1], vcc, s[0:1]
	s_and_saveexec_b64 s[18:19], s[0:1]
	s_xor_b64 s[0:1], exec, s[18:19]
; %bb.591:
	v_cmp_ne_u32_e32 vcc, 0, v107
	v_cndmask_b32_e32 v107, 29, v107, vcc
; %bb.592:
	s_andn2_saveexec_b64 s[0:1], s[0:1]
	s_cbranch_execz .LBB62_598
; %bb.593:
	v_cmp_ngt_f64_e64 s[18:19], |v[121:122]|, |v[123:124]|
	s_and_saveexec_b64 s[20:21], s[18:19]
	s_xor_b64 s[18:19], exec, s[20:21]
	s_cbranch_execz .LBB62_595
; %bb.594:
	v_div_scale_f64 v[110:111], s[20:21], v[123:124], v[123:124], v[121:122]
	v_rcp_f64_e32 v[112:113], v[110:111]
	v_fma_f64 v[114:115], -v[110:111], v[112:113], 1.0
	v_fma_f64 v[112:113], v[112:113], v[114:115], v[112:113]
	v_div_scale_f64 v[114:115], vcc, v[121:122], v[123:124], v[121:122]
	v_fma_f64 v[116:117], -v[110:111], v[112:113], 1.0
	v_fma_f64 v[112:113], v[112:113], v[116:117], v[112:113]
	v_mul_f64 v[116:117], v[114:115], v[112:113]
	v_fma_f64 v[110:111], -v[110:111], v[116:117], v[114:115]
	v_div_fmas_f64 v[110:111], v[110:111], v[112:113], v[116:117]
	v_div_fixup_f64 v[110:111], v[110:111], v[123:124], v[121:122]
	v_fma_f64 v[112:113], v[121:122], v[110:111], v[123:124]
	v_div_scale_f64 v[114:115], s[20:21], v[112:113], v[112:113], 1.0
	v_div_scale_f64 v[120:121], vcc, 1.0, v[112:113], 1.0
	v_rcp_f64_e32 v[116:117], v[114:115]
	v_fma_f64 v[118:119], -v[114:115], v[116:117], 1.0
	v_fma_f64 v[116:117], v[116:117], v[118:119], v[116:117]
	v_fma_f64 v[118:119], -v[114:115], v[116:117], 1.0
	v_fma_f64 v[116:117], v[116:117], v[118:119], v[116:117]
	v_mul_f64 v[118:119], v[120:121], v[116:117]
	v_fma_f64 v[114:115], -v[114:115], v[118:119], v[120:121]
	v_div_fmas_f64 v[114:115], v[114:115], v[116:117], v[118:119]
	v_div_fixup_f64 v[123:124], v[114:115], v[112:113], 1.0
	v_mul_f64 v[121:122], v[110:111], v[123:124]
	v_xor_b32_e32 v124, 0x80000000, v124
.LBB62_595:
	s_andn2_saveexec_b64 s[18:19], s[18:19]
	s_cbranch_execz .LBB62_597
; %bb.596:
	v_div_scale_f64 v[110:111], s[20:21], v[121:122], v[121:122], v[123:124]
	v_rcp_f64_e32 v[112:113], v[110:111]
	v_fma_f64 v[114:115], -v[110:111], v[112:113], 1.0
	v_fma_f64 v[112:113], v[112:113], v[114:115], v[112:113]
	v_div_scale_f64 v[114:115], vcc, v[123:124], v[121:122], v[123:124]
	v_fma_f64 v[116:117], -v[110:111], v[112:113], 1.0
	v_fma_f64 v[112:113], v[112:113], v[116:117], v[112:113]
	v_mul_f64 v[116:117], v[114:115], v[112:113]
	v_fma_f64 v[110:111], -v[110:111], v[116:117], v[114:115]
	v_div_fmas_f64 v[110:111], v[110:111], v[112:113], v[116:117]
	v_div_fixup_f64 v[110:111], v[110:111], v[121:122], v[123:124]
	v_fma_f64 v[112:113], v[123:124], v[110:111], v[121:122]
	v_div_scale_f64 v[114:115], s[20:21], v[112:113], v[112:113], 1.0
	v_div_scale_f64 v[120:121], vcc, 1.0, v[112:113], 1.0
	v_rcp_f64_e32 v[116:117], v[114:115]
	v_fma_f64 v[118:119], -v[114:115], v[116:117], 1.0
	v_fma_f64 v[116:117], v[116:117], v[118:119], v[116:117]
	v_fma_f64 v[118:119], -v[114:115], v[116:117], 1.0
	v_fma_f64 v[116:117], v[116:117], v[118:119], v[116:117]
	v_mul_f64 v[118:119], v[120:121], v[116:117]
	v_fma_f64 v[114:115], -v[114:115], v[118:119], v[120:121]
	v_div_fmas_f64 v[114:115], v[114:115], v[116:117], v[118:119]
	v_div_fixup_f64 v[121:122], v[114:115], v[112:113], 1.0
	v_mul_f64 v[123:124], v[110:111], -v[121:122]
.LBB62_597:
	s_or_b64 exec, exec, s[18:19]
.LBB62_598:
	s_or_b64 exec, exec, s[0:1]
	v_cmp_ne_u32_e32 vcc, v108, v109
	s_and_saveexec_b64 s[0:1], vcc
	s_xor_b64 s[0:1], exec, s[0:1]
	s_cbranch_execz .LBB62_604
; %bb.599:
	v_cmp_eq_u32_e32 vcc, 28, v108
	s_and_saveexec_b64 s[18:19], vcc
	s_cbranch_execz .LBB62_603
; %bb.600:
	v_cmp_ne_u32_e32 vcc, 28, v109
	s_xor_b64 s[20:21], s[6:7], -1
	s_and_b64 s[22:23], s[20:21], vcc
	s_and_saveexec_b64 s[20:21], s[22:23]
	s_cbranch_execz .LBB62_602
; %bb.601:
	buffer_load_dword v112, off, s[24:27], 0 offset:64 ; 4-byte Folded Reload
	buffer_load_dword v113, off, s[24:27], 0 offset:68 ; 4-byte Folded Reload
	v_ashrrev_i32_e32 v110, 31, v109
	v_lshlrev_b64 v[110:111], 2, v[109:110]
	s_waitcnt vmcnt(1)
	v_add_co_u32_e32 v110, vcc, v112, v110
	s_waitcnt vmcnt(0)
	v_addc_co_u32_e32 v111, vcc, v113, v111, vcc
	global_load_dword v0, v[110:111], off
	global_load_dword v108, v[112:113], off offset:112
	s_waitcnt vmcnt(1)
	global_store_dword v[112:113], v0, off offset:112
	s_waitcnt vmcnt(1)
	global_store_dword v[110:111], v108, off
.LBB62_602:
	s_or_b64 exec, exec, s[20:21]
	v_mov_b32_e32 v108, v109
	v_mov_b32_e32 v0, v109
.LBB62_603:
	s_or_b64 exec, exec, s[18:19]
.LBB62_604:
	s_andn2_saveexec_b64 s[0:1], s[0:1]
	s_cbranch_execz .LBB62_606
; %bb.605:
	v_mov_b32_e32 v108, 28
	ds_write2_b64 v106, v[5:6], v[7:8] offset0:58 offset1:59
	ds_write2_b64 v106, v[1:2], v[3:4] offset0:60 offset1:61
	;; [unrolled: 1-line block ×3, first 2 shown]
.LBB62_606:
	s_or_b64 exec, exec, s[0:1]
	v_cmp_lt_i32_e32 vcc, 28, v108
	s_waitcnt vmcnt(0) lgkmcnt(0)
	s_barrier
	s_and_saveexec_b64 s[0:1], vcc
	s_cbranch_execz .LBB62_608
; %bb.607:
	v_mul_f64 v[109:110], v[121:122], v[11:12]
	v_mul_f64 v[11:12], v[123:124], v[11:12]
	v_fma_f64 v[113:114], v[123:124], v[9:10], v[109:110]
	ds_read2_b64 v[109:112], v106 offset0:58 offset1:59
	v_fma_f64 v[9:10], v[121:122], v[9:10], -v[11:12]
	s_waitcnt lgkmcnt(0)
	v_mul_f64 v[11:12], v[111:112], v[113:114]
	v_fma_f64 v[11:12], v[109:110], v[9:10], -v[11:12]
	v_mul_f64 v[109:110], v[109:110], v[113:114]
	v_add_f64 v[5:6], v[5:6], -v[11:12]
	v_fma_f64 v[109:110], v[111:112], v[9:10], v[109:110]
	v_add_f64 v[7:8], v[7:8], -v[109:110]
	ds_read2_b64 v[109:112], v106 offset0:60 offset1:61
	s_waitcnt lgkmcnt(0)
	v_mul_f64 v[11:12], v[111:112], v[113:114]
	v_fma_f64 v[11:12], v[109:110], v[9:10], -v[11:12]
	v_mul_f64 v[109:110], v[109:110], v[113:114]
	v_add_f64 v[1:2], v[1:2], -v[11:12]
	v_fma_f64 v[109:110], v[111:112], v[9:10], v[109:110]
	v_add_f64 v[3:4], v[3:4], -v[109:110]
	ds_read2_b64 v[109:112], v106 offset0:62 offset1:63
	s_waitcnt lgkmcnt(0)
	v_mul_f64 v[11:12], v[111:112], v[113:114]
	v_fma_f64 v[11:12], v[109:110], v[9:10], -v[11:12]
	v_mul_f64 v[109:110], v[109:110], v[113:114]
	v_add_f64 v[85:86], v[85:86], -v[11:12]
	v_fma_f64 v[109:110], v[111:112], v[9:10], v[109:110]
	v_mov_b32_e32 v11, v113
	v_mov_b32_e32 v12, v114
	v_add_f64 v[87:88], v[87:88], -v[109:110]
.LBB62_608:
	s_or_b64 exec, exec, s[0:1]
	v_lshl_add_u32 v109, v108, 4, v106
	s_barrier
	ds_write2_b64 v109, v[5:6], v[7:8] offset1:1
	s_waitcnt lgkmcnt(0)
	s_barrier
	ds_read2_b64 v[121:124], v106 offset0:58 offset1:59
	s_cmp_lt_i32 s3, 31
	v_mov_b32_e32 v109, 29
	s_cbranch_scc1 .LBB62_611
; %bb.609:
	v_add_u32_e32 v110, 0x1e0, v106
	s_mov_b32 s0, 30
	v_mov_b32_e32 v109, 29
.LBB62_610:                             ; =>This Inner Loop Header: Depth=1
	s_waitcnt lgkmcnt(0)
	v_cmp_gt_f64_e32 vcc, 0, v[121:122]
	v_xor_b32_e32 v115, 0x80000000, v122
	ds_read2_b64 v[111:114], v110 offset1:1
	v_xor_b32_e32 v117, 0x80000000, v124
	v_add_u32_e32 v110, 16, v110
	s_waitcnt lgkmcnt(0)
	v_xor_b32_e32 v119, 0x80000000, v114
	v_cndmask_b32_e32 v116, v122, v115, vcc
	v_cmp_gt_f64_e32 vcc, 0, v[123:124]
	v_mov_b32_e32 v115, v121
	v_cndmask_b32_e32 v118, v124, v117, vcc
	v_cmp_gt_f64_e32 vcc, 0, v[111:112]
	v_mov_b32_e32 v117, v123
	v_add_f64 v[115:116], v[115:116], v[117:118]
	v_xor_b32_e32 v117, 0x80000000, v112
	v_cndmask_b32_e32 v118, v112, v117, vcc
	v_cmp_gt_f64_e32 vcc, 0, v[113:114]
	v_mov_b32_e32 v117, v111
	v_cndmask_b32_e32 v120, v114, v119, vcc
	v_mov_b32_e32 v119, v113
	v_add_f64 v[117:118], v[117:118], v[119:120]
	v_cmp_lt_f64_e32 vcc, v[115:116], v[117:118]
	v_cndmask_b32_e32 v121, v121, v111, vcc
	v_mov_b32_e32 v111, s0
	s_add_i32 s0, s0, 1
	v_cndmask_b32_e32 v122, v122, v112, vcc
	v_cndmask_b32_e32 v124, v124, v114, vcc
	v_cndmask_b32_e32 v123, v123, v113, vcc
	v_cndmask_b32_e32 v109, v109, v111, vcc
	s_cmp_lg_u32 s3, s0
	s_cbranch_scc1 .LBB62_610
.LBB62_611:
	s_waitcnt lgkmcnt(0)
	v_cmp_eq_f64_e32 vcc, 0, v[121:122]
	v_cmp_eq_f64_e64 s[0:1], 0, v[123:124]
	s_and_b64 s[0:1], vcc, s[0:1]
	s_and_saveexec_b64 s[18:19], s[0:1]
	s_xor_b64 s[0:1], exec, s[18:19]
; %bb.612:
	v_cmp_ne_u32_e32 vcc, 0, v107
	v_cndmask_b32_e32 v107, 30, v107, vcc
; %bb.613:
	s_andn2_saveexec_b64 s[0:1], s[0:1]
	s_cbranch_execz .LBB62_619
; %bb.614:
	v_cmp_ngt_f64_e64 s[18:19], |v[121:122]|, |v[123:124]|
	s_and_saveexec_b64 s[20:21], s[18:19]
	s_xor_b64 s[18:19], exec, s[20:21]
	s_cbranch_execz .LBB62_616
; %bb.615:
	v_div_scale_f64 v[110:111], s[20:21], v[123:124], v[123:124], v[121:122]
	v_rcp_f64_e32 v[112:113], v[110:111]
	v_fma_f64 v[114:115], -v[110:111], v[112:113], 1.0
	v_fma_f64 v[112:113], v[112:113], v[114:115], v[112:113]
	v_div_scale_f64 v[114:115], vcc, v[121:122], v[123:124], v[121:122]
	v_fma_f64 v[116:117], -v[110:111], v[112:113], 1.0
	v_fma_f64 v[112:113], v[112:113], v[116:117], v[112:113]
	v_mul_f64 v[116:117], v[114:115], v[112:113]
	v_fma_f64 v[110:111], -v[110:111], v[116:117], v[114:115]
	v_div_fmas_f64 v[110:111], v[110:111], v[112:113], v[116:117]
	v_div_fixup_f64 v[110:111], v[110:111], v[123:124], v[121:122]
	v_fma_f64 v[112:113], v[121:122], v[110:111], v[123:124]
	v_div_scale_f64 v[114:115], s[20:21], v[112:113], v[112:113], 1.0
	v_div_scale_f64 v[120:121], vcc, 1.0, v[112:113], 1.0
	v_rcp_f64_e32 v[116:117], v[114:115]
	v_fma_f64 v[118:119], -v[114:115], v[116:117], 1.0
	v_fma_f64 v[116:117], v[116:117], v[118:119], v[116:117]
	v_fma_f64 v[118:119], -v[114:115], v[116:117], 1.0
	v_fma_f64 v[116:117], v[116:117], v[118:119], v[116:117]
	v_mul_f64 v[118:119], v[120:121], v[116:117]
	v_fma_f64 v[114:115], -v[114:115], v[118:119], v[120:121]
	v_div_fmas_f64 v[114:115], v[114:115], v[116:117], v[118:119]
	v_div_fixup_f64 v[123:124], v[114:115], v[112:113], 1.0
	v_mul_f64 v[121:122], v[110:111], v[123:124]
	v_xor_b32_e32 v124, 0x80000000, v124
.LBB62_616:
	s_andn2_saveexec_b64 s[18:19], s[18:19]
	s_cbranch_execz .LBB62_618
; %bb.617:
	v_div_scale_f64 v[110:111], s[20:21], v[121:122], v[121:122], v[123:124]
	v_rcp_f64_e32 v[112:113], v[110:111]
	v_fma_f64 v[114:115], -v[110:111], v[112:113], 1.0
	v_fma_f64 v[112:113], v[112:113], v[114:115], v[112:113]
	v_div_scale_f64 v[114:115], vcc, v[123:124], v[121:122], v[123:124]
	v_fma_f64 v[116:117], -v[110:111], v[112:113], 1.0
	v_fma_f64 v[112:113], v[112:113], v[116:117], v[112:113]
	v_mul_f64 v[116:117], v[114:115], v[112:113]
	v_fma_f64 v[110:111], -v[110:111], v[116:117], v[114:115]
	v_div_fmas_f64 v[110:111], v[110:111], v[112:113], v[116:117]
	v_div_fixup_f64 v[110:111], v[110:111], v[121:122], v[123:124]
	v_fma_f64 v[112:113], v[123:124], v[110:111], v[121:122]
	v_div_scale_f64 v[114:115], s[20:21], v[112:113], v[112:113], 1.0
	v_div_scale_f64 v[120:121], vcc, 1.0, v[112:113], 1.0
	v_rcp_f64_e32 v[116:117], v[114:115]
	v_fma_f64 v[118:119], -v[114:115], v[116:117], 1.0
	v_fma_f64 v[116:117], v[116:117], v[118:119], v[116:117]
	v_fma_f64 v[118:119], -v[114:115], v[116:117], 1.0
	v_fma_f64 v[116:117], v[116:117], v[118:119], v[116:117]
	v_mul_f64 v[118:119], v[120:121], v[116:117]
	v_fma_f64 v[114:115], -v[114:115], v[118:119], v[120:121]
	v_div_fmas_f64 v[114:115], v[114:115], v[116:117], v[118:119]
	v_div_fixup_f64 v[121:122], v[114:115], v[112:113], 1.0
	v_mul_f64 v[123:124], v[110:111], -v[121:122]
.LBB62_618:
	s_or_b64 exec, exec, s[18:19]
.LBB62_619:
	s_or_b64 exec, exec, s[0:1]
	v_cmp_ne_u32_e32 vcc, v108, v109
	s_and_saveexec_b64 s[0:1], vcc
	s_xor_b64 s[0:1], exec, s[0:1]
	s_cbranch_execz .LBB62_625
; %bb.620:
	v_cmp_eq_u32_e32 vcc, 29, v108
	s_and_saveexec_b64 s[18:19], vcc
	s_cbranch_execz .LBB62_624
; %bb.621:
	v_cmp_ne_u32_e32 vcc, 29, v109
	s_xor_b64 s[20:21], s[6:7], -1
	s_and_b64 s[22:23], s[20:21], vcc
	s_and_saveexec_b64 s[20:21], s[22:23]
	s_cbranch_execz .LBB62_623
; %bb.622:
	buffer_load_dword v112, off, s[24:27], 0 offset:64 ; 4-byte Folded Reload
	buffer_load_dword v113, off, s[24:27], 0 offset:68 ; 4-byte Folded Reload
	v_ashrrev_i32_e32 v110, 31, v109
	v_lshlrev_b64 v[110:111], 2, v[109:110]
	s_waitcnt vmcnt(1)
	v_add_co_u32_e32 v110, vcc, v112, v110
	s_waitcnt vmcnt(0)
	v_addc_co_u32_e32 v111, vcc, v113, v111, vcc
	global_load_dword v0, v[110:111], off
	global_load_dword v108, v[112:113], off offset:116
	s_waitcnt vmcnt(1)
	global_store_dword v[112:113], v0, off offset:116
	s_waitcnt vmcnt(1)
	global_store_dword v[110:111], v108, off
.LBB62_623:
	s_or_b64 exec, exec, s[20:21]
	v_mov_b32_e32 v108, v109
	v_mov_b32_e32 v0, v109
.LBB62_624:
	s_or_b64 exec, exec, s[18:19]
.LBB62_625:
	s_andn2_saveexec_b64 s[0:1], s[0:1]
	s_cbranch_execz .LBB62_627
; %bb.626:
	v_mov_b32_e32 v108, 29
	ds_write2_b64 v106, v[1:2], v[3:4] offset0:60 offset1:61
	ds_write2_b64 v106, v[85:86], v[87:88] offset0:62 offset1:63
.LBB62_627:
	s_or_b64 exec, exec, s[0:1]
	v_cmp_lt_i32_e32 vcc, 29, v108
	s_waitcnt vmcnt(0) lgkmcnt(0)
	s_barrier
	s_and_saveexec_b64 s[0:1], vcc
	s_cbranch_execz .LBB62_629
; %bb.628:
	v_mul_f64 v[109:110], v[121:122], v[7:8]
	v_mul_f64 v[7:8], v[123:124], v[7:8]
	v_fma_f64 v[113:114], v[123:124], v[5:6], v[109:110]
	ds_read2_b64 v[109:112], v106 offset0:60 offset1:61
	v_fma_f64 v[5:6], v[121:122], v[5:6], -v[7:8]
	s_waitcnt lgkmcnt(0)
	v_mul_f64 v[7:8], v[111:112], v[113:114]
	v_fma_f64 v[7:8], v[109:110], v[5:6], -v[7:8]
	v_mul_f64 v[109:110], v[109:110], v[113:114]
	v_add_f64 v[1:2], v[1:2], -v[7:8]
	v_fma_f64 v[109:110], v[111:112], v[5:6], v[109:110]
	v_add_f64 v[3:4], v[3:4], -v[109:110]
	ds_read2_b64 v[109:112], v106 offset0:62 offset1:63
	s_waitcnt lgkmcnt(0)
	v_mul_f64 v[7:8], v[111:112], v[113:114]
	v_fma_f64 v[7:8], v[109:110], v[5:6], -v[7:8]
	v_mul_f64 v[109:110], v[109:110], v[113:114]
	v_add_f64 v[85:86], v[85:86], -v[7:8]
	v_fma_f64 v[109:110], v[111:112], v[5:6], v[109:110]
	v_mov_b32_e32 v7, v113
	v_mov_b32_e32 v8, v114
	v_add_f64 v[87:88], v[87:88], -v[109:110]
.LBB62_629:
	s_or_b64 exec, exec, s[0:1]
	v_lshl_add_u32 v109, v108, 4, v106
	s_barrier
	ds_write2_b64 v109, v[1:2], v[3:4] offset1:1
	s_waitcnt lgkmcnt(0)
	s_barrier
	ds_read2_b64 v[121:124], v106 offset0:60 offset1:61
	s_cmp_lt_i32 s3, 32
	v_mov_b32_e32 v109, 30
	s_cbranch_scc1 .LBB62_632
; %bb.630:
	v_add_u32_e32 v110, 0x1f0, v106
	s_mov_b32 s0, 31
	v_mov_b32_e32 v109, 30
.LBB62_631:                             ; =>This Inner Loop Header: Depth=1
	s_waitcnt lgkmcnt(0)
	v_cmp_gt_f64_e32 vcc, 0, v[121:122]
	v_xor_b32_e32 v115, 0x80000000, v122
	ds_read2_b64 v[111:114], v110 offset1:1
	v_xor_b32_e32 v117, 0x80000000, v124
	v_add_u32_e32 v110, 16, v110
	s_waitcnt lgkmcnt(0)
	v_xor_b32_e32 v119, 0x80000000, v114
	v_cndmask_b32_e32 v116, v122, v115, vcc
	v_cmp_gt_f64_e32 vcc, 0, v[123:124]
	v_mov_b32_e32 v115, v121
	v_cndmask_b32_e32 v118, v124, v117, vcc
	v_cmp_gt_f64_e32 vcc, 0, v[111:112]
	v_mov_b32_e32 v117, v123
	v_add_f64 v[115:116], v[115:116], v[117:118]
	v_xor_b32_e32 v117, 0x80000000, v112
	v_cndmask_b32_e32 v118, v112, v117, vcc
	v_cmp_gt_f64_e32 vcc, 0, v[113:114]
	v_mov_b32_e32 v117, v111
	v_cndmask_b32_e32 v120, v114, v119, vcc
	v_mov_b32_e32 v119, v113
	v_add_f64 v[117:118], v[117:118], v[119:120]
	v_cmp_lt_f64_e32 vcc, v[115:116], v[117:118]
	v_cndmask_b32_e32 v121, v121, v111, vcc
	v_mov_b32_e32 v111, s0
	s_add_i32 s0, s0, 1
	v_cndmask_b32_e32 v122, v122, v112, vcc
	v_cndmask_b32_e32 v124, v124, v114, vcc
	;; [unrolled: 1-line block ×4, first 2 shown]
	s_cmp_lg_u32 s3, s0
	s_cbranch_scc1 .LBB62_631
.LBB62_632:
	s_waitcnt lgkmcnt(0)
	v_cmp_eq_f64_e32 vcc, 0, v[121:122]
	v_cmp_eq_f64_e64 s[0:1], 0, v[123:124]
	s_and_b64 s[0:1], vcc, s[0:1]
	s_and_saveexec_b64 s[18:19], s[0:1]
	s_xor_b64 s[0:1], exec, s[18:19]
; %bb.633:
	v_cmp_ne_u32_e32 vcc, 0, v107
	v_cndmask_b32_e32 v107, 31, v107, vcc
; %bb.634:
	s_andn2_saveexec_b64 s[0:1], s[0:1]
	s_cbranch_execz .LBB62_640
; %bb.635:
	v_cmp_ngt_f64_e64 s[18:19], |v[121:122]|, |v[123:124]|
	s_and_saveexec_b64 s[20:21], s[18:19]
	s_xor_b64 s[18:19], exec, s[20:21]
	s_cbranch_execz .LBB62_637
; %bb.636:
	v_div_scale_f64 v[110:111], s[20:21], v[123:124], v[123:124], v[121:122]
	v_rcp_f64_e32 v[112:113], v[110:111]
	v_fma_f64 v[114:115], -v[110:111], v[112:113], 1.0
	v_fma_f64 v[112:113], v[112:113], v[114:115], v[112:113]
	v_div_scale_f64 v[114:115], vcc, v[121:122], v[123:124], v[121:122]
	v_fma_f64 v[116:117], -v[110:111], v[112:113], 1.0
	v_fma_f64 v[112:113], v[112:113], v[116:117], v[112:113]
	v_mul_f64 v[116:117], v[114:115], v[112:113]
	v_fma_f64 v[110:111], -v[110:111], v[116:117], v[114:115]
	v_div_fmas_f64 v[110:111], v[110:111], v[112:113], v[116:117]
	v_div_fixup_f64 v[110:111], v[110:111], v[123:124], v[121:122]
	v_fma_f64 v[112:113], v[121:122], v[110:111], v[123:124]
	v_div_scale_f64 v[114:115], s[20:21], v[112:113], v[112:113], 1.0
	v_div_scale_f64 v[120:121], vcc, 1.0, v[112:113], 1.0
	v_rcp_f64_e32 v[116:117], v[114:115]
	v_fma_f64 v[118:119], -v[114:115], v[116:117], 1.0
	v_fma_f64 v[116:117], v[116:117], v[118:119], v[116:117]
	v_fma_f64 v[118:119], -v[114:115], v[116:117], 1.0
	v_fma_f64 v[116:117], v[116:117], v[118:119], v[116:117]
	v_mul_f64 v[118:119], v[120:121], v[116:117]
	v_fma_f64 v[114:115], -v[114:115], v[118:119], v[120:121]
	v_div_fmas_f64 v[114:115], v[114:115], v[116:117], v[118:119]
	v_div_fixup_f64 v[123:124], v[114:115], v[112:113], 1.0
	v_mul_f64 v[121:122], v[110:111], v[123:124]
	v_xor_b32_e32 v124, 0x80000000, v124
.LBB62_637:
	s_andn2_saveexec_b64 s[18:19], s[18:19]
	s_cbranch_execz .LBB62_639
; %bb.638:
	v_div_scale_f64 v[110:111], s[20:21], v[121:122], v[121:122], v[123:124]
	v_rcp_f64_e32 v[112:113], v[110:111]
	v_fma_f64 v[114:115], -v[110:111], v[112:113], 1.0
	v_fma_f64 v[112:113], v[112:113], v[114:115], v[112:113]
	v_div_scale_f64 v[114:115], vcc, v[123:124], v[121:122], v[123:124]
	v_fma_f64 v[116:117], -v[110:111], v[112:113], 1.0
	v_fma_f64 v[112:113], v[112:113], v[116:117], v[112:113]
	v_mul_f64 v[116:117], v[114:115], v[112:113]
	v_fma_f64 v[110:111], -v[110:111], v[116:117], v[114:115]
	v_div_fmas_f64 v[110:111], v[110:111], v[112:113], v[116:117]
	v_div_fixup_f64 v[110:111], v[110:111], v[121:122], v[123:124]
	v_fma_f64 v[112:113], v[123:124], v[110:111], v[121:122]
	v_div_scale_f64 v[114:115], s[20:21], v[112:113], v[112:113], 1.0
	v_div_scale_f64 v[120:121], vcc, 1.0, v[112:113], 1.0
	v_rcp_f64_e32 v[116:117], v[114:115]
	v_fma_f64 v[118:119], -v[114:115], v[116:117], 1.0
	v_fma_f64 v[116:117], v[116:117], v[118:119], v[116:117]
	v_fma_f64 v[118:119], -v[114:115], v[116:117], 1.0
	v_fma_f64 v[116:117], v[116:117], v[118:119], v[116:117]
	v_mul_f64 v[118:119], v[120:121], v[116:117]
	v_fma_f64 v[114:115], -v[114:115], v[118:119], v[120:121]
	v_div_fmas_f64 v[114:115], v[114:115], v[116:117], v[118:119]
	v_div_fixup_f64 v[121:122], v[114:115], v[112:113], 1.0
	v_mul_f64 v[123:124], v[110:111], -v[121:122]
.LBB62_639:
	s_or_b64 exec, exec, s[18:19]
.LBB62_640:
	s_or_b64 exec, exec, s[0:1]
	v_cmp_ne_u32_e32 vcc, v108, v109
	s_and_saveexec_b64 s[0:1], vcc
	s_xor_b64 s[0:1], exec, s[0:1]
	s_cbranch_execz .LBB62_646
; %bb.641:
	v_cmp_eq_u32_e32 vcc, 30, v108
	s_and_saveexec_b64 s[18:19], vcc
	s_cbranch_execz .LBB62_645
; %bb.642:
	v_cmp_ne_u32_e32 vcc, 30, v109
	s_xor_b64 s[20:21], s[6:7], -1
	s_and_b64 s[22:23], s[20:21], vcc
	s_and_saveexec_b64 s[20:21], s[22:23]
	s_cbranch_execz .LBB62_644
; %bb.643:
	buffer_load_dword v112, off, s[24:27], 0 offset:64 ; 4-byte Folded Reload
	buffer_load_dword v113, off, s[24:27], 0 offset:68 ; 4-byte Folded Reload
	v_ashrrev_i32_e32 v110, 31, v109
	v_lshlrev_b64 v[110:111], 2, v[109:110]
	s_waitcnt vmcnt(1)
	v_add_co_u32_e32 v110, vcc, v112, v110
	s_waitcnt vmcnt(0)
	v_addc_co_u32_e32 v111, vcc, v113, v111, vcc
	global_load_dword v0, v[110:111], off
	global_load_dword v108, v[112:113], off offset:120
	s_waitcnt vmcnt(1)
	global_store_dword v[112:113], v0, off offset:120
	s_waitcnt vmcnt(1)
	global_store_dword v[110:111], v108, off
.LBB62_644:
	s_or_b64 exec, exec, s[20:21]
	v_mov_b32_e32 v108, v109
	v_mov_b32_e32 v0, v109
.LBB62_645:
	s_or_b64 exec, exec, s[18:19]
.LBB62_646:
	s_andn2_saveexec_b64 s[0:1], s[0:1]
; %bb.647:
	v_mov_b32_e32 v108, 30
	ds_write2_b64 v106, v[85:86], v[87:88] offset0:62 offset1:63
; %bb.648:
	s_or_b64 exec, exec, s[0:1]
	v_cmp_lt_i32_e32 vcc, 30, v108
	s_waitcnt vmcnt(0) lgkmcnt(0)
	s_barrier
	s_and_saveexec_b64 s[0:1], vcc
	s_cbranch_execz .LBB62_650
; %bb.649:
	v_mul_f64 v[109:110], v[121:122], v[3:4]
	v_mul_f64 v[3:4], v[123:124], v[3:4]
	v_fma_f64 v[113:114], v[123:124], v[1:2], v[109:110]
	ds_read2_b64 v[109:112], v106 offset0:62 offset1:63
	v_fma_f64 v[1:2], v[121:122], v[1:2], -v[3:4]
	s_waitcnt lgkmcnt(0)
	v_mul_f64 v[3:4], v[111:112], v[113:114]
	v_fma_f64 v[3:4], v[109:110], v[1:2], -v[3:4]
	v_mul_f64 v[109:110], v[109:110], v[113:114]
	v_add_f64 v[85:86], v[85:86], -v[3:4]
	v_fma_f64 v[109:110], v[111:112], v[1:2], v[109:110]
	v_mov_b32_e32 v3, v113
	v_mov_b32_e32 v4, v114
	v_add_f64 v[87:88], v[87:88], -v[109:110]
.LBB62_650:
	s_or_b64 exec, exec, s[0:1]
	v_lshl_add_u32 v109, v108, 4, v106
	s_barrier
	ds_write2_b64 v109, v[85:86], v[87:88] offset1:1
	s_waitcnt lgkmcnt(0)
	s_barrier
	ds_read2_b64 v[121:124], v106 offset0:62 offset1:63
	s_cmp_lt_i32 s3, 33
	v_mov_b32_e32 v109, 31
	s_cbranch_scc1 .LBB62_653
; %bb.651:
	v_add_u32_e32 v106, 0x200, v106
	s_mov_b32 s0, 32
	v_mov_b32_e32 v109, 31
.LBB62_652:                             ; =>This Inner Loop Header: Depth=1
	s_waitcnt lgkmcnt(0)
	v_cmp_gt_f64_e32 vcc, 0, v[121:122]
	v_xor_b32_e32 v114, 0x80000000, v122
	ds_read2_b64 v[110:113], v106 offset1:1
	v_xor_b32_e32 v116, 0x80000000, v124
	v_add_u32_e32 v106, 16, v106
	s_waitcnt lgkmcnt(0)
	v_xor_b32_e32 v118, 0x80000000, v113
	v_cndmask_b32_e32 v115, v122, v114, vcc
	v_cmp_gt_f64_e32 vcc, 0, v[123:124]
	v_mov_b32_e32 v114, v121
	v_cndmask_b32_e32 v117, v124, v116, vcc
	v_cmp_gt_f64_e32 vcc, 0, v[110:111]
	v_mov_b32_e32 v116, v123
	v_add_f64 v[114:115], v[114:115], v[116:117]
	v_xor_b32_e32 v116, 0x80000000, v111
	v_cndmask_b32_e32 v117, v111, v116, vcc
	v_cmp_gt_f64_e32 vcc, 0, v[112:113]
	v_mov_b32_e32 v116, v110
	v_cndmask_b32_e32 v119, v113, v118, vcc
	v_mov_b32_e32 v118, v112
	v_add_f64 v[116:117], v[116:117], v[118:119]
	v_cmp_lt_f64_e32 vcc, v[114:115], v[116:117]
	v_cndmask_b32_e32 v121, v121, v110, vcc
	v_mov_b32_e32 v110, s0
	s_add_i32 s0, s0, 1
	v_cndmask_b32_e32 v122, v122, v111, vcc
	v_cndmask_b32_e32 v124, v124, v113, vcc
	;; [unrolled: 1-line block ×4, first 2 shown]
	s_cmp_lg_u32 s3, s0
	s_cbranch_scc1 .LBB62_652
.LBB62_653:
	s_waitcnt lgkmcnt(0)
	v_cmp_eq_f64_e32 vcc, 0, v[121:122]
	v_cmp_eq_f64_e64 s[0:1], 0, v[123:124]
	s_and_b64 s[0:1], vcc, s[0:1]
	s_and_saveexec_b64 s[18:19], s[0:1]
	s_xor_b64 s[0:1], exec, s[18:19]
; %bb.654:
	v_cmp_ne_u32_e32 vcc, 0, v107
	v_cndmask_b32_e32 v107, 32, v107, vcc
; %bb.655:
	s_andn2_saveexec_b64 s[0:1], s[0:1]
	s_cbranch_execz .LBB62_661
; %bb.656:
	v_cmp_ngt_f64_e64 s[18:19], |v[121:122]|, |v[123:124]|
	s_and_saveexec_b64 s[20:21], s[18:19]
	s_xor_b64 s[18:19], exec, s[20:21]
	s_cbranch_execz .LBB62_658
; %bb.657:
	v_div_scale_f64 v[110:111], s[20:21], v[123:124], v[123:124], v[121:122]
	v_rcp_f64_e32 v[112:113], v[110:111]
	v_fma_f64 v[114:115], -v[110:111], v[112:113], 1.0
	v_fma_f64 v[112:113], v[112:113], v[114:115], v[112:113]
	v_div_scale_f64 v[114:115], vcc, v[121:122], v[123:124], v[121:122]
	v_fma_f64 v[116:117], -v[110:111], v[112:113], 1.0
	v_fma_f64 v[112:113], v[112:113], v[116:117], v[112:113]
	v_mul_f64 v[116:117], v[114:115], v[112:113]
	v_fma_f64 v[110:111], -v[110:111], v[116:117], v[114:115]
	v_div_fmas_f64 v[110:111], v[110:111], v[112:113], v[116:117]
	v_div_fixup_f64 v[110:111], v[110:111], v[123:124], v[121:122]
	v_fma_f64 v[112:113], v[121:122], v[110:111], v[123:124]
	v_div_scale_f64 v[114:115], s[20:21], v[112:113], v[112:113], 1.0
	v_div_scale_f64 v[120:121], vcc, 1.0, v[112:113], 1.0
	v_rcp_f64_e32 v[116:117], v[114:115]
	v_fma_f64 v[118:119], -v[114:115], v[116:117], 1.0
	v_fma_f64 v[116:117], v[116:117], v[118:119], v[116:117]
	v_fma_f64 v[118:119], -v[114:115], v[116:117], 1.0
	v_fma_f64 v[116:117], v[116:117], v[118:119], v[116:117]
	v_mul_f64 v[118:119], v[120:121], v[116:117]
	v_fma_f64 v[114:115], -v[114:115], v[118:119], v[120:121]
	v_div_fmas_f64 v[114:115], v[114:115], v[116:117], v[118:119]
	v_div_fixup_f64 v[123:124], v[114:115], v[112:113], 1.0
	v_mul_f64 v[121:122], v[110:111], v[123:124]
	v_xor_b32_e32 v124, 0x80000000, v124
.LBB62_658:
	s_andn2_saveexec_b64 s[18:19], s[18:19]
	s_cbranch_execz .LBB62_660
; %bb.659:
	v_div_scale_f64 v[110:111], s[20:21], v[121:122], v[121:122], v[123:124]
	v_rcp_f64_e32 v[112:113], v[110:111]
	v_fma_f64 v[114:115], -v[110:111], v[112:113], 1.0
	v_fma_f64 v[112:113], v[112:113], v[114:115], v[112:113]
	v_div_scale_f64 v[114:115], vcc, v[123:124], v[121:122], v[123:124]
	v_fma_f64 v[116:117], -v[110:111], v[112:113], 1.0
	v_fma_f64 v[112:113], v[112:113], v[116:117], v[112:113]
	v_mul_f64 v[116:117], v[114:115], v[112:113]
	v_fma_f64 v[110:111], -v[110:111], v[116:117], v[114:115]
	v_div_fmas_f64 v[110:111], v[110:111], v[112:113], v[116:117]
	v_div_fixup_f64 v[110:111], v[110:111], v[121:122], v[123:124]
	v_fma_f64 v[112:113], v[123:124], v[110:111], v[121:122]
	v_div_scale_f64 v[114:115], s[20:21], v[112:113], v[112:113], 1.0
	v_div_scale_f64 v[120:121], vcc, 1.0, v[112:113], 1.0
	v_rcp_f64_e32 v[116:117], v[114:115]
	v_fma_f64 v[118:119], -v[114:115], v[116:117], 1.0
	v_fma_f64 v[116:117], v[116:117], v[118:119], v[116:117]
	v_fma_f64 v[118:119], -v[114:115], v[116:117], 1.0
	v_fma_f64 v[116:117], v[116:117], v[118:119], v[116:117]
	v_mul_f64 v[118:119], v[120:121], v[116:117]
	v_fma_f64 v[114:115], -v[114:115], v[118:119], v[120:121]
	v_div_fmas_f64 v[114:115], v[114:115], v[116:117], v[118:119]
	v_div_fixup_f64 v[121:122], v[114:115], v[112:113], 1.0
	v_mul_f64 v[123:124], v[110:111], -v[121:122]
.LBB62_660:
	s_or_b64 exec, exec, s[18:19]
.LBB62_661:
	s_or_b64 exec, exec, s[0:1]
	v_cmp_ne_u32_e32 vcc, v108, v109
	v_mov_b32_e32 v110, 31
	s_and_saveexec_b64 s[0:1], vcc
	s_cbranch_execz .LBB62_667
; %bb.662:
	v_cmp_eq_u32_e32 vcc, 31, v108
	s_and_saveexec_b64 s[18:19], vcc
	s_cbranch_execz .LBB62_666
; %bb.663:
	v_cmp_ne_u32_e32 vcc, 31, v109
	s_xor_b64 s[6:7], s[6:7], -1
	s_and_b64 s[20:21], s[6:7], vcc
	s_and_saveexec_b64 s[6:7], s[20:21]
	s_cbranch_execz .LBB62_665
; %bb.664:
	buffer_load_dword v112, off, s[24:27], 0 offset:64 ; 4-byte Folded Reload
	buffer_load_dword v113, off, s[24:27], 0 offset:68 ; 4-byte Folded Reload
	v_ashrrev_i32_e32 v110, 31, v109
	v_lshlrev_b64 v[110:111], 2, v[109:110]
	s_waitcnt vmcnt(1)
	v_add_co_u32_e32 v110, vcc, v112, v110
	s_waitcnt vmcnt(0)
	v_addc_co_u32_e32 v111, vcc, v113, v111, vcc
	global_load_dword v0, v[110:111], off
	global_load_dword v106, v[112:113], off offset:124
	s_waitcnt vmcnt(1)
	global_store_dword v[112:113], v0, off offset:124
	s_waitcnt vmcnt(1)
	global_store_dword v[110:111], v106, off
.LBB62_665:
	s_or_b64 exec, exec, s[6:7]
	v_mov_b32_e32 v108, v109
	v_mov_b32_e32 v0, v109
.LBB62_666:
	s_or_b64 exec, exec, s[18:19]
	v_mov_b32_e32 v110, v108
.LBB62_667:
	s_or_b64 exec, exec, s[0:1]
	v_cmp_gt_i32_e32 vcc, 32, v110
	v_ashrrev_i32_e32 v111, 31, v110
	s_waitcnt vmcnt(0)
	s_barrier
	s_barrier
	s_and_saveexec_b64 s[0:1], vcc
	s_cbranch_execz .LBB62_669
; %bb.668:
	buffer_load_dword v108, off, s[24:27], 0 offset:104 ; 4-byte Folded Reload
	buffer_load_dword v109, off, s[24:27], 0 offset:108 ; 4-byte Folded Reload
	v_add3_u32 v0, v0, s17, 1
	s_waitcnt vmcnt(1)
	v_mul_lo_u32 v106, s15, v108
	s_waitcnt vmcnt(0)
	v_mul_lo_u32 v112, s14, v109
	v_mad_u64_u32 v[108:109], s[6:7], s14, v108, 0
	s_lshl_b64 s[6:7], s[12:13], 2
	v_add3_u32 v109, v109, v112, v106
	v_lshlrev_b64 v[108:109], 2, v[108:109]
	v_mov_b32_e32 v106, s11
	v_add_co_u32_e32 v108, vcc, s10, v108
	v_addc_co_u32_e32 v106, vcc, v106, v109, vcc
	v_mov_b32_e32 v109, s7
	v_add_co_u32_e32 v112, vcc, s6, v108
	v_addc_co_u32_e32 v106, vcc, v106, v109, vcc
	v_lshlrev_b64 v[108:109], 2, v[110:111]
	v_add_co_u32_e32 v108, vcc, v112, v108
	v_addc_co_u32_e32 v109, vcc, v106, v109, vcc
	global_store_dword v[108:109], v0, off
.LBB62_669:
	s_or_b64 exec, exec, s[0:1]
	v_cmp_eq_u32_e32 vcc, 0, v110
	s_and_saveexec_b64 s[6:7], vcc
	s_cbranch_execz .LBB62_672
; %bb.670:
	buffer_load_dword v108, off, s[24:27], 0 offset:104 ; 4-byte Folded Reload
	buffer_load_dword v109, off, s[24:27], 0 offset:108 ; 4-byte Folded Reload
	v_mov_b32_e32 v0, s5
	v_cmp_ne_u32_e64 s[0:1], 0, v107
	s_waitcnt vmcnt(0)
	v_lshlrev_b64 v[108:109], 2, v[108:109]
	v_add_co_u32_e32 v112, vcc, s4, v108
	v_addc_co_u32_e32 v113, vcc, v0, v109, vcc
	global_load_dword v0, v[112:113], off
	s_waitcnt vmcnt(0)
	v_cmp_eq_u32_e32 vcc, 0, v0
	s_and_b64 s[0:1], vcc, s[0:1]
	s_and_b64 exec, exec, s[0:1]
	s_cbranch_execz .LBB62_672
; %bb.671:
	v_add_u32_e32 v0, s17, v107
	global_store_dword v[112:113], v0, off
.LBB62_672:
	s_or_b64 exec, exec, s[6:7]
	v_mul_f64 v[106:107], v[121:122], v[87:88]
	v_cmp_lt_i32_e32 vcc, 31, v110
	v_mul_f64 v[108:109], v[123:124], v[87:88]
	v_mov_b32_e32 v0, s9
	v_fma_f64 v[106:107], v[123:124], v[85:86], v[106:107]
	v_fma_f64 v[108:109], v[121:122], v[85:86], -v[108:109]
	v_cndmask_b32_e32 v88, v88, v107, vcc
	v_cndmask_b32_e32 v87, v87, v106, vcc
	v_lshlrev_b64 v[106:107], 4, v[110:111]
	buffer_load_dword v111, off, s[24:27], 0 offset:88 ; 4-byte Folded Reload
	buffer_load_dword v112, off, s[24:27], 0 offset:92 ; 4-byte Folded Reload
	;; [unrolled: 1-line block ×4, first 2 shown]
	v_cndmask_b32_e32 v86, v86, v109, vcc
	v_cndmask_b32_e32 v85, v85, v108, vcc
	v_add_co_u32_e32 v106, vcc, v127, v106
	v_addc_co_u32_e32 v107, vcc, v105, v107, vcc
	s_waitcnt vmcnt(0)
	global_store_dwordx4 v[106:107], v[111:114], off
	buffer_load_dword v111, off, s[24:27], 0 offset:72 ; 4-byte Folded Reload
	s_nop 0
	buffer_load_dword v112, off, s[24:27], 0 offset:76 ; 4-byte Folded Reload
	buffer_load_dword v113, off, s[24:27], 0 offset:80 ; 4-byte Folded Reload
	;; [unrolled: 1-line block ×3, first 2 shown]
	v_add_co_u32_e32 v106, vcc, s8, v106
	v_addc_co_u32_e32 v107, vcc, v107, v0, vcc
	s_waitcnt vmcnt(0)
	global_store_dwordx4 v[106:107], v[111:114], off
	v_add_u32_e32 v106, s16, v110
	buffer_load_dword v109, off, s[24:27], 0 offset:48 ; 4-byte Folded Reload
	buffer_load_dword v110, off, s[24:27], 0 offset:52 ; 4-byte Folded Reload
	;; [unrolled: 1-line block ×4, first 2 shown]
	v_ashrrev_i32_e32 v107, 31, v106
	v_lshlrev_b64 v[107:108], 4, v[106:107]
	v_add_u32_e32 v106, s2, v106
	v_add_co_u32_e32 v107, vcc, v127, v107
	v_addc_co_u32_e32 v108, vcc, v105, v108, vcc
	s_waitcnt vmcnt(0)
	global_store_dwordx4 v[107:108], v[109:112], off
	buffer_load_dword v109, off, s[24:27], 0 offset:32 ; 4-byte Folded Reload
	s_nop 0
	buffer_load_dword v110, off, s[24:27], 0 offset:36 ; 4-byte Folded Reload
	buffer_load_dword v111, off, s[24:27], 0 offset:40 ; 4-byte Folded Reload
	buffer_load_dword v112, off, s[24:27], 0 offset:44 ; 4-byte Folded Reload
	v_ashrrev_i32_e32 v107, 31, v106
	v_lshlrev_b64 v[107:108], 4, v[106:107]
	v_add_u32_e32 v106, s2, v106
	v_add_co_u32_e32 v107, vcc, v127, v107
	v_addc_co_u32_e32 v108, vcc, v105, v108, vcc
	s_waitcnt vmcnt(0)
	global_store_dwordx4 v[107:108], v[109:112], off
	buffer_load_dword v109, off, s[24:27], 0 offset:16 ; 4-byte Folded Reload
	s_nop 0
	buffer_load_dword v110, off, s[24:27], 0 offset:20 ; 4-byte Folded Reload
	buffer_load_dword v111, off, s[24:27], 0 offset:24 ; 4-byte Folded Reload
	;; [unrolled: 1-line block ×3, first 2 shown]
	v_ashrrev_i32_e32 v107, 31, v106
	v_lshlrev_b64 v[107:108], 4, v[106:107]
	v_add_u32_e32 v106, s2, v106
	v_add_co_u32_e32 v107, vcc, v127, v107
	v_addc_co_u32_e32 v108, vcc, v105, v108, vcc
	s_waitcnt vmcnt(0)
	global_store_dwordx4 v[107:108], v[109:112], off
	buffer_load_dword v109, off, s[24:27], 0 ; 4-byte Folded Reload
	s_nop 0
	buffer_load_dword v110, off, s[24:27], 0 offset:4 ; 4-byte Folded Reload
	buffer_load_dword v111, off, s[24:27], 0 offset:8 ; 4-byte Folded Reload
	;; [unrolled: 1-line block ×3, first 2 shown]
	v_ashrrev_i32_e32 v107, 31, v106
	v_lshlrev_b64 v[107:108], 4, v[106:107]
	v_add_u32_e32 v106, s2, v106
	v_add_co_u32_e32 v107, vcc, v127, v107
	v_addc_co_u32_e32 v108, vcc, v105, v108, vcc
	s_waitcnt vmcnt(0)
	global_store_dwordx4 v[107:108], v[109:112], off
	v_ashrrev_i32_e32 v107, 31, v106
	v_lshlrev_b64 v[107:108], 4, v[106:107]
	v_add_co_u32_e32 v107, vcc, v127, v107
	v_addc_co_u32_e32 v108, vcc, v105, v108, vcc
	global_store_dwordx4 v[107:108], v[101:104], off
	s_nop 0
	v_add_u32_e32 v101, s2, v106
	v_ashrrev_i32_e32 v102, 31, v101
	v_lshlrev_b64 v[102:103], 4, v[101:102]
	v_add_co_u32_e32 v102, vcc, v127, v102
	v_addc_co_u32_e32 v103, vcc, v105, v103, vcc
	global_store_dwordx4 v[102:103], v[97:100], off
	s_nop 0
	v_add_u32_e32 v97, s2, v101
	;; [unrolled: 7-line block ×24, first 2 shown]
	v_ashrrev_i32_e32 v6, 31, v5
	v_lshlrev_b64 v[6:7], 4, v[5:6]
	v_add_u32_e32 v0, s2, v5
	v_add_co_u32_e32 v6, vcc, v127, v6
	v_addc_co_u32_e32 v7, vcc, v105, v7, vcc
	global_store_dwordx4 v[6:7], v[1:4], off
	s_nop 0
	v_ashrrev_i32_e32 v1, 31, v0
	v_lshlrev_b64 v[0:1], 4, v[0:1]
	v_add_co_u32_e32 v0, vcc, v127, v0
	v_addc_co_u32_e32 v1, vcc, v105, v1, vcc
	global_store_dwordx4 v[0:1], v[85:88], off
.LBB62_673:
	s_endpgm
	.section	.rodata,"a",@progbits
	.p2align	6, 0x0
	.amdhsa_kernel _ZN9rocsolver6v33100L18getf2_small_kernelILi32E19rocblas_complex_numIdEiiPS3_EEvT1_T3_lS5_lPS5_llPT2_S5_S5_S7_l
		.amdhsa_group_segment_fixed_size 0
		.amdhsa_private_segment_fixed_size 116
		.amdhsa_kernarg_size 352
		.amdhsa_user_sgpr_count 6
		.amdhsa_user_sgpr_private_segment_buffer 1
		.amdhsa_user_sgpr_dispatch_ptr 0
		.amdhsa_user_sgpr_queue_ptr 0
		.amdhsa_user_sgpr_kernarg_segment_ptr 1
		.amdhsa_user_sgpr_dispatch_id 0
		.amdhsa_user_sgpr_flat_scratch_init 0
		.amdhsa_user_sgpr_private_segment_size 0
		.amdhsa_uses_dynamic_stack 0
		.amdhsa_system_sgpr_private_segment_wavefront_offset 1
		.amdhsa_system_sgpr_workgroup_id_x 1
		.amdhsa_system_sgpr_workgroup_id_y 1
		.amdhsa_system_sgpr_workgroup_id_z 0
		.amdhsa_system_sgpr_workgroup_info 0
		.amdhsa_system_vgpr_workitem_id 1
		.amdhsa_next_free_vgpr 128
		.amdhsa_next_free_sgpr 28
		.amdhsa_reserve_vcc 1
		.amdhsa_reserve_flat_scratch 0
		.amdhsa_float_round_mode_32 0
		.amdhsa_float_round_mode_16_64 0
		.amdhsa_float_denorm_mode_32 3
		.amdhsa_float_denorm_mode_16_64 3
		.amdhsa_dx10_clamp 1
		.amdhsa_ieee_mode 1
		.amdhsa_fp16_overflow 0
		.amdhsa_exception_fp_ieee_invalid_op 0
		.amdhsa_exception_fp_denorm_src 0
		.amdhsa_exception_fp_ieee_div_zero 0
		.amdhsa_exception_fp_ieee_overflow 0
		.amdhsa_exception_fp_ieee_underflow 0
		.amdhsa_exception_fp_ieee_inexact 0
		.amdhsa_exception_int_div_zero 0
	.end_amdhsa_kernel
	.section	.text._ZN9rocsolver6v33100L18getf2_small_kernelILi32E19rocblas_complex_numIdEiiPS3_EEvT1_T3_lS5_lPS5_llPT2_S5_S5_S7_l,"axG",@progbits,_ZN9rocsolver6v33100L18getf2_small_kernelILi32E19rocblas_complex_numIdEiiPS3_EEvT1_T3_lS5_lPS5_llPT2_S5_S5_S7_l,comdat
.Lfunc_end62:
	.size	_ZN9rocsolver6v33100L18getf2_small_kernelILi32E19rocblas_complex_numIdEiiPS3_EEvT1_T3_lS5_lPS5_llPT2_S5_S5_S7_l, .Lfunc_end62-_ZN9rocsolver6v33100L18getf2_small_kernelILi32E19rocblas_complex_numIdEiiPS3_EEvT1_T3_lS5_lPS5_llPT2_S5_S5_S7_l
                                        ; -- End function
	.set _ZN9rocsolver6v33100L18getf2_small_kernelILi32E19rocblas_complex_numIdEiiPS3_EEvT1_T3_lS5_lPS5_llPT2_S5_S5_S7_l.num_vgpr, 128
	.set _ZN9rocsolver6v33100L18getf2_small_kernelILi32E19rocblas_complex_numIdEiiPS3_EEvT1_T3_lS5_lPS5_llPT2_S5_S5_S7_l.num_agpr, 0
	.set _ZN9rocsolver6v33100L18getf2_small_kernelILi32E19rocblas_complex_numIdEiiPS3_EEvT1_T3_lS5_lPS5_llPT2_S5_S5_S7_l.numbered_sgpr, 28
	.set _ZN9rocsolver6v33100L18getf2_small_kernelILi32E19rocblas_complex_numIdEiiPS3_EEvT1_T3_lS5_lPS5_llPT2_S5_S5_S7_l.num_named_barrier, 0
	.set _ZN9rocsolver6v33100L18getf2_small_kernelILi32E19rocblas_complex_numIdEiiPS3_EEvT1_T3_lS5_lPS5_llPT2_S5_S5_S7_l.private_seg_size, 116
	.set _ZN9rocsolver6v33100L18getf2_small_kernelILi32E19rocblas_complex_numIdEiiPS3_EEvT1_T3_lS5_lPS5_llPT2_S5_S5_S7_l.uses_vcc, 1
	.set _ZN9rocsolver6v33100L18getf2_small_kernelILi32E19rocblas_complex_numIdEiiPS3_EEvT1_T3_lS5_lPS5_llPT2_S5_S5_S7_l.uses_flat_scratch, 0
	.set _ZN9rocsolver6v33100L18getf2_small_kernelILi32E19rocblas_complex_numIdEiiPS3_EEvT1_T3_lS5_lPS5_llPT2_S5_S5_S7_l.has_dyn_sized_stack, 0
	.set _ZN9rocsolver6v33100L18getf2_small_kernelILi32E19rocblas_complex_numIdEiiPS3_EEvT1_T3_lS5_lPS5_llPT2_S5_S5_S7_l.has_recursion, 0
	.set _ZN9rocsolver6v33100L18getf2_small_kernelILi32E19rocblas_complex_numIdEiiPS3_EEvT1_T3_lS5_lPS5_llPT2_S5_S5_S7_l.has_indirect_call, 0
	.section	.AMDGPU.csdata,"",@progbits
; Kernel info:
; codeLenInByte = 68140
; TotalNumSgprs: 32
; NumVgprs: 128
; ScratchSize: 116
; MemoryBound: 0
; FloatMode: 240
; IeeeMode: 1
; LDSByteSize: 0 bytes/workgroup (compile time only)
; SGPRBlocks: 3
; VGPRBlocks: 31
; NumSGPRsForWavesPerEU: 32
; NumVGPRsForWavesPerEU: 128
; Occupancy: 2
; WaveLimiterHint : 0
; COMPUTE_PGM_RSRC2:SCRATCH_EN: 1
; COMPUTE_PGM_RSRC2:USER_SGPR: 6
; COMPUTE_PGM_RSRC2:TRAP_HANDLER: 0
; COMPUTE_PGM_RSRC2:TGID_X_EN: 1
; COMPUTE_PGM_RSRC2:TGID_Y_EN: 1
; COMPUTE_PGM_RSRC2:TGID_Z_EN: 0
; COMPUTE_PGM_RSRC2:TIDIG_COMP_CNT: 1
	.section	.text._ZN9rocsolver6v33100L23getf2_npvt_small_kernelILi32E19rocblas_complex_numIdEiiPS3_EEvT1_T3_lS5_lPT2_S5_S5_,"axG",@progbits,_ZN9rocsolver6v33100L23getf2_npvt_small_kernelILi32E19rocblas_complex_numIdEiiPS3_EEvT1_T3_lS5_lPT2_S5_S5_,comdat
	.globl	_ZN9rocsolver6v33100L23getf2_npvt_small_kernelILi32E19rocblas_complex_numIdEiiPS3_EEvT1_T3_lS5_lPT2_S5_S5_ ; -- Begin function _ZN9rocsolver6v33100L23getf2_npvt_small_kernelILi32E19rocblas_complex_numIdEiiPS3_EEvT1_T3_lS5_lPT2_S5_S5_
	.p2align	8
	.type	_ZN9rocsolver6v33100L23getf2_npvt_small_kernelILi32E19rocblas_complex_numIdEiiPS3_EEvT1_T3_lS5_lPT2_S5_S5_,@function
_ZN9rocsolver6v33100L23getf2_npvt_small_kernelILi32E19rocblas_complex_numIdEiiPS3_EEvT1_T3_lS5_lPT2_S5_S5_: ; @_ZN9rocsolver6v33100L23getf2_npvt_small_kernelILi32E19rocblas_complex_numIdEiiPS3_EEvT1_T3_lS5_lPT2_S5_S5_
; %bb.0:
	s_mov_b64 s[22:23], s[2:3]
	s_mov_b64 s[20:21], s[0:1]
	s_load_dword s0, s[4:5], 0x44
	s_load_dwordx2 s[12:13], s[4:5], 0x30
	s_add_u32 s20, s20, s8
	s_addc_u32 s21, s21, 0
	v_mov_b32_e32 v126, v0
	s_waitcnt lgkmcnt(0)
	s_lshr_b32 s2, s0, 16
	s_mul_i32 s7, s7, s2
	v_add_u32_e32 v2, s7, v1
	v_cmp_gt_i32_e32 vcc, s12, v2
	s_and_saveexec_b64 s[0:1], vcc
	s_cbranch_execz .LBB63_291
; %bb.1:
	s_load_dwordx4 s[8:11], s[4:5], 0x20
	s_load_dwordx4 s[16:19], s[4:5], 0x8
	v_ashrrev_i32_e32 v3, 31, v2
	v_lshl_add_u32 v125, v1, 9, 0
	s_waitcnt lgkmcnt(0)
	v_mul_lo_u32 v4, s9, v2
	v_mul_lo_u32 v5, s8, v3
	buffer_store_dword v2, off, s[20:23], 0 offset:896 ; 4-byte Folded Spill
	s_nop 0
	buffer_store_dword v3, off, s[20:23], 0 offset:900 ; 4-byte Folded Spill
	v_mov_b32_e32 v6, s17
	v_mad_u64_u32 v[2:3], s[0:1], s8, v2, 0
	s_load_dword s0, s[4:5], 0x18
	s_lshl_b64 s[4:5], s[18:19], 4
	v_add3_u32 v3, v3, v5, v4
	v_lshlrev_b64 v[2:3], 4, v[2:3]
	v_mov_b32_e32 v4, s5
	v_add_co_u32_e32 v2, vcc, s16, v2
	v_addc_co_u32_e32 v3, vcc, v6, v3, vcc
	v_add_co_u32_e32 v2, vcc, s4, v2
	s_waitcnt lgkmcnt(0)
	s_add_i32 s1, s0, s0
	v_addc_co_u32_e32 v3, vcc, v3, v4, vcc
	v_add_u32_e32 v4, s1, v126
	v_ashrrev_i32_e32 v5, 31, v4
	v_lshlrev_b64 v[5:6], 4, v[4:5]
	v_add_u32_e32 v4, s0, v4
	v_add_co_u32_e32 v47, vcc, v2, v5
	v_ashrrev_i32_e32 v5, 31, v4
	v_addc_co_u32_e32 v48, vcc, v3, v6, vcc
	v_lshlrev_b64 v[5:6], 4, v[4:5]
	v_add_u32_e32 v4, s0, v4
	v_add_co_u32_e32 v7, vcc, v2, v5
	v_ashrrev_i32_e32 v5, 31, v4
	v_addc_co_u32_e32 v8, vcc, v3, v6, vcc
	;; [unrolled: 5-line block ×28, first 2 shown]
	v_lshlrev_b64 v[5:6], 4, v[4:5]
	v_add_u32_e32 v4, s0, v4
	v_add_co_u32_e32 v107, vcc, v2, v5
	v_ashrrev_i32_e32 v5, 31, v4
	v_lshlrev_b64 v[4:5], 4, v[4:5]
	v_addc_co_u32_e32 v108, vcc, v3, v6, vcc
	v_add_co_u32_e32 v109, vcc, v2, v4
	v_addc_co_u32_e32 v110, vcc, v3, v5, vcc
	v_lshlrev_b32_e32 v4, 4, v126
	v_add_co_u32_e32 v5, vcc, v2, v4
	s_ashr_i32 s1, s0, 31
	v_addc_co_u32_e32 v6, vcc, 0, v3, vcc
	s_lshl_b64 s[0:1], s[0:1], 4
	v_mov_b32_e32 v2, s1
	v_add_co_u32_e32 v3, vcc, s0, v5
	v_addc_co_u32_e32 v4, vcc, v6, v2, vcc
	buffer_store_dword v5, off, s[20:23], 0 offset:888 ; 4-byte Folded Spill
	s_nop 0
	buffer_store_dword v6, off, s[20:23], 0 offset:892 ; 4-byte Folded Spill
	s_lshl_b32 s0, s2, 9
	s_add_i32 s0, s0, 0
	v_lshl_add_u32 v127, v1, 4, s0
	v_cmp_ne_u32_e64 s[2:3], 0, v126
	v_cmp_eq_u32_e64 s[0:1], 0, v126
	global_load_dwordx4 v[43:46], v[5:6], off
	s_waitcnt vmcnt(0)
	buffer_store_dword v43, off, s[20:23], 0 offset:144 ; 4-byte Folded Spill
	s_nop 0
	buffer_store_dword v44, off, s[20:23], 0 offset:148 ; 4-byte Folded Spill
	buffer_store_dword v45, off, s[20:23], 0 offset:152 ; 4-byte Folded Spill
	buffer_store_dword v46, off, s[20:23], 0 offset:156 ; 4-byte Folded Spill
	buffer_store_dword v3, off, s[20:23], 0 offset:456 ; 4-byte Folded Spill
	s_nop 0
	buffer_store_dword v4, off, s[20:23], 0 offset:460 ; 4-byte Folded Spill
	global_load_dwordx4 v[1:4], v[3:4], off
	s_waitcnt vmcnt(0)
	buffer_store_dword v1, off, s[20:23], 0 offset:112 ; 4-byte Folded Spill
	s_nop 0
	buffer_store_dword v2, off, s[20:23], 0 offset:116 ; 4-byte Folded Spill
	buffer_store_dword v3, off, s[20:23], 0 offset:120 ; 4-byte Folded Spill
	buffer_store_dword v4, off, s[20:23], 0 offset:124 ; 4-byte Folded Spill
	buffer_store_dword v47, off, s[20:23], 0 offset:880 ; 4-byte Folded Spill
	s_nop 0
	buffer_store_dword v48, off, s[20:23], 0 offset:884 ; 4-byte Folded Spill
	;; [unrolled: 10-line block ×6, first 2 shown]
	global_load_dwordx4 v[5:8], v[11:12], off
	s_nop 0
	buffer_store_dword v13, off, s[20:23], 0 offset:184 ; 4-byte Folded Spill
	s_nop 0
	buffer_store_dword v14, off, s[20:23], 0 offset:188 ; 4-byte Folded Spill
	global_load_dwordx4 v[1:4], v[13:14], off
	s_waitcnt vmcnt(0)
	buffer_store_dword v1, off, s[20:23], 0 offset:32 ; 4-byte Folded Spill
	s_nop 0
	buffer_store_dword v2, off, s[20:23], 0 offset:36 ; 4-byte Folded Spill
	buffer_store_dword v3, off, s[20:23], 0 offset:40 ; 4-byte Folded Spill
	buffer_store_dword v4, off, s[20:23], 0 offset:44 ; 4-byte Folded Spill
	buffer_store_dword v15, off, s[20:23], 0 offset:192 ; 4-byte Folded Spill
	s_nop 0
	buffer_store_dword v16, off, s[20:23], 0 offset:196 ; 4-byte Folded Spill
	global_load_dwordx4 v[1:4], v[15:16], off
	s_waitcnt vmcnt(0)
	buffer_store_dword v1, off, s[20:23], 0 offset:16 ; 4-byte Folded Spill
	s_nop 0
	buffer_store_dword v2, off, s[20:23], 0 offset:20 ; 4-byte Folded Spill
	buffer_store_dword v3, off, s[20:23], 0 offset:24 ; 4-byte Folded Spill
	;; [unrolled: 1-line block ×4, first 2 shown]
	s_nop 0
	buffer_store_dword v18, off, s[20:23], 0 offset:204 ; 4-byte Folded Spill
	global_load_dwordx4 v[1:4], v[17:18], off
	s_nop 0
	buffer_store_dword v19, off, s[20:23], 0 offset:208 ; 4-byte Folded Spill
	s_nop 0
	buffer_store_dword v20, off, s[20:23], 0 offset:212 ; 4-byte Folded Spill
	global_load_dwordx4 v[81:84], v[19:20], off
	s_nop 0
	buffer_store_dword v21, off, s[20:23], 0 offset:216 ; 4-byte Folded Spill
	;; [unrolled: 5-line block ×14, first 2 shown]
	s_nop 0
	buffer_store_dword v94, off, s[20:23], 0 offset:316 ; 4-byte Folded Spill
	s_waitcnt vmcnt(41)
	v_mov_b32_e32 v92, v4
	v_mov_b32_e32 v91, v3
	;; [unrolled: 1-line block ×4, first 2 shown]
	global_load_dwordx4 v[29:32], v[93:94], off
	s_nop 0
	buffer_store_dword v95, off, s[20:23], 0 offset:320 ; 4-byte Folded Spill
	s_nop 0
	buffer_store_dword v96, off, s[20:23], 0 offset:324 ; 4-byte Folded Spill
	global_load_dwordx4 v[25:28], v[95:96], off
	s_nop 0
	buffer_store_dword v97, off, s[20:23], 0 offset:328 ; 4-byte Folded Spill
	s_nop 0
	buffer_store_dword v98, off, s[20:23], 0 offset:332 ; 4-byte Folded Spill
	v_mov_b32_e32 v96, v8
	v_mov_b32_e32 v95, v7
	;; [unrolled: 1-line block ×4, first 2 shown]
	global_load_dwordx4 v[21:24], v[97:98], off
	s_nop 0
	buffer_store_dword v99, off, s[20:23], 0 offset:336 ; 4-byte Folded Spill
	s_nop 0
	buffer_store_dword v100, off, s[20:23], 0 offset:340 ; 4-byte Folded Spill
	global_load_dwordx4 v[17:20], v[99:100], off
	s_nop 0
	buffer_store_dword v101, off, s[20:23], 0 offset:344 ; 4-byte Folded Spill
	s_nop 0
	buffer_store_dword v102, off, s[20:23], 0 offset:348 ; 4-byte Folded Spill
	;; [unrolled: 5-line block ×5, first 2 shown]
	global_load_dwordx4 v[0:3], v[107:108], off
	s_waitcnt vmcnt(0)
	buffer_store_dword v0, off, s[20:23], 0 ; 4-byte Folded Spill
	s_nop 0
	buffer_store_dword v1, off, s[20:23], 0 offset:4 ; 4-byte Folded Spill
	buffer_store_dword v2, off, s[20:23], 0 offset:8 ; 4-byte Folded Spill
	;; [unrolled: 1-line block ×4, first 2 shown]
	s_nop 0
	buffer_store_dword v110, off, s[20:23], 0 offset:380 ; 4-byte Folded Spill
	global_load_dwordx4 v[109:112], v[109:110], off
	s_and_saveexec_b64 s[6:7], s[0:1]
	s_cbranch_execz .LBB63_8
; %bb.2:
	buffer_load_dword v97, off, s[20:23], 0 offset:144 ; 4-byte Folded Reload
	buffer_load_dword v98, off, s[20:23], 0 offset:148 ; 4-byte Folded Reload
	;; [unrolled: 1-line block ×4, first 2 shown]
	s_waitcnt vmcnt(0)
	ds_write2_b64 v127, v[97:98], v[99:100] offset1:1
	buffer_load_dword v97, off, s[20:23], 0 offset:112 ; 4-byte Folded Reload
	buffer_load_dword v98, off, s[20:23], 0 offset:116 ; 4-byte Folded Reload
	buffer_load_dword v99, off, s[20:23], 0 offset:120 ; 4-byte Folded Reload
	buffer_load_dword v100, off, s[20:23], 0 offset:124 ; 4-byte Folded Reload
	s_waitcnt vmcnt(0)
	ds_write2_b64 v125, v[97:98], v[99:100] offset0:2 offset1:3
	buffer_load_dword v97, off, s[20:23], 0 offset:96 ; 4-byte Folded Reload
	buffer_load_dword v98, off, s[20:23], 0 offset:100 ; 4-byte Folded Reload
	buffer_load_dword v99, off, s[20:23], 0 offset:104 ; 4-byte Folded Reload
	buffer_load_dword v100, off, s[20:23], 0 offset:108 ; 4-byte Folded Reload
	s_waitcnt vmcnt(0)
	ds_write2_b64 v125, v[97:98], v[99:100] offset0:4 offset1:5
	;; [unrolled: 6-line block ×5, first 2 shown]
	ds_write2_b64 v125, v[93:94], v[95:96] offset0:12 offset1:13
	buffer_load_dword v85, off, s[20:23], 0 offset:32 ; 4-byte Folded Reload
	buffer_load_dword v86, off, s[20:23], 0 offset:36 ; 4-byte Folded Reload
	;; [unrolled: 1-line block ×4, first 2 shown]
	s_waitcnt vmcnt(0)
	ds_write2_b64 v125, v[85:86], v[87:88] offset0:14 offset1:15
	buffer_load_dword v85, off, s[20:23], 0 offset:16 ; 4-byte Folded Reload
	buffer_load_dword v86, off, s[20:23], 0 offset:20 ; 4-byte Folded Reload
	;; [unrolled: 1-line block ×4, first 2 shown]
	s_waitcnt vmcnt(0)
	ds_write2_b64 v125, v[85:86], v[87:88] offset0:16 offset1:17
	ds_write2_b64 v125, v[89:90], v[91:92] offset0:18 offset1:19
	;; [unrolled: 1-line block ×22, first 2 shown]
	buffer_load_dword v0, off, s[20:23], 0  ; 4-byte Folded Reload
	buffer_load_dword v1, off, s[20:23], 0 offset:4 ; 4-byte Folded Reload
	buffer_load_dword v2, off, s[20:23], 0 offset:8 ; 4-byte Folded Reload
	;; [unrolled: 1-line block ×3, first 2 shown]
	s_waitcnt vmcnt(0)
	ds_write2_b64 v125, v[0:1], v[2:3] offset0:60 offset1:61
	ds_write2_b64 v125, v[109:110], v[111:112] offset0:62 offset1:63
	ds_read2_b64 v[97:100], v127 offset1:1
	s_waitcnt lgkmcnt(0)
	v_cmp_neq_f64_e32 vcc, 0, v[97:98]
	v_cmp_neq_f64_e64 s[4:5], 0, v[99:100]
	s_or_b64 s[4:5], vcc, s[4:5]
	s_and_b64 exec, exec, s[4:5]
	s_cbranch_execz .LBB63_8
; %bb.3:
	v_cmp_ngt_f64_e64 s[4:5], |v[97:98]|, |v[99:100]|
                                        ; implicit-def: $vgpr101_vgpr102
	s_and_saveexec_b64 s[8:9], s[4:5]
	s_xor_b64 s[4:5], exec, s[8:9]
                                        ; implicit-def: $vgpr103_vgpr104
	s_cbranch_execz .LBB63_5
; %bb.4:
	v_div_scale_f64 v[101:102], s[8:9], v[99:100], v[99:100], v[97:98]
	v_rcp_f64_e32 v[103:104], v[101:102]
	v_fma_f64 v[105:106], -v[101:102], v[103:104], 1.0
	v_fma_f64 v[103:104], v[103:104], v[105:106], v[103:104]
	v_div_scale_f64 v[105:106], vcc, v[97:98], v[99:100], v[97:98]
	v_fma_f64 v[107:108], -v[101:102], v[103:104], 1.0
	v_fma_f64 v[103:104], v[103:104], v[107:108], v[103:104]
	v_mul_f64 v[107:108], v[105:106], v[103:104]
	v_fma_f64 v[101:102], -v[101:102], v[107:108], v[105:106]
	v_div_fmas_f64 v[101:102], v[101:102], v[103:104], v[107:108]
	v_div_fixup_f64 v[101:102], v[101:102], v[99:100], v[97:98]
	v_fma_f64 v[97:98], v[97:98], v[101:102], v[99:100]
	v_div_scale_f64 v[99:100], s[8:9], v[97:98], v[97:98], 1.0
	v_div_scale_f64 v[107:108], vcc, 1.0, v[97:98], 1.0
	v_rcp_f64_e32 v[103:104], v[99:100]
	v_fma_f64 v[105:106], -v[99:100], v[103:104], 1.0
	v_fma_f64 v[103:104], v[103:104], v[105:106], v[103:104]
	v_fma_f64 v[105:106], -v[99:100], v[103:104], 1.0
	v_fma_f64 v[103:104], v[103:104], v[105:106], v[103:104]
	v_mul_f64 v[105:106], v[107:108], v[103:104]
	v_fma_f64 v[99:100], -v[99:100], v[105:106], v[107:108]
	v_div_fmas_f64 v[99:100], v[99:100], v[103:104], v[105:106]
	v_div_fixup_f64 v[103:104], v[99:100], v[97:98], 1.0
                                        ; implicit-def: $vgpr97_vgpr98
	v_mul_f64 v[101:102], v[101:102], v[103:104]
	v_xor_b32_e32 v104, 0x80000000, v104
.LBB63_5:
	s_andn2_saveexec_b64 s[4:5], s[4:5]
	s_cbranch_execz .LBB63_7
; %bb.6:
	v_div_scale_f64 v[101:102], s[8:9], v[97:98], v[97:98], v[99:100]
	v_rcp_f64_e32 v[103:104], v[101:102]
	v_fma_f64 v[105:106], -v[101:102], v[103:104], 1.0
	v_fma_f64 v[103:104], v[103:104], v[105:106], v[103:104]
	v_div_scale_f64 v[105:106], vcc, v[99:100], v[97:98], v[99:100]
	v_fma_f64 v[107:108], -v[101:102], v[103:104], 1.0
	v_fma_f64 v[103:104], v[103:104], v[107:108], v[103:104]
	v_mul_f64 v[107:108], v[105:106], v[103:104]
	v_fma_f64 v[101:102], -v[101:102], v[107:108], v[105:106]
	v_div_fmas_f64 v[101:102], v[101:102], v[103:104], v[107:108]
	v_div_fixup_f64 v[103:104], v[101:102], v[97:98], v[99:100]
	v_fma_f64 v[97:98], v[99:100], v[103:104], v[97:98]
	v_div_scale_f64 v[99:100], s[8:9], v[97:98], v[97:98], 1.0
	v_div_scale_f64 v[107:108], vcc, 1.0, v[97:98], 1.0
	v_rcp_f64_e32 v[101:102], v[99:100]
	v_fma_f64 v[105:106], -v[99:100], v[101:102], 1.0
	v_fma_f64 v[101:102], v[101:102], v[105:106], v[101:102]
	v_fma_f64 v[105:106], -v[99:100], v[101:102], 1.0
	v_fma_f64 v[101:102], v[101:102], v[105:106], v[101:102]
	v_mul_f64 v[105:106], v[107:108], v[101:102]
	v_fma_f64 v[99:100], -v[99:100], v[105:106], v[107:108]
	v_div_fmas_f64 v[99:100], v[99:100], v[101:102], v[105:106]
	v_div_fixup_f64 v[101:102], v[99:100], v[97:98], 1.0
	v_mul_f64 v[103:104], v[103:104], -v[101:102]
.LBB63_7:
	s_or_b64 exec, exec, s[4:5]
	ds_write2_b64 v127, v[101:102], v[103:104] offset1:1
.LBB63_8:
	s_or_b64 exec, exec, s[6:7]
	s_waitcnt vmcnt(0) lgkmcnt(0)
	s_barrier
	ds_read2_b64 v[97:100], v127 offset1:1
	s_waitcnt lgkmcnt(0)
	buffer_store_dword v97, off, s[20:23], 0 offset:464 ; 4-byte Folded Spill
	s_nop 0
	buffer_store_dword v98, off, s[20:23], 0 offset:468 ; 4-byte Folded Spill
	buffer_store_dword v99, off, s[20:23], 0 offset:472 ; 4-byte Folded Spill
	;; [unrolled: 1-line block ×3, first 2 shown]
	s_and_saveexec_b64 s[4:5], s[2:3]
	s_cbranch_execz .LBB63_10
; %bb.9:
	buffer_load_dword v121, off, s[20:23], 0 offset:144 ; 4-byte Folded Reload
	buffer_load_dword v122, off, s[20:23], 0 offset:148 ; 4-byte Folded Reload
	;; [unrolled: 1-line block ×8, first 2 shown]
	s_waitcnt vmcnt(0)
	v_mul_f64 v[97:98], v[101:102], v[123:124]
	v_fma_f64 v[97:98], v[99:100], v[121:122], -v[97:98]
	v_mul_f64 v[99:100], v[99:100], v[123:124]
	v_fma_f64 v[123:124], v[101:102], v[121:122], v[99:100]
	ds_read2_b64 v[99:102], v125 offset0:2 offset1:3
	buffer_load_dword v105, off, s[20:23], 0 offset:112 ; 4-byte Folded Reload
	buffer_load_dword v106, off, s[20:23], 0 offset:116 ; 4-byte Folded Reload
	;; [unrolled: 1-line block ×4, first 2 shown]
	v_mov_b32_e32 v122, v98
	v_mov_b32_e32 v121, v97
	s_waitcnt lgkmcnt(0)
	v_mul_f64 v[103:104], v[101:102], v[123:124]
	v_fma_f64 v[103:104], v[99:100], v[97:98], -v[103:104]
	v_mul_f64 v[99:100], v[99:100], v[123:124]
	v_fma_f64 v[99:100], v[101:102], v[97:98], v[99:100]
	s_waitcnt vmcnt(2)
	v_add_f64 v[105:106], v[105:106], -v[103:104]
	s_waitcnt vmcnt(0)
	v_add_f64 v[107:108], v[107:108], -v[99:100]
	buffer_store_dword v105, off, s[20:23], 0 offset:112 ; 4-byte Folded Spill
	s_nop 0
	buffer_store_dword v106, off, s[20:23], 0 offset:116 ; 4-byte Folded Spill
	buffer_store_dword v107, off, s[20:23], 0 offset:120 ; 4-byte Folded Spill
	buffer_store_dword v108, off, s[20:23], 0 offset:124 ; 4-byte Folded Spill
	ds_read2_b64 v[99:102], v125 offset0:4 offset1:5
	buffer_load_dword v105, off, s[20:23], 0 offset:96 ; 4-byte Folded Reload
	buffer_load_dword v106, off, s[20:23], 0 offset:100 ; 4-byte Folded Reload
	buffer_load_dword v107, off, s[20:23], 0 offset:104 ; 4-byte Folded Reload
	buffer_load_dword v108, off, s[20:23], 0 offset:108 ; 4-byte Folded Reload
	s_waitcnt lgkmcnt(0)
	v_mul_f64 v[103:104], v[101:102], v[123:124]
	v_fma_f64 v[103:104], v[99:100], v[97:98], -v[103:104]
	v_mul_f64 v[99:100], v[99:100], v[123:124]
	v_fma_f64 v[99:100], v[101:102], v[97:98], v[99:100]
	s_waitcnt vmcnt(2)
	v_add_f64 v[105:106], v[105:106], -v[103:104]
	s_waitcnt vmcnt(0)
	v_add_f64 v[107:108], v[107:108], -v[99:100]
	buffer_store_dword v105, off, s[20:23], 0 offset:96 ; 4-byte Folded Spill
	s_nop 0
	buffer_store_dword v106, off, s[20:23], 0 offset:100 ; 4-byte Folded Spill
	buffer_store_dword v107, off, s[20:23], 0 offset:104 ; 4-byte Folded Spill
	buffer_store_dword v108, off, s[20:23], 0 offset:108 ; 4-byte Folded Spill
	ds_read2_b64 v[99:102], v125 offset0:6 offset1:7
	buffer_load_dword v105, off, s[20:23], 0 offset:80 ; 4-byte Folded Reload
	buffer_load_dword v106, off, s[20:23], 0 offset:84 ; 4-byte Folded Reload
	buffer_load_dword v107, off, s[20:23], 0 offset:88 ; 4-byte Folded Reload
	buffer_load_dword v108, off, s[20:23], 0 offset:92 ; 4-byte Folded Reload
	;; [unrolled: 19-line block ×4, first 2 shown]
	s_waitcnt lgkmcnt(0)
	v_mul_f64 v[103:104], v[101:102], v[123:124]
	v_fma_f64 v[103:104], v[99:100], v[97:98], -v[103:104]
	v_mul_f64 v[99:100], v[99:100], v[123:124]
	v_fma_f64 v[99:100], v[101:102], v[97:98], v[99:100]
	s_waitcnt vmcnt(2)
	v_add_f64 v[105:106], v[105:106], -v[103:104]
	s_waitcnt vmcnt(0)
	v_add_f64 v[107:108], v[107:108], -v[99:100]
	buffer_store_dword v105, off, s[20:23], 0 offset:48 ; 4-byte Folded Spill
	s_nop 0
	buffer_store_dword v106, off, s[20:23], 0 offset:52 ; 4-byte Folded Spill
	buffer_store_dword v107, off, s[20:23], 0 offset:56 ; 4-byte Folded Spill
	;; [unrolled: 1-line block ×3, first 2 shown]
	ds_read2_b64 v[99:102], v125 offset0:12 offset1:13
	s_waitcnt lgkmcnt(0)
	v_mul_f64 v[103:104], v[101:102], v[123:124]
	v_fma_f64 v[103:104], v[99:100], v[97:98], -v[103:104]
	v_mul_f64 v[99:100], v[99:100], v[123:124]
	v_add_f64 v[93:94], v[93:94], -v[103:104]
	v_fma_f64 v[99:100], v[101:102], v[97:98], v[99:100]
	v_add_f64 v[95:96], v[95:96], -v[99:100]
	ds_read2_b64 v[99:102], v125 offset0:14 offset1:15
	buffer_load_dword v85, off, s[20:23], 0 offset:32 ; 4-byte Folded Reload
	buffer_load_dword v86, off, s[20:23], 0 offset:36 ; 4-byte Folded Reload
	buffer_load_dword v87, off, s[20:23], 0 offset:40 ; 4-byte Folded Reload
	buffer_load_dword v88, off, s[20:23], 0 offset:44 ; 4-byte Folded Reload
	s_waitcnt lgkmcnt(0)
	v_mul_f64 v[103:104], v[101:102], v[123:124]
	v_fma_f64 v[103:104], v[99:100], v[97:98], -v[103:104]
	v_mul_f64 v[99:100], v[99:100], v[123:124]
	v_fma_f64 v[99:100], v[101:102], v[97:98], v[99:100]
	s_waitcnt vmcnt(2)
	v_add_f64 v[85:86], v[85:86], -v[103:104]
	s_waitcnt vmcnt(0)
	v_add_f64 v[87:88], v[87:88], -v[99:100]
	buffer_store_dword v85, off, s[20:23], 0 offset:32 ; 4-byte Folded Spill
	s_nop 0
	buffer_store_dword v86, off, s[20:23], 0 offset:36 ; 4-byte Folded Spill
	buffer_store_dword v87, off, s[20:23], 0 offset:40 ; 4-byte Folded Spill
	;; [unrolled: 1-line block ×3, first 2 shown]
	ds_read2_b64 v[99:102], v125 offset0:16 offset1:17
	buffer_load_dword v85, off, s[20:23], 0 offset:16 ; 4-byte Folded Reload
	buffer_load_dword v86, off, s[20:23], 0 offset:20 ; 4-byte Folded Reload
	;; [unrolled: 1-line block ×4, first 2 shown]
	s_waitcnt lgkmcnt(0)
	v_mul_f64 v[103:104], v[101:102], v[123:124]
	v_fma_f64 v[103:104], v[99:100], v[97:98], -v[103:104]
	v_mul_f64 v[99:100], v[99:100], v[123:124]
	v_fma_f64 v[99:100], v[101:102], v[97:98], v[99:100]
	s_waitcnt vmcnt(2)
	v_add_f64 v[85:86], v[85:86], -v[103:104]
	s_waitcnt vmcnt(0)
	v_add_f64 v[87:88], v[87:88], -v[99:100]
	buffer_store_dword v85, off, s[20:23], 0 offset:16 ; 4-byte Folded Spill
	s_nop 0
	buffer_store_dword v86, off, s[20:23], 0 offset:20 ; 4-byte Folded Spill
	buffer_store_dword v87, off, s[20:23], 0 offset:24 ; 4-byte Folded Spill
	;; [unrolled: 1-line block ×3, first 2 shown]
	ds_read2_b64 v[99:102], v125 offset0:18 offset1:19
	s_waitcnt lgkmcnt(0)
	v_mul_f64 v[103:104], v[101:102], v[123:124]
	v_fma_f64 v[103:104], v[99:100], v[97:98], -v[103:104]
	v_mul_f64 v[99:100], v[99:100], v[123:124]
	v_add_f64 v[89:90], v[89:90], -v[103:104]
	v_fma_f64 v[99:100], v[101:102], v[97:98], v[99:100]
	v_add_f64 v[91:92], v[91:92], -v[99:100]
	ds_read2_b64 v[99:102], v125 offset0:20 offset1:21
	s_waitcnt lgkmcnt(0)
	v_mul_f64 v[103:104], v[101:102], v[123:124]
	v_fma_f64 v[103:104], v[99:100], v[97:98], -v[103:104]
	v_mul_f64 v[99:100], v[99:100], v[123:124]
	v_add_f64 v[81:82], v[81:82], -v[103:104]
	v_fma_f64 v[99:100], v[101:102], v[97:98], v[99:100]
	v_add_f64 v[83:84], v[83:84], -v[99:100]
	;; [unrolled: 8-line block ×21, first 2 shown]
	ds_read2_b64 v[99:102], v125 offset0:60 offset1:61
	buffer_load_dword v0, off, s[20:23], 0  ; 4-byte Folded Reload
	buffer_load_dword v1, off, s[20:23], 0 offset:4 ; 4-byte Folded Reload
	buffer_load_dword v2, off, s[20:23], 0 offset:8 ; 4-byte Folded Reload
	;; [unrolled: 1-line block ×3, first 2 shown]
	s_waitcnt lgkmcnt(0)
	v_mul_f64 v[103:104], v[101:102], v[123:124]
	v_fma_f64 v[103:104], v[99:100], v[97:98], -v[103:104]
	v_mul_f64 v[99:100], v[99:100], v[123:124]
	v_fma_f64 v[99:100], v[101:102], v[97:98], v[99:100]
	s_waitcnt vmcnt(2)
	v_add_f64 v[0:1], v[0:1], -v[103:104]
	s_waitcnt vmcnt(0)
	v_add_f64 v[2:3], v[2:3], -v[99:100]
	buffer_store_dword v0, off, s[20:23], 0 ; 4-byte Folded Spill
	s_nop 0
	buffer_store_dword v1, off, s[20:23], 0 offset:4 ; 4-byte Folded Spill
	buffer_store_dword v2, off, s[20:23], 0 offset:8 ; 4-byte Folded Spill
	;; [unrolled: 1-line block ×3, first 2 shown]
	ds_read2_b64 v[99:102], v125 offset0:62 offset1:63
	s_waitcnt lgkmcnt(0)
	v_mul_f64 v[103:104], v[101:102], v[123:124]
	v_fma_f64 v[103:104], v[99:100], v[97:98], -v[103:104]
	v_mul_f64 v[99:100], v[99:100], v[123:124]
	buffer_store_dword v121, off, s[20:23], 0 offset:144 ; 4-byte Folded Spill
	s_nop 0
	buffer_store_dword v122, off, s[20:23], 0 offset:148 ; 4-byte Folded Spill
	buffer_store_dword v123, off, s[20:23], 0 offset:152 ; 4-byte Folded Spill
	;; [unrolled: 1-line block ×3, first 2 shown]
	v_add_f64 v[109:110], v[109:110], -v[103:104]
	v_fma_f64 v[99:100], v[101:102], v[97:98], v[99:100]
	v_add_f64 v[111:112], v[111:112], -v[99:100]
.LBB63_10:
	s_or_b64 exec, exec, s[4:5]
	v_cmp_eq_u32_e32 vcc, 1, v126
	s_waitcnt vmcnt(0)
	s_barrier
	s_and_saveexec_b64 s[4:5], vcc
	s_cbranch_execz .LBB63_17
; %bb.11:
	buffer_load_dword v97, off, s[20:23], 0 offset:112 ; 4-byte Folded Reload
	buffer_load_dword v98, off, s[20:23], 0 offset:116 ; 4-byte Folded Reload
	;; [unrolled: 1-line block ×4, first 2 shown]
	s_waitcnt vmcnt(0)
	ds_write2_b64 v127, v[97:98], v[99:100] offset1:1
	buffer_load_dword v97, off, s[20:23], 0 offset:96 ; 4-byte Folded Reload
	buffer_load_dword v98, off, s[20:23], 0 offset:100 ; 4-byte Folded Reload
	buffer_load_dword v99, off, s[20:23], 0 offset:104 ; 4-byte Folded Reload
	buffer_load_dword v100, off, s[20:23], 0 offset:108 ; 4-byte Folded Reload
	s_waitcnt vmcnt(0)
	ds_write2_b64 v125, v[97:98], v[99:100] offset0:4 offset1:5
	buffer_load_dword v97, off, s[20:23], 0 offset:80 ; 4-byte Folded Reload
	buffer_load_dword v98, off, s[20:23], 0 offset:84 ; 4-byte Folded Reload
	buffer_load_dword v99, off, s[20:23], 0 offset:88 ; 4-byte Folded Reload
	buffer_load_dword v100, off, s[20:23], 0 offset:92 ; 4-byte Folded Reload
	s_waitcnt vmcnt(0)
	ds_write2_b64 v125, v[97:98], v[99:100] offset0:6 offset1:7
	;; [unrolled: 6-line block ×4, first 2 shown]
	ds_write2_b64 v125, v[93:94], v[95:96] offset0:12 offset1:13
	buffer_load_dword v85, off, s[20:23], 0 offset:32 ; 4-byte Folded Reload
	buffer_load_dword v86, off, s[20:23], 0 offset:36 ; 4-byte Folded Reload
	;; [unrolled: 1-line block ×4, first 2 shown]
	s_waitcnt vmcnt(0)
	ds_write2_b64 v125, v[85:86], v[87:88] offset0:14 offset1:15
	buffer_load_dword v85, off, s[20:23], 0 offset:16 ; 4-byte Folded Reload
	buffer_load_dword v86, off, s[20:23], 0 offset:20 ; 4-byte Folded Reload
	;; [unrolled: 1-line block ×4, first 2 shown]
	s_waitcnt vmcnt(0)
	ds_write2_b64 v125, v[85:86], v[87:88] offset0:16 offset1:17
	ds_write2_b64 v125, v[89:90], v[91:92] offset0:18 offset1:19
	;; [unrolled: 1-line block ×22, first 2 shown]
	buffer_load_dword v0, off, s[20:23], 0  ; 4-byte Folded Reload
	buffer_load_dword v1, off, s[20:23], 0 offset:4 ; 4-byte Folded Reload
	buffer_load_dword v2, off, s[20:23], 0 offset:8 ; 4-byte Folded Reload
	;; [unrolled: 1-line block ×3, first 2 shown]
	s_waitcnt vmcnt(0)
	ds_write2_b64 v125, v[0:1], v[2:3] offset0:60 offset1:61
	ds_write2_b64 v125, v[109:110], v[111:112] offset0:62 offset1:63
	ds_read2_b64 v[97:100], v127 offset1:1
	s_waitcnt lgkmcnt(0)
	v_cmp_neq_f64_e32 vcc, 0, v[97:98]
	v_cmp_neq_f64_e64 s[2:3], 0, v[99:100]
	s_or_b64 s[2:3], vcc, s[2:3]
	s_and_b64 exec, exec, s[2:3]
	s_cbranch_execz .LBB63_17
; %bb.12:
	v_cmp_ngt_f64_e64 s[2:3], |v[97:98]|, |v[99:100]|
                                        ; implicit-def: $vgpr101_vgpr102
	s_and_saveexec_b64 s[6:7], s[2:3]
	s_xor_b64 s[2:3], exec, s[6:7]
                                        ; implicit-def: $vgpr103_vgpr104
	s_cbranch_execz .LBB63_14
; %bb.13:
	v_div_scale_f64 v[101:102], s[6:7], v[99:100], v[99:100], v[97:98]
	v_rcp_f64_e32 v[103:104], v[101:102]
	v_fma_f64 v[105:106], -v[101:102], v[103:104], 1.0
	v_fma_f64 v[103:104], v[103:104], v[105:106], v[103:104]
	v_div_scale_f64 v[105:106], vcc, v[97:98], v[99:100], v[97:98]
	v_fma_f64 v[107:108], -v[101:102], v[103:104], 1.0
	v_fma_f64 v[103:104], v[103:104], v[107:108], v[103:104]
	v_mul_f64 v[107:108], v[105:106], v[103:104]
	v_fma_f64 v[101:102], -v[101:102], v[107:108], v[105:106]
	v_div_fmas_f64 v[101:102], v[101:102], v[103:104], v[107:108]
	v_div_fixup_f64 v[101:102], v[101:102], v[99:100], v[97:98]
	v_fma_f64 v[97:98], v[97:98], v[101:102], v[99:100]
	v_div_scale_f64 v[99:100], s[6:7], v[97:98], v[97:98], 1.0
	v_div_scale_f64 v[107:108], vcc, 1.0, v[97:98], 1.0
	v_rcp_f64_e32 v[103:104], v[99:100]
	v_fma_f64 v[105:106], -v[99:100], v[103:104], 1.0
	v_fma_f64 v[103:104], v[103:104], v[105:106], v[103:104]
	v_fma_f64 v[105:106], -v[99:100], v[103:104], 1.0
	v_fma_f64 v[103:104], v[103:104], v[105:106], v[103:104]
	v_mul_f64 v[105:106], v[107:108], v[103:104]
	v_fma_f64 v[99:100], -v[99:100], v[105:106], v[107:108]
	v_div_fmas_f64 v[99:100], v[99:100], v[103:104], v[105:106]
	v_div_fixup_f64 v[103:104], v[99:100], v[97:98], 1.0
                                        ; implicit-def: $vgpr97_vgpr98
	v_mul_f64 v[101:102], v[101:102], v[103:104]
	v_xor_b32_e32 v104, 0x80000000, v104
.LBB63_14:
	s_andn2_saveexec_b64 s[2:3], s[2:3]
	s_cbranch_execz .LBB63_16
; %bb.15:
	v_div_scale_f64 v[101:102], s[6:7], v[97:98], v[97:98], v[99:100]
	v_rcp_f64_e32 v[103:104], v[101:102]
	v_fma_f64 v[105:106], -v[101:102], v[103:104], 1.0
	v_fma_f64 v[103:104], v[103:104], v[105:106], v[103:104]
	v_div_scale_f64 v[105:106], vcc, v[99:100], v[97:98], v[99:100]
	v_fma_f64 v[107:108], -v[101:102], v[103:104], 1.0
	v_fma_f64 v[103:104], v[103:104], v[107:108], v[103:104]
	v_mul_f64 v[107:108], v[105:106], v[103:104]
	v_fma_f64 v[101:102], -v[101:102], v[107:108], v[105:106]
	v_div_fmas_f64 v[101:102], v[101:102], v[103:104], v[107:108]
	v_div_fixup_f64 v[103:104], v[101:102], v[97:98], v[99:100]
	v_fma_f64 v[97:98], v[99:100], v[103:104], v[97:98]
	v_div_scale_f64 v[99:100], s[6:7], v[97:98], v[97:98], 1.0
	v_div_scale_f64 v[107:108], vcc, 1.0, v[97:98], 1.0
	v_rcp_f64_e32 v[101:102], v[99:100]
	v_fma_f64 v[105:106], -v[99:100], v[101:102], 1.0
	v_fma_f64 v[101:102], v[101:102], v[105:106], v[101:102]
	v_fma_f64 v[105:106], -v[99:100], v[101:102], 1.0
	v_fma_f64 v[101:102], v[101:102], v[105:106], v[101:102]
	v_mul_f64 v[105:106], v[107:108], v[101:102]
	v_fma_f64 v[99:100], -v[99:100], v[105:106], v[107:108]
	v_div_fmas_f64 v[99:100], v[99:100], v[101:102], v[105:106]
	v_div_fixup_f64 v[101:102], v[99:100], v[97:98], 1.0
	v_mul_f64 v[103:104], v[103:104], -v[101:102]
.LBB63_16:
	s_or_b64 exec, exec, s[2:3]
	ds_write2_b64 v127, v[101:102], v[103:104] offset1:1
.LBB63_17:
	s_or_b64 exec, exec, s[4:5]
	s_waitcnt lgkmcnt(0)
	s_barrier
	ds_read2_b64 v[97:100], v127 offset1:1
	v_cmp_lt_u32_e32 vcc, 1, v126
	s_waitcnt lgkmcnt(0)
	buffer_store_dword v97, off, s[20:23], 0 offset:480 ; 4-byte Folded Spill
	s_nop 0
	buffer_store_dword v98, off, s[20:23], 0 offset:484 ; 4-byte Folded Spill
	buffer_store_dword v99, off, s[20:23], 0 offset:488 ; 4-byte Folded Spill
	;; [unrolled: 1-line block ×3, first 2 shown]
	s_and_saveexec_b64 s[2:3], vcc
	s_cbranch_execz .LBB63_19
; %bb.18:
	buffer_load_dword v121, off, s[20:23], 0 offset:112 ; 4-byte Folded Reload
	buffer_load_dword v122, off, s[20:23], 0 offset:116 ; 4-byte Folded Reload
	;; [unrolled: 1-line block ×8, first 2 shown]
	s_waitcnt vmcnt(0)
	v_mul_f64 v[97:98], v[101:102], v[123:124]
	v_fma_f64 v[97:98], v[99:100], v[121:122], -v[97:98]
	v_mul_f64 v[99:100], v[99:100], v[123:124]
	v_fma_f64 v[123:124], v[101:102], v[121:122], v[99:100]
	ds_read2_b64 v[99:102], v125 offset0:4 offset1:5
	buffer_load_dword v105, off, s[20:23], 0 offset:96 ; 4-byte Folded Reload
	buffer_load_dword v106, off, s[20:23], 0 offset:100 ; 4-byte Folded Reload
	;; [unrolled: 1-line block ×4, first 2 shown]
	v_mov_b32_e32 v122, v98
	v_mov_b32_e32 v121, v97
	s_waitcnt lgkmcnt(0)
	v_mul_f64 v[103:104], v[101:102], v[123:124]
	v_fma_f64 v[103:104], v[99:100], v[97:98], -v[103:104]
	v_mul_f64 v[99:100], v[99:100], v[123:124]
	v_fma_f64 v[99:100], v[101:102], v[97:98], v[99:100]
	s_waitcnt vmcnt(2)
	v_add_f64 v[105:106], v[105:106], -v[103:104]
	s_waitcnt vmcnt(0)
	v_add_f64 v[107:108], v[107:108], -v[99:100]
	buffer_store_dword v105, off, s[20:23], 0 offset:96 ; 4-byte Folded Spill
	s_nop 0
	buffer_store_dword v106, off, s[20:23], 0 offset:100 ; 4-byte Folded Spill
	buffer_store_dword v107, off, s[20:23], 0 offset:104 ; 4-byte Folded Spill
	buffer_store_dword v108, off, s[20:23], 0 offset:108 ; 4-byte Folded Spill
	ds_read2_b64 v[99:102], v125 offset0:6 offset1:7
	buffer_load_dword v105, off, s[20:23], 0 offset:80 ; 4-byte Folded Reload
	buffer_load_dword v106, off, s[20:23], 0 offset:84 ; 4-byte Folded Reload
	buffer_load_dword v107, off, s[20:23], 0 offset:88 ; 4-byte Folded Reload
	buffer_load_dword v108, off, s[20:23], 0 offset:92 ; 4-byte Folded Reload
	s_waitcnt lgkmcnt(0)
	v_mul_f64 v[103:104], v[101:102], v[123:124]
	v_fma_f64 v[103:104], v[99:100], v[97:98], -v[103:104]
	v_mul_f64 v[99:100], v[99:100], v[123:124]
	v_fma_f64 v[99:100], v[101:102], v[97:98], v[99:100]
	s_waitcnt vmcnt(2)
	v_add_f64 v[105:106], v[105:106], -v[103:104]
	s_waitcnt vmcnt(0)
	v_add_f64 v[107:108], v[107:108], -v[99:100]
	buffer_store_dword v105, off, s[20:23], 0 offset:80 ; 4-byte Folded Spill
	s_nop 0
	buffer_store_dword v106, off, s[20:23], 0 offset:84 ; 4-byte Folded Spill
	buffer_store_dword v107, off, s[20:23], 0 offset:88 ; 4-byte Folded Spill
	buffer_store_dword v108, off, s[20:23], 0 offset:92 ; 4-byte Folded Spill
	ds_read2_b64 v[99:102], v125 offset0:8 offset1:9
	buffer_load_dword v105, off, s[20:23], 0 offset:64 ; 4-byte Folded Reload
	buffer_load_dword v106, off, s[20:23], 0 offset:68 ; 4-byte Folded Reload
	buffer_load_dword v107, off, s[20:23], 0 offset:72 ; 4-byte Folded Reload
	buffer_load_dword v108, off, s[20:23], 0 offset:76 ; 4-byte Folded Reload
	;; [unrolled: 19-line block ×3, first 2 shown]
	s_waitcnt lgkmcnt(0)
	v_mul_f64 v[103:104], v[101:102], v[123:124]
	v_fma_f64 v[103:104], v[99:100], v[97:98], -v[103:104]
	v_mul_f64 v[99:100], v[99:100], v[123:124]
	v_fma_f64 v[99:100], v[101:102], v[97:98], v[99:100]
	s_waitcnt vmcnt(2)
	v_add_f64 v[105:106], v[105:106], -v[103:104]
	s_waitcnt vmcnt(0)
	v_add_f64 v[107:108], v[107:108], -v[99:100]
	buffer_store_dword v105, off, s[20:23], 0 offset:48 ; 4-byte Folded Spill
	s_nop 0
	buffer_store_dword v106, off, s[20:23], 0 offset:52 ; 4-byte Folded Spill
	buffer_store_dword v107, off, s[20:23], 0 offset:56 ; 4-byte Folded Spill
	;; [unrolled: 1-line block ×3, first 2 shown]
	ds_read2_b64 v[99:102], v125 offset0:12 offset1:13
	s_waitcnt lgkmcnt(0)
	v_mul_f64 v[103:104], v[101:102], v[123:124]
	v_fma_f64 v[103:104], v[99:100], v[97:98], -v[103:104]
	v_mul_f64 v[99:100], v[99:100], v[123:124]
	v_add_f64 v[93:94], v[93:94], -v[103:104]
	v_fma_f64 v[99:100], v[101:102], v[97:98], v[99:100]
	v_add_f64 v[95:96], v[95:96], -v[99:100]
	ds_read2_b64 v[99:102], v125 offset0:14 offset1:15
	buffer_load_dword v85, off, s[20:23], 0 offset:32 ; 4-byte Folded Reload
	buffer_load_dword v86, off, s[20:23], 0 offset:36 ; 4-byte Folded Reload
	;; [unrolled: 1-line block ×4, first 2 shown]
	s_waitcnt lgkmcnt(0)
	v_mul_f64 v[103:104], v[101:102], v[123:124]
	v_fma_f64 v[103:104], v[99:100], v[97:98], -v[103:104]
	v_mul_f64 v[99:100], v[99:100], v[123:124]
	v_fma_f64 v[99:100], v[101:102], v[97:98], v[99:100]
	s_waitcnt vmcnt(2)
	v_add_f64 v[85:86], v[85:86], -v[103:104]
	s_waitcnt vmcnt(0)
	v_add_f64 v[87:88], v[87:88], -v[99:100]
	buffer_store_dword v85, off, s[20:23], 0 offset:32 ; 4-byte Folded Spill
	s_nop 0
	buffer_store_dword v86, off, s[20:23], 0 offset:36 ; 4-byte Folded Spill
	buffer_store_dword v87, off, s[20:23], 0 offset:40 ; 4-byte Folded Spill
	;; [unrolled: 1-line block ×3, first 2 shown]
	ds_read2_b64 v[99:102], v125 offset0:16 offset1:17
	buffer_load_dword v85, off, s[20:23], 0 offset:16 ; 4-byte Folded Reload
	buffer_load_dword v86, off, s[20:23], 0 offset:20 ; 4-byte Folded Reload
	;; [unrolled: 1-line block ×4, first 2 shown]
	s_waitcnt lgkmcnt(0)
	v_mul_f64 v[103:104], v[101:102], v[123:124]
	v_fma_f64 v[103:104], v[99:100], v[97:98], -v[103:104]
	v_mul_f64 v[99:100], v[99:100], v[123:124]
	v_fma_f64 v[99:100], v[101:102], v[97:98], v[99:100]
	s_waitcnt vmcnt(2)
	v_add_f64 v[85:86], v[85:86], -v[103:104]
	s_waitcnt vmcnt(0)
	v_add_f64 v[87:88], v[87:88], -v[99:100]
	buffer_store_dword v85, off, s[20:23], 0 offset:16 ; 4-byte Folded Spill
	s_nop 0
	buffer_store_dword v86, off, s[20:23], 0 offset:20 ; 4-byte Folded Spill
	buffer_store_dword v87, off, s[20:23], 0 offset:24 ; 4-byte Folded Spill
	;; [unrolled: 1-line block ×3, first 2 shown]
	ds_read2_b64 v[99:102], v125 offset0:18 offset1:19
	s_waitcnt lgkmcnt(0)
	v_mul_f64 v[103:104], v[101:102], v[123:124]
	v_fma_f64 v[103:104], v[99:100], v[97:98], -v[103:104]
	v_mul_f64 v[99:100], v[99:100], v[123:124]
	v_add_f64 v[89:90], v[89:90], -v[103:104]
	v_fma_f64 v[99:100], v[101:102], v[97:98], v[99:100]
	v_add_f64 v[91:92], v[91:92], -v[99:100]
	ds_read2_b64 v[99:102], v125 offset0:20 offset1:21
	s_waitcnt lgkmcnt(0)
	v_mul_f64 v[103:104], v[101:102], v[123:124]
	v_fma_f64 v[103:104], v[99:100], v[97:98], -v[103:104]
	v_mul_f64 v[99:100], v[99:100], v[123:124]
	v_add_f64 v[81:82], v[81:82], -v[103:104]
	v_fma_f64 v[99:100], v[101:102], v[97:98], v[99:100]
	v_add_f64 v[83:84], v[83:84], -v[99:100]
	;; [unrolled: 8-line block ×21, first 2 shown]
	ds_read2_b64 v[99:102], v125 offset0:60 offset1:61
	buffer_load_dword v0, off, s[20:23], 0  ; 4-byte Folded Reload
	buffer_load_dword v1, off, s[20:23], 0 offset:4 ; 4-byte Folded Reload
	buffer_load_dword v2, off, s[20:23], 0 offset:8 ; 4-byte Folded Reload
	;; [unrolled: 1-line block ×3, first 2 shown]
	s_waitcnt lgkmcnt(0)
	v_mul_f64 v[103:104], v[101:102], v[123:124]
	v_fma_f64 v[103:104], v[99:100], v[97:98], -v[103:104]
	v_mul_f64 v[99:100], v[99:100], v[123:124]
	v_fma_f64 v[99:100], v[101:102], v[97:98], v[99:100]
	s_waitcnt vmcnt(2)
	v_add_f64 v[0:1], v[0:1], -v[103:104]
	s_waitcnt vmcnt(0)
	v_add_f64 v[2:3], v[2:3], -v[99:100]
	buffer_store_dword v0, off, s[20:23], 0 ; 4-byte Folded Spill
	s_nop 0
	buffer_store_dword v1, off, s[20:23], 0 offset:4 ; 4-byte Folded Spill
	buffer_store_dword v2, off, s[20:23], 0 offset:8 ; 4-byte Folded Spill
	;; [unrolled: 1-line block ×3, first 2 shown]
	ds_read2_b64 v[99:102], v125 offset0:62 offset1:63
	s_waitcnt lgkmcnt(0)
	v_mul_f64 v[103:104], v[101:102], v[123:124]
	v_fma_f64 v[103:104], v[99:100], v[97:98], -v[103:104]
	v_mul_f64 v[99:100], v[99:100], v[123:124]
	buffer_store_dword v121, off, s[20:23], 0 offset:112 ; 4-byte Folded Spill
	s_nop 0
	buffer_store_dword v122, off, s[20:23], 0 offset:116 ; 4-byte Folded Spill
	buffer_store_dword v123, off, s[20:23], 0 offset:120 ; 4-byte Folded Spill
	;; [unrolled: 1-line block ×3, first 2 shown]
	v_add_f64 v[109:110], v[109:110], -v[103:104]
	v_fma_f64 v[99:100], v[101:102], v[97:98], v[99:100]
	v_add_f64 v[111:112], v[111:112], -v[99:100]
.LBB63_19:
	s_or_b64 exec, exec, s[2:3]
	v_cmp_eq_u32_e32 vcc, 2, v126
	s_waitcnt vmcnt(0)
	s_barrier
	s_and_saveexec_b64 s[4:5], vcc
	s_cbranch_execz .LBB63_26
; %bb.20:
	buffer_load_dword v97, off, s[20:23], 0 offset:96 ; 4-byte Folded Reload
	buffer_load_dword v98, off, s[20:23], 0 offset:100 ; 4-byte Folded Reload
	;; [unrolled: 1-line block ×4, first 2 shown]
	s_waitcnt vmcnt(0)
	ds_write2_b64 v127, v[97:98], v[99:100] offset1:1
	buffer_load_dword v97, off, s[20:23], 0 offset:80 ; 4-byte Folded Reload
	buffer_load_dword v98, off, s[20:23], 0 offset:84 ; 4-byte Folded Reload
	buffer_load_dword v99, off, s[20:23], 0 offset:88 ; 4-byte Folded Reload
	buffer_load_dword v100, off, s[20:23], 0 offset:92 ; 4-byte Folded Reload
	s_waitcnt vmcnt(0)
	ds_write2_b64 v125, v[97:98], v[99:100] offset0:6 offset1:7
	buffer_load_dword v97, off, s[20:23], 0 offset:64 ; 4-byte Folded Reload
	buffer_load_dword v98, off, s[20:23], 0 offset:68 ; 4-byte Folded Reload
	buffer_load_dword v99, off, s[20:23], 0 offset:72 ; 4-byte Folded Reload
	buffer_load_dword v100, off, s[20:23], 0 offset:76 ; 4-byte Folded Reload
	s_waitcnt vmcnt(0)
	ds_write2_b64 v125, v[97:98], v[99:100] offset0:8 offset1:9
	;; [unrolled: 6-line block ×3, first 2 shown]
	ds_write2_b64 v125, v[93:94], v[95:96] offset0:12 offset1:13
	buffer_load_dword v85, off, s[20:23], 0 offset:32 ; 4-byte Folded Reload
	buffer_load_dword v86, off, s[20:23], 0 offset:36 ; 4-byte Folded Reload
	;; [unrolled: 1-line block ×4, first 2 shown]
	s_waitcnt vmcnt(0)
	ds_write2_b64 v125, v[85:86], v[87:88] offset0:14 offset1:15
	buffer_load_dword v85, off, s[20:23], 0 offset:16 ; 4-byte Folded Reload
	buffer_load_dword v86, off, s[20:23], 0 offset:20 ; 4-byte Folded Reload
	buffer_load_dword v87, off, s[20:23], 0 offset:24 ; 4-byte Folded Reload
	buffer_load_dword v88, off, s[20:23], 0 offset:28 ; 4-byte Folded Reload
	s_waitcnt vmcnt(0)
	ds_write2_b64 v125, v[85:86], v[87:88] offset0:16 offset1:17
	ds_write2_b64 v125, v[89:90], v[91:92] offset0:18 offset1:19
	;; [unrolled: 1-line block ×22, first 2 shown]
	buffer_load_dword v0, off, s[20:23], 0  ; 4-byte Folded Reload
	buffer_load_dword v1, off, s[20:23], 0 offset:4 ; 4-byte Folded Reload
	buffer_load_dword v2, off, s[20:23], 0 offset:8 ; 4-byte Folded Reload
	;; [unrolled: 1-line block ×3, first 2 shown]
	s_waitcnt vmcnt(0)
	ds_write2_b64 v125, v[0:1], v[2:3] offset0:60 offset1:61
	ds_write2_b64 v125, v[109:110], v[111:112] offset0:62 offset1:63
	ds_read2_b64 v[97:100], v127 offset1:1
	s_waitcnt lgkmcnt(0)
	v_cmp_neq_f64_e32 vcc, 0, v[97:98]
	v_cmp_neq_f64_e64 s[2:3], 0, v[99:100]
	s_or_b64 s[2:3], vcc, s[2:3]
	s_and_b64 exec, exec, s[2:3]
	s_cbranch_execz .LBB63_26
; %bb.21:
	v_cmp_ngt_f64_e64 s[2:3], |v[97:98]|, |v[99:100]|
                                        ; implicit-def: $vgpr101_vgpr102
	s_and_saveexec_b64 s[6:7], s[2:3]
	s_xor_b64 s[2:3], exec, s[6:7]
                                        ; implicit-def: $vgpr103_vgpr104
	s_cbranch_execz .LBB63_23
; %bb.22:
	v_div_scale_f64 v[101:102], s[6:7], v[99:100], v[99:100], v[97:98]
	v_rcp_f64_e32 v[103:104], v[101:102]
	v_fma_f64 v[105:106], -v[101:102], v[103:104], 1.0
	v_fma_f64 v[103:104], v[103:104], v[105:106], v[103:104]
	v_div_scale_f64 v[105:106], vcc, v[97:98], v[99:100], v[97:98]
	v_fma_f64 v[107:108], -v[101:102], v[103:104], 1.0
	v_fma_f64 v[103:104], v[103:104], v[107:108], v[103:104]
	v_mul_f64 v[107:108], v[105:106], v[103:104]
	v_fma_f64 v[101:102], -v[101:102], v[107:108], v[105:106]
	v_div_fmas_f64 v[101:102], v[101:102], v[103:104], v[107:108]
	v_div_fixup_f64 v[101:102], v[101:102], v[99:100], v[97:98]
	v_fma_f64 v[97:98], v[97:98], v[101:102], v[99:100]
	v_div_scale_f64 v[99:100], s[6:7], v[97:98], v[97:98], 1.0
	v_div_scale_f64 v[107:108], vcc, 1.0, v[97:98], 1.0
	v_rcp_f64_e32 v[103:104], v[99:100]
	v_fma_f64 v[105:106], -v[99:100], v[103:104], 1.0
	v_fma_f64 v[103:104], v[103:104], v[105:106], v[103:104]
	v_fma_f64 v[105:106], -v[99:100], v[103:104], 1.0
	v_fma_f64 v[103:104], v[103:104], v[105:106], v[103:104]
	v_mul_f64 v[105:106], v[107:108], v[103:104]
	v_fma_f64 v[99:100], -v[99:100], v[105:106], v[107:108]
	v_div_fmas_f64 v[99:100], v[99:100], v[103:104], v[105:106]
	v_div_fixup_f64 v[103:104], v[99:100], v[97:98], 1.0
                                        ; implicit-def: $vgpr97_vgpr98
	v_mul_f64 v[101:102], v[101:102], v[103:104]
	v_xor_b32_e32 v104, 0x80000000, v104
.LBB63_23:
	s_andn2_saveexec_b64 s[2:3], s[2:3]
	s_cbranch_execz .LBB63_25
; %bb.24:
	v_div_scale_f64 v[101:102], s[6:7], v[97:98], v[97:98], v[99:100]
	v_rcp_f64_e32 v[103:104], v[101:102]
	v_fma_f64 v[105:106], -v[101:102], v[103:104], 1.0
	v_fma_f64 v[103:104], v[103:104], v[105:106], v[103:104]
	v_div_scale_f64 v[105:106], vcc, v[99:100], v[97:98], v[99:100]
	v_fma_f64 v[107:108], -v[101:102], v[103:104], 1.0
	v_fma_f64 v[103:104], v[103:104], v[107:108], v[103:104]
	v_mul_f64 v[107:108], v[105:106], v[103:104]
	v_fma_f64 v[101:102], -v[101:102], v[107:108], v[105:106]
	v_div_fmas_f64 v[101:102], v[101:102], v[103:104], v[107:108]
	v_div_fixup_f64 v[103:104], v[101:102], v[97:98], v[99:100]
	v_fma_f64 v[97:98], v[99:100], v[103:104], v[97:98]
	v_div_scale_f64 v[99:100], s[6:7], v[97:98], v[97:98], 1.0
	v_div_scale_f64 v[107:108], vcc, 1.0, v[97:98], 1.0
	v_rcp_f64_e32 v[101:102], v[99:100]
	v_fma_f64 v[105:106], -v[99:100], v[101:102], 1.0
	v_fma_f64 v[101:102], v[101:102], v[105:106], v[101:102]
	v_fma_f64 v[105:106], -v[99:100], v[101:102], 1.0
	v_fma_f64 v[101:102], v[101:102], v[105:106], v[101:102]
	v_mul_f64 v[105:106], v[107:108], v[101:102]
	v_fma_f64 v[99:100], -v[99:100], v[105:106], v[107:108]
	v_div_fmas_f64 v[99:100], v[99:100], v[101:102], v[105:106]
	v_div_fixup_f64 v[101:102], v[99:100], v[97:98], 1.0
	v_mul_f64 v[103:104], v[103:104], -v[101:102]
.LBB63_25:
	s_or_b64 exec, exec, s[2:3]
	ds_write2_b64 v127, v[101:102], v[103:104] offset1:1
.LBB63_26:
	s_or_b64 exec, exec, s[4:5]
	s_waitcnt lgkmcnt(0)
	s_barrier
	ds_read2_b64 v[97:100], v127 offset1:1
	v_cmp_lt_u32_e32 vcc, 2, v126
	s_waitcnt lgkmcnt(0)
	buffer_store_dword v97, off, s[20:23], 0 offset:496 ; 4-byte Folded Spill
	s_nop 0
	buffer_store_dword v98, off, s[20:23], 0 offset:500 ; 4-byte Folded Spill
	buffer_store_dword v99, off, s[20:23], 0 offset:504 ; 4-byte Folded Spill
	;; [unrolled: 1-line block ×3, first 2 shown]
	s_and_saveexec_b64 s[2:3], vcc
	s_cbranch_execz .LBB63_28
; %bb.27:
	buffer_load_dword v121, off, s[20:23], 0 offset:96 ; 4-byte Folded Reload
	buffer_load_dword v122, off, s[20:23], 0 offset:100 ; 4-byte Folded Reload
	;; [unrolled: 1-line block ×8, first 2 shown]
	s_waitcnt vmcnt(0)
	v_mul_f64 v[97:98], v[101:102], v[123:124]
	v_fma_f64 v[97:98], v[99:100], v[121:122], -v[97:98]
	v_mul_f64 v[99:100], v[99:100], v[123:124]
	v_fma_f64 v[123:124], v[101:102], v[121:122], v[99:100]
	ds_read2_b64 v[99:102], v125 offset0:6 offset1:7
	buffer_load_dword v105, off, s[20:23], 0 offset:80 ; 4-byte Folded Reload
	buffer_load_dword v106, off, s[20:23], 0 offset:84 ; 4-byte Folded Reload
	buffer_load_dword v107, off, s[20:23], 0 offset:88 ; 4-byte Folded Reload
	buffer_load_dword v108, off, s[20:23], 0 offset:92 ; 4-byte Folded Reload
	v_mov_b32_e32 v122, v98
	v_mov_b32_e32 v121, v97
	s_waitcnt lgkmcnt(0)
	v_mul_f64 v[103:104], v[101:102], v[123:124]
	v_fma_f64 v[103:104], v[99:100], v[97:98], -v[103:104]
	v_mul_f64 v[99:100], v[99:100], v[123:124]
	v_fma_f64 v[99:100], v[101:102], v[97:98], v[99:100]
	s_waitcnt vmcnt(2)
	v_add_f64 v[105:106], v[105:106], -v[103:104]
	s_waitcnt vmcnt(0)
	v_add_f64 v[107:108], v[107:108], -v[99:100]
	buffer_store_dword v105, off, s[20:23], 0 offset:80 ; 4-byte Folded Spill
	s_nop 0
	buffer_store_dword v106, off, s[20:23], 0 offset:84 ; 4-byte Folded Spill
	buffer_store_dword v107, off, s[20:23], 0 offset:88 ; 4-byte Folded Spill
	;; [unrolled: 1-line block ×3, first 2 shown]
	ds_read2_b64 v[99:102], v125 offset0:8 offset1:9
	buffer_load_dword v105, off, s[20:23], 0 offset:64 ; 4-byte Folded Reload
	buffer_load_dword v106, off, s[20:23], 0 offset:68 ; 4-byte Folded Reload
	;; [unrolled: 1-line block ×4, first 2 shown]
	s_waitcnt lgkmcnt(0)
	v_mul_f64 v[103:104], v[101:102], v[123:124]
	v_fma_f64 v[103:104], v[99:100], v[97:98], -v[103:104]
	v_mul_f64 v[99:100], v[99:100], v[123:124]
	v_fma_f64 v[99:100], v[101:102], v[97:98], v[99:100]
	s_waitcnt vmcnt(2)
	v_add_f64 v[105:106], v[105:106], -v[103:104]
	s_waitcnt vmcnt(0)
	v_add_f64 v[107:108], v[107:108], -v[99:100]
	buffer_store_dword v105, off, s[20:23], 0 offset:64 ; 4-byte Folded Spill
	s_nop 0
	buffer_store_dword v106, off, s[20:23], 0 offset:68 ; 4-byte Folded Spill
	buffer_store_dword v107, off, s[20:23], 0 offset:72 ; 4-byte Folded Spill
	;; [unrolled: 1-line block ×3, first 2 shown]
	ds_read2_b64 v[99:102], v125 offset0:10 offset1:11
	buffer_load_dword v105, off, s[20:23], 0 offset:48 ; 4-byte Folded Reload
	buffer_load_dword v106, off, s[20:23], 0 offset:52 ; 4-byte Folded Reload
	;; [unrolled: 1-line block ×4, first 2 shown]
	s_waitcnt lgkmcnt(0)
	v_mul_f64 v[103:104], v[101:102], v[123:124]
	v_fma_f64 v[103:104], v[99:100], v[97:98], -v[103:104]
	v_mul_f64 v[99:100], v[99:100], v[123:124]
	v_fma_f64 v[99:100], v[101:102], v[97:98], v[99:100]
	s_waitcnt vmcnt(2)
	v_add_f64 v[105:106], v[105:106], -v[103:104]
	s_waitcnt vmcnt(0)
	v_add_f64 v[107:108], v[107:108], -v[99:100]
	buffer_store_dword v105, off, s[20:23], 0 offset:48 ; 4-byte Folded Spill
	s_nop 0
	buffer_store_dword v106, off, s[20:23], 0 offset:52 ; 4-byte Folded Spill
	buffer_store_dword v107, off, s[20:23], 0 offset:56 ; 4-byte Folded Spill
	;; [unrolled: 1-line block ×3, first 2 shown]
	ds_read2_b64 v[99:102], v125 offset0:12 offset1:13
	s_waitcnt lgkmcnt(0)
	v_mul_f64 v[103:104], v[101:102], v[123:124]
	v_fma_f64 v[103:104], v[99:100], v[97:98], -v[103:104]
	v_mul_f64 v[99:100], v[99:100], v[123:124]
	v_add_f64 v[93:94], v[93:94], -v[103:104]
	v_fma_f64 v[99:100], v[101:102], v[97:98], v[99:100]
	v_add_f64 v[95:96], v[95:96], -v[99:100]
	ds_read2_b64 v[99:102], v125 offset0:14 offset1:15
	buffer_load_dword v85, off, s[20:23], 0 offset:32 ; 4-byte Folded Reload
	buffer_load_dword v86, off, s[20:23], 0 offset:36 ; 4-byte Folded Reload
	;; [unrolled: 1-line block ×4, first 2 shown]
	s_waitcnt lgkmcnt(0)
	v_mul_f64 v[103:104], v[101:102], v[123:124]
	v_fma_f64 v[103:104], v[99:100], v[97:98], -v[103:104]
	v_mul_f64 v[99:100], v[99:100], v[123:124]
	v_fma_f64 v[99:100], v[101:102], v[97:98], v[99:100]
	s_waitcnt vmcnt(2)
	v_add_f64 v[85:86], v[85:86], -v[103:104]
	s_waitcnt vmcnt(0)
	v_add_f64 v[87:88], v[87:88], -v[99:100]
	buffer_store_dword v85, off, s[20:23], 0 offset:32 ; 4-byte Folded Spill
	s_nop 0
	buffer_store_dword v86, off, s[20:23], 0 offset:36 ; 4-byte Folded Spill
	buffer_store_dword v87, off, s[20:23], 0 offset:40 ; 4-byte Folded Spill
	;; [unrolled: 1-line block ×3, first 2 shown]
	ds_read2_b64 v[99:102], v125 offset0:16 offset1:17
	buffer_load_dword v85, off, s[20:23], 0 offset:16 ; 4-byte Folded Reload
	buffer_load_dword v86, off, s[20:23], 0 offset:20 ; 4-byte Folded Reload
	;; [unrolled: 1-line block ×4, first 2 shown]
	s_waitcnt lgkmcnt(0)
	v_mul_f64 v[103:104], v[101:102], v[123:124]
	v_fma_f64 v[103:104], v[99:100], v[97:98], -v[103:104]
	v_mul_f64 v[99:100], v[99:100], v[123:124]
	v_fma_f64 v[99:100], v[101:102], v[97:98], v[99:100]
	s_waitcnt vmcnt(2)
	v_add_f64 v[85:86], v[85:86], -v[103:104]
	s_waitcnt vmcnt(0)
	v_add_f64 v[87:88], v[87:88], -v[99:100]
	buffer_store_dword v85, off, s[20:23], 0 offset:16 ; 4-byte Folded Spill
	s_nop 0
	buffer_store_dword v86, off, s[20:23], 0 offset:20 ; 4-byte Folded Spill
	buffer_store_dword v87, off, s[20:23], 0 offset:24 ; 4-byte Folded Spill
	;; [unrolled: 1-line block ×3, first 2 shown]
	ds_read2_b64 v[99:102], v125 offset0:18 offset1:19
	s_waitcnt lgkmcnt(0)
	v_mul_f64 v[103:104], v[101:102], v[123:124]
	v_fma_f64 v[103:104], v[99:100], v[97:98], -v[103:104]
	v_mul_f64 v[99:100], v[99:100], v[123:124]
	v_add_f64 v[89:90], v[89:90], -v[103:104]
	v_fma_f64 v[99:100], v[101:102], v[97:98], v[99:100]
	v_add_f64 v[91:92], v[91:92], -v[99:100]
	ds_read2_b64 v[99:102], v125 offset0:20 offset1:21
	s_waitcnt lgkmcnt(0)
	v_mul_f64 v[103:104], v[101:102], v[123:124]
	v_fma_f64 v[103:104], v[99:100], v[97:98], -v[103:104]
	v_mul_f64 v[99:100], v[99:100], v[123:124]
	v_add_f64 v[81:82], v[81:82], -v[103:104]
	v_fma_f64 v[99:100], v[101:102], v[97:98], v[99:100]
	v_add_f64 v[83:84], v[83:84], -v[99:100]
	;; [unrolled: 8-line block ×21, first 2 shown]
	ds_read2_b64 v[99:102], v125 offset0:60 offset1:61
	buffer_load_dword v0, off, s[20:23], 0  ; 4-byte Folded Reload
	buffer_load_dword v1, off, s[20:23], 0 offset:4 ; 4-byte Folded Reload
	buffer_load_dword v2, off, s[20:23], 0 offset:8 ; 4-byte Folded Reload
	;; [unrolled: 1-line block ×3, first 2 shown]
	s_waitcnt lgkmcnt(0)
	v_mul_f64 v[103:104], v[101:102], v[123:124]
	v_fma_f64 v[103:104], v[99:100], v[97:98], -v[103:104]
	v_mul_f64 v[99:100], v[99:100], v[123:124]
	v_fma_f64 v[99:100], v[101:102], v[97:98], v[99:100]
	s_waitcnt vmcnt(2)
	v_add_f64 v[0:1], v[0:1], -v[103:104]
	s_waitcnt vmcnt(0)
	v_add_f64 v[2:3], v[2:3], -v[99:100]
	buffer_store_dword v0, off, s[20:23], 0 ; 4-byte Folded Spill
	s_nop 0
	buffer_store_dword v1, off, s[20:23], 0 offset:4 ; 4-byte Folded Spill
	buffer_store_dword v2, off, s[20:23], 0 offset:8 ; 4-byte Folded Spill
	;; [unrolled: 1-line block ×3, first 2 shown]
	ds_read2_b64 v[99:102], v125 offset0:62 offset1:63
	s_waitcnt lgkmcnt(0)
	v_mul_f64 v[103:104], v[101:102], v[123:124]
	v_fma_f64 v[103:104], v[99:100], v[97:98], -v[103:104]
	v_mul_f64 v[99:100], v[99:100], v[123:124]
	buffer_store_dword v121, off, s[20:23], 0 offset:96 ; 4-byte Folded Spill
	s_nop 0
	buffer_store_dword v122, off, s[20:23], 0 offset:100 ; 4-byte Folded Spill
	buffer_store_dword v123, off, s[20:23], 0 offset:104 ; 4-byte Folded Spill
	;; [unrolled: 1-line block ×3, first 2 shown]
	v_add_f64 v[109:110], v[109:110], -v[103:104]
	v_fma_f64 v[99:100], v[101:102], v[97:98], v[99:100]
	v_add_f64 v[111:112], v[111:112], -v[99:100]
.LBB63_28:
	s_or_b64 exec, exec, s[2:3]
	v_cmp_eq_u32_e32 vcc, 3, v126
	s_waitcnt vmcnt(0)
	s_barrier
	s_and_saveexec_b64 s[4:5], vcc
	s_cbranch_execz .LBB63_35
; %bb.29:
	buffer_load_dword v97, off, s[20:23], 0 offset:80 ; 4-byte Folded Reload
	buffer_load_dword v98, off, s[20:23], 0 offset:84 ; 4-byte Folded Reload
	;; [unrolled: 1-line block ×4, first 2 shown]
	s_waitcnt vmcnt(0)
	ds_write2_b64 v127, v[97:98], v[99:100] offset1:1
	buffer_load_dword v97, off, s[20:23], 0 offset:64 ; 4-byte Folded Reload
	buffer_load_dword v98, off, s[20:23], 0 offset:68 ; 4-byte Folded Reload
	;; [unrolled: 1-line block ×4, first 2 shown]
	s_waitcnt vmcnt(0)
	ds_write2_b64 v125, v[97:98], v[99:100] offset0:8 offset1:9
	buffer_load_dword v97, off, s[20:23], 0 offset:48 ; 4-byte Folded Reload
	buffer_load_dword v98, off, s[20:23], 0 offset:52 ; 4-byte Folded Reload
	;; [unrolled: 1-line block ×4, first 2 shown]
	s_waitcnt vmcnt(0)
	ds_write2_b64 v125, v[97:98], v[99:100] offset0:10 offset1:11
	ds_write2_b64 v125, v[93:94], v[95:96] offset0:12 offset1:13
	buffer_load_dword v85, off, s[20:23], 0 offset:32 ; 4-byte Folded Reload
	buffer_load_dword v86, off, s[20:23], 0 offset:36 ; 4-byte Folded Reload
	;; [unrolled: 1-line block ×4, first 2 shown]
	s_waitcnt vmcnt(0)
	ds_write2_b64 v125, v[85:86], v[87:88] offset0:14 offset1:15
	buffer_load_dword v85, off, s[20:23], 0 offset:16 ; 4-byte Folded Reload
	buffer_load_dword v86, off, s[20:23], 0 offset:20 ; 4-byte Folded Reload
	;; [unrolled: 1-line block ×4, first 2 shown]
	s_waitcnt vmcnt(0)
	ds_write2_b64 v125, v[85:86], v[87:88] offset0:16 offset1:17
	ds_write2_b64 v125, v[89:90], v[91:92] offset0:18 offset1:19
	;; [unrolled: 1-line block ×22, first 2 shown]
	buffer_load_dword v0, off, s[20:23], 0  ; 4-byte Folded Reload
	buffer_load_dword v1, off, s[20:23], 0 offset:4 ; 4-byte Folded Reload
	buffer_load_dword v2, off, s[20:23], 0 offset:8 ; 4-byte Folded Reload
	;; [unrolled: 1-line block ×3, first 2 shown]
	s_waitcnt vmcnt(0)
	ds_write2_b64 v125, v[0:1], v[2:3] offset0:60 offset1:61
	ds_write2_b64 v125, v[109:110], v[111:112] offset0:62 offset1:63
	ds_read2_b64 v[97:100], v127 offset1:1
	s_waitcnt lgkmcnt(0)
	v_cmp_neq_f64_e32 vcc, 0, v[97:98]
	v_cmp_neq_f64_e64 s[2:3], 0, v[99:100]
	s_or_b64 s[2:3], vcc, s[2:3]
	s_and_b64 exec, exec, s[2:3]
	s_cbranch_execz .LBB63_35
; %bb.30:
	v_cmp_ngt_f64_e64 s[2:3], |v[97:98]|, |v[99:100]|
                                        ; implicit-def: $vgpr101_vgpr102
	s_and_saveexec_b64 s[6:7], s[2:3]
	s_xor_b64 s[2:3], exec, s[6:7]
                                        ; implicit-def: $vgpr103_vgpr104
	s_cbranch_execz .LBB63_32
; %bb.31:
	v_div_scale_f64 v[101:102], s[6:7], v[99:100], v[99:100], v[97:98]
	v_rcp_f64_e32 v[103:104], v[101:102]
	v_fma_f64 v[105:106], -v[101:102], v[103:104], 1.0
	v_fma_f64 v[103:104], v[103:104], v[105:106], v[103:104]
	v_div_scale_f64 v[105:106], vcc, v[97:98], v[99:100], v[97:98]
	v_fma_f64 v[107:108], -v[101:102], v[103:104], 1.0
	v_fma_f64 v[103:104], v[103:104], v[107:108], v[103:104]
	v_mul_f64 v[107:108], v[105:106], v[103:104]
	v_fma_f64 v[101:102], -v[101:102], v[107:108], v[105:106]
	v_div_fmas_f64 v[101:102], v[101:102], v[103:104], v[107:108]
	v_div_fixup_f64 v[101:102], v[101:102], v[99:100], v[97:98]
	v_fma_f64 v[97:98], v[97:98], v[101:102], v[99:100]
	v_div_scale_f64 v[99:100], s[6:7], v[97:98], v[97:98], 1.0
	v_div_scale_f64 v[107:108], vcc, 1.0, v[97:98], 1.0
	v_rcp_f64_e32 v[103:104], v[99:100]
	v_fma_f64 v[105:106], -v[99:100], v[103:104], 1.0
	v_fma_f64 v[103:104], v[103:104], v[105:106], v[103:104]
	v_fma_f64 v[105:106], -v[99:100], v[103:104], 1.0
	v_fma_f64 v[103:104], v[103:104], v[105:106], v[103:104]
	v_mul_f64 v[105:106], v[107:108], v[103:104]
	v_fma_f64 v[99:100], -v[99:100], v[105:106], v[107:108]
	v_div_fmas_f64 v[99:100], v[99:100], v[103:104], v[105:106]
	v_div_fixup_f64 v[103:104], v[99:100], v[97:98], 1.0
                                        ; implicit-def: $vgpr97_vgpr98
	v_mul_f64 v[101:102], v[101:102], v[103:104]
	v_xor_b32_e32 v104, 0x80000000, v104
.LBB63_32:
	s_andn2_saveexec_b64 s[2:3], s[2:3]
	s_cbranch_execz .LBB63_34
; %bb.33:
	v_div_scale_f64 v[101:102], s[6:7], v[97:98], v[97:98], v[99:100]
	v_rcp_f64_e32 v[103:104], v[101:102]
	v_fma_f64 v[105:106], -v[101:102], v[103:104], 1.0
	v_fma_f64 v[103:104], v[103:104], v[105:106], v[103:104]
	v_div_scale_f64 v[105:106], vcc, v[99:100], v[97:98], v[99:100]
	v_fma_f64 v[107:108], -v[101:102], v[103:104], 1.0
	v_fma_f64 v[103:104], v[103:104], v[107:108], v[103:104]
	v_mul_f64 v[107:108], v[105:106], v[103:104]
	v_fma_f64 v[101:102], -v[101:102], v[107:108], v[105:106]
	v_div_fmas_f64 v[101:102], v[101:102], v[103:104], v[107:108]
	v_div_fixup_f64 v[103:104], v[101:102], v[97:98], v[99:100]
	v_fma_f64 v[97:98], v[99:100], v[103:104], v[97:98]
	v_div_scale_f64 v[99:100], s[6:7], v[97:98], v[97:98], 1.0
	v_div_scale_f64 v[107:108], vcc, 1.0, v[97:98], 1.0
	v_rcp_f64_e32 v[101:102], v[99:100]
	v_fma_f64 v[105:106], -v[99:100], v[101:102], 1.0
	v_fma_f64 v[101:102], v[101:102], v[105:106], v[101:102]
	v_fma_f64 v[105:106], -v[99:100], v[101:102], 1.0
	v_fma_f64 v[101:102], v[101:102], v[105:106], v[101:102]
	v_mul_f64 v[105:106], v[107:108], v[101:102]
	v_fma_f64 v[99:100], -v[99:100], v[105:106], v[107:108]
	v_div_fmas_f64 v[99:100], v[99:100], v[101:102], v[105:106]
	v_div_fixup_f64 v[101:102], v[99:100], v[97:98], 1.0
	v_mul_f64 v[103:104], v[103:104], -v[101:102]
.LBB63_34:
	s_or_b64 exec, exec, s[2:3]
	ds_write2_b64 v127, v[101:102], v[103:104] offset1:1
.LBB63_35:
	s_or_b64 exec, exec, s[4:5]
	s_waitcnt lgkmcnt(0)
	s_barrier
	ds_read2_b64 v[97:100], v127 offset1:1
	v_cmp_lt_u32_e32 vcc, 3, v126
	s_waitcnt lgkmcnt(0)
	buffer_store_dword v97, off, s[20:23], 0 offset:512 ; 4-byte Folded Spill
	s_nop 0
	buffer_store_dword v98, off, s[20:23], 0 offset:516 ; 4-byte Folded Spill
	buffer_store_dword v99, off, s[20:23], 0 offset:520 ; 4-byte Folded Spill
	;; [unrolled: 1-line block ×3, first 2 shown]
	s_and_saveexec_b64 s[2:3], vcc
	s_cbranch_execz .LBB63_37
; %bb.36:
	buffer_load_dword v121, off, s[20:23], 0 offset:80 ; 4-byte Folded Reload
	buffer_load_dword v122, off, s[20:23], 0 offset:84 ; 4-byte Folded Reload
	;; [unrolled: 1-line block ×8, first 2 shown]
	s_waitcnt vmcnt(0)
	v_mul_f64 v[97:98], v[101:102], v[123:124]
	v_fma_f64 v[97:98], v[99:100], v[121:122], -v[97:98]
	v_mul_f64 v[99:100], v[99:100], v[123:124]
	v_fma_f64 v[123:124], v[101:102], v[121:122], v[99:100]
	ds_read2_b64 v[99:102], v125 offset0:8 offset1:9
	buffer_load_dword v105, off, s[20:23], 0 offset:64 ; 4-byte Folded Reload
	buffer_load_dword v106, off, s[20:23], 0 offset:68 ; 4-byte Folded Reload
	buffer_load_dword v107, off, s[20:23], 0 offset:72 ; 4-byte Folded Reload
	buffer_load_dword v108, off, s[20:23], 0 offset:76 ; 4-byte Folded Reload
	v_mov_b32_e32 v122, v98
	v_mov_b32_e32 v121, v97
	s_waitcnt lgkmcnt(0)
	v_mul_f64 v[103:104], v[101:102], v[123:124]
	v_fma_f64 v[103:104], v[99:100], v[97:98], -v[103:104]
	v_mul_f64 v[99:100], v[99:100], v[123:124]
	v_fma_f64 v[99:100], v[101:102], v[97:98], v[99:100]
	s_waitcnt vmcnt(2)
	v_add_f64 v[105:106], v[105:106], -v[103:104]
	s_waitcnt vmcnt(0)
	v_add_f64 v[107:108], v[107:108], -v[99:100]
	buffer_store_dword v105, off, s[20:23], 0 offset:64 ; 4-byte Folded Spill
	s_nop 0
	buffer_store_dword v106, off, s[20:23], 0 offset:68 ; 4-byte Folded Spill
	buffer_store_dword v107, off, s[20:23], 0 offset:72 ; 4-byte Folded Spill
	;; [unrolled: 1-line block ×3, first 2 shown]
	ds_read2_b64 v[99:102], v125 offset0:10 offset1:11
	buffer_load_dword v105, off, s[20:23], 0 offset:48 ; 4-byte Folded Reload
	buffer_load_dword v106, off, s[20:23], 0 offset:52 ; 4-byte Folded Reload
	;; [unrolled: 1-line block ×4, first 2 shown]
	s_waitcnt lgkmcnt(0)
	v_mul_f64 v[103:104], v[101:102], v[123:124]
	v_fma_f64 v[103:104], v[99:100], v[97:98], -v[103:104]
	v_mul_f64 v[99:100], v[99:100], v[123:124]
	v_fma_f64 v[99:100], v[101:102], v[97:98], v[99:100]
	s_waitcnt vmcnt(2)
	v_add_f64 v[105:106], v[105:106], -v[103:104]
	s_waitcnt vmcnt(0)
	v_add_f64 v[107:108], v[107:108], -v[99:100]
	buffer_store_dword v105, off, s[20:23], 0 offset:48 ; 4-byte Folded Spill
	s_nop 0
	buffer_store_dword v106, off, s[20:23], 0 offset:52 ; 4-byte Folded Spill
	buffer_store_dword v107, off, s[20:23], 0 offset:56 ; 4-byte Folded Spill
	;; [unrolled: 1-line block ×3, first 2 shown]
	ds_read2_b64 v[99:102], v125 offset0:12 offset1:13
	s_waitcnt lgkmcnt(0)
	v_mul_f64 v[103:104], v[101:102], v[123:124]
	v_fma_f64 v[103:104], v[99:100], v[97:98], -v[103:104]
	v_mul_f64 v[99:100], v[99:100], v[123:124]
	v_add_f64 v[93:94], v[93:94], -v[103:104]
	v_fma_f64 v[99:100], v[101:102], v[97:98], v[99:100]
	v_add_f64 v[95:96], v[95:96], -v[99:100]
	ds_read2_b64 v[99:102], v125 offset0:14 offset1:15
	buffer_load_dword v85, off, s[20:23], 0 offset:32 ; 4-byte Folded Reload
	buffer_load_dword v86, off, s[20:23], 0 offset:36 ; 4-byte Folded Reload
	buffer_load_dword v87, off, s[20:23], 0 offset:40 ; 4-byte Folded Reload
	buffer_load_dword v88, off, s[20:23], 0 offset:44 ; 4-byte Folded Reload
	s_waitcnt lgkmcnt(0)
	v_mul_f64 v[103:104], v[101:102], v[123:124]
	v_fma_f64 v[103:104], v[99:100], v[97:98], -v[103:104]
	v_mul_f64 v[99:100], v[99:100], v[123:124]
	v_fma_f64 v[99:100], v[101:102], v[97:98], v[99:100]
	s_waitcnt vmcnt(2)
	v_add_f64 v[85:86], v[85:86], -v[103:104]
	s_waitcnt vmcnt(0)
	v_add_f64 v[87:88], v[87:88], -v[99:100]
	buffer_store_dword v85, off, s[20:23], 0 offset:32 ; 4-byte Folded Spill
	s_nop 0
	buffer_store_dword v86, off, s[20:23], 0 offset:36 ; 4-byte Folded Spill
	buffer_store_dword v87, off, s[20:23], 0 offset:40 ; 4-byte Folded Spill
	;; [unrolled: 1-line block ×3, first 2 shown]
	ds_read2_b64 v[99:102], v125 offset0:16 offset1:17
	buffer_load_dword v85, off, s[20:23], 0 offset:16 ; 4-byte Folded Reload
	buffer_load_dword v86, off, s[20:23], 0 offset:20 ; 4-byte Folded Reload
	;; [unrolled: 1-line block ×4, first 2 shown]
	s_waitcnt lgkmcnt(0)
	v_mul_f64 v[103:104], v[101:102], v[123:124]
	v_fma_f64 v[103:104], v[99:100], v[97:98], -v[103:104]
	v_mul_f64 v[99:100], v[99:100], v[123:124]
	v_fma_f64 v[99:100], v[101:102], v[97:98], v[99:100]
	s_waitcnt vmcnt(2)
	v_add_f64 v[85:86], v[85:86], -v[103:104]
	s_waitcnt vmcnt(0)
	v_add_f64 v[87:88], v[87:88], -v[99:100]
	buffer_store_dword v85, off, s[20:23], 0 offset:16 ; 4-byte Folded Spill
	s_nop 0
	buffer_store_dword v86, off, s[20:23], 0 offset:20 ; 4-byte Folded Spill
	buffer_store_dword v87, off, s[20:23], 0 offset:24 ; 4-byte Folded Spill
	;; [unrolled: 1-line block ×3, first 2 shown]
	ds_read2_b64 v[99:102], v125 offset0:18 offset1:19
	s_waitcnt lgkmcnt(0)
	v_mul_f64 v[103:104], v[101:102], v[123:124]
	v_fma_f64 v[103:104], v[99:100], v[97:98], -v[103:104]
	v_mul_f64 v[99:100], v[99:100], v[123:124]
	v_add_f64 v[89:90], v[89:90], -v[103:104]
	v_fma_f64 v[99:100], v[101:102], v[97:98], v[99:100]
	v_add_f64 v[91:92], v[91:92], -v[99:100]
	ds_read2_b64 v[99:102], v125 offset0:20 offset1:21
	s_waitcnt lgkmcnt(0)
	v_mul_f64 v[103:104], v[101:102], v[123:124]
	v_fma_f64 v[103:104], v[99:100], v[97:98], -v[103:104]
	v_mul_f64 v[99:100], v[99:100], v[123:124]
	v_add_f64 v[81:82], v[81:82], -v[103:104]
	v_fma_f64 v[99:100], v[101:102], v[97:98], v[99:100]
	v_add_f64 v[83:84], v[83:84], -v[99:100]
	;; [unrolled: 8-line block ×21, first 2 shown]
	ds_read2_b64 v[99:102], v125 offset0:60 offset1:61
	buffer_load_dword v0, off, s[20:23], 0  ; 4-byte Folded Reload
	buffer_load_dword v1, off, s[20:23], 0 offset:4 ; 4-byte Folded Reload
	buffer_load_dword v2, off, s[20:23], 0 offset:8 ; 4-byte Folded Reload
	;; [unrolled: 1-line block ×3, first 2 shown]
	s_waitcnt lgkmcnt(0)
	v_mul_f64 v[103:104], v[101:102], v[123:124]
	v_fma_f64 v[103:104], v[99:100], v[97:98], -v[103:104]
	v_mul_f64 v[99:100], v[99:100], v[123:124]
	v_fma_f64 v[99:100], v[101:102], v[97:98], v[99:100]
	s_waitcnt vmcnt(2)
	v_add_f64 v[0:1], v[0:1], -v[103:104]
	s_waitcnt vmcnt(0)
	v_add_f64 v[2:3], v[2:3], -v[99:100]
	buffer_store_dword v0, off, s[20:23], 0 ; 4-byte Folded Spill
	s_nop 0
	buffer_store_dword v1, off, s[20:23], 0 offset:4 ; 4-byte Folded Spill
	buffer_store_dword v2, off, s[20:23], 0 offset:8 ; 4-byte Folded Spill
	;; [unrolled: 1-line block ×3, first 2 shown]
	ds_read2_b64 v[99:102], v125 offset0:62 offset1:63
	s_waitcnt lgkmcnt(0)
	v_mul_f64 v[103:104], v[101:102], v[123:124]
	v_fma_f64 v[103:104], v[99:100], v[97:98], -v[103:104]
	v_mul_f64 v[99:100], v[99:100], v[123:124]
	buffer_store_dword v121, off, s[20:23], 0 offset:80 ; 4-byte Folded Spill
	s_nop 0
	buffer_store_dword v122, off, s[20:23], 0 offset:84 ; 4-byte Folded Spill
	buffer_store_dword v123, off, s[20:23], 0 offset:88 ; 4-byte Folded Spill
	;; [unrolled: 1-line block ×3, first 2 shown]
	v_add_f64 v[109:110], v[109:110], -v[103:104]
	v_fma_f64 v[99:100], v[101:102], v[97:98], v[99:100]
	v_add_f64 v[111:112], v[111:112], -v[99:100]
.LBB63_37:
	s_or_b64 exec, exec, s[2:3]
	v_cmp_eq_u32_e32 vcc, 4, v126
	s_waitcnt vmcnt(0)
	s_barrier
	s_and_saveexec_b64 s[4:5], vcc
	s_cbranch_execz .LBB63_44
; %bb.38:
	buffer_load_dword v97, off, s[20:23], 0 offset:64 ; 4-byte Folded Reload
	buffer_load_dword v98, off, s[20:23], 0 offset:68 ; 4-byte Folded Reload
	;; [unrolled: 1-line block ×4, first 2 shown]
	s_waitcnt vmcnt(0)
	ds_write2_b64 v127, v[97:98], v[99:100] offset1:1
	buffer_load_dword v97, off, s[20:23], 0 offset:48 ; 4-byte Folded Reload
	buffer_load_dword v98, off, s[20:23], 0 offset:52 ; 4-byte Folded Reload
	;; [unrolled: 1-line block ×4, first 2 shown]
	s_waitcnt vmcnt(0)
	ds_write2_b64 v125, v[97:98], v[99:100] offset0:10 offset1:11
	ds_write2_b64 v125, v[93:94], v[95:96] offset0:12 offset1:13
	buffer_load_dword v85, off, s[20:23], 0 offset:32 ; 4-byte Folded Reload
	buffer_load_dword v86, off, s[20:23], 0 offset:36 ; 4-byte Folded Reload
	;; [unrolled: 1-line block ×4, first 2 shown]
	s_waitcnt vmcnt(0)
	ds_write2_b64 v125, v[85:86], v[87:88] offset0:14 offset1:15
	buffer_load_dword v85, off, s[20:23], 0 offset:16 ; 4-byte Folded Reload
	buffer_load_dword v86, off, s[20:23], 0 offset:20 ; 4-byte Folded Reload
	;; [unrolled: 1-line block ×4, first 2 shown]
	s_waitcnt vmcnt(0)
	ds_write2_b64 v125, v[85:86], v[87:88] offset0:16 offset1:17
	ds_write2_b64 v125, v[89:90], v[91:92] offset0:18 offset1:19
	;; [unrolled: 1-line block ×22, first 2 shown]
	buffer_load_dword v0, off, s[20:23], 0  ; 4-byte Folded Reload
	buffer_load_dword v1, off, s[20:23], 0 offset:4 ; 4-byte Folded Reload
	buffer_load_dword v2, off, s[20:23], 0 offset:8 ; 4-byte Folded Reload
	;; [unrolled: 1-line block ×3, first 2 shown]
	s_waitcnt vmcnt(0)
	ds_write2_b64 v125, v[0:1], v[2:3] offset0:60 offset1:61
	ds_write2_b64 v125, v[109:110], v[111:112] offset0:62 offset1:63
	ds_read2_b64 v[97:100], v127 offset1:1
	s_waitcnt lgkmcnt(0)
	v_cmp_neq_f64_e32 vcc, 0, v[97:98]
	v_cmp_neq_f64_e64 s[2:3], 0, v[99:100]
	s_or_b64 s[2:3], vcc, s[2:3]
	s_and_b64 exec, exec, s[2:3]
	s_cbranch_execz .LBB63_44
; %bb.39:
	v_cmp_ngt_f64_e64 s[2:3], |v[97:98]|, |v[99:100]|
                                        ; implicit-def: $vgpr101_vgpr102
	s_and_saveexec_b64 s[6:7], s[2:3]
	s_xor_b64 s[2:3], exec, s[6:7]
                                        ; implicit-def: $vgpr103_vgpr104
	s_cbranch_execz .LBB63_41
; %bb.40:
	v_div_scale_f64 v[101:102], s[6:7], v[99:100], v[99:100], v[97:98]
	v_rcp_f64_e32 v[103:104], v[101:102]
	v_fma_f64 v[105:106], -v[101:102], v[103:104], 1.0
	v_fma_f64 v[103:104], v[103:104], v[105:106], v[103:104]
	v_div_scale_f64 v[105:106], vcc, v[97:98], v[99:100], v[97:98]
	v_fma_f64 v[107:108], -v[101:102], v[103:104], 1.0
	v_fma_f64 v[103:104], v[103:104], v[107:108], v[103:104]
	v_mul_f64 v[107:108], v[105:106], v[103:104]
	v_fma_f64 v[101:102], -v[101:102], v[107:108], v[105:106]
	v_div_fmas_f64 v[101:102], v[101:102], v[103:104], v[107:108]
	v_div_fixup_f64 v[101:102], v[101:102], v[99:100], v[97:98]
	v_fma_f64 v[97:98], v[97:98], v[101:102], v[99:100]
	v_div_scale_f64 v[99:100], s[6:7], v[97:98], v[97:98], 1.0
	v_div_scale_f64 v[107:108], vcc, 1.0, v[97:98], 1.0
	v_rcp_f64_e32 v[103:104], v[99:100]
	v_fma_f64 v[105:106], -v[99:100], v[103:104], 1.0
	v_fma_f64 v[103:104], v[103:104], v[105:106], v[103:104]
	v_fma_f64 v[105:106], -v[99:100], v[103:104], 1.0
	v_fma_f64 v[103:104], v[103:104], v[105:106], v[103:104]
	v_mul_f64 v[105:106], v[107:108], v[103:104]
	v_fma_f64 v[99:100], -v[99:100], v[105:106], v[107:108]
	v_div_fmas_f64 v[99:100], v[99:100], v[103:104], v[105:106]
	v_div_fixup_f64 v[103:104], v[99:100], v[97:98], 1.0
                                        ; implicit-def: $vgpr97_vgpr98
	v_mul_f64 v[101:102], v[101:102], v[103:104]
	v_xor_b32_e32 v104, 0x80000000, v104
.LBB63_41:
	s_andn2_saveexec_b64 s[2:3], s[2:3]
	s_cbranch_execz .LBB63_43
; %bb.42:
	v_div_scale_f64 v[101:102], s[6:7], v[97:98], v[97:98], v[99:100]
	v_rcp_f64_e32 v[103:104], v[101:102]
	v_fma_f64 v[105:106], -v[101:102], v[103:104], 1.0
	v_fma_f64 v[103:104], v[103:104], v[105:106], v[103:104]
	v_div_scale_f64 v[105:106], vcc, v[99:100], v[97:98], v[99:100]
	v_fma_f64 v[107:108], -v[101:102], v[103:104], 1.0
	v_fma_f64 v[103:104], v[103:104], v[107:108], v[103:104]
	v_mul_f64 v[107:108], v[105:106], v[103:104]
	v_fma_f64 v[101:102], -v[101:102], v[107:108], v[105:106]
	v_div_fmas_f64 v[101:102], v[101:102], v[103:104], v[107:108]
	v_div_fixup_f64 v[103:104], v[101:102], v[97:98], v[99:100]
	v_fma_f64 v[97:98], v[99:100], v[103:104], v[97:98]
	v_div_scale_f64 v[99:100], s[6:7], v[97:98], v[97:98], 1.0
	v_div_scale_f64 v[107:108], vcc, 1.0, v[97:98], 1.0
	v_rcp_f64_e32 v[101:102], v[99:100]
	v_fma_f64 v[105:106], -v[99:100], v[101:102], 1.0
	v_fma_f64 v[101:102], v[101:102], v[105:106], v[101:102]
	v_fma_f64 v[105:106], -v[99:100], v[101:102], 1.0
	v_fma_f64 v[101:102], v[101:102], v[105:106], v[101:102]
	v_mul_f64 v[105:106], v[107:108], v[101:102]
	v_fma_f64 v[99:100], -v[99:100], v[105:106], v[107:108]
	v_div_fmas_f64 v[99:100], v[99:100], v[101:102], v[105:106]
	v_div_fixup_f64 v[101:102], v[99:100], v[97:98], 1.0
	v_mul_f64 v[103:104], v[103:104], -v[101:102]
.LBB63_43:
	s_or_b64 exec, exec, s[2:3]
	ds_write2_b64 v127, v[101:102], v[103:104] offset1:1
.LBB63_44:
	s_or_b64 exec, exec, s[4:5]
	s_waitcnt lgkmcnt(0)
	s_barrier
	ds_read2_b64 v[97:100], v127 offset1:1
	v_cmp_lt_u32_e32 vcc, 4, v126
	s_waitcnt lgkmcnt(0)
	buffer_store_dword v97, off, s[20:23], 0 offset:528 ; 4-byte Folded Spill
	s_nop 0
	buffer_store_dword v98, off, s[20:23], 0 offset:532 ; 4-byte Folded Spill
	buffer_store_dword v99, off, s[20:23], 0 offset:536 ; 4-byte Folded Spill
	;; [unrolled: 1-line block ×3, first 2 shown]
	s_and_saveexec_b64 s[2:3], vcc
	s_cbranch_execz .LBB63_46
; %bb.45:
	buffer_load_dword v121, off, s[20:23], 0 offset:64 ; 4-byte Folded Reload
	buffer_load_dword v122, off, s[20:23], 0 offset:68 ; 4-byte Folded Reload
	;; [unrolled: 1-line block ×8, first 2 shown]
	s_waitcnt vmcnt(0)
	v_mul_f64 v[97:98], v[101:102], v[123:124]
	v_fma_f64 v[97:98], v[99:100], v[121:122], -v[97:98]
	v_mul_f64 v[99:100], v[99:100], v[123:124]
	v_fma_f64 v[123:124], v[101:102], v[121:122], v[99:100]
	ds_read2_b64 v[99:102], v125 offset0:10 offset1:11
	buffer_load_dword v105, off, s[20:23], 0 offset:48 ; 4-byte Folded Reload
	buffer_load_dword v106, off, s[20:23], 0 offset:52 ; 4-byte Folded Reload
	;; [unrolled: 1-line block ×4, first 2 shown]
	v_mov_b32_e32 v122, v98
	v_mov_b32_e32 v121, v97
	s_waitcnt lgkmcnt(0)
	v_mul_f64 v[103:104], v[101:102], v[123:124]
	v_fma_f64 v[103:104], v[99:100], v[97:98], -v[103:104]
	v_mul_f64 v[99:100], v[99:100], v[123:124]
	v_fma_f64 v[99:100], v[101:102], v[97:98], v[99:100]
	s_waitcnt vmcnt(2)
	v_add_f64 v[105:106], v[105:106], -v[103:104]
	s_waitcnt vmcnt(0)
	v_add_f64 v[107:108], v[107:108], -v[99:100]
	buffer_store_dword v105, off, s[20:23], 0 offset:48 ; 4-byte Folded Spill
	s_nop 0
	buffer_store_dword v106, off, s[20:23], 0 offset:52 ; 4-byte Folded Spill
	buffer_store_dword v107, off, s[20:23], 0 offset:56 ; 4-byte Folded Spill
	;; [unrolled: 1-line block ×3, first 2 shown]
	ds_read2_b64 v[99:102], v125 offset0:12 offset1:13
	s_waitcnt lgkmcnt(0)
	v_mul_f64 v[103:104], v[101:102], v[123:124]
	v_fma_f64 v[103:104], v[99:100], v[97:98], -v[103:104]
	v_mul_f64 v[99:100], v[99:100], v[123:124]
	v_add_f64 v[93:94], v[93:94], -v[103:104]
	v_fma_f64 v[99:100], v[101:102], v[97:98], v[99:100]
	v_add_f64 v[95:96], v[95:96], -v[99:100]
	ds_read2_b64 v[99:102], v125 offset0:14 offset1:15
	buffer_load_dword v85, off, s[20:23], 0 offset:32 ; 4-byte Folded Reload
	buffer_load_dword v86, off, s[20:23], 0 offset:36 ; 4-byte Folded Reload
	;; [unrolled: 1-line block ×4, first 2 shown]
	s_waitcnt lgkmcnt(0)
	v_mul_f64 v[103:104], v[101:102], v[123:124]
	v_fma_f64 v[103:104], v[99:100], v[97:98], -v[103:104]
	v_mul_f64 v[99:100], v[99:100], v[123:124]
	v_fma_f64 v[99:100], v[101:102], v[97:98], v[99:100]
	s_waitcnt vmcnt(2)
	v_add_f64 v[85:86], v[85:86], -v[103:104]
	s_waitcnt vmcnt(0)
	v_add_f64 v[87:88], v[87:88], -v[99:100]
	buffer_store_dword v85, off, s[20:23], 0 offset:32 ; 4-byte Folded Spill
	s_nop 0
	buffer_store_dword v86, off, s[20:23], 0 offset:36 ; 4-byte Folded Spill
	buffer_store_dword v87, off, s[20:23], 0 offset:40 ; 4-byte Folded Spill
	buffer_store_dword v88, off, s[20:23], 0 offset:44 ; 4-byte Folded Spill
	ds_read2_b64 v[99:102], v125 offset0:16 offset1:17
	buffer_load_dword v85, off, s[20:23], 0 offset:16 ; 4-byte Folded Reload
	buffer_load_dword v86, off, s[20:23], 0 offset:20 ; 4-byte Folded Reload
	;; [unrolled: 1-line block ×4, first 2 shown]
	s_waitcnt lgkmcnt(0)
	v_mul_f64 v[103:104], v[101:102], v[123:124]
	v_fma_f64 v[103:104], v[99:100], v[97:98], -v[103:104]
	v_mul_f64 v[99:100], v[99:100], v[123:124]
	v_fma_f64 v[99:100], v[101:102], v[97:98], v[99:100]
	s_waitcnt vmcnt(2)
	v_add_f64 v[85:86], v[85:86], -v[103:104]
	s_waitcnt vmcnt(0)
	v_add_f64 v[87:88], v[87:88], -v[99:100]
	buffer_store_dword v85, off, s[20:23], 0 offset:16 ; 4-byte Folded Spill
	s_nop 0
	buffer_store_dword v86, off, s[20:23], 0 offset:20 ; 4-byte Folded Spill
	buffer_store_dword v87, off, s[20:23], 0 offset:24 ; 4-byte Folded Spill
	;; [unrolled: 1-line block ×3, first 2 shown]
	ds_read2_b64 v[99:102], v125 offset0:18 offset1:19
	s_waitcnt lgkmcnt(0)
	v_mul_f64 v[103:104], v[101:102], v[123:124]
	v_fma_f64 v[103:104], v[99:100], v[97:98], -v[103:104]
	v_mul_f64 v[99:100], v[99:100], v[123:124]
	v_add_f64 v[89:90], v[89:90], -v[103:104]
	v_fma_f64 v[99:100], v[101:102], v[97:98], v[99:100]
	v_add_f64 v[91:92], v[91:92], -v[99:100]
	ds_read2_b64 v[99:102], v125 offset0:20 offset1:21
	s_waitcnt lgkmcnt(0)
	v_mul_f64 v[103:104], v[101:102], v[123:124]
	v_fma_f64 v[103:104], v[99:100], v[97:98], -v[103:104]
	v_mul_f64 v[99:100], v[99:100], v[123:124]
	v_add_f64 v[81:82], v[81:82], -v[103:104]
	v_fma_f64 v[99:100], v[101:102], v[97:98], v[99:100]
	v_add_f64 v[83:84], v[83:84], -v[99:100]
	;; [unrolled: 8-line block ×21, first 2 shown]
	ds_read2_b64 v[99:102], v125 offset0:60 offset1:61
	buffer_load_dword v0, off, s[20:23], 0  ; 4-byte Folded Reload
	buffer_load_dword v1, off, s[20:23], 0 offset:4 ; 4-byte Folded Reload
	buffer_load_dword v2, off, s[20:23], 0 offset:8 ; 4-byte Folded Reload
	;; [unrolled: 1-line block ×3, first 2 shown]
	s_waitcnt lgkmcnt(0)
	v_mul_f64 v[103:104], v[101:102], v[123:124]
	v_fma_f64 v[103:104], v[99:100], v[97:98], -v[103:104]
	v_mul_f64 v[99:100], v[99:100], v[123:124]
	v_fma_f64 v[99:100], v[101:102], v[97:98], v[99:100]
	s_waitcnt vmcnt(2)
	v_add_f64 v[0:1], v[0:1], -v[103:104]
	s_waitcnt vmcnt(0)
	v_add_f64 v[2:3], v[2:3], -v[99:100]
	buffer_store_dword v0, off, s[20:23], 0 ; 4-byte Folded Spill
	s_nop 0
	buffer_store_dword v1, off, s[20:23], 0 offset:4 ; 4-byte Folded Spill
	buffer_store_dword v2, off, s[20:23], 0 offset:8 ; 4-byte Folded Spill
	;; [unrolled: 1-line block ×3, first 2 shown]
	ds_read2_b64 v[99:102], v125 offset0:62 offset1:63
	s_waitcnt lgkmcnt(0)
	v_mul_f64 v[103:104], v[101:102], v[123:124]
	v_fma_f64 v[103:104], v[99:100], v[97:98], -v[103:104]
	v_mul_f64 v[99:100], v[99:100], v[123:124]
	buffer_store_dword v121, off, s[20:23], 0 offset:64 ; 4-byte Folded Spill
	s_nop 0
	buffer_store_dword v122, off, s[20:23], 0 offset:68 ; 4-byte Folded Spill
	buffer_store_dword v123, off, s[20:23], 0 offset:72 ; 4-byte Folded Spill
	;; [unrolled: 1-line block ×3, first 2 shown]
	v_add_f64 v[109:110], v[109:110], -v[103:104]
	v_fma_f64 v[99:100], v[101:102], v[97:98], v[99:100]
	v_add_f64 v[111:112], v[111:112], -v[99:100]
.LBB63_46:
	s_or_b64 exec, exec, s[2:3]
	v_cmp_eq_u32_e32 vcc, 5, v126
	s_waitcnt vmcnt(0)
	s_barrier
	s_and_saveexec_b64 s[4:5], vcc
	s_cbranch_execz .LBB63_53
; %bb.47:
	buffer_load_dword v97, off, s[20:23], 0 offset:48 ; 4-byte Folded Reload
	buffer_load_dword v98, off, s[20:23], 0 offset:52 ; 4-byte Folded Reload
	;; [unrolled: 1-line block ×4, first 2 shown]
	s_waitcnt vmcnt(0)
	ds_write2_b64 v127, v[97:98], v[99:100] offset1:1
	ds_write2_b64 v125, v[93:94], v[95:96] offset0:12 offset1:13
	buffer_load_dword v85, off, s[20:23], 0 offset:32 ; 4-byte Folded Reload
	buffer_load_dword v86, off, s[20:23], 0 offset:36 ; 4-byte Folded Reload
	;; [unrolled: 1-line block ×4, first 2 shown]
	s_waitcnt vmcnt(0)
	ds_write2_b64 v125, v[85:86], v[87:88] offset0:14 offset1:15
	buffer_load_dword v85, off, s[20:23], 0 offset:16 ; 4-byte Folded Reload
	buffer_load_dword v86, off, s[20:23], 0 offset:20 ; 4-byte Folded Reload
	;; [unrolled: 1-line block ×4, first 2 shown]
	s_waitcnt vmcnt(0)
	ds_write2_b64 v125, v[85:86], v[87:88] offset0:16 offset1:17
	ds_write2_b64 v125, v[89:90], v[91:92] offset0:18 offset1:19
	;; [unrolled: 1-line block ×22, first 2 shown]
	buffer_load_dword v0, off, s[20:23], 0  ; 4-byte Folded Reload
	buffer_load_dword v1, off, s[20:23], 0 offset:4 ; 4-byte Folded Reload
	buffer_load_dword v2, off, s[20:23], 0 offset:8 ; 4-byte Folded Reload
	;; [unrolled: 1-line block ×3, first 2 shown]
	s_waitcnt vmcnt(0)
	ds_write2_b64 v125, v[0:1], v[2:3] offset0:60 offset1:61
	ds_write2_b64 v125, v[109:110], v[111:112] offset0:62 offset1:63
	ds_read2_b64 v[97:100], v127 offset1:1
	s_waitcnt lgkmcnt(0)
	v_cmp_neq_f64_e32 vcc, 0, v[97:98]
	v_cmp_neq_f64_e64 s[2:3], 0, v[99:100]
	s_or_b64 s[2:3], vcc, s[2:3]
	s_and_b64 exec, exec, s[2:3]
	s_cbranch_execz .LBB63_53
; %bb.48:
	v_cmp_ngt_f64_e64 s[2:3], |v[97:98]|, |v[99:100]|
                                        ; implicit-def: $vgpr101_vgpr102
	s_and_saveexec_b64 s[6:7], s[2:3]
	s_xor_b64 s[2:3], exec, s[6:7]
                                        ; implicit-def: $vgpr103_vgpr104
	s_cbranch_execz .LBB63_50
; %bb.49:
	v_div_scale_f64 v[101:102], s[6:7], v[99:100], v[99:100], v[97:98]
	v_rcp_f64_e32 v[103:104], v[101:102]
	v_fma_f64 v[105:106], -v[101:102], v[103:104], 1.0
	v_fma_f64 v[103:104], v[103:104], v[105:106], v[103:104]
	v_div_scale_f64 v[105:106], vcc, v[97:98], v[99:100], v[97:98]
	v_fma_f64 v[107:108], -v[101:102], v[103:104], 1.0
	v_fma_f64 v[103:104], v[103:104], v[107:108], v[103:104]
	v_mul_f64 v[107:108], v[105:106], v[103:104]
	v_fma_f64 v[101:102], -v[101:102], v[107:108], v[105:106]
	v_div_fmas_f64 v[101:102], v[101:102], v[103:104], v[107:108]
	v_div_fixup_f64 v[101:102], v[101:102], v[99:100], v[97:98]
	v_fma_f64 v[97:98], v[97:98], v[101:102], v[99:100]
	v_div_scale_f64 v[99:100], s[6:7], v[97:98], v[97:98], 1.0
	v_div_scale_f64 v[107:108], vcc, 1.0, v[97:98], 1.0
	v_rcp_f64_e32 v[103:104], v[99:100]
	v_fma_f64 v[105:106], -v[99:100], v[103:104], 1.0
	v_fma_f64 v[103:104], v[103:104], v[105:106], v[103:104]
	v_fma_f64 v[105:106], -v[99:100], v[103:104], 1.0
	v_fma_f64 v[103:104], v[103:104], v[105:106], v[103:104]
	v_mul_f64 v[105:106], v[107:108], v[103:104]
	v_fma_f64 v[99:100], -v[99:100], v[105:106], v[107:108]
	v_div_fmas_f64 v[99:100], v[99:100], v[103:104], v[105:106]
	v_div_fixup_f64 v[103:104], v[99:100], v[97:98], 1.0
                                        ; implicit-def: $vgpr97_vgpr98
	v_mul_f64 v[101:102], v[101:102], v[103:104]
	v_xor_b32_e32 v104, 0x80000000, v104
.LBB63_50:
	s_andn2_saveexec_b64 s[2:3], s[2:3]
	s_cbranch_execz .LBB63_52
; %bb.51:
	v_div_scale_f64 v[101:102], s[6:7], v[97:98], v[97:98], v[99:100]
	v_rcp_f64_e32 v[103:104], v[101:102]
	v_fma_f64 v[105:106], -v[101:102], v[103:104], 1.0
	v_fma_f64 v[103:104], v[103:104], v[105:106], v[103:104]
	v_div_scale_f64 v[105:106], vcc, v[99:100], v[97:98], v[99:100]
	v_fma_f64 v[107:108], -v[101:102], v[103:104], 1.0
	v_fma_f64 v[103:104], v[103:104], v[107:108], v[103:104]
	v_mul_f64 v[107:108], v[105:106], v[103:104]
	v_fma_f64 v[101:102], -v[101:102], v[107:108], v[105:106]
	v_div_fmas_f64 v[101:102], v[101:102], v[103:104], v[107:108]
	v_div_fixup_f64 v[103:104], v[101:102], v[97:98], v[99:100]
	v_fma_f64 v[97:98], v[99:100], v[103:104], v[97:98]
	v_div_scale_f64 v[99:100], s[6:7], v[97:98], v[97:98], 1.0
	v_div_scale_f64 v[107:108], vcc, 1.0, v[97:98], 1.0
	v_rcp_f64_e32 v[101:102], v[99:100]
	v_fma_f64 v[105:106], -v[99:100], v[101:102], 1.0
	v_fma_f64 v[101:102], v[101:102], v[105:106], v[101:102]
	v_fma_f64 v[105:106], -v[99:100], v[101:102], 1.0
	v_fma_f64 v[101:102], v[101:102], v[105:106], v[101:102]
	v_mul_f64 v[105:106], v[107:108], v[101:102]
	v_fma_f64 v[99:100], -v[99:100], v[105:106], v[107:108]
	v_div_fmas_f64 v[99:100], v[99:100], v[101:102], v[105:106]
	v_div_fixup_f64 v[101:102], v[99:100], v[97:98], 1.0
	v_mul_f64 v[103:104], v[103:104], -v[101:102]
.LBB63_52:
	s_or_b64 exec, exec, s[2:3]
	ds_write2_b64 v127, v[101:102], v[103:104] offset1:1
.LBB63_53:
	s_or_b64 exec, exec, s[4:5]
	s_waitcnt lgkmcnt(0)
	s_barrier
	ds_read2_b64 v[97:100], v127 offset1:1
	v_cmp_lt_u32_e32 vcc, 5, v126
	s_waitcnt lgkmcnt(0)
	buffer_store_dword v97, off, s[20:23], 0 offset:544 ; 4-byte Folded Spill
	s_nop 0
	buffer_store_dword v98, off, s[20:23], 0 offset:548 ; 4-byte Folded Spill
	buffer_store_dword v99, off, s[20:23], 0 offset:552 ; 4-byte Folded Spill
	buffer_store_dword v100, off, s[20:23], 0 offset:556 ; 4-byte Folded Spill
	s_and_saveexec_b64 s[2:3], vcc
	s_cbranch_execz .LBB63_55
; %bb.54:
	buffer_load_dword v103, off, s[20:23], 0 offset:48 ; 4-byte Folded Reload
	buffer_load_dword v104, off, s[20:23], 0 offset:52 ; 4-byte Folded Reload
	;; [unrolled: 1-line block ×8, first 2 shown]
	s_waitcnt vmcnt(0)
	v_mul_f64 v[97:98], v[101:102], v[105:106]
	v_fma_f64 v[97:98], v[99:100], v[103:104], -v[97:98]
	v_mul_f64 v[99:100], v[99:100], v[105:106]
	v_fma_f64 v[105:106], v[101:102], v[103:104], v[99:100]
	ds_read2_b64 v[99:102], v125 offset0:12 offset1:13
	s_waitcnt lgkmcnt(0)
	v_mul_f64 v[103:104], v[101:102], v[105:106]
	v_fma_f64 v[103:104], v[99:100], v[97:98], -v[103:104]
	v_mul_f64 v[99:100], v[99:100], v[105:106]
	v_add_f64 v[93:94], v[93:94], -v[103:104]
	v_fma_f64 v[99:100], v[101:102], v[97:98], v[99:100]
	v_add_f64 v[95:96], v[95:96], -v[99:100]
	ds_read2_b64 v[99:102], v125 offset0:14 offset1:15
	buffer_load_dword v85, off, s[20:23], 0 offset:32 ; 4-byte Folded Reload
	buffer_load_dword v86, off, s[20:23], 0 offset:36 ; 4-byte Folded Reload
	;; [unrolled: 1-line block ×4, first 2 shown]
	s_waitcnt lgkmcnt(0)
	v_mul_f64 v[103:104], v[101:102], v[105:106]
	v_fma_f64 v[103:104], v[99:100], v[97:98], -v[103:104]
	v_mul_f64 v[99:100], v[99:100], v[105:106]
	v_fma_f64 v[99:100], v[101:102], v[97:98], v[99:100]
	s_waitcnt vmcnt(2)
	v_add_f64 v[85:86], v[85:86], -v[103:104]
	s_waitcnt vmcnt(0)
	v_add_f64 v[87:88], v[87:88], -v[99:100]
	buffer_store_dword v85, off, s[20:23], 0 offset:32 ; 4-byte Folded Spill
	s_nop 0
	buffer_store_dword v86, off, s[20:23], 0 offset:36 ; 4-byte Folded Spill
	buffer_store_dword v87, off, s[20:23], 0 offset:40 ; 4-byte Folded Spill
	;; [unrolled: 1-line block ×3, first 2 shown]
	ds_read2_b64 v[99:102], v125 offset0:16 offset1:17
	buffer_load_dword v85, off, s[20:23], 0 offset:16 ; 4-byte Folded Reload
	buffer_load_dword v86, off, s[20:23], 0 offset:20 ; 4-byte Folded Reload
	;; [unrolled: 1-line block ×4, first 2 shown]
	s_waitcnt lgkmcnt(0)
	v_mul_f64 v[103:104], v[101:102], v[105:106]
	v_fma_f64 v[103:104], v[99:100], v[97:98], -v[103:104]
	v_mul_f64 v[99:100], v[99:100], v[105:106]
	v_fma_f64 v[99:100], v[101:102], v[97:98], v[99:100]
	s_waitcnt vmcnt(2)
	v_add_f64 v[85:86], v[85:86], -v[103:104]
	s_waitcnt vmcnt(0)
	v_add_f64 v[87:88], v[87:88], -v[99:100]
	buffer_store_dword v85, off, s[20:23], 0 offset:16 ; 4-byte Folded Spill
	s_nop 0
	buffer_store_dword v86, off, s[20:23], 0 offset:20 ; 4-byte Folded Spill
	buffer_store_dword v87, off, s[20:23], 0 offset:24 ; 4-byte Folded Spill
	buffer_store_dword v88, off, s[20:23], 0 offset:28 ; 4-byte Folded Spill
	ds_read2_b64 v[99:102], v125 offset0:18 offset1:19
	s_waitcnt lgkmcnt(0)
	v_mul_f64 v[103:104], v[101:102], v[105:106]
	v_fma_f64 v[103:104], v[99:100], v[97:98], -v[103:104]
	v_mul_f64 v[99:100], v[99:100], v[105:106]
	v_add_f64 v[89:90], v[89:90], -v[103:104]
	v_fma_f64 v[99:100], v[101:102], v[97:98], v[99:100]
	v_add_f64 v[91:92], v[91:92], -v[99:100]
	ds_read2_b64 v[99:102], v125 offset0:20 offset1:21
	s_waitcnt lgkmcnt(0)
	v_mul_f64 v[103:104], v[101:102], v[105:106]
	v_fma_f64 v[103:104], v[99:100], v[97:98], -v[103:104]
	v_mul_f64 v[99:100], v[99:100], v[105:106]
	v_add_f64 v[81:82], v[81:82], -v[103:104]
	v_fma_f64 v[99:100], v[101:102], v[97:98], v[99:100]
	v_add_f64 v[83:84], v[83:84], -v[99:100]
	;; [unrolled: 8-line block ×21, first 2 shown]
	ds_read2_b64 v[99:102], v125 offset0:60 offset1:61
	buffer_load_dword v0, off, s[20:23], 0  ; 4-byte Folded Reload
	buffer_load_dword v1, off, s[20:23], 0 offset:4 ; 4-byte Folded Reload
	buffer_load_dword v2, off, s[20:23], 0 offset:8 ; 4-byte Folded Reload
	;; [unrolled: 1-line block ×3, first 2 shown]
	s_waitcnt lgkmcnt(0)
	v_mul_f64 v[103:104], v[101:102], v[105:106]
	v_fma_f64 v[103:104], v[99:100], v[97:98], -v[103:104]
	v_mul_f64 v[99:100], v[99:100], v[105:106]
	v_fma_f64 v[99:100], v[101:102], v[97:98], v[99:100]
	s_waitcnt vmcnt(2)
	v_add_f64 v[0:1], v[0:1], -v[103:104]
	s_waitcnt vmcnt(0)
	v_add_f64 v[2:3], v[2:3], -v[99:100]
	buffer_store_dword v0, off, s[20:23], 0 ; 4-byte Folded Spill
	s_nop 0
	buffer_store_dword v1, off, s[20:23], 0 offset:4 ; 4-byte Folded Spill
	buffer_store_dword v2, off, s[20:23], 0 offset:8 ; 4-byte Folded Spill
	;; [unrolled: 1-line block ×3, first 2 shown]
	ds_read2_b64 v[99:102], v125 offset0:62 offset1:63
	s_waitcnt lgkmcnt(0)
	v_mul_f64 v[103:104], v[101:102], v[105:106]
	v_fma_f64 v[103:104], v[99:100], v[97:98], -v[103:104]
	v_mul_f64 v[99:100], v[99:100], v[105:106]
	v_add_f64 v[109:110], v[109:110], -v[103:104]
	v_fma_f64 v[99:100], v[101:102], v[97:98], v[99:100]
	v_mov_b32_e32 v104, v98
	v_mov_b32_e32 v103, v97
	buffer_store_dword v103, off, s[20:23], 0 offset:48 ; 4-byte Folded Spill
	s_nop 0
	buffer_store_dword v104, off, s[20:23], 0 offset:52 ; 4-byte Folded Spill
	buffer_store_dword v105, off, s[20:23], 0 offset:56 ; 4-byte Folded Spill
	;; [unrolled: 1-line block ×3, first 2 shown]
	v_add_f64 v[111:112], v[111:112], -v[99:100]
.LBB63_55:
	s_or_b64 exec, exec, s[2:3]
	v_cmp_eq_u32_e32 vcc, 6, v126
	s_waitcnt vmcnt(0)
	s_barrier
	s_and_saveexec_b64 s[4:5], vcc
	s_cbranch_execz .LBB63_62
; %bb.56:
	ds_write2_b64 v127, v[93:94], v[95:96] offset1:1
	buffer_load_dword v85, off, s[20:23], 0 offset:32 ; 4-byte Folded Reload
	buffer_load_dword v86, off, s[20:23], 0 offset:36 ; 4-byte Folded Reload
	;; [unrolled: 1-line block ×4, first 2 shown]
	s_waitcnt vmcnt(0)
	ds_write2_b64 v125, v[85:86], v[87:88] offset0:14 offset1:15
	buffer_load_dword v85, off, s[20:23], 0 offset:16 ; 4-byte Folded Reload
	buffer_load_dword v86, off, s[20:23], 0 offset:20 ; 4-byte Folded Reload
	;; [unrolled: 1-line block ×4, first 2 shown]
	s_waitcnt vmcnt(0)
	ds_write2_b64 v125, v[85:86], v[87:88] offset0:16 offset1:17
	ds_write2_b64 v125, v[89:90], v[91:92] offset0:18 offset1:19
	;; [unrolled: 1-line block ×22, first 2 shown]
	buffer_load_dword v0, off, s[20:23], 0  ; 4-byte Folded Reload
	buffer_load_dword v1, off, s[20:23], 0 offset:4 ; 4-byte Folded Reload
	buffer_load_dword v2, off, s[20:23], 0 offset:8 ; 4-byte Folded Reload
	;; [unrolled: 1-line block ×3, first 2 shown]
	s_waitcnt vmcnt(0)
	ds_write2_b64 v125, v[0:1], v[2:3] offset0:60 offset1:61
	ds_write2_b64 v125, v[109:110], v[111:112] offset0:62 offset1:63
	ds_read2_b64 v[97:100], v127 offset1:1
	s_waitcnt lgkmcnt(0)
	v_cmp_neq_f64_e32 vcc, 0, v[97:98]
	v_cmp_neq_f64_e64 s[2:3], 0, v[99:100]
	s_or_b64 s[2:3], vcc, s[2:3]
	s_and_b64 exec, exec, s[2:3]
	s_cbranch_execz .LBB63_62
; %bb.57:
	v_cmp_ngt_f64_e64 s[2:3], |v[97:98]|, |v[99:100]|
                                        ; implicit-def: $vgpr101_vgpr102
	s_and_saveexec_b64 s[6:7], s[2:3]
	s_xor_b64 s[2:3], exec, s[6:7]
                                        ; implicit-def: $vgpr103_vgpr104
	s_cbranch_execz .LBB63_59
; %bb.58:
	v_div_scale_f64 v[101:102], s[6:7], v[99:100], v[99:100], v[97:98]
	v_rcp_f64_e32 v[103:104], v[101:102]
	v_fma_f64 v[105:106], -v[101:102], v[103:104], 1.0
	v_fma_f64 v[103:104], v[103:104], v[105:106], v[103:104]
	v_div_scale_f64 v[105:106], vcc, v[97:98], v[99:100], v[97:98]
	v_fma_f64 v[107:108], -v[101:102], v[103:104], 1.0
	v_fma_f64 v[103:104], v[103:104], v[107:108], v[103:104]
	v_mul_f64 v[107:108], v[105:106], v[103:104]
	v_fma_f64 v[101:102], -v[101:102], v[107:108], v[105:106]
	v_div_fmas_f64 v[101:102], v[101:102], v[103:104], v[107:108]
	v_div_fixup_f64 v[101:102], v[101:102], v[99:100], v[97:98]
	v_fma_f64 v[97:98], v[97:98], v[101:102], v[99:100]
	v_div_scale_f64 v[99:100], s[6:7], v[97:98], v[97:98], 1.0
	v_div_scale_f64 v[107:108], vcc, 1.0, v[97:98], 1.0
	v_rcp_f64_e32 v[103:104], v[99:100]
	v_fma_f64 v[105:106], -v[99:100], v[103:104], 1.0
	v_fma_f64 v[103:104], v[103:104], v[105:106], v[103:104]
	v_fma_f64 v[105:106], -v[99:100], v[103:104], 1.0
	v_fma_f64 v[103:104], v[103:104], v[105:106], v[103:104]
	v_mul_f64 v[105:106], v[107:108], v[103:104]
	v_fma_f64 v[99:100], -v[99:100], v[105:106], v[107:108]
	v_div_fmas_f64 v[99:100], v[99:100], v[103:104], v[105:106]
	v_div_fixup_f64 v[103:104], v[99:100], v[97:98], 1.0
                                        ; implicit-def: $vgpr97_vgpr98
	v_mul_f64 v[101:102], v[101:102], v[103:104]
	v_xor_b32_e32 v104, 0x80000000, v104
.LBB63_59:
	s_andn2_saveexec_b64 s[2:3], s[2:3]
	s_cbranch_execz .LBB63_61
; %bb.60:
	v_div_scale_f64 v[101:102], s[6:7], v[97:98], v[97:98], v[99:100]
	v_rcp_f64_e32 v[103:104], v[101:102]
	v_fma_f64 v[105:106], -v[101:102], v[103:104], 1.0
	v_fma_f64 v[103:104], v[103:104], v[105:106], v[103:104]
	v_div_scale_f64 v[105:106], vcc, v[99:100], v[97:98], v[99:100]
	v_fma_f64 v[107:108], -v[101:102], v[103:104], 1.0
	v_fma_f64 v[103:104], v[103:104], v[107:108], v[103:104]
	v_mul_f64 v[107:108], v[105:106], v[103:104]
	v_fma_f64 v[101:102], -v[101:102], v[107:108], v[105:106]
	v_div_fmas_f64 v[101:102], v[101:102], v[103:104], v[107:108]
	v_div_fixup_f64 v[103:104], v[101:102], v[97:98], v[99:100]
	v_fma_f64 v[97:98], v[99:100], v[103:104], v[97:98]
	v_div_scale_f64 v[99:100], s[6:7], v[97:98], v[97:98], 1.0
	v_div_scale_f64 v[107:108], vcc, 1.0, v[97:98], 1.0
	v_rcp_f64_e32 v[101:102], v[99:100]
	v_fma_f64 v[105:106], -v[99:100], v[101:102], 1.0
	v_fma_f64 v[101:102], v[101:102], v[105:106], v[101:102]
	v_fma_f64 v[105:106], -v[99:100], v[101:102], 1.0
	v_fma_f64 v[101:102], v[101:102], v[105:106], v[101:102]
	v_mul_f64 v[105:106], v[107:108], v[101:102]
	v_fma_f64 v[99:100], -v[99:100], v[105:106], v[107:108]
	v_div_fmas_f64 v[99:100], v[99:100], v[101:102], v[105:106]
	v_div_fixup_f64 v[101:102], v[99:100], v[97:98], 1.0
	v_mul_f64 v[103:104], v[103:104], -v[101:102]
.LBB63_61:
	s_or_b64 exec, exec, s[2:3]
	ds_write2_b64 v127, v[101:102], v[103:104] offset1:1
.LBB63_62:
	s_or_b64 exec, exec, s[4:5]
	s_waitcnt lgkmcnt(0)
	s_barrier
	ds_read2_b64 v[97:100], v127 offset1:1
	v_cmp_lt_u32_e32 vcc, 6, v126
	s_waitcnt lgkmcnt(0)
	buffer_store_dword v97, off, s[20:23], 0 offset:560 ; 4-byte Folded Spill
	s_nop 0
	buffer_store_dword v98, off, s[20:23], 0 offset:564 ; 4-byte Folded Spill
	buffer_store_dword v99, off, s[20:23], 0 offset:568 ; 4-byte Folded Spill
	;; [unrolled: 1-line block ×3, first 2 shown]
	s_and_saveexec_b64 s[2:3], vcc
	s_cbranch_execz .LBB63_64
; %bb.63:
	buffer_load_dword v99, off, s[20:23], 0 offset:560 ; 4-byte Folded Reload
	buffer_load_dword v100, off, s[20:23], 0 offset:564 ; 4-byte Folded Reload
	;; [unrolled: 1-line block ×4, first 2 shown]
	s_waitcnt vmcnt(0)
	v_mul_f64 v[97:98], v[101:102], v[95:96]
	v_fma_f64 v[97:98], v[99:100], v[93:94], -v[97:98]
	v_mul_f64 v[99:100], v[99:100], v[95:96]
	v_fma_f64 v[95:96], v[101:102], v[93:94], v[99:100]
	ds_read2_b64 v[99:102], v125 offset0:14 offset1:15
	buffer_load_dword v85, off, s[20:23], 0 offset:32 ; 4-byte Folded Reload
	buffer_load_dword v86, off, s[20:23], 0 offset:36 ; 4-byte Folded Reload
	;; [unrolled: 1-line block ×4, first 2 shown]
	v_mov_b32_e32 v93, v97
	v_mov_b32_e32 v94, v98
	s_waitcnt lgkmcnt(0)
	v_mul_f64 v[103:104], v[101:102], v[95:96]
	v_fma_f64 v[103:104], v[99:100], v[97:98], -v[103:104]
	v_mul_f64 v[99:100], v[99:100], v[95:96]
	v_fma_f64 v[99:100], v[101:102], v[97:98], v[99:100]
	s_waitcnt vmcnt(2)
	v_add_f64 v[85:86], v[85:86], -v[103:104]
	s_waitcnt vmcnt(0)
	v_add_f64 v[87:88], v[87:88], -v[99:100]
	buffer_store_dword v85, off, s[20:23], 0 offset:32 ; 4-byte Folded Spill
	s_nop 0
	buffer_store_dword v86, off, s[20:23], 0 offset:36 ; 4-byte Folded Spill
	buffer_store_dword v87, off, s[20:23], 0 offset:40 ; 4-byte Folded Spill
	;; [unrolled: 1-line block ×3, first 2 shown]
	ds_read2_b64 v[99:102], v125 offset0:16 offset1:17
	buffer_load_dword v85, off, s[20:23], 0 offset:16 ; 4-byte Folded Reload
	buffer_load_dword v86, off, s[20:23], 0 offset:20 ; 4-byte Folded Reload
	;; [unrolled: 1-line block ×4, first 2 shown]
	s_waitcnt lgkmcnt(0)
	v_mul_f64 v[103:104], v[101:102], v[95:96]
	v_fma_f64 v[103:104], v[99:100], v[97:98], -v[103:104]
	v_mul_f64 v[99:100], v[99:100], v[95:96]
	v_fma_f64 v[99:100], v[101:102], v[97:98], v[99:100]
	s_waitcnt vmcnt(2)
	v_add_f64 v[85:86], v[85:86], -v[103:104]
	s_waitcnt vmcnt(0)
	v_add_f64 v[87:88], v[87:88], -v[99:100]
	buffer_store_dword v85, off, s[20:23], 0 offset:16 ; 4-byte Folded Spill
	s_nop 0
	buffer_store_dword v86, off, s[20:23], 0 offset:20 ; 4-byte Folded Spill
	buffer_store_dword v87, off, s[20:23], 0 offset:24 ; 4-byte Folded Spill
	;; [unrolled: 1-line block ×3, first 2 shown]
	ds_read2_b64 v[99:102], v125 offset0:18 offset1:19
	s_waitcnt lgkmcnt(0)
	v_mul_f64 v[103:104], v[101:102], v[95:96]
	v_fma_f64 v[103:104], v[99:100], v[97:98], -v[103:104]
	v_mul_f64 v[99:100], v[99:100], v[95:96]
	v_add_f64 v[89:90], v[89:90], -v[103:104]
	v_fma_f64 v[99:100], v[101:102], v[97:98], v[99:100]
	v_add_f64 v[91:92], v[91:92], -v[99:100]
	ds_read2_b64 v[99:102], v125 offset0:20 offset1:21
	s_waitcnt lgkmcnt(0)
	v_mul_f64 v[103:104], v[101:102], v[95:96]
	v_fma_f64 v[103:104], v[99:100], v[97:98], -v[103:104]
	v_mul_f64 v[99:100], v[99:100], v[95:96]
	v_add_f64 v[81:82], v[81:82], -v[103:104]
	v_fma_f64 v[99:100], v[101:102], v[97:98], v[99:100]
	v_add_f64 v[83:84], v[83:84], -v[99:100]
	;; [unrolled: 8-line block ×21, first 2 shown]
	ds_read2_b64 v[99:102], v125 offset0:60 offset1:61
	buffer_load_dword v0, off, s[20:23], 0  ; 4-byte Folded Reload
	buffer_load_dword v1, off, s[20:23], 0 offset:4 ; 4-byte Folded Reload
	buffer_load_dword v2, off, s[20:23], 0 offset:8 ; 4-byte Folded Reload
	;; [unrolled: 1-line block ×3, first 2 shown]
	s_waitcnt lgkmcnt(0)
	v_mul_f64 v[103:104], v[101:102], v[95:96]
	v_fma_f64 v[103:104], v[99:100], v[97:98], -v[103:104]
	v_mul_f64 v[99:100], v[99:100], v[95:96]
	v_fma_f64 v[99:100], v[101:102], v[97:98], v[99:100]
	s_waitcnt vmcnt(2)
	v_add_f64 v[0:1], v[0:1], -v[103:104]
	s_waitcnt vmcnt(0)
	v_add_f64 v[2:3], v[2:3], -v[99:100]
	buffer_store_dword v0, off, s[20:23], 0 ; 4-byte Folded Spill
	s_nop 0
	buffer_store_dword v1, off, s[20:23], 0 offset:4 ; 4-byte Folded Spill
	buffer_store_dword v2, off, s[20:23], 0 offset:8 ; 4-byte Folded Spill
	;; [unrolled: 1-line block ×3, first 2 shown]
	ds_read2_b64 v[99:102], v125 offset0:62 offset1:63
	s_waitcnt lgkmcnt(0)
	v_mul_f64 v[103:104], v[101:102], v[95:96]
	v_fma_f64 v[103:104], v[99:100], v[97:98], -v[103:104]
	v_mul_f64 v[99:100], v[99:100], v[95:96]
	v_add_f64 v[109:110], v[109:110], -v[103:104]
	v_fma_f64 v[99:100], v[101:102], v[97:98], v[99:100]
	v_add_f64 v[111:112], v[111:112], -v[99:100]
.LBB63_64:
	s_or_b64 exec, exec, s[2:3]
	v_cmp_eq_u32_e32 vcc, 7, v126
	s_waitcnt vmcnt(0)
	s_barrier
	s_and_saveexec_b64 s[4:5], vcc
	s_cbranch_execz .LBB63_71
; %bb.65:
	buffer_load_dword v85, off, s[20:23], 0 offset:32 ; 4-byte Folded Reload
	buffer_load_dword v86, off, s[20:23], 0 offset:36 ; 4-byte Folded Reload
	;; [unrolled: 1-line block ×4, first 2 shown]
	s_waitcnt vmcnt(0)
	ds_write2_b64 v127, v[85:86], v[87:88] offset1:1
	buffer_load_dword v85, off, s[20:23], 0 offset:16 ; 4-byte Folded Reload
	buffer_load_dword v86, off, s[20:23], 0 offset:20 ; 4-byte Folded Reload
	;; [unrolled: 1-line block ×4, first 2 shown]
	s_waitcnt vmcnt(0)
	ds_write2_b64 v125, v[85:86], v[87:88] offset0:16 offset1:17
	ds_write2_b64 v125, v[89:90], v[91:92] offset0:18 offset1:19
	;; [unrolled: 1-line block ×22, first 2 shown]
	buffer_load_dword v0, off, s[20:23], 0  ; 4-byte Folded Reload
	buffer_load_dword v1, off, s[20:23], 0 offset:4 ; 4-byte Folded Reload
	buffer_load_dword v2, off, s[20:23], 0 offset:8 ; 4-byte Folded Reload
	;; [unrolled: 1-line block ×3, first 2 shown]
	s_waitcnt vmcnt(0)
	ds_write2_b64 v125, v[0:1], v[2:3] offset0:60 offset1:61
	ds_write2_b64 v125, v[109:110], v[111:112] offset0:62 offset1:63
	ds_read2_b64 v[97:100], v127 offset1:1
	s_waitcnt lgkmcnt(0)
	v_cmp_neq_f64_e32 vcc, 0, v[97:98]
	v_cmp_neq_f64_e64 s[2:3], 0, v[99:100]
	s_or_b64 s[2:3], vcc, s[2:3]
	s_and_b64 exec, exec, s[2:3]
	s_cbranch_execz .LBB63_71
; %bb.66:
	v_cmp_ngt_f64_e64 s[2:3], |v[97:98]|, |v[99:100]|
                                        ; implicit-def: $vgpr101_vgpr102
	s_and_saveexec_b64 s[6:7], s[2:3]
	s_xor_b64 s[2:3], exec, s[6:7]
                                        ; implicit-def: $vgpr103_vgpr104
	s_cbranch_execz .LBB63_68
; %bb.67:
	v_div_scale_f64 v[101:102], s[6:7], v[99:100], v[99:100], v[97:98]
	v_rcp_f64_e32 v[103:104], v[101:102]
	v_fma_f64 v[105:106], -v[101:102], v[103:104], 1.0
	v_fma_f64 v[103:104], v[103:104], v[105:106], v[103:104]
	v_div_scale_f64 v[105:106], vcc, v[97:98], v[99:100], v[97:98]
	v_fma_f64 v[107:108], -v[101:102], v[103:104], 1.0
	v_fma_f64 v[103:104], v[103:104], v[107:108], v[103:104]
	v_mul_f64 v[107:108], v[105:106], v[103:104]
	v_fma_f64 v[101:102], -v[101:102], v[107:108], v[105:106]
	v_div_fmas_f64 v[101:102], v[101:102], v[103:104], v[107:108]
	v_div_fixup_f64 v[101:102], v[101:102], v[99:100], v[97:98]
	v_fma_f64 v[97:98], v[97:98], v[101:102], v[99:100]
	v_div_scale_f64 v[99:100], s[6:7], v[97:98], v[97:98], 1.0
	v_div_scale_f64 v[107:108], vcc, 1.0, v[97:98], 1.0
	v_rcp_f64_e32 v[103:104], v[99:100]
	v_fma_f64 v[105:106], -v[99:100], v[103:104], 1.0
	v_fma_f64 v[103:104], v[103:104], v[105:106], v[103:104]
	v_fma_f64 v[105:106], -v[99:100], v[103:104], 1.0
	v_fma_f64 v[103:104], v[103:104], v[105:106], v[103:104]
	v_mul_f64 v[105:106], v[107:108], v[103:104]
	v_fma_f64 v[99:100], -v[99:100], v[105:106], v[107:108]
	v_div_fmas_f64 v[99:100], v[99:100], v[103:104], v[105:106]
	v_div_fixup_f64 v[103:104], v[99:100], v[97:98], 1.0
                                        ; implicit-def: $vgpr97_vgpr98
	v_mul_f64 v[101:102], v[101:102], v[103:104]
	v_xor_b32_e32 v104, 0x80000000, v104
.LBB63_68:
	s_andn2_saveexec_b64 s[2:3], s[2:3]
	s_cbranch_execz .LBB63_70
; %bb.69:
	v_div_scale_f64 v[101:102], s[6:7], v[97:98], v[97:98], v[99:100]
	v_rcp_f64_e32 v[103:104], v[101:102]
	v_fma_f64 v[105:106], -v[101:102], v[103:104], 1.0
	v_fma_f64 v[103:104], v[103:104], v[105:106], v[103:104]
	v_div_scale_f64 v[105:106], vcc, v[99:100], v[97:98], v[99:100]
	v_fma_f64 v[107:108], -v[101:102], v[103:104], 1.0
	v_fma_f64 v[103:104], v[103:104], v[107:108], v[103:104]
	v_mul_f64 v[107:108], v[105:106], v[103:104]
	v_fma_f64 v[101:102], -v[101:102], v[107:108], v[105:106]
	v_div_fmas_f64 v[101:102], v[101:102], v[103:104], v[107:108]
	v_div_fixup_f64 v[103:104], v[101:102], v[97:98], v[99:100]
	v_fma_f64 v[97:98], v[99:100], v[103:104], v[97:98]
	v_div_scale_f64 v[99:100], s[6:7], v[97:98], v[97:98], 1.0
	v_div_scale_f64 v[107:108], vcc, 1.0, v[97:98], 1.0
	v_rcp_f64_e32 v[101:102], v[99:100]
	v_fma_f64 v[105:106], -v[99:100], v[101:102], 1.0
	v_fma_f64 v[101:102], v[101:102], v[105:106], v[101:102]
	v_fma_f64 v[105:106], -v[99:100], v[101:102], 1.0
	v_fma_f64 v[101:102], v[101:102], v[105:106], v[101:102]
	v_mul_f64 v[105:106], v[107:108], v[101:102]
	v_fma_f64 v[99:100], -v[99:100], v[105:106], v[107:108]
	v_div_fmas_f64 v[99:100], v[99:100], v[101:102], v[105:106]
	v_div_fixup_f64 v[101:102], v[99:100], v[97:98], 1.0
	v_mul_f64 v[103:104], v[103:104], -v[101:102]
.LBB63_70:
	s_or_b64 exec, exec, s[2:3]
	ds_write2_b64 v127, v[101:102], v[103:104] offset1:1
.LBB63_71:
	s_or_b64 exec, exec, s[4:5]
	s_waitcnt lgkmcnt(0)
	s_barrier
	ds_read2_b64 v[97:100], v127 offset1:1
	v_cmp_lt_u32_e32 vcc, 7, v126
	s_waitcnt lgkmcnt(0)
	buffer_store_dword v97, off, s[20:23], 0 offset:576 ; 4-byte Folded Spill
	s_nop 0
	buffer_store_dword v98, off, s[20:23], 0 offset:580 ; 4-byte Folded Spill
	buffer_store_dword v99, off, s[20:23], 0 offset:584 ; 4-byte Folded Spill
	;; [unrolled: 1-line block ×3, first 2 shown]
	s_mov_b64 s[2:3], exec
	s_and_b64 s[4:5], s[2:3], vcc
	buffer_store_dword v93, off, s[20:23], 0 offset:128 ; 4-byte Folded Spill
	s_nop 0
	buffer_store_dword v94, off, s[20:23], 0 offset:132 ; 4-byte Folded Spill
	buffer_store_dword v95, off, s[20:23], 0 offset:136 ; 4-byte Folded Spill
	;; [unrolled: 1-line block ×3, first 2 shown]
	s_mov_b64 exec, s[4:5]
	s_cbranch_execz .LBB63_73
; %bb.72:
	buffer_load_dword v99, off, s[20:23], 0 offset:576 ; 4-byte Folded Reload
	buffer_load_dword v100, off, s[20:23], 0 offset:580 ; 4-byte Folded Reload
	;; [unrolled: 1-line block ×8, first 2 shown]
	s_waitcnt vmcnt(0)
	v_mul_f64 v[95:96], v[99:100], v[87:88]
	v_mul_f64 v[97:98], v[101:102], v[87:88]
	v_fma_f64 v[87:88], v[101:102], v[85:86], v[95:96]
	v_fma_f64 v[97:98], v[99:100], v[85:86], -v[97:98]
	ds_read2_b64 v[99:102], v125 offset0:16 offset1:17
	s_waitcnt lgkmcnt(0)
	v_mul_f64 v[93:94], v[101:102], v[87:88]
	v_mov_b32_e32 v85, v97
	v_mov_b32_e32 v86, v98
	v_fma_f64 v[93:94], v[99:100], v[97:98], -v[93:94]
	v_mul_f64 v[99:100], v[99:100], v[87:88]
	v_fma_f64 v[99:100], v[101:102], v[97:98], v[99:100]
	buffer_load_dword v101, off, s[20:23], 0 offset:16 ; 4-byte Folded Reload
	buffer_load_dword v102, off, s[20:23], 0 offset:20 ; 4-byte Folded Reload
	;; [unrolled: 1-line block ×4, first 2 shown]
	s_waitcnt vmcnt(2)
	v_add_f64 v[101:102], v[101:102], -v[93:94]
	s_waitcnt vmcnt(0)
	v_add_f64 v[103:104], v[103:104], -v[99:100]
	buffer_store_dword v101, off, s[20:23], 0 offset:16 ; 4-byte Folded Spill
	s_nop 0
	buffer_store_dword v102, off, s[20:23], 0 offset:20 ; 4-byte Folded Spill
	buffer_store_dword v103, off, s[20:23], 0 offset:24 ; 4-byte Folded Spill
	;; [unrolled: 1-line block ×3, first 2 shown]
	ds_read2_b64 v[99:102], v125 offset0:18 offset1:19
	s_waitcnt lgkmcnt(0)
	v_mul_f64 v[93:94], v[101:102], v[87:88]
	v_fma_f64 v[93:94], v[99:100], v[97:98], -v[93:94]
	v_mul_f64 v[99:100], v[99:100], v[87:88]
	v_add_f64 v[89:90], v[89:90], -v[93:94]
	v_fma_f64 v[99:100], v[101:102], v[97:98], v[99:100]
	v_add_f64 v[91:92], v[91:92], -v[99:100]
	ds_read2_b64 v[99:102], v125 offset0:20 offset1:21
	s_waitcnt lgkmcnt(0)
	v_mul_f64 v[93:94], v[101:102], v[87:88]
	v_fma_f64 v[93:94], v[99:100], v[97:98], -v[93:94]
	v_mul_f64 v[99:100], v[99:100], v[87:88]
	v_add_f64 v[81:82], v[81:82], -v[93:94]
	v_fma_f64 v[99:100], v[101:102], v[97:98], v[99:100]
	v_add_f64 v[83:84], v[83:84], -v[99:100]
	;; [unrolled: 8-line block ×21, first 2 shown]
	ds_read2_b64 v[99:102], v125 offset0:60 offset1:61
	buffer_load_dword v0, off, s[20:23], 0  ; 4-byte Folded Reload
	buffer_load_dword v1, off, s[20:23], 0 offset:4 ; 4-byte Folded Reload
	buffer_load_dword v2, off, s[20:23], 0 offset:8 ; 4-byte Folded Reload
	;; [unrolled: 1-line block ×3, first 2 shown]
	s_waitcnt lgkmcnt(0)
	v_mul_f64 v[93:94], v[101:102], v[87:88]
	v_fma_f64 v[93:94], v[99:100], v[97:98], -v[93:94]
	v_mul_f64 v[99:100], v[99:100], v[87:88]
	v_fma_f64 v[99:100], v[101:102], v[97:98], v[99:100]
	s_waitcnt vmcnt(2)
	v_add_f64 v[0:1], v[0:1], -v[93:94]
	s_waitcnt vmcnt(0)
	v_add_f64 v[2:3], v[2:3], -v[99:100]
	buffer_store_dword v0, off, s[20:23], 0 ; 4-byte Folded Spill
	s_nop 0
	buffer_store_dword v1, off, s[20:23], 0 offset:4 ; 4-byte Folded Spill
	buffer_store_dword v2, off, s[20:23], 0 offset:8 ; 4-byte Folded Spill
	;; [unrolled: 1-line block ×3, first 2 shown]
	ds_read2_b64 v[99:102], v125 offset0:62 offset1:63
	s_waitcnt lgkmcnt(0)
	v_mul_f64 v[93:94], v[101:102], v[87:88]
	v_fma_f64 v[93:94], v[99:100], v[97:98], -v[93:94]
	v_mul_f64 v[99:100], v[99:100], v[87:88]
	v_add_f64 v[109:110], v[109:110], -v[93:94]
	buffer_load_dword v93, off, s[20:23], 0 offset:128 ; 4-byte Folded Reload
	buffer_load_dword v94, off, s[20:23], 0 offset:132 ; 4-byte Folded Reload
	buffer_load_dword v95, off, s[20:23], 0 offset:136 ; 4-byte Folded Reload
	buffer_load_dword v96, off, s[20:23], 0 offset:140 ; 4-byte Folded Reload
	v_fma_f64 v[99:100], v[101:102], v[97:98], v[99:100]
	buffer_store_dword v85, off, s[20:23], 0 offset:32 ; 4-byte Folded Spill
	s_nop 0
	buffer_store_dword v86, off, s[20:23], 0 offset:36 ; 4-byte Folded Spill
	buffer_store_dword v87, off, s[20:23], 0 offset:40 ; 4-byte Folded Spill
	;; [unrolled: 1-line block ×3, first 2 shown]
	v_add_f64 v[111:112], v[111:112], -v[99:100]
.LBB63_73:
	s_or_b64 exec, exec, s[2:3]
	v_cmp_eq_u32_e32 vcc, 8, v126
	s_waitcnt vmcnt(0)
	s_barrier
	s_and_saveexec_b64 s[4:5], vcc
	s_cbranch_execz .LBB63_80
; %bb.74:
	buffer_load_dword v85, off, s[20:23], 0 offset:16 ; 4-byte Folded Reload
	buffer_load_dword v86, off, s[20:23], 0 offset:20 ; 4-byte Folded Reload
	;; [unrolled: 1-line block ×4, first 2 shown]
	s_waitcnt vmcnt(0)
	ds_write2_b64 v127, v[85:86], v[87:88] offset1:1
	ds_write2_b64 v125, v[89:90], v[91:92] offset0:18 offset1:19
	ds_write2_b64 v125, v[81:82], v[83:84] offset0:20 offset1:21
	;; [unrolled: 1-line block ×21, first 2 shown]
	buffer_load_dword v0, off, s[20:23], 0  ; 4-byte Folded Reload
	buffer_load_dword v1, off, s[20:23], 0 offset:4 ; 4-byte Folded Reload
	buffer_load_dword v2, off, s[20:23], 0 offset:8 ; 4-byte Folded Reload
	;; [unrolled: 1-line block ×3, first 2 shown]
	s_waitcnt vmcnt(0)
	ds_write2_b64 v125, v[0:1], v[2:3] offset0:60 offset1:61
	ds_write2_b64 v125, v[109:110], v[111:112] offset0:62 offset1:63
	ds_read2_b64 v[97:100], v127 offset1:1
	s_waitcnt lgkmcnt(0)
	v_cmp_neq_f64_e32 vcc, 0, v[97:98]
	v_cmp_neq_f64_e64 s[2:3], 0, v[99:100]
	s_or_b64 s[2:3], vcc, s[2:3]
	s_and_b64 exec, exec, s[2:3]
	s_cbranch_execz .LBB63_80
; %bb.75:
	v_cmp_ngt_f64_e64 s[2:3], |v[97:98]|, |v[99:100]|
                                        ; implicit-def: $vgpr101_vgpr102
	s_and_saveexec_b64 s[6:7], s[2:3]
	s_xor_b64 s[2:3], exec, s[6:7]
                                        ; implicit-def: $vgpr103_vgpr104
	s_cbranch_execz .LBB63_77
; %bb.76:
	v_div_scale_f64 v[101:102], s[6:7], v[99:100], v[99:100], v[97:98]
	v_rcp_f64_e32 v[103:104], v[101:102]
	v_fma_f64 v[105:106], -v[101:102], v[103:104], 1.0
	v_fma_f64 v[103:104], v[103:104], v[105:106], v[103:104]
	v_div_scale_f64 v[105:106], vcc, v[97:98], v[99:100], v[97:98]
	v_fma_f64 v[107:108], -v[101:102], v[103:104], 1.0
	v_fma_f64 v[103:104], v[103:104], v[107:108], v[103:104]
	v_mul_f64 v[107:108], v[105:106], v[103:104]
	v_fma_f64 v[101:102], -v[101:102], v[107:108], v[105:106]
	v_div_fmas_f64 v[101:102], v[101:102], v[103:104], v[107:108]
	v_div_fixup_f64 v[101:102], v[101:102], v[99:100], v[97:98]
	v_fma_f64 v[97:98], v[97:98], v[101:102], v[99:100]
	v_div_scale_f64 v[99:100], s[6:7], v[97:98], v[97:98], 1.0
	v_div_scale_f64 v[107:108], vcc, 1.0, v[97:98], 1.0
	v_rcp_f64_e32 v[103:104], v[99:100]
	v_fma_f64 v[105:106], -v[99:100], v[103:104], 1.0
	v_fma_f64 v[103:104], v[103:104], v[105:106], v[103:104]
	v_fma_f64 v[105:106], -v[99:100], v[103:104], 1.0
	v_fma_f64 v[103:104], v[103:104], v[105:106], v[103:104]
	v_mul_f64 v[105:106], v[107:108], v[103:104]
	v_fma_f64 v[99:100], -v[99:100], v[105:106], v[107:108]
	v_div_fmas_f64 v[99:100], v[99:100], v[103:104], v[105:106]
	v_div_fixup_f64 v[103:104], v[99:100], v[97:98], 1.0
                                        ; implicit-def: $vgpr97_vgpr98
	v_mul_f64 v[101:102], v[101:102], v[103:104]
	v_xor_b32_e32 v104, 0x80000000, v104
.LBB63_77:
	s_andn2_saveexec_b64 s[2:3], s[2:3]
	s_cbranch_execz .LBB63_79
; %bb.78:
	v_div_scale_f64 v[101:102], s[6:7], v[97:98], v[97:98], v[99:100]
	v_rcp_f64_e32 v[103:104], v[101:102]
	v_fma_f64 v[105:106], -v[101:102], v[103:104], 1.0
	v_fma_f64 v[103:104], v[103:104], v[105:106], v[103:104]
	v_div_scale_f64 v[105:106], vcc, v[99:100], v[97:98], v[99:100]
	v_fma_f64 v[107:108], -v[101:102], v[103:104], 1.0
	v_fma_f64 v[103:104], v[103:104], v[107:108], v[103:104]
	v_mul_f64 v[107:108], v[105:106], v[103:104]
	v_fma_f64 v[101:102], -v[101:102], v[107:108], v[105:106]
	v_div_fmas_f64 v[101:102], v[101:102], v[103:104], v[107:108]
	v_div_fixup_f64 v[103:104], v[101:102], v[97:98], v[99:100]
	v_fma_f64 v[97:98], v[99:100], v[103:104], v[97:98]
	v_div_scale_f64 v[99:100], s[6:7], v[97:98], v[97:98], 1.0
	v_div_scale_f64 v[107:108], vcc, 1.0, v[97:98], 1.0
	v_rcp_f64_e32 v[101:102], v[99:100]
	v_fma_f64 v[105:106], -v[99:100], v[101:102], 1.0
	v_fma_f64 v[101:102], v[101:102], v[105:106], v[101:102]
	v_fma_f64 v[105:106], -v[99:100], v[101:102], 1.0
	v_fma_f64 v[101:102], v[101:102], v[105:106], v[101:102]
	v_mul_f64 v[105:106], v[107:108], v[101:102]
	v_fma_f64 v[99:100], -v[99:100], v[105:106], v[107:108]
	v_div_fmas_f64 v[99:100], v[99:100], v[101:102], v[105:106]
	v_div_fixup_f64 v[101:102], v[99:100], v[97:98], 1.0
	v_mul_f64 v[103:104], v[103:104], -v[101:102]
.LBB63_79:
	s_or_b64 exec, exec, s[2:3]
	ds_write2_b64 v127, v[101:102], v[103:104] offset1:1
.LBB63_80:
	s_or_b64 exec, exec, s[4:5]
	s_waitcnt lgkmcnt(0)
	s_barrier
	ds_read2_b64 v[97:100], v127 offset1:1
	v_cmp_lt_u32_e32 vcc, 8, v126
	s_waitcnt lgkmcnt(0)
	buffer_store_dword v97, off, s[20:23], 0 offset:592 ; 4-byte Folded Spill
	s_nop 0
	buffer_store_dword v98, off, s[20:23], 0 offset:596 ; 4-byte Folded Spill
	buffer_store_dword v99, off, s[20:23], 0 offset:600 ; 4-byte Folded Spill
	;; [unrolled: 1-line block ×3, first 2 shown]
	s_and_saveexec_b64 s[2:3], vcc
	s_cbranch_execz .LBB63_82
; %bb.81:
	buffer_load_dword v99, off, s[20:23], 0 offset:592 ; 4-byte Folded Reload
	buffer_load_dword v100, off, s[20:23], 0 offset:596 ; 4-byte Folded Reload
	;; [unrolled: 1-line block ×8, first 2 shown]
	v_mov_b32_e32 v96, v92
	v_mov_b32_e32 v95, v91
	v_mov_b32_e32 v94, v90
	v_mov_b32_e32 v93, v89
	s_waitcnt vmcnt(0)
	v_mul_f64 v[91:92], v[99:100], v[87:88]
	v_mul_f64 v[97:98], v[101:102], v[87:88]
	v_fma_f64 v[87:88], v[101:102], v[85:86], v[91:92]
	v_fma_f64 v[97:98], v[99:100], v[85:86], -v[97:98]
	ds_read2_b64 v[99:102], v125 offset0:18 offset1:19
	s_waitcnt lgkmcnt(0)
	v_mul_f64 v[89:90], v[101:102], v[87:88]
	v_mov_b32_e32 v85, v97
	v_mov_b32_e32 v86, v98
	v_fma_f64 v[89:90], v[99:100], v[97:98], -v[89:90]
	v_mul_f64 v[99:100], v[99:100], v[87:88]
	v_add_f64 v[93:94], v[93:94], -v[89:90]
	v_fma_f64 v[99:100], v[101:102], v[97:98], v[99:100]
	v_add_f64 v[95:96], v[95:96], -v[99:100]
	ds_read2_b64 v[99:102], v125 offset0:20 offset1:21
	s_waitcnt lgkmcnt(0)
	v_mul_f64 v[89:90], v[101:102], v[87:88]
	v_fma_f64 v[89:90], v[99:100], v[97:98], -v[89:90]
	v_mul_f64 v[99:100], v[99:100], v[87:88]
	v_add_f64 v[81:82], v[81:82], -v[89:90]
	v_fma_f64 v[99:100], v[101:102], v[97:98], v[99:100]
	v_add_f64 v[83:84], v[83:84], -v[99:100]
	ds_read2_b64 v[99:102], v125 offset0:22 offset1:23
	s_waitcnt lgkmcnt(0)
	v_mul_f64 v[89:90], v[101:102], v[87:88]
	;; [unrolled: 8-line block ×20, first 2 shown]
	v_fma_f64 v[89:90], v[99:100], v[97:98], -v[89:90]
	v_mul_f64 v[99:100], v[99:100], v[87:88]
	v_add_f64 v[5:6], v[5:6], -v[89:90]
	v_fma_f64 v[99:100], v[101:102], v[97:98], v[99:100]
	v_add_f64 v[7:8], v[7:8], -v[99:100]
	ds_read2_b64 v[99:102], v125 offset0:60 offset1:61
	buffer_load_dword v0, off, s[20:23], 0  ; 4-byte Folded Reload
	buffer_load_dword v1, off, s[20:23], 0 offset:4 ; 4-byte Folded Reload
	buffer_load_dword v2, off, s[20:23], 0 offset:8 ; 4-byte Folded Reload
	buffer_load_dword v3, off, s[20:23], 0 offset:12 ; 4-byte Folded Reload
	s_waitcnt lgkmcnt(0)
	v_mul_f64 v[89:90], v[101:102], v[87:88]
	v_fma_f64 v[89:90], v[99:100], v[97:98], -v[89:90]
	v_mul_f64 v[99:100], v[99:100], v[87:88]
	v_fma_f64 v[99:100], v[101:102], v[97:98], v[99:100]
	s_waitcnt vmcnt(2)
	v_add_f64 v[0:1], v[0:1], -v[89:90]
	s_waitcnt vmcnt(0)
	v_add_f64 v[2:3], v[2:3], -v[99:100]
	buffer_store_dword v0, off, s[20:23], 0 ; 4-byte Folded Spill
	s_nop 0
	buffer_store_dword v1, off, s[20:23], 0 offset:4 ; 4-byte Folded Spill
	buffer_store_dword v2, off, s[20:23], 0 offset:8 ; 4-byte Folded Spill
	;; [unrolled: 1-line block ×3, first 2 shown]
	ds_read2_b64 v[99:102], v125 offset0:62 offset1:63
	s_waitcnt lgkmcnt(0)
	v_mul_f64 v[89:90], v[101:102], v[87:88]
	v_fma_f64 v[89:90], v[99:100], v[97:98], -v[89:90]
	v_mul_f64 v[99:100], v[99:100], v[87:88]
	v_add_f64 v[109:110], v[109:110], -v[89:90]
	v_mov_b32_e32 v89, v93
	v_mov_b32_e32 v90, v94
	;; [unrolled: 1-line block ×4, first 2 shown]
	buffer_load_dword v93, off, s[20:23], 0 offset:128 ; 4-byte Folded Reload
	buffer_load_dword v94, off, s[20:23], 0 offset:132 ; 4-byte Folded Reload
	;; [unrolled: 1-line block ×4, first 2 shown]
	v_fma_f64 v[99:100], v[101:102], v[97:98], v[99:100]
	buffer_store_dword v85, off, s[20:23], 0 offset:16 ; 4-byte Folded Spill
	s_nop 0
	buffer_store_dword v86, off, s[20:23], 0 offset:20 ; 4-byte Folded Spill
	buffer_store_dword v87, off, s[20:23], 0 offset:24 ; 4-byte Folded Spill
	;; [unrolled: 1-line block ×3, first 2 shown]
	v_add_f64 v[111:112], v[111:112], -v[99:100]
.LBB63_82:
	s_or_b64 exec, exec, s[2:3]
	v_cmp_eq_u32_e32 vcc, 9, v126
	s_waitcnt vmcnt(0)
	s_barrier
	s_and_saveexec_b64 s[4:5], vcc
	s_cbranch_execz .LBB63_89
; %bb.83:
	ds_write2_b64 v127, v[89:90], v[91:92] offset1:1
	ds_write2_b64 v125, v[81:82], v[83:84] offset0:20 offset1:21
	ds_write2_b64 v125, v[77:78], v[79:80] offset0:22 offset1:23
	;; [unrolled: 1-line block ×20, first 2 shown]
	buffer_load_dword v0, off, s[20:23], 0  ; 4-byte Folded Reload
	buffer_load_dword v1, off, s[20:23], 0 offset:4 ; 4-byte Folded Reload
	buffer_load_dword v2, off, s[20:23], 0 offset:8 ; 4-byte Folded Reload
	buffer_load_dword v3, off, s[20:23], 0 offset:12 ; 4-byte Folded Reload
	s_waitcnt vmcnt(0)
	ds_write2_b64 v125, v[0:1], v[2:3] offset0:60 offset1:61
	ds_write2_b64 v125, v[109:110], v[111:112] offset0:62 offset1:63
	ds_read2_b64 v[97:100], v127 offset1:1
	s_waitcnt lgkmcnt(0)
	v_cmp_neq_f64_e32 vcc, 0, v[97:98]
	v_cmp_neq_f64_e64 s[2:3], 0, v[99:100]
	s_or_b64 s[2:3], vcc, s[2:3]
	s_and_b64 exec, exec, s[2:3]
	s_cbranch_execz .LBB63_89
; %bb.84:
	v_cmp_ngt_f64_e64 s[2:3], |v[97:98]|, |v[99:100]|
                                        ; implicit-def: $vgpr101_vgpr102
	s_and_saveexec_b64 s[6:7], s[2:3]
	s_xor_b64 s[2:3], exec, s[6:7]
                                        ; implicit-def: $vgpr103_vgpr104
	s_cbranch_execz .LBB63_86
; %bb.85:
	v_div_scale_f64 v[101:102], s[6:7], v[99:100], v[99:100], v[97:98]
	v_rcp_f64_e32 v[103:104], v[101:102]
	v_fma_f64 v[105:106], -v[101:102], v[103:104], 1.0
	v_fma_f64 v[103:104], v[103:104], v[105:106], v[103:104]
	v_div_scale_f64 v[105:106], vcc, v[97:98], v[99:100], v[97:98]
	v_fma_f64 v[107:108], -v[101:102], v[103:104], 1.0
	v_fma_f64 v[103:104], v[103:104], v[107:108], v[103:104]
	v_mul_f64 v[107:108], v[105:106], v[103:104]
	v_fma_f64 v[101:102], -v[101:102], v[107:108], v[105:106]
	v_div_fmas_f64 v[101:102], v[101:102], v[103:104], v[107:108]
	v_div_fixup_f64 v[101:102], v[101:102], v[99:100], v[97:98]
	v_fma_f64 v[97:98], v[97:98], v[101:102], v[99:100]
	v_div_scale_f64 v[99:100], s[6:7], v[97:98], v[97:98], 1.0
	v_div_scale_f64 v[107:108], vcc, 1.0, v[97:98], 1.0
	v_rcp_f64_e32 v[103:104], v[99:100]
	v_fma_f64 v[105:106], -v[99:100], v[103:104], 1.0
	v_fma_f64 v[103:104], v[103:104], v[105:106], v[103:104]
	v_fma_f64 v[105:106], -v[99:100], v[103:104], 1.0
	v_fma_f64 v[103:104], v[103:104], v[105:106], v[103:104]
	v_mul_f64 v[105:106], v[107:108], v[103:104]
	v_fma_f64 v[99:100], -v[99:100], v[105:106], v[107:108]
	v_div_fmas_f64 v[99:100], v[99:100], v[103:104], v[105:106]
	v_div_fixup_f64 v[103:104], v[99:100], v[97:98], 1.0
                                        ; implicit-def: $vgpr97_vgpr98
	v_mul_f64 v[101:102], v[101:102], v[103:104]
	v_xor_b32_e32 v104, 0x80000000, v104
.LBB63_86:
	s_andn2_saveexec_b64 s[2:3], s[2:3]
	s_cbranch_execz .LBB63_88
; %bb.87:
	v_div_scale_f64 v[101:102], s[6:7], v[97:98], v[97:98], v[99:100]
	v_rcp_f64_e32 v[103:104], v[101:102]
	v_fma_f64 v[105:106], -v[101:102], v[103:104], 1.0
	v_fma_f64 v[103:104], v[103:104], v[105:106], v[103:104]
	v_div_scale_f64 v[105:106], vcc, v[99:100], v[97:98], v[99:100]
	v_fma_f64 v[107:108], -v[101:102], v[103:104], 1.0
	v_fma_f64 v[103:104], v[103:104], v[107:108], v[103:104]
	v_mul_f64 v[107:108], v[105:106], v[103:104]
	v_fma_f64 v[101:102], -v[101:102], v[107:108], v[105:106]
	v_div_fmas_f64 v[101:102], v[101:102], v[103:104], v[107:108]
	v_div_fixup_f64 v[103:104], v[101:102], v[97:98], v[99:100]
	v_fma_f64 v[97:98], v[99:100], v[103:104], v[97:98]
	v_div_scale_f64 v[99:100], s[6:7], v[97:98], v[97:98], 1.0
	v_div_scale_f64 v[107:108], vcc, 1.0, v[97:98], 1.0
	v_rcp_f64_e32 v[101:102], v[99:100]
	v_fma_f64 v[105:106], -v[99:100], v[101:102], 1.0
	v_fma_f64 v[101:102], v[101:102], v[105:106], v[101:102]
	v_fma_f64 v[105:106], -v[99:100], v[101:102], 1.0
	v_fma_f64 v[101:102], v[101:102], v[105:106], v[101:102]
	v_mul_f64 v[105:106], v[107:108], v[101:102]
	v_fma_f64 v[99:100], -v[99:100], v[105:106], v[107:108]
	v_div_fmas_f64 v[99:100], v[99:100], v[101:102], v[105:106]
	v_div_fixup_f64 v[101:102], v[99:100], v[97:98], 1.0
	v_mul_f64 v[103:104], v[103:104], -v[101:102]
.LBB63_88:
	s_or_b64 exec, exec, s[2:3]
	ds_write2_b64 v127, v[101:102], v[103:104] offset1:1
.LBB63_89:
	s_or_b64 exec, exec, s[4:5]
	s_waitcnt lgkmcnt(0)
	s_barrier
	ds_read2_b64 v[97:100], v127 offset1:1
	v_cmp_lt_u32_e32 vcc, 9, v126
	s_waitcnt lgkmcnt(0)
	buffer_store_dword v97, off, s[20:23], 0 offset:608 ; 4-byte Folded Spill
	s_nop 0
	buffer_store_dword v98, off, s[20:23], 0 offset:612 ; 4-byte Folded Spill
	buffer_store_dword v99, off, s[20:23], 0 offset:616 ; 4-byte Folded Spill
	;; [unrolled: 1-line block ×3, first 2 shown]
	s_and_saveexec_b64 s[2:3], vcc
	s_cbranch_execz .LBB63_91
; %bb.90:
	buffer_load_dword v99, off, s[20:23], 0 offset:608 ; 4-byte Folded Reload
	buffer_load_dword v100, off, s[20:23], 0 offset:612 ; 4-byte Folded Reload
	buffer_load_dword v101, off, s[20:23], 0 offset:616 ; 4-byte Folded Reload
	buffer_load_dword v102, off, s[20:23], 0 offset:620 ; 4-byte Folded Reload
	s_waitcnt vmcnt(2)
	v_mul_f64 v[87:88], v[99:100], v[91:92]
	s_waitcnt vmcnt(0)
	v_mul_f64 v[97:98], v[101:102], v[91:92]
	v_fma_f64 v[91:92], v[101:102], v[89:90], v[87:88]
	v_fma_f64 v[97:98], v[99:100], v[89:90], -v[97:98]
	ds_read2_b64 v[99:102], v125 offset0:20 offset1:21
	s_waitcnt lgkmcnt(0)
	v_mul_f64 v[85:86], v[101:102], v[91:92]
	v_mov_b32_e32 v89, v97
	v_mov_b32_e32 v90, v98
	v_fma_f64 v[85:86], v[99:100], v[97:98], -v[85:86]
	v_mul_f64 v[99:100], v[99:100], v[91:92]
	v_add_f64 v[81:82], v[81:82], -v[85:86]
	v_fma_f64 v[99:100], v[101:102], v[97:98], v[99:100]
	v_add_f64 v[83:84], v[83:84], -v[99:100]
	ds_read2_b64 v[99:102], v125 offset0:22 offset1:23
	s_waitcnt lgkmcnt(0)
	v_mul_f64 v[85:86], v[101:102], v[91:92]
	v_fma_f64 v[85:86], v[99:100], v[97:98], -v[85:86]
	v_mul_f64 v[99:100], v[99:100], v[91:92]
	v_add_f64 v[77:78], v[77:78], -v[85:86]
	v_fma_f64 v[99:100], v[101:102], v[97:98], v[99:100]
	v_add_f64 v[79:80], v[79:80], -v[99:100]
	ds_read2_b64 v[99:102], v125 offset0:24 offset1:25
	s_waitcnt lgkmcnt(0)
	v_mul_f64 v[85:86], v[101:102], v[91:92]
	;; [unrolled: 8-line block ×19, first 2 shown]
	v_fma_f64 v[85:86], v[99:100], v[97:98], -v[85:86]
	v_mul_f64 v[99:100], v[99:100], v[91:92]
	v_add_f64 v[5:6], v[5:6], -v[85:86]
	v_fma_f64 v[99:100], v[101:102], v[97:98], v[99:100]
	v_add_f64 v[7:8], v[7:8], -v[99:100]
	ds_read2_b64 v[99:102], v125 offset0:60 offset1:61
	buffer_load_dword v0, off, s[20:23], 0  ; 4-byte Folded Reload
	buffer_load_dword v1, off, s[20:23], 0 offset:4 ; 4-byte Folded Reload
	buffer_load_dword v2, off, s[20:23], 0 offset:8 ; 4-byte Folded Reload
	;; [unrolled: 1-line block ×3, first 2 shown]
	s_waitcnt lgkmcnt(0)
	v_mul_f64 v[85:86], v[101:102], v[91:92]
	v_fma_f64 v[85:86], v[99:100], v[97:98], -v[85:86]
	v_mul_f64 v[99:100], v[99:100], v[91:92]
	v_fma_f64 v[99:100], v[101:102], v[97:98], v[99:100]
	s_waitcnt vmcnt(2)
	v_add_f64 v[0:1], v[0:1], -v[85:86]
	s_waitcnt vmcnt(0)
	v_add_f64 v[2:3], v[2:3], -v[99:100]
	buffer_store_dword v0, off, s[20:23], 0 ; 4-byte Folded Spill
	s_nop 0
	buffer_store_dword v1, off, s[20:23], 0 offset:4 ; 4-byte Folded Spill
	buffer_store_dword v2, off, s[20:23], 0 offset:8 ; 4-byte Folded Spill
	buffer_store_dword v3, off, s[20:23], 0 offset:12 ; 4-byte Folded Spill
	ds_read2_b64 v[99:102], v125 offset0:62 offset1:63
	buffer_load_dword v93, off, s[20:23], 0 offset:128 ; 4-byte Folded Reload
	buffer_load_dword v94, off, s[20:23], 0 offset:132 ; 4-byte Folded Reload
	;; [unrolled: 1-line block ×4, first 2 shown]
	s_waitcnt lgkmcnt(0)
	v_mul_f64 v[85:86], v[101:102], v[91:92]
	v_fma_f64 v[85:86], v[99:100], v[97:98], -v[85:86]
	v_mul_f64 v[99:100], v[99:100], v[91:92]
	v_add_f64 v[109:110], v[109:110], -v[85:86]
	v_fma_f64 v[99:100], v[101:102], v[97:98], v[99:100]
	v_add_f64 v[111:112], v[111:112], -v[99:100]
.LBB63_91:
	s_or_b64 exec, exec, s[2:3]
	v_cmp_eq_u32_e32 vcc, 10, v126
	s_waitcnt vmcnt(0)
	s_barrier
	s_and_saveexec_b64 s[4:5], vcc
	s_cbranch_execz .LBB63_98
; %bb.92:
	ds_write2_b64 v127, v[81:82], v[83:84] offset1:1
	ds_write2_b64 v125, v[77:78], v[79:80] offset0:22 offset1:23
	ds_write2_b64 v125, v[73:74], v[75:76] offset0:24 offset1:25
	;; [unrolled: 1-line block ×19, first 2 shown]
	buffer_load_dword v0, off, s[20:23], 0  ; 4-byte Folded Reload
	buffer_load_dword v1, off, s[20:23], 0 offset:4 ; 4-byte Folded Reload
	buffer_load_dword v2, off, s[20:23], 0 offset:8 ; 4-byte Folded Reload
	;; [unrolled: 1-line block ×3, first 2 shown]
	s_waitcnt vmcnt(0)
	ds_write2_b64 v125, v[0:1], v[2:3] offset0:60 offset1:61
	ds_write2_b64 v125, v[109:110], v[111:112] offset0:62 offset1:63
	ds_read2_b64 v[97:100], v127 offset1:1
	s_waitcnt lgkmcnt(0)
	v_cmp_neq_f64_e32 vcc, 0, v[97:98]
	v_cmp_neq_f64_e64 s[2:3], 0, v[99:100]
	s_or_b64 s[2:3], vcc, s[2:3]
	s_and_b64 exec, exec, s[2:3]
	s_cbranch_execz .LBB63_98
; %bb.93:
	v_cmp_ngt_f64_e64 s[2:3], |v[97:98]|, |v[99:100]|
                                        ; implicit-def: $vgpr101_vgpr102
	s_and_saveexec_b64 s[6:7], s[2:3]
	s_xor_b64 s[2:3], exec, s[6:7]
                                        ; implicit-def: $vgpr103_vgpr104
	s_cbranch_execz .LBB63_95
; %bb.94:
	v_div_scale_f64 v[101:102], s[6:7], v[99:100], v[99:100], v[97:98]
	v_rcp_f64_e32 v[103:104], v[101:102]
	v_fma_f64 v[105:106], -v[101:102], v[103:104], 1.0
	v_fma_f64 v[103:104], v[103:104], v[105:106], v[103:104]
	v_div_scale_f64 v[105:106], vcc, v[97:98], v[99:100], v[97:98]
	v_fma_f64 v[107:108], -v[101:102], v[103:104], 1.0
	v_fma_f64 v[103:104], v[103:104], v[107:108], v[103:104]
	v_mul_f64 v[107:108], v[105:106], v[103:104]
	v_fma_f64 v[101:102], -v[101:102], v[107:108], v[105:106]
	v_div_fmas_f64 v[101:102], v[101:102], v[103:104], v[107:108]
	v_div_fixup_f64 v[101:102], v[101:102], v[99:100], v[97:98]
	v_fma_f64 v[97:98], v[97:98], v[101:102], v[99:100]
	v_div_scale_f64 v[99:100], s[6:7], v[97:98], v[97:98], 1.0
	v_div_scale_f64 v[107:108], vcc, 1.0, v[97:98], 1.0
	v_rcp_f64_e32 v[103:104], v[99:100]
	v_fma_f64 v[105:106], -v[99:100], v[103:104], 1.0
	v_fma_f64 v[103:104], v[103:104], v[105:106], v[103:104]
	v_fma_f64 v[105:106], -v[99:100], v[103:104], 1.0
	v_fma_f64 v[103:104], v[103:104], v[105:106], v[103:104]
	v_mul_f64 v[105:106], v[107:108], v[103:104]
	v_fma_f64 v[99:100], -v[99:100], v[105:106], v[107:108]
	v_div_fmas_f64 v[99:100], v[99:100], v[103:104], v[105:106]
	v_div_fixup_f64 v[103:104], v[99:100], v[97:98], 1.0
                                        ; implicit-def: $vgpr97_vgpr98
	v_mul_f64 v[101:102], v[101:102], v[103:104]
	v_xor_b32_e32 v104, 0x80000000, v104
.LBB63_95:
	s_andn2_saveexec_b64 s[2:3], s[2:3]
	s_cbranch_execz .LBB63_97
; %bb.96:
	v_div_scale_f64 v[101:102], s[6:7], v[97:98], v[97:98], v[99:100]
	v_rcp_f64_e32 v[103:104], v[101:102]
	v_fma_f64 v[105:106], -v[101:102], v[103:104], 1.0
	v_fma_f64 v[103:104], v[103:104], v[105:106], v[103:104]
	v_div_scale_f64 v[105:106], vcc, v[99:100], v[97:98], v[99:100]
	v_fma_f64 v[107:108], -v[101:102], v[103:104], 1.0
	v_fma_f64 v[103:104], v[103:104], v[107:108], v[103:104]
	v_mul_f64 v[107:108], v[105:106], v[103:104]
	v_fma_f64 v[101:102], -v[101:102], v[107:108], v[105:106]
	v_div_fmas_f64 v[101:102], v[101:102], v[103:104], v[107:108]
	v_div_fixup_f64 v[103:104], v[101:102], v[97:98], v[99:100]
	v_fma_f64 v[97:98], v[99:100], v[103:104], v[97:98]
	v_div_scale_f64 v[99:100], s[6:7], v[97:98], v[97:98], 1.0
	v_div_scale_f64 v[107:108], vcc, 1.0, v[97:98], 1.0
	v_rcp_f64_e32 v[101:102], v[99:100]
	v_fma_f64 v[105:106], -v[99:100], v[101:102], 1.0
	v_fma_f64 v[101:102], v[101:102], v[105:106], v[101:102]
	v_fma_f64 v[105:106], -v[99:100], v[101:102], 1.0
	v_fma_f64 v[101:102], v[101:102], v[105:106], v[101:102]
	v_mul_f64 v[105:106], v[107:108], v[101:102]
	v_fma_f64 v[99:100], -v[99:100], v[105:106], v[107:108]
	v_div_fmas_f64 v[99:100], v[99:100], v[101:102], v[105:106]
	v_div_fixup_f64 v[101:102], v[99:100], v[97:98], 1.0
	v_mul_f64 v[103:104], v[103:104], -v[101:102]
.LBB63_97:
	s_or_b64 exec, exec, s[2:3]
	ds_write2_b64 v127, v[101:102], v[103:104] offset1:1
.LBB63_98:
	s_or_b64 exec, exec, s[4:5]
	s_waitcnt lgkmcnt(0)
	s_barrier
	ds_read2_b64 v[97:100], v127 offset1:1
	v_cmp_lt_u32_e32 vcc, 10, v126
	s_waitcnt lgkmcnt(0)
	buffer_store_dword v97, off, s[20:23], 0 offset:624 ; 4-byte Folded Spill
	s_nop 0
	buffer_store_dword v98, off, s[20:23], 0 offset:628 ; 4-byte Folded Spill
	buffer_store_dword v99, off, s[20:23], 0 offset:632 ; 4-byte Folded Spill
	;; [unrolled: 1-line block ×3, first 2 shown]
	s_and_saveexec_b64 s[2:3], vcc
	s_cbranch_execz .LBB63_100
; %bb.99:
	buffer_load_dword v99, off, s[20:23], 0 offset:624 ; 4-byte Folded Reload
	buffer_load_dword v100, off, s[20:23], 0 offset:628 ; 4-byte Folded Reload
	;; [unrolled: 1-line block ×4, first 2 shown]
	s_waitcnt vmcnt(0)
	v_mul_f64 v[97:98], v[101:102], v[83:84]
	v_mul_f64 v[83:84], v[99:100], v[83:84]
	v_fma_f64 v[97:98], v[99:100], v[81:82], -v[97:98]
	v_fma_f64 v[83:84], v[101:102], v[81:82], v[83:84]
	ds_read2_b64 v[99:102], v125 offset0:22 offset1:23
	s_waitcnt lgkmcnt(0)
	v_mul_f64 v[81:82], v[101:102], v[83:84]
	v_fma_f64 v[81:82], v[99:100], v[97:98], -v[81:82]
	v_mul_f64 v[99:100], v[99:100], v[83:84]
	v_add_f64 v[77:78], v[77:78], -v[81:82]
	v_fma_f64 v[99:100], v[101:102], v[97:98], v[99:100]
	v_add_f64 v[79:80], v[79:80], -v[99:100]
	ds_read2_b64 v[99:102], v125 offset0:24 offset1:25
	s_waitcnt lgkmcnt(0)
	v_mul_f64 v[81:82], v[101:102], v[83:84]
	v_fma_f64 v[81:82], v[99:100], v[97:98], -v[81:82]
	v_mul_f64 v[99:100], v[99:100], v[83:84]
	v_add_f64 v[73:74], v[73:74], -v[81:82]
	v_fma_f64 v[99:100], v[101:102], v[97:98], v[99:100]
	v_add_f64 v[75:76], v[75:76], -v[99:100]
	;; [unrolled: 8-line block ×19, first 2 shown]
	ds_read2_b64 v[99:102], v125 offset0:60 offset1:61
	buffer_load_dword v0, off, s[20:23], 0  ; 4-byte Folded Reload
	buffer_load_dword v1, off, s[20:23], 0 offset:4 ; 4-byte Folded Reload
	buffer_load_dword v2, off, s[20:23], 0 offset:8 ; 4-byte Folded Reload
	buffer_load_dword v3, off, s[20:23], 0 offset:12 ; 4-byte Folded Reload
	s_waitcnt lgkmcnt(0)
	v_mul_f64 v[81:82], v[101:102], v[83:84]
	v_fma_f64 v[81:82], v[99:100], v[97:98], -v[81:82]
	v_mul_f64 v[99:100], v[99:100], v[83:84]
	v_fma_f64 v[99:100], v[101:102], v[97:98], v[99:100]
	s_waitcnt vmcnt(2)
	v_add_f64 v[0:1], v[0:1], -v[81:82]
	s_waitcnt vmcnt(0)
	v_add_f64 v[2:3], v[2:3], -v[99:100]
	buffer_store_dword v0, off, s[20:23], 0 ; 4-byte Folded Spill
	s_nop 0
	buffer_store_dword v1, off, s[20:23], 0 offset:4 ; 4-byte Folded Spill
	buffer_store_dword v2, off, s[20:23], 0 offset:8 ; 4-byte Folded Spill
	;; [unrolled: 1-line block ×3, first 2 shown]
	ds_read2_b64 v[99:102], v125 offset0:62 offset1:63
	s_waitcnt lgkmcnt(0)
	v_mul_f64 v[81:82], v[101:102], v[83:84]
	v_fma_f64 v[81:82], v[99:100], v[97:98], -v[81:82]
	v_mul_f64 v[99:100], v[99:100], v[83:84]
	v_add_f64 v[109:110], v[109:110], -v[81:82]
	v_fma_f64 v[99:100], v[101:102], v[97:98], v[99:100]
	v_mov_b32_e32 v81, v97
	v_mov_b32_e32 v82, v98
	v_add_f64 v[111:112], v[111:112], -v[99:100]
.LBB63_100:
	s_or_b64 exec, exec, s[2:3]
	v_cmp_eq_u32_e32 vcc, 11, v126
	s_waitcnt vmcnt(0)
	s_barrier
	s_and_saveexec_b64 s[4:5], vcc
	s_cbranch_execz .LBB63_107
; %bb.101:
	ds_write2_b64 v127, v[77:78], v[79:80] offset1:1
	ds_write2_b64 v125, v[73:74], v[75:76] offset0:24 offset1:25
	ds_write2_b64 v125, v[69:70], v[71:72] offset0:26 offset1:27
	;; [unrolled: 1-line block ×18, first 2 shown]
	buffer_load_dword v0, off, s[20:23], 0  ; 4-byte Folded Reload
	buffer_load_dword v1, off, s[20:23], 0 offset:4 ; 4-byte Folded Reload
	buffer_load_dword v2, off, s[20:23], 0 offset:8 ; 4-byte Folded Reload
	;; [unrolled: 1-line block ×3, first 2 shown]
	s_waitcnt vmcnt(0)
	ds_write2_b64 v125, v[0:1], v[2:3] offset0:60 offset1:61
	ds_write2_b64 v125, v[109:110], v[111:112] offset0:62 offset1:63
	ds_read2_b64 v[97:100], v127 offset1:1
	s_waitcnt lgkmcnt(0)
	v_cmp_neq_f64_e32 vcc, 0, v[97:98]
	v_cmp_neq_f64_e64 s[2:3], 0, v[99:100]
	s_or_b64 s[2:3], vcc, s[2:3]
	s_and_b64 exec, exec, s[2:3]
	s_cbranch_execz .LBB63_107
; %bb.102:
	v_cmp_ngt_f64_e64 s[2:3], |v[97:98]|, |v[99:100]|
                                        ; implicit-def: $vgpr101_vgpr102
	s_and_saveexec_b64 s[6:7], s[2:3]
	s_xor_b64 s[2:3], exec, s[6:7]
                                        ; implicit-def: $vgpr103_vgpr104
	s_cbranch_execz .LBB63_104
; %bb.103:
	v_div_scale_f64 v[101:102], s[6:7], v[99:100], v[99:100], v[97:98]
	v_rcp_f64_e32 v[103:104], v[101:102]
	v_fma_f64 v[105:106], -v[101:102], v[103:104], 1.0
	v_fma_f64 v[103:104], v[103:104], v[105:106], v[103:104]
	v_div_scale_f64 v[105:106], vcc, v[97:98], v[99:100], v[97:98]
	v_fma_f64 v[107:108], -v[101:102], v[103:104], 1.0
	v_fma_f64 v[103:104], v[103:104], v[107:108], v[103:104]
	v_mul_f64 v[107:108], v[105:106], v[103:104]
	v_fma_f64 v[101:102], -v[101:102], v[107:108], v[105:106]
	v_div_fmas_f64 v[101:102], v[101:102], v[103:104], v[107:108]
	v_div_fixup_f64 v[101:102], v[101:102], v[99:100], v[97:98]
	v_fma_f64 v[97:98], v[97:98], v[101:102], v[99:100]
	v_div_scale_f64 v[99:100], s[6:7], v[97:98], v[97:98], 1.0
	v_div_scale_f64 v[107:108], vcc, 1.0, v[97:98], 1.0
	v_rcp_f64_e32 v[103:104], v[99:100]
	v_fma_f64 v[105:106], -v[99:100], v[103:104], 1.0
	v_fma_f64 v[103:104], v[103:104], v[105:106], v[103:104]
	v_fma_f64 v[105:106], -v[99:100], v[103:104], 1.0
	v_fma_f64 v[103:104], v[103:104], v[105:106], v[103:104]
	v_mul_f64 v[105:106], v[107:108], v[103:104]
	v_fma_f64 v[99:100], -v[99:100], v[105:106], v[107:108]
	v_div_fmas_f64 v[99:100], v[99:100], v[103:104], v[105:106]
	v_div_fixup_f64 v[103:104], v[99:100], v[97:98], 1.0
                                        ; implicit-def: $vgpr97_vgpr98
	v_mul_f64 v[101:102], v[101:102], v[103:104]
	v_xor_b32_e32 v104, 0x80000000, v104
.LBB63_104:
	s_andn2_saveexec_b64 s[2:3], s[2:3]
	s_cbranch_execz .LBB63_106
; %bb.105:
	v_div_scale_f64 v[101:102], s[6:7], v[97:98], v[97:98], v[99:100]
	v_rcp_f64_e32 v[103:104], v[101:102]
	v_fma_f64 v[105:106], -v[101:102], v[103:104], 1.0
	v_fma_f64 v[103:104], v[103:104], v[105:106], v[103:104]
	v_div_scale_f64 v[105:106], vcc, v[99:100], v[97:98], v[99:100]
	v_fma_f64 v[107:108], -v[101:102], v[103:104], 1.0
	v_fma_f64 v[103:104], v[103:104], v[107:108], v[103:104]
	v_mul_f64 v[107:108], v[105:106], v[103:104]
	v_fma_f64 v[101:102], -v[101:102], v[107:108], v[105:106]
	v_div_fmas_f64 v[101:102], v[101:102], v[103:104], v[107:108]
	v_div_fixup_f64 v[103:104], v[101:102], v[97:98], v[99:100]
	v_fma_f64 v[97:98], v[99:100], v[103:104], v[97:98]
	v_div_scale_f64 v[99:100], s[6:7], v[97:98], v[97:98], 1.0
	v_div_scale_f64 v[107:108], vcc, 1.0, v[97:98], 1.0
	v_rcp_f64_e32 v[101:102], v[99:100]
	v_fma_f64 v[105:106], -v[99:100], v[101:102], 1.0
	v_fma_f64 v[101:102], v[101:102], v[105:106], v[101:102]
	v_fma_f64 v[105:106], -v[99:100], v[101:102], 1.0
	v_fma_f64 v[101:102], v[101:102], v[105:106], v[101:102]
	v_mul_f64 v[105:106], v[107:108], v[101:102]
	v_fma_f64 v[99:100], -v[99:100], v[105:106], v[107:108]
	v_div_fmas_f64 v[99:100], v[99:100], v[101:102], v[105:106]
	v_div_fixup_f64 v[101:102], v[99:100], v[97:98], 1.0
	v_mul_f64 v[103:104], v[103:104], -v[101:102]
.LBB63_106:
	s_or_b64 exec, exec, s[2:3]
	ds_write2_b64 v127, v[101:102], v[103:104] offset1:1
.LBB63_107:
	s_or_b64 exec, exec, s[4:5]
	s_waitcnt lgkmcnt(0)
	s_barrier
	ds_read2_b64 v[97:100], v127 offset1:1
	v_cmp_lt_u32_e32 vcc, 11, v126
	s_waitcnt lgkmcnt(0)
	buffer_store_dword v97, off, s[20:23], 0 offset:640 ; 4-byte Folded Spill
	s_nop 0
	buffer_store_dword v98, off, s[20:23], 0 offset:644 ; 4-byte Folded Spill
	buffer_store_dword v99, off, s[20:23], 0 offset:648 ; 4-byte Folded Spill
	;; [unrolled: 1-line block ×3, first 2 shown]
	s_and_saveexec_b64 s[2:3], vcc
	s_cbranch_execz .LBB63_109
; %bb.108:
	buffer_load_dword v99, off, s[20:23], 0 offset:640 ; 4-byte Folded Reload
	buffer_load_dword v100, off, s[20:23], 0 offset:644 ; 4-byte Folded Reload
	buffer_load_dword v101, off, s[20:23], 0 offset:648 ; 4-byte Folded Reload
	buffer_load_dword v102, off, s[20:23], 0 offset:652 ; 4-byte Folded Reload
	s_waitcnt vmcnt(0)
	v_mul_f64 v[97:98], v[101:102], v[79:80]
	v_mul_f64 v[79:80], v[99:100], v[79:80]
	v_fma_f64 v[97:98], v[99:100], v[77:78], -v[97:98]
	v_fma_f64 v[79:80], v[101:102], v[77:78], v[79:80]
	ds_read2_b64 v[99:102], v125 offset0:24 offset1:25
	s_waitcnt lgkmcnt(0)
	v_mul_f64 v[77:78], v[101:102], v[79:80]
	v_fma_f64 v[77:78], v[99:100], v[97:98], -v[77:78]
	v_mul_f64 v[99:100], v[99:100], v[79:80]
	v_add_f64 v[73:74], v[73:74], -v[77:78]
	v_fma_f64 v[99:100], v[101:102], v[97:98], v[99:100]
	v_add_f64 v[75:76], v[75:76], -v[99:100]
	ds_read2_b64 v[99:102], v125 offset0:26 offset1:27
	s_waitcnt lgkmcnt(0)
	v_mul_f64 v[77:78], v[101:102], v[79:80]
	v_fma_f64 v[77:78], v[99:100], v[97:98], -v[77:78]
	v_mul_f64 v[99:100], v[99:100], v[79:80]
	v_add_f64 v[69:70], v[69:70], -v[77:78]
	v_fma_f64 v[99:100], v[101:102], v[97:98], v[99:100]
	v_add_f64 v[71:72], v[71:72], -v[99:100]
	;; [unrolled: 8-line block ×18, first 2 shown]
	ds_read2_b64 v[99:102], v125 offset0:60 offset1:61
	buffer_load_dword v0, off, s[20:23], 0  ; 4-byte Folded Reload
	buffer_load_dword v1, off, s[20:23], 0 offset:4 ; 4-byte Folded Reload
	buffer_load_dword v2, off, s[20:23], 0 offset:8 ; 4-byte Folded Reload
	;; [unrolled: 1-line block ×3, first 2 shown]
	s_waitcnt lgkmcnt(0)
	v_mul_f64 v[77:78], v[101:102], v[79:80]
	v_fma_f64 v[77:78], v[99:100], v[97:98], -v[77:78]
	v_mul_f64 v[99:100], v[99:100], v[79:80]
	v_fma_f64 v[99:100], v[101:102], v[97:98], v[99:100]
	s_waitcnt vmcnt(2)
	v_add_f64 v[0:1], v[0:1], -v[77:78]
	s_waitcnt vmcnt(0)
	v_add_f64 v[2:3], v[2:3], -v[99:100]
	buffer_store_dword v0, off, s[20:23], 0 ; 4-byte Folded Spill
	s_nop 0
	buffer_store_dword v1, off, s[20:23], 0 offset:4 ; 4-byte Folded Spill
	buffer_store_dword v2, off, s[20:23], 0 offset:8 ; 4-byte Folded Spill
	;; [unrolled: 1-line block ×3, first 2 shown]
	ds_read2_b64 v[99:102], v125 offset0:62 offset1:63
	s_waitcnt lgkmcnt(0)
	v_mul_f64 v[77:78], v[101:102], v[79:80]
	v_fma_f64 v[77:78], v[99:100], v[97:98], -v[77:78]
	v_mul_f64 v[99:100], v[99:100], v[79:80]
	v_add_f64 v[109:110], v[109:110], -v[77:78]
	v_fma_f64 v[99:100], v[101:102], v[97:98], v[99:100]
	v_mov_b32_e32 v77, v97
	v_mov_b32_e32 v78, v98
	v_add_f64 v[111:112], v[111:112], -v[99:100]
.LBB63_109:
	s_or_b64 exec, exec, s[2:3]
	v_cmp_eq_u32_e32 vcc, 12, v126
	s_waitcnt vmcnt(0)
	s_barrier
	s_and_saveexec_b64 s[4:5], vcc
	s_cbranch_execz .LBB63_116
; %bb.110:
	ds_write2_b64 v127, v[73:74], v[75:76] offset1:1
	ds_write2_b64 v125, v[69:70], v[71:72] offset0:26 offset1:27
	ds_write2_b64 v125, v[65:66], v[67:68] offset0:28 offset1:29
	;; [unrolled: 1-line block ×17, first 2 shown]
	buffer_load_dword v0, off, s[20:23], 0  ; 4-byte Folded Reload
	buffer_load_dword v1, off, s[20:23], 0 offset:4 ; 4-byte Folded Reload
	buffer_load_dword v2, off, s[20:23], 0 offset:8 ; 4-byte Folded Reload
	;; [unrolled: 1-line block ×3, first 2 shown]
	s_waitcnt vmcnt(0)
	ds_write2_b64 v125, v[0:1], v[2:3] offset0:60 offset1:61
	ds_write2_b64 v125, v[109:110], v[111:112] offset0:62 offset1:63
	ds_read2_b64 v[97:100], v127 offset1:1
	s_waitcnt lgkmcnt(0)
	v_cmp_neq_f64_e32 vcc, 0, v[97:98]
	v_cmp_neq_f64_e64 s[2:3], 0, v[99:100]
	s_or_b64 s[2:3], vcc, s[2:3]
	s_and_b64 exec, exec, s[2:3]
	s_cbranch_execz .LBB63_116
; %bb.111:
	v_cmp_ngt_f64_e64 s[2:3], |v[97:98]|, |v[99:100]|
                                        ; implicit-def: $vgpr101_vgpr102
	s_and_saveexec_b64 s[6:7], s[2:3]
	s_xor_b64 s[2:3], exec, s[6:7]
                                        ; implicit-def: $vgpr103_vgpr104
	s_cbranch_execz .LBB63_113
; %bb.112:
	v_div_scale_f64 v[101:102], s[6:7], v[99:100], v[99:100], v[97:98]
	v_rcp_f64_e32 v[103:104], v[101:102]
	v_fma_f64 v[105:106], -v[101:102], v[103:104], 1.0
	v_fma_f64 v[103:104], v[103:104], v[105:106], v[103:104]
	v_div_scale_f64 v[105:106], vcc, v[97:98], v[99:100], v[97:98]
	v_fma_f64 v[107:108], -v[101:102], v[103:104], 1.0
	v_fma_f64 v[103:104], v[103:104], v[107:108], v[103:104]
	v_mul_f64 v[107:108], v[105:106], v[103:104]
	v_fma_f64 v[101:102], -v[101:102], v[107:108], v[105:106]
	v_div_fmas_f64 v[101:102], v[101:102], v[103:104], v[107:108]
	v_div_fixup_f64 v[101:102], v[101:102], v[99:100], v[97:98]
	v_fma_f64 v[97:98], v[97:98], v[101:102], v[99:100]
	v_div_scale_f64 v[99:100], s[6:7], v[97:98], v[97:98], 1.0
	v_div_scale_f64 v[107:108], vcc, 1.0, v[97:98], 1.0
	v_rcp_f64_e32 v[103:104], v[99:100]
	v_fma_f64 v[105:106], -v[99:100], v[103:104], 1.0
	v_fma_f64 v[103:104], v[103:104], v[105:106], v[103:104]
	v_fma_f64 v[105:106], -v[99:100], v[103:104], 1.0
	v_fma_f64 v[103:104], v[103:104], v[105:106], v[103:104]
	v_mul_f64 v[105:106], v[107:108], v[103:104]
	v_fma_f64 v[99:100], -v[99:100], v[105:106], v[107:108]
	v_div_fmas_f64 v[99:100], v[99:100], v[103:104], v[105:106]
	v_div_fixup_f64 v[103:104], v[99:100], v[97:98], 1.0
                                        ; implicit-def: $vgpr97_vgpr98
	v_mul_f64 v[101:102], v[101:102], v[103:104]
	v_xor_b32_e32 v104, 0x80000000, v104
.LBB63_113:
	s_andn2_saveexec_b64 s[2:3], s[2:3]
	s_cbranch_execz .LBB63_115
; %bb.114:
	v_div_scale_f64 v[101:102], s[6:7], v[97:98], v[97:98], v[99:100]
	v_rcp_f64_e32 v[103:104], v[101:102]
	v_fma_f64 v[105:106], -v[101:102], v[103:104], 1.0
	v_fma_f64 v[103:104], v[103:104], v[105:106], v[103:104]
	v_div_scale_f64 v[105:106], vcc, v[99:100], v[97:98], v[99:100]
	v_fma_f64 v[107:108], -v[101:102], v[103:104], 1.0
	v_fma_f64 v[103:104], v[103:104], v[107:108], v[103:104]
	v_mul_f64 v[107:108], v[105:106], v[103:104]
	v_fma_f64 v[101:102], -v[101:102], v[107:108], v[105:106]
	v_div_fmas_f64 v[101:102], v[101:102], v[103:104], v[107:108]
	v_div_fixup_f64 v[103:104], v[101:102], v[97:98], v[99:100]
	v_fma_f64 v[97:98], v[99:100], v[103:104], v[97:98]
	v_div_scale_f64 v[99:100], s[6:7], v[97:98], v[97:98], 1.0
	v_div_scale_f64 v[107:108], vcc, 1.0, v[97:98], 1.0
	v_rcp_f64_e32 v[101:102], v[99:100]
	v_fma_f64 v[105:106], -v[99:100], v[101:102], 1.0
	v_fma_f64 v[101:102], v[101:102], v[105:106], v[101:102]
	v_fma_f64 v[105:106], -v[99:100], v[101:102], 1.0
	v_fma_f64 v[101:102], v[101:102], v[105:106], v[101:102]
	v_mul_f64 v[105:106], v[107:108], v[101:102]
	v_fma_f64 v[99:100], -v[99:100], v[105:106], v[107:108]
	v_div_fmas_f64 v[99:100], v[99:100], v[101:102], v[105:106]
	v_div_fixup_f64 v[101:102], v[99:100], v[97:98], 1.0
	v_mul_f64 v[103:104], v[103:104], -v[101:102]
.LBB63_115:
	s_or_b64 exec, exec, s[2:3]
	ds_write2_b64 v127, v[101:102], v[103:104] offset1:1
.LBB63_116:
	s_or_b64 exec, exec, s[4:5]
	s_waitcnt lgkmcnt(0)
	s_barrier
	ds_read2_b64 v[97:100], v127 offset1:1
	v_cmp_lt_u32_e32 vcc, 12, v126
	s_waitcnt lgkmcnt(0)
	buffer_store_dword v97, off, s[20:23], 0 offset:656 ; 4-byte Folded Spill
	s_nop 0
	buffer_store_dword v98, off, s[20:23], 0 offset:660 ; 4-byte Folded Spill
	buffer_store_dword v99, off, s[20:23], 0 offset:664 ; 4-byte Folded Spill
	;; [unrolled: 1-line block ×3, first 2 shown]
	s_and_saveexec_b64 s[2:3], vcc
	s_cbranch_execz .LBB63_118
; %bb.117:
	buffer_load_dword v99, off, s[20:23], 0 offset:656 ; 4-byte Folded Reload
	buffer_load_dword v100, off, s[20:23], 0 offset:660 ; 4-byte Folded Reload
	;; [unrolled: 1-line block ×4, first 2 shown]
	s_waitcnt vmcnt(0)
	v_mul_f64 v[97:98], v[101:102], v[75:76]
	v_mul_f64 v[75:76], v[99:100], v[75:76]
	v_fma_f64 v[97:98], v[99:100], v[73:74], -v[97:98]
	v_fma_f64 v[75:76], v[101:102], v[73:74], v[75:76]
	ds_read2_b64 v[99:102], v125 offset0:26 offset1:27
	s_waitcnt lgkmcnt(0)
	v_mul_f64 v[73:74], v[101:102], v[75:76]
	v_fma_f64 v[73:74], v[99:100], v[97:98], -v[73:74]
	v_mul_f64 v[99:100], v[99:100], v[75:76]
	v_add_f64 v[69:70], v[69:70], -v[73:74]
	v_fma_f64 v[99:100], v[101:102], v[97:98], v[99:100]
	v_add_f64 v[71:72], v[71:72], -v[99:100]
	ds_read2_b64 v[99:102], v125 offset0:28 offset1:29
	s_waitcnt lgkmcnt(0)
	v_mul_f64 v[73:74], v[101:102], v[75:76]
	v_fma_f64 v[73:74], v[99:100], v[97:98], -v[73:74]
	v_mul_f64 v[99:100], v[99:100], v[75:76]
	v_add_f64 v[65:66], v[65:66], -v[73:74]
	v_fma_f64 v[99:100], v[101:102], v[97:98], v[99:100]
	v_add_f64 v[67:68], v[67:68], -v[99:100]
	;; [unrolled: 8-line block ×17, first 2 shown]
	ds_read2_b64 v[99:102], v125 offset0:60 offset1:61
	buffer_load_dword v0, off, s[20:23], 0  ; 4-byte Folded Reload
	buffer_load_dword v1, off, s[20:23], 0 offset:4 ; 4-byte Folded Reload
	buffer_load_dword v2, off, s[20:23], 0 offset:8 ; 4-byte Folded Reload
	;; [unrolled: 1-line block ×3, first 2 shown]
	s_waitcnt lgkmcnt(0)
	v_mul_f64 v[73:74], v[101:102], v[75:76]
	v_fma_f64 v[73:74], v[99:100], v[97:98], -v[73:74]
	v_mul_f64 v[99:100], v[99:100], v[75:76]
	v_fma_f64 v[99:100], v[101:102], v[97:98], v[99:100]
	s_waitcnt vmcnt(2)
	v_add_f64 v[0:1], v[0:1], -v[73:74]
	s_waitcnt vmcnt(0)
	v_add_f64 v[2:3], v[2:3], -v[99:100]
	buffer_store_dword v0, off, s[20:23], 0 ; 4-byte Folded Spill
	s_nop 0
	buffer_store_dword v1, off, s[20:23], 0 offset:4 ; 4-byte Folded Spill
	buffer_store_dword v2, off, s[20:23], 0 offset:8 ; 4-byte Folded Spill
	buffer_store_dword v3, off, s[20:23], 0 offset:12 ; 4-byte Folded Spill
	ds_read2_b64 v[99:102], v125 offset0:62 offset1:63
	s_waitcnt lgkmcnt(0)
	v_mul_f64 v[73:74], v[101:102], v[75:76]
	v_fma_f64 v[73:74], v[99:100], v[97:98], -v[73:74]
	v_mul_f64 v[99:100], v[99:100], v[75:76]
	v_add_f64 v[109:110], v[109:110], -v[73:74]
	v_fma_f64 v[99:100], v[101:102], v[97:98], v[99:100]
	v_mov_b32_e32 v73, v97
	v_mov_b32_e32 v74, v98
	v_add_f64 v[111:112], v[111:112], -v[99:100]
.LBB63_118:
	s_or_b64 exec, exec, s[2:3]
	v_cmp_eq_u32_e32 vcc, 13, v126
	s_waitcnt vmcnt(0)
	s_barrier
	s_and_saveexec_b64 s[4:5], vcc
	s_cbranch_execz .LBB63_125
; %bb.119:
	ds_write2_b64 v127, v[69:70], v[71:72] offset1:1
	ds_write2_b64 v125, v[65:66], v[67:68] offset0:28 offset1:29
	ds_write2_b64 v125, v[61:62], v[63:64] offset0:30 offset1:31
	;; [unrolled: 1-line block ×16, first 2 shown]
	buffer_load_dword v0, off, s[20:23], 0  ; 4-byte Folded Reload
	buffer_load_dword v1, off, s[20:23], 0 offset:4 ; 4-byte Folded Reload
	buffer_load_dword v2, off, s[20:23], 0 offset:8 ; 4-byte Folded Reload
	;; [unrolled: 1-line block ×3, first 2 shown]
	s_waitcnt vmcnt(0)
	ds_write2_b64 v125, v[0:1], v[2:3] offset0:60 offset1:61
	ds_write2_b64 v125, v[109:110], v[111:112] offset0:62 offset1:63
	ds_read2_b64 v[97:100], v127 offset1:1
	s_waitcnt lgkmcnt(0)
	v_cmp_neq_f64_e32 vcc, 0, v[97:98]
	v_cmp_neq_f64_e64 s[2:3], 0, v[99:100]
	s_or_b64 s[2:3], vcc, s[2:3]
	s_and_b64 exec, exec, s[2:3]
	s_cbranch_execz .LBB63_125
; %bb.120:
	v_cmp_ngt_f64_e64 s[2:3], |v[97:98]|, |v[99:100]|
                                        ; implicit-def: $vgpr101_vgpr102
	s_and_saveexec_b64 s[6:7], s[2:3]
	s_xor_b64 s[2:3], exec, s[6:7]
                                        ; implicit-def: $vgpr103_vgpr104
	s_cbranch_execz .LBB63_122
; %bb.121:
	v_div_scale_f64 v[101:102], s[6:7], v[99:100], v[99:100], v[97:98]
	v_rcp_f64_e32 v[103:104], v[101:102]
	v_fma_f64 v[105:106], -v[101:102], v[103:104], 1.0
	v_fma_f64 v[103:104], v[103:104], v[105:106], v[103:104]
	v_div_scale_f64 v[105:106], vcc, v[97:98], v[99:100], v[97:98]
	v_fma_f64 v[107:108], -v[101:102], v[103:104], 1.0
	v_fma_f64 v[103:104], v[103:104], v[107:108], v[103:104]
	v_mul_f64 v[107:108], v[105:106], v[103:104]
	v_fma_f64 v[101:102], -v[101:102], v[107:108], v[105:106]
	v_div_fmas_f64 v[101:102], v[101:102], v[103:104], v[107:108]
	v_div_fixup_f64 v[101:102], v[101:102], v[99:100], v[97:98]
	v_fma_f64 v[97:98], v[97:98], v[101:102], v[99:100]
	v_div_scale_f64 v[99:100], s[6:7], v[97:98], v[97:98], 1.0
	v_div_scale_f64 v[107:108], vcc, 1.0, v[97:98], 1.0
	v_rcp_f64_e32 v[103:104], v[99:100]
	v_fma_f64 v[105:106], -v[99:100], v[103:104], 1.0
	v_fma_f64 v[103:104], v[103:104], v[105:106], v[103:104]
	v_fma_f64 v[105:106], -v[99:100], v[103:104], 1.0
	v_fma_f64 v[103:104], v[103:104], v[105:106], v[103:104]
	v_mul_f64 v[105:106], v[107:108], v[103:104]
	v_fma_f64 v[99:100], -v[99:100], v[105:106], v[107:108]
	v_div_fmas_f64 v[99:100], v[99:100], v[103:104], v[105:106]
	v_div_fixup_f64 v[103:104], v[99:100], v[97:98], 1.0
                                        ; implicit-def: $vgpr97_vgpr98
	v_mul_f64 v[101:102], v[101:102], v[103:104]
	v_xor_b32_e32 v104, 0x80000000, v104
.LBB63_122:
	s_andn2_saveexec_b64 s[2:3], s[2:3]
	s_cbranch_execz .LBB63_124
; %bb.123:
	v_div_scale_f64 v[101:102], s[6:7], v[97:98], v[97:98], v[99:100]
	v_rcp_f64_e32 v[103:104], v[101:102]
	v_fma_f64 v[105:106], -v[101:102], v[103:104], 1.0
	v_fma_f64 v[103:104], v[103:104], v[105:106], v[103:104]
	v_div_scale_f64 v[105:106], vcc, v[99:100], v[97:98], v[99:100]
	v_fma_f64 v[107:108], -v[101:102], v[103:104], 1.0
	v_fma_f64 v[103:104], v[103:104], v[107:108], v[103:104]
	v_mul_f64 v[107:108], v[105:106], v[103:104]
	v_fma_f64 v[101:102], -v[101:102], v[107:108], v[105:106]
	v_div_fmas_f64 v[101:102], v[101:102], v[103:104], v[107:108]
	v_div_fixup_f64 v[103:104], v[101:102], v[97:98], v[99:100]
	v_fma_f64 v[97:98], v[99:100], v[103:104], v[97:98]
	v_div_scale_f64 v[99:100], s[6:7], v[97:98], v[97:98], 1.0
	v_div_scale_f64 v[107:108], vcc, 1.0, v[97:98], 1.0
	v_rcp_f64_e32 v[101:102], v[99:100]
	v_fma_f64 v[105:106], -v[99:100], v[101:102], 1.0
	v_fma_f64 v[101:102], v[101:102], v[105:106], v[101:102]
	v_fma_f64 v[105:106], -v[99:100], v[101:102], 1.0
	v_fma_f64 v[101:102], v[101:102], v[105:106], v[101:102]
	v_mul_f64 v[105:106], v[107:108], v[101:102]
	v_fma_f64 v[99:100], -v[99:100], v[105:106], v[107:108]
	v_div_fmas_f64 v[99:100], v[99:100], v[101:102], v[105:106]
	v_div_fixup_f64 v[101:102], v[99:100], v[97:98], 1.0
	v_mul_f64 v[103:104], v[103:104], -v[101:102]
.LBB63_124:
	s_or_b64 exec, exec, s[2:3]
	ds_write2_b64 v127, v[101:102], v[103:104] offset1:1
.LBB63_125:
	s_or_b64 exec, exec, s[4:5]
	s_waitcnt lgkmcnt(0)
	s_barrier
	ds_read2_b64 v[97:100], v127 offset1:1
	v_cmp_lt_u32_e32 vcc, 13, v126
	s_waitcnt lgkmcnt(0)
	buffer_store_dword v97, off, s[20:23], 0 offset:672 ; 4-byte Folded Spill
	s_nop 0
	buffer_store_dword v98, off, s[20:23], 0 offset:676 ; 4-byte Folded Spill
	buffer_store_dword v99, off, s[20:23], 0 offset:680 ; 4-byte Folded Spill
	;; [unrolled: 1-line block ×3, first 2 shown]
	s_and_saveexec_b64 s[2:3], vcc
	s_cbranch_execz .LBB63_127
; %bb.126:
	buffer_load_dword v99, off, s[20:23], 0 offset:672 ; 4-byte Folded Reload
	buffer_load_dword v100, off, s[20:23], 0 offset:676 ; 4-byte Folded Reload
	;; [unrolled: 1-line block ×4, first 2 shown]
	s_waitcnt vmcnt(0)
	v_mul_f64 v[97:98], v[101:102], v[71:72]
	v_mul_f64 v[71:72], v[99:100], v[71:72]
	v_fma_f64 v[97:98], v[99:100], v[69:70], -v[97:98]
	v_fma_f64 v[71:72], v[101:102], v[69:70], v[71:72]
	ds_read2_b64 v[99:102], v125 offset0:28 offset1:29
	s_waitcnt lgkmcnt(0)
	v_mul_f64 v[69:70], v[101:102], v[71:72]
	v_fma_f64 v[69:70], v[99:100], v[97:98], -v[69:70]
	v_mul_f64 v[99:100], v[99:100], v[71:72]
	v_add_f64 v[65:66], v[65:66], -v[69:70]
	v_fma_f64 v[99:100], v[101:102], v[97:98], v[99:100]
	v_add_f64 v[67:68], v[67:68], -v[99:100]
	ds_read2_b64 v[99:102], v125 offset0:30 offset1:31
	s_waitcnt lgkmcnt(0)
	v_mul_f64 v[69:70], v[101:102], v[71:72]
	v_fma_f64 v[69:70], v[99:100], v[97:98], -v[69:70]
	v_mul_f64 v[99:100], v[99:100], v[71:72]
	v_add_f64 v[61:62], v[61:62], -v[69:70]
	v_fma_f64 v[99:100], v[101:102], v[97:98], v[99:100]
	v_add_f64 v[63:64], v[63:64], -v[99:100]
	;; [unrolled: 8-line block ×16, first 2 shown]
	ds_read2_b64 v[99:102], v125 offset0:60 offset1:61
	buffer_load_dword v0, off, s[20:23], 0  ; 4-byte Folded Reload
	buffer_load_dword v1, off, s[20:23], 0 offset:4 ; 4-byte Folded Reload
	buffer_load_dword v2, off, s[20:23], 0 offset:8 ; 4-byte Folded Reload
	;; [unrolled: 1-line block ×3, first 2 shown]
	s_waitcnt lgkmcnt(0)
	v_mul_f64 v[69:70], v[101:102], v[71:72]
	v_fma_f64 v[69:70], v[99:100], v[97:98], -v[69:70]
	v_mul_f64 v[99:100], v[99:100], v[71:72]
	v_fma_f64 v[99:100], v[101:102], v[97:98], v[99:100]
	s_waitcnt vmcnt(2)
	v_add_f64 v[0:1], v[0:1], -v[69:70]
	s_waitcnt vmcnt(0)
	v_add_f64 v[2:3], v[2:3], -v[99:100]
	buffer_store_dword v0, off, s[20:23], 0 ; 4-byte Folded Spill
	s_nop 0
	buffer_store_dword v1, off, s[20:23], 0 offset:4 ; 4-byte Folded Spill
	buffer_store_dword v2, off, s[20:23], 0 offset:8 ; 4-byte Folded Spill
	;; [unrolled: 1-line block ×3, first 2 shown]
	ds_read2_b64 v[99:102], v125 offset0:62 offset1:63
	s_waitcnt lgkmcnt(0)
	v_mul_f64 v[69:70], v[101:102], v[71:72]
	v_fma_f64 v[69:70], v[99:100], v[97:98], -v[69:70]
	v_mul_f64 v[99:100], v[99:100], v[71:72]
	v_add_f64 v[109:110], v[109:110], -v[69:70]
	v_fma_f64 v[99:100], v[101:102], v[97:98], v[99:100]
	v_mov_b32_e32 v69, v97
	v_mov_b32_e32 v70, v98
	v_add_f64 v[111:112], v[111:112], -v[99:100]
.LBB63_127:
	s_or_b64 exec, exec, s[2:3]
	v_cmp_eq_u32_e32 vcc, 14, v126
	s_waitcnt vmcnt(0)
	s_barrier
	s_and_saveexec_b64 s[4:5], vcc
	s_cbranch_execz .LBB63_134
; %bb.128:
	ds_write2_b64 v127, v[65:66], v[67:68] offset1:1
	ds_write2_b64 v125, v[61:62], v[63:64] offset0:30 offset1:31
	ds_write2_b64 v125, v[57:58], v[59:60] offset0:32 offset1:33
	;; [unrolled: 1-line block ×15, first 2 shown]
	buffer_load_dword v0, off, s[20:23], 0  ; 4-byte Folded Reload
	buffer_load_dword v1, off, s[20:23], 0 offset:4 ; 4-byte Folded Reload
	buffer_load_dword v2, off, s[20:23], 0 offset:8 ; 4-byte Folded Reload
	;; [unrolled: 1-line block ×3, first 2 shown]
	s_waitcnt vmcnt(0)
	ds_write2_b64 v125, v[0:1], v[2:3] offset0:60 offset1:61
	ds_write2_b64 v125, v[109:110], v[111:112] offset0:62 offset1:63
	ds_read2_b64 v[97:100], v127 offset1:1
	s_waitcnt lgkmcnt(0)
	v_cmp_neq_f64_e32 vcc, 0, v[97:98]
	v_cmp_neq_f64_e64 s[2:3], 0, v[99:100]
	s_or_b64 s[2:3], vcc, s[2:3]
	s_and_b64 exec, exec, s[2:3]
	s_cbranch_execz .LBB63_134
; %bb.129:
	v_cmp_ngt_f64_e64 s[2:3], |v[97:98]|, |v[99:100]|
                                        ; implicit-def: $vgpr101_vgpr102
	s_and_saveexec_b64 s[6:7], s[2:3]
	s_xor_b64 s[2:3], exec, s[6:7]
                                        ; implicit-def: $vgpr103_vgpr104
	s_cbranch_execz .LBB63_131
; %bb.130:
	v_div_scale_f64 v[101:102], s[6:7], v[99:100], v[99:100], v[97:98]
	v_rcp_f64_e32 v[103:104], v[101:102]
	v_fma_f64 v[105:106], -v[101:102], v[103:104], 1.0
	v_fma_f64 v[103:104], v[103:104], v[105:106], v[103:104]
	v_div_scale_f64 v[105:106], vcc, v[97:98], v[99:100], v[97:98]
	v_fma_f64 v[107:108], -v[101:102], v[103:104], 1.0
	v_fma_f64 v[103:104], v[103:104], v[107:108], v[103:104]
	v_mul_f64 v[107:108], v[105:106], v[103:104]
	v_fma_f64 v[101:102], -v[101:102], v[107:108], v[105:106]
	v_div_fmas_f64 v[101:102], v[101:102], v[103:104], v[107:108]
	v_div_fixup_f64 v[101:102], v[101:102], v[99:100], v[97:98]
	v_fma_f64 v[97:98], v[97:98], v[101:102], v[99:100]
	v_div_scale_f64 v[99:100], s[6:7], v[97:98], v[97:98], 1.0
	v_div_scale_f64 v[107:108], vcc, 1.0, v[97:98], 1.0
	v_rcp_f64_e32 v[103:104], v[99:100]
	v_fma_f64 v[105:106], -v[99:100], v[103:104], 1.0
	v_fma_f64 v[103:104], v[103:104], v[105:106], v[103:104]
	v_fma_f64 v[105:106], -v[99:100], v[103:104], 1.0
	v_fma_f64 v[103:104], v[103:104], v[105:106], v[103:104]
	v_mul_f64 v[105:106], v[107:108], v[103:104]
	v_fma_f64 v[99:100], -v[99:100], v[105:106], v[107:108]
	v_div_fmas_f64 v[99:100], v[99:100], v[103:104], v[105:106]
	v_div_fixup_f64 v[103:104], v[99:100], v[97:98], 1.0
                                        ; implicit-def: $vgpr97_vgpr98
	v_mul_f64 v[101:102], v[101:102], v[103:104]
	v_xor_b32_e32 v104, 0x80000000, v104
.LBB63_131:
	s_andn2_saveexec_b64 s[2:3], s[2:3]
	s_cbranch_execz .LBB63_133
; %bb.132:
	v_div_scale_f64 v[101:102], s[6:7], v[97:98], v[97:98], v[99:100]
	v_rcp_f64_e32 v[103:104], v[101:102]
	v_fma_f64 v[105:106], -v[101:102], v[103:104], 1.0
	v_fma_f64 v[103:104], v[103:104], v[105:106], v[103:104]
	v_div_scale_f64 v[105:106], vcc, v[99:100], v[97:98], v[99:100]
	v_fma_f64 v[107:108], -v[101:102], v[103:104], 1.0
	v_fma_f64 v[103:104], v[103:104], v[107:108], v[103:104]
	v_mul_f64 v[107:108], v[105:106], v[103:104]
	v_fma_f64 v[101:102], -v[101:102], v[107:108], v[105:106]
	v_div_fmas_f64 v[101:102], v[101:102], v[103:104], v[107:108]
	v_div_fixup_f64 v[103:104], v[101:102], v[97:98], v[99:100]
	v_fma_f64 v[97:98], v[99:100], v[103:104], v[97:98]
	v_div_scale_f64 v[99:100], s[6:7], v[97:98], v[97:98], 1.0
	v_div_scale_f64 v[107:108], vcc, 1.0, v[97:98], 1.0
	v_rcp_f64_e32 v[101:102], v[99:100]
	v_fma_f64 v[105:106], -v[99:100], v[101:102], 1.0
	v_fma_f64 v[101:102], v[101:102], v[105:106], v[101:102]
	v_fma_f64 v[105:106], -v[99:100], v[101:102], 1.0
	v_fma_f64 v[101:102], v[101:102], v[105:106], v[101:102]
	v_mul_f64 v[105:106], v[107:108], v[101:102]
	v_fma_f64 v[99:100], -v[99:100], v[105:106], v[107:108]
	v_div_fmas_f64 v[99:100], v[99:100], v[101:102], v[105:106]
	v_div_fixup_f64 v[101:102], v[99:100], v[97:98], 1.0
	v_mul_f64 v[103:104], v[103:104], -v[101:102]
.LBB63_133:
	s_or_b64 exec, exec, s[2:3]
	ds_write2_b64 v127, v[101:102], v[103:104] offset1:1
.LBB63_134:
	s_or_b64 exec, exec, s[4:5]
	s_waitcnt lgkmcnt(0)
	s_barrier
	ds_read2_b64 v[97:100], v127 offset1:1
	v_cmp_lt_u32_e32 vcc, 14, v126
	s_waitcnt lgkmcnt(0)
	buffer_store_dword v97, off, s[20:23], 0 offset:688 ; 4-byte Folded Spill
	s_nop 0
	buffer_store_dword v98, off, s[20:23], 0 offset:692 ; 4-byte Folded Spill
	buffer_store_dword v99, off, s[20:23], 0 offset:696 ; 4-byte Folded Spill
	;; [unrolled: 1-line block ×3, first 2 shown]
	s_and_saveexec_b64 s[2:3], vcc
	s_cbranch_execz .LBB63_136
; %bb.135:
	buffer_load_dword v99, off, s[20:23], 0 offset:688 ; 4-byte Folded Reload
	buffer_load_dword v100, off, s[20:23], 0 offset:692 ; 4-byte Folded Reload
	;; [unrolled: 1-line block ×4, first 2 shown]
	s_waitcnt vmcnt(0)
	v_mul_f64 v[97:98], v[101:102], v[67:68]
	v_mul_f64 v[67:68], v[99:100], v[67:68]
	v_fma_f64 v[97:98], v[99:100], v[65:66], -v[97:98]
	v_fma_f64 v[67:68], v[101:102], v[65:66], v[67:68]
	ds_read2_b64 v[99:102], v125 offset0:30 offset1:31
	s_waitcnt lgkmcnt(0)
	v_mul_f64 v[65:66], v[101:102], v[67:68]
	v_fma_f64 v[65:66], v[99:100], v[97:98], -v[65:66]
	v_mul_f64 v[99:100], v[99:100], v[67:68]
	v_add_f64 v[61:62], v[61:62], -v[65:66]
	v_fma_f64 v[99:100], v[101:102], v[97:98], v[99:100]
	v_add_f64 v[63:64], v[63:64], -v[99:100]
	ds_read2_b64 v[99:102], v125 offset0:32 offset1:33
	s_waitcnt lgkmcnt(0)
	v_mul_f64 v[65:66], v[101:102], v[67:68]
	v_fma_f64 v[65:66], v[99:100], v[97:98], -v[65:66]
	v_mul_f64 v[99:100], v[99:100], v[67:68]
	v_add_f64 v[57:58], v[57:58], -v[65:66]
	v_fma_f64 v[99:100], v[101:102], v[97:98], v[99:100]
	v_add_f64 v[59:60], v[59:60], -v[99:100]
	;; [unrolled: 8-line block ×15, first 2 shown]
	ds_read2_b64 v[99:102], v125 offset0:60 offset1:61
	buffer_load_dword v0, off, s[20:23], 0  ; 4-byte Folded Reload
	buffer_load_dword v1, off, s[20:23], 0 offset:4 ; 4-byte Folded Reload
	buffer_load_dword v2, off, s[20:23], 0 offset:8 ; 4-byte Folded Reload
	;; [unrolled: 1-line block ×3, first 2 shown]
	s_waitcnt lgkmcnt(0)
	v_mul_f64 v[65:66], v[101:102], v[67:68]
	v_fma_f64 v[65:66], v[99:100], v[97:98], -v[65:66]
	v_mul_f64 v[99:100], v[99:100], v[67:68]
	v_fma_f64 v[99:100], v[101:102], v[97:98], v[99:100]
	s_waitcnt vmcnt(2)
	v_add_f64 v[0:1], v[0:1], -v[65:66]
	s_waitcnt vmcnt(0)
	v_add_f64 v[2:3], v[2:3], -v[99:100]
	buffer_store_dword v0, off, s[20:23], 0 ; 4-byte Folded Spill
	s_nop 0
	buffer_store_dword v1, off, s[20:23], 0 offset:4 ; 4-byte Folded Spill
	buffer_store_dword v2, off, s[20:23], 0 offset:8 ; 4-byte Folded Spill
	;; [unrolled: 1-line block ×3, first 2 shown]
	ds_read2_b64 v[99:102], v125 offset0:62 offset1:63
	s_waitcnt lgkmcnt(0)
	v_mul_f64 v[65:66], v[101:102], v[67:68]
	v_fma_f64 v[65:66], v[99:100], v[97:98], -v[65:66]
	v_mul_f64 v[99:100], v[99:100], v[67:68]
	v_add_f64 v[109:110], v[109:110], -v[65:66]
	v_fma_f64 v[99:100], v[101:102], v[97:98], v[99:100]
	v_mov_b32_e32 v65, v97
	v_mov_b32_e32 v66, v98
	v_add_f64 v[111:112], v[111:112], -v[99:100]
.LBB63_136:
	s_or_b64 exec, exec, s[2:3]
	v_cmp_eq_u32_e32 vcc, 15, v126
	s_waitcnt vmcnt(0)
	s_barrier
	s_and_saveexec_b64 s[4:5], vcc
	s_cbranch_execz .LBB63_143
; %bb.137:
	ds_write2_b64 v127, v[61:62], v[63:64] offset1:1
	ds_write2_b64 v125, v[57:58], v[59:60] offset0:32 offset1:33
	ds_write2_b64 v125, v[53:54], v[55:56] offset0:34 offset1:35
	;; [unrolled: 1-line block ×14, first 2 shown]
	buffer_load_dword v0, off, s[20:23], 0  ; 4-byte Folded Reload
	buffer_load_dword v1, off, s[20:23], 0 offset:4 ; 4-byte Folded Reload
	buffer_load_dword v2, off, s[20:23], 0 offset:8 ; 4-byte Folded Reload
	;; [unrolled: 1-line block ×3, first 2 shown]
	s_waitcnt vmcnt(0)
	ds_write2_b64 v125, v[0:1], v[2:3] offset0:60 offset1:61
	ds_write2_b64 v125, v[109:110], v[111:112] offset0:62 offset1:63
	ds_read2_b64 v[97:100], v127 offset1:1
	s_waitcnt lgkmcnt(0)
	v_cmp_neq_f64_e32 vcc, 0, v[97:98]
	v_cmp_neq_f64_e64 s[2:3], 0, v[99:100]
	s_or_b64 s[2:3], vcc, s[2:3]
	s_and_b64 exec, exec, s[2:3]
	s_cbranch_execz .LBB63_143
; %bb.138:
	v_cmp_ngt_f64_e64 s[2:3], |v[97:98]|, |v[99:100]|
                                        ; implicit-def: $vgpr101_vgpr102
	s_and_saveexec_b64 s[6:7], s[2:3]
	s_xor_b64 s[2:3], exec, s[6:7]
                                        ; implicit-def: $vgpr103_vgpr104
	s_cbranch_execz .LBB63_140
; %bb.139:
	v_div_scale_f64 v[101:102], s[6:7], v[99:100], v[99:100], v[97:98]
	v_rcp_f64_e32 v[103:104], v[101:102]
	v_fma_f64 v[105:106], -v[101:102], v[103:104], 1.0
	v_fma_f64 v[103:104], v[103:104], v[105:106], v[103:104]
	v_div_scale_f64 v[105:106], vcc, v[97:98], v[99:100], v[97:98]
	v_fma_f64 v[107:108], -v[101:102], v[103:104], 1.0
	v_fma_f64 v[103:104], v[103:104], v[107:108], v[103:104]
	v_mul_f64 v[107:108], v[105:106], v[103:104]
	v_fma_f64 v[101:102], -v[101:102], v[107:108], v[105:106]
	v_div_fmas_f64 v[101:102], v[101:102], v[103:104], v[107:108]
	v_div_fixup_f64 v[101:102], v[101:102], v[99:100], v[97:98]
	v_fma_f64 v[97:98], v[97:98], v[101:102], v[99:100]
	v_div_scale_f64 v[99:100], s[6:7], v[97:98], v[97:98], 1.0
	v_div_scale_f64 v[107:108], vcc, 1.0, v[97:98], 1.0
	v_rcp_f64_e32 v[103:104], v[99:100]
	v_fma_f64 v[105:106], -v[99:100], v[103:104], 1.0
	v_fma_f64 v[103:104], v[103:104], v[105:106], v[103:104]
	v_fma_f64 v[105:106], -v[99:100], v[103:104], 1.0
	v_fma_f64 v[103:104], v[103:104], v[105:106], v[103:104]
	v_mul_f64 v[105:106], v[107:108], v[103:104]
	v_fma_f64 v[99:100], -v[99:100], v[105:106], v[107:108]
	v_div_fmas_f64 v[99:100], v[99:100], v[103:104], v[105:106]
	v_div_fixup_f64 v[103:104], v[99:100], v[97:98], 1.0
                                        ; implicit-def: $vgpr97_vgpr98
	v_mul_f64 v[101:102], v[101:102], v[103:104]
	v_xor_b32_e32 v104, 0x80000000, v104
.LBB63_140:
	s_andn2_saveexec_b64 s[2:3], s[2:3]
	s_cbranch_execz .LBB63_142
; %bb.141:
	v_div_scale_f64 v[101:102], s[6:7], v[97:98], v[97:98], v[99:100]
	v_rcp_f64_e32 v[103:104], v[101:102]
	v_fma_f64 v[105:106], -v[101:102], v[103:104], 1.0
	v_fma_f64 v[103:104], v[103:104], v[105:106], v[103:104]
	v_div_scale_f64 v[105:106], vcc, v[99:100], v[97:98], v[99:100]
	v_fma_f64 v[107:108], -v[101:102], v[103:104], 1.0
	v_fma_f64 v[103:104], v[103:104], v[107:108], v[103:104]
	v_mul_f64 v[107:108], v[105:106], v[103:104]
	v_fma_f64 v[101:102], -v[101:102], v[107:108], v[105:106]
	v_div_fmas_f64 v[101:102], v[101:102], v[103:104], v[107:108]
	v_div_fixup_f64 v[103:104], v[101:102], v[97:98], v[99:100]
	v_fma_f64 v[97:98], v[99:100], v[103:104], v[97:98]
	v_div_scale_f64 v[99:100], s[6:7], v[97:98], v[97:98], 1.0
	v_div_scale_f64 v[107:108], vcc, 1.0, v[97:98], 1.0
	v_rcp_f64_e32 v[101:102], v[99:100]
	v_fma_f64 v[105:106], -v[99:100], v[101:102], 1.0
	v_fma_f64 v[101:102], v[101:102], v[105:106], v[101:102]
	v_fma_f64 v[105:106], -v[99:100], v[101:102], 1.0
	v_fma_f64 v[101:102], v[101:102], v[105:106], v[101:102]
	v_mul_f64 v[105:106], v[107:108], v[101:102]
	v_fma_f64 v[99:100], -v[99:100], v[105:106], v[107:108]
	v_div_fmas_f64 v[99:100], v[99:100], v[101:102], v[105:106]
	v_div_fixup_f64 v[101:102], v[99:100], v[97:98], 1.0
	v_mul_f64 v[103:104], v[103:104], -v[101:102]
.LBB63_142:
	s_or_b64 exec, exec, s[2:3]
	ds_write2_b64 v127, v[101:102], v[103:104] offset1:1
.LBB63_143:
	s_or_b64 exec, exec, s[4:5]
	s_waitcnt lgkmcnt(0)
	s_barrier
	ds_read2_b64 v[97:100], v127 offset1:1
	v_cmp_lt_u32_e32 vcc, 15, v126
	s_waitcnt lgkmcnt(0)
	buffer_store_dword v97, off, s[20:23], 0 offset:704 ; 4-byte Folded Spill
	s_nop 0
	buffer_store_dword v98, off, s[20:23], 0 offset:708 ; 4-byte Folded Spill
	buffer_store_dword v99, off, s[20:23], 0 offset:712 ; 4-byte Folded Spill
	;; [unrolled: 1-line block ×3, first 2 shown]
	s_and_saveexec_b64 s[2:3], vcc
	s_cbranch_execz .LBB63_145
; %bb.144:
	buffer_load_dword v99, off, s[20:23], 0 offset:704 ; 4-byte Folded Reload
	buffer_load_dword v100, off, s[20:23], 0 offset:708 ; 4-byte Folded Reload
	;; [unrolled: 1-line block ×4, first 2 shown]
	s_waitcnt vmcnt(2)
	v_mul_f64 v[97:98], v[99:100], v[63:64]
	s_waitcnt vmcnt(0)
	v_mul_f64 v[63:64], v[101:102], v[63:64]
	v_fma_f64 v[97:98], v[101:102], v[61:62], v[97:98]
	v_fma_f64 v[61:62], v[99:100], v[61:62], -v[63:64]
	ds_read2_b64 v[99:102], v125 offset0:32 offset1:33
	s_waitcnt lgkmcnt(0)
	v_mul_f64 v[63:64], v[101:102], v[97:98]
	v_fma_f64 v[63:64], v[99:100], v[61:62], -v[63:64]
	v_mul_f64 v[99:100], v[99:100], v[97:98]
	v_add_f64 v[57:58], v[57:58], -v[63:64]
	v_fma_f64 v[99:100], v[101:102], v[61:62], v[99:100]
	v_add_f64 v[59:60], v[59:60], -v[99:100]
	ds_read2_b64 v[99:102], v125 offset0:34 offset1:35
	s_waitcnt lgkmcnt(0)
	v_mul_f64 v[63:64], v[101:102], v[97:98]
	v_fma_f64 v[63:64], v[99:100], v[61:62], -v[63:64]
	v_mul_f64 v[99:100], v[99:100], v[97:98]
	v_add_f64 v[53:54], v[53:54], -v[63:64]
	v_fma_f64 v[99:100], v[101:102], v[61:62], v[99:100]
	v_add_f64 v[55:56], v[55:56], -v[99:100]
	;; [unrolled: 8-line block ×14, first 2 shown]
	ds_read2_b64 v[99:102], v125 offset0:60 offset1:61
	buffer_load_dword v0, off, s[20:23], 0  ; 4-byte Folded Reload
	buffer_load_dword v1, off, s[20:23], 0 offset:4 ; 4-byte Folded Reload
	buffer_load_dword v2, off, s[20:23], 0 offset:8 ; 4-byte Folded Reload
	;; [unrolled: 1-line block ×3, first 2 shown]
	s_waitcnt lgkmcnt(0)
	v_mul_f64 v[63:64], v[101:102], v[97:98]
	v_fma_f64 v[63:64], v[99:100], v[61:62], -v[63:64]
	v_mul_f64 v[99:100], v[99:100], v[97:98]
	v_fma_f64 v[99:100], v[101:102], v[61:62], v[99:100]
	s_waitcnt vmcnt(2)
	v_add_f64 v[0:1], v[0:1], -v[63:64]
	s_waitcnt vmcnt(0)
	v_add_f64 v[2:3], v[2:3], -v[99:100]
	buffer_store_dword v0, off, s[20:23], 0 ; 4-byte Folded Spill
	s_nop 0
	buffer_store_dword v1, off, s[20:23], 0 offset:4 ; 4-byte Folded Spill
	buffer_store_dword v2, off, s[20:23], 0 offset:8 ; 4-byte Folded Spill
	buffer_store_dword v3, off, s[20:23], 0 offset:12 ; 4-byte Folded Spill
	ds_read2_b64 v[99:102], v125 offset0:62 offset1:63
	s_waitcnt lgkmcnt(0)
	v_mul_f64 v[63:64], v[101:102], v[97:98]
	v_fma_f64 v[63:64], v[99:100], v[61:62], -v[63:64]
	v_mul_f64 v[99:100], v[99:100], v[97:98]
	v_add_f64 v[109:110], v[109:110], -v[63:64]
	v_fma_f64 v[99:100], v[101:102], v[61:62], v[99:100]
	v_mov_b32_e32 v63, v97
	v_mov_b32_e32 v64, v98
	v_add_f64 v[111:112], v[111:112], -v[99:100]
.LBB63_145:
	s_or_b64 exec, exec, s[2:3]
	v_cmp_eq_u32_e32 vcc, 16, v126
	s_waitcnt vmcnt(0)
	s_barrier
	s_and_saveexec_b64 s[4:5], vcc
	s_cbranch_execz .LBB63_152
; %bb.146:
	ds_write2_b64 v127, v[57:58], v[59:60] offset1:1
	ds_write2_b64 v125, v[53:54], v[55:56] offset0:34 offset1:35
	ds_write2_b64 v125, v[49:50], v[51:52] offset0:36 offset1:37
	;; [unrolled: 1-line block ×13, first 2 shown]
	buffer_load_dword v0, off, s[20:23], 0  ; 4-byte Folded Reload
	buffer_load_dword v1, off, s[20:23], 0 offset:4 ; 4-byte Folded Reload
	buffer_load_dword v2, off, s[20:23], 0 offset:8 ; 4-byte Folded Reload
	;; [unrolled: 1-line block ×3, first 2 shown]
	s_waitcnt vmcnt(0)
	ds_write2_b64 v125, v[0:1], v[2:3] offset0:60 offset1:61
	ds_write2_b64 v125, v[109:110], v[111:112] offset0:62 offset1:63
	ds_read2_b64 v[97:100], v127 offset1:1
	s_waitcnt lgkmcnt(0)
	v_cmp_neq_f64_e32 vcc, 0, v[97:98]
	v_cmp_neq_f64_e64 s[2:3], 0, v[99:100]
	s_or_b64 s[2:3], vcc, s[2:3]
	s_and_b64 exec, exec, s[2:3]
	s_cbranch_execz .LBB63_152
; %bb.147:
	v_cmp_ngt_f64_e64 s[2:3], |v[97:98]|, |v[99:100]|
                                        ; implicit-def: $vgpr101_vgpr102
	s_and_saveexec_b64 s[6:7], s[2:3]
	s_xor_b64 s[2:3], exec, s[6:7]
                                        ; implicit-def: $vgpr103_vgpr104
	s_cbranch_execz .LBB63_149
; %bb.148:
	v_div_scale_f64 v[101:102], s[6:7], v[99:100], v[99:100], v[97:98]
	v_rcp_f64_e32 v[103:104], v[101:102]
	v_fma_f64 v[105:106], -v[101:102], v[103:104], 1.0
	v_fma_f64 v[103:104], v[103:104], v[105:106], v[103:104]
	v_div_scale_f64 v[105:106], vcc, v[97:98], v[99:100], v[97:98]
	v_fma_f64 v[107:108], -v[101:102], v[103:104], 1.0
	v_fma_f64 v[103:104], v[103:104], v[107:108], v[103:104]
	v_mul_f64 v[107:108], v[105:106], v[103:104]
	v_fma_f64 v[101:102], -v[101:102], v[107:108], v[105:106]
	v_div_fmas_f64 v[101:102], v[101:102], v[103:104], v[107:108]
	v_div_fixup_f64 v[101:102], v[101:102], v[99:100], v[97:98]
	v_fma_f64 v[97:98], v[97:98], v[101:102], v[99:100]
	v_div_scale_f64 v[99:100], s[6:7], v[97:98], v[97:98], 1.0
	v_div_scale_f64 v[107:108], vcc, 1.0, v[97:98], 1.0
	v_rcp_f64_e32 v[103:104], v[99:100]
	v_fma_f64 v[105:106], -v[99:100], v[103:104], 1.0
	v_fma_f64 v[103:104], v[103:104], v[105:106], v[103:104]
	v_fma_f64 v[105:106], -v[99:100], v[103:104], 1.0
	v_fma_f64 v[103:104], v[103:104], v[105:106], v[103:104]
	v_mul_f64 v[105:106], v[107:108], v[103:104]
	v_fma_f64 v[99:100], -v[99:100], v[105:106], v[107:108]
	v_div_fmas_f64 v[99:100], v[99:100], v[103:104], v[105:106]
	v_div_fixup_f64 v[103:104], v[99:100], v[97:98], 1.0
                                        ; implicit-def: $vgpr97_vgpr98
	v_mul_f64 v[101:102], v[101:102], v[103:104]
	v_xor_b32_e32 v104, 0x80000000, v104
.LBB63_149:
	s_andn2_saveexec_b64 s[2:3], s[2:3]
	s_cbranch_execz .LBB63_151
; %bb.150:
	v_div_scale_f64 v[101:102], s[6:7], v[97:98], v[97:98], v[99:100]
	v_rcp_f64_e32 v[103:104], v[101:102]
	v_fma_f64 v[105:106], -v[101:102], v[103:104], 1.0
	v_fma_f64 v[103:104], v[103:104], v[105:106], v[103:104]
	v_div_scale_f64 v[105:106], vcc, v[99:100], v[97:98], v[99:100]
	v_fma_f64 v[107:108], -v[101:102], v[103:104], 1.0
	v_fma_f64 v[103:104], v[103:104], v[107:108], v[103:104]
	v_mul_f64 v[107:108], v[105:106], v[103:104]
	v_fma_f64 v[101:102], -v[101:102], v[107:108], v[105:106]
	v_div_fmas_f64 v[101:102], v[101:102], v[103:104], v[107:108]
	v_div_fixup_f64 v[103:104], v[101:102], v[97:98], v[99:100]
	v_fma_f64 v[97:98], v[99:100], v[103:104], v[97:98]
	v_div_scale_f64 v[99:100], s[6:7], v[97:98], v[97:98], 1.0
	v_div_scale_f64 v[107:108], vcc, 1.0, v[97:98], 1.0
	v_rcp_f64_e32 v[101:102], v[99:100]
	v_fma_f64 v[105:106], -v[99:100], v[101:102], 1.0
	v_fma_f64 v[101:102], v[101:102], v[105:106], v[101:102]
	v_fma_f64 v[105:106], -v[99:100], v[101:102], 1.0
	v_fma_f64 v[101:102], v[101:102], v[105:106], v[101:102]
	v_mul_f64 v[105:106], v[107:108], v[101:102]
	v_fma_f64 v[99:100], -v[99:100], v[105:106], v[107:108]
	v_div_fmas_f64 v[99:100], v[99:100], v[101:102], v[105:106]
	v_div_fixup_f64 v[101:102], v[99:100], v[97:98], 1.0
	v_mul_f64 v[103:104], v[103:104], -v[101:102]
.LBB63_151:
	s_or_b64 exec, exec, s[2:3]
	ds_write2_b64 v127, v[101:102], v[103:104] offset1:1
.LBB63_152:
	s_or_b64 exec, exec, s[4:5]
	s_waitcnt lgkmcnt(0)
	s_barrier
	ds_read2_b64 v[97:100], v127 offset1:1
	v_cmp_lt_u32_e32 vcc, 16, v126
	s_waitcnt lgkmcnt(0)
	buffer_store_dword v97, off, s[20:23], 0 offset:720 ; 4-byte Folded Spill
	s_nop 0
	buffer_store_dword v98, off, s[20:23], 0 offset:724 ; 4-byte Folded Spill
	buffer_store_dword v99, off, s[20:23], 0 offset:728 ; 4-byte Folded Spill
	;; [unrolled: 1-line block ×3, first 2 shown]
	s_and_saveexec_b64 s[2:3], vcc
	s_cbranch_execz .LBB63_154
; %bb.153:
	buffer_load_dword v99, off, s[20:23], 0 offset:720 ; 4-byte Folded Reload
	buffer_load_dword v100, off, s[20:23], 0 offset:724 ; 4-byte Folded Reload
	;; [unrolled: 1-line block ×4, first 2 shown]
	s_waitcnt vmcnt(2)
	v_mul_f64 v[97:98], v[99:100], v[59:60]
	s_waitcnt vmcnt(0)
	v_mul_f64 v[59:60], v[101:102], v[59:60]
	v_fma_f64 v[97:98], v[101:102], v[57:58], v[97:98]
	v_fma_f64 v[57:58], v[99:100], v[57:58], -v[59:60]
	ds_read2_b64 v[99:102], v125 offset0:34 offset1:35
	s_waitcnt lgkmcnt(0)
	v_mul_f64 v[59:60], v[101:102], v[97:98]
	v_fma_f64 v[59:60], v[99:100], v[57:58], -v[59:60]
	v_mul_f64 v[99:100], v[99:100], v[97:98]
	v_add_f64 v[53:54], v[53:54], -v[59:60]
	v_fma_f64 v[99:100], v[101:102], v[57:58], v[99:100]
	v_add_f64 v[55:56], v[55:56], -v[99:100]
	ds_read2_b64 v[99:102], v125 offset0:36 offset1:37
	s_waitcnt lgkmcnt(0)
	v_mul_f64 v[59:60], v[101:102], v[97:98]
	v_fma_f64 v[59:60], v[99:100], v[57:58], -v[59:60]
	v_mul_f64 v[99:100], v[99:100], v[97:98]
	v_add_f64 v[49:50], v[49:50], -v[59:60]
	v_fma_f64 v[99:100], v[101:102], v[57:58], v[99:100]
	v_add_f64 v[51:52], v[51:52], -v[99:100]
	;; [unrolled: 8-line block ×13, first 2 shown]
	ds_read2_b64 v[99:102], v125 offset0:60 offset1:61
	buffer_load_dword v0, off, s[20:23], 0  ; 4-byte Folded Reload
	buffer_load_dword v1, off, s[20:23], 0 offset:4 ; 4-byte Folded Reload
	buffer_load_dword v2, off, s[20:23], 0 offset:8 ; 4-byte Folded Reload
	buffer_load_dword v3, off, s[20:23], 0 offset:12 ; 4-byte Folded Reload
	s_waitcnt lgkmcnt(0)
	v_mul_f64 v[59:60], v[101:102], v[97:98]
	v_fma_f64 v[59:60], v[99:100], v[57:58], -v[59:60]
	v_mul_f64 v[99:100], v[99:100], v[97:98]
	v_fma_f64 v[99:100], v[101:102], v[57:58], v[99:100]
	s_waitcnt vmcnt(2)
	v_add_f64 v[0:1], v[0:1], -v[59:60]
	s_waitcnt vmcnt(0)
	v_add_f64 v[2:3], v[2:3], -v[99:100]
	buffer_store_dword v0, off, s[20:23], 0 ; 4-byte Folded Spill
	s_nop 0
	buffer_store_dword v1, off, s[20:23], 0 offset:4 ; 4-byte Folded Spill
	buffer_store_dword v2, off, s[20:23], 0 offset:8 ; 4-byte Folded Spill
	;; [unrolled: 1-line block ×3, first 2 shown]
	ds_read2_b64 v[99:102], v125 offset0:62 offset1:63
	s_waitcnt lgkmcnt(0)
	v_mul_f64 v[59:60], v[101:102], v[97:98]
	v_fma_f64 v[59:60], v[99:100], v[57:58], -v[59:60]
	v_mul_f64 v[99:100], v[99:100], v[97:98]
	v_add_f64 v[109:110], v[109:110], -v[59:60]
	v_fma_f64 v[99:100], v[101:102], v[57:58], v[99:100]
	v_mov_b32_e32 v59, v97
	v_mov_b32_e32 v60, v98
	v_add_f64 v[111:112], v[111:112], -v[99:100]
.LBB63_154:
	s_or_b64 exec, exec, s[2:3]
	v_cmp_eq_u32_e32 vcc, 17, v126
	s_waitcnt vmcnt(0)
	s_barrier
	s_and_saveexec_b64 s[4:5], vcc
	s_cbranch_execz .LBB63_161
; %bb.155:
	ds_write2_b64 v127, v[53:54], v[55:56] offset1:1
	ds_write2_b64 v125, v[49:50], v[51:52] offset0:36 offset1:37
	ds_write2_b64 v125, v[45:46], v[47:48] offset0:38 offset1:39
	ds_write2_b64 v125, v[41:42], v[43:44] offset0:40 offset1:41
	ds_write2_b64 v125, v[37:38], v[39:40] offset0:42 offset1:43
	ds_write2_b64 v125, v[33:34], v[35:36] offset0:44 offset1:45
	ds_write2_b64 v125, v[29:30], v[31:32] offset0:46 offset1:47
	ds_write2_b64 v125, v[25:26], v[27:28] offset0:48 offset1:49
	ds_write2_b64 v125, v[21:22], v[23:24] offset0:50 offset1:51
	ds_write2_b64 v125, v[17:18], v[19:20] offset0:52 offset1:53
	ds_write2_b64 v125, v[13:14], v[15:16] offset0:54 offset1:55
	ds_write2_b64 v125, v[9:10], v[11:12] offset0:56 offset1:57
	ds_write2_b64 v125, v[5:6], v[7:8] offset0:58 offset1:59
	buffer_load_dword v0, off, s[20:23], 0  ; 4-byte Folded Reload
	buffer_load_dword v1, off, s[20:23], 0 offset:4 ; 4-byte Folded Reload
	buffer_load_dword v2, off, s[20:23], 0 offset:8 ; 4-byte Folded Reload
	;; [unrolled: 1-line block ×3, first 2 shown]
	s_waitcnt vmcnt(0)
	ds_write2_b64 v125, v[0:1], v[2:3] offset0:60 offset1:61
	ds_write2_b64 v125, v[109:110], v[111:112] offset0:62 offset1:63
	ds_read2_b64 v[97:100], v127 offset1:1
	s_waitcnt lgkmcnt(0)
	v_cmp_neq_f64_e32 vcc, 0, v[97:98]
	v_cmp_neq_f64_e64 s[2:3], 0, v[99:100]
	s_or_b64 s[2:3], vcc, s[2:3]
	s_and_b64 exec, exec, s[2:3]
	s_cbranch_execz .LBB63_161
; %bb.156:
	v_cmp_ngt_f64_e64 s[2:3], |v[97:98]|, |v[99:100]|
                                        ; implicit-def: $vgpr101_vgpr102
	s_and_saveexec_b64 s[6:7], s[2:3]
	s_xor_b64 s[2:3], exec, s[6:7]
                                        ; implicit-def: $vgpr103_vgpr104
	s_cbranch_execz .LBB63_158
; %bb.157:
	v_div_scale_f64 v[101:102], s[6:7], v[99:100], v[99:100], v[97:98]
	v_rcp_f64_e32 v[103:104], v[101:102]
	v_fma_f64 v[105:106], -v[101:102], v[103:104], 1.0
	v_fma_f64 v[103:104], v[103:104], v[105:106], v[103:104]
	v_div_scale_f64 v[105:106], vcc, v[97:98], v[99:100], v[97:98]
	v_fma_f64 v[107:108], -v[101:102], v[103:104], 1.0
	v_fma_f64 v[103:104], v[103:104], v[107:108], v[103:104]
	v_mul_f64 v[107:108], v[105:106], v[103:104]
	v_fma_f64 v[101:102], -v[101:102], v[107:108], v[105:106]
	v_div_fmas_f64 v[101:102], v[101:102], v[103:104], v[107:108]
	v_div_fixup_f64 v[101:102], v[101:102], v[99:100], v[97:98]
	v_fma_f64 v[97:98], v[97:98], v[101:102], v[99:100]
	v_div_scale_f64 v[99:100], s[6:7], v[97:98], v[97:98], 1.0
	v_div_scale_f64 v[107:108], vcc, 1.0, v[97:98], 1.0
	v_rcp_f64_e32 v[103:104], v[99:100]
	v_fma_f64 v[105:106], -v[99:100], v[103:104], 1.0
	v_fma_f64 v[103:104], v[103:104], v[105:106], v[103:104]
	v_fma_f64 v[105:106], -v[99:100], v[103:104], 1.0
	v_fma_f64 v[103:104], v[103:104], v[105:106], v[103:104]
	v_mul_f64 v[105:106], v[107:108], v[103:104]
	v_fma_f64 v[99:100], -v[99:100], v[105:106], v[107:108]
	v_div_fmas_f64 v[99:100], v[99:100], v[103:104], v[105:106]
	v_div_fixup_f64 v[103:104], v[99:100], v[97:98], 1.0
                                        ; implicit-def: $vgpr97_vgpr98
	v_mul_f64 v[101:102], v[101:102], v[103:104]
	v_xor_b32_e32 v104, 0x80000000, v104
.LBB63_158:
	s_andn2_saveexec_b64 s[2:3], s[2:3]
	s_cbranch_execz .LBB63_160
; %bb.159:
	v_div_scale_f64 v[101:102], s[6:7], v[97:98], v[97:98], v[99:100]
	v_rcp_f64_e32 v[103:104], v[101:102]
	v_fma_f64 v[105:106], -v[101:102], v[103:104], 1.0
	v_fma_f64 v[103:104], v[103:104], v[105:106], v[103:104]
	v_div_scale_f64 v[105:106], vcc, v[99:100], v[97:98], v[99:100]
	v_fma_f64 v[107:108], -v[101:102], v[103:104], 1.0
	v_fma_f64 v[103:104], v[103:104], v[107:108], v[103:104]
	v_mul_f64 v[107:108], v[105:106], v[103:104]
	v_fma_f64 v[101:102], -v[101:102], v[107:108], v[105:106]
	v_div_fmas_f64 v[101:102], v[101:102], v[103:104], v[107:108]
	v_div_fixup_f64 v[103:104], v[101:102], v[97:98], v[99:100]
	v_fma_f64 v[97:98], v[99:100], v[103:104], v[97:98]
	v_div_scale_f64 v[99:100], s[6:7], v[97:98], v[97:98], 1.0
	v_div_scale_f64 v[107:108], vcc, 1.0, v[97:98], 1.0
	v_rcp_f64_e32 v[101:102], v[99:100]
	v_fma_f64 v[105:106], -v[99:100], v[101:102], 1.0
	v_fma_f64 v[101:102], v[101:102], v[105:106], v[101:102]
	v_fma_f64 v[105:106], -v[99:100], v[101:102], 1.0
	v_fma_f64 v[101:102], v[101:102], v[105:106], v[101:102]
	v_mul_f64 v[105:106], v[107:108], v[101:102]
	v_fma_f64 v[99:100], -v[99:100], v[105:106], v[107:108]
	v_div_fmas_f64 v[99:100], v[99:100], v[101:102], v[105:106]
	v_div_fixup_f64 v[101:102], v[99:100], v[97:98], 1.0
	v_mul_f64 v[103:104], v[103:104], -v[101:102]
.LBB63_160:
	s_or_b64 exec, exec, s[2:3]
	ds_write2_b64 v127, v[101:102], v[103:104] offset1:1
.LBB63_161:
	s_or_b64 exec, exec, s[4:5]
	s_waitcnt lgkmcnt(0)
	s_barrier
	ds_read2_b64 v[97:100], v127 offset1:1
	v_cmp_lt_u32_e32 vcc, 17, v126
	s_waitcnt lgkmcnt(0)
	buffer_store_dword v97, off, s[20:23], 0 offset:736 ; 4-byte Folded Spill
	s_nop 0
	buffer_store_dword v98, off, s[20:23], 0 offset:740 ; 4-byte Folded Spill
	buffer_store_dword v99, off, s[20:23], 0 offset:744 ; 4-byte Folded Spill
	;; [unrolled: 1-line block ×3, first 2 shown]
	s_and_saveexec_b64 s[2:3], vcc
	s_cbranch_execz .LBB63_163
; %bb.162:
	buffer_load_dword v99, off, s[20:23], 0 offset:736 ; 4-byte Folded Reload
	buffer_load_dword v100, off, s[20:23], 0 offset:740 ; 4-byte Folded Reload
	;; [unrolled: 1-line block ×4, first 2 shown]
	s_waitcnt vmcnt(2)
	v_mul_f64 v[97:98], v[99:100], v[55:56]
	s_waitcnt vmcnt(0)
	v_mul_f64 v[55:56], v[101:102], v[55:56]
	v_fma_f64 v[97:98], v[101:102], v[53:54], v[97:98]
	v_fma_f64 v[53:54], v[99:100], v[53:54], -v[55:56]
	ds_read2_b64 v[99:102], v125 offset0:36 offset1:37
	s_waitcnt lgkmcnt(0)
	v_mul_f64 v[55:56], v[101:102], v[97:98]
	v_fma_f64 v[55:56], v[99:100], v[53:54], -v[55:56]
	v_mul_f64 v[99:100], v[99:100], v[97:98]
	v_add_f64 v[49:50], v[49:50], -v[55:56]
	v_fma_f64 v[99:100], v[101:102], v[53:54], v[99:100]
	v_add_f64 v[51:52], v[51:52], -v[99:100]
	ds_read2_b64 v[99:102], v125 offset0:38 offset1:39
	s_waitcnt lgkmcnt(0)
	v_mul_f64 v[55:56], v[101:102], v[97:98]
	v_fma_f64 v[55:56], v[99:100], v[53:54], -v[55:56]
	v_mul_f64 v[99:100], v[99:100], v[97:98]
	v_add_f64 v[45:46], v[45:46], -v[55:56]
	v_fma_f64 v[99:100], v[101:102], v[53:54], v[99:100]
	v_add_f64 v[47:48], v[47:48], -v[99:100]
	;; [unrolled: 8-line block ×12, first 2 shown]
	ds_read2_b64 v[99:102], v125 offset0:60 offset1:61
	buffer_load_dword v0, off, s[20:23], 0  ; 4-byte Folded Reload
	buffer_load_dword v1, off, s[20:23], 0 offset:4 ; 4-byte Folded Reload
	buffer_load_dword v2, off, s[20:23], 0 offset:8 ; 4-byte Folded Reload
	;; [unrolled: 1-line block ×3, first 2 shown]
	s_waitcnt lgkmcnt(0)
	v_mul_f64 v[55:56], v[101:102], v[97:98]
	v_fma_f64 v[55:56], v[99:100], v[53:54], -v[55:56]
	v_mul_f64 v[99:100], v[99:100], v[97:98]
	v_fma_f64 v[99:100], v[101:102], v[53:54], v[99:100]
	s_waitcnt vmcnt(2)
	v_add_f64 v[0:1], v[0:1], -v[55:56]
	s_waitcnt vmcnt(0)
	v_add_f64 v[2:3], v[2:3], -v[99:100]
	buffer_store_dword v0, off, s[20:23], 0 ; 4-byte Folded Spill
	s_nop 0
	buffer_store_dword v1, off, s[20:23], 0 offset:4 ; 4-byte Folded Spill
	buffer_store_dword v2, off, s[20:23], 0 offset:8 ; 4-byte Folded Spill
	;; [unrolled: 1-line block ×3, first 2 shown]
	ds_read2_b64 v[99:102], v125 offset0:62 offset1:63
	s_waitcnt lgkmcnt(0)
	v_mul_f64 v[55:56], v[101:102], v[97:98]
	v_fma_f64 v[55:56], v[99:100], v[53:54], -v[55:56]
	v_mul_f64 v[99:100], v[99:100], v[97:98]
	v_add_f64 v[109:110], v[109:110], -v[55:56]
	v_fma_f64 v[99:100], v[101:102], v[53:54], v[99:100]
	v_mov_b32_e32 v55, v97
	v_mov_b32_e32 v56, v98
	v_add_f64 v[111:112], v[111:112], -v[99:100]
.LBB63_163:
	s_or_b64 exec, exec, s[2:3]
	v_cmp_eq_u32_e32 vcc, 18, v126
	s_waitcnt vmcnt(0)
	s_barrier
	s_and_saveexec_b64 s[4:5], vcc
	s_cbranch_execz .LBB63_170
; %bb.164:
	ds_write2_b64 v127, v[49:50], v[51:52] offset1:1
	ds_write2_b64 v125, v[45:46], v[47:48] offset0:38 offset1:39
	ds_write2_b64 v125, v[41:42], v[43:44] offset0:40 offset1:41
	;; [unrolled: 1-line block ×11, first 2 shown]
	buffer_load_dword v0, off, s[20:23], 0  ; 4-byte Folded Reload
	buffer_load_dword v1, off, s[20:23], 0 offset:4 ; 4-byte Folded Reload
	buffer_load_dword v2, off, s[20:23], 0 offset:8 ; 4-byte Folded Reload
	;; [unrolled: 1-line block ×3, first 2 shown]
	s_waitcnt vmcnt(0)
	ds_write2_b64 v125, v[0:1], v[2:3] offset0:60 offset1:61
	ds_write2_b64 v125, v[109:110], v[111:112] offset0:62 offset1:63
	ds_read2_b64 v[97:100], v127 offset1:1
	s_waitcnt lgkmcnt(0)
	v_cmp_neq_f64_e32 vcc, 0, v[97:98]
	v_cmp_neq_f64_e64 s[2:3], 0, v[99:100]
	s_or_b64 s[2:3], vcc, s[2:3]
	s_and_b64 exec, exec, s[2:3]
	s_cbranch_execz .LBB63_170
; %bb.165:
	v_cmp_ngt_f64_e64 s[2:3], |v[97:98]|, |v[99:100]|
                                        ; implicit-def: $vgpr101_vgpr102
	s_and_saveexec_b64 s[6:7], s[2:3]
	s_xor_b64 s[2:3], exec, s[6:7]
                                        ; implicit-def: $vgpr103_vgpr104
	s_cbranch_execz .LBB63_167
; %bb.166:
	v_div_scale_f64 v[101:102], s[6:7], v[99:100], v[99:100], v[97:98]
	v_rcp_f64_e32 v[103:104], v[101:102]
	v_fma_f64 v[105:106], -v[101:102], v[103:104], 1.0
	v_fma_f64 v[103:104], v[103:104], v[105:106], v[103:104]
	v_div_scale_f64 v[105:106], vcc, v[97:98], v[99:100], v[97:98]
	v_fma_f64 v[107:108], -v[101:102], v[103:104], 1.0
	v_fma_f64 v[103:104], v[103:104], v[107:108], v[103:104]
	v_mul_f64 v[107:108], v[105:106], v[103:104]
	v_fma_f64 v[101:102], -v[101:102], v[107:108], v[105:106]
	v_div_fmas_f64 v[101:102], v[101:102], v[103:104], v[107:108]
	v_div_fixup_f64 v[101:102], v[101:102], v[99:100], v[97:98]
	v_fma_f64 v[97:98], v[97:98], v[101:102], v[99:100]
	v_div_scale_f64 v[99:100], s[6:7], v[97:98], v[97:98], 1.0
	v_div_scale_f64 v[107:108], vcc, 1.0, v[97:98], 1.0
	v_rcp_f64_e32 v[103:104], v[99:100]
	v_fma_f64 v[105:106], -v[99:100], v[103:104], 1.0
	v_fma_f64 v[103:104], v[103:104], v[105:106], v[103:104]
	v_fma_f64 v[105:106], -v[99:100], v[103:104], 1.0
	v_fma_f64 v[103:104], v[103:104], v[105:106], v[103:104]
	v_mul_f64 v[105:106], v[107:108], v[103:104]
	v_fma_f64 v[99:100], -v[99:100], v[105:106], v[107:108]
	v_div_fmas_f64 v[99:100], v[99:100], v[103:104], v[105:106]
	v_div_fixup_f64 v[103:104], v[99:100], v[97:98], 1.0
                                        ; implicit-def: $vgpr97_vgpr98
	v_mul_f64 v[101:102], v[101:102], v[103:104]
	v_xor_b32_e32 v104, 0x80000000, v104
.LBB63_167:
	s_andn2_saveexec_b64 s[2:3], s[2:3]
	s_cbranch_execz .LBB63_169
; %bb.168:
	v_div_scale_f64 v[101:102], s[6:7], v[97:98], v[97:98], v[99:100]
	v_rcp_f64_e32 v[103:104], v[101:102]
	v_fma_f64 v[105:106], -v[101:102], v[103:104], 1.0
	v_fma_f64 v[103:104], v[103:104], v[105:106], v[103:104]
	v_div_scale_f64 v[105:106], vcc, v[99:100], v[97:98], v[99:100]
	v_fma_f64 v[107:108], -v[101:102], v[103:104], 1.0
	v_fma_f64 v[103:104], v[103:104], v[107:108], v[103:104]
	v_mul_f64 v[107:108], v[105:106], v[103:104]
	v_fma_f64 v[101:102], -v[101:102], v[107:108], v[105:106]
	v_div_fmas_f64 v[101:102], v[101:102], v[103:104], v[107:108]
	v_div_fixup_f64 v[103:104], v[101:102], v[97:98], v[99:100]
	v_fma_f64 v[97:98], v[99:100], v[103:104], v[97:98]
	v_div_scale_f64 v[99:100], s[6:7], v[97:98], v[97:98], 1.0
	v_div_scale_f64 v[107:108], vcc, 1.0, v[97:98], 1.0
	v_rcp_f64_e32 v[101:102], v[99:100]
	v_fma_f64 v[105:106], -v[99:100], v[101:102], 1.0
	v_fma_f64 v[101:102], v[101:102], v[105:106], v[101:102]
	v_fma_f64 v[105:106], -v[99:100], v[101:102], 1.0
	v_fma_f64 v[101:102], v[101:102], v[105:106], v[101:102]
	v_mul_f64 v[105:106], v[107:108], v[101:102]
	v_fma_f64 v[99:100], -v[99:100], v[105:106], v[107:108]
	v_div_fmas_f64 v[99:100], v[99:100], v[101:102], v[105:106]
	v_div_fixup_f64 v[101:102], v[99:100], v[97:98], 1.0
	v_mul_f64 v[103:104], v[103:104], -v[101:102]
.LBB63_169:
	s_or_b64 exec, exec, s[2:3]
	ds_write2_b64 v127, v[101:102], v[103:104] offset1:1
.LBB63_170:
	s_or_b64 exec, exec, s[4:5]
	s_waitcnt lgkmcnt(0)
	s_barrier
	ds_read2_b64 v[97:100], v127 offset1:1
	v_cmp_lt_u32_e32 vcc, 18, v126
	s_waitcnt lgkmcnt(0)
	buffer_store_dword v97, off, s[20:23], 0 offset:752 ; 4-byte Folded Spill
	s_nop 0
	buffer_store_dword v98, off, s[20:23], 0 offset:756 ; 4-byte Folded Spill
	buffer_store_dword v99, off, s[20:23], 0 offset:760 ; 4-byte Folded Spill
	;; [unrolled: 1-line block ×3, first 2 shown]
	s_and_saveexec_b64 s[2:3], vcc
	s_cbranch_execz .LBB63_172
; %bb.171:
	buffer_load_dword v99, off, s[20:23], 0 offset:752 ; 4-byte Folded Reload
	buffer_load_dword v100, off, s[20:23], 0 offset:756 ; 4-byte Folded Reload
	;; [unrolled: 1-line block ×4, first 2 shown]
	s_waitcnt vmcnt(2)
	v_mul_f64 v[97:98], v[99:100], v[51:52]
	s_waitcnt vmcnt(0)
	v_mul_f64 v[51:52], v[101:102], v[51:52]
	v_fma_f64 v[97:98], v[101:102], v[49:50], v[97:98]
	v_fma_f64 v[49:50], v[99:100], v[49:50], -v[51:52]
	ds_read2_b64 v[99:102], v125 offset0:38 offset1:39
	s_waitcnt lgkmcnt(0)
	v_mul_f64 v[51:52], v[101:102], v[97:98]
	v_fma_f64 v[51:52], v[99:100], v[49:50], -v[51:52]
	v_mul_f64 v[99:100], v[99:100], v[97:98]
	v_add_f64 v[45:46], v[45:46], -v[51:52]
	v_fma_f64 v[99:100], v[101:102], v[49:50], v[99:100]
	v_add_f64 v[47:48], v[47:48], -v[99:100]
	ds_read2_b64 v[99:102], v125 offset0:40 offset1:41
	s_waitcnt lgkmcnt(0)
	v_mul_f64 v[51:52], v[101:102], v[97:98]
	v_fma_f64 v[51:52], v[99:100], v[49:50], -v[51:52]
	v_mul_f64 v[99:100], v[99:100], v[97:98]
	v_add_f64 v[41:42], v[41:42], -v[51:52]
	v_fma_f64 v[99:100], v[101:102], v[49:50], v[99:100]
	v_add_f64 v[43:44], v[43:44], -v[99:100]
	;; [unrolled: 8-line block ×11, first 2 shown]
	ds_read2_b64 v[99:102], v125 offset0:60 offset1:61
	buffer_load_dword v0, off, s[20:23], 0  ; 4-byte Folded Reload
	buffer_load_dword v1, off, s[20:23], 0 offset:4 ; 4-byte Folded Reload
	buffer_load_dword v2, off, s[20:23], 0 offset:8 ; 4-byte Folded Reload
	;; [unrolled: 1-line block ×3, first 2 shown]
	s_waitcnt lgkmcnt(0)
	v_mul_f64 v[51:52], v[101:102], v[97:98]
	v_fma_f64 v[51:52], v[99:100], v[49:50], -v[51:52]
	v_mul_f64 v[99:100], v[99:100], v[97:98]
	v_fma_f64 v[99:100], v[101:102], v[49:50], v[99:100]
	s_waitcnt vmcnt(2)
	v_add_f64 v[0:1], v[0:1], -v[51:52]
	s_waitcnt vmcnt(0)
	v_add_f64 v[2:3], v[2:3], -v[99:100]
	buffer_store_dword v0, off, s[20:23], 0 ; 4-byte Folded Spill
	s_nop 0
	buffer_store_dword v1, off, s[20:23], 0 offset:4 ; 4-byte Folded Spill
	buffer_store_dword v2, off, s[20:23], 0 offset:8 ; 4-byte Folded Spill
	;; [unrolled: 1-line block ×3, first 2 shown]
	ds_read2_b64 v[99:102], v125 offset0:62 offset1:63
	s_waitcnt lgkmcnt(0)
	v_mul_f64 v[51:52], v[101:102], v[97:98]
	v_fma_f64 v[51:52], v[99:100], v[49:50], -v[51:52]
	v_mul_f64 v[99:100], v[99:100], v[97:98]
	v_add_f64 v[109:110], v[109:110], -v[51:52]
	v_fma_f64 v[99:100], v[101:102], v[49:50], v[99:100]
	v_mov_b32_e32 v51, v97
	v_mov_b32_e32 v52, v98
	v_add_f64 v[111:112], v[111:112], -v[99:100]
.LBB63_172:
	s_or_b64 exec, exec, s[2:3]
	v_cmp_eq_u32_e32 vcc, 19, v126
	s_waitcnt vmcnt(0)
	s_barrier
	s_and_saveexec_b64 s[4:5], vcc
	s_cbranch_execz .LBB63_179
; %bb.173:
	ds_write2_b64 v127, v[45:46], v[47:48] offset1:1
	ds_write2_b64 v125, v[41:42], v[43:44] offset0:40 offset1:41
	ds_write2_b64 v125, v[37:38], v[39:40] offset0:42 offset1:43
	;; [unrolled: 1-line block ×10, first 2 shown]
	buffer_load_dword v0, off, s[20:23], 0  ; 4-byte Folded Reload
	buffer_load_dword v1, off, s[20:23], 0 offset:4 ; 4-byte Folded Reload
	buffer_load_dword v2, off, s[20:23], 0 offset:8 ; 4-byte Folded Reload
	;; [unrolled: 1-line block ×3, first 2 shown]
	s_waitcnt vmcnt(0)
	ds_write2_b64 v125, v[0:1], v[2:3] offset0:60 offset1:61
	ds_write2_b64 v125, v[109:110], v[111:112] offset0:62 offset1:63
	ds_read2_b64 v[97:100], v127 offset1:1
	s_waitcnt lgkmcnt(0)
	v_cmp_neq_f64_e32 vcc, 0, v[97:98]
	v_cmp_neq_f64_e64 s[2:3], 0, v[99:100]
	s_or_b64 s[2:3], vcc, s[2:3]
	s_and_b64 exec, exec, s[2:3]
	s_cbranch_execz .LBB63_179
; %bb.174:
	v_cmp_ngt_f64_e64 s[2:3], |v[97:98]|, |v[99:100]|
                                        ; implicit-def: $vgpr101_vgpr102
	s_and_saveexec_b64 s[6:7], s[2:3]
	s_xor_b64 s[2:3], exec, s[6:7]
                                        ; implicit-def: $vgpr103_vgpr104
	s_cbranch_execz .LBB63_176
; %bb.175:
	v_div_scale_f64 v[101:102], s[6:7], v[99:100], v[99:100], v[97:98]
	v_rcp_f64_e32 v[103:104], v[101:102]
	v_fma_f64 v[105:106], -v[101:102], v[103:104], 1.0
	v_fma_f64 v[103:104], v[103:104], v[105:106], v[103:104]
	v_div_scale_f64 v[105:106], vcc, v[97:98], v[99:100], v[97:98]
	v_fma_f64 v[107:108], -v[101:102], v[103:104], 1.0
	v_fma_f64 v[103:104], v[103:104], v[107:108], v[103:104]
	v_mul_f64 v[107:108], v[105:106], v[103:104]
	v_fma_f64 v[101:102], -v[101:102], v[107:108], v[105:106]
	v_div_fmas_f64 v[101:102], v[101:102], v[103:104], v[107:108]
	v_div_fixup_f64 v[101:102], v[101:102], v[99:100], v[97:98]
	v_fma_f64 v[97:98], v[97:98], v[101:102], v[99:100]
	v_div_scale_f64 v[99:100], s[6:7], v[97:98], v[97:98], 1.0
	v_div_scale_f64 v[107:108], vcc, 1.0, v[97:98], 1.0
	v_rcp_f64_e32 v[103:104], v[99:100]
	v_fma_f64 v[105:106], -v[99:100], v[103:104], 1.0
	v_fma_f64 v[103:104], v[103:104], v[105:106], v[103:104]
	v_fma_f64 v[105:106], -v[99:100], v[103:104], 1.0
	v_fma_f64 v[103:104], v[103:104], v[105:106], v[103:104]
	v_mul_f64 v[105:106], v[107:108], v[103:104]
	v_fma_f64 v[99:100], -v[99:100], v[105:106], v[107:108]
	v_div_fmas_f64 v[99:100], v[99:100], v[103:104], v[105:106]
	v_div_fixup_f64 v[103:104], v[99:100], v[97:98], 1.0
                                        ; implicit-def: $vgpr97_vgpr98
	v_mul_f64 v[101:102], v[101:102], v[103:104]
	v_xor_b32_e32 v104, 0x80000000, v104
.LBB63_176:
	s_andn2_saveexec_b64 s[2:3], s[2:3]
	s_cbranch_execz .LBB63_178
; %bb.177:
	v_div_scale_f64 v[101:102], s[6:7], v[97:98], v[97:98], v[99:100]
	v_rcp_f64_e32 v[103:104], v[101:102]
	v_fma_f64 v[105:106], -v[101:102], v[103:104], 1.0
	v_fma_f64 v[103:104], v[103:104], v[105:106], v[103:104]
	v_div_scale_f64 v[105:106], vcc, v[99:100], v[97:98], v[99:100]
	v_fma_f64 v[107:108], -v[101:102], v[103:104], 1.0
	v_fma_f64 v[103:104], v[103:104], v[107:108], v[103:104]
	v_mul_f64 v[107:108], v[105:106], v[103:104]
	v_fma_f64 v[101:102], -v[101:102], v[107:108], v[105:106]
	v_div_fmas_f64 v[101:102], v[101:102], v[103:104], v[107:108]
	v_div_fixup_f64 v[103:104], v[101:102], v[97:98], v[99:100]
	v_fma_f64 v[97:98], v[99:100], v[103:104], v[97:98]
	v_div_scale_f64 v[99:100], s[6:7], v[97:98], v[97:98], 1.0
	v_div_scale_f64 v[107:108], vcc, 1.0, v[97:98], 1.0
	v_rcp_f64_e32 v[101:102], v[99:100]
	v_fma_f64 v[105:106], -v[99:100], v[101:102], 1.0
	v_fma_f64 v[101:102], v[101:102], v[105:106], v[101:102]
	v_fma_f64 v[105:106], -v[99:100], v[101:102], 1.0
	v_fma_f64 v[101:102], v[101:102], v[105:106], v[101:102]
	v_mul_f64 v[105:106], v[107:108], v[101:102]
	v_fma_f64 v[99:100], -v[99:100], v[105:106], v[107:108]
	v_div_fmas_f64 v[99:100], v[99:100], v[101:102], v[105:106]
	v_div_fixup_f64 v[101:102], v[99:100], v[97:98], 1.0
	v_mul_f64 v[103:104], v[103:104], -v[101:102]
.LBB63_178:
	s_or_b64 exec, exec, s[2:3]
	ds_write2_b64 v127, v[101:102], v[103:104] offset1:1
.LBB63_179:
	s_or_b64 exec, exec, s[4:5]
	s_waitcnt lgkmcnt(0)
	s_barrier
	ds_read2_b64 v[97:100], v127 offset1:1
	v_cmp_lt_u32_e32 vcc, 19, v126
	s_waitcnt lgkmcnt(0)
	buffer_store_dword v97, off, s[20:23], 0 offset:768 ; 4-byte Folded Spill
	s_nop 0
	buffer_store_dword v98, off, s[20:23], 0 offset:772 ; 4-byte Folded Spill
	buffer_store_dword v99, off, s[20:23], 0 offset:776 ; 4-byte Folded Spill
	;; [unrolled: 1-line block ×3, first 2 shown]
	s_and_saveexec_b64 s[2:3], vcc
	s_cbranch_execz .LBB63_181
; %bb.180:
	buffer_load_dword v99, off, s[20:23], 0 offset:768 ; 4-byte Folded Reload
	buffer_load_dword v100, off, s[20:23], 0 offset:772 ; 4-byte Folded Reload
	;; [unrolled: 1-line block ×4, first 2 shown]
	s_waitcnt vmcnt(2)
	v_mul_f64 v[97:98], v[99:100], v[47:48]
	s_waitcnt vmcnt(0)
	v_mul_f64 v[47:48], v[101:102], v[47:48]
	v_fma_f64 v[97:98], v[101:102], v[45:46], v[97:98]
	v_fma_f64 v[45:46], v[99:100], v[45:46], -v[47:48]
	ds_read2_b64 v[99:102], v125 offset0:40 offset1:41
	s_waitcnt lgkmcnt(0)
	v_mul_f64 v[47:48], v[101:102], v[97:98]
	v_fma_f64 v[47:48], v[99:100], v[45:46], -v[47:48]
	v_mul_f64 v[99:100], v[99:100], v[97:98]
	v_add_f64 v[41:42], v[41:42], -v[47:48]
	v_fma_f64 v[99:100], v[101:102], v[45:46], v[99:100]
	v_add_f64 v[43:44], v[43:44], -v[99:100]
	ds_read2_b64 v[99:102], v125 offset0:42 offset1:43
	s_waitcnt lgkmcnt(0)
	v_mul_f64 v[47:48], v[101:102], v[97:98]
	v_fma_f64 v[47:48], v[99:100], v[45:46], -v[47:48]
	v_mul_f64 v[99:100], v[99:100], v[97:98]
	v_add_f64 v[37:38], v[37:38], -v[47:48]
	v_fma_f64 v[99:100], v[101:102], v[45:46], v[99:100]
	v_add_f64 v[39:40], v[39:40], -v[99:100]
	;; [unrolled: 8-line block ×10, first 2 shown]
	ds_read2_b64 v[99:102], v125 offset0:60 offset1:61
	buffer_load_dword v0, off, s[20:23], 0  ; 4-byte Folded Reload
	buffer_load_dword v1, off, s[20:23], 0 offset:4 ; 4-byte Folded Reload
	buffer_load_dword v2, off, s[20:23], 0 offset:8 ; 4-byte Folded Reload
	;; [unrolled: 1-line block ×3, first 2 shown]
	s_waitcnt lgkmcnt(0)
	v_mul_f64 v[47:48], v[101:102], v[97:98]
	v_fma_f64 v[47:48], v[99:100], v[45:46], -v[47:48]
	v_mul_f64 v[99:100], v[99:100], v[97:98]
	v_fma_f64 v[99:100], v[101:102], v[45:46], v[99:100]
	s_waitcnt vmcnt(2)
	v_add_f64 v[0:1], v[0:1], -v[47:48]
	s_waitcnt vmcnt(0)
	v_add_f64 v[2:3], v[2:3], -v[99:100]
	buffer_store_dword v0, off, s[20:23], 0 ; 4-byte Folded Spill
	s_nop 0
	buffer_store_dword v1, off, s[20:23], 0 offset:4 ; 4-byte Folded Spill
	buffer_store_dword v2, off, s[20:23], 0 offset:8 ; 4-byte Folded Spill
	;; [unrolled: 1-line block ×3, first 2 shown]
	ds_read2_b64 v[99:102], v125 offset0:62 offset1:63
	s_waitcnt lgkmcnt(0)
	v_mul_f64 v[47:48], v[101:102], v[97:98]
	v_fma_f64 v[47:48], v[99:100], v[45:46], -v[47:48]
	v_mul_f64 v[99:100], v[99:100], v[97:98]
	v_add_f64 v[109:110], v[109:110], -v[47:48]
	v_fma_f64 v[99:100], v[101:102], v[45:46], v[99:100]
	v_mov_b32_e32 v47, v97
	v_mov_b32_e32 v48, v98
	v_add_f64 v[111:112], v[111:112], -v[99:100]
.LBB63_181:
	s_or_b64 exec, exec, s[2:3]
	v_cmp_eq_u32_e32 vcc, 20, v126
	s_waitcnt vmcnt(0)
	s_barrier
	s_and_saveexec_b64 s[4:5], vcc
	s_cbranch_execz .LBB63_188
; %bb.182:
	ds_write2_b64 v127, v[41:42], v[43:44] offset1:1
	ds_write2_b64 v125, v[37:38], v[39:40] offset0:42 offset1:43
	ds_write2_b64 v125, v[33:34], v[35:36] offset0:44 offset1:45
	;; [unrolled: 1-line block ×9, first 2 shown]
	buffer_load_dword v0, off, s[20:23], 0  ; 4-byte Folded Reload
	buffer_load_dword v1, off, s[20:23], 0 offset:4 ; 4-byte Folded Reload
	buffer_load_dword v2, off, s[20:23], 0 offset:8 ; 4-byte Folded Reload
	;; [unrolled: 1-line block ×3, first 2 shown]
	s_waitcnt vmcnt(0)
	ds_write2_b64 v125, v[0:1], v[2:3] offset0:60 offset1:61
	ds_write2_b64 v125, v[109:110], v[111:112] offset0:62 offset1:63
	ds_read2_b64 v[97:100], v127 offset1:1
	s_waitcnt lgkmcnt(0)
	v_cmp_neq_f64_e32 vcc, 0, v[97:98]
	v_cmp_neq_f64_e64 s[2:3], 0, v[99:100]
	s_or_b64 s[2:3], vcc, s[2:3]
	s_and_b64 exec, exec, s[2:3]
	s_cbranch_execz .LBB63_188
; %bb.183:
	v_cmp_ngt_f64_e64 s[2:3], |v[97:98]|, |v[99:100]|
                                        ; implicit-def: $vgpr101_vgpr102
	s_and_saveexec_b64 s[6:7], s[2:3]
	s_xor_b64 s[2:3], exec, s[6:7]
                                        ; implicit-def: $vgpr103_vgpr104
	s_cbranch_execz .LBB63_185
; %bb.184:
	v_div_scale_f64 v[101:102], s[6:7], v[99:100], v[99:100], v[97:98]
	v_rcp_f64_e32 v[103:104], v[101:102]
	v_fma_f64 v[105:106], -v[101:102], v[103:104], 1.0
	v_fma_f64 v[103:104], v[103:104], v[105:106], v[103:104]
	v_div_scale_f64 v[105:106], vcc, v[97:98], v[99:100], v[97:98]
	v_fma_f64 v[107:108], -v[101:102], v[103:104], 1.0
	v_fma_f64 v[103:104], v[103:104], v[107:108], v[103:104]
	v_mul_f64 v[107:108], v[105:106], v[103:104]
	v_fma_f64 v[101:102], -v[101:102], v[107:108], v[105:106]
	v_div_fmas_f64 v[101:102], v[101:102], v[103:104], v[107:108]
	v_div_fixup_f64 v[101:102], v[101:102], v[99:100], v[97:98]
	v_fma_f64 v[97:98], v[97:98], v[101:102], v[99:100]
	v_div_scale_f64 v[99:100], s[6:7], v[97:98], v[97:98], 1.0
	v_div_scale_f64 v[107:108], vcc, 1.0, v[97:98], 1.0
	v_rcp_f64_e32 v[103:104], v[99:100]
	v_fma_f64 v[105:106], -v[99:100], v[103:104], 1.0
	v_fma_f64 v[103:104], v[103:104], v[105:106], v[103:104]
	v_fma_f64 v[105:106], -v[99:100], v[103:104], 1.0
	v_fma_f64 v[103:104], v[103:104], v[105:106], v[103:104]
	v_mul_f64 v[105:106], v[107:108], v[103:104]
	v_fma_f64 v[99:100], -v[99:100], v[105:106], v[107:108]
	v_div_fmas_f64 v[99:100], v[99:100], v[103:104], v[105:106]
	v_div_fixup_f64 v[103:104], v[99:100], v[97:98], 1.0
                                        ; implicit-def: $vgpr97_vgpr98
	v_mul_f64 v[101:102], v[101:102], v[103:104]
	v_xor_b32_e32 v104, 0x80000000, v104
.LBB63_185:
	s_andn2_saveexec_b64 s[2:3], s[2:3]
	s_cbranch_execz .LBB63_187
; %bb.186:
	v_div_scale_f64 v[101:102], s[6:7], v[97:98], v[97:98], v[99:100]
	v_rcp_f64_e32 v[103:104], v[101:102]
	v_fma_f64 v[105:106], -v[101:102], v[103:104], 1.0
	v_fma_f64 v[103:104], v[103:104], v[105:106], v[103:104]
	v_div_scale_f64 v[105:106], vcc, v[99:100], v[97:98], v[99:100]
	v_fma_f64 v[107:108], -v[101:102], v[103:104], 1.0
	v_fma_f64 v[103:104], v[103:104], v[107:108], v[103:104]
	v_mul_f64 v[107:108], v[105:106], v[103:104]
	v_fma_f64 v[101:102], -v[101:102], v[107:108], v[105:106]
	v_div_fmas_f64 v[101:102], v[101:102], v[103:104], v[107:108]
	v_div_fixup_f64 v[103:104], v[101:102], v[97:98], v[99:100]
	v_fma_f64 v[97:98], v[99:100], v[103:104], v[97:98]
	v_div_scale_f64 v[99:100], s[6:7], v[97:98], v[97:98], 1.0
	v_div_scale_f64 v[107:108], vcc, 1.0, v[97:98], 1.0
	v_rcp_f64_e32 v[101:102], v[99:100]
	v_fma_f64 v[105:106], -v[99:100], v[101:102], 1.0
	v_fma_f64 v[101:102], v[101:102], v[105:106], v[101:102]
	v_fma_f64 v[105:106], -v[99:100], v[101:102], 1.0
	v_fma_f64 v[101:102], v[101:102], v[105:106], v[101:102]
	v_mul_f64 v[105:106], v[107:108], v[101:102]
	v_fma_f64 v[99:100], -v[99:100], v[105:106], v[107:108]
	v_div_fmas_f64 v[99:100], v[99:100], v[101:102], v[105:106]
	v_div_fixup_f64 v[101:102], v[99:100], v[97:98], 1.0
	v_mul_f64 v[103:104], v[103:104], -v[101:102]
.LBB63_187:
	s_or_b64 exec, exec, s[2:3]
	ds_write2_b64 v127, v[101:102], v[103:104] offset1:1
.LBB63_188:
	s_or_b64 exec, exec, s[4:5]
	s_waitcnt lgkmcnt(0)
	s_barrier
	ds_read2_b64 v[97:100], v127 offset1:1
	v_cmp_lt_u32_e32 vcc, 20, v126
	s_waitcnt lgkmcnt(0)
	buffer_store_dword v97, off, s[20:23], 0 offset:784 ; 4-byte Folded Spill
	s_nop 0
	buffer_store_dword v98, off, s[20:23], 0 offset:788 ; 4-byte Folded Spill
	buffer_store_dword v99, off, s[20:23], 0 offset:792 ; 4-byte Folded Spill
	;; [unrolled: 1-line block ×3, first 2 shown]
	s_and_saveexec_b64 s[2:3], vcc
	s_cbranch_execz .LBB63_190
; %bb.189:
	buffer_load_dword v99, off, s[20:23], 0 offset:784 ; 4-byte Folded Reload
	buffer_load_dword v100, off, s[20:23], 0 offset:788 ; 4-byte Folded Reload
	;; [unrolled: 1-line block ×4, first 2 shown]
	s_waitcnt vmcnt(2)
	v_mul_f64 v[97:98], v[99:100], v[43:44]
	s_waitcnt vmcnt(0)
	v_mul_f64 v[43:44], v[101:102], v[43:44]
	v_fma_f64 v[97:98], v[101:102], v[41:42], v[97:98]
	v_fma_f64 v[41:42], v[99:100], v[41:42], -v[43:44]
	ds_read2_b64 v[99:102], v125 offset0:42 offset1:43
	s_waitcnt lgkmcnt(0)
	v_mul_f64 v[43:44], v[101:102], v[97:98]
	v_fma_f64 v[43:44], v[99:100], v[41:42], -v[43:44]
	v_mul_f64 v[99:100], v[99:100], v[97:98]
	v_add_f64 v[37:38], v[37:38], -v[43:44]
	v_fma_f64 v[99:100], v[101:102], v[41:42], v[99:100]
	v_add_f64 v[39:40], v[39:40], -v[99:100]
	ds_read2_b64 v[99:102], v125 offset0:44 offset1:45
	s_waitcnt lgkmcnt(0)
	v_mul_f64 v[43:44], v[101:102], v[97:98]
	v_fma_f64 v[43:44], v[99:100], v[41:42], -v[43:44]
	v_mul_f64 v[99:100], v[99:100], v[97:98]
	v_add_f64 v[33:34], v[33:34], -v[43:44]
	v_fma_f64 v[99:100], v[101:102], v[41:42], v[99:100]
	v_add_f64 v[35:36], v[35:36], -v[99:100]
	;; [unrolled: 8-line block ×9, first 2 shown]
	ds_read2_b64 v[99:102], v125 offset0:60 offset1:61
	buffer_load_dword v0, off, s[20:23], 0  ; 4-byte Folded Reload
	buffer_load_dword v1, off, s[20:23], 0 offset:4 ; 4-byte Folded Reload
	buffer_load_dword v2, off, s[20:23], 0 offset:8 ; 4-byte Folded Reload
	;; [unrolled: 1-line block ×3, first 2 shown]
	s_waitcnt lgkmcnt(0)
	v_mul_f64 v[43:44], v[101:102], v[97:98]
	v_fma_f64 v[43:44], v[99:100], v[41:42], -v[43:44]
	v_mul_f64 v[99:100], v[99:100], v[97:98]
	v_fma_f64 v[99:100], v[101:102], v[41:42], v[99:100]
	s_waitcnt vmcnt(2)
	v_add_f64 v[0:1], v[0:1], -v[43:44]
	s_waitcnt vmcnt(0)
	v_add_f64 v[2:3], v[2:3], -v[99:100]
	buffer_store_dword v0, off, s[20:23], 0 ; 4-byte Folded Spill
	s_nop 0
	buffer_store_dword v1, off, s[20:23], 0 offset:4 ; 4-byte Folded Spill
	buffer_store_dword v2, off, s[20:23], 0 offset:8 ; 4-byte Folded Spill
	;; [unrolled: 1-line block ×3, first 2 shown]
	ds_read2_b64 v[99:102], v125 offset0:62 offset1:63
	s_waitcnt lgkmcnt(0)
	v_mul_f64 v[43:44], v[101:102], v[97:98]
	v_fma_f64 v[43:44], v[99:100], v[41:42], -v[43:44]
	v_mul_f64 v[99:100], v[99:100], v[97:98]
	v_add_f64 v[109:110], v[109:110], -v[43:44]
	v_fma_f64 v[99:100], v[101:102], v[41:42], v[99:100]
	v_mov_b32_e32 v43, v97
	v_mov_b32_e32 v44, v98
	v_add_f64 v[111:112], v[111:112], -v[99:100]
.LBB63_190:
	s_or_b64 exec, exec, s[2:3]
	v_cmp_eq_u32_e32 vcc, 21, v126
	s_waitcnt vmcnt(0)
	s_barrier
	s_and_saveexec_b64 s[4:5], vcc
	s_cbranch_execz .LBB63_197
; %bb.191:
	ds_write2_b64 v127, v[37:38], v[39:40] offset1:1
	ds_write2_b64 v125, v[33:34], v[35:36] offset0:44 offset1:45
	ds_write2_b64 v125, v[29:30], v[31:32] offset0:46 offset1:47
	;; [unrolled: 1-line block ×8, first 2 shown]
	buffer_load_dword v0, off, s[20:23], 0  ; 4-byte Folded Reload
	buffer_load_dword v1, off, s[20:23], 0 offset:4 ; 4-byte Folded Reload
	buffer_load_dword v2, off, s[20:23], 0 offset:8 ; 4-byte Folded Reload
	;; [unrolled: 1-line block ×3, first 2 shown]
	s_waitcnt vmcnt(0)
	ds_write2_b64 v125, v[0:1], v[2:3] offset0:60 offset1:61
	ds_write2_b64 v125, v[109:110], v[111:112] offset0:62 offset1:63
	ds_read2_b64 v[97:100], v127 offset1:1
	s_waitcnt lgkmcnt(0)
	v_cmp_neq_f64_e32 vcc, 0, v[97:98]
	v_cmp_neq_f64_e64 s[2:3], 0, v[99:100]
	s_or_b64 s[2:3], vcc, s[2:3]
	s_and_b64 exec, exec, s[2:3]
	s_cbranch_execz .LBB63_197
; %bb.192:
	v_cmp_ngt_f64_e64 s[2:3], |v[97:98]|, |v[99:100]|
                                        ; implicit-def: $vgpr101_vgpr102
	s_and_saveexec_b64 s[6:7], s[2:3]
	s_xor_b64 s[2:3], exec, s[6:7]
                                        ; implicit-def: $vgpr103_vgpr104
	s_cbranch_execz .LBB63_194
; %bb.193:
	v_div_scale_f64 v[101:102], s[6:7], v[99:100], v[99:100], v[97:98]
	v_rcp_f64_e32 v[103:104], v[101:102]
	v_fma_f64 v[105:106], -v[101:102], v[103:104], 1.0
	v_fma_f64 v[103:104], v[103:104], v[105:106], v[103:104]
	v_div_scale_f64 v[105:106], vcc, v[97:98], v[99:100], v[97:98]
	v_fma_f64 v[107:108], -v[101:102], v[103:104], 1.0
	v_fma_f64 v[103:104], v[103:104], v[107:108], v[103:104]
	v_mul_f64 v[107:108], v[105:106], v[103:104]
	v_fma_f64 v[101:102], -v[101:102], v[107:108], v[105:106]
	v_div_fmas_f64 v[101:102], v[101:102], v[103:104], v[107:108]
	v_div_fixup_f64 v[101:102], v[101:102], v[99:100], v[97:98]
	v_fma_f64 v[97:98], v[97:98], v[101:102], v[99:100]
	v_div_scale_f64 v[99:100], s[6:7], v[97:98], v[97:98], 1.0
	v_div_scale_f64 v[107:108], vcc, 1.0, v[97:98], 1.0
	v_rcp_f64_e32 v[103:104], v[99:100]
	v_fma_f64 v[105:106], -v[99:100], v[103:104], 1.0
	v_fma_f64 v[103:104], v[103:104], v[105:106], v[103:104]
	v_fma_f64 v[105:106], -v[99:100], v[103:104], 1.0
	v_fma_f64 v[103:104], v[103:104], v[105:106], v[103:104]
	v_mul_f64 v[105:106], v[107:108], v[103:104]
	v_fma_f64 v[99:100], -v[99:100], v[105:106], v[107:108]
	v_div_fmas_f64 v[99:100], v[99:100], v[103:104], v[105:106]
	v_div_fixup_f64 v[103:104], v[99:100], v[97:98], 1.0
                                        ; implicit-def: $vgpr97_vgpr98
	v_mul_f64 v[101:102], v[101:102], v[103:104]
	v_xor_b32_e32 v104, 0x80000000, v104
.LBB63_194:
	s_andn2_saveexec_b64 s[2:3], s[2:3]
	s_cbranch_execz .LBB63_196
; %bb.195:
	v_div_scale_f64 v[101:102], s[6:7], v[97:98], v[97:98], v[99:100]
	v_rcp_f64_e32 v[103:104], v[101:102]
	v_fma_f64 v[105:106], -v[101:102], v[103:104], 1.0
	v_fma_f64 v[103:104], v[103:104], v[105:106], v[103:104]
	v_div_scale_f64 v[105:106], vcc, v[99:100], v[97:98], v[99:100]
	v_fma_f64 v[107:108], -v[101:102], v[103:104], 1.0
	v_fma_f64 v[103:104], v[103:104], v[107:108], v[103:104]
	v_mul_f64 v[107:108], v[105:106], v[103:104]
	v_fma_f64 v[101:102], -v[101:102], v[107:108], v[105:106]
	v_div_fmas_f64 v[101:102], v[101:102], v[103:104], v[107:108]
	v_div_fixup_f64 v[103:104], v[101:102], v[97:98], v[99:100]
	v_fma_f64 v[97:98], v[99:100], v[103:104], v[97:98]
	v_div_scale_f64 v[99:100], s[6:7], v[97:98], v[97:98], 1.0
	v_div_scale_f64 v[107:108], vcc, 1.0, v[97:98], 1.0
	v_rcp_f64_e32 v[101:102], v[99:100]
	v_fma_f64 v[105:106], -v[99:100], v[101:102], 1.0
	v_fma_f64 v[101:102], v[101:102], v[105:106], v[101:102]
	v_fma_f64 v[105:106], -v[99:100], v[101:102], 1.0
	v_fma_f64 v[101:102], v[101:102], v[105:106], v[101:102]
	v_mul_f64 v[105:106], v[107:108], v[101:102]
	v_fma_f64 v[99:100], -v[99:100], v[105:106], v[107:108]
	v_div_fmas_f64 v[99:100], v[99:100], v[101:102], v[105:106]
	v_div_fixup_f64 v[101:102], v[99:100], v[97:98], 1.0
	v_mul_f64 v[103:104], v[103:104], -v[101:102]
.LBB63_196:
	s_or_b64 exec, exec, s[2:3]
	ds_write2_b64 v127, v[101:102], v[103:104] offset1:1
.LBB63_197:
	s_or_b64 exec, exec, s[4:5]
	s_waitcnt lgkmcnt(0)
	s_barrier
	ds_read2_b64 v[97:100], v127 offset1:1
	v_cmp_lt_u32_e32 vcc, 21, v126
	s_waitcnt lgkmcnt(0)
	buffer_store_dword v97, off, s[20:23], 0 offset:800 ; 4-byte Folded Spill
	s_nop 0
	buffer_store_dword v98, off, s[20:23], 0 offset:804 ; 4-byte Folded Spill
	buffer_store_dword v99, off, s[20:23], 0 offset:808 ; 4-byte Folded Spill
	;; [unrolled: 1-line block ×3, first 2 shown]
	s_and_saveexec_b64 s[2:3], vcc
	s_cbranch_execz .LBB63_199
; %bb.198:
	buffer_load_dword v99, off, s[20:23], 0 offset:800 ; 4-byte Folded Reload
	buffer_load_dword v100, off, s[20:23], 0 offset:804 ; 4-byte Folded Reload
	;; [unrolled: 1-line block ×4, first 2 shown]
	s_waitcnt vmcnt(2)
	v_mul_f64 v[97:98], v[99:100], v[39:40]
	s_waitcnt vmcnt(0)
	v_mul_f64 v[39:40], v[101:102], v[39:40]
	v_fma_f64 v[97:98], v[101:102], v[37:38], v[97:98]
	v_fma_f64 v[37:38], v[99:100], v[37:38], -v[39:40]
	ds_read2_b64 v[99:102], v125 offset0:44 offset1:45
	s_waitcnt lgkmcnt(0)
	v_mul_f64 v[39:40], v[101:102], v[97:98]
	v_fma_f64 v[39:40], v[99:100], v[37:38], -v[39:40]
	v_mul_f64 v[99:100], v[99:100], v[97:98]
	v_add_f64 v[33:34], v[33:34], -v[39:40]
	v_fma_f64 v[99:100], v[101:102], v[37:38], v[99:100]
	v_add_f64 v[35:36], v[35:36], -v[99:100]
	ds_read2_b64 v[99:102], v125 offset0:46 offset1:47
	s_waitcnt lgkmcnt(0)
	v_mul_f64 v[39:40], v[101:102], v[97:98]
	v_fma_f64 v[39:40], v[99:100], v[37:38], -v[39:40]
	v_mul_f64 v[99:100], v[99:100], v[97:98]
	v_add_f64 v[29:30], v[29:30], -v[39:40]
	v_fma_f64 v[99:100], v[101:102], v[37:38], v[99:100]
	v_add_f64 v[31:32], v[31:32], -v[99:100]
	;; [unrolled: 8-line block ×8, first 2 shown]
	ds_read2_b64 v[99:102], v125 offset0:60 offset1:61
	buffer_load_dword v0, off, s[20:23], 0  ; 4-byte Folded Reload
	buffer_load_dword v1, off, s[20:23], 0 offset:4 ; 4-byte Folded Reload
	buffer_load_dword v2, off, s[20:23], 0 offset:8 ; 4-byte Folded Reload
	;; [unrolled: 1-line block ×3, first 2 shown]
	s_waitcnt lgkmcnt(0)
	v_mul_f64 v[39:40], v[101:102], v[97:98]
	v_fma_f64 v[39:40], v[99:100], v[37:38], -v[39:40]
	v_mul_f64 v[99:100], v[99:100], v[97:98]
	v_fma_f64 v[99:100], v[101:102], v[37:38], v[99:100]
	s_waitcnt vmcnt(2)
	v_add_f64 v[0:1], v[0:1], -v[39:40]
	s_waitcnt vmcnt(0)
	v_add_f64 v[2:3], v[2:3], -v[99:100]
	buffer_store_dword v0, off, s[20:23], 0 ; 4-byte Folded Spill
	s_nop 0
	buffer_store_dword v1, off, s[20:23], 0 offset:4 ; 4-byte Folded Spill
	buffer_store_dword v2, off, s[20:23], 0 offset:8 ; 4-byte Folded Spill
	buffer_store_dword v3, off, s[20:23], 0 offset:12 ; 4-byte Folded Spill
	ds_read2_b64 v[99:102], v125 offset0:62 offset1:63
	s_waitcnt lgkmcnt(0)
	v_mul_f64 v[39:40], v[101:102], v[97:98]
	v_fma_f64 v[39:40], v[99:100], v[37:38], -v[39:40]
	v_mul_f64 v[99:100], v[99:100], v[97:98]
	v_add_f64 v[109:110], v[109:110], -v[39:40]
	v_fma_f64 v[99:100], v[101:102], v[37:38], v[99:100]
	v_mov_b32_e32 v39, v97
	v_mov_b32_e32 v40, v98
	v_add_f64 v[111:112], v[111:112], -v[99:100]
.LBB63_199:
	s_or_b64 exec, exec, s[2:3]
	v_cmp_eq_u32_e32 vcc, 22, v126
	s_waitcnt vmcnt(0)
	s_barrier
	s_and_saveexec_b64 s[4:5], vcc
	s_cbranch_execz .LBB63_206
; %bb.200:
	ds_write2_b64 v127, v[33:34], v[35:36] offset1:1
	ds_write2_b64 v125, v[29:30], v[31:32] offset0:46 offset1:47
	ds_write2_b64 v125, v[25:26], v[27:28] offset0:48 offset1:49
	;; [unrolled: 1-line block ×7, first 2 shown]
	buffer_load_dword v0, off, s[20:23], 0  ; 4-byte Folded Reload
	buffer_load_dword v1, off, s[20:23], 0 offset:4 ; 4-byte Folded Reload
	buffer_load_dword v2, off, s[20:23], 0 offset:8 ; 4-byte Folded Reload
	;; [unrolled: 1-line block ×3, first 2 shown]
	s_waitcnt vmcnt(0)
	ds_write2_b64 v125, v[0:1], v[2:3] offset0:60 offset1:61
	ds_write2_b64 v125, v[109:110], v[111:112] offset0:62 offset1:63
	ds_read2_b64 v[97:100], v127 offset1:1
	s_waitcnt lgkmcnt(0)
	v_cmp_neq_f64_e32 vcc, 0, v[97:98]
	v_cmp_neq_f64_e64 s[2:3], 0, v[99:100]
	s_or_b64 s[2:3], vcc, s[2:3]
	s_and_b64 exec, exec, s[2:3]
	s_cbranch_execz .LBB63_206
; %bb.201:
	v_cmp_ngt_f64_e64 s[2:3], |v[97:98]|, |v[99:100]|
                                        ; implicit-def: $vgpr101_vgpr102
	s_and_saveexec_b64 s[6:7], s[2:3]
	s_xor_b64 s[2:3], exec, s[6:7]
                                        ; implicit-def: $vgpr103_vgpr104
	s_cbranch_execz .LBB63_203
; %bb.202:
	v_div_scale_f64 v[101:102], s[6:7], v[99:100], v[99:100], v[97:98]
	v_rcp_f64_e32 v[103:104], v[101:102]
	v_fma_f64 v[105:106], -v[101:102], v[103:104], 1.0
	v_fma_f64 v[103:104], v[103:104], v[105:106], v[103:104]
	v_div_scale_f64 v[105:106], vcc, v[97:98], v[99:100], v[97:98]
	v_fma_f64 v[107:108], -v[101:102], v[103:104], 1.0
	v_fma_f64 v[103:104], v[103:104], v[107:108], v[103:104]
	v_mul_f64 v[107:108], v[105:106], v[103:104]
	v_fma_f64 v[101:102], -v[101:102], v[107:108], v[105:106]
	v_div_fmas_f64 v[101:102], v[101:102], v[103:104], v[107:108]
	v_div_fixup_f64 v[101:102], v[101:102], v[99:100], v[97:98]
	v_fma_f64 v[97:98], v[97:98], v[101:102], v[99:100]
	v_div_scale_f64 v[99:100], s[6:7], v[97:98], v[97:98], 1.0
	v_div_scale_f64 v[107:108], vcc, 1.0, v[97:98], 1.0
	v_rcp_f64_e32 v[103:104], v[99:100]
	v_fma_f64 v[105:106], -v[99:100], v[103:104], 1.0
	v_fma_f64 v[103:104], v[103:104], v[105:106], v[103:104]
	v_fma_f64 v[105:106], -v[99:100], v[103:104], 1.0
	v_fma_f64 v[103:104], v[103:104], v[105:106], v[103:104]
	v_mul_f64 v[105:106], v[107:108], v[103:104]
	v_fma_f64 v[99:100], -v[99:100], v[105:106], v[107:108]
	v_div_fmas_f64 v[99:100], v[99:100], v[103:104], v[105:106]
	v_div_fixup_f64 v[103:104], v[99:100], v[97:98], 1.0
                                        ; implicit-def: $vgpr97_vgpr98
	v_mul_f64 v[101:102], v[101:102], v[103:104]
	v_xor_b32_e32 v104, 0x80000000, v104
.LBB63_203:
	s_andn2_saveexec_b64 s[2:3], s[2:3]
	s_cbranch_execz .LBB63_205
; %bb.204:
	v_div_scale_f64 v[101:102], s[6:7], v[97:98], v[97:98], v[99:100]
	v_rcp_f64_e32 v[103:104], v[101:102]
	v_fma_f64 v[105:106], -v[101:102], v[103:104], 1.0
	v_fma_f64 v[103:104], v[103:104], v[105:106], v[103:104]
	v_div_scale_f64 v[105:106], vcc, v[99:100], v[97:98], v[99:100]
	v_fma_f64 v[107:108], -v[101:102], v[103:104], 1.0
	v_fma_f64 v[103:104], v[103:104], v[107:108], v[103:104]
	v_mul_f64 v[107:108], v[105:106], v[103:104]
	v_fma_f64 v[101:102], -v[101:102], v[107:108], v[105:106]
	v_div_fmas_f64 v[101:102], v[101:102], v[103:104], v[107:108]
	v_div_fixup_f64 v[103:104], v[101:102], v[97:98], v[99:100]
	v_fma_f64 v[97:98], v[99:100], v[103:104], v[97:98]
	v_div_scale_f64 v[99:100], s[6:7], v[97:98], v[97:98], 1.0
	v_div_scale_f64 v[107:108], vcc, 1.0, v[97:98], 1.0
	v_rcp_f64_e32 v[101:102], v[99:100]
	v_fma_f64 v[105:106], -v[99:100], v[101:102], 1.0
	v_fma_f64 v[101:102], v[101:102], v[105:106], v[101:102]
	v_fma_f64 v[105:106], -v[99:100], v[101:102], 1.0
	v_fma_f64 v[101:102], v[101:102], v[105:106], v[101:102]
	v_mul_f64 v[105:106], v[107:108], v[101:102]
	v_fma_f64 v[99:100], -v[99:100], v[105:106], v[107:108]
	v_div_fmas_f64 v[99:100], v[99:100], v[101:102], v[105:106]
	v_div_fixup_f64 v[101:102], v[99:100], v[97:98], 1.0
	v_mul_f64 v[103:104], v[103:104], -v[101:102]
.LBB63_205:
	s_or_b64 exec, exec, s[2:3]
	ds_write2_b64 v127, v[101:102], v[103:104] offset1:1
.LBB63_206:
	s_or_b64 exec, exec, s[4:5]
	s_waitcnt lgkmcnt(0)
	s_barrier
	ds_read2_b64 v[97:100], v127 offset1:1
	v_cmp_lt_u32_e32 vcc, 22, v126
	s_waitcnt lgkmcnt(0)
	buffer_store_dword v97, off, s[20:23], 0 offset:816 ; 4-byte Folded Spill
	s_nop 0
	buffer_store_dword v98, off, s[20:23], 0 offset:820 ; 4-byte Folded Spill
	buffer_store_dword v99, off, s[20:23], 0 offset:824 ; 4-byte Folded Spill
	;; [unrolled: 1-line block ×3, first 2 shown]
	s_and_saveexec_b64 s[2:3], vcc
	s_cbranch_execz .LBB63_208
; %bb.207:
	buffer_load_dword v99, off, s[20:23], 0 offset:816 ; 4-byte Folded Reload
	buffer_load_dword v100, off, s[20:23], 0 offset:820 ; 4-byte Folded Reload
	;; [unrolled: 1-line block ×4, first 2 shown]
	s_waitcnt vmcnt(2)
	v_mul_f64 v[97:98], v[99:100], v[35:36]
	s_waitcnt vmcnt(0)
	v_mul_f64 v[35:36], v[101:102], v[35:36]
	v_fma_f64 v[97:98], v[101:102], v[33:34], v[97:98]
	v_fma_f64 v[33:34], v[99:100], v[33:34], -v[35:36]
	ds_read2_b64 v[99:102], v125 offset0:46 offset1:47
	s_waitcnt lgkmcnt(0)
	v_mul_f64 v[35:36], v[101:102], v[97:98]
	v_fma_f64 v[35:36], v[99:100], v[33:34], -v[35:36]
	v_mul_f64 v[99:100], v[99:100], v[97:98]
	v_add_f64 v[29:30], v[29:30], -v[35:36]
	v_fma_f64 v[99:100], v[101:102], v[33:34], v[99:100]
	v_add_f64 v[31:32], v[31:32], -v[99:100]
	ds_read2_b64 v[99:102], v125 offset0:48 offset1:49
	s_waitcnt lgkmcnt(0)
	v_mul_f64 v[35:36], v[101:102], v[97:98]
	v_fma_f64 v[35:36], v[99:100], v[33:34], -v[35:36]
	v_mul_f64 v[99:100], v[99:100], v[97:98]
	v_add_f64 v[25:26], v[25:26], -v[35:36]
	v_fma_f64 v[99:100], v[101:102], v[33:34], v[99:100]
	v_add_f64 v[27:28], v[27:28], -v[99:100]
	;; [unrolled: 8-line block ×7, first 2 shown]
	ds_read2_b64 v[99:102], v125 offset0:60 offset1:61
	buffer_load_dword v0, off, s[20:23], 0  ; 4-byte Folded Reload
	buffer_load_dword v1, off, s[20:23], 0 offset:4 ; 4-byte Folded Reload
	buffer_load_dword v2, off, s[20:23], 0 offset:8 ; 4-byte Folded Reload
	;; [unrolled: 1-line block ×3, first 2 shown]
	s_waitcnt lgkmcnt(0)
	v_mul_f64 v[35:36], v[101:102], v[97:98]
	v_fma_f64 v[35:36], v[99:100], v[33:34], -v[35:36]
	v_mul_f64 v[99:100], v[99:100], v[97:98]
	v_fma_f64 v[99:100], v[101:102], v[33:34], v[99:100]
	s_waitcnt vmcnt(2)
	v_add_f64 v[0:1], v[0:1], -v[35:36]
	s_waitcnt vmcnt(0)
	v_add_f64 v[2:3], v[2:3], -v[99:100]
	buffer_store_dword v0, off, s[20:23], 0 ; 4-byte Folded Spill
	s_nop 0
	buffer_store_dword v1, off, s[20:23], 0 offset:4 ; 4-byte Folded Spill
	buffer_store_dword v2, off, s[20:23], 0 offset:8 ; 4-byte Folded Spill
	;; [unrolled: 1-line block ×3, first 2 shown]
	ds_read2_b64 v[99:102], v125 offset0:62 offset1:63
	s_waitcnt lgkmcnt(0)
	v_mul_f64 v[35:36], v[101:102], v[97:98]
	v_fma_f64 v[35:36], v[99:100], v[33:34], -v[35:36]
	v_mul_f64 v[99:100], v[99:100], v[97:98]
	v_add_f64 v[109:110], v[109:110], -v[35:36]
	v_fma_f64 v[99:100], v[101:102], v[33:34], v[99:100]
	v_mov_b32_e32 v35, v97
	v_mov_b32_e32 v36, v98
	v_add_f64 v[111:112], v[111:112], -v[99:100]
.LBB63_208:
	s_or_b64 exec, exec, s[2:3]
	v_cmp_eq_u32_e32 vcc, 23, v126
	s_waitcnt vmcnt(0)
	s_barrier
	s_and_saveexec_b64 s[4:5], vcc
	s_cbranch_execz .LBB63_215
; %bb.209:
	ds_write2_b64 v127, v[29:30], v[31:32] offset1:1
	ds_write2_b64 v125, v[25:26], v[27:28] offset0:48 offset1:49
	ds_write2_b64 v125, v[21:22], v[23:24] offset0:50 offset1:51
	;; [unrolled: 1-line block ×6, first 2 shown]
	buffer_load_dword v0, off, s[20:23], 0  ; 4-byte Folded Reload
	buffer_load_dword v1, off, s[20:23], 0 offset:4 ; 4-byte Folded Reload
	buffer_load_dword v2, off, s[20:23], 0 offset:8 ; 4-byte Folded Reload
	;; [unrolled: 1-line block ×3, first 2 shown]
	s_waitcnt vmcnt(0)
	ds_write2_b64 v125, v[0:1], v[2:3] offset0:60 offset1:61
	ds_write2_b64 v125, v[109:110], v[111:112] offset0:62 offset1:63
	ds_read2_b64 v[97:100], v127 offset1:1
	s_waitcnt lgkmcnt(0)
	v_cmp_neq_f64_e32 vcc, 0, v[97:98]
	v_cmp_neq_f64_e64 s[2:3], 0, v[99:100]
	s_or_b64 s[2:3], vcc, s[2:3]
	s_and_b64 exec, exec, s[2:3]
	s_cbranch_execz .LBB63_215
; %bb.210:
	v_cmp_ngt_f64_e64 s[2:3], |v[97:98]|, |v[99:100]|
                                        ; implicit-def: $vgpr101_vgpr102
	s_and_saveexec_b64 s[6:7], s[2:3]
	s_xor_b64 s[2:3], exec, s[6:7]
                                        ; implicit-def: $vgpr103_vgpr104
	s_cbranch_execz .LBB63_212
; %bb.211:
	v_div_scale_f64 v[101:102], s[6:7], v[99:100], v[99:100], v[97:98]
	v_rcp_f64_e32 v[103:104], v[101:102]
	v_fma_f64 v[105:106], -v[101:102], v[103:104], 1.0
	v_fma_f64 v[103:104], v[103:104], v[105:106], v[103:104]
	v_div_scale_f64 v[105:106], vcc, v[97:98], v[99:100], v[97:98]
	v_fma_f64 v[107:108], -v[101:102], v[103:104], 1.0
	v_fma_f64 v[103:104], v[103:104], v[107:108], v[103:104]
	v_mul_f64 v[107:108], v[105:106], v[103:104]
	v_fma_f64 v[101:102], -v[101:102], v[107:108], v[105:106]
	v_div_fmas_f64 v[101:102], v[101:102], v[103:104], v[107:108]
	v_div_fixup_f64 v[101:102], v[101:102], v[99:100], v[97:98]
	v_fma_f64 v[97:98], v[97:98], v[101:102], v[99:100]
	v_div_scale_f64 v[99:100], s[6:7], v[97:98], v[97:98], 1.0
	v_div_scale_f64 v[107:108], vcc, 1.0, v[97:98], 1.0
	v_rcp_f64_e32 v[103:104], v[99:100]
	v_fma_f64 v[105:106], -v[99:100], v[103:104], 1.0
	v_fma_f64 v[103:104], v[103:104], v[105:106], v[103:104]
	v_fma_f64 v[105:106], -v[99:100], v[103:104], 1.0
	v_fma_f64 v[103:104], v[103:104], v[105:106], v[103:104]
	v_mul_f64 v[105:106], v[107:108], v[103:104]
	v_fma_f64 v[99:100], -v[99:100], v[105:106], v[107:108]
	v_div_fmas_f64 v[99:100], v[99:100], v[103:104], v[105:106]
	v_div_fixup_f64 v[103:104], v[99:100], v[97:98], 1.0
                                        ; implicit-def: $vgpr97_vgpr98
	v_mul_f64 v[101:102], v[101:102], v[103:104]
	v_xor_b32_e32 v104, 0x80000000, v104
.LBB63_212:
	s_andn2_saveexec_b64 s[2:3], s[2:3]
	s_cbranch_execz .LBB63_214
; %bb.213:
	v_div_scale_f64 v[101:102], s[6:7], v[97:98], v[97:98], v[99:100]
	v_rcp_f64_e32 v[103:104], v[101:102]
	v_fma_f64 v[105:106], -v[101:102], v[103:104], 1.0
	v_fma_f64 v[103:104], v[103:104], v[105:106], v[103:104]
	v_div_scale_f64 v[105:106], vcc, v[99:100], v[97:98], v[99:100]
	v_fma_f64 v[107:108], -v[101:102], v[103:104], 1.0
	v_fma_f64 v[103:104], v[103:104], v[107:108], v[103:104]
	v_mul_f64 v[107:108], v[105:106], v[103:104]
	v_fma_f64 v[101:102], -v[101:102], v[107:108], v[105:106]
	v_div_fmas_f64 v[101:102], v[101:102], v[103:104], v[107:108]
	v_div_fixup_f64 v[103:104], v[101:102], v[97:98], v[99:100]
	v_fma_f64 v[97:98], v[99:100], v[103:104], v[97:98]
	v_div_scale_f64 v[99:100], s[6:7], v[97:98], v[97:98], 1.0
	v_div_scale_f64 v[107:108], vcc, 1.0, v[97:98], 1.0
	v_rcp_f64_e32 v[101:102], v[99:100]
	v_fma_f64 v[105:106], -v[99:100], v[101:102], 1.0
	v_fma_f64 v[101:102], v[101:102], v[105:106], v[101:102]
	v_fma_f64 v[105:106], -v[99:100], v[101:102], 1.0
	v_fma_f64 v[101:102], v[101:102], v[105:106], v[101:102]
	v_mul_f64 v[105:106], v[107:108], v[101:102]
	v_fma_f64 v[99:100], -v[99:100], v[105:106], v[107:108]
	v_div_fmas_f64 v[99:100], v[99:100], v[101:102], v[105:106]
	v_div_fixup_f64 v[101:102], v[99:100], v[97:98], 1.0
	v_mul_f64 v[103:104], v[103:104], -v[101:102]
.LBB63_214:
	s_or_b64 exec, exec, s[2:3]
	ds_write2_b64 v127, v[101:102], v[103:104] offset1:1
.LBB63_215:
	s_or_b64 exec, exec, s[4:5]
	s_waitcnt lgkmcnt(0)
	s_barrier
	ds_read2_b64 v[97:100], v127 offset1:1
	v_cmp_lt_u32_e32 vcc, 23, v126
	s_waitcnt lgkmcnt(0)
	buffer_store_dword v97, off, s[20:23], 0 offset:832 ; 4-byte Folded Spill
	s_nop 0
	buffer_store_dword v98, off, s[20:23], 0 offset:836 ; 4-byte Folded Spill
	buffer_store_dword v99, off, s[20:23], 0 offset:840 ; 4-byte Folded Spill
	;; [unrolled: 1-line block ×3, first 2 shown]
	s_and_saveexec_b64 s[2:3], vcc
	s_cbranch_execz .LBB63_217
; %bb.216:
	buffer_load_dword v99, off, s[20:23], 0 offset:832 ; 4-byte Folded Reload
	buffer_load_dword v100, off, s[20:23], 0 offset:836 ; 4-byte Folded Reload
	;; [unrolled: 1-line block ×4, first 2 shown]
	s_waitcnt vmcnt(2)
	v_mul_f64 v[97:98], v[99:100], v[31:32]
	s_waitcnt vmcnt(0)
	v_mul_f64 v[31:32], v[101:102], v[31:32]
	v_fma_f64 v[97:98], v[101:102], v[29:30], v[97:98]
	v_fma_f64 v[29:30], v[99:100], v[29:30], -v[31:32]
	ds_read2_b64 v[99:102], v125 offset0:48 offset1:49
	s_waitcnt lgkmcnt(0)
	v_mul_f64 v[31:32], v[101:102], v[97:98]
	v_fma_f64 v[31:32], v[99:100], v[29:30], -v[31:32]
	v_mul_f64 v[99:100], v[99:100], v[97:98]
	v_add_f64 v[25:26], v[25:26], -v[31:32]
	v_fma_f64 v[99:100], v[101:102], v[29:30], v[99:100]
	v_add_f64 v[27:28], v[27:28], -v[99:100]
	ds_read2_b64 v[99:102], v125 offset0:50 offset1:51
	s_waitcnt lgkmcnt(0)
	v_mul_f64 v[31:32], v[101:102], v[97:98]
	v_fma_f64 v[31:32], v[99:100], v[29:30], -v[31:32]
	v_mul_f64 v[99:100], v[99:100], v[97:98]
	v_add_f64 v[21:22], v[21:22], -v[31:32]
	v_fma_f64 v[99:100], v[101:102], v[29:30], v[99:100]
	v_add_f64 v[23:24], v[23:24], -v[99:100]
	;; [unrolled: 8-line block ×6, first 2 shown]
	ds_read2_b64 v[99:102], v125 offset0:60 offset1:61
	buffer_load_dword v0, off, s[20:23], 0  ; 4-byte Folded Reload
	buffer_load_dword v1, off, s[20:23], 0 offset:4 ; 4-byte Folded Reload
	buffer_load_dword v2, off, s[20:23], 0 offset:8 ; 4-byte Folded Reload
	;; [unrolled: 1-line block ×3, first 2 shown]
	s_waitcnt lgkmcnt(0)
	v_mul_f64 v[31:32], v[101:102], v[97:98]
	v_fma_f64 v[31:32], v[99:100], v[29:30], -v[31:32]
	v_mul_f64 v[99:100], v[99:100], v[97:98]
	v_fma_f64 v[99:100], v[101:102], v[29:30], v[99:100]
	s_waitcnt vmcnt(2)
	v_add_f64 v[0:1], v[0:1], -v[31:32]
	s_waitcnt vmcnt(0)
	v_add_f64 v[2:3], v[2:3], -v[99:100]
	buffer_store_dword v0, off, s[20:23], 0 ; 4-byte Folded Spill
	s_nop 0
	buffer_store_dword v1, off, s[20:23], 0 offset:4 ; 4-byte Folded Spill
	buffer_store_dword v2, off, s[20:23], 0 offset:8 ; 4-byte Folded Spill
	;; [unrolled: 1-line block ×3, first 2 shown]
	ds_read2_b64 v[99:102], v125 offset0:62 offset1:63
	s_waitcnt lgkmcnt(0)
	v_mul_f64 v[31:32], v[101:102], v[97:98]
	v_fma_f64 v[31:32], v[99:100], v[29:30], -v[31:32]
	v_mul_f64 v[99:100], v[99:100], v[97:98]
	v_add_f64 v[109:110], v[109:110], -v[31:32]
	v_fma_f64 v[99:100], v[101:102], v[29:30], v[99:100]
	v_mov_b32_e32 v31, v97
	v_mov_b32_e32 v32, v98
	v_add_f64 v[111:112], v[111:112], -v[99:100]
.LBB63_217:
	s_or_b64 exec, exec, s[2:3]
	v_cmp_eq_u32_e32 vcc, 24, v126
	s_waitcnt vmcnt(0)
	s_barrier
	s_and_saveexec_b64 s[4:5], vcc
	s_cbranch_execz .LBB63_224
; %bb.218:
	ds_write2_b64 v127, v[25:26], v[27:28] offset1:1
	ds_write2_b64 v125, v[21:22], v[23:24] offset0:50 offset1:51
	ds_write2_b64 v125, v[17:18], v[19:20] offset0:52 offset1:53
	;; [unrolled: 1-line block ×5, first 2 shown]
	buffer_load_dword v0, off, s[20:23], 0  ; 4-byte Folded Reload
	buffer_load_dword v1, off, s[20:23], 0 offset:4 ; 4-byte Folded Reload
	buffer_load_dword v2, off, s[20:23], 0 offset:8 ; 4-byte Folded Reload
	;; [unrolled: 1-line block ×3, first 2 shown]
	s_waitcnt vmcnt(0)
	ds_write2_b64 v125, v[0:1], v[2:3] offset0:60 offset1:61
	ds_write2_b64 v125, v[109:110], v[111:112] offset0:62 offset1:63
	ds_read2_b64 v[97:100], v127 offset1:1
	s_waitcnt lgkmcnt(0)
	v_cmp_neq_f64_e32 vcc, 0, v[97:98]
	v_cmp_neq_f64_e64 s[2:3], 0, v[99:100]
	s_or_b64 s[2:3], vcc, s[2:3]
	s_and_b64 exec, exec, s[2:3]
	s_cbranch_execz .LBB63_224
; %bb.219:
	v_cmp_ngt_f64_e64 s[2:3], |v[97:98]|, |v[99:100]|
                                        ; implicit-def: $vgpr101_vgpr102
	s_and_saveexec_b64 s[6:7], s[2:3]
	s_xor_b64 s[2:3], exec, s[6:7]
                                        ; implicit-def: $vgpr103_vgpr104
	s_cbranch_execz .LBB63_221
; %bb.220:
	v_div_scale_f64 v[101:102], s[6:7], v[99:100], v[99:100], v[97:98]
	v_rcp_f64_e32 v[103:104], v[101:102]
	v_fma_f64 v[105:106], -v[101:102], v[103:104], 1.0
	v_fma_f64 v[103:104], v[103:104], v[105:106], v[103:104]
	v_div_scale_f64 v[105:106], vcc, v[97:98], v[99:100], v[97:98]
	v_fma_f64 v[107:108], -v[101:102], v[103:104], 1.0
	v_fma_f64 v[103:104], v[103:104], v[107:108], v[103:104]
	v_mul_f64 v[107:108], v[105:106], v[103:104]
	v_fma_f64 v[101:102], -v[101:102], v[107:108], v[105:106]
	v_div_fmas_f64 v[101:102], v[101:102], v[103:104], v[107:108]
	v_div_fixup_f64 v[101:102], v[101:102], v[99:100], v[97:98]
	v_fma_f64 v[97:98], v[97:98], v[101:102], v[99:100]
	v_div_scale_f64 v[99:100], s[6:7], v[97:98], v[97:98], 1.0
	v_div_scale_f64 v[107:108], vcc, 1.0, v[97:98], 1.0
	v_rcp_f64_e32 v[103:104], v[99:100]
	v_fma_f64 v[105:106], -v[99:100], v[103:104], 1.0
	v_fma_f64 v[103:104], v[103:104], v[105:106], v[103:104]
	v_fma_f64 v[105:106], -v[99:100], v[103:104], 1.0
	v_fma_f64 v[103:104], v[103:104], v[105:106], v[103:104]
	v_mul_f64 v[105:106], v[107:108], v[103:104]
	v_fma_f64 v[99:100], -v[99:100], v[105:106], v[107:108]
	v_div_fmas_f64 v[99:100], v[99:100], v[103:104], v[105:106]
	v_div_fixup_f64 v[103:104], v[99:100], v[97:98], 1.0
                                        ; implicit-def: $vgpr97_vgpr98
	v_mul_f64 v[101:102], v[101:102], v[103:104]
	v_xor_b32_e32 v104, 0x80000000, v104
.LBB63_221:
	s_andn2_saveexec_b64 s[2:3], s[2:3]
	s_cbranch_execz .LBB63_223
; %bb.222:
	v_div_scale_f64 v[101:102], s[6:7], v[97:98], v[97:98], v[99:100]
	v_rcp_f64_e32 v[103:104], v[101:102]
	v_fma_f64 v[105:106], -v[101:102], v[103:104], 1.0
	v_fma_f64 v[103:104], v[103:104], v[105:106], v[103:104]
	v_div_scale_f64 v[105:106], vcc, v[99:100], v[97:98], v[99:100]
	v_fma_f64 v[107:108], -v[101:102], v[103:104], 1.0
	v_fma_f64 v[103:104], v[103:104], v[107:108], v[103:104]
	v_mul_f64 v[107:108], v[105:106], v[103:104]
	v_fma_f64 v[101:102], -v[101:102], v[107:108], v[105:106]
	v_div_fmas_f64 v[101:102], v[101:102], v[103:104], v[107:108]
	v_div_fixup_f64 v[103:104], v[101:102], v[97:98], v[99:100]
	v_fma_f64 v[97:98], v[99:100], v[103:104], v[97:98]
	v_div_scale_f64 v[99:100], s[6:7], v[97:98], v[97:98], 1.0
	v_div_scale_f64 v[107:108], vcc, 1.0, v[97:98], 1.0
	v_rcp_f64_e32 v[101:102], v[99:100]
	v_fma_f64 v[105:106], -v[99:100], v[101:102], 1.0
	v_fma_f64 v[101:102], v[101:102], v[105:106], v[101:102]
	v_fma_f64 v[105:106], -v[99:100], v[101:102], 1.0
	v_fma_f64 v[101:102], v[101:102], v[105:106], v[101:102]
	v_mul_f64 v[105:106], v[107:108], v[101:102]
	v_fma_f64 v[99:100], -v[99:100], v[105:106], v[107:108]
	v_div_fmas_f64 v[99:100], v[99:100], v[101:102], v[105:106]
	v_div_fixup_f64 v[101:102], v[99:100], v[97:98], 1.0
	v_mul_f64 v[103:104], v[103:104], -v[101:102]
.LBB63_223:
	s_or_b64 exec, exec, s[2:3]
	ds_write2_b64 v127, v[101:102], v[103:104] offset1:1
.LBB63_224:
	s_or_b64 exec, exec, s[4:5]
	s_waitcnt lgkmcnt(0)
	s_barrier
	ds_read2_b64 v[97:100], v127 offset1:1
	v_cmp_lt_u32_e32 vcc, 24, v126
	s_waitcnt lgkmcnt(0)
	buffer_store_dword v97, off, s[20:23], 0 offset:848 ; 4-byte Folded Spill
	s_nop 0
	buffer_store_dword v98, off, s[20:23], 0 offset:852 ; 4-byte Folded Spill
	buffer_store_dword v99, off, s[20:23], 0 offset:856 ; 4-byte Folded Spill
	;; [unrolled: 1-line block ×3, first 2 shown]
	s_and_saveexec_b64 s[2:3], vcc
	s_cbranch_execz .LBB63_226
; %bb.225:
	buffer_load_dword v99, off, s[20:23], 0 offset:848 ; 4-byte Folded Reload
	buffer_load_dword v100, off, s[20:23], 0 offset:852 ; 4-byte Folded Reload
	;; [unrolled: 1-line block ×4, first 2 shown]
	s_waitcnt vmcnt(2)
	v_mul_f64 v[97:98], v[99:100], v[27:28]
	s_waitcnt vmcnt(0)
	v_mul_f64 v[27:28], v[101:102], v[27:28]
	v_fma_f64 v[97:98], v[101:102], v[25:26], v[97:98]
	v_fma_f64 v[25:26], v[99:100], v[25:26], -v[27:28]
	ds_read2_b64 v[99:102], v125 offset0:50 offset1:51
	s_waitcnt lgkmcnt(0)
	v_mul_f64 v[27:28], v[101:102], v[97:98]
	v_fma_f64 v[27:28], v[99:100], v[25:26], -v[27:28]
	v_mul_f64 v[99:100], v[99:100], v[97:98]
	v_add_f64 v[21:22], v[21:22], -v[27:28]
	v_fma_f64 v[99:100], v[101:102], v[25:26], v[99:100]
	v_add_f64 v[23:24], v[23:24], -v[99:100]
	ds_read2_b64 v[99:102], v125 offset0:52 offset1:53
	s_waitcnt lgkmcnt(0)
	v_mul_f64 v[27:28], v[101:102], v[97:98]
	v_fma_f64 v[27:28], v[99:100], v[25:26], -v[27:28]
	v_mul_f64 v[99:100], v[99:100], v[97:98]
	v_add_f64 v[17:18], v[17:18], -v[27:28]
	v_fma_f64 v[99:100], v[101:102], v[25:26], v[99:100]
	v_add_f64 v[19:20], v[19:20], -v[99:100]
	;; [unrolled: 8-line block ×5, first 2 shown]
	ds_read2_b64 v[99:102], v125 offset0:60 offset1:61
	buffer_load_dword v0, off, s[20:23], 0  ; 4-byte Folded Reload
	buffer_load_dword v1, off, s[20:23], 0 offset:4 ; 4-byte Folded Reload
	buffer_load_dword v2, off, s[20:23], 0 offset:8 ; 4-byte Folded Reload
	;; [unrolled: 1-line block ×3, first 2 shown]
	s_waitcnt lgkmcnt(0)
	v_mul_f64 v[27:28], v[101:102], v[97:98]
	v_fma_f64 v[27:28], v[99:100], v[25:26], -v[27:28]
	v_mul_f64 v[99:100], v[99:100], v[97:98]
	v_fma_f64 v[99:100], v[101:102], v[25:26], v[99:100]
	s_waitcnt vmcnt(2)
	v_add_f64 v[0:1], v[0:1], -v[27:28]
	s_waitcnt vmcnt(0)
	v_add_f64 v[2:3], v[2:3], -v[99:100]
	buffer_store_dword v0, off, s[20:23], 0 ; 4-byte Folded Spill
	s_nop 0
	buffer_store_dword v1, off, s[20:23], 0 offset:4 ; 4-byte Folded Spill
	buffer_store_dword v2, off, s[20:23], 0 offset:8 ; 4-byte Folded Spill
	;; [unrolled: 1-line block ×3, first 2 shown]
	ds_read2_b64 v[99:102], v125 offset0:62 offset1:63
	s_waitcnt lgkmcnt(0)
	v_mul_f64 v[27:28], v[101:102], v[97:98]
	v_fma_f64 v[27:28], v[99:100], v[25:26], -v[27:28]
	v_mul_f64 v[99:100], v[99:100], v[97:98]
	v_add_f64 v[109:110], v[109:110], -v[27:28]
	v_fma_f64 v[99:100], v[101:102], v[25:26], v[99:100]
	v_mov_b32_e32 v27, v97
	v_mov_b32_e32 v28, v98
	v_add_f64 v[111:112], v[111:112], -v[99:100]
.LBB63_226:
	s_or_b64 exec, exec, s[2:3]
	v_cmp_eq_u32_e32 vcc, 25, v126
	s_waitcnt vmcnt(0)
	s_barrier
	s_and_saveexec_b64 s[4:5], vcc
	s_cbranch_execz .LBB63_233
; %bb.227:
	ds_write2_b64 v127, v[21:22], v[23:24] offset1:1
	ds_write2_b64 v125, v[17:18], v[19:20] offset0:52 offset1:53
	ds_write2_b64 v125, v[13:14], v[15:16] offset0:54 offset1:55
	;; [unrolled: 1-line block ×4, first 2 shown]
	buffer_load_dword v0, off, s[20:23], 0  ; 4-byte Folded Reload
	buffer_load_dword v1, off, s[20:23], 0 offset:4 ; 4-byte Folded Reload
	buffer_load_dword v2, off, s[20:23], 0 offset:8 ; 4-byte Folded Reload
	buffer_load_dword v3, off, s[20:23], 0 offset:12 ; 4-byte Folded Reload
	s_waitcnt vmcnt(0)
	ds_write2_b64 v125, v[0:1], v[2:3] offset0:60 offset1:61
	ds_write2_b64 v125, v[109:110], v[111:112] offset0:62 offset1:63
	ds_read2_b64 v[97:100], v127 offset1:1
	s_waitcnt lgkmcnt(0)
	v_cmp_neq_f64_e32 vcc, 0, v[97:98]
	v_cmp_neq_f64_e64 s[2:3], 0, v[99:100]
	s_or_b64 s[2:3], vcc, s[2:3]
	s_and_b64 exec, exec, s[2:3]
	s_cbranch_execz .LBB63_233
; %bb.228:
	v_cmp_ngt_f64_e64 s[2:3], |v[97:98]|, |v[99:100]|
                                        ; implicit-def: $vgpr101_vgpr102
	s_and_saveexec_b64 s[6:7], s[2:3]
	s_xor_b64 s[2:3], exec, s[6:7]
                                        ; implicit-def: $vgpr103_vgpr104
	s_cbranch_execz .LBB63_230
; %bb.229:
	v_div_scale_f64 v[101:102], s[6:7], v[99:100], v[99:100], v[97:98]
	v_rcp_f64_e32 v[103:104], v[101:102]
	v_fma_f64 v[105:106], -v[101:102], v[103:104], 1.0
	v_fma_f64 v[103:104], v[103:104], v[105:106], v[103:104]
	v_div_scale_f64 v[105:106], vcc, v[97:98], v[99:100], v[97:98]
	v_fma_f64 v[107:108], -v[101:102], v[103:104], 1.0
	v_fma_f64 v[103:104], v[103:104], v[107:108], v[103:104]
	v_mul_f64 v[107:108], v[105:106], v[103:104]
	v_fma_f64 v[101:102], -v[101:102], v[107:108], v[105:106]
	v_div_fmas_f64 v[101:102], v[101:102], v[103:104], v[107:108]
	v_div_fixup_f64 v[101:102], v[101:102], v[99:100], v[97:98]
	v_fma_f64 v[97:98], v[97:98], v[101:102], v[99:100]
	v_div_scale_f64 v[99:100], s[6:7], v[97:98], v[97:98], 1.0
	v_div_scale_f64 v[107:108], vcc, 1.0, v[97:98], 1.0
	v_rcp_f64_e32 v[103:104], v[99:100]
	v_fma_f64 v[105:106], -v[99:100], v[103:104], 1.0
	v_fma_f64 v[103:104], v[103:104], v[105:106], v[103:104]
	v_fma_f64 v[105:106], -v[99:100], v[103:104], 1.0
	v_fma_f64 v[103:104], v[103:104], v[105:106], v[103:104]
	v_mul_f64 v[105:106], v[107:108], v[103:104]
	v_fma_f64 v[99:100], -v[99:100], v[105:106], v[107:108]
	v_div_fmas_f64 v[99:100], v[99:100], v[103:104], v[105:106]
	v_div_fixup_f64 v[103:104], v[99:100], v[97:98], 1.0
                                        ; implicit-def: $vgpr97_vgpr98
	v_mul_f64 v[101:102], v[101:102], v[103:104]
	v_xor_b32_e32 v104, 0x80000000, v104
.LBB63_230:
	s_andn2_saveexec_b64 s[2:3], s[2:3]
	s_cbranch_execz .LBB63_232
; %bb.231:
	v_div_scale_f64 v[101:102], s[6:7], v[97:98], v[97:98], v[99:100]
	v_rcp_f64_e32 v[103:104], v[101:102]
	v_fma_f64 v[105:106], -v[101:102], v[103:104], 1.0
	v_fma_f64 v[103:104], v[103:104], v[105:106], v[103:104]
	v_div_scale_f64 v[105:106], vcc, v[99:100], v[97:98], v[99:100]
	v_fma_f64 v[107:108], -v[101:102], v[103:104], 1.0
	v_fma_f64 v[103:104], v[103:104], v[107:108], v[103:104]
	v_mul_f64 v[107:108], v[105:106], v[103:104]
	v_fma_f64 v[101:102], -v[101:102], v[107:108], v[105:106]
	v_div_fmas_f64 v[101:102], v[101:102], v[103:104], v[107:108]
	v_div_fixup_f64 v[103:104], v[101:102], v[97:98], v[99:100]
	v_fma_f64 v[97:98], v[99:100], v[103:104], v[97:98]
	v_div_scale_f64 v[99:100], s[6:7], v[97:98], v[97:98], 1.0
	v_div_scale_f64 v[107:108], vcc, 1.0, v[97:98], 1.0
	v_rcp_f64_e32 v[101:102], v[99:100]
	v_fma_f64 v[105:106], -v[99:100], v[101:102], 1.0
	v_fma_f64 v[101:102], v[101:102], v[105:106], v[101:102]
	v_fma_f64 v[105:106], -v[99:100], v[101:102], 1.0
	v_fma_f64 v[101:102], v[101:102], v[105:106], v[101:102]
	v_mul_f64 v[105:106], v[107:108], v[101:102]
	v_fma_f64 v[99:100], -v[99:100], v[105:106], v[107:108]
	v_div_fmas_f64 v[99:100], v[99:100], v[101:102], v[105:106]
	v_div_fixup_f64 v[101:102], v[99:100], v[97:98], 1.0
	v_mul_f64 v[103:104], v[103:104], -v[101:102]
.LBB63_232:
	s_or_b64 exec, exec, s[2:3]
	ds_write2_b64 v127, v[101:102], v[103:104] offset1:1
.LBB63_233:
	s_or_b64 exec, exec, s[4:5]
	s_waitcnt lgkmcnt(0)
	s_barrier
	ds_read2_b64 v[97:100], v127 offset1:1
	v_cmp_lt_u32_e32 vcc, 25, v126
	s_waitcnt lgkmcnt(0)
	buffer_store_dword v97, off, s[20:23], 0 offset:864 ; 4-byte Folded Spill
	s_nop 0
	buffer_store_dword v98, off, s[20:23], 0 offset:868 ; 4-byte Folded Spill
	buffer_store_dword v99, off, s[20:23], 0 offset:872 ; 4-byte Folded Spill
	;; [unrolled: 1-line block ×3, first 2 shown]
	s_and_saveexec_b64 s[2:3], vcc
	s_cbranch_execz .LBB63_235
; %bb.234:
	buffer_load_dword v99, off, s[20:23], 0 offset:864 ; 4-byte Folded Reload
	buffer_load_dword v100, off, s[20:23], 0 offset:868 ; 4-byte Folded Reload
	;; [unrolled: 1-line block ×4, first 2 shown]
	s_waitcnt vmcnt(2)
	v_mul_f64 v[97:98], v[99:100], v[23:24]
	s_waitcnt vmcnt(0)
	v_mul_f64 v[23:24], v[101:102], v[23:24]
	v_fma_f64 v[97:98], v[101:102], v[21:22], v[97:98]
	v_fma_f64 v[21:22], v[99:100], v[21:22], -v[23:24]
	ds_read2_b64 v[99:102], v125 offset0:52 offset1:53
	s_waitcnt lgkmcnt(0)
	v_mul_f64 v[23:24], v[101:102], v[97:98]
	v_fma_f64 v[23:24], v[99:100], v[21:22], -v[23:24]
	v_mul_f64 v[99:100], v[99:100], v[97:98]
	v_add_f64 v[17:18], v[17:18], -v[23:24]
	v_fma_f64 v[99:100], v[101:102], v[21:22], v[99:100]
	v_add_f64 v[19:20], v[19:20], -v[99:100]
	ds_read2_b64 v[99:102], v125 offset0:54 offset1:55
	s_waitcnt lgkmcnt(0)
	v_mul_f64 v[23:24], v[101:102], v[97:98]
	v_fma_f64 v[23:24], v[99:100], v[21:22], -v[23:24]
	v_mul_f64 v[99:100], v[99:100], v[97:98]
	v_add_f64 v[13:14], v[13:14], -v[23:24]
	v_fma_f64 v[99:100], v[101:102], v[21:22], v[99:100]
	v_add_f64 v[15:16], v[15:16], -v[99:100]
	;; [unrolled: 8-line block ×4, first 2 shown]
	ds_read2_b64 v[99:102], v125 offset0:60 offset1:61
	buffer_load_dword v0, off, s[20:23], 0  ; 4-byte Folded Reload
	buffer_load_dword v1, off, s[20:23], 0 offset:4 ; 4-byte Folded Reload
	buffer_load_dword v2, off, s[20:23], 0 offset:8 ; 4-byte Folded Reload
	buffer_load_dword v3, off, s[20:23], 0 offset:12 ; 4-byte Folded Reload
	s_waitcnt lgkmcnt(0)
	v_mul_f64 v[23:24], v[101:102], v[97:98]
	v_fma_f64 v[23:24], v[99:100], v[21:22], -v[23:24]
	v_mul_f64 v[99:100], v[99:100], v[97:98]
	v_fma_f64 v[99:100], v[101:102], v[21:22], v[99:100]
	s_waitcnt vmcnt(2)
	v_add_f64 v[0:1], v[0:1], -v[23:24]
	s_waitcnt vmcnt(0)
	v_add_f64 v[2:3], v[2:3], -v[99:100]
	buffer_store_dword v0, off, s[20:23], 0 ; 4-byte Folded Spill
	s_nop 0
	buffer_store_dword v1, off, s[20:23], 0 offset:4 ; 4-byte Folded Spill
	buffer_store_dword v2, off, s[20:23], 0 offset:8 ; 4-byte Folded Spill
	;; [unrolled: 1-line block ×3, first 2 shown]
	ds_read2_b64 v[99:102], v125 offset0:62 offset1:63
	s_waitcnt lgkmcnt(0)
	v_mul_f64 v[23:24], v[101:102], v[97:98]
	v_fma_f64 v[23:24], v[99:100], v[21:22], -v[23:24]
	v_mul_f64 v[99:100], v[99:100], v[97:98]
	v_add_f64 v[109:110], v[109:110], -v[23:24]
	v_fma_f64 v[99:100], v[101:102], v[21:22], v[99:100]
	v_mov_b32_e32 v23, v97
	v_mov_b32_e32 v24, v98
	v_add_f64 v[111:112], v[111:112], -v[99:100]
.LBB63_235:
	s_or_b64 exec, exec, s[2:3]
	v_cmp_eq_u32_e32 vcc, 26, v126
	s_waitcnt vmcnt(0)
	s_barrier
	s_and_saveexec_b64 s[4:5], vcc
	s_cbranch_execz .LBB63_242
; %bb.236:
	ds_write2_b64 v127, v[17:18], v[19:20] offset1:1
	ds_write2_b64 v125, v[13:14], v[15:16] offset0:54 offset1:55
	ds_write2_b64 v125, v[9:10], v[11:12] offset0:56 offset1:57
	;; [unrolled: 1-line block ×3, first 2 shown]
	buffer_load_dword v0, off, s[20:23], 0  ; 4-byte Folded Reload
	buffer_load_dword v1, off, s[20:23], 0 offset:4 ; 4-byte Folded Reload
	buffer_load_dword v2, off, s[20:23], 0 offset:8 ; 4-byte Folded Reload
	;; [unrolled: 1-line block ×3, first 2 shown]
	s_waitcnt vmcnt(0)
	ds_write2_b64 v125, v[0:1], v[2:3] offset0:60 offset1:61
	ds_write2_b64 v125, v[109:110], v[111:112] offset0:62 offset1:63
	ds_read2_b64 v[97:100], v127 offset1:1
	s_waitcnt lgkmcnt(0)
	v_cmp_neq_f64_e32 vcc, 0, v[97:98]
	v_cmp_neq_f64_e64 s[2:3], 0, v[99:100]
	s_or_b64 s[2:3], vcc, s[2:3]
	s_and_b64 exec, exec, s[2:3]
	s_cbranch_execz .LBB63_242
; %bb.237:
	v_cmp_ngt_f64_e64 s[2:3], |v[97:98]|, |v[99:100]|
                                        ; implicit-def: $vgpr101_vgpr102
	s_and_saveexec_b64 s[6:7], s[2:3]
	s_xor_b64 s[2:3], exec, s[6:7]
                                        ; implicit-def: $vgpr103_vgpr104
	s_cbranch_execz .LBB63_239
; %bb.238:
	v_div_scale_f64 v[101:102], s[6:7], v[99:100], v[99:100], v[97:98]
	v_rcp_f64_e32 v[103:104], v[101:102]
	v_fma_f64 v[105:106], -v[101:102], v[103:104], 1.0
	v_fma_f64 v[103:104], v[103:104], v[105:106], v[103:104]
	v_div_scale_f64 v[105:106], vcc, v[97:98], v[99:100], v[97:98]
	v_fma_f64 v[107:108], -v[101:102], v[103:104], 1.0
	v_fma_f64 v[103:104], v[103:104], v[107:108], v[103:104]
	v_mul_f64 v[107:108], v[105:106], v[103:104]
	v_fma_f64 v[101:102], -v[101:102], v[107:108], v[105:106]
	v_div_fmas_f64 v[101:102], v[101:102], v[103:104], v[107:108]
	v_div_fixup_f64 v[101:102], v[101:102], v[99:100], v[97:98]
	v_fma_f64 v[97:98], v[97:98], v[101:102], v[99:100]
	v_div_scale_f64 v[99:100], s[6:7], v[97:98], v[97:98], 1.0
	v_div_scale_f64 v[107:108], vcc, 1.0, v[97:98], 1.0
	v_rcp_f64_e32 v[103:104], v[99:100]
	v_fma_f64 v[105:106], -v[99:100], v[103:104], 1.0
	v_fma_f64 v[103:104], v[103:104], v[105:106], v[103:104]
	v_fma_f64 v[105:106], -v[99:100], v[103:104], 1.0
	v_fma_f64 v[103:104], v[103:104], v[105:106], v[103:104]
	v_mul_f64 v[105:106], v[107:108], v[103:104]
	v_fma_f64 v[99:100], -v[99:100], v[105:106], v[107:108]
	v_div_fmas_f64 v[99:100], v[99:100], v[103:104], v[105:106]
	v_div_fixup_f64 v[103:104], v[99:100], v[97:98], 1.0
                                        ; implicit-def: $vgpr97_vgpr98
	v_mul_f64 v[101:102], v[101:102], v[103:104]
	v_xor_b32_e32 v104, 0x80000000, v104
.LBB63_239:
	s_andn2_saveexec_b64 s[2:3], s[2:3]
	s_cbranch_execz .LBB63_241
; %bb.240:
	v_div_scale_f64 v[101:102], s[6:7], v[97:98], v[97:98], v[99:100]
	v_rcp_f64_e32 v[103:104], v[101:102]
	v_fma_f64 v[105:106], -v[101:102], v[103:104], 1.0
	v_fma_f64 v[103:104], v[103:104], v[105:106], v[103:104]
	v_div_scale_f64 v[105:106], vcc, v[99:100], v[97:98], v[99:100]
	v_fma_f64 v[107:108], -v[101:102], v[103:104], 1.0
	v_fma_f64 v[103:104], v[103:104], v[107:108], v[103:104]
	v_mul_f64 v[107:108], v[105:106], v[103:104]
	v_fma_f64 v[101:102], -v[101:102], v[107:108], v[105:106]
	v_div_fmas_f64 v[101:102], v[101:102], v[103:104], v[107:108]
	v_div_fixup_f64 v[103:104], v[101:102], v[97:98], v[99:100]
	v_fma_f64 v[97:98], v[99:100], v[103:104], v[97:98]
	v_div_scale_f64 v[99:100], s[6:7], v[97:98], v[97:98], 1.0
	v_div_scale_f64 v[107:108], vcc, 1.0, v[97:98], 1.0
	v_rcp_f64_e32 v[101:102], v[99:100]
	v_fma_f64 v[105:106], -v[99:100], v[101:102], 1.0
	v_fma_f64 v[101:102], v[101:102], v[105:106], v[101:102]
	v_fma_f64 v[105:106], -v[99:100], v[101:102], 1.0
	v_fma_f64 v[101:102], v[101:102], v[105:106], v[101:102]
	v_mul_f64 v[105:106], v[107:108], v[101:102]
	v_fma_f64 v[99:100], -v[99:100], v[105:106], v[107:108]
	v_div_fmas_f64 v[99:100], v[99:100], v[101:102], v[105:106]
	v_div_fixup_f64 v[101:102], v[99:100], v[97:98], 1.0
	v_mul_f64 v[103:104], v[103:104], -v[101:102]
.LBB63_241:
	s_or_b64 exec, exec, s[2:3]
	ds_write2_b64 v127, v[101:102], v[103:104] offset1:1
.LBB63_242:
	s_or_b64 exec, exec, s[4:5]
	s_waitcnt lgkmcnt(0)
	s_barrier
	ds_read2_b64 v[105:108], v127 offset1:1
	v_cmp_lt_u32_e32 vcc, 26, v126
	s_and_saveexec_b64 s[2:3], vcc
	s_cbranch_execz .LBB63_244
; %bb.243:
	s_waitcnt lgkmcnt(0)
	v_mul_f64 v[97:98], v[105:106], v[19:20]
	v_mul_f64 v[19:20], v[107:108], v[19:20]
	v_fma_f64 v[101:102], v[107:108], v[17:18], v[97:98]
	ds_read2_b64 v[97:100], v125 offset0:54 offset1:55
	v_fma_f64 v[17:18], v[105:106], v[17:18], -v[19:20]
	s_waitcnt lgkmcnt(0)
	v_mul_f64 v[19:20], v[99:100], v[101:102]
	v_fma_f64 v[19:20], v[97:98], v[17:18], -v[19:20]
	v_mul_f64 v[97:98], v[97:98], v[101:102]
	v_add_f64 v[13:14], v[13:14], -v[19:20]
	v_fma_f64 v[97:98], v[99:100], v[17:18], v[97:98]
	v_add_f64 v[15:16], v[15:16], -v[97:98]
	ds_read2_b64 v[97:100], v125 offset0:56 offset1:57
	s_waitcnt lgkmcnt(0)
	v_mul_f64 v[19:20], v[99:100], v[101:102]
	v_fma_f64 v[19:20], v[97:98], v[17:18], -v[19:20]
	v_mul_f64 v[97:98], v[97:98], v[101:102]
	v_add_f64 v[9:10], v[9:10], -v[19:20]
	v_fma_f64 v[97:98], v[99:100], v[17:18], v[97:98]
	v_add_f64 v[11:12], v[11:12], -v[97:98]
	ds_read2_b64 v[97:100], v125 offset0:58 offset1:59
	;; [unrolled: 8-line block ×3, first 2 shown]
	buffer_load_dword v0, off, s[20:23], 0  ; 4-byte Folded Reload
	buffer_load_dword v1, off, s[20:23], 0 offset:4 ; 4-byte Folded Reload
	buffer_load_dword v2, off, s[20:23], 0 offset:8 ; 4-byte Folded Reload
	;; [unrolled: 1-line block ×3, first 2 shown]
	s_waitcnt lgkmcnt(0)
	v_mul_f64 v[19:20], v[99:100], v[101:102]
	v_fma_f64 v[19:20], v[97:98], v[17:18], -v[19:20]
	v_mul_f64 v[97:98], v[97:98], v[101:102]
	v_fma_f64 v[97:98], v[99:100], v[17:18], v[97:98]
	s_waitcnt vmcnt(2)
	v_add_f64 v[0:1], v[0:1], -v[19:20]
	s_waitcnt vmcnt(0)
	v_add_f64 v[2:3], v[2:3], -v[97:98]
	buffer_store_dword v0, off, s[20:23], 0 ; 4-byte Folded Spill
	s_nop 0
	buffer_store_dword v1, off, s[20:23], 0 offset:4 ; 4-byte Folded Spill
	buffer_store_dword v2, off, s[20:23], 0 offset:8 ; 4-byte Folded Spill
	;; [unrolled: 1-line block ×3, first 2 shown]
	ds_read2_b64 v[97:100], v125 offset0:62 offset1:63
	s_waitcnt lgkmcnt(0)
	v_mul_f64 v[19:20], v[99:100], v[101:102]
	v_fma_f64 v[19:20], v[97:98], v[17:18], -v[19:20]
	v_mul_f64 v[97:98], v[97:98], v[101:102]
	v_add_f64 v[109:110], v[109:110], -v[19:20]
	v_fma_f64 v[97:98], v[99:100], v[17:18], v[97:98]
	v_mov_b32_e32 v19, v101
	v_mov_b32_e32 v20, v102
	v_add_f64 v[111:112], v[111:112], -v[97:98]
.LBB63_244:
	s_or_b64 exec, exec, s[2:3]
	v_cmp_eq_u32_e32 vcc, 27, v126
	s_waitcnt vmcnt(0) lgkmcnt(0)
	s_barrier
	s_and_saveexec_b64 s[4:5], vcc
	s_cbranch_execz .LBB63_251
; %bb.245:
	ds_write2_b64 v127, v[13:14], v[15:16] offset1:1
	ds_write2_b64 v125, v[9:10], v[11:12] offset0:56 offset1:57
	ds_write2_b64 v125, v[5:6], v[7:8] offset0:58 offset1:59
	buffer_load_dword v0, off, s[20:23], 0  ; 4-byte Folded Reload
	buffer_load_dword v1, off, s[20:23], 0 offset:4 ; 4-byte Folded Reload
	buffer_load_dword v2, off, s[20:23], 0 offset:8 ; 4-byte Folded Reload
	;; [unrolled: 1-line block ×3, first 2 shown]
	s_waitcnt vmcnt(0)
	ds_write2_b64 v125, v[0:1], v[2:3] offset0:60 offset1:61
	ds_write2_b64 v125, v[109:110], v[111:112] offset0:62 offset1:63
	ds_read2_b64 v[97:100], v127 offset1:1
	s_waitcnt lgkmcnt(0)
	v_cmp_neq_f64_e32 vcc, 0, v[97:98]
	v_cmp_neq_f64_e64 s[2:3], 0, v[99:100]
	s_or_b64 s[2:3], vcc, s[2:3]
	s_and_b64 exec, exec, s[2:3]
	s_cbranch_execz .LBB63_251
; %bb.246:
	v_cmp_ngt_f64_e64 s[2:3], |v[97:98]|, |v[99:100]|
                                        ; implicit-def: $vgpr101_vgpr102
	s_and_saveexec_b64 s[6:7], s[2:3]
	s_xor_b64 s[2:3], exec, s[6:7]
                                        ; implicit-def: $vgpr103_vgpr104
	s_cbranch_execz .LBB63_248
; %bb.247:
	v_div_scale_f64 v[101:102], s[6:7], v[99:100], v[99:100], v[97:98]
	v_mov_b32_e32 v124, v112
	v_mov_b32_e32 v123, v111
	;; [unrolled: 1-line block ×8, first 2 shown]
	v_rcp_f64_e32 v[103:104], v[101:102]
	v_fma_f64 v[105:106], -v[101:102], v[103:104], 1.0
	v_fma_f64 v[103:104], v[103:104], v[105:106], v[103:104]
	v_div_scale_f64 v[105:106], vcc, v[97:98], v[99:100], v[97:98]
	v_fma_f64 v[107:108], -v[101:102], v[103:104], 1.0
	v_fma_f64 v[103:104], v[103:104], v[107:108], v[103:104]
	v_mul_f64 v[107:108], v[105:106], v[103:104]
	v_fma_f64 v[101:102], -v[101:102], v[107:108], v[105:106]
	v_div_fmas_f64 v[101:102], v[101:102], v[103:104], v[107:108]
	v_div_fixup_f64 v[101:102], v[101:102], v[99:100], v[97:98]
	v_fma_f64 v[97:98], v[97:98], v[101:102], v[99:100]
	v_div_scale_f64 v[99:100], s[6:7], v[97:98], v[97:98], 1.0
	v_div_scale_f64 v[107:108], vcc, 1.0, v[97:98], 1.0
	v_rcp_f64_e32 v[103:104], v[99:100]
	v_fma_f64 v[105:106], -v[99:100], v[103:104], 1.0
	v_fma_f64 v[103:104], v[103:104], v[105:106], v[103:104]
	v_fma_f64 v[105:106], -v[99:100], v[103:104], 1.0
	v_fma_f64 v[103:104], v[103:104], v[105:106], v[103:104]
	v_mul_f64 v[105:106], v[107:108], v[103:104]
	v_fma_f64 v[99:100], -v[99:100], v[105:106], v[107:108]
	v_div_fmas_f64 v[99:100], v[99:100], v[103:104], v[105:106]
	v_mov_b32_e32 v105, v109
	v_mov_b32_e32 v106, v110
	;; [unrolled: 1-line block ×8, first 2 shown]
	v_div_fixup_f64 v[103:104], v[99:100], v[97:98], 1.0
                                        ; implicit-def: $vgpr97_vgpr98
	v_mul_f64 v[101:102], v[101:102], v[103:104]
	v_xor_b32_e32 v104, 0x80000000, v104
.LBB63_248:
	s_andn2_saveexec_b64 s[2:3], s[2:3]
	s_cbranch_execz .LBB63_250
; %bb.249:
	v_div_scale_f64 v[101:102], s[6:7], v[97:98], v[97:98], v[99:100]
	v_mov_b32_e32 v124, v112
	v_mov_b32_e32 v123, v111
	;; [unrolled: 1-line block ×8, first 2 shown]
	v_rcp_f64_e32 v[103:104], v[101:102]
	v_fma_f64 v[105:106], -v[101:102], v[103:104], 1.0
	v_fma_f64 v[103:104], v[103:104], v[105:106], v[103:104]
	v_div_scale_f64 v[105:106], vcc, v[99:100], v[97:98], v[99:100]
	v_fma_f64 v[107:108], -v[101:102], v[103:104], 1.0
	v_fma_f64 v[103:104], v[103:104], v[107:108], v[103:104]
	v_mul_f64 v[107:108], v[105:106], v[103:104]
	v_fma_f64 v[101:102], -v[101:102], v[107:108], v[105:106]
	v_div_fmas_f64 v[101:102], v[101:102], v[103:104], v[107:108]
	v_div_fixup_f64 v[103:104], v[101:102], v[97:98], v[99:100]
	v_fma_f64 v[97:98], v[99:100], v[103:104], v[97:98]
	v_div_scale_f64 v[99:100], s[6:7], v[97:98], v[97:98], 1.0
	v_div_scale_f64 v[107:108], vcc, 1.0, v[97:98], 1.0
	v_rcp_f64_e32 v[101:102], v[99:100]
	v_fma_f64 v[105:106], -v[99:100], v[101:102], 1.0
	v_fma_f64 v[101:102], v[101:102], v[105:106], v[101:102]
	v_fma_f64 v[105:106], -v[99:100], v[101:102], 1.0
	v_fma_f64 v[101:102], v[101:102], v[105:106], v[101:102]
	v_mul_f64 v[105:106], v[107:108], v[101:102]
	v_fma_f64 v[99:100], -v[99:100], v[105:106], v[107:108]
	v_div_fmas_f64 v[99:100], v[99:100], v[101:102], v[105:106]
	v_mov_b32_e32 v105, v109
	v_mov_b32_e32 v106, v110
	;; [unrolled: 1-line block ×8, first 2 shown]
	v_div_fixup_f64 v[101:102], v[99:100], v[97:98], 1.0
	v_mul_f64 v[103:104], v[103:104], -v[101:102]
.LBB63_250:
	s_or_b64 exec, exec, s[2:3]
	ds_write2_b64 v127, v[101:102], v[103:104] offset1:1
.LBB63_251:
	s_or_b64 exec, exec, s[4:5]
	s_waitcnt lgkmcnt(0)
	s_barrier
	ds_read2_b64 v[121:124], v127 offset1:1
	v_cmp_lt_u32_e32 vcc, 27, v126
	s_and_saveexec_b64 s[2:3], vcc
	s_cbranch_execz .LBB63_253
; %bb.252:
	s_waitcnt lgkmcnt(0)
	v_mul_f64 v[97:98], v[121:122], v[15:16]
	v_mul_f64 v[15:16], v[123:124], v[15:16]
	v_fma_f64 v[101:102], v[123:124], v[13:14], v[97:98]
	ds_read2_b64 v[97:100], v125 offset0:56 offset1:57
	v_fma_f64 v[13:14], v[121:122], v[13:14], -v[15:16]
	s_waitcnt lgkmcnt(0)
	v_mul_f64 v[15:16], v[99:100], v[101:102]
	v_fma_f64 v[15:16], v[97:98], v[13:14], -v[15:16]
	v_mul_f64 v[97:98], v[97:98], v[101:102]
	v_add_f64 v[9:10], v[9:10], -v[15:16]
	v_fma_f64 v[97:98], v[99:100], v[13:14], v[97:98]
	v_add_f64 v[11:12], v[11:12], -v[97:98]
	ds_read2_b64 v[97:100], v125 offset0:58 offset1:59
	s_waitcnt lgkmcnt(0)
	v_mul_f64 v[15:16], v[99:100], v[101:102]
	v_fma_f64 v[15:16], v[97:98], v[13:14], -v[15:16]
	v_mul_f64 v[97:98], v[97:98], v[101:102]
	v_add_f64 v[5:6], v[5:6], -v[15:16]
	v_fma_f64 v[97:98], v[99:100], v[13:14], v[97:98]
	v_add_f64 v[7:8], v[7:8], -v[97:98]
	ds_read2_b64 v[97:100], v125 offset0:60 offset1:61
	buffer_load_dword v0, off, s[20:23], 0  ; 4-byte Folded Reload
	buffer_load_dword v1, off, s[20:23], 0 offset:4 ; 4-byte Folded Reload
	buffer_load_dword v2, off, s[20:23], 0 offset:8 ; 4-byte Folded Reload
	;; [unrolled: 1-line block ×3, first 2 shown]
	s_waitcnt lgkmcnt(0)
	v_mul_f64 v[15:16], v[99:100], v[101:102]
	v_fma_f64 v[15:16], v[97:98], v[13:14], -v[15:16]
	v_mul_f64 v[97:98], v[97:98], v[101:102]
	v_fma_f64 v[97:98], v[99:100], v[13:14], v[97:98]
	s_waitcnt vmcnt(2)
	v_add_f64 v[0:1], v[0:1], -v[15:16]
	s_waitcnt vmcnt(0)
	v_add_f64 v[2:3], v[2:3], -v[97:98]
	buffer_store_dword v0, off, s[20:23], 0 ; 4-byte Folded Spill
	s_nop 0
	buffer_store_dword v1, off, s[20:23], 0 offset:4 ; 4-byte Folded Spill
	buffer_store_dword v2, off, s[20:23], 0 offset:8 ; 4-byte Folded Spill
	;; [unrolled: 1-line block ×3, first 2 shown]
	ds_read2_b64 v[97:100], v125 offset0:62 offset1:63
	s_waitcnt lgkmcnt(0)
	v_mul_f64 v[15:16], v[99:100], v[101:102]
	v_fma_f64 v[15:16], v[97:98], v[13:14], -v[15:16]
	v_mul_f64 v[97:98], v[97:98], v[101:102]
	v_add_f64 v[109:110], v[109:110], -v[15:16]
	v_fma_f64 v[97:98], v[99:100], v[13:14], v[97:98]
	v_mov_b32_e32 v15, v101
	v_mov_b32_e32 v16, v102
	v_add_f64 v[111:112], v[111:112], -v[97:98]
.LBB63_253:
	s_or_b64 exec, exec, s[2:3]
	v_cmp_eq_u32_e32 vcc, 28, v126
	s_waitcnt vmcnt(0) lgkmcnt(0)
	s_barrier
	s_and_saveexec_b64 s[4:5], vcc
	s_cbranch_execz .LBB63_260
; %bb.254:
	ds_write2_b64 v127, v[9:10], v[11:12] offset1:1
	ds_write2_b64 v125, v[5:6], v[7:8] offset0:58 offset1:59
	buffer_load_dword v0, off, s[20:23], 0  ; 4-byte Folded Reload
	buffer_load_dword v1, off, s[20:23], 0 offset:4 ; 4-byte Folded Reload
	buffer_load_dword v2, off, s[20:23], 0 offset:8 ; 4-byte Folded Reload
	;; [unrolled: 1-line block ×3, first 2 shown]
	s_waitcnt vmcnt(0)
	ds_write2_b64 v125, v[0:1], v[2:3] offset0:60 offset1:61
	ds_write2_b64 v125, v[109:110], v[111:112] offset0:62 offset1:63
	ds_read2_b64 v[97:100], v127 offset1:1
	s_waitcnt lgkmcnt(0)
	v_cmp_neq_f64_e32 vcc, 0, v[97:98]
	v_cmp_neq_f64_e64 s[2:3], 0, v[99:100]
	s_or_b64 s[2:3], vcc, s[2:3]
	s_and_b64 exec, exec, s[2:3]
	s_cbranch_execz .LBB63_260
; %bb.255:
	v_cmp_ngt_f64_e64 s[2:3], |v[97:98]|, |v[99:100]|
                                        ; implicit-def: $vgpr101_vgpr102
	s_and_saveexec_b64 s[6:7], s[2:3]
	s_xor_b64 s[2:3], exec, s[6:7]
                                        ; implicit-def: $vgpr103_vgpr104
	s_cbranch_execz .LBB63_257
; %bb.256:
	v_div_scale_f64 v[101:102], s[6:7], v[99:100], v[99:100], v[97:98]
	v_mov_b32_e32 v85, v121
	v_mov_b32_e32 v86, v122
	;; [unrolled: 1-line block ×12, first 2 shown]
	v_rcp_f64_e32 v[103:104], v[101:102]
	v_fma_f64 v[105:106], -v[101:102], v[103:104], 1.0
	v_fma_f64 v[103:104], v[103:104], v[105:106], v[103:104]
	v_div_scale_f64 v[105:106], vcc, v[97:98], v[99:100], v[97:98]
	v_fma_f64 v[107:108], -v[101:102], v[103:104], 1.0
	v_fma_f64 v[103:104], v[103:104], v[107:108], v[103:104]
	v_mul_f64 v[107:108], v[105:106], v[103:104]
	v_fma_f64 v[101:102], -v[101:102], v[107:108], v[105:106]
	v_div_fmas_f64 v[101:102], v[101:102], v[103:104], v[107:108]
	v_div_fixup_f64 v[101:102], v[101:102], v[99:100], v[97:98]
	v_fma_f64 v[97:98], v[97:98], v[101:102], v[99:100]
	v_div_scale_f64 v[99:100], s[6:7], v[97:98], v[97:98], 1.0
	v_div_scale_f64 v[107:108], vcc, 1.0, v[97:98], 1.0
	v_rcp_f64_e32 v[103:104], v[99:100]
	v_fma_f64 v[105:106], -v[99:100], v[103:104], 1.0
	v_fma_f64 v[103:104], v[103:104], v[105:106], v[103:104]
	v_fma_f64 v[105:106], -v[99:100], v[103:104], 1.0
	v_fma_f64 v[103:104], v[103:104], v[105:106], v[103:104]
	v_mul_f64 v[105:106], v[107:108], v[103:104]
	v_fma_f64 v[99:100], -v[99:100], v[105:106], v[107:108]
	v_div_fmas_f64 v[99:100], v[99:100], v[103:104], v[105:106]
	v_mov_b32_e32 v105, v109
	v_mov_b32_e32 v106, v110
	;; [unrolled: 1-line block ×12, first 2 shown]
	v_div_fixup_f64 v[103:104], v[99:100], v[97:98], 1.0
                                        ; implicit-def: $vgpr97_vgpr98
	v_mul_f64 v[101:102], v[101:102], v[103:104]
	v_xor_b32_e32 v104, 0x80000000, v104
.LBB63_257:
	s_andn2_saveexec_b64 s[2:3], s[2:3]
	s_cbranch_execz .LBB63_259
; %bb.258:
	v_div_scale_f64 v[101:102], s[6:7], v[97:98], v[97:98], v[99:100]
	v_mov_b32_e32 v85, v121
	v_mov_b32_e32 v86, v122
	v_mov_b32_e32 v87, v123
	v_mov_b32_e32 v88, v124
	v_mov_b32_e32 v124, v112
	v_mov_b32_e32 v123, v111
	v_mov_b32_e32 v122, v110
	v_mov_b32_e32 v121, v109
	v_mov_b32_e32 v112, v108
	v_mov_b32_e32 v111, v107
	v_mov_b32_e32 v110, v106
	v_mov_b32_e32 v109, v105
	v_rcp_f64_e32 v[103:104], v[101:102]
	v_fma_f64 v[105:106], -v[101:102], v[103:104], 1.0
	v_fma_f64 v[103:104], v[103:104], v[105:106], v[103:104]
	v_div_scale_f64 v[105:106], vcc, v[99:100], v[97:98], v[99:100]
	v_fma_f64 v[107:108], -v[101:102], v[103:104], 1.0
	v_fma_f64 v[103:104], v[103:104], v[107:108], v[103:104]
	v_mul_f64 v[107:108], v[105:106], v[103:104]
	v_fma_f64 v[101:102], -v[101:102], v[107:108], v[105:106]
	v_div_fmas_f64 v[101:102], v[101:102], v[103:104], v[107:108]
	v_div_fixup_f64 v[103:104], v[101:102], v[97:98], v[99:100]
	v_fma_f64 v[97:98], v[99:100], v[103:104], v[97:98]
	v_div_scale_f64 v[99:100], s[6:7], v[97:98], v[97:98], 1.0
	v_div_scale_f64 v[107:108], vcc, 1.0, v[97:98], 1.0
	v_rcp_f64_e32 v[101:102], v[99:100]
	v_fma_f64 v[105:106], -v[99:100], v[101:102], 1.0
	v_fma_f64 v[101:102], v[101:102], v[105:106], v[101:102]
	v_fma_f64 v[105:106], -v[99:100], v[101:102], 1.0
	v_fma_f64 v[101:102], v[101:102], v[105:106], v[101:102]
	v_mul_f64 v[105:106], v[107:108], v[101:102]
	v_fma_f64 v[99:100], -v[99:100], v[105:106], v[107:108]
	v_div_fmas_f64 v[99:100], v[99:100], v[101:102], v[105:106]
	v_mov_b32_e32 v105, v109
	v_mov_b32_e32 v106, v110
	;; [unrolled: 1-line block ×12, first 2 shown]
	v_div_fixup_f64 v[101:102], v[99:100], v[97:98], 1.0
	v_mul_f64 v[103:104], v[103:104], -v[101:102]
.LBB63_259:
	s_or_b64 exec, exec, s[2:3]
	ds_write2_b64 v127, v[101:102], v[103:104] offset1:1
.LBB63_260:
	s_or_b64 exec, exec, s[4:5]
	s_waitcnt lgkmcnt(0)
	s_barrier
	ds_read2_b64 v[117:120], v127 offset1:1
	v_cmp_lt_u32_e32 vcc, 28, v126
	s_and_saveexec_b64 s[2:3], vcc
	s_cbranch_execz .LBB63_262
; %bb.261:
	s_waitcnt lgkmcnt(0)
	v_mul_f64 v[97:98], v[117:118], v[11:12]
	v_mul_f64 v[11:12], v[119:120], v[11:12]
	v_fma_f64 v[101:102], v[119:120], v[9:10], v[97:98]
	ds_read2_b64 v[97:100], v125 offset0:58 offset1:59
	v_fma_f64 v[9:10], v[117:118], v[9:10], -v[11:12]
	s_waitcnt lgkmcnt(0)
	v_mul_f64 v[11:12], v[99:100], v[101:102]
	v_fma_f64 v[11:12], v[97:98], v[9:10], -v[11:12]
	v_mul_f64 v[97:98], v[97:98], v[101:102]
	v_add_f64 v[5:6], v[5:6], -v[11:12]
	v_fma_f64 v[97:98], v[99:100], v[9:10], v[97:98]
	v_add_f64 v[7:8], v[7:8], -v[97:98]
	ds_read2_b64 v[97:100], v125 offset0:60 offset1:61
	buffer_load_dword v0, off, s[20:23], 0  ; 4-byte Folded Reload
	buffer_load_dword v1, off, s[20:23], 0 offset:4 ; 4-byte Folded Reload
	buffer_load_dword v2, off, s[20:23], 0 offset:8 ; 4-byte Folded Reload
	;; [unrolled: 1-line block ×3, first 2 shown]
	s_waitcnt lgkmcnt(0)
	v_mul_f64 v[11:12], v[99:100], v[101:102]
	v_fma_f64 v[11:12], v[97:98], v[9:10], -v[11:12]
	v_mul_f64 v[97:98], v[97:98], v[101:102]
	v_fma_f64 v[97:98], v[99:100], v[9:10], v[97:98]
	s_waitcnt vmcnt(2)
	v_add_f64 v[0:1], v[0:1], -v[11:12]
	s_waitcnt vmcnt(0)
	v_add_f64 v[2:3], v[2:3], -v[97:98]
	buffer_store_dword v0, off, s[20:23], 0 ; 4-byte Folded Spill
	s_nop 0
	buffer_store_dword v1, off, s[20:23], 0 offset:4 ; 4-byte Folded Spill
	buffer_store_dword v2, off, s[20:23], 0 offset:8 ; 4-byte Folded Spill
	;; [unrolled: 1-line block ×3, first 2 shown]
	ds_read2_b64 v[97:100], v125 offset0:62 offset1:63
	s_waitcnt lgkmcnt(0)
	v_mul_f64 v[11:12], v[99:100], v[101:102]
	v_fma_f64 v[11:12], v[97:98], v[9:10], -v[11:12]
	v_mul_f64 v[97:98], v[97:98], v[101:102]
	v_add_f64 v[109:110], v[109:110], -v[11:12]
	v_fma_f64 v[97:98], v[99:100], v[9:10], v[97:98]
	v_mov_b32_e32 v11, v101
	v_mov_b32_e32 v12, v102
	v_add_f64 v[111:112], v[111:112], -v[97:98]
.LBB63_262:
	s_or_b64 exec, exec, s[2:3]
	v_cmp_eq_u32_e32 vcc, 29, v126
	s_waitcnt vmcnt(0) lgkmcnt(0)
	s_barrier
	s_and_saveexec_b64 s[4:5], vcc
	s_cbranch_execz .LBB63_269
; %bb.263:
	ds_write2_b64 v127, v[5:6], v[7:8] offset1:1
	buffer_load_dword v0, off, s[20:23], 0  ; 4-byte Folded Reload
	buffer_load_dword v1, off, s[20:23], 0 offset:4 ; 4-byte Folded Reload
	buffer_load_dword v2, off, s[20:23], 0 offset:8 ; 4-byte Folded Reload
	;; [unrolled: 1-line block ×3, first 2 shown]
	s_waitcnt vmcnt(0)
	ds_write2_b64 v125, v[0:1], v[2:3] offset0:60 offset1:61
	ds_write2_b64 v125, v[109:110], v[111:112] offset0:62 offset1:63
	ds_read2_b64 v[97:100], v127 offset1:1
	s_waitcnt lgkmcnt(0)
	v_cmp_neq_f64_e32 vcc, 0, v[97:98]
	v_cmp_neq_f64_e64 s[2:3], 0, v[99:100]
	s_or_b64 s[2:3], vcc, s[2:3]
	s_and_b64 exec, exec, s[2:3]
	s_cbranch_execz .LBB63_269
; %bb.264:
	v_cmp_ngt_f64_e64 s[2:3], |v[97:98]|, |v[99:100]|
                                        ; implicit-def: $vgpr101_vgpr102
	s_and_saveexec_b64 s[6:7], s[2:3]
	s_xor_b64 s[2:3], exec, s[6:7]
                                        ; implicit-def: $vgpr103_vgpr104
	s_cbranch_execz .LBB63_266
; %bb.265:
	v_div_scale_f64 v[101:102], s[6:7], v[99:100], v[99:100], v[97:98]
	v_mov_b32_e32 v85, v121
	v_mov_b32_e32 v86, v122
	;; [unrolled: 1-line block ×4, first 2 shown]
	v_rcp_f64_e32 v[103:104], v[101:102]
	v_fma_f64 v[121:122], -v[101:102], v[103:104], 1.0
	v_fma_f64 v[103:104], v[103:104], v[121:122], v[103:104]
	v_div_scale_f64 v[121:122], vcc, v[97:98], v[99:100], v[97:98]
	v_fma_f64 v[123:124], -v[101:102], v[103:104], 1.0
	v_fma_f64 v[103:104], v[103:104], v[123:124], v[103:104]
	v_mul_f64 v[123:124], v[121:122], v[103:104]
	v_fma_f64 v[101:102], -v[101:102], v[123:124], v[121:122]
	v_div_fmas_f64 v[101:102], v[101:102], v[103:104], v[123:124]
	v_div_fixup_f64 v[101:102], v[101:102], v[99:100], v[97:98]
	v_fma_f64 v[97:98], v[97:98], v[101:102], v[99:100]
	v_div_scale_f64 v[99:100], s[6:7], v[97:98], v[97:98], 1.0
	v_div_scale_f64 v[123:124], vcc, 1.0, v[97:98], 1.0
	v_rcp_f64_e32 v[103:104], v[99:100]
	v_fma_f64 v[121:122], -v[99:100], v[103:104], 1.0
	v_fma_f64 v[103:104], v[103:104], v[121:122], v[103:104]
	v_fma_f64 v[121:122], -v[99:100], v[103:104], 1.0
	v_fma_f64 v[103:104], v[103:104], v[121:122], v[103:104]
	v_mul_f64 v[121:122], v[123:124], v[103:104]
	v_fma_f64 v[99:100], -v[99:100], v[121:122], v[123:124]
	v_div_fmas_f64 v[99:100], v[99:100], v[103:104], v[121:122]
	v_mov_b32_e32 v124, v88
	v_mov_b32_e32 v123, v87
	;; [unrolled: 1-line block ×4, first 2 shown]
	v_div_fixup_f64 v[103:104], v[99:100], v[97:98], 1.0
                                        ; implicit-def: $vgpr97_vgpr98
	v_mul_f64 v[101:102], v[101:102], v[103:104]
	v_xor_b32_e32 v104, 0x80000000, v104
.LBB63_266:
	s_andn2_saveexec_b64 s[2:3], s[2:3]
	s_cbranch_execz .LBB63_268
; %bb.267:
	v_div_scale_f64 v[101:102], s[6:7], v[97:98], v[97:98], v[99:100]
	v_mov_b32_e32 v85, v121
	v_mov_b32_e32 v86, v122
	v_mov_b32_e32 v87, v123
	v_mov_b32_e32 v88, v124
	v_rcp_f64_e32 v[103:104], v[101:102]
	v_fma_f64 v[121:122], -v[101:102], v[103:104], 1.0
	v_fma_f64 v[103:104], v[103:104], v[121:122], v[103:104]
	v_div_scale_f64 v[121:122], vcc, v[99:100], v[97:98], v[99:100]
	v_fma_f64 v[123:124], -v[101:102], v[103:104], 1.0
	v_fma_f64 v[103:104], v[103:104], v[123:124], v[103:104]
	v_mul_f64 v[123:124], v[121:122], v[103:104]
	v_fma_f64 v[101:102], -v[101:102], v[123:124], v[121:122]
	v_div_fmas_f64 v[101:102], v[101:102], v[103:104], v[123:124]
	v_div_fixup_f64 v[103:104], v[101:102], v[97:98], v[99:100]
	v_fma_f64 v[97:98], v[99:100], v[103:104], v[97:98]
	v_div_scale_f64 v[99:100], s[6:7], v[97:98], v[97:98], 1.0
	v_div_scale_f64 v[123:124], vcc, 1.0, v[97:98], 1.0
	v_rcp_f64_e32 v[101:102], v[99:100]
	v_fma_f64 v[121:122], -v[99:100], v[101:102], 1.0
	v_fma_f64 v[101:102], v[101:102], v[121:122], v[101:102]
	v_fma_f64 v[121:122], -v[99:100], v[101:102], 1.0
	v_fma_f64 v[101:102], v[101:102], v[121:122], v[101:102]
	v_mul_f64 v[121:122], v[123:124], v[101:102]
	v_fma_f64 v[99:100], -v[99:100], v[121:122], v[123:124]
	v_div_fmas_f64 v[99:100], v[99:100], v[101:102], v[121:122]
	v_mov_b32_e32 v124, v88
	v_mov_b32_e32 v123, v87
	;; [unrolled: 1-line block ×4, first 2 shown]
	v_div_fixup_f64 v[101:102], v[99:100], v[97:98], 1.0
	v_mul_f64 v[103:104], v[103:104], -v[101:102]
.LBB63_268:
	s_or_b64 exec, exec, s[2:3]
	ds_write2_b64 v127, v[101:102], v[103:104] offset1:1
.LBB63_269:
	s_or_b64 exec, exec, s[4:5]
	s_waitcnt lgkmcnt(0)
	s_barrier
	ds_read2_b64 v[85:88], v127 offset1:1
	v_cmp_lt_u32_e32 vcc, 29, v126
	s_and_saveexec_b64 s[2:3], vcc
	s_cbranch_execz .LBB63_271
; %bb.270:
	s_waitcnt lgkmcnt(0)
	v_mul_f64 v[97:98], v[85:86], v[7:8]
	v_mul_f64 v[7:8], v[87:88], v[7:8]
	v_fma_f64 v[101:102], v[87:88], v[5:6], v[97:98]
	ds_read2_b64 v[97:100], v125 offset0:60 offset1:61
	buffer_load_dword v0, off, s[20:23], 0  ; 4-byte Folded Reload
	buffer_load_dword v1, off, s[20:23], 0 offset:4 ; 4-byte Folded Reload
	buffer_load_dword v2, off, s[20:23], 0 offset:8 ; 4-byte Folded Reload
	;; [unrolled: 1-line block ×3, first 2 shown]
	v_fma_f64 v[5:6], v[85:86], v[5:6], -v[7:8]
	s_waitcnt lgkmcnt(0)
	v_mul_f64 v[7:8], v[99:100], v[101:102]
	v_fma_f64 v[7:8], v[97:98], v[5:6], -v[7:8]
	v_mul_f64 v[97:98], v[97:98], v[101:102]
	v_fma_f64 v[97:98], v[99:100], v[5:6], v[97:98]
	s_waitcnt vmcnt(2)
	v_add_f64 v[0:1], v[0:1], -v[7:8]
	s_waitcnt vmcnt(0)
	v_add_f64 v[2:3], v[2:3], -v[97:98]
	buffer_store_dword v0, off, s[20:23], 0 ; 4-byte Folded Spill
	s_nop 0
	buffer_store_dword v1, off, s[20:23], 0 offset:4 ; 4-byte Folded Spill
	buffer_store_dword v2, off, s[20:23], 0 offset:8 ; 4-byte Folded Spill
	;; [unrolled: 1-line block ×3, first 2 shown]
	ds_read2_b64 v[97:100], v125 offset0:62 offset1:63
	s_waitcnt lgkmcnt(0)
	v_mul_f64 v[7:8], v[99:100], v[101:102]
	v_fma_f64 v[7:8], v[97:98], v[5:6], -v[7:8]
	v_mul_f64 v[97:98], v[97:98], v[101:102]
	v_add_f64 v[109:110], v[109:110], -v[7:8]
	v_fma_f64 v[97:98], v[99:100], v[5:6], v[97:98]
	v_mov_b32_e32 v7, v101
	v_mov_b32_e32 v8, v102
	v_add_f64 v[111:112], v[111:112], -v[97:98]
.LBB63_271:
	s_or_b64 exec, exec, s[2:3]
	v_cmp_eq_u32_e32 vcc, 30, v126
	s_waitcnt vmcnt(0) lgkmcnt(0)
	s_barrier
	s_and_saveexec_b64 s[4:5], vcc
	s_cbranch_execz .LBB63_278
; %bb.272:
	buffer_load_dword v0, off, s[20:23], 0  ; 4-byte Folded Reload
	buffer_load_dword v1, off, s[20:23], 0 offset:4 ; 4-byte Folded Reload
	buffer_load_dword v2, off, s[20:23], 0 offset:8 ; 4-byte Folded Reload
	;; [unrolled: 1-line block ×3, first 2 shown]
	s_waitcnt vmcnt(0)
	ds_write2_b64 v127, v[0:1], v[2:3] offset1:1
	ds_write2_b64 v125, v[109:110], v[111:112] offset0:62 offset1:63
	ds_read2_b64 v[97:100], v127 offset1:1
	s_waitcnt lgkmcnt(0)
	v_cmp_neq_f64_e32 vcc, 0, v[97:98]
	v_cmp_neq_f64_e64 s[2:3], 0, v[99:100]
	s_or_b64 s[2:3], vcc, s[2:3]
	s_and_b64 exec, exec, s[2:3]
	s_cbranch_execz .LBB63_278
; %bb.273:
	v_cmp_ngt_f64_e64 s[2:3], |v[97:98]|, |v[99:100]|
                                        ; implicit-def: $vgpr101_vgpr102
	s_and_saveexec_b64 s[6:7], s[2:3]
	s_xor_b64 s[2:3], exec, s[6:7]
                                        ; implicit-def: $vgpr103_vgpr104
	s_cbranch_execz .LBB63_275
; %bb.274:
	v_div_scale_f64 v[101:102], s[6:7], v[99:100], v[99:100], v[97:98]
	v_div_scale_f64 v[95:96], vcc, v[97:98], v[99:100], v[97:98]
	v_rcp_f64_e32 v[103:104], v[101:102]
	v_fma_f64 v[93:94], -v[101:102], v[103:104], 1.0
	v_fma_f64 v[93:94], v[103:104], v[93:94], v[103:104]
	v_fma_f64 v[103:104], -v[101:102], v[93:94], 1.0
	v_fma_f64 v[93:94], v[93:94], v[103:104], v[93:94]
	v_mul_f64 v[103:104], v[95:96], v[93:94]
	v_fma_f64 v[95:96], -v[101:102], v[103:104], v[95:96]
	v_div_fmas_f64 v[93:94], v[95:96], v[93:94], v[103:104]
	v_div_fixup_f64 v[93:94], v[93:94], v[99:100], v[97:98]
	v_fma_f64 v[95:96], v[97:98], v[93:94], v[99:100]
	v_div_scale_f64 v[97:98], s[6:7], v[95:96], v[95:96], 1.0
	v_div_scale_f64 v[103:104], vcc, 1.0, v[95:96], 1.0
	v_rcp_f64_e32 v[99:100], v[97:98]
	v_fma_f64 v[101:102], -v[97:98], v[99:100], 1.0
	v_fma_f64 v[99:100], v[99:100], v[101:102], v[99:100]
	v_fma_f64 v[101:102], -v[97:98], v[99:100], 1.0
	v_fma_f64 v[99:100], v[99:100], v[101:102], v[99:100]
	v_mul_f64 v[101:102], v[103:104], v[99:100]
	v_fma_f64 v[97:98], -v[97:98], v[101:102], v[103:104]
	v_div_fmas_f64 v[97:98], v[97:98], v[99:100], v[101:102]
	v_div_fixup_f64 v[103:104], v[97:98], v[95:96], 1.0
                                        ; implicit-def: $vgpr97_vgpr98
	v_mul_f64 v[101:102], v[93:94], v[103:104]
	buffer_load_dword v93, off, s[20:23], 0 offset:128 ; 4-byte Folded Reload
	buffer_load_dword v94, off, s[20:23], 0 offset:132 ; 4-byte Folded Reload
	;; [unrolled: 1-line block ×4, first 2 shown]
	v_xor_b32_e32 v104, 0x80000000, v104
.LBB63_275:
	s_andn2_saveexec_b64 s[2:3], s[2:3]
	s_cbranch_execz .LBB63_277
; %bb.276:
	s_waitcnt vmcnt(2)
	v_div_scale_f64 v[93:94], s[6:7], v[97:98], v[97:98], v[99:100]
	s_waitcnt vmcnt(0)
	v_rcp_f64_e32 v[95:96], v[93:94]
	v_fma_f64 v[101:102], -v[93:94], v[95:96], 1.0
	v_fma_f64 v[95:96], v[95:96], v[101:102], v[95:96]
	v_div_scale_f64 v[101:102], vcc, v[99:100], v[97:98], v[99:100]
	v_fma_f64 v[103:104], -v[93:94], v[95:96], 1.0
	v_fma_f64 v[95:96], v[95:96], v[103:104], v[95:96]
	v_mul_f64 v[103:104], v[101:102], v[95:96]
	v_fma_f64 v[93:94], -v[93:94], v[103:104], v[101:102]
	v_div_fmas_f64 v[93:94], v[93:94], v[95:96], v[103:104]
	v_div_fixup_f64 v[93:94], v[93:94], v[97:98], v[99:100]
	v_fma_f64 v[95:96], v[99:100], v[93:94], v[97:98]
	v_div_scale_f64 v[97:98], s[6:7], v[95:96], v[95:96], 1.0
	v_div_scale_f64 v[103:104], vcc, 1.0, v[95:96], 1.0
	v_rcp_f64_e32 v[99:100], v[97:98]
	v_fma_f64 v[101:102], -v[97:98], v[99:100], 1.0
	v_fma_f64 v[99:100], v[99:100], v[101:102], v[99:100]
	v_fma_f64 v[101:102], -v[97:98], v[99:100], 1.0
	v_fma_f64 v[99:100], v[99:100], v[101:102], v[99:100]
	v_mul_f64 v[101:102], v[103:104], v[99:100]
	v_fma_f64 v[97:98], -v[97:98], v[101:102], v[103:104]
	v_div_fmas_f64 v[97:98], v[97:98], v[99:100], v[101:102]
	v_div_fixup_f64 v[101:102], v[97:98], v[95:96], 1.0
	v_mul_f64 v[103:104], v[93:94], -v[101:102]
	buffer_load_dword v93, off, s[20:23], 0 offset:128 ; 4-byte Folded Reload
	buffer_load_dword v94, off, s[20:23], 0 offset:132 ; 4-byte Folded Reload
	;; [unrolled: 1-line block ×4, first 2 shown]
.LBB63_277:
	s_or_b64 exec, exec, s[2:3]
	ds_write2_b64 v127, v[101:102], v[103:104] offset1:1
.LBB63_278:
	s_or_b64 exec, exec, s[4:5]
	s_waitcnt vmcnt(0) lgkmcnt(0)
	s_barrier
	ds_read2_b64 v[97:100], v127 offset1:1
	v_cmp_lt_u32_e32 vcc, 30, v126
	s_and_saveexec_b64 s[2:3], vcc
	s_cbranch_execz .LBB63_280
; %bb.279:
	buffer_load_dword v1, off, s[20:23], 0  ; 4-byte Folded Reload
	buffer_load_dword v2, off, s[20:23], 0 offset:4 ; 4-byte Folded Reload
	buffer_load_dword v3, off, s[20:23], 0 offset:8 ; 4-byte Folded Reload
	;; [unrolled: 1-line block ×3, first 2 shown]
	ds_read2_b64 v[101:104], v125 offset0:62 offset1:63
	s_waitcnt vmcnt(0) lgkmcnt(1)
	v_mul_f64 v[93:94], v[97:98], v[3:4]
	v_mul_f64 v[3:4], v[99:100], v[3:4]
	v_fma_f64 v[93:94], v[99:100], v[1:2], v[93:94]
	v_fma_f64 v[1:2], v[97:98], v[1:2], -v[3:4]
	s_waitcnt lgkmcnt(0)
	v_mul_f64 v[3:4], v[103:104], v[93:94]
	v_mul_f64 v[95:96], v[101:102], v[93:94]
	v_fma_f64 v[3:4], v[101:102], v[1:2], -v[3:4]
	v_fma_f64 v[95:96], v[103:104], v[1:2], v[95:96]
	v_add_f64 v[109:110], v[109:110], -v[3:4]
	v_mov_b32_e32 v3, v93
	v_mov_b32_e32 v4, v94
	buffer_store_dword v1, off, s[20:23], 0 ; 4-byte Folded Spill
	s_nop 0
	buffer_store_dword v2, off, s[20:23], 0 offset:4 ; 4-byte Folded Spill
	buffer_store_dword v3, off, s[20:23], 0 offset:8 ; 4-byte Folded Spill
	;; [unrolled: 1-line block ×3, first 2 shown]
	v_add_f64 v[111:112], v[111:112], -v[95:96]
	buffer_load_dword v93, off, s[20:23], 0 offset:128 ; 4-byte Folded Reload
	buffer_load_dword v94, off, s[20:23], 0 offset:132 ; 4-byte Folded Reload
	;; [unrolled: 1-line block ×4, first 2 shown]
.LBB63_280:
	s_or_b64 exec, exec, s[2:3]
	v_cmp_eq_u32_e32 vcc, 31, v126
	s_waitcnt vmcnt(0) lgkmcnt(0)
	s_barrier
	s_and_saveexec_b64 s[4:5], vcc
	s_cbranch_execz .LBB63_287
; %bb.281:
	v_cmp_neq_f64_e32 vcc, 0, v[109:110]
	v_cmp_neq_f64_e64 s[2:3], 0, v[111:112]
	ds_write2_b64 v127, v[109:110], v[111:112] offset1:1
	s_or_b64 s[2:3], vcc, s[2:3]
	s_and_b64 exec, exec, s[2:3]
	s_cbranch_execz .LBB63_287
; %bb.282:
	v_cmp_ngt_f64_e64 s[2:3], |v[109:110]|, |v[111:112]|
                                        ; implicit-def: $vgpr101_vgpr102
	s_and_saveexec_b64 s[6:7], s[2:3]
	s_xor_b64 s[2:3], exec, s[6:7]
                                        ; implicit-def: $vgpr103_vgpr104
	s_cbranch_execz .LBB63_284
; %bb.283:
	v_div_scale_f64 v[93:94], s[6:7], v[111:112], v[111:112], v[109:110]
	v_mov_b32_e32 v0, v126
	v_mov_b32_e32 v1, v5
	;; [unrolled: 1-line block ×14, first 2 shown]
	v_rcp_f64_e32 v[95:96], v[93:94]
	v_mov_b32_e32 v14, v18
	v_mov_b32_e32 v15, v19
	;; [unrolled: 1-line block ×15, first 2 shown]
	v_fma_f64 v[101:102], -v[93:94], v[95:96], 1.0
	v_mov_b32_e32 v29, v33
	v_mov_b32_e32 v30, v34
	;; [unrolled: 1-line block ×7, first 2 shown]
	v_fma_f64 v[95:96], v[95:96], v[101:102], v[95:96]
	v_div_scale_f64 v[101:102], vcc, v[109:110], v[111:112], v[109:110]
	v_mov_b32_e32 v36, v120
	v_mov_b32_e32 v120, v76
	;; [unrolled: 1-line block ×5, first 2 shown]
	v_fma_f64 v[103:104], -v[93:94], v[95:96], 1.0
	v_mov_b32_e32 v73, v77
	v_mov_b32_e32 v74, v78
	v_mov_b32_e32 v75, v79
	v_mov_b32_e32 v76, v80
	v_mov_b32_e32 v77, v81
	v_mov_b32_e32 v78, v82
	v_mov_b32_e32 v79, v83
	v_fma_f64 v[95:96], v[95:96], v[103:104], v[95:96]
	v_mov_b32_e32 v80, v84
	v_mov_b32_e32 v81, v89
	;; [unrolled: 1-line block ×5, first 2 shown]
	buffer_store_dword v121, off, s[20:23], 0 offset:904 ; 4-byte Folded Spill
	s_nop 0
	buffer_store_dword v122, off, s[20:23], 0 offset:908 ; 4-byte Folded Spill
	buffer_store_dword v123, off, s[20:23], 0 offset:912 ; 4-byte Folded Spill
	;; [unrolled: 1-line block ×3, first 2 shown]
	buffer_load_dword v121, off, s[20:23], 0 offset:904 ; 4-byte Folded Reload
	s_nop 0
	buffer_load_dword v122, off, s[20:23], 0 offset:908 ; 4-byte Folded Reload
	buffer_load_dword v123, off, s[20:23], 0 offset:912 ; 4-byte Folded Reload
	;; [unrolled: 1-line block ×3, first 2 shown]
	v_mul_f64 v[103:104], v[101:102], v[95:96]
	v_mov_b32_e32 v116, v40
	v_mov_b32_e32 v115, v39
	;; [unrolled: 1-line block ×7, first 2 shown]
	v_fma_f64 v[93:94], -v[93:94], v[103:104], v[101:102]
	v_mov_b32_e32 v40, v44
	v_mov_b32_e32 v41, v45
	;; [unrolled: 1-line block ×7, first 2 shown]
	v_div_fmas_f64 v[93:94], v[93:94], v[95:96], v[103:104]
	v_mov_b32_e32 v47, v51
	v_mov_b32_e32 v48, v52
	;; [unrolled: 1-line block ×15, first 2 shown]
	v_div_fixup_f64 v[93:94], v[93:94], v[111:112], v[109:110]
	v_mov_b32_e32 v63, v59
	v_mov_b32_e32 v62, v58
	;; [unrolled: 1-line block ×7, first 2 shown]
	v_fma_f64 v[95:96], v[109:110], v[93:94], v[111:112]
	v_mov_b32_e32 v56, v52
	v_mov_b32_e32 v55, v51
	v_mov_b32_e32 v54, v50
	v_mov_b32_e32 v53, v49
	v_mov_b32_e32 v52, v48
	v_mov_b32_e32 v51, v47
	v_mov_b32_e32 v50, v46
	v_div_scale_f64 v[101:102], s[6:7], v[95:96], v[95:96], 1.0
	v_div_scale_f64 v[89:90], vcc, 1.0, v[95:96], 1.0
	v_mov_b32_e32 v49, v45
	v_mov_b32_e32 v48, v44
	;; [unrolled: 1-line block ×12, first 2 shown]
	v_rcp_f64_e32 v[103:104], v[101:102]
	v_mov_b32_e32 v40, v116
	v_fma_f64 v[125:126], -v[101:102], v[103:104], 1.0
	v_fma_f64 v[103:104], v[103:104], v[125:126], v[103:104]
	v_fma_f64 v[125:126], -v[101:102], v[103:104], 1.0
	v_fma_f64 v[91:92], v[103:104], v[125:126], v[103:104]
	v_mov_b32_e32 v126, v0
	v_mul_f64 v[103:104], v[89:90], v[91:92]
	v_fma_f64 v[89:90], -v[101:102], v[103:104], v[89:90]
	v_div_fmas_f64 v[89:90], v[89:90], v[91:92], v[103:104]
	v_div_fixup_f64 v[103:104], v[89:90], v[95:96], 1.0
	v_mov_b32_e32 v92, v84
	v_mov_b32_e32 v91, v83
	;; [unrolled: 1-line block ×7, first 2 shown]
	v_mul_f64 v[101:102], v[93:94], v[103:104]
	buffer_load_dword v93, off, s[20:23], 0 offset:128 ; 4-byte Folded Reload
	buffer_load_dword v94, off, s[20:23], 0 offset:132 ; 4-byte Folded Reload
	;; [unrolled: 1-line block ×4, first 2 shown]
	v_mov_b32_e32 v81, v77
	v_mov_b32_e32 v80, v76
	;; [unrolled: 1-line block ×45, first 2 shown]
	v_xor_b32_e32 v104, 0x80000000, v104
.LBB63_284:
	s_andn2_saveexec_b64 s[2:3], s[2:3]
	s_cbranch_execz .LBB63_286
; %bb.285:
	s_waitcnt vmcnt(4)
	v_mov_b32_e32 v113, v121
	v_mov_b32_e32 v114, v122
	;; [unrolled: 1-line block ×12, first 2 shown]
	v_div_scale_f64 v[89:90], s[6:7], v[121:122], v[121:122], v[123:124]
	v_mov_b32_e32 v110, v108
	v_mov_b32_e32 v109, v107
	;; [unrolled: 1-line block ×12, first 2 shown]
	v_rcp_f64_e32 v[91:92], v[89:90]
	s_waitcnt vmcnt(2)
	v_fma_f64 v[93:94], -v[89:90], v[91:92], 1.0
	v_fma_f64 v[91:92], v[91:92], v[93:94], v[91:92]
	v_div_scale_f64 v[93:94], vcc, v[123:124], v[121:122], v[123:124]
	s_waitcnt vmcnt(0)
	v_fma_f64 v[95:96], -v[89:90], v[91:92], 1.0
	v_fma_f64 v[91:92], v[91:92], v[95:96], v[91:92]
	v_mul_f64 v[95:96], v[93:94], v[91:92]
	v_fma_f64 v[89:90], -v[89:90], v[95:96], v[93:94]
	v_div_fmas_f64 v[89:90], v[89:90], v[91:92], v[95:96]
	v_div_fixup_f64 v[89:90], v[89:90], v[121:122], v[123:124]
	v_fma_f64 v[91:92], v[123:124], v[89:90], v[121:122]
	v_mov_b32_e32 v124, v116
	v_mov_b32_e32 v123, v115
	v_mov_b32_e32 v122, v114
	v_mov_b32_e32 v121, v113
	v_div_scale_f64 v[93:94], s[6:7], v[91:92], v[91:92], 1.0
	v_div_scale_f64 v[103:104], vcc, 1.0, v[91:92], 1.0
	v_rcp_f64_e32 v[95:96], v[93:94]
	v_fma_f64 v[101:102], -v[93:94], v[95:96], 1.0
	v_fma_f64 v[95:96], v[95:96], v[101:102], v[95:96]
	v_fma_f64 v[101:102], -v[93:94], v[95:96], 1.0
	v_fma_f64 v[95:96], v[95:96], v[101:102], v[95:96]
	v_mul_f64 v[101:102], v[103:104], v[95:96]
	v_fma_f64 v[93:94], -v[93:94], v[101:102], v[103:104]
	v_div_fmas_f64 v[93:94], v[93:94], v[95:96], v[101:102]
	v_div_fixup_f64 v[101:102], v[93:94], v[91:92], 1.0
	buffer_load_dword v93, off, s[20:23], 0 offset:128 ; 4-byte Folded Reload
	buffer_load_dword v94, off, s[20:23], 0 offset:132 ; 4-byte Folded Reload
	;; [unrolled: 1-line block ×4, first 2 shown]
	v_mul_f64 v[103:104], v[89:90], -v[101:102]
	v_mov_b32_e32 v92, v3
	v_mov_b32_e32 v91, v2
	;; [unrolled: 1-line block ×4, first 2 shown]
.LBB63_286:
	s_or_b64 exec, exec, s[2:3]
	ds_write2_b64 v127, v[101:102], v[103:104] offset1:1
.LBB63_287:
	s_or_b64 exec, exec, s[4:5]
	buffer_store_dword v73, off, s[20:23], 0 offset:440 ; 4-byte Folded Spill
	s_nop 0
	buffer_store_dword v74, off, s[20:23], 0 offset:444 ; 4-byte Folded Spill
	buffer_store_dword v75, off, s[20:23], 0 offset:448 ; 4-byte Folded Spill
	buffer_store_dword v76, off, s[20:23], 0 offset:452 ; 4-byte Folded Spill
	buffer_store_dword v77, off, s[20:23], 0 offset:424 ; 4-byte Folded Spill
	s_nop 0
	buffer_store_dword v78, off, s[20:23], 0 offset:428 ; 4-byte Folded Spill
	buffer_store_dword v79, off, s[20:23], 0 offset:432 ; 4-byte Folded Spill
	buffer_store_dword v80, off, s[20:23], 0 offset:436 ; 4-byte Folded Spill
	;; [unrolled: 5-line block ×4, first 2 shown]
	s_waitcnt vmcnt(0) lgkmcnt(0)
	s_barrier
	ds_read2_b64 v[101:104], v127 offset1:1
	s_waitcnt lgkmcnt(0)
	s_barrier
	s_and_saveexec_b64 s[2:3], s[0:1]
	s_cbranch_execz .LBB63_290
; %bb.288:
	buffer_load_dword v73, off, s[20:23], 0 offset:464 ; 4-byte Folded Reload
	buffer_load_dword v74, off, s[20:23], 0 offset:468 ; 4-byte Folded Reload
	;; [unrolled: 1-line block ×4, first 2 shown]
	s_waitcnt vmcnt(2)
	v_cmp_eq_f64_e32 vcc, 0, v[73:74]
	s_waitcnt vmcnt(0)
	v_cmp_eq_f64_e64 s[0:1], 0, v[75:76]
	buffer_load_dword v73, off, s[20:23], 0 offset:480 ; 4-byte Folded Reload
	buffer_load_dword v74, off, s[20:23], 0 offset:484 ; 4-byte Folded Reload
	;; [unrolled: 1-line block ×4, first 2 shown]
	s_and_b64 s[4:5], vcc, s[0:1]
	v_cndmask_b32_e64 v89, 0, 1, s[4:5]
	s_waitcnt vmcnt(2)
	v_cmp_neq_f64_e32 vcc, 0, v[73:74]
	s_waitcnt vmcnt(0)
	v_cmp_neq_f64_e64 s[0:1], 0, v[75:76]
	buffer_load_dword v73, off, s[20:23], 0 offset:496 ; 4-byte Folded Reload
	buffer_load_dword v74, off, s[20:23], 0 offset:500 ; 4-byte Folded Reload
	;; [unrolled: 1-line block ×4, first 2 shown]
	s_or_b64 s[0:1], vcc, s[0:1]
	s_or_b64 vcc, s[0:1], s[4:5]
	v_cndmask_b32_e32 v89, 2, v89, vcc
	s_waitcnt vmcnt(2)
	v_cmp_eq_f64_e32 vcc, 0, v[73:74]
	s_waitcnt vmcnt(0)
	v_cmp_eq_f64_e64 s[0:1], 0, v[75:76]
	buffer_load_dword v73, off, s[20:23], 0 offset:512 ; 4-byte Folded Reload
	buffer_load_dword v74, off, s[20:23], 0 offset:516 ; 4-byte Folded Reload
	buffer_load_dword v75, off, s[20:23], 0 offset:520 ; 4-byte Folded Reload
	buffer_load_dword v76, off, s[20:23], 0 offset:524 ; 4-byte Folded Reload
	s_and_b64 s[0:1], vcc, s[0:1]
	v_cmp_eq_u32_e32 vcc, 0, v89
	s_and_b64 s[0:1], s[0:1], vcc
	v_cndmask_b32_e64 v89, v89, 3, s[0:1]
	s_waitcnt vmcnt(2)
	v_cmp_eq_f64_e32 vcc, 0, v[73:74]
	s_waitcnt vmcnt(0)
	v_cmp_eq_f64_e64 s[0:1], 0, v[75:76]
	buffer_load_dword v73, off, s[20:23], 0 offset:528 ; 4-byte Folded Reload
	buffer_load_dword v74, off, s[20:23], 0 offset:532 ; 4-byte Folded Reload
	buffer_load_dword v75, off, s[20:23], 0 offset:536 ; 4-byte Folded Reload
	buffer_load_dword v76, off, s[20:23], 0 offset:540 ; 4-byte Folded Reload
	s_and_b64 s[0:1], vcc, s[0:1]
	v_cmp_eq_u32_e32 vcc, 0, v89
	s_and_b64 s[0:1], s[0:1], vcc
	v_cndmask_b32_e64 v89, v89, 4, s[0:1]
	;; [unrolled: 12-line block ×23, first 2 shown]
	s_waitcnt vmcnt(2)
	v_cmp_eq_f64_e32 vcc, 0, v[73:74]
	s_waitcnt vmcnt(0)
	v_cmp_eq_f64_e64 s[0:1], 0, v[75:76]
	s_and_b64 s[0:1], vcc, s[0:1]
	v_cmp_eq_u32_e32 vcc, 0, v89
	s_and_b64 s[0:1], s[0:1], vcc
	v_cndmask_b32_e64 v89, v89, 26, s[0:1]
	v_cmp_eq_f64_e32 vcc, 0, v[105:106]
	v_cmp_eq_f64_e64 s[0:1], 0, v[107:108]
	s_and_b64 s[0:1], vcc, s[0:1]
	v_cmp_eq_u32_e32 vcc, 0, v89
	s_and_b64 s[0:1], s[0:1], vcc
	v_cndmask_b32_e64 v89, v89, 27, s[0:1]
	v_cmp_eq_f64_e32 vcc, 0, v[121:122]
	v_cmp_eq_f64_e64 s[0:1], 0, v[123:124]
	s_and_b64 s[0:1], vcc, s[0:1]
	v_cmp_eq_u32_e32 vcc, 0, v89
	s_and_b64 s[0:1], s[0:1], vcc
	v_cndmask_b32_e64 v89, v89, 28, s[0:1]
	v_cmp_eq_f64_e32 vcc, 0, v[117:118]
	v_cmp_eq_f64_e64 s[0:1], 0, v[119:120]
	s_and_b64 s[0:1], vcc, s[0:1]
	v_cmp_eq_u32_e32 vcc, 0, v89
	s_and_b64 s[0:1], s[0:1], vcc
	v_cndmask_b32_e64 v89, v89, 29, s[0:1]
	v_cmp_eq_f64_e64 s[0:1], 0, v[87:88]
	buffer_load_dword v87, off, s[20:23], 0 offset:896 ; 4-byte Folded Reload
	buffer_load_dword v88, off, s[20:23], 0 offset:900 ; 4-byte Folded Reload
	v_cmp_eq_f64_e32 vcc, 0, v[85:86]
	s_and_b64 s[0:1], vcc, s[0:1]
	v_cmp_eq_u32_e32 vcc, 0, v89
	s_and_b64 s[0:1], s[0:1], vcc
	v_cndmask_b32_e64 v89, v89, 30, s[0:1]
	v_cmp_eq_f64_e32 vcc, 0, v[97:98]
	v_cmp_eq_f64_e64 s[0:1], 0, v[99:100]
	s_and_b64 s[0:1], vcc, s[0:1]
	v_cmp_eq_u32_e32 vcc, 0, v89
	s_and_b64 s[0:1], s[0:1], vcc
	v_cndmask_b32_e64 v89, v89, 31, s[0:1]
	v_cmp_eq_f64_e32 vcc, 0, v[101:102]
	v_cmp_eq_f64_e64 s[0:1], 0, v[103:104]
	s_and_b64 s[0:1], vcc, s[0:1]
	v_cmp_eq_u32_e32 vcc, 0, v89
	s_and_b64 s[0:1], s[0:1], vcc
	v_cndmask_b32_e64 v99, v89, 32, s[0:1]
	v_cmp_ne_u32_e64 s[0:1], 0, v99
	s_waitcnt vmcnt(0)
	v_lshlrev_b64 v[89:90], 2, v[87:88]
	v_add_co_u32_e32 v97, vcc, s10, v89
	v_mov_b32_e32 v89, s11
	v_addc_co_u32_e32 v98, vcc, v89, v90, vcc
	global_load_dword v89, v[97:98], off
	s_waitcnt vmcnt(0)
	v_cmp_eq_u32_e32 vcc, 0, v89
	s_and_b64 s[0:1], vcc, s[0:1]
	s_and_b64 exec, exec, s[0:1]
	s_cbranch_execz .LBB63_290
; %bb.289:
	v_add_u32_e32 v89, s13, v99
	global_store_dword v[97:98], v89, off
.LBB63_290:
	s_or_b64 exec, exec, s[2:3]
	buffer_load_dword v73, off, s[20:23], 0 offset:144 ; 4-byte Folded Reload
	buffer_load_dword v74, off, s[20:23], 0 offset:148 ; 4-byte Folded Reload
	;; [unrolled: 1-line block ×6, first 2 shown]
	v_mul_f64 v[89:90], v[101:102], v[111:112]
	v_mul_f64 v[91:92], v[103:104], v[111:112]
	v_cmp_lt_u32_e32 vcc, 31, v126
	v_fma_f64 v[89:90], v[103:104], v[109:110], v[89:90]
	v_fma_f64 v[91:92], v[101:102], v[109:110], -v[91:92]
	s_waitcnt vmcnt(0)
	global_store_dwordx4 v[77:78], v[73:76], off
	buffer_load_dword v73, off, s[20:23], 0 offset:456 ; 4-byte Folded Reload
	s_nop 0
	buffer_load_dword v74, off, s[20:23], 0 offset:460 ; 4-byte Folded Reload
	buffer_load_dword v75, off, s[20:23], 0 offset:112 ; 4-byte Folded Reload
	;; [unrolled: 1-line block ×5, first 2 shown]
	s_waitcnt vmcnt(0)
	global_store_dwordx4 v[73:74], v[75:78], off
	buffer_load_dword v73, off, s[20:23], 0 offset:96 ; 4-byte Folded Reload
	s_nop 0
	buffer_load_dword v74, off, s[20:23], 0 offset:100 ; 4-byte Folded Reload
	buffer_load_dword v75, off, s[20:23], 0 offset:104 ; 4-byte Folded Reload
	;; [unrolled: 1-line block ×5, first 2 shown]
	s_waitcnt vmcnt(0)
	global_store_dwordx4 v[77:78], v[73:76], off
	buffer_load_dword v87, off, s[20:23], 0 offset:160 ; 4-byte Folded Reload
	buffer_load_dword v88, off, s[20:23], 0 offset:164 ; 4-byte Folded Reload
	s_nop 0
	buffer_load_dword v73, off, s[20:23], 0 offset:80 ; 4-byte Folded Reload
	buffer_load_dword v74, off, s[20:23], 0 offset:84 ; 4-byte Folded Reload
	buffer_load_dword v75, off, s[20:23], 0 offset:88 ; 4-byte Folded Reload
	buffer_load_dword v76, off, s[20:23], 0 offset:92 ; 4-byte Folded Reload
	s_waitcnt vmcnt(0)
	global_store_dwordx4 v[87:88], v[73:76], off
	buffer_load_dword v81, off, s[20:23], 0 offset:400 ; 4-byte Folded Reload
	buffer_load_dword v82, off, s[20:23], 0 offset:404 ; 4-byte Folded Reload
	s_nop 0
	buffer_load_dword v73, off, s[20:23], 0 offset:64 ; 4-byte Folded Reload
	buffer_load_dword v74, off, s[20:23], 0 offset:68 ; 4-byte Folded Reload
	buffer_load_dword v75, off, s[20:23], 0 offset:72 ; 4-byte Folded Reload
	buffer_load_dword v76, off, s[20:23], 0 offset:76 ; 4-byte Folded Reload
	;; [unrolled: 9-line block ×3, first 2 shown]
	s_waitcnt vmcnt(0)
	global_store_dwordx4 v[85:86], v[73:76], off
	buffer_load_dword v85, off, s[20:23], 0 offset:176 ; 4-byte Folded Reload
	s_nop 0
	buffer_load_dword v86, off, s[20:23], 0 offset:180 ; 4-byte Folded Reload
	s_waitcnt vmcnt(0)
	global_store_dwordx4 v[85:86], v[93:96], off
	buffer_load_dword v85, off, s[20:23], 0 offset:184 ; 4-byte Folded Reload
	s_nop 0
	buffer_load_dword v86, off, s[20:23], 0 offset:188 ; 4-byte Folded Reload
	buffer_load_dword v73, off, s[20:23], 0 offset:32 ; 4-byte Folded Reload
	;; [unrolled: 1-line block ×5, first 2 shown]
	v_cndmask_b32_e32 v96, v112, v90, vcc
	v_cndmask_b32_e32 v95, v111, v89, vcc
	v_cndmask_b32_e32 v94, v110, v92, vcc
	v_cndmask_b32_e32 v93, v109, v91, vcc
	s_waitcnt vmcnt(0)
	global_store_dwordx4 v[85:86], v[73:76], off
	buffer_load_dword v85, off, s[20:23], 0 offset:192 ; 4-byte Folded Reload
	s_nop 0
	buffer_load_dword v86, off, s[20:23], 0 offset:196 ; 4-byte Folded Reload
	buffer_load_dword v73, off, s[20:23], 0 offset:16 ; 4-byte Folded Reload
	buffer_load_dword v74, off, s[20:23], 0 offset:20 ; 4-byte Folded Reload
	buffer_load_dword v75, off, s[20:23], 0 offset:24 ; 4-byte Folded Reload
	buffer_load_dword v76, off, s[20:23], 0 offset:28 ; 4-byte Folded Reload
	s_waitcnt vmcnt(0)
	global_store_dwordx4 v[85:86], v[73:76], off
	buffer_load_dword v85, off, s[20:23], 0 offset:200 ; 4-byte Folded Reload
	s_nop 0
	buffer_load_dword v86, off, s[20:23], 0 offset:204 ; 4-byte Folded Reload
	buffer_load_dword v81, off, s[20:23], 0 offset:384 ; 4-byte Folded Reload
	buffer_load_dword v82, off, s[20:23], 0 offset:388 ; 4-byte Folded Reload
	buffer_load_dword v83, off, s[20:23], 0 offset:392 ; 4-byte Folded Reload
	buffer_load_dword v84, off, s[20:23], 0 offset:396 ; 4-byte Folded Reload
	;; [unrolled: 9-line block ×3, first 2 shown]
	s_waitcnt vmcnt(0)
	global_store_dwordx4 v[85:86], v[77:80], off
	buffer_load_dword v81, off, s[20:23], 0 offset:216 ; 4-byte Folded Reload
	buffer_load_dword v82, off, s[20:23], 0 offset:220 ; 4-byte Folded Reload
	;; [unrolled: 1-line block ×6, first 2 shown]
	s_waitcnt vmcnt(0)
	global_store_dwordx4 v[81:82], v[73:76], off
	buffer_load_dword v77, off, s[20:23], 0 offset:224 ; 4-byte Folded Reload
	buffer_load_dword v78, off, s[20:23], 0 offset:228 ; 4-byte Folded Reload
	s_nop 0
	buffer_load_dword v73, off, s[20:23], 0 offset:440 ; 4-byte Folded Reload
	buffer_load_dword v74, off, s[20:23], 0 offset:444 ; 4-byte Folded Reload
	buffer_load_dword v75, off, s[20:23], 0 offset:448 ; 4-byte Folded Reload
	buffer_load_dword v76, off, s[20:23], 0 offset:452 ; 4-byte Folded Reload
	s_waitcnt vmcnt(0)
	global_store_dwordx4 v[77:78], v[73:76], off
	buffer_load_dword v73, off, s[20:23], 0 offset:232 ; 4-byte Folded Reload
	s_nop 0
	buffer_load_dword v74, off, s[20:23], 0 offset:236 ; 4-byte Folded Reload
	s_waitcnt vmcnt(0)
	global_store_dwordx4 v[73:74], v[69:72], off
	buffer_load_dword v69, off, s[20:23], 0 offset:240 ; 4-byte Folded Reload
	s_nop 0
	buffer_load_dword v70, off, s[20:23], 0 offset:244 ; 4-byte Folded Reload
	s_waitcnt vmcnt(0)
	global_store_dwordx4 v[69:70], v[65:68], off
	buffer_load_dword v65, off, s[20:23], 0 offset:248 ; 4-byte Folded Reload
	s_nop 0
	buffer_load_dword v66, off, s[20:23], 0 offset:252 ; 4-byte Folded Reload
	s_waitcnt vmcnt(0)
	global_store_dwordx4 v[65:66], v[61:64], off
	buffer_load_dword v61, off, s[20:23], 0 offset:256 ; 4-byte Folded Reload
	s_nop 0
	buffer_load_dword v62, off, s[20:23], 0 offset:260 ; 4-byte Folded Reload
	s_waitcnt vmcnt(0)
	global_store_dwordx4 v[61:62], v[57:60], off
	buffer_load_dword v57, off, s[20:23], 0 offset:264 ; 4-byte Folded Reload
	s_nop 0
	buffer_load_dword v58, off, s[20:23], 0 offset:268 ; 4-byte Folded Reload
	s_waitcnt vmcnt(0)
	global_store_dwordx4 v[57:58], v[53:56], off
	buffer_load_dword v53, off, s[20:23], 0 offset:272 ; 4-byte Folded Reload
	s_nop 0
	buffer_load_dword v54, off, s[20:23], 0 offset:276 ; 4-byte Folded Reload
	s_waitcnt vmcnt(0)
	global_store_dwordx4 v[53:54], v[49:52], off
	buffer_load_dword v49, off, s[20:23], 0 offset:280 ; 4-byte Folded Reload
	s_nop 0
	buffer_load_dword v50, off, s[20:23], 0 offset:284 ; 4-byte Folded Reload
	s_waitcnt vmcnt(0)
	global_store_dwordx4 v[49:50], v[45:48], off
	buffer_load_dword v45, off, s[20:23], 0 offset:288 ; 4-byte Folded Reload
	s_nop 0
	buffer_load_dword v46, off, s[20:23], 0 offset:292 ; 4-byte Folded Reload
	s_waitcnt vmcnt(0)
	global_store_dwordx4 v[45:46], v[41:44], off
	buffer_load_dword v41, off, s[20:23], 0 offset:296 ; 4-byte Folded Reload
	s_nop 0
	buffer_load_dword v42, off, s[20:23], 0 offset:300 ; 4-byte Folded Reload
	s_waitcnt vmcnt(0)
	global_store_dwordx4 v[41:42], v[37:40], off
	buffer_load_dword v37, off, s[20:23], 0 offset:304 ; 4-byte Folded Reload
	s_nop 0
	buffer_load_dword v38, off, s[20:23], 0 offset:308 ; 4-byte Folded Reload
	s_waitcnt vmcnt(0)
	global_store_dwordx4 v[37:38], v[33:36], off
	buffer_load_dword v33, off, s[20:23], 0 offset:312 ; 4-byte Folded Reload
	s_nop 0
	buffer_load_dword v34, off, s[20:23], 0 offset:316 ; 4-byte Folded Reload
	s_waitcnt vmcnt(0)
	global_store_dwordx4 v[33:34], v[29:32], off
	buffer_load_dword v29, off, s[20:23], 0 offset:320 ; 4-byte Folded Reload
	s_nop 0
	buffer_load_dword v30, off, s[20:23], 0 offset:324 ; 4-byte Folded Reload
	s_waitcnt vmcnt(0)
	global_store_dwordx4 v[29:30], v[25:28], off
	buffer_load_dword v25, off, s[20:23], 0 offset:328 ; 4-byte Folded Reload
	s_nop 0
	buffer_load_dword v26, off, s[20:23], 0 offset:332 ; 4-byte Folded Reload
	s_waitcnt vmcnt(0)
	global_store_dwordx4 v[25:26], v[21:24], off
	buffer_load_dword v21, off, s[20:23], 0 offset:336 ; 4-byte Folded Reload
	s_nop 0
	buffer_load_dword v22, off, s[20:23], 0 offset:340 ; 4-byte Folded Reload
	s_waitcnt vmcnt(0)
	global_store_dwordx4 v[21:22], v[17:20], off
	buffer_load_dword v17, off, s[20:23], 0 offset:344 ; 4-byte Folded Reload
	s_nop 0
	buffer_load_dword v18, off, s[20:23], 0 offset:348 ; 4-byte Folded Reload
	s_waitcnt vmcnt(0)
	global_store_dwordx4 v[17:18], v[13:16], off
	buffer_load_dword v13, off, s[20:23], 0 offset:352 ; 4-byte Folded Reload
	s_nop 0
	buffer_load_dword v14, off, s[20:23], 0 offset:356 ; 4-byte Folded Reload
	s_waitcnt vmcnt(0)
	global_store_dwordx4 v[13:14], v[9:12], off
	buffer_load_dword v9, off, s[20:23], 0 offset:360 ; 4-byte Folded Reload
	s_nop 0
	buffer_load_dword v10, off, s[20:23], 0 offset:364 ; 4-byte Folded Reload
	s_waitcnt vmcnt(0)
	global_store_dwordx4 v[9:10], v[5:8], off
	buffer_load_dword v5, off, s[20:23], 0 offset:368 ; 4-byte Folded Reload
	s_nop 0
	buffer_load_dword v6, off, s[20:23], 0 offset:372 ; 4-byte Folded Reload
	buffer_load_dword v0, off, s[20:23], 0  ; 4-byte Folded Reload
	buffer_load_dword v1, off, s[20:23], 0 offset:4 ; 4-byte Folded Reload
	buffer_load_dword v2, off, s[20:23], 0 offset:8 ; 4-byte Folded Reload
	;; [unrolled: 1-line block ×3, first 2 shown]
	s_waitcnt vmcnt(0)
	global_store_dwordx4 v[5:6], v[0:3], off
	buffer_load_dword v0, off, s[20:23], 0 offset:376 ; 4-byte Folded Reload
	s_nop 0
	buffer_load_dword v1, off, s[20:23], 0 offset:380 ; 4-byte Folded Reload
	s_waitcnt vmcnt(0)
	global_store_dwordx4 v[0:1], v[93:96], off
.LBB63_291:
	s_endpgm
	.section	.rodata,"a",@progbits
	.p2align	6, 0x0
	.amdhsa_kernel _ZN9rocsolver6v33100L23getf2_npvt_small_kernelILi32E19rocblas_complex_numIdEiiPS3_EEvT1_T3_lS5_lPT2_S5_S5_
		.amdhsa_group_segment_fixed_size 0
		.amdhsa_private_segment_fixed_size 924
		.amdhsa_kernarg_size 312
		.amdhsa_user_sgpr_count 6
		.amdhsa_user_sgpr_private_segment_buffer 1
		.amdhsa_user_sgpr_dispatch_ptr 0
		.amdhsa_user_sgpr_queue_ptr 0
		.amdhsa_user_sgpr_kernarg_segment_ptr 1
		.amdhsa_user_sgpr_dispatch_id 0
		.amdhsa_user_sgpr_flat_scratch_init 0
		.amdhsa_user_sgpr_private_segment_size 0
		.amdhsa_uses_dynamic_stack 0
		.amdhsa_system_sgpr_private_segment_wavefront_offset 1
		.amdhsa_system_sgpr_workgroup_id_x 1
		.amdhsa_system_sgpr_workgroup_id_y 1
		.amdhsa_system_sgpr_workgroup_id_z 0
		.amdhsa_system_sgpr_workgroup_info 0
		.amdhsa_system_vgpr_workitem_id 1
		.amdhsa_next_free_vgpr 128
		.amdhsa_next_free_sgpr 24
		.amdhsa_reserve_vcc 1
		.amdhsa_reserve_flat_scratch 0
		.amdhsa_float_round_mode_32 0
		.amdhsa_float_round_mode_16_64 0
		.amdhsa_float_denorm_mode_32 3
		.amdhsa_float_denorm_mode_16_64 3
		.amdhsa_dx10_clamp 1
		.amdhsa_ieee_mode 1
		.amdhsa_fp16_overflow 0
		.amdhsa_exception_fp_ieee_invalid_op 0
		.amdhsa_exception_fp_denorm_src 0
		.amdhsa_exception_fp_ieee_div_zero 0
		.amdhsa_exception_fp_ieee_overflow 0
		.amdhsa_exception_fp_ieee_underflow 0
		.amdhsa_exception_fp_ieee_inexact 0
		.amdhsa_exception_int_div_zero 0
	.end_amdhsa_kernel
	.section	.text._ZN9rocsolver6v33100L23getf2_npvt_small_kernelILi32E19rocblas_complex_numIdEiiPS3_EEvT1_T3_lS5_lPT2_S5_S5_,"axG",@progbits,_ZN9rocsolver6v33100L23getf2_npvt_small_kernelILi32E19rocblas_complex_numIdEiiPS3_EEvT1_T3_lS5_lPT2_S5_S5_,comdat
.Lfunc_end63:
	.size	_ZN9rocsolver6v33100L23getf2_npvt_small_kernelILi32E19rocblas_complex_numIdEiiPS3_EEvT1_T3_lS5_lPT2_S5_S5_, .Lfunc_end63-_ZN9rocsolver6v33100L23getf2_npvt_small_kernelILi32E19rocblas_complex_numIdEiiPS3_EEvT1_T3_lS5_lPT2_S5_S5_
                                        ; -- End function
	.set _ZN9rocsolver6v33100L23getf2_npvt_small_kernelILi32E19rocblas_complex_numIdEiiPS3_EEvT1_T3_lS5_lPT2_S5_S5_.num_vgpr, 128
	.set _ZN9rocsolver6v33100L23getf2_npvt_small_kernelILi32E19rocblas_complex_numIdEiiPS3_EEvT1_T3_lS5_lPT2_S5_S5_.num_agpr, 0
	.set _ZN9rocsolver6v33100L23getf2_npvt_small_kernelILi32E19rocblas_complex_numIdEiiPS3_EEvT1_T3_lS5_lPT2_S5_S5_.numbered_sgpr, 24
	.set _ZN9rocsolver6v33100L23getf2_npvt_small_kernelILi32E19rocblas_complex_numIdEiiPS3_EEvT1_T3_lS5_lPT2_S5_S5_.num_named_barrier, 0
	.set _ZN9rocsolver6v33100L23getf2_npvt_small_kernelILi32E19rocblas_complex_numIdEiiPS3_EEvT1_T3_lS5_lPT2_S5_S5_.private_seg_size, 924
	.set _ZN9rocsolver6v33100L23getf2_npvt_small_kernelILi32E19rocblas_complex_numIdEiiPS3_EEvT1_T3_lS5_lPT2_S5_S5_.uses_vcc, 1
	.set _ZN9rocsolver6v33100L23getf2_npvt_small_kernelILi32E19rocblas_complex_numIdEiiPS3_EEvT1_T3_lS5_lPT2_S5_S5_.uses_flat_scratch, 0
	.set _ZN9rocsolver6v33100L23getf2_npvt_small_kernelILi32E19rocblas_complex_numIdEiiPS3_EEvT1_T3_lS5_lPT2_S5_S5_.has_dyn_sized_stack, 0
	.set _ZN9rocsolver6v33100L23getf2_npvt_small_kernelILi32E19rocblas_complex_numIdEiiPS3_EEvT1_T3_lS5_lPT2_S5_S5_.has_recursion, 0
	.set _ZN9rocsolver6v33100L23getf2_npvt_small_kernelILi32E19rocblas_complex_numIdEiiPS3_EEvT1_T3_lS5_lPT2_S5_S5_.has_indirect_call, 0
	.section	.AMDGPU.csdata,"",@progbits
; Kernel info:
; codeLenInByte = 68872
; TotalNumSgprs: 28
; NumVgprs: 128
; ScratchSize: 924
; MemoryBound: 1
; FloatMode: 240
; IeeeMode: 1
; LDSByteSize: 0 bytes/workgroup (compile time only)
; SGPRBlocks: 3
; VGPRBlocks: 31
; NumSGPRsForWavesPerEU: 28
; NumVGPRsForWavesPerEU: 128
; Occupancy: 2
; WaveLimiterHint : 0
; COMPUTE_PGM_RSRC2:SCRATCH_EN: 1
; COMPUTE_PGM_RSRC2:USER_SGPR: 6
; COMPUTE_PGM_RSRC2:TRAP_HANDLER: 0
; COMPUTE_PGM_RSRC2:TGID_X_EN: 1
; COMPUTE_PGM_RSRC2:TGID_Y_EN: 1
; COMPUTE_PGM_RSRC2:TGID_Z_EN: 0
; COMPUTE_PGM_RSRC2:TIDIG_COMP_CNT: 1
	.section	.text._ZN9rocsolver6v33100L18getf2_small_kernelILi33E19rocblas_complex_numIdEiiPS3_EEvT1_T3_lS5_lPS5_llPT2_S5_S5_S7_l,"axG",@progbits,_ZN9rocsolver6v33100L18getf2_small_kernelILi33E19rocblas_complex_numIdEiiPS3_EEvT1_T3_lS5_lPS5_llPT2_S5_S5_S7_l,comdat
	.globl	_ZN9rocsolver6v33100L18getf2_small_kernelILi33E19rocblas_complex_numIdEiiPS3_EEvT1_T3_lS5_lPS5_llPT2_S5_S5_S7_l ; -- Begin function _ZN9rocsolver6v33100L18getf2_small_kernelILi33E19rocblas_complex_numIdEiiPS3_EEvT1_T3_lS5_lPS5_llPT2_S5_S5_S7_l
	.p2align	8
	.type	_ZN9rocsolver6v33100L18getf2_small_kernelILi33E19rocblas_complex_numIdEiiPS3_EEvT1_T3_lS5_lPS5_llPT2_S5_S5_S7_l,@function
_ZN9rocsolver6v33100L18getf2_small_kernelILi33E19rocblas_complex_numIdEiiPS3_EEvT1_T3_lS5_lPS5_llPT2_S5_S5_S7_l: ; @_ZN9rocsolver6v33100L18getf2_small_kernelILi33E19rocblas_complex_numIdEiiPS3_EEvT1_T3_lS5_lPS5_llPT2_S5_S5_S7_l
; %bb.0:
	s_mov_b64 s[26:27], s[2:3]
	s_mov_b64 s[24:25], s[0:1]
	s_load_dword s0, s[4:5], 0x6c
	s_load_dwordx2 s[16:17], s[4:5], 0x48
	s_add_u32 s24, s24, s8
	s_addc_u32 s25, s25, 0
	s_waitcnt lgkmcnt(0)
	s_lshr_b32 s0, s0, 16
	s_mul_i32 s7, s7, s0
	v_add_u32_e32 v6, s7, v1
	v_cmp_gt_i32_e32 vcc, s16, v6
	s_and_saveexec_b64 s[0:1], vcc
	s_cbranch_execz .LBB64_694
; %bb.1:
	s_load_dwordx4 s[0:3], s[4:5], 0x50
	v_mov_b32_e32 v2, 0
	v_ashrrev_i32_e32 v7, 31, v6
	v_mov_b32_e32 v3, 0
	buffer_store_dword v2, off, s[24:27], 0 offset:80 ; 4-byte Folded Spill
	s_nop 0
	buffer_store_dword v3, off, s[24:27], 0 offset:84 ; 4-byte Folded Spill
	s_waitcnt lgkmcnt(0)
	s_cmp_eq_u64 s[0:1], 0
	s_cselect_b64 s[6:7], -1, 0
	s_and_b64 vcc, exec, s[6:7]
	s_cbranch_vccnz .LBB64_3
; %bb.2:
	v_mul_lo_u32 v4, s3, v6
	v_mul_lo_u32 v5, s2, v7
	v_mad_u64_u32 v[2:3], s[2:3], s2, v6, 0
	v_add3_u32 v3, v3, v5, v4
	v_lshlrev_b64 v[2:3], 2, v[2:3]
	v_mov_b32_e32 v4, s1
	v_add_co_u32_e32 v2, vcc, s0, v2
	v_addc_co_u32_e32 v3, vcc, v4, v3, vcc
	buffer_store_dword v2, off, s[24:27], 0 offset:80 ; 4-byte Folded Spill
	s_nop 0
	buffer_store_dword v3, off, s[24:27], 0 offset:84 ; 4-byte Folded Spill
.LBB64_3:
	s_load_dwordx8 s[8:15], s[4:5], 0x20
	s_load_dwordx4 s[20:23], s[4:5], 0x8
	s_load_dword s2, s[4:5], 0x18
	v_lshlrev_b32_e32 v46, 4, v0
	s_waitcnt lgkmcnt(0)
	v_mul_lo_u32 v4, s9, v6
	v_mul_lo_u32 v5, s8, v7
	buffer_store_dword v6, off, s[24:27], 0 offset:120 ; 4-byte Folded Spill
	s_nop 0
	buffer_store_dword v7, off, s[24:27], 0 offset:124 ; 4-byte Folded Spill
	s_add_i32 s16, s2, s2
	s_ashr_i32 s3, s2, 31
	v_mad_u64_u32 v[2:3], s[0:1], s8, v6, 0
	v_mov_b32_e32 v6, s21
	s_lshl_b64 s[0:1], s[22:23], 4
	v_add3_u32 v3, v3, v5, v4
	v_lshlrev_b64 v[2:3], 4, v[2:3]
	v_mov_b32_e32 v4, s1
	v_add_co_u32_e32 v2, vcc, s20, v2
	v_addc_co_u32_e32 v3, vcc, v6, v3, vcc
	v_add_co_u32_e32 v127, vcc, s0, v2
	v_addc_co_u32_e32 v105, vcc, v3, v4, vcc
	v_add_u32_e32 v4, s16, v0
	v_ashrrev_i32_e32 v5, 31, v4
	v_lshlrev_b64 v[2:3], 4, v[4:5]
	v_add_u32_e32 v6, s2, v4
	v_ashrrev_i32_e32 v7, 31, v6
	v_add_co_u32_e32 v2, vcc, v127, v2
	v_lshlrev_b64 v[4:5], 4, v[6:7]
	v_add_u32_e32 v8, s2, v6
	v_addc_co_u32_e32 v3, vcc, v105, v3, vcc
	v_ashrrev_i32_e32 v9, 31, v8
	v_add_co_u32_e32 v4, vcc, v127, v4
	v_lshlrev_b64 v[6:7], 4, v[8:9]
	v_add_u32_e32 v10, s2, v8
	v_addc_co_u32_e32 v5, vcc, v105, v5, vcc
	;; [unrolled: 5-line block ×19, first 2 shown]
	v_ashrrev_i32_e32 v43, 31, v42
	v_add_co_u32_e32 v40, vcc, v127, v40
	v_lshlrev_b64 v[43:44], 4, v[42:43]
	v_addc_co_u32_e32 v41, vcc, v105, v41, vcc
	v_add_u32_e32 v42, s2, v42
	v_add_co_u32_e32 v89, vcc, v127, v43
	v_ashrrev_i32_e32 v43, 31, v42
	v_addc_co_u32_e32 v90, vcc, v105, v44, vcc
	v_lshlrev_b64 v[43:44], 4, v[42:43]
	v_add_u32_e32 v42, s2, v42
	v_add_co_u32_e32 v91, vcc, v127, v43
	v_ashrrev_i32_e32 v43, 31, v42
	v_addc_co_u32_e32 v92, vcc, v105, v44, vcc
	v_lshlrev_b64 v[43:44], 4, v[42:43]
	;; [unrolled: 5-line block ×8, first 2 shown]
	v_add_u32_e32 v42, s2, v42
	v_add_co_u32_e32 v115, vcc, v127, v43
	v_ashrrev_i32_e32 v43, 31, v42
	s_lshl_b64 s[8:9], s[2:3], 4
	s_load_dword s3, s[4:5], 0x0
	v_addc_co_u32_e32 v116, vcc, v105, v44, vcc
	v_lshlrev_b64 v[43:44], 4, v[42:43]
	v_add_u32_e32 v42, s2, v42
	v_add_co_u32_e32 v109, vcc, v127, v43
	v_ashrrev_i32_e32 v43, 31, v42
	v_lshlrev_b64 v[42:43], 4, v[42:43]
	v_addc_co_u32_e32 v110, vcc, v105, v44, vcc
	s_waitcnt lgkmcnt(0)
	s_max_i32 s0, s3, 33
	v_add_co_u32_e32 v111, vcc, v127, v42
	v_mul_lo_u32 v107, s0, v1
	v_addc_co_u32_e32 v112, vcc, v105, v43, vcc
	v_add_co_u32_e32 v44, vcc, v127, v46
	v_addc_co_u32_e32 v45, vcc, 0, v105, vcc
	v_mov_b32_e32 v43, s9
	v_add_co_u32_e32 v42, vcc, s8, v44
	v_lshl_add_u32 v106, v107, 4, 0
	v_addc_co_u32_e32 v43, vcc, v45, v43, vcc
	v_add_u32_e32 v1, v106, v46
	global_load_dwordx4 v[44:47], v[44:45], off
	s_nop 0
	global_load_dwordx4 v[48:51], v[42:43], off
	s_waitcnt vmcnt(0)
	buffer_store_dword v48, off, s[24:27], 0 offset:88 ; 4-byte Folded Spill
	s_nop 0
	buffer_store_dword v49, off, s[24:27], 0 offset:92 ; 4-byte Folded Spill
	buffer_store_dword v50, off, s[24:27], 0 offset:96 ; 4-byte Folded Spill
	;; [unrolled: 1-line block ×4, first 2 shown]
	s_nop 0
	buffer_store_dword v45, off, s[24:27], 0 offset:108 ; 4-byte Folded Spill
	buffer_store_dword v46, off, s[24:27], 0 offset:112 ; 4-byte Folded Spill
	;; [unrolled: 1-line block ×3, first 2 shown]
	s_load_dwordx2 s[4:5], s[4:5], 0x40
	s_cmp_lt_i32 s3, 2
	ds_write2_b64 v1, v[44:45], v[46:47] offset1:1
	global_load_dwordx4 v[42:45], v[2:3], off
	s_waitcnt vmcnt(0)
	buffer_store_dword v42, off, s[24:27], 0 offset:64 ; 4-byte Folded Spill
	s_nop 0
	buffer_store_dword v43, off, s[24:27], 0 offset:68 ; 4-byte Folded Spill
	buffer_store_dword v44, off, s[24:27], 0 offset:72 ; 4-byte Folded Spill
	buffer_store_dword v45, off, s[24:27], 0 offset:76 ; 4-byte Folded Spill
	global_load_dwordx4 v[1:4], v[4:5], off
	s_waitcnt vmcnt(0)
	buffer_store_dword v1, off, s[24:27], 0 offset:48 ; 4-byte Folded Spill
	s_nop 0
	buffer_store_dword v2, off, s[24:27], 0 offset:52 ; 4-byte Folded Spill
	buffer_store_dword v3, off, s[24:27], 0 offset:56 ; 4-byte Folded Spill
	buffer_store_dword v4, off, s[24:27], 0 offset:60 ; 4-byte Folded Spill
	global_load_dwordx4 v[1:4], v[6:7], off
	s_waitcnt vmcnt(0)
	buffer_store_dword v1, off, s[24:27], 0 offset:32 ; 4-byte Folded Spill
	s_nop 0
	buffer_store_dword v2, off, s[24:27], 0 offset:36 ; 4-byte Folded Spill
	buffer_store_dword v3, off, s[24:27], 0 offset:40 ; 4-byte Folded Spill
	buffer_store_dword v4, off, s[24:27], 0 offset:44 ; 4-byte Folded Spill
	global_load_dwordx4 v[1:4], v[8:9], off
	s_waitcnt vmcnt(0)
	buffer_store_dword v1, off, s[24:27], 0 offset:16 ; 4-byte Folded Spill
	s_nop 0
	buffer_store_dword v2, off, s[24:27], 0 offset:20 ; 4-byte Folded Spill
	buffer_store_dword v3, off, s[24:27], 0 offset:24 ; 4-byte Folded Spill
	buffer_store_dword v4, off, s[24:27], 0 offset:28 ; 4-byte Folded Spill
	global_load_dwordx4 v[1:4], v[10:11], off
	s_waitcnt vmcnt(0)
	buffer_store_dword v1, off, s[24:27], 0 ; 4-byte Folded Spill
	s_nop 0
	buffer_store_dword v2, off, s[24:27], 0 offset:4 ; 4-byte Folded Spill
	buffer_store_dword v3, off, s[24:27], 0 offset:8 ; 4-byte Folded Spill
	;; [unrolled: 1-line block ×3, first 2 shown]
	global_load_dwordx4 v[101:104], v[12:13], off
	global_load_dwordx4 v[97:100], v[14:15], off
	global_load_dwordx4 v[93:96], v[16:17], off
	global_load_dwordx4 v[85:88], v[18:19], off
	global_load_dwordx4 v[81:84], v[20:21], off
	global_load_dwordx4 v[77:80], v[22:23], off
	global_load_dwordx4 v[73:76], v[24:25], off
	global_load_dwordx4 v[69:72], v[26:27], off
	global_load_dwordx4 v[65:68], v[28:29], off
	global_load_dwordx4 v[61:64], v[30:31], off
	global_load_dwordx4 v[57:60], v[32:33], off
	global_load_dwordx4 v[53:56], v[34:35], off
	global_load_dwordx4 v[49:52], v[36:37], off
	global_load_dwordx4 v[45:48], v[38:39], off
	s_nop 0
	global_load_dwordx4 v[41:44], v[40:41], off
	s_nop 0
	global_load_dwordx4 v[37:40], v[89:90], off
	global_load_dwordx4 v[33:36], v[91:92], off
	;; [unrolled: 1-line block ×11, first 2 shown]
	s_waitcnt vmcnt(0) lgkmcnt(0)
	s_barrier
	ds_read2_b64 v[121:124], v106 offset1:1
	v_lshlrev_b32_e32 v111, 4, v107
	v_mov_b32_e32 v109, 0
	s_cbranch_scc1 .LBB64_6
; %bb.4:
	v_add3_u32 v107, v111, 0, 16
	s_mov_b32 s0, 1
	v_mov_b32_e32 v109, 0
.LBB64_5:                               ; =>This Inner Loop Header: Depth=1
	s_waitcnt lgkmcnt(0)
	v_cmp_gt_f64_e32 vcc, 0, v[121:122]
	v_xor_b32_e32 v108, 0x80000000, v122
	ds_read2_b64 v[112:115], v107 offset1:1
	v_mov_b32_e32 v116, v121
	v_mov_b32_e32 v118, v123
	v_add_u32_e32 v107, 16, v107
	s_waitcnt lgkmcnt(0)
	v_mov_b32_e32 v125, v114
	v_cndmask_b32_e32 v117, v122, v108, vcc
	v_cmp_gt_f64_e32 vcc, 0, v[123:124]
	v_xor_b32_e32 v108, 0x80000000, v124
	v_cndmask_b32_e32 v119, v124, v108, vcc
	v_cmp_gt_f64_e32 vcc, 0, v[112:113]
	v_xor_b32_e32 v108, 0x80000000, v113
	v_add_f64 v[116:117], v[116:117], v[118:119]
	v_mov_b32_e32 v118, v112
	v_cndmask_b32_e32 v119, v113, v108, vcc
	v_cmp_gt_f64_e32 vcc, 0, v[114:115]
	v_xor_b32_e32 v108, 0x80000000, v115
	v_cndmask_b32_e32 v126, v115, v108, vcc
	v_add_f64 v[118:119], v[118:119], v[125:126]
	v_mov_b32_e32 v108, s0
	s_add_i32 s0, s0, 1
	s_cmp_eq_u32 s3, s0
	v_cmp_lt_f64_e32 vcc, v[116:117], v[118:119]
	v_cndmask_b32_e32 v122, v122, v113, vcc
	v_cndmask_b32_e32 v121, v121, v112, vcc
	;; [unrolled: 1-line block ×5, first 2 shown]
	s_cbranch_scc0 .LBB64_5
.LBB64_6:
	s_waitcnt lgkmcnt(0)
	v_cmp_neq_f64_e32 vcc, 0, v[121:122]
	v_cmp_neq_f64_e64 s[0:1], 0, v[123:124]
	v_mov_b32_e32 v107, 1
	v_mov_b32_e32 v112, 1
	s_or_b64 s[18:19], vcc, s[0:1]
	s_and_saveexec_b64 s[0:1], s[18:19]
	s_cbranch_execz .LBB64_12
; %bb.7:
	v_cmp_ngt_f64_e64 s[18:19], |v[121:122]|, |v[123:124]|
	s_and_saveexec_b64 s[20:21], s[18:19]
	s_xor_b64 s[18:19], exec, s[20:21]
	s_cbranch_execz .LBB64_9
; %bb.8:
	v_div_scale_f64 v[107:108], s[20:21], v[123:124], v[123:124], v[121:122]
	v_rcp_f64_e32 v[112:113], v[107:108]
	v_fma_f64 v[114:115], -v[107:108], v[112:113], 1.0
	v_fma_f64 v[112:113], v[112:113], v[114:115], v[112:113]
	v_div_scale_f64 v[114:115], vcc, v[121:122], v[123:124], v[121:122]
	v_fma_f64 v[116:117], -v[107:108], v[112:113], 1.0
	v_fma_f64 v[112:113], v[112:113], v[116:117], v[112:113]
	v_mul_f64 v[116:117], v[114:115], v[112:113]
	v_fma_f64 v[107:108], -v[107:108], v[116:117], v[114:115]
	v_div_fmas_f64 v[107:108], v[107:108], v[112:113], v[116:117]
	v_div_fixup_f64 v[107:108], v[107:108], v[123:124], v[121:122]
	v_fma_f64 v[112:113], v[121:122], v[107:108], v[123:124]
	v_div_scale_f64 v[114:115], s[20:21], v[112:113], v[112:113], 1.0
	v_div_scale_f64 v[120:121], vcc, 1.0, v[112:113], 1.0
	v_rcp_f64_e32 v[116:117], v[114:115]
	v_fma_f64 v[118:119], -v[114:115], v[116:117], 1.0
	v_fma_f64 v[116:117], v[116:117], v[118:119], v[116:117]
	v_fma_f64 v[118:119], -v[114:115], v[116:117], 1.0
	v_fma_f64 v[116:117], v[116:117], v[118:119], v[116:117]
	v_mul_f64 v[118:119], v[120:121], v[116:117]
	v_fma_f64 v[114:115], -v[114:115], v[118:119], v[120:121]
	v_div_fmas_f64 v[114:115], v[114:115], v[116:117], v[118:119]
	v_div_fixup_f64 v[123:124], v[114:115], v[112:113], 1.0
	v_mul_f64 v[121:122], v[107:108], v[123:124]
	v_xor_b32_e32 v124, 0x80000000, v124
.LBB64_9:
	s_andn2_saveexec_b64 s[18:19], s[18:19]
	s_cbranch_execz .LBB64_11
; %bb.10:
	v_div_scale_f64 v[107:108], s[20:21], v[121:122], v[121:122], v[123:124]
	v_rcp_f64_e32 v[112:113], v[107:108]
	v_fma_f64 v[114:115], -v[107:108], v[112:113], 1.0
	v_fma_f64 v[112:113], v[112:113], v[114:115], v[112:113]
	v_div_scale_f64 v[114:115], vcc, v[123:124], v[121:122], v[123:124]
	v_fma_f64 v[116:117], -v[107:108], v[112:113], 1.0
	v_fma_f64 v[112:113], v[112:113], v[116:117], v[112:113]
	v_mul_f64 v[116:117], v[114:115], v[112:113]
	v_fma_f64 v[107:108], -v[107:108], v[116:117], v[114:115]
	v_div_fmas_f64 v[107:108], v[107:108], v[112:113], v[116:117]
	v_div_fixup_f64 v[107:108], v[107:108], v[121:122], v[123:124]
	v_fma_f64 v[112:113], v[123:124], v[107:108], v[121:122]
	v_div_scale_f64 v[114:115], s[20:21], v[112:113], v[112:113], 1.0
	v_div_scale_f64 v[120:121], vcc, 1.0, v[112:113], 1.0
	v_rcp_f64_e32 v[116:117], v[114:115]
	v_fma_f64 v[118:119], -v[114:115], v[116:117], 1.0
	v_fma_f64 v[116:117], v[116:117], v[118:119], v[116:117]
	v_fma_f64 v[118:119], -v[114:115], v[116:117], 1.0
	v_fma_f64 v[116:117], v[116:117], v[118:119], v[116:117]
	v_mul_f64 v[118:119], v[120:121], v[116:117]
	v_fma_f64 v[114:115], -v[114:115], v[118:119], v[120:121]
	v_div_fmas_f64 v[114:115], v[114:115], v[116:117], v[118:119]
	v_div_fixup_f64 v[121:122], v[114:115], v[112:113], 1.0
	v_mul_f64 v[123:124], v[107:108], -v[121:122]
.LBB64_11:
	s_or_b64 exec, exec, s[18:19]
	v_mov_b32_e32 v112, 0
	v_mov_b32_e32 v107, 2
.LBB64_12:
	s_or_b64 exec, exec, s[0:1]
	v_cmp_ne_u32_e32 vcc, v0, v109
	s_and_saveexec_b64 s[0:1], vcc
	s_xor_b64 s[0:1], exec, s[0:1]
	s_cbranch_execz .LBB64_18
; %bb.13:
	v_cmp_eq_u32_e32 vcc, 0, v0
	s_and_saveexec_b64 s[18:19], vcc
	s_cbranch_execz .LBB64_17
; %bb.14:
	v_cmp_ne_u32_e32 vcc, 0, v109
	s_xor_b64 s[20:21], s[6:7], -1
	s_and_b64 s[22:23], s[20:21], vcc
	s_and_saveexec_b64 s[20:21], s[22:23]
	s_cbranch_execz .LBB64_16
; %bb.15:
	buffer_load_dword v115, off, s[24:27], 0 offset:80 ; 4-byte Folded Reload
	buffer_load_dword v116, off, s[24:27], 0 offset:84 ; 4-byte Folded Reload
	v_ashrrev_i32_e32 v110, 31, v109
	v_lshlrev_b64 v[113:114], 2, v[109:110]
	s_waitcnt vmcnt(1)
	v_add_co_u32_e32 v113, vcc, v115, v113
	s_waitcnt vmcnt(0)
	v_addc_co_u32_e32 v114, vcc, v116, v114, vcc
	global_load_dword v0, v[113:114], off
	global_load_dword v108, v[115:116], off
	s_waitcnt vmcnt(1)
	global_store_dword v[115:116], v0, off
	s_waitcnt vmcnt(1)
	global_store_dword v[113:114], v108, off
.LBB64_16:
	s_or_b64 exec, exec, s[20:21]
	v_mov_b32_e32 v0, v109
.LBB64_17:
	s_or_b64 exec, exec, s[18:19]
.LBB64_18:
	s_or_saveexec_b64 s[0:1], s[0:1]
	v_mov_b32_e32 v108, v0
	s_xor_b64 exec, exec, s[0:1]
	s_cbranch_execz .LBB64_20
; %bb.19:
	buffer_load_dword v113, off, s[24:27], 0 offset:88 ; 4-byte Folded Reload
	buffer_load_dword v114, off, s[24:27], 0 offset:92 ; 4-byte Folded Reload
	;; [unrolled: 1-line block ×4, first 2 shown]
	v_mov_b32_e32 v108, 0
	s_waitcnt vmcnt(0)
	ds_write2_b64 v106, v[113:114], v[115:116] offset0:2 offset1:3
	buffer_load_dword v113, off, s[24:27], 0 offset:64 ; 4-byte Folded Reload
	buffer_load_dword v114, off, s[24:27], 0 offset:68 ; 4-byte Folded Reload
	buffer_load_dword v115, off, s[24:27], 0 offset:72 ; 4-byte Folded Reload
	buffer_load_dword v116, off, s[24:27], 0 offset:76 ; 4-byte Folded Reload
	s_waitcnt vmcnt(0)
	ds_write2_b64 v106, v[113:114], v[115:116] offset0:4 offset1:5
	buffer_load_dword v113, off, s[24:27], 0 offset:48 ; 4-byte Folded Reload
	buffer_load_dword v114, off, s[24:27], 0 offset:52 ; 4-byte Folded Reload
	buffer_load_dword v115, off, s[24:27], 0 offset:56 ; 4-byte Folded Reload
	buffer_load_dword v116, off, s[24:27], 0 offset:60 ; 4-byte Folded Reload
	;; [unrolled: 6-line block ×4, first 2 shown]
	s_waitcnt vmcnt(0)
	ds_write2_b64 v106, v[113:114], v[115:116] offset0:10 offset1:11
	buffer_load_dword v113, off, s[24:27], 0 ; 4-byte Folded Reload
	buffer_load_dword v114, off, s[24:27], 0 offset:4 ; 4-byte Folded Reload
	buffer_load_dword v115, off, s[24:27], 0 offset:8 ; 4-byte Folded Reload
	;; [unrolled: 1-line block ×3, first 2 shown]
	s_waitcnt vmcnt(0)
	ds_write2_b64 v106, v[113:114], v[115:116] offset0:12 offset1:13
	ds_write2_b64 v106, v[101:102], v[103:104] offset0:14 offset1:15
	;; [unrolled: 1-line block ×27, first 2 shown]
.LBB64_20:
	s_or_b64 exec, exec, s[0:1]
	v_cmp_lt_i32_e32 vcc, 0, v108
	s_waitcnt vmcnt(0) lgkmcnt(0)
	s_barrier
	s_and_saveexec_b64 s[0:1], vcc
	s_cbranch_execz .LBB64_22
; %bb.21:
	buffer_load_dword v115, off, s[24:27], 0 offset:104 ; 4-byte Folded Reload
	buffer_load_dword v116, off, s[24:27], 0 offset:108 ; 4-byte Folded Reload
	;; [unrolled: 1-line block ×4, first 2 shown]
	s_waitcnt vmcnt(0)
	v_mul_f64 v[109:110], v[123:124], v[117:118]
	v_fma_f64 v[125:126], v[121:122], v[115:116], -v[109:110]
	v_mul_f64 v[109:110], v[121:122], v[117:118]
	v_fma_f64 v[117:118], v[123:124], v[115:116], v[109:110]
	ds_read2_b64 v[113:116], v106 offset0:2 offset1:3
	buffer_load_dword v119, off, s[24:27], 0 offset:88 ; 4-byte Folded Reload
	buffer_load_dword v120, off, s[24:27], 0 offset:92 ; 4-byte Folded Reload
	buffer_load_dword v121, off, s[24:27], 0 offset:96 ; 4-byte Folded Reload
	buffer_load_dword v122, off, s[24:27], 0 offset:100 ; 4-byte Folded Reload
	s_waitcnt lgkmcnt(0)
	v_mul_f64 v[109:110], v[115:116], v[117:118]
	v_fma_f64 v[109:110], v[113:114], v[125:126], -v[109:110]
	v_mul_f64 v[113:114], v[113:114], v[117:118]
	v_fma_f64 v[113:114], v[115:116], v[125:126], v[113:114]
	s_waitcnt vmcnt(2)
	v_add_f64 v[119:120], v[119:120], -v[109:110]
	s_waitcnt vmcnt(0)
	v_add_f64 v[121:122], v[121:122], -v[113:114]
	buffer_store_dword v119, off, s[24:27], 0 offset:88 ; 4-byte Folded Spill
	s_nop 0
	buffer_store_dword v120, off, s[24:27], 0 offset:92 ; 4-byte Folded Spill
	buffer_store_dword v121, off, s[24:27], 0 offset:96 ; 4-byte Folded Spill
	buffer_store_dword v122, off, s[24:27], 0 offset:100 ; 4-byte Folded Spill
	ds_read2_b64 v[113:116], v106 offset0:4 offset1:5
	buffer_load_dword v119, off, s[24:27], 0 offset:64 ; 4-byte Folded Reload
	buffer_load_dword v120, off, s[24:27], 0 offset:68 ; 4-byte Folded Reload
	buffer_load_dword v121, off, s[24:27], 0 offset:72 ; 4-byte Folded Reload
	buffer_load_dword v122, off, s[24:27], 0 offset:76 ; 4-byte Folded Reload
	s_waitcnt lgkmcnt(0)
	v_mul_f64 v[109:110], v[115:116], v[117:118]
	v_fma_f64 v[109:110], v[113:114], v[125:126], -v[109:110]
	v_mul_f64 v[113:114], v[113:114], v[117:118]
	v_fma_f64 v[113:114], v[115:116], v[125:126], v[113:114]
	s_waitcnt vmcnt(2)
	v_add_f64 v[119:120], v[119:120], -v[109:110]
	s_waitcnt vmcnt(0)
	v_add_f64 v[121:122], v[121:122], -v[113:114]
	buffer_store_dword v119, off, s[24:27], 0 offset:64 ; 4-byte Folded Spill
	s_nop 0
	buffer_store_dword v120, off, s[24:27], 0 offset:68 ; 4-byte Folded Spill
	buffer_store_dword v121, off, s[24:27], 0 offset:72 ; 4-byte Folded Spill
	buffer_store_dword v122, off, s[24:27], 0 offset:76 ; 4-byte Folded Spill
	;; [unrolled: 19-line block ×5, first 2 shown]
	ds_read2_b64 v[113:116], v106 offset0:12 offset1:13
	buffer_load_dword v119, off, s[24:27], 0 ; 4-byte Folded Reload
	buffer_load_dword v120, off, s[24:27], 0 offset:4 ; 4-byte Folded Reload
	buffer_load_dword v121, off, s[24:27], 0 offset:8 ; 4-byte Folded Reload
	;; [unrolled: 1-line block ×3, first 2 shown]
	s_waitcnt lgkmcnt(0)
	v_mul_f64 v[109:110], v[115:116], v[117:118]
	v_fma_f64 v[109:110], v[113:114], v[125:126], -v[109:110]
	v_mul_f64 v[113:114], v[113:114], v[117:118]
	v_fma_f64 v[113:114], v[115:116], v[125:126], v[113:114]
	s_waitcnt vmcnt(2)
	v_add_f64 v[119:120], v[119:120], -v[109:110]
	s_waitcnt vmcnt(0)
	v_add_f64 v[121:122], v[121:122], -v[113:114]
	buffer_store_dword v119, off, s[24:27], 0 ; 4-byte Folded Spill
	s_nop 0
	buffer_store_dword v120, off, s[24:27], 0 offset:4 ; 4-byte Folded Spill
	buffer_store_dword v121, off, s[24:27], 0 offset:8 ; 4-byte Folded Spill
	;; [unrolled: 1-line block ×3, first 2 shown]
	ds_read2_b64 v[113:116], v106 offset0:14 offset1:15
	s_waitcnt lgkmcnt(0)
	v_mul_f64 v[109:110], v[115:116], v[117:118]
	v_fma_f64 v[109:110], v[113:114], v[125:126], -v[109:110]
	v_mul_f64 v[113:114], v[113:114], v[117:118]
	v_add_f64 v[101:102], v[101:102], -v[109:110]
	v_fma_f64 v[113:114], v[115:116], v[125:126], v[113:114]
	v_add_f64 v[103:104], v[103:104], -v[113:114]
	ds_read2_b64 v[113:116], v106 offset0:16 offset1:17
	s_waitcnt lgkmcnt(0)
	v_mul_f64 v[109:110], v[115:116], v[117:118]
	v_fma_f64 v[109:110], v[113:114], v[125:126], -v[109:110]
	v_mul_f64 v[113:114], v[113:114], v[117:118]
	v_add_f64 v[97:98], v[97:98], -v[109:110]
	v_fma_f64 v[113:114], v[115:116], v[125:126], v[113:114]
	v_add_f64 v[99:100], v[99:100], -v[113:114]
	;; [unrolled: 8-line block ×25, first 2 shown]
	ds_read2_b64 v[113:116], v106 offset0:64 offset1:65
	s_waitcnt lgkmcnt(0)
	v_mul_f64 v[109:110], v[115:116], v[117:118]
	v_fma_f64 v[109:110], v[113:114], v[125:126], -v[109:110]
	v_mul_f64 v[113:114], v[113:114], v[117:118]
	v_add_f64 v[89:90], v[89:90], -v[109:110]
	v_fma_f64 v[113:114], v[115:116], v[125:126], v[113:114]
	v_mov_b32_e32 v115, v125
	v_mov_b32_e32 v116, v126
	buffer_store_dword v115, off, s[24:27], 0 offset:104 ; 4-byte Folded Spill
	s_nop 0
	buffer_store_dword v116, off, s[24:27], 0 offset:108 ; 4-byte Folded Spill
	buffer_store_dword v117, off, s[24:27], 0 offset:112 ; 4-byte Folded Spill
	;; [unrolled: 1-line block ×3, first 2 shown]
	v_add_f64 v[91:92], v[91:92], -v[113:114]
.LBB64_22:
	s_or_b64 exec, exec, s[0:1]
	s_waitcnt vmcnt(0)
	s_barrier
	buffer_load_dword v113, off, s[24:27], 0 offset:88 ; 4-byte Folded Reload
	buffer_load_dword v114, off, s[24:27], 0 offset:92 ; 4-byte Folded Reload
	;; [unrolled: 1-line block ×4, first 2 shown]
	v_lshl_add_u32 v109, v108, 4, v106
	s_cmp_lt_i32 s3, 3
	s_waitcnt vmcnt(0)
	ds_write2_b64 v109, v[113:114], v[115:116] offset1:1
	s_waitcnt lgkmcnt(0)
	s_barrier
	ds_read2_b64 v[121:124], v106 offset0:2 offset1:3
	v_mov_b32_e32 v109, 1
	s_cbranch_scc1 .LBB64_25
; %bb.23:
	v_add3_u32 v110, v111, 0, 32
	s_mov_b32 s0, 2
	v_mov_b32_e32 v109, 1
.LBB64_24:                              ; =>This Inner Loop Header: Depth=1
	s_waitcnt lgkmcnt(0)
	v_cmp_gt_f64_e32 vcc, 0, v[121:122]
	v_xor_b32_e32 v117, 0x80000000, v122
	ds_read2_b64 v[113:116], v110 offset1:1
	v_xor_b32_e32 v119, 0x80000000, v124
	v_add_u32_e32 v110, 16, v110
	s_waitcnt lgkmcnt(0)
	v_xor_b32_e32 v125, 0x80000000, v116
	v_cndmask_b32_e32 v118, v122, v117, vcc
	v_cmp_gt_f64_e32 vcc, 0, v[123:124]
	v_mov_b32_e32 v117, v121
	v_cndmask_b32_e32 v120, v124, v119, vcc
	v_cmp_gt_f64_e32 vcc, 0, v[113:114]
	v_mov_b32_e32 v119, v123
	v_add_f64 v[117:118], v[117:118], v[119:120]
	v_xor_b32_e32 v119, 0x80000000, v114
	v_cndmask_b32_e32 v120, v114, v119, vcc
	v_cmp_gt_f64_e32 vcc, 0, v[115:116]
	v_mov_b32_e32 v119, v113
	v_cndmask_b32_e32 v126, v116, v125, vcc
	v_mov_b32_e32 v125, v115
	v_add_f64 v[119:120], v[119:120], v[125:126]
	v_cmp_lt_f64_e32 vcc, v[117:118], v[119:120]
	v_cndmask_b32_e32 v121, v121, v113, vcc
	v_mov_b32_e32 v113, s0
	s_add_i32 s0, s0, 1
	v_cndmask_b32_e32 v122, v122, v114, vcc
	v_cndmask_b32_e32 v124, v124, v116, vcc
	;; [unrolled: 1-line block ×4, first 2 shown]
	s_cmp_lg_u32 s3, s0
	s_cbranch_scc1 .LBB64_24
.LBB64_25:
	s_waitcnt lgkmcnt(0)
	v_cmp_neq_f64_e32 vcc, 0, v[121:122]
	v_cmp_neq_f64_e64 s[0:1], 0, v[123:124]
	s_or_b64 s[18:19], vcc, s[0:1]
	s_and_saveexec_b64 s[0:1], s[18:19]
	s_cbranch_execz .LBB64_31
; %bb.26:
	v_cmp_ngt_f64_e64 s[18:19], |v[121:122]|, |v[123:124]|
	s_and_saveexec_b64 s[20:21], s[18:19]
	s_xor_b64 s[18:19], exec, s[20:21]
	s_cbranch_execz .LBB64_28
; %bb.27:
	v_div_scale_f64 v[113:114], s[20:21], v[123:124], v[123:124], v[121:122]
	v_rcp_f64_e32 v[115:116], v[113:114]
	v_fma_f64 v[117:118], -v[113:114], v[115:116], 1.0
	v_fma_f64 v[115:116], v[115:116], v[117:118], v[115:116]
	v_div_scale_f64 v[117:118], vcc, v[121:122], v[123:124], v[121:122]
	v_fma_f64 v[119:120], -v[113:114], v[115:116], 1.0
	v_fma_f64 v[115:116], v[115:116], v[119:120], v[115:116]
	v_mul_f64 v[119:120], v[117:118], v[115:116]
	v_fma_f64 v[113:114], -v[113:114], v[119:120], v[117:118]
	v_div_fmas_f64 v[113:114], v[113:114], v[115:116], v[119:120]
	v_div_fixup_f64 v[113:114], v[113:114], v[123:124], v[121:122]
	v_fma_f64 v[115:116], v[121:122], v[113:114], v[123:124]
	v_div_scale_f64 v[117:118], s[20:21], v[115:116], v[115:116], 1.0
	v_div_scale_f64 v[123:124], vcc, 1.0, v[115:116], 1.0
	v_rcp_f64_e32 v[119:120], v[117:118]
	v_fma_f64 v[121:122], -v[117:118], v[119:120], 1.0
	v_fma_f64 v[119:120], v[119:120], v[121:122], v[119:120]
	v_fma_f64 v[121:122], -v[117:118], v[119:120], 1.0
	v_fma_f64 v[119:120], v[119:120], v[121:122], v[119:120]
	v_mul_f64 v[121:122], v[123:124], v[119:120]
	v_fma_f64 v[117:118], -v[117:118], v[121:122], v[123:124]
	v_div_fmas_f64 v[117:118], v[117:118], v[119:120], v[121:122]
	v_div_fixup_f64 v[123:124], v[117:118], v[115:116], 1.0
	v_mul_f64 v[121:122], v[113:114], v[123:124]
	v_xor_b32_e32 v124, 0x80000000, v124
.LBB64_28:
	s_andn2_saveexec_b64 s[18:19], s[18:19]
	s_cbranch_execz .LBB64_30
; %bb.29:
	v_div_scale_f64 v[113:114], s[20:21], v[121:122], v[121:122], v[123:124]
	v_rcp_f64_e32 v[115:116], v[113:114]
	v_fma_f64 v[117:118], -v[113:114], v[115:116], 1.0
	v_fma_f64 v[115:116], v[115:116], v[117:118], v[115:116]
	v_div_scale_f64 v[117:118], vcc, v[123:124], v[121:122], v[123:124]
	v_fma_f64 v[119:120], -v[113:114], v[115:116], 1.0
	v_fma_f64 v[115:116], v[115:116], v[119:120], v[115:116]
	v_mul_f64 v[119:120], v[117:118], v[115:116]
	v_fma_f64 v[113:114], -v[113:114], v[119:120], v[117:118]
	v_div_fmas_f64 v[113:114], v[113:114], v[115:116], v[119:120]
	v_div_fixup_f64 v[113:114], v[113:114], v[121:122], v[123:124]
	v_fma_f64 v[115:116], v[123:124], v[113:114], v[121:122]
	v_div_scale_f64 v[117:118], s[20:21], v[115:116], v[115:116], 1.0
	v_div_scale_f64 v[123:124], vcc, 1.0, v[115:116], 1.0
	v_rcp_f64_e32 v[119:120], v[117:118]
	v_fma_f64 v[121:122], -v[117:118], v[119:120], 1.0
	v_fma_f64 v[119:120], v[119:120], v[121:122], v[119:120]
	v_fma_f64 v[121:122], -v[117:118], v[119:120], 1.0
	v_fma_f64 v[119:120], v[119:120], v[121:122], v[119:120]
	v_mul_f64 v[121:122], v[123:124], v[119:120]
	v_fma_f64 v[117:118], -v[117:118], v[121:122], v[123:124]
	v_div_fmas_f64 v[117:118], v[117:118], v[119:120], v[121:122]
	v_div_fixup_f64 v[121:122], v[117:118], v[115:116], 1.0
	v_mul_f64 v[123:124], v[113:114], -v[121:122]
.LBB64_30:
	s_or_b64 exec, exec, s[18:19]
	v_mov_b32_e32 v107, v112
.LBB64_31:
	s_or_b64 exec, exec, s[0:1]
	v_cmp_ne_u32_e32 vcc, v108, v109
	s_and_saveexec_b64 s[0:1], vcc
	s_xor_b64 s[0:1], exec, s[0:1]
	s_cbranch_execz .LBB64_37
; %bb.32:
	v_cmp_eq_u32_e32 vcc, 1, v108
	s_and_saveexec_b64 s[18:19], vcc
	s_cbranch_execz .LBB64_36
; %bb.33:
	v_cmp_ne_u32_e32 vcc, 1, v109
	s_xor_b64 s[20:21], s[6:7], -1
	s_and_b64 s[22:23], s[20:21], vcc
	s_and_saveexec_b64 s[20:21], s[22:23]
	s_cbranch_execz .LBB64_35
; %bb.34:
	buffer_load_dword v114, off, s[24:27], 0 offset:80 ; 4-byte Folded Reload
	buffer_load_dword v115, off, s[24:27], 0 offset:84 ; 4-byte Folded Reload
	v_ashrrev_i32_e32 v110, 31, v109
	v_lshlrev_b64 v[112:113], 2, v[109:110]
	s_waitcnt vmcnt(1)
	v_add_co_u32_e32 v112, vcc, v114, v112
	s_waitcnt vmcnt(0)
	v_addc_co_u32_e32 v113, vcc, v115, v113, vcc
	global_load_dword v0, v[112:113], off
	global_load_dword v108, v[114:115], off offset:4
	s_waitcnt vmcnt(1)
	global_store_dword v[114:115], v0, off offset:4
	s_waitcnt vmcnt(1)
	global_store_dword v[112:113], v108, off
.LBB64_35:
	s_or_b64 exec, exec, s[20:21]
	v_mov_b32_e32 v108, v109
	v_mov_b32_e32 v0, v109
.LBB64_36:
	s_or_b64 exec, exec, s[18:19]
.LBB64_37:
	s_andn2_saveexec_b64 s[0:1], s[0:1]
	s_cbranch_execz .LBB64_39
; %bb.38:
	buffer_load_dword v112, off, s[24:27], 0 offset:64 ; 4-byte Folded Reload
	buffer_load_dword v113, off, s[24:27], 0 offset:68 ; 4-byte Folded Reload
	;; [unrolled: 1-line block ×4, first 2 shown]
	v_mov_b32_e32 v108, 1
	s_waitcnt vmcnt(0)
	ds_write2_b64 v106, v[112:113], v[114:115] offset0:4 offset1:5
	buffer_load_dword v112, off, s[24:27], 0 offset:48 ; 4-byte Folded Reload
	buffer_load_dword v113, off, s[24:27], 0 offset:52 ; 4-byte Folded Reload
	buffer_load_dword v114, off, s[24:27], 0 offset:56 ; 4-byte Folded Reload
	buffer_load_dword v115, off, s[24:27], 0 offset:60 ; 4-byte Folded Reload
	s_waitcnt vmcnt(0)
	ds_write2_b64 v106, v[112:113], v[114:115] offset0:6 offset1:7
	buffer_load_dword v112, off, s[24:27], 0 offset:32 ; 4-byte Folded Reload
	buffer_load_dword v113, off, s[24:27], 0 offset:36 ; 4-byte Folded Reload
	buffer_load_dword v114, off, s[24:27], 0 offset:40 ; 4-byte Folded Reload
	buffer_load_dword v115, off, s[24:27], 0 offset:44 ; 4-byte Folded Reload
	;; [unrolled: 6-line block ×3, first 2 shown]
	s_waitcnt vmcnt(0)
	ds_write2_b64 v106, v[112:113], v[114:115] offset0:10 offset1:11
	buffer_load_dword v112, off, s[24:27], 0 ; 4-byte Folded Reload
	buffer_load_dword v113, off, s[24:27], 0 offset:4 ; 4-byte Folded Reload
	buffer_load_dword v114, off, s[24:27], 0 offset:8 ; 4-byte Folded Reload
	;; [unrolled: 1-line block ×3, first 2 shown]
	s_waitcnt vmcnt(0)
	ds_write2_b64 v106, v[112:113], v[114:115] offset0:12 offset1:13
	ds_write2_b64 v106, v[101:102], v[103:104] offset0:14 offset1:15
	;; [unrolled: 1-line block ×27, first 2 shown]
.LBB64_39:
	s_or_b64 exec, exec, s[0:1]
	v_cmp_lt_i32_e32 vcc, 1, v108
	s_waitcnt vmcnt(0) lgkmcnt(0)
	s_barrier
	s_and_saveexec_b64 s[0:1], vcc
	s_cbranch_execz .LBB64_41
; %bb.40:
	buffer_load_dword v116, off, s[24:27], 0 offset:88 ; 4-byte Folded Reload
	buffer_load_dword v117, off, s[24:27], 0 offset:92 ; 4-byte Folded Reload
	buffer_load_dword v118, off, s[24:27], 0 offset:96 ; 4-byte Folded Reload
	buffer_load_dword v119, off, s[24:27], 0 offset:100 ; 4-byte Folded Reload
	ds_read2_b64 v[112:115], v106 offset0:4 offset1:5
	s_waitcnt vmcnt(0)
	v_mul_f64 v[109:110], v[123:124], v[118:119]
	v_fma_f64 v[125:126], v[121:122], v[116:117], -v[109:110]
	v_mul_f64 v[109:110], v[121:122], v[118:119]
	v_fma_f64 v[118:119], v[123:124], v[116:117], v[109:110]
	s_waitcnt lgkmcnt(0)
	v_mul_f64 v[109:110], v[114:115], v[118:119]
	v_fma_f64 v[109:110], v[112:113], v[125:126], -v[109:110]
	v_mul_f64 v[112:113], v[112:113], v[118:119]
	v_fma_f64 v[112:113], v[114:115], v[125:126], v[112:113]
	buffer_load_dword v114, off, s[24:27], 0 offset:64 ; 4-byte Folded Reload
	buffer_load_dword v115, off, s[24:27], 0 offset:68 ; 4-byte Folded Reload
	buffer_load_dword v116, off, s[24:27], 0 offset:72 ; 4-byte Folded Reload
	buffer_load_dword v117, off, s[24:27], 0 offset:76 ; 4-byte Folded Reload
	s_waitcnt vmcnt(2)
	v_add_f64 v[114:115], v[114:115], -v[109:110]
	s_waitcnt vmcnt(0)
	v_add_f64 v[116:117], v[116:117], -v[112:113]
	buffer_store_dword v114, off, s[24:27], 0 offset:64 ; 4-byte Folded Spill
	s_nop 0
	buffer_store_dword v115, off, s[24:27], 0 offset:68 ; 4-byte Folded Spill
	buffer_store_dword v116, off, s[24:27], 0 offset:72 ; 4-byte Folded Spill
	buffer_store_dword v117, off, s[24:27], 0 offset:76 ; 4-byte Folded Spill
	ds_read2_b64 v[112:115], v106 offset0:6 offset1:7
	s_waitcnt lgkmcnt(0)
	v_mul_f64 v[109:110], v[114:115], v[118:119]
	v_fma_f64 v[109:110], v[112:113], v[125:126], -v[109:110]
	v_mul_f64 v[112:113], v[112:113], v[118:119]
	v_fma_f64 v[112:113], v[114:115], v[125:126], v[112:113]
	buffer_load_dword v114, off, s[24:27], 0 offset:48 ; 4-byte Folded Reload
	buffer_load_dword v115, off, s[24:27], 0 offset:52 ; 4-byte Folded Reload
	buffer_load_dword v116, off, s[24:27], 0 offset:56 ; 4-byte Folded Reload
	buffer_load_dword v117, off, s[24:27], 0 offset:60 ; 4-byte Folded Reload
	s_waitcnt vmcnt(2)
	v_add_f64 v[114:115], v[114:115], -v[109:110]
	s_waitcnt vmcnt(0)
	v_add_f64 v[116:117], v[116:117], -v[112:113]
	buffer_store_dword v114, off, s[24:27], 0 offset:48 ; 4-byte Folded Spill
	s_nop 0
	buffer_store_dword v115, off, s[24:27], 0 offset:52 ; 4-byte Folded Spill
	buffer_store_dword v116, off, s[24:27], 0 offset:56 ; 4-byte Folded Spill
	buffer_store_dword v117, off, s[24:27], 0 offset:60 ; 4-byte Folded Spill
	ds_read2_b64 v[112:115], v106 offset0:8 offset1:9
	;; [unrolled: 19-line block ×4, first 2 shown]
	s_waitcnt lgkmcnt(0)
	v_mul_f64 v[109:110], v[114:115], v[118:119]
	v_fma_f64 v[109:110], v[112:113], v[125:126], -v[109:110]
	v_mul_f64 v[112:113], v[112:113], v[118:119]
	v_fma_f64 v[112:113], v[114:115], v[125:126], v[112:113]
	buffer_load_dword v114, off, s[24:27], 0 ; 4-byte Folded Reload
	buffer_load_dword v115, off, s[24:27], 0 offset:4 ; 4-byte Folded Reload
	buffer_load_dword v116, off, s[24:27], 0 offset:8 ; 4-byte Folded Reload
	buffer_load_dword v117, off, s[24:27], 0 offset:12 ; 4-byte Folded Reload
	s_waitcnt vmcnt(2)
	v_add_f64 v[114:115], v[114:115], -v[109:110]
	s_waitcnt vmcnt(0)
	v_add_f64 v[116:117], v[116:117], -v[112:113]
	buffer_store_dword v114, off, s[24:27], 0 ; 4-byte Folded Spill
	s_nop 0
	buffer_store_dword v115, off, s[24:27], 0 offset:4 ; 4-byte Folded Spill
	buffer_store_dword v116, off, s[24:27], 0 offset:8 ; 4-byte Folded Spill
	;; [unrolled: 1-line block ×3, first 2 shown]
	ds_read2_b64 v[112:115], v106 offset0:14 offset1:15
	v_mov_b32_e32 v116, v125
	v_mov_b32_e32 v117, v126
	s_waitcnt lgkmcnt(0)
	v_mul_f64 v[109:110], v[114:115], v[118:119]
	v_fma_f64 v[109:110], v[112:113], v[125:126], -v[109:110]
	v_mul_f64 v[112:113], v[112:113], v[118:119]
	v_add_f64 v[101:102], v[101:102], -v[109:110]
	v_fma_f64 v[112:113], v[114:115], v[125:126], v[112:113]
	v_add_f64 v[103:104], v[103:104], -v[112:113]
	ds_read2_b64 v[112:115], v106 offset0:16 offset1:17
	s_waitcnt lgkmcnt(0)
	v_mul_f64 v[109:110], v[114:115], v[118:119]
	v_fma_f64 v[109:110], v[112:113], v[125:126], -v[109:110]
	v_mul_f64 v[112:113], v[112:113], v[118:119]
	v_add_f64 v[97:98], v[97:98], -v[109:110]
	v_fma_f64 v[112:113], v[114:115], v[125:126], v[112:113]
	v_add_f64 v[99:100], v[99:100], -v[112:113]
	ds_read2_b64 v[112:115], v106 offset0:18 offset1:19
	;; [unrolled: 8-line block ×25, first 2 shown]
	s_waitcnt lgkmcnt(0)
	v_mul_f64 v[109:110], v[114:115], v[118:119]
	v_fma_f64 v[109:110], v[112:113], v[125:126], -v[109:110]
	v_mul_f64 v[112:113], v[112:113], v[118:119]
	buffer_store_dword v116, off, s[24:27], 0 offset:88 ; 4-byte Folded Spill
	s_nop 0
	buffer_store_dword v117, off, s[24:27], 0 offset:92 ; 4-byte Folded Spill
	buffer_store_dword v118, off, s[24:27], 0 offset:96 ; 4-byte Folded Spill
	;; [unrolled: 1-line block ×3, first 2 shown]
	v_add_f64 v[89:90], v[89:90], -v[109:110]
	v_fma_f64 v[112:113], v[114:115], v[125:126], v[112:113]
	v_add_f64 v[91:92], v[91:92], -v[112:113]
.LBB64_41:
	s_or_b64 exec, exec, s[0:1]
	s_waitcnt vmcnt(0)
	s_barrier
	buffer_load_dword v112, off, s[24:27], 0 offset:64 ; 4-byte Folded Reload
	buffer_load_dword v113, off, s[24:27], 0 offset:68 ; 4-byte Folded Reload
	;; [unrolled: 1-line block ×4, first 2 shown]
	v_lshl_add_u32 v109, v108, 4, v106
	s_cmp_lt_i32 s3, 4
	s_waitcnt vmcnt(0)
	ds_write2_b64 v109, v[112:113], v[114:115] offset1:1
	s_waitcnt lgkmcnt(0)
	s_barrier
	ds_read2_b64 v[121:124], v106 offset0:4 offset1:5
	v_mov_b32_e32 v109, 2
	s_cbranch_scc1 .LBB64_44
; %bb.42:
	v_add3_u32 v110, v111, 0, 48
	s_mov_b32 s0, 3
	v_mov_b32_e32 v109, 2
.LBB64_43:                              ; =>This Inner Loop Header: Depth=1
	s_waitcnt lgkmcnt(0)
	v_cmp_gt_f64_e32 vcc, 0, v[121:122]
	v_xor_b32_e32 v116, 0x80000000, v122
	ds_read2_b64 v[112:115], v110 offset1:1
	v_xor_b32_e32 v118, 0x80000000, v124
	v_add_u32_e32 v110, 16, v110
	s_waitcnt lgkmcnt(0)
	v_xor_b32_e32 v120, 0x80000000, v115
	v_cndmask_b32_e32 v117, v122, v116, vcc
	v_cmp_gt_f64_e32 vcc, 0, v[123:124]
	v_mov_b32_e32 v116, v121
	v_mov_b32_e32 v125, v114
	v_cndmask_b32_e32 v119, v124, v118, vcc
	v_cmp_gt_f64_e32 vcc, 0, v[112:113]
	v_mov_b32_e32 v118, v123
	v_add_f64 v[116:117], v[116:117], v[118:119]
	v_xor_b32_e32 v118, 0x80000000, v113
	v_cndmask_b32_e32 v119, v113, v118, vcc
	v_cmp_gt_f64_e32 vcc, 0, v[114:115]
	v_mov_b32_e32 v118, v112
	v_cndmask_b32_e32 v126, v115, v120, vcc
	v_add_f64 v[118:119], v[118:119], v[125:126]
	v_cmp_lt_f64_e32 vcc, v[116:117], v[118:119]
	v_cndmask_b32_e32 v121, v121, v112, vcc
	v_mov_b32_e32 v112, s0
	s_add_i32 s0, s0, 1
	v_cndmask_b32_e32 v122, v122, v113, vcc
	v_cndmask_b32_e32 v124, v124, v115, vcc
	v_cndmask_b32_e32 v123, v123, v114, vcc
	v_cndmask_b32_e32 v109, v109, v112, vcc
	s_cmp_lg_u32 s3, s0
	s_cbranch_scc1 .LBB64_43
.LBB64_44:
	s_waitcnt lgkmcnt(0)
	v_cmp_eq_f64_e32 vcc, 0, v[121:122]
	v_cmp_eq_f64_e64 s[0:1], 0, v[123:124]
	s_and_b64 s[0:1], vcc, s[0:1]
	s_and_saveexec_b64 s[18:19], s[0:1]
	s_xor_b64 s[0:1], exec, s[18:19]
; %bb.45:
	v_cmp_ne_u32_e32 vcc, 0, v107
	v_cndmask_b32_e32 v107, 3, v107, vcc
; %bb.46:
	s_andn2_saveexec_b64 s[0:1], s[0:1]
	s_cbranch_execz .LBB64_52
; %bb.47:
	v_cmp_ngt_f64_e64 s[18:19], |v[121:122]|, |v[123:124]|
	s_and_saveexec_b64 s[20:21], s[18:19]
	s_xor_b64 s[18:19], exec, s[20:21]
	s_cbranch_execz .LBB64_49
; %bb.48:
	v_div_scale_f64 v[112:113], s[20:21], v[123:124], v[123:124], v[121:122]
	v_rcp_f64_e32 v[114:115], v[112:113]
	v_fma_f64 v[116:117], -v[112:113], v[114:115], 1.0
	v_fma_f64 v[114:115], v[114:115], v[116:117], v[114:115]
	v_div_scale_f64 v[116:117], vcc, v[121:122], v[123:124], v[121:122]
	v_fma_f64 v[118:119], -v[112:113], v[114:115], 1.0
	v_fma_f64 v[114:115], v[114:115], v[118:119], v[114:115]
	v_mul_f64 v[118:119], v[116:117], v[114:115]
	v_fma_f64 v[112:113], -v[112:113], v[118:119], v[116:117]
	v_div_fmas_f64 v[112:113], v[112:113], v[114:115], v[118:119]
	v_div_fixup_f64 v[112:113], v[112:113], v[123:124], v[121:122]
	v_fma_f64 v[114:115], v[121:122], v[112:113], v[123:124]
	v_div_scale_f64 v[116:117], s[20:21], v[114:115], v[114:115], 1.0
	v_div_scale_f64 v[122:123], vcc, 1.0, v[114:115], 1.0
	v_rcp_f64_e32 v[118:119], v[116:117]
	v_fma_f64 v[120:121], -v[116:117], v[118:119], 1.0
	v_fma_f64 v[118:119], v[118:119], v[120:121], v[118:119]
	v_fma_f64 v[120:121], -v[116:117], v[118:119], 1.0
	v_fma_f64 v[118:119], v[118:119], v[120:121], v[118:119]
	v_mul_f64 v[120:121], v[122:123], v[118:119]
	v_fma_f64 v[116:117], -v[116:117], v[120:121], v[122:123]
	v_div_fmas_f64 v[116:117], v[116:117], v[118:119], v[120:121]
	v_div_fixup_f64 v[123:124], v[116:117], v[114:115], 1.0
	v_mul_f64 v[121:122], v[112:113], v[123:124]
	v_xor_b32_e32 v124, 0x80000000, v124
.LBB64_49:
	s_andn2_saveexec_b64 s[18:19], s[18:19]
	s_cbranch_execz .LBB64_51
; %bb.50:
	v_div_scale_f64 v[112:113], s[20:21], v[121:122], v[121:122], v[123:124]
	v_rcp_f64_e32 v[114:115], v[112:113]
	v_fma_f64 v[116:117], -v[112:113], v[114:115], 1.0
	v_fma_f64 v[114:115], v[114:115], v[116:117], v[114:115]
	v_div_scale_f64 v[116:117], vcc, v[123:124], v[121:122], v[123:124]
	v_fma_f64 v[118:119], -v[112:113], v[114:115], 1.0
	v_fma_f64 v[114:115], v[114:115], v[118:119], v[114:115]
	v_mul_f64 v[118:119], v[116:117], v[114:115]
	v_fma_f64 v[112:113], -v[112:113], v[118:119], v[116:117]
	v_div_fmas_f64 v[112:113], v[112:113], v[114:115], v[118:119]
	v_div_fixup_f64 v[112:113], v[112:113], v[121:122], v[123:124]
	v_fma_f64 v[114:115], v[123:124], v[112:113], v[121:122]
	v_div_scale_f64 v[116:117], s[20:21], v[114:115], v[114:115], 1.0
	v_div_scale_f64 v[122:123], vcc, 1.0, v[114:115], 1.0
	v_rcp_f64_e32 v[118:119], v[116:117]
	v_fma_f64 v[120:121], -v[116:117], v[118:119], 1.0
	v_fma_f64 v[118:119], v[118:119], v[120:121], v[118:119]
	v_fma_f64 v[120:121], -v[116:117], v[118:119], 1.0
	v_fma_f64 v[118:119], v[118:119], v[120:121], v[118:119]
	v_mul_f64 v[120:121], v[122:123], v[118:119]
	v_fma_f64 v[116:117], -v[116:117], v[120:121], v[122:123]
	v_div_fmas_f64 v[116:117], v[116:117], v[118:119], v[120:121]
	v_div_fixup_f64 v[121:122], v[116:117], v[114:115], 1.0
	v_mul_f64 v[123:124], v[112:113], -v[121:122]
.LBB64_51:
	s_or_b64 exec, exec, s[18:19]
.LBB64_52:
	s_or_b64 exec, exec, s[0:1]
	v_cmp_ne_u32_e32 vcc, v108, v109
	s_and_saveexec_b64 s[0:1], vcc
	s_xor_b64 s[0:1], exec, s[0:1]
	s_cbranch_execz .LBB64_58
; %bb.53:
	v_cmp_eq_u32_e32 vcc, 2, v108
	s_and_saveexec_b64 s[18:19], vcc
	s_cbranch_execz .LBB64_57
; %bb.54:
	v_cmp_ne_u32_e32 vcc, 2, v109
	s_xor_b64 s[20:21], s[6:7], -1
	s_and_b64 s[22:23], s[20:21], vcc
	s_and_saveexec_b64 s[20:21], s[22:23]
	s_cbranch_execz .LBB64_56
; %bb.55:
	buffer_load_dword v114, off, s[24:27], 0 offset:80 ; 4-byte Folded Reload
	buffer_load_dword v115, off, s[24:27], 0 offset:84 ; 4-byte Folded Reload
	v_ashrrev_i32_e32 v110, 31, v109
	v_lshlrev_b64 v[112:113], 2, v[109:110]
	s_waitcnt vmcnt(1)
	v_add_co_u32_e32 v112, vcc, v114, v112
	s_waitcnt vmcnt(0)
	v_addc_co_u32_e32 v113, vcc, v115, v113, vcc
	global_load_dword v0, v[112:113], off
	global_load_dword v108, v[114:115], off offset:8
	s_waitcnt vmcnt(1)
	global_store_dword v[114:115], v0, off offset:8
	s_waitcnt vmcnt(1)
	global_store_dword v[112:113], v108, off
.LBB64_56:
	s_or_b64 exec, exec, s[20:21]
	v_mov_b32_e32 v108, v109
	v_mov_b32_e32 v0, v109
.LBB64_57:
	s_or_b64 exec, exec, s[18:19]
.LBB64_58:
	s_andn2_saveexec_b64 s[0:1], s[0:1]
	s_cbranch_execz .LBB64_60
; %bb.59:
	buffer_load_dword v112, off, s[24:27], 0 offset:48 ; 4-byte Folded Reload
	buffer_load_dword v113, off, s[24:27], 0 offset:52 ; 4-byte Folded Reload
	;; [unrolled: 1-line block ×4, first 2 shown]
	v_mov_b32_e32 v108, 2
	s_waitcnt vmcnt(0)
	ds_write2_b64 v106, v[112:113], v[114:115] offset0:6 offset1:7
	buffer_load_dword v112, off, s[24:27], 0 offset:32 ; 4-byte Folded Reload
	buffer_load_dword v113, off, s[24:27], 0 offset:36 ; 4-byte Folded Reload
	;; [unrolled: 1-line block ×4, first 2 shown]
	s_waitcnt vmcnt(0)
	ds_write2_b64 v106, v[112:113], v[114:115] offset0:8 offset1:9
	buffer_load_dword v112, off, s[24:27], 0 offset:16 ; 4-byte Folded Reload
	buffer_load_dword v113, off, s[24:27], 0 offset:20 ; 4-byte Folded Reload
	;; [unrolled: 1-line block ×4, first 2 shown]
	s_waitcnt vmcnt(0)
	ds_write2_b64 v106, v[112:113], v[114:115] offset0:10 offset1:11
	buffer_load_dword v112, off, s[24:27], 0 ; 4-byte Folded Reload
	buffer_load_dword v113, off, s[24:27], 0 offset:4 ; 4-byte Folded Reload
	buffer_load_dword v114, off, s[24:27], 0 offset:8 ; 4-byte Folded Reload
	buffer_load_dword v115, off, s[24:27], 0 offset:12 ; 4-byte Folded Reload
	s_waitcnt vmcnt(0)
	ds_write2_b64 v106, v[112:113], v[114:115] offset0:12 offset1:13
	ds_write2_b64 v106, v[101:102], v[103:104] offset0:14 offset1:15
	;; [unrolled: 1-line block ×27, first 2 shown]
.LBB64_60:
	s_or_b64 exec, exec, s[0:1]
	v_cmp_lt_i32_e32 vcc, 2, v108
	s_waitcnt vmcnt(0) lgkmcnt(0)
	s_barrier
	s_and_saveexec_b64 s[0:1], vcc
	s_cbranch_execz .LBB64_62
; %bb.61:
	buffer_load_dword v116, off, s[24:27], 0 offset:64 ; 4-byte Folded Reload
	buffer_load_dword v117, off, s[24:27], 0 offset:68 ; 4-byte Folded Reload
	;; [unrolled: 1-line block ×4, first 2 shown]
	ds_read2_b64 v[112:115], v106 offset0:6 offset1:7
	s_waitcnt vmcnt(0)
	v_mul_f64 v[109:110], v[123:124], v[118:119]
	v_fma_f64 v[125:126], v[121:122], v[116:117], -v[109:110]
	v_mul_f64 v[109:110], v[121:122], v[118:119]
	v_fma_f64 v[118:119], v[123:124], v[116:117], v[109:110]
	s_waitcnt lgkmcnt(0)
	v_mul_f64 v[109:110], v[114:115], v[118:119]
	v_fma_f64 v[109:110], v[112:113], v[125:126], -v[109:110]
	v_mul_f64 v[112:113], v[112:113], v[118:119]
	v_fma_f64 v[112:113], v[114:115], v[125:126], v[112:113]
	buffer_load_dword v114, off, s[24:27], 0 offset:48 ; 4-byte Folded Reload
	buffer_load_dword v115, off, s[24:27], 0 offset:52 ; 4-byte Folded Reload
	buffer_load_dword v116, off, s[24:27], 0 offset:56 ; 4-byte Folded Reload
	buffer_load_dword v117, off, s[24:27], 0 offset:60 ; 4-byte Folded Reload
	s_waitcnt vmcnt(2)
	v_add_f64 v[114:115], v[114:115], -v[109:110]
	s_waitcnt vmcnt(0)
	v_add_f64 v[116:117], v[116:117], -v[112:113]
	buffer_store_dword v114, off, s[24:27], 0 offset:48 ; 4-byte Folded Spill
	s_nop 0
	buffer_store_dword v115, off, s[24:27], 0 offset:52 ; 4-byte Folded Spill
	buffer_store_dword v116, off, s[24:27], 0 offset:56 ; 4-byte Folded Spill
	buffer_store_dword v117, off, s[24:27], 0 offset:60 ; 4-byte Folded Spill
	ds_read2_b64 v[112:115], v106 offset0:8 offset1:9
	s_waitcnt lgkmcnt(0)
	v_mul_f64 v[109:110], v[114:115], v[118:119]
	v_fma_f64 v[109:110], v[112:113], v[125:126], -v[109:110]
	v_mul_f64 v[112:113], v[112:113], v[118:119]
	v_fma_f64 v[112:113], v[114:115], v[125:126], v[112:113]
	buffer_load_dword v114, off, s[24:27], 0 offset:32 ; 4-byte Folded Reload
	buffer_load_dword v115, off, s[24:27], 0 offset:36 ; 4-byte Folded Reload
	buffer_load_dword v116, off, s[24:27], 0 offset:40 ; 4-byte Folded Reload
	buffer_load_dword v117, off, s[24:27], 0 offset:44 ; 4-byte Folded Reload
	s_waitcnt vmcnt(2)
	v_add_f64 v[114:115], v[114:115], -v[109:110]
	s_waitcnt vmcnt(0)
	v_add_f64 v[116:117], v[116:117], -v[112:113]
	buffer_store_dword v114, off, s[24:27], 0 offset:32 ; 4-byte Folded Spill
	s_nop 0
	buffer_store_dword v115, off, s[24:27], 0 offset:36 ; 4-byte Folded Spill
	buffer_store_dword v116, off, s[24:27], 0 offset:40 ; 4-byte Folded Spill
	buffer_store_dword v117, off, s[24:27], 0 offset:44 ; 4-byte Folded Spill
	ds_read2_b64 v[112:115], v106 offset0:10 offset1:11
	;; [unrolled: 19-line block ×3, first 2 shown]
	s_waitcnt lgkmcnt(0)
	v_mul_f64 v[109:110], v[114:115], v[118:119]
	v_fma_f64 v[109:110], v[112:113], v[125:126], -v[109:110]
	v_mul_f64 v[112:113], v[112:113], v[118:119]
	v_fma_f64 v[112:113], v[114:115], v[125:126], v[112:113]
	buffer_load_dword v114, off, s[24:27], 0 ; 4-byte Folded Reload
	buffer_load_dword v115, off, s[24:27], 0 offset:4 ; 4-byte Folded Reload
	buffer_load_dword v116, off, s[24:27], 0 offset:8 ; 4-byte Folded Reload
	;; [unrolled: 1-line block ×3, first 2 shown]
	s_waitcnt vmcnt(2)
	v_add_f64 v[114:115], v[114:115], -v[109:110]
	s_waitcnt vmcnt(0)
	v_add_f64 v[116:117], v[116:117], -v[112:113]
	buffer_store_dword v114, off, s[24:27], 0 ; 4-byte Folded Spill
	s_nop 0
	buffer_store_dword v115, off, s[24:27], 0 offset:4 ; 4-byte Folded Spill
	buffer_store_dword v116, off, s[24:27], 0 offset:8 ; 4-byte Folded Spill
	;; [unrolled: 1-line block ×3, first 2 shown]
	ds_read2_b64 v[112:115], v106 offset0:14 offset1:15
	v_mov_b32_e32 v116, v125
	v_mov_b32_e32 v117, v126
	s_waitcnt lgkmcnt(0)
	v_mul_f64 v[109:110], v[114:115], v[118:119]
	v_fma_f64 v[109:110], v[112:113], v[125:126], -v[109:110]
	v_mul_f64 v[112:113], v[112:113], v[118:119]
	v_add_f64 v[101:102], v[101:102], -v[109:110]
	v_fma_f64 v[112:113], v[114:115], v[125:126], v[112:113]
	v_add_f64 v[103:104], v[103:104], -v[112:113]
	ds_read2_b64 v[112:115], v106 offset0:16 offset1:17
	s_waitcnt lgkmcnt(0)
	v_mul_f64 v[109:110], v[114:115], v[118:119]
	v_fma_f64 v[109:110], v[112:113], v[125:126], -v[109:110]
	v_mul_f64 v[112:113], v[112:113], v[118:119]
	v_add_f64 v[97:98], v[97:98], -v[109:110]
	v_fma_f64 v[112:113], v[114:115], v[125:126], v[112:113]
	v_add_f64 v[99:100], v[99:100], -v[112:113]
	ds_read2_b64 v[112:115], v106 offset0:18 offset1:19
	;; [unrolled: 8-line block ×25, first 2 shown]
	s_waitcnt lgkmcnt(0)
	v_mul_f64 v[109:110], v[114:115], v[118:119]
	v_fma_f64 v[109:110], v[112:113], v[125:126], -v[109:110]
	v_mul_f64 v[112:113], v[112:113], v[118:119]
	buffer_store_dword v116, off, s[24:27], 0 offset:64 ; 4-byte Folded Spill
	s_nop 0
	buffer_store_dword v117, off, s[24:27], 0 offset:68 ; 4-byte Folded Spill
	buffer_store_dword v118, off, s[24:27], 0 offset:72 ; 4-byte Folded Spill
	;; [unrolled: 1-line block ×3, first 2 shown]
	v_add_f64 v[89:90], v[89:90], -v[109:110]
	v_fma_f64 v[112:113], v[114:115], v[125:126], v[112:113]
	v_add_f64 v[91:92], v[91:92], -v[112:113]
.LBB64_62:
	s_or_b64 exec, exec, s[0:1]
	s_waitcnt vmcnt(0)
	s_barrier
	buffer_load_dword v112, off, s[24:27], 0 offset:48 ; 4-byte Folded Reload
	buffer_load_dword v113, off, s[24:27], 0 offset:52 ; 4-byte Folded Reload
	;; [unrolled: 1-line block ×4, first 2 shown]
	v_lshl_add_u32 v109, v108, 4, v106
	s_mov_b32 s0, 4
	s_cmp_lt_i32 s3, 5
	s_waitcnt vmcnt(0)
	ds_write2_b64 v109, v[112:113], v[114:115] offset1:1
	s_waitcnt lgkmcnt(0)
	s_barrier
	ds_read2_b64 v[121:124], v106 offset0:6 offset1:7
	v_mov_b32_e32 v109, 3
	s_cbranch_scc1 .LBB64_65
; %bb.63:
	v_add3_u32 v110, v111, 0, 64
	v_mov_b32_e32 v109, 3
.LBB64_64:                              ; =>This Inner Loop Header: Depth=1
	s_waitcnt lgkmcnt(0)
	v_cmp_gt_f64_e32 vcc, 0, v[121:122]
	v_xor_b32_e32 v115, 0x80000000, v122
	ds_read2_b64 v[111:114], v110 offset1:1
	v_xor_b32_e32 v117, 0x80000000, v124
	v_add_u32_e32 v110, 16, v110
	s_waitcnt lgkmcnt(0)
	v_xor_b32_e32 v119, 0x80000000, v114
	v_cndmask_b32_e32 v116, v122, v115, vcc
	v_cmp_gt_f64_e32 vcc, 0, v[123:124]
	v_mov_b32_e32 v115, v121
	v_cndmask_b32_e32 v118, v124, v117, vcc
	v_cmp_gt_f64_e32 vcc, 0, v[111:112]
	v_mov_b32_e32 v117, v123
	v_add_f64 v[115:116], v[115:116], v[117:118]
	v_xor_b32_e32 v117, 0x80000000, v112
	v_cndmask_b32_e32 v118, v112, v117, vcc
	v_cmp_gt_f64_e32 vcc, 0, v[113:114]
	v_mov_b32_e32 v117, v111
	v_cndmask_b32_e32 v120, v114, v119, vcc
	v_mov_b32_e32 v119, v113
	v_add_f64 v[117:118], v[117:118], v[119:120]
	v_cmp_lt_f64_e32 vcc, v[115:116], v[117:118]
	v_cndmask_b32_e32 v121, v121, v111, vcc
	v_mov_b32_e32 v111, s0
	s_add_i32 s0, s0, 1
	v_cndmask_b32_e32 v122, v122, v112, vcc
	v_cndmask_b32_e32 v124, v124, v114, vcc
	v_cndmask_b32_e32 v123, v123, v113, vcc
	v_cndmask_b32_e32 v109, v109, v111, vcc
	s_cmp_lg_u32 s3, s0
	s_cbranch_scc1 .LBB64_64
.LBB64_65:
	s_waitcnt lgkmcnt(0)
	v_cmp_eq_f64_e32 vcc, 0, v[121:122]
	v_cmp_eq_f64_e64 s[0:1], 0, v[123:124]
	s_and_b64 s[0:1], vcc, s[0:1]
	s_and_saveexec_b64 s[18:19], s[0:1]
	s_xor_b64 s[0:1], exec, s[18:19]
; %bb.66:
	v_cmp_ne_u32_e32 vcc, 0, v107
	v_cndmask_b32_e32 v107, 4, v107, vcc
; %bb.67:
	s_andn2_saveexec_b64 s[0:1], s[0:1]
	s_cbranch_execz .LBB64_73
; %bb.68:
	v_cmp_ngt_f64_e64 s[18:19], |v[121:122]|, |v[123:124]|
	s_and_saveexec_b64 s[20:21], s[18:19]
	s_xor_b64 s[18:19], exec, s[20:21]
	s_cbranch_execz .LBB64_70
; %bb.69:
	v_div_scale_f64 v[110:111], s[20:21], v[123:124], v[123:124], v[121:122]
	v_rcp_f64_e32 v[112:113], v[110:111]
	v_fma_f64 v[114:115], -v[110:111], v[112:113], 1.0
	v_fma_f64 v[112:113], v[112:113], v[114:115], v[112:113]
	v_div_scale_f64 v[114:115], vcc, v[121:122], v[123:124], v[121:122]
	v_fma_f64 v[116:117], -v[110:111], v[112:113], 1.0
	v_fma_f64 v[112:113], v[112:113], v[116:117], v[112:113]
	v_mul_f64 v[116:117], v[114:115], v[112:113]
	v_fma_f64 v[110:111], -v[110:111], v[116:117], v[114:115]
	v_div_fmas_f64 v[110:111], v[110:111], v[112:113], v[116:117]
	v_div_fixup_f64 v[110:111], v[110:111], v[123:124], v[121:122]
	v_fma_f64 v[112:113], v[121:122], v[110:111], v[123:124]
	v_div_scale_f64 v[114:115], s[20:21], v[112:113], v[112:113], 1.0
	v_div_scale_f64 v[120:121], vcc, 1.0, v[112:113], 1.0
	v_rcp_f64_e32 v[116:117], v[114:115]
	v_fma_f64 v[118:119], -v[114:115], v[116:117], 1.0
	v_fma_f64 v[116:117], v[116:117], v[118:119], v[116:117]
	v_fma_f64 v[118:119], -v[114:115], v[116:117], 1.0
	v_fma_f64 v[116:117], v[116:117], v[118:119], v[116:117]
	v_mul_f64 v[118:119], v[120:121], v[116:117]
	v_fma_f64 v[114:115], -v[114:115], v[118:119], v[120:121]
	v_div_fmas_f64 v[114:115], v[114:115], v[116:117], v[118:119]
	v_div_fixup_f64 v[123:124], v[114:115], v[112:113], 1.0
	v_mul_f64 v[121:122], v[110:111], v[123:124]
	v_xor_b32_e32 v124, 0x80000000, v124
.LBB64_70:
	s_andn2_saveexec_b64 s[18:19], s[18:19]
	s_cbranch_execz .LBB64_72
; %bb.71:
	v_div_scale_f64 v[110:111], s[20:21], v[121:122], v[121:122], v[123:124]
	v_rcp_f64_e32 v[112:113], v[110:111]
	v_fma_f64 v[114:115], -v[110:111], v[112:113], 1.0
	v_fma_f64 v[112:113], v[112:113], v[114:115], v[112:113]
	v_div_scale_f64 v[114:115], vcc, v[123:124], v[121:122], v[123:124]
	v_fma_f64 v[116:117], -v[110:111], v[112:113], 1.0
	v_fma_f64 v[112:113], v[112:113], v[116:117], v[112:113]
	v_mul_f64 v[116:117], v[114:115], v[112:113]
	v_fma_f64 v[110:111], -v[110:111], v[116:117], v[114:115]
	v_div_fmas_f64 v[110:111], v[110:111], v[112:113], v[116:117]
	v_div_fixup_f64 v[110:111], v[110:111], v[121:122], v[123:124]
	v_fma_f64 v[112:113], v[123:124], v[110:111], v[121:122]
	v_div_scale_f64 v[114:115], s[20:21], v[112:113], v[112:113], 1.0
	v_div_scale_f64 v[120:121], vcc, 1.0, v[112:113], 1.0
	v_rcp_f64_e32 v[116:117], v[114:115]
	v_fma_f64 v[118:119], -v[114:115], v[116:117], 1.0
	v_fma_f64 v[116:117], v[116:117], v[118:119], v[116:117]
	v_fma_f64 v[118:119], -v[114:115], v[116:117], 1.0
	v_fma_f64 v[116:117], v[116:117], v[118:119], v[116:117]
	v_mul_f64 v[118:119], v[120:121], v[116:117]
	v_fma_f64 v[114:115], -v[114:115], v[118:119], v[120:121]
	v_div_fmas_f64 v[114:115], v[114:115], v[116:117], v[118:119]
	v_div_fixup_f64 v[121:122], v[114:115], v[112:113], 1.0
	v_mul_f64 v[123:124], v[110:111], -v[121:122]
.LBB64_72:
	s_or_b64 exec, exec, s[18:19]
.LBB64_73:
	s_or_b64 exec, exec, s[0:1]
	v_cmp_ne_u32_e32 vcc, v108, v109
	s_and_saveexec_b64 s[0:1], vcc
	s_xor_b64 s[0:1], exec, s[0:1]
	s_cbranch_execz .LBB64_79
; %bb.74:
	v_cmp_eq_u32_e32 vcc, 3, v108
	s_and_saveexec_b64 s[18:19], vcc
	s_cbranch_execz .LBB64_78
; %bb.75:
	v_cmp_ne_u32_e32 vcc, 3, v109
	s_xor_b64 s[20:21], s[6:7], -1
	s_and_b64 s[22:23], s[20:21], vcc
	s_and_saveexec_b64 s[20:21], s[22:23]
	s_cbranch_execz .LBB64_77
; %bb.76:
	buffer_load_dword v112, off, s[24:27], 0 offset:80 ; 4-byte Folded Reload
	buffer_load_dword v113, off, s[24:27], 0 offset:84 ; 4-byte Folded Reload
	v_ashrrev_i32_e32 v110, 31, v109
	v_lshlrev_b64 v[110:111], 2, v[109:110]
	s_waitcnt vmcnt(1)
	v_add_co_u32_e32 v110, vcc, v112, v110
	s_waitcnt vmcnt(0)
	v_addc_co_u32_e32 v111, vcc, v113, v111, vcc
	global_load_dword v0, v[110:111], off
	global_load_dword v108, v[112:113], off offset:12
	s_waitcnt vmcnt(1)
	global_store_dword v[112:113], v0, off offset:12
	s_waitcnt vmcnt(1)
	global_store_dword v[110:111], v108, off
.LBB64_77:
	s_or_b64 exec, exec, s[20:21]
	v_mov_b32_e32 v108, v109
	v_mov_b32_e32 v0, v109
.LBB64_78:
	s_or_b64 exec, exec, s[18:19]
.LBB64_79:
	s_andn2_saveexec_b64 s[0:1], s[0:1]
	s_cbranch_execz .LBB64_81
; %bb.80:
	buffer_load_dword v108, off, s[24:27], 0 offset:32 ; 4-byte Folded Reload
	buffer_load_dword v109, off, s[24:27], 0 offset:36 ; 4-byte Folded Reload
	;; [unrolled: 1-line block ×4, first 2 shown]
	s_waitcnt vmcnt(0)
	ds_write2_b64 v106, v[108:109], v[110:111] offset0:8 offset1:9
	buffer_load_dword v108, off, s[24:27], 0 offset:16 ; 4-byte Folded Reload
	buffer_load_dword v109, off, s[24:27], 0 offset:20 ; 4-byte Folded Reload
	;; [unrolled: 1-line block ×4, first 2 shown]
	s_waitcnt vmcnt(0)
	ds_write2_b64 v106, v[108:109], v[110:111] offset0:10 offset1:11
	buffer_load_dword v108, off, s[24:27], 0 ; 4-byte Folded Reload
	buffer_load_dword v109, off, s[24:27], 0 offset:4 ; 4-byte Folded Reload
	buffer_load_dword v110, off, s[24:27], 0 offset:8 ; 4-byte Folded Reload
	;; [unrolled: 1-line block ×3, first 2 shown]
	s_waitcnt vmcnt(0)
	ds_write2_b64 v106, v[108:109], v[110:111] offset0:12 offset1:13
	ds_write2_b64 v106, v[101:102], v[103:104] offset0:14 offset1:15
	;; [unrolled: 1-line block ×27, first 2 shown]
	v_mov_b32_e32 v108, 3
.LBB64_81:
	s_or_b64 exec, exec, s[0:1]
	v_cmp_lt_i32_e32 vcc, 3, v108
	s_waitcnt vmcnt(0) lgkmcnt(0)
	s_barrier
	s_and_saveexec_b64 s[0:1], vcc
	s_cbranch_execz .LBB64_83
; %bb.82:
	buffer_load_dword v117, off, s[24:27], 0 offset:48 ; 4-byte Folded Reload
	buffer_load_dword v118, off, s[24:27], 0 offset:52 ; 4-byte Folded Reload
	;; [unrolled: 1-line block ×4, first 2 shown]
	s_waitcnt vmcnt(0)
	v_mul_f64 v[109:110], v[123:124], v[119:120]
	v_fma_f64 v[125:126], v[121:122], v[117:118], -v[109:110]
	v_mul_f64 v[109:110], v[121:122], v[119:120]
	v_fma_f64 v[119:120], v[123:124], v[117:118], v[109:110]
	ds_read2_b64 v[109:112], v106 offset0:8 offset1:9
	buffer_load_dword v115, off, s[24:27], 0 offset:32 ; 4-byte Folded Reload
	buffer_load_dword v116, off, s[24:27], 0 offset:36 ; 4-byte Folded Reload
	buffer_load_dword v117, off, s[24:27], 0 offset:40 ; 4-byte Folded Reload
	buffer_load_dword v118, off, s[24:27], 0 offset:44 ; 4-byte Folded Reload
	s_waitcnt lgkmcnt(0)
	v_mul_f64 v[113:114], v[111:112], v[119:120]
	v_fma_f64 v[113:114], v[109:110], v[125:126], -v[113:114]
	v_mul_f64 v[109:110], v[109:110], v[119:120]
	v_fma_f64 v[109:110], v[111:112], v[125:126], v[109:110]
	s_waitcnt vmcnt(2)
	v_add_f64 v[115:116], v[115:116], -v[113:114]
	s_waitcnt vmcnt(0)
	v_add_f64 v[117:118], v[117:118], -v[109:110]
	buffer_store_dword v115, off, s[24:27], 0 offset:32 ; 4-byte Folded Spill
	s_nop 0
	buffer_store_dword v116, off, s[24:27], 0 offset:36 ; 4-byte Folded Spill
	buffer_store_dword v117, off, s[24:27], 0 offset:40 ; 4-byte Folded Spill
	;; [unrolled: 1-line block ×3, first 2 shown]
	ds_read2_b64 v[109:112], v106 offset0:10 offset1:11
	buffer_load_dword v115, off, s[24:27], 0 offset:16 ; 4-byte Folded Reload
	buffer_load_dword v116, off, s[24:27], 0 offset:20 ; 4-byte Folded Reload
	;; [unrolled: 1-line block ×4, first 2 shown]
	s_waitcnt lgkmcnt(0)
	v_mul_f64 v[113:114], v[111:112], v[119:120]
	v_fma_f64 v[113:114], v[109:110], v[125:126], -v[113:114]
	v_mul_f64 v[109:110], v[109:110], v[119:120]
	v_fma_f64 v[109:110], v[111:112], v[125:126], v[109:110]
	s_waitcnt vmcnt(2)
	v_add_f64 v[115:116], v[115:116], -v[113:114]
	s_waitcnt vmcnt(0)
	v_add_f64 v[117:118], v[117:118], -v[109:110]
	buffer_store_dword v115, off, s[24:27], 0 offset:16 ; 4-byte Folded Spill
	s_nop 0
	buffer_store_dword v116, off, s[24:27], 0 offset:20 ; 4-byte Folded Spill
	buffer_store_dword v117, off, s[24:27], 0 offset:24 ; 4-byte Folded Spill
	;; [unrolled: 1-line block ×3, first 2 shown]
	ds_read2_b64 v[109:112], v106 offset0:12 offset1:13
	buffer_load_dword v115, off, s[24:27], 0 ; 4-byte Folded Reload
	buffer_load_dword v116, off, s[24:27], 0 offset:4 ; 4-byte Folded Reload
	buffer_load_dword v117, off, s[24:27], 0 offset:8 ; 4-byte Folded Reload
	;; [unrolled: 1-line block ×3, first 2 shown]
	s_waitcnt lgkmcnt(0)
	v_mul_f64 v[113:114], v[111:112], v[119:120]
	v_fma_f64 v[113:114], v[109:110], v[125:126], -v[113:114]
	v_mul_f64 v[109:110], v[109:110], v[119:120]
	v_fma_f64 v[109:110], v[111:112], v[125:126], v[109:110]
	s_waitcnt vmcnt(2)
	v_add_f64 v[115:116], v[115:116], -v[113:114]
	s_waitcnt vmcnt(0)
	v_add_f64 v[117:118], v[117:118], -v[109:110]
	buffer_store_dword v115, off, s[24:27], 0 ; 4-byte Folded Spill
	s_nop 0
	buffer_store_dword v116, off, s[24:27], 0 offset:4 ; 4-byte Folded Spill
	buffer_store_dword v117, off, s[24:27], 0 offset:8 ; 4-byte Folded Spill
	;; [unrolled: 1-line block ×3, first 2 shown]
	ds_read2_b64 v[109:112], v106 offset0:14 offset1:15
	v_mov_b32_e32 v117, v125
	v_mov_b32_e32 v118, v126
	s_waitcnt lgkmcnt(0)
	v_mul_f64 v[113:114], v[111:112], v[119:120]
	v_fma_f64 v[113:114], v[109:110], v[125:126], -v[113:114]
	v_mul_f64 v[109:110], v[109:110], v[119:120]
	v_add_f64 v[101:102], v[101:102], -v[113:114]
	v_fma_f64 v[109:110], v[111:112], v[125:126], v[109:110]
	v_add_f64 v[103:104], v[103:104], -v[109:110]
	ds_read2_b64 v[109:112], v106 offset0:16 offset1:17
	s_waitcnt lgkmcnt(0)
	v_mul_f64 v[113:114], v[111:112], v[119:120]
	v_fma_f64 v[113:114], v[109:110], v[125:126], -v[113:114]
	v_mul_f64 v[109:110], v[109:110], v[119:120]
	v_add_f64 v[97:98], v[97:98], -v[113:114]
	v_fma_f64 v[109:110], v[111:112], v[125:126], v[109:110]
	v_add_f64 v[99:100], v[99:100], -v[109:110]
	ds_read2_b64 v[109:112], v106 offset0:18 offset1:19
	;; [unrolled: 8-line block ×25, first 2 shown]
	s_waitcnt lgkmcnt(0)
	v_mul_f64 v[113:114], v[111:112], v[119:120]
	v_fma_f64 v[113:114], v[109:110], v[125:126], -v[113:114]
	v_mul_f64 v[109:110], v[109:110], v[119:120]
	buffer_store_dword v117, off, s[24:27], 0 offset:48 ; 4-byte Folded Spill
	s_nop 0
	buffer_store_dword v118, off, s[24:27], 0 offset:52 ; 4-byte Folded Spill
	buffer_store_dword v119, off, s[24:27], 0 offset:56 ; 4-byte Folded Spill
	;; [unrolled: 1-line block ×3, first 2 shown]
	v_add_f64 v[89:90], v[89:90], -v[113:114]
	v_fma_f64 v[109:110], v[111:112], v[125:126], v[109:110]
	v_add_f64 v[91:92], v[91:92], -v[109:110]
.LBB64_83:
	s_or_b64 exec, exec, s[0:1]
	s_waitcnt vmcnt(0)
	s_barrier
	buffer_load_dword v110, off, s[24:27], 0 offset:32 ; 4-byte Folded Reload
	buffer_load_dword v111, off, s[24:27], 0 offset:36 ; 4-byte Folded Reload
	;; [unrolled: 1-line block ×4, first 2 shown]
	v_lshl_add_u32 v109, v108, 4, v106
	s_cmp_lt_i32 s3, 6
	s_waitcnt vmcnt(0)
	ds_write2_b64 v109, v[110:111], v[112:113] offset1:1
	s_waitcnt lgkmcnt(0)
	s_barrier
	ds_read2_b64 v[121:124], v106 offset0:8 offset1:9
	v_mov_b32_e32 v109, 4
	s_cbranch_scc1 .LBB64_86
; %bb.84:
	v_mov_b32_e32 v109, 4
	v_add_u32_e32 v110, 0x50, v106
	s_mov_b32 s0, 5
.LBB64_85:                              ; =>This Inner Loop Header: Depth=1
	s_waitcnt lgkmcnt(0)
	v_cmp_gt_f64_e32 vcc, 0, v[121:122]
	v_xor_b32_e32 v115, 0x80000000, v122
	ds_read2_b64 v[111:114], v110 offset1:1
	v_xor_b32_e32 v117, 0x80000000, v124
	v_add_u32_e32 v110, 16, v110
	s_waitcnt lgkmcnt(0)
	v_xor_b32_e32 v119, 0x80000000, v114
	v_cndmask_b32_e32 v116, v122, v115, vcc
	v_cmp_gt_f64_e32 vcc, 0, v[123:124]
	v_mov_b32_e32 v115, v121
	v_cndmask_b32_e32 v118, v124, v117, vcc
	v_cmp_gt_f64_e32 vcc, 0, v[111:112]
	v_mov_b32_e32 v117, v123
	v_add_f64 v[115:116], v[115:116], v[117:118]
	v_xor_b32_e32 v117, 0x80000000, v112
	v_cndmask_b32_e32 v118, v112, v117, vcc
	v_cmp_gt_f64_e32 vcc, 0, v[113:114]
	v_mov_b32_e32 v117, v111
	v_cndmask_b32_e32 v120, v114, v119, vcc
	v_mov_b32_e32 v119, v113
	v_add_f64 v[117:118], v[117:118], v[119:120]
	v_cmp_lt_f64_e32 vcc, v[115:116], v[117:118]
	v_cndmask_b32_e32 v121, v121, v111, vcc
	v_mov_b32_e32 v111, s0
	s_add_i32 s0, s0, 1
	v_cndmask_b32_e32 v122, v122, v112, vcc
	v_cndmask_b32_e32 v124, v124, v114, vcc
	;; [unrolled: 1-line block ×4, first 2 shown]
	s_cmp_lg_u32 s3, s0
	s_cbranch_scc1 .LBB64_85
.LBB64_86:
	s_waitcnt lgkmcnt(0)
	v_cmp_eq_f64_e32 vcc, 0, v[121:122]
	v_cmp_eq_f64_e64 s[0:1], 0, v[123:124]
	s_and_b64 s[0:1], vcc, s[0:1]
	s_and_saveexec_b64 s[18:19], s[0:1]
	s_xor_b64 s[0:1], exec, s[18:19]
; %bb.87:
	v_cmp_ne_u32_e32 vcc, 0, v107
	v_cndmask_b32_e32 v107, 5, v107, vcc
; %bb.88:
	s_andn2_saveexec_b64 s[0:1], s[0:1]
	s_cbranch_execz .LBB64_94
; %bb.89:
	v_cmp_ngt_f64_e64 s[18:19], |v[121:122]|, |v[123:124]|
	s_and_saveexec_b64 s[20:21], s[18:19]
	s_xor_b64 s[18:19], exec, s[20:21]
	s_cbranch_execz .LBB64_91
; %bb.90:
	v_div_scale_f64 v[110:111], s[20:21], v[123:124], v[123:124], v[121:122]
	v_rcp_f64_e32 v[112:113], v[110:111]
	v_fma_f64 v[114:115], -v[110:111], v[112:113], 1.0
	v_fma_f64 v[112:113], v[112:113], v[114:115], v[112:113]
	v_div_scale_f64 v[114:115], vcc, v[121:122], v[123:124], v[121:122]
	v_fma_f64 v[116:117], -v[110:111], v[112:113], 1.0
	v_fma_f64 v[112:113], v[112:113], v[116:117], v[112:113]
	v_mul_f64 v[116:117], v[114:115], v[112:113]
	v_fma_f64 v[110:111], -v[110:111], v[116:117], v[114:115]
	v_div_fmas_f64 v[110:111], v[110:111], v[112:113], v[116:117]
	v_div_fixup_f64 v[110:111], v[110:111], v[123:124], v[121:122]
	v_fma_f64 v[112:113], v[121:122], v[110:111], v[123:124]
	v_div_scale_f64 v[114:115], s[20:21], v[112:113], v[112:113], 1.0
	v_div_scale_f64 v[120:121], vcc, 1.0, v[112:113], 1.0
	v_rcp_f64_e32 v[116:117], v[114:115]
	v_fma_f64 v[118:119], -v[114:115], v[116:117], 1.0
	v_fma_f64 v[116:117], v[116:117], v[118:119], v[116:117]
	v_fma_f64 v[118:119], -v[114:115], v[116:117], 1.0
	v_fma_f64 v[116:117], v[116:117], v[118:119], v[116:117]
	v_mul_f64 v[118:119], v[120:121], v[116:117]
	v_fma_f64 v[114:115], -v[114:115], v[118:119], v[120:121]
	v_div_fmas_f64 v[114:115], v[114:115], v[116:117], v[118:119]
	v_div_fixup_f64 v[123:124], v[114:115], v[112:113], 1.0
	v_mul_f64 v[121:122], v[110:111], v[123:124]
	v_xor_b32_e32 v124, 0x80000000, v124
.LBB64_91:
	s_andn2_saveexec_b64 s[18:19], s[18:19]
	s_cbranch_execz .LBB64_93
; %bb.92:
	v_div_scale_f64 v[110:111], s[20:21], v[121:122], v[121:122], v[123:124]
	v_rcp_f64_e32 v[112:113], v[110:111]
	v_fma_f64 v[114:115], -v[110:111], v[112:113], 1.0
	v_fma_f64 v[112:113], v[112:113], v[114:115], v[112:113]
	v_div_scale_f64 v[114:115], vcc, v[123:124], v[121:122], v[123:124]
	v_fma_f64 v[116:117], -v[110:111], v[112:113], 1.0
	v_fma_f64 v[112:113], v[112:113], v[116:117], v[112:113]
	v_mul_f64 v[116:117], v[114:115], v[112:113]
	v_fma_f64 v[110:111], -v[110:111], v[116:117], v[114:115]
	v_div_fmas_f64 v[110:111], v[110:111], v[112:113], v[116:117]
	v_div_fixup_f64 v[110:111], v[110:111], v[121:122], v[123:124]
	v_fma_f64 v[112:113], v[123:124], v[110:111], v[121:122]
	v_div_scale_f64 v[114:115], s[20:21], v[112:113], v[112:113], 1.0
	v_div_scale_f64 v[120:121], vcc, 1.0, v[112:113], 1.0
	v_rcp_f64_e32 v[116:117], v[114:115]
	v_fma_f64 v[118:119], -v[114:115], v[116:117], 1.0
	v_fma_f64 v[116:117], v[116:117], v[118:119], v[116:117]
	v_fma_f64 v[118:119], -v[114:115], v[116:117], 1.0
	v_fma_f64 v[116:117], v[116:117], v[118:119], v[116:117]
	v_mul_f64 v[118:119], v[120:121], v[116:117]
	v_fma_f64 v[114:115], -v[114:115], v[118:119], v[120:121]
	v_div_fmas_f64 v[114:115], v[114:115], v[116:117], v[118:119]
	v_div_fixup_f64 v[121:122], v[114:115], v[112:113], 1.0
	v_mul_f64 v[123:124], v[110:111], -v[121:122]
.LBB64_93:
	s_or_b64 exec, exec, s[18:19]
.LBB64_94:
	s_or_b64 exec, exec, s[0:1]
	v_cmp_ne_u32_e32 vcc, v108, v109
	s_and_saveexec_b64 s[0:1], vcc
	s_xor_b64 s[0:1], exec, s[0:1]
	s_cbranch_execz .LBB64_100
; %bb.95:
	v_cmp_eq_u32_e32 vcc, 4, v108
	s_and_saveexec_b64 s[18:19], vcc
	s_cbranch_execz .LBB64_99
; %bb.96:
	v_cmp_ne_u32_e32 vcc, 4, v109
	s_xor_b64 s[20:21], s[6:7], -1
	s_and_b64 s[22:23], s[20:21], vcc
	s_and_saveexec_b64 s[20:21], s[22:23]
	s_cbranch_execz .LBB64_98
; %bb.97:
	buffer_load_dword v112, off, s[24:27], 0 offset:80 ; 4-byte Folded Reload
	buffer_load_dword v113, off, s[24:27], 0 offset:84 ; 4-byte Folded Reload
	v_ashrrev_i32_e32 v110, 31, v109
	v_lshlrev_b64 v[110:111], 2, v[109:110]
	s_waitcnt vmcnt(1)
	v_add_co_u32_e32 v110, vcc, v112, v110
	s_waitcnt vmcnt(0)
	v_addc_co_u32_e32 v111, vcc, v113, v111, vcc
	global_load_dword v0, v[110:111], off
	global_load_dword v108, v[112:113], off offset:16
	s_waitcnt vmcnt(1)
	global_store_dword v[112:113], v0, off offset:16
	s_waitcnt vmcnt(1)
	global_store_dword v[110:111], v108, off
.LBB64_98:
	s_or_b64 exec, exec, s[20:21]
	v_mov_b32_e32 v108, v109
	v_mov_b32_e32 v0, v109
.LBB64_99:
	s_or_b64 exec, exec, s[18:19]
.LBB64_100:
	s_andn2_saveexec_b64 s[0:1], s[0:1]
	s_cbranch_execz .LBB64_102
; %bb.101:
	buffer_load_dword v108, off, s[24:27], 0 offset:16 ; 4-byte Folded Reload
	buffer_load_dword v109, off, s[24:27], 0 offset:20 ; 4-byte Folded Reload
	;; [unrolled: 1-line block ×4, first 2 shown]
	s_waitcnt vmcnt(0)
	ds_write2_b64 v106, v[108:109], v[110:111] offset0:10 offset1:11
	buffer_load_dword v108, off, s[24:27], 0 ; 4-byte Folded Reload
	buffer_load_dword v109, off, s[24:27], 0 offset:4 ; 4-byte Folded Reload
	buffer_load_dword v110, off, s[24:27], 0 offset:8 ; 4-byte Folded Reload
	;; [unrolled: 1-line block ×3, first 2 shown]
	s_waitcnt vmcnt(0)
	ds_write2_b64 v106, v[108:109], v[110:111] offset0:12 offset1:13
	ds_write2_b64 v106, v[101:102], v[103:104] offset0:14 offset1:15
	;; [unrolled: 1-line block ×27, first 2 shown]
	v_mov_b32_e32 v108, 4
.LBB64_102:
	s_or_b64 exec, exec, s[0:1]
	v_cmp_lt_i32_e32 vcc, 4, v108
	s_waitcnt vmcnt(0) lgkmcnt(0)
	s_barrier
	s_and_saveexec_b64 s[0:1], vcc
	s_cbranch_execz .LBB64_104
; %bb.103:
	buffer_load_dword v117, off, s[24:27], 0 offset:32 ; 4-byte Folded Reload
	buffer_load_dword v118, off, s[24:27], 0 offset:36 ; 4-byte Folded Reload
	;; [unrolled: 1-line block ×4, first 2 shown]
	s_waitcnt vmcnt(0)
	v_mul_f64 v[109:110], v[123:124], v[119:120]
	v_fma_f64 v[125:126], v[121:122], v[117:118], -v[109:110]
	v_mul_f64 v[109:110], v[121:122], v[119:120]
	v_fma_f64 v[119:120], v[123:124], v[117:118], v[109:110]
	ds_read2_b64 v[109:112], v106 offset0:10 offset1:11
	buffer_load_dword v115, off, s[24:27], 0 offset:16 ; 4-byte Folded Reload
	buffer_load_dword v116, off, s[24:27], 0 offset:20 ; 4-byte Folded Reload
	;; [unrolled: 1-line block ×4, first 2 shown]
	s_waitcnt lgkmcnt(0)
	v_mul_f64 v[113:114], v[111:112], v[119:120]
	v_fma_f64 v[113:114], v[109:110], v[125:126], -v[113:114]
	v_mul_f64 v[109:110], v[109:110], v[119:120]
	v_fma_f64 v[109:110], v[111:112], v[125:126], v[109:110]
	s_waitcnt vmcnt(2)
	v_add_f64 v[115:116], v[115:116], -v[113:114]
	s_waitcnt vmcnt(0)
	v_add_f64 v[117:118], v[117:118], -v[109:110]
	buffer_store_dword v115, off, s[24:27], 0 offset:16 ; 4-byte Folded Spill
	s_nop 0
	buffer_store_dword v116, off, s[24:27], 0 offset:20 ; 4-byte Folded Spill
	buffer_store_dword v117, off, s[24:27], 0 offset:24 ; 4-byte Folded Spill
	;; [unrolled: 1-line block ×3, first 2 shown]
	ds_read2_b64 v[109:112], v106 offset0:12 offset1:13
	buffer_load_dword v115, off, s[24:27], 0 ; 4-byte Folded Reload
	buffer_load_dword v116, off, s[24:27], 0 offset:4 ; 4-byte Folded Reload
	buffer_load_dword v117, off, s[24:27], 0 offset:8 ; 4-byte Folded Reload
	;; [unrolled: 1-line block ×3, first 2 shown]
	s_waitcnt lgkmcnt(0)
	v_mul_f64 v[113:114], v[111:112], v[119:120]
	v_fma_f64 v[113:114], v[109:110], v[125:126], -v[113:114]
	v_mul_f64 v[109:110], v[109:110], v[119:120]
	v_fma_f64 v[109:110], v[111:112], v[125:126], v[109:110]
	s_waitcnt vmcnt(2)
	v_add_f64 v[115:116], v[115:116], -v[113:114]
	s_waitcnt vmcnt(0)
	v_add_f64 v[117:118], v[117:118], -v[109:110]
	buffer_store_dword v115, off, s[24:27], 0 ; 4-byte Folded Spill
	s_nop 0
	buffer_store_dword v116, off, s[24:27], 0 offset:4 ; 4-byte Folded Spill
	buffer_store_dword v117, off, s[24:27], 0 offset:8 ; 4-byte Folded Spill
	;; [unrolled: 1-line block ×3, first 2 shown]
	ds_read2_b64 v[109:112], v106 offset0:14 offset1:15
	v_mov_b32_e32 v117, v125
	v_mov_b32_e32 v118, v126
	s_waitcnt lgkmcnt(0)
	v_mul_f64 v[113:114], v[111:112], v[119:120]
	v_fma_f64 v[113:114], v[109:110], v[125:126], -v[113:114]
	v_mul_f64 v[109:110], v[109:110], v[119:120]
	v_add_f64 v[101:102], v[101:102], -v[113:114]
	v_fma_f64 v[109:110], v[111:112], v[125:126], v[109:110]
	v_add_f64 v[103:104], v[103:104], -v[109:110]
	ds_read2_b64 v[109:112], v106 offset0:16 offset1:17
	s_waitcnt lgkmcnt(0)
	v_mul_f64 v[113:114], v[111:112], v[119:120]
	v_fma_f64 v[113:114], v[109:110], v[125:126], -v[113:114]
	v_mul_f64 v[109:110], v[109:110], v[119:120]
	v_add_f64 v[97:98], v[97:98], -v[113:114]
	v_fma_f64 v[109:110], v[111:112], v[125:126], v[109:110]
	v_add_f64 v[99:100], v[99:100], -v[109:110]
	ds_read2_b64 v[109:112], v106 offset0:18 offset1:19
	;; [unrolled: 8-line block ×25, first 2 shown]
	s_waitcnt lgkmcnt(0)
	v_mul_f64 v[113:114], v[111:112], v[119:120]
	v_fma_f64 v[113:114], v[109:110], v[125:126], -v[113:114]
	v_mul_f64 v[109:110], v[109:110], v[119:120]
	buffer_store_dword v117, off, s[24:27], 0 offset:32 ; 4-byte Folded Spill
	s_nop 0
	buffer_store_dword v118, off, s[24:27], 0 offset:36 ; 4-byte Folded Spill
	buffer_store_dword v119, off, s[24:27], 0 offset:40 ; 4-byte Folded Spill
	buffer_store_dword v120, off, s[24:27], 0 offset:44 ; 4-byte Folded Spill
	v_add_f64 v[89:90], v[89:90], -v[113:114]
	v_fma_f64 v[109:110], v[111:112], v[125:126], v[109:110]
	v_add_f64 v[91:92], v[91:92], -v[109:110]
.LBB64_104:
	s_or_b64 exec, exec, s[0:1]
	s_waitcnt vmcnt(0)
	s_barrier
	buffer_load_dword v110, off, s[24:27], 0 offset:16 ; 4-byte Folded Reload
	buffer_load_dword v111, off, s[24:27], 0 offset:20 ; 4-byte Folded Reload
	;; [unrolled: 1-line block ×4, first 2 shown]
	v_lshl_add_u32 v109, v108, 4, v106
	s_cmp_lt_i32 s3, 7
	s_waitcnt vmcnt(0)
	ds_write2_b64 v109, v[110:111], v[112:113] offset1:1
	s_waitcnt lgkmcnt(0)
	s_barrier
	ds_read2_b64 v[121:124], v106 offset0:10 offset1:11
	v_mov_b32_e32 v109, 5
	s_cbranch_scc1 .LBB64_107
; %bb.105:
	v_add_u32_e32 v110, 0x60, v106
	s_mov_b32 s0, 6
	v_mov_b32_e32 v109, 5
.LBB64_106:                             ; =>This Inner Loop Header: Depth=1
	s_waitcnt lgkmcnt(0)
	v_cmp_gt_f64_e32 vcc, 0, v[121:122]
	v_xor_b32_e32 v115, 0x80000000, v122
	ds_read2_b64 v[111:114], v110 offset1:1
	v_xor_b32_e32 v117, 0x80000000, v124
	v_add_u32_e32 v110, 16, v110
	s_waitcnt lgkmcnt(0)
	v_xor_b32_e32 v119, 0x80000000, v114
	v_cndmask_b32_e32 v116, v122, v115, vcc
	v_cmp_gt_f64_e32 vcc, 0, v[123:124]
	v_mov_b32_e32 v115, v121
	v_cndmask_b32_e32 v118, v124, v117, vcc
	v_cmp_gt_f64_e32 vcc, 0, v[111:112]
	v_mov_b32_e32 v117, v123
	v_add_f64 v[115:116], v[115:116], v[117:118]
	v_xor_b32_e32 v117, 0x80000000, v112
	v_cndmask_b32_e32 v118, v112, v117, vcc
	v_cmp_gt_f64_e32 vcc, 0, v[113:114]
	v_mov_b32_e32 v117, v111
	v_cndmask_b32_e32 v120, v114, v119, vcc
	v_mov_b32_e32 v119, v113
	v_add_f64 v[117:118], v[117:118], v[119:120]
	v_cmp_lt_f64_e32 vcc, v[115:116], v[117:118]
	v_cndmask_b32_e32 v121, v121, v111, vcc
	v_mov_b32_e32 v111, s0
	s_add_i32 s0, s0, 1
	v_cndmask_b32_e32 v122, v122, v112, vcc
	v_cndmask_b32_e32 v124, v124, v114, vcc
	;; [unrolled: 1-line block ×4, first 2 shown]
	s_cmp_lg_u32 s3, s0
	s_cbranch_scc1 .LBB64_106
.LBB64_107:
	s_waitcnt lgkmcnt(0)
	v_cmp_eq_f64_e32 vcc, 0, v[121:122]
	v_cmp_eq_f64_e64 s[0:1], 0, v[123:124]
	s_and_b64 s[0:1], vcc, s[0:1]
	s_and_saveexec_b64 s[18:19], s[0:1]
	s_xor_b64 s[0:1], exec, s[18:19]
; %bb.108:
	v_cmp_ne_u32_e32 vcc, 0, v107
	v_cndmask_b32_e32 v107, 6, v107, vcc
; %bb.109:
	s_andn2_saveexec_b64 s[0:1], s[0:1]
	s_cbranch_execz .LBB64_115
; %bb.110:
	v_cmp_ngt_f64_e64 s[18:19], |v[121:122]|, |v[123:124]|
	s_and_saveexec_b64 s[20:21], s[18:19]
	s_xor_b64 s[18:19], exec, s[20:21]
	s_cbranch_execz .LBB64_112
; %bb.111:
	v_div_scale_f64 v[110:111], s[20:21], v[123:124], v[123:124], v[121:122]
	v_rcp_f64_e32 v[112:113], v[110:111]
	v_fma_f64 v[114:115], -v[110:111], v[112:113], 1.0
	v_fma_f64 v[112:113], v[112:113], v[114:115], v[112:113]
	v_div_scale_f64 v[114:115], vcc, v[121:122], v[123:124], v[121:122]
	v_fma_f64 v[116:117], -v[110:111], v[112:113], 1.0
	v_fma_f64 v[112:113], v[112:113], v[116:117], v[112:113]
	v_mul_f64 v[116:117], v[114:115], v[112:113]
	v_fma_f64 v[110:111], -v[110:111], v[116:117], v[114:115]
	v_div_fmas_f64 v[110:111], v[110:111], v[112:113], v[116:117]
	v_div_fixup_f64 v[110:111], v[110:111], v[123:124], v[121:122]
	v_fma_f64 v[112:113], v[121:122], v[110:111], v[123:124]
	v_div_scale_f64 v[114:115], s[20:21], v[112:113], v[112:113], 1.0
	v_div_scale_f64 v[120:121], vcc, 1.0, v[112:113], 1.0
	v_rcp_f64_e32 v[116:117], v[114:115]
	v_fma_f64 v[118:119], -v[114:115], v[116:117], 1.0
	v_fma_f64 v[116:117], v[116:117], v[118:119], v[116:117]
	v_fma_f64 v[118:119], -v[114:115], v[116:117], 1.0
	v_fma_f64 v[116:117], v[116:117], v[118:119], v[116:117]
	v_mul_f64 v[118:119], v[120:121], v[116:117]
	v_fma_f64 v[114:115], -v[114:115], v[118:119], v[120:121]
	v_div_fmas_f64 v[114:115], v[114:115], v[116:117], v[118:119]
	v_div_fixup_f64 v[123:124], v[114:115], v[112:113], 1.0
	v_mul_f64 v[121:122], v[110:111], v[123:124]
	v_xor_b32_e32 v124, 0x80000000, v124
.LBB64_112:
	s_andn2_saveexec_b64 s[18:19], s[18:19]
	s_cbranch_execz .LBB64_114
; %bb.113:
	v_div_scale_f64 v[110:111], s[20:21], v[121:122], v[121:122], v[123:124]
	v_rcp_f64_e32 v[112:113], v[110:111]
	v_fma_f64 v[114:115], -v[110:111], v[112:113], 1.0
	v_fma_f64 v[112:113], v[112:113], v[114:115], v[112:113]
	v_div_scale_f64 v[114:115], vcc, v[123:124], v[121:122], v[123:124]
	v_fma_f64 v[116:117], -v[110:111], v[112:113], 1.0
	v_fma_f64 v[112:113], v[112:113], v[116:117], v[112:113]
	v_mul_f64 v[116:117], v[114:115], v[112:113]
	v_fma_f64 v[110:111], -v[110:111], v[116:117], v[114:115]
	v_div_fmas_f64 v[110:111], v[110:111], v[112:113], v[116:117]
	v_div_fixup_f64 v[110:111], v[110:111], v[121:122], v[123:124]
	v_fma_f64 v[112:113], v[123:124], v[110:111], v[121:122]
	v_div_scale_f64 v[114:115], s[20:21], v[112:113], v[112:113], 1.0
	v_div_scale_f64 v[120:121], vcc, 1.0, v[112:113], 1.0
	v_rcp_f64_e32 v[116:117], v[114:115]
	v_fma_f64 v[118:119], -v[114:115], v[116:117], 1.0
	v_fma_f64 v[116:117], v[116:117], v[118:119], v[116:117]
	v_fma_f64 v[118:119], -v[114:115], v[116:117], 1.0
	v_fma_f64 v[116:117], v[116:117], v[118:119], v[116:117]
	v_mul_f64 v[118:119], v[120:121], v[116:117]
	v_fma_f64 v[114:115], -v[114:115], v[118:119], v[120:121]
	v_div_fmas_f64 v[114:115], v[114:115], v[116:117], v[118:119]
	v_div_fixup_f64 v[121:122], v[114:115], v[112:113], 1.0
	v_mul_f64 v[123:124], v[110:111], -v[121:122]
.LBB64_114:
	s_or_b64 exec, exec, s[18:19]
.LBB64_115:
	s_or_b64 exec, exec, s[0:1]
	v_cmp_ne_u32_e32 vcc, v108, v109
	s_and_saveexec_b64 s[0:1], vcc
	s_xor_b64 s[0:1], exec, s[0:1]
	s_cbranch_execz .LBB64_121
; %bb.116:
	v_cmp_eq_u32_e32 vcc, 5, v108
	s_and_saveexec_b64 s[18:19], vcc
	s_cbranch_execz .LBB64_120
; %bb.117:
	v_cmp_ne_u32_e32 vcc, 5, v109
	s_xor_b64 s[20:21], s[6:7], -1
	s_and_b64 s[22:23], s[20:21], vcc
	s_and_saveexec_b64 s[20:21], s[22:23]
	s_cbranch_execz .LBB64_119
; %bb.118:
	buffer_load_dword v112, off, s[24:27], 0 offset:80 ; 4-byte Folded Reload
	buffer_load_dword v113, off, s[24:27], 0 offset:84 ; 4-byte Folded Reload
	v_ashrrev_i32_e32 v110, 31, v109
	v_lshlrev_b64 v[110:111], 2, v[109:110]
	s_waitcnt vmcnt(1)
	v_add_co_u32_e32 v110, vcc, v112, v110
	s_waitcnt vmcnt(0)
	v_addc_co_u32_e32 v111, vcc, v113, v111, vcc
	global_load_dword v0, v[110:111], off
	global_load_dword v108, v[112:113], off offset:20
	s_waitcnt vmcnt(1)
	global_store_dword v[112:113], v0, off offset:20
	s_waitcnt vmcnt(1)
	global_store_dword v[110:111], v108, off
.LBB64_119:
	s_or_b64 exec, exec, s[20:21]
	v_mov_b32_e32 v108, v109
	v_mov_b32_e32 v0, v109
.LBB64_120:
	s_or_b64 exec, exec, s[18:19]
.LBB64_121:
	s_andn2_saveexec_b64 s[0:1], s[0:1]
	s_cbranch_execz .LBB64_123
; %bb.122:
	buffer_load_dword v108, off, s[24:27], 0 ; 4-byte Folded Reload
	buffer_load_dword v109, off, s[24:27], 0 offset:4 ; 4-byte Folded Reload
	buffer_load_dword v110, off, s[24:27], 0 offset:8 ; 4-byte Folded Reload
	;; [unrolled: 1-line block ×3, first 2 shown]
	s_waitcnt vmcnt(0)
	ds_write2_b64 v106, v[108:109], v[110:111] offset0:12 offset1:13
	ds_write2_b64 v106, v[101:102], v[103:104] offset0:14 offset1:15
	;; [unrolled: 1-line block ×27, first 2 shown]
	v_mov_b32_e32 v108, 5
.LBB64_123:
	s_or_b64 exec, exec, s[0:1]
	v_cmp_lt_i32_e32 vcc, 5, v108
	s_waitcnt vmcnt(0) lgkmcnt(0)
	s_barrier
	s_and_saveexec_b64 s[0:1], vcc
	s_cbranch_execz .LBB64_125
; %bb.124:
	buffer_load_dword v117, off, s[24:27], 0 offset:16 ; 4-byte Folded Reload
	buffer_load_dword v118, off, s[24:27], 0 offset:20 ; 4-byte Folded Reload
	buffer_load_dword v119, off, s[24:27], 0 offset:24 ; 4-byte Folded Reload
	buffer_load_dword v120, off, s[24:27], 0 offset:28 ; 4-byte Folded Reload
	s_waitcnt vmcnt(0)
	v_mul_f64 v[109:110], v[123:124], v[119:120]
	v_fma_f64 v[125:126], v[121:122], v[117:118], -v[109:110]
	v_mul_f64 v[109:110], v[121:122], v[119:120]
	v_fma_f64 v[119:120], v[123:124], v[117:118], v[109:110]
	ds_read2_b64 v[109:112], v106 offset0:12 offset1:13
	buffer_load_dword v115, off, s[24:27], 0 ; 4-byte Folded Reload
	buffer_load_dword v116, off, s[24:27], 0 offset:4 ; 4-byte Folded Reload
	buffer_load_dword v117, off, s[24:27], 0 offset:8 ; 4-byte Folded Reload
	;; [unrolled: 1-line block ×3, first 2 shown]
	s_waitcnt lgkmcnt(0)
	v_mul_f64 v[113:114], v[111:112], v[119:120]
	v_fma_f64 v[113:114], v[109:110], v[125:126], -v[113:114]
	v_mul_f64 v[109:110], v[109:110], v[119:120]
	v_fma_f64 v[109:110], v[111:112], v[125:126], v[109:110]
	s_waitcnt vmcnt(2)
	v_add_f64 v[115:116], v[115:116], -v[113:114]
	s_waitcnt vmcnt(0)
	v_add_f64 v[117:118], v[117:118], -v[109:110]
	buffer_store_dword v115, off, s[24:27], 0 ; 4-byte Folded Spill
	s_nop 0
	buffer_store_dword v116, off, s[24:27], 0 offset:4 ; 4-byte Folded Spill
	buffer_store_dword v117, off, s[24:27], 0 offset:8 ; 4-byte Folded Spill
	buffer_store_dword v118, off, s[24:27], 0 offset:12 ; 4-byte Folded Spill
	ds_read2_b64 v[109:112], v106 offset0:14 offset1:15
	v_mov_b32_e32 v117, v125
	v_mov_b32_e32 v118, v126
	s_waitcnt lgkmcnt(0)
	v_mul_f64 v[113:114], v[111:112], v[119:120]
	v_fma_f64 v[113:114], v[109:110], v[125:126], -v[113:114]
	v_mul_f64 v[109:110], v[109:110], v[119:120]
	v_add_f64 v[101:102], v[101:102], -v[113:114]
	v_fma_f64 v[109:110], v[111:112], v[125:126], v[109:110]
	v_add_f64 v[103:104], v[103:104], -v[109:110]
	ds_read2_b64 v[109:112], v106 offset0:16 offset1:17
	s_waitcnt lgkmcnt(0)
	v_mul_f64 v[113:114], v[111:112], v[119:120]
	v_fma_f64 v[113:114], v[109:110], v[125:126], -v[113:114]
	v_mul_f64 v[109:110], v[109:110], v[119:120]
	v_add_f64 v[97:98], v[97:98], -v[113:114]
	v_fma_f64 v[109:110], v[111:112], v[125:126], v[109:110]
	v_add_f64 v[99:100], v[99:100], -v[109:110]
	ds_read2_b64 v[109:112], v106 offset0:18 offset1:19
	;; [unrolled: 8-line block ×25, first 2 shown]
	s_waitcnt lgkmcnt(0)
	v_mul_f64 v[113:114], v[111:112], v[119:120]
	v_fma_f64 v[113:114], v[109:110], v[125:126], -v[113:114]
	v_mul_f64 v[109:110], v[109:110], v[119:120]
	buffer_store_dword v117, off, s[24:27], 0 offset:16 ; 4-byte Folded Spill
	s_nop 0
	buffer_store_dword v118, off, s[24:27], 0 offset:20 ; 4-byte Folded Spill
	buffer_store_dword v119, off, s[24:27], 0 offset:24 ; 4-byte Folded Spill
	;; [unrolled: 1-line block ×3, first 2 shown]
	v_add_f64 v[89:90], v[89:90], -v[113:114]
	v_fma_f64 v[109:110], v[111:112], v[125:126], v[109:110]
	v_add_f64 v[91:92], v[91:92], -v[109:110]
.LBB64_125:
	s_or_b64 exec, exec, s[0:1]
	s_waitcnt vmcnt(0)
	s_barrier
	buffer_load_dword v110, off, s[24:27], 0 ; 4-byte Folded Reload
	buffer_load_dword v111, off, s[24:27], 0 offset:4 ; 4-byte Folded Reload
	buffer_load_dword v112, off, s[24:27], 0 offset:8 ; 4-byte Folded Reload
	;; [unrolled: 1-line block ×3, first 2 shown]
	v_lshl_add_u32 v109, v108, 4, v106
	s_cmp_lt_i32 s3, 8
	s_waitcnt vmcnt(0)
	ds_write2_b64 v109, v[110:111], v[112:113] offset1:1
	s_waitcnt lgkmcnt(0)
	s_barrier
	ds_read2_b64 v[121:124], v106 offset0:12 offset1:13
	v_mov_b32_e32 v109, 6
	s_cbranch_scc1 .LBB64_128
; %bb.126:
	v_add_u32_e32 v110, 0x70, v106
	s_mov_b32 s0, 7
	v_mov_b32_e32 v109, 6
.LBB64_127:                             ; =>This Inner Loop Header: Depth=1
	s_waitcnt lgkmcnt(0)
	v_cmp_gt_f64_e32 vcc, 0, v[121:122]
	v_xor_b32_e32 v115, 0x80000000, v122
	ds_read2_b64 v[111:114], v110 offset1:1
	v_xor_b32_e32 v117, 0x80000000, v124
	v_add_u32_e32 v110, 16, v110
	s_waitcnt lgkmcnt(0)
	v_xor_b32_e32 v119, 0x80000000, v114
	v_cndmask_b32_e32 v116, v122, v115, vcc
	v_cmp_gt_f64_e32 vcc, 0, v[123:124]
	v_mov_b32_e32 v115, v121
	v_cndmask_b32_e32 v118, v124, v117, vcc
	v_cmp_gt_f64_e32 vcc, 0, v[111:112]
	v_mov_b32_e32 v117, v123
	v_add_f64 v[115:116], v[115:116], v[117:118]
	v_xor_b32_e32 v117, 0x80000000, v112
	v_cndmask_b32_e32 v118, v112, v117, vcc
	v_cmp_gt_f64_e32 vcc, 0, v[113:114]
	v_mov_b32_e32 v117, v111
	v_cndmask_b32_e32 v120, v114, v119, vcc
	v_mov_b32_e32 v119, v113
	v_add_f64 v[117:118], v[117:118], v[119:120]
	v_cmp_lt_f64_e32 vcc, v[115:116], v[117:118]
	v_cndmask_b32_e32 v121, v121, v111, vcc
	v_mov_b32_e32 v111, s0
	s_add_i32 s0, s0, 1
	v_cndmask_b32_e32 v122, v122, v112, vcc
	v_cndmask_b32_e32 v124, v124, v114, vcc
	;; [unrolled: 1-line block ×4, first 2 shown]
	s_cmp_lg_u32 s3, s0
	s_cbranch_scc1 .LBB64_127
.LBB64_128:
	s_waitcnt lgkmcnt(0)
	v_cmp_eq_f64_e32 vcc, 0, v[121:122]
	v_cmp_eq_f64_e64 s[0:1], 0, v[123:124]
	s_and_b64 s[0:1], vcc, s[0:1]
	s_and_saveexec_b64 s[18:19], s[0:1]
	s_xor_b64 s[0:1], exec, s[18:19]
; %bb.129:
	v_cmp_ne_u32_e32 vcc, 0, v107
	v_cndmask_b32_e32 v107, 7, v107, vcc
; %bb.130:
	s_andn2_saveexec_b64 s[0:1], s[0:1]
	s_cbranch_execz .LBB64_136
; %bb.131:
	v_cmp_ngt_f64_e64 s[18:19], |v[121:122]|, |v[123:124]|
	s_and_saveexec_b64 s[20:21], s[18:19]
	s_xor_b64 s[18:19], exec, s[20:21]
	s_cbranch_execz .LBB64_133
; %bb.132:
	v_div_scale_f64 v[110:111], s[20:21], v[123:124], v[123:124], v[121:122]
	v_rcp_f64_e32 v[112:113], v[110:111]
	v_fma_f64 v[114:115], -v[110:111], v[112:113], 1.0
	v_fma_f64 v[112:113], v[112:113], v[114:115], v[112:113]
	v_div_scale_f64 v[114:115], vcc, v[121:122], v[123:124], v[121:122]
	v_fma_f64 v[116:117], -v[110:111], v[112:113], 1.0
	v_fma_f64 v[112:113], v[112:113], v[116:117], v[112:113]
	v_mul_f64 v[116:117], v[114:115], v[112:113]
	v_fma_f64 v[110:111], -v[110:111], v[116:117], v[114:115]
	v_div_fmas_f64 v[110:111], v[110:111], v[112:113], v[116:117]
	v_div_fixup_f64 v[110:111], v[110:111], v[123:124], v[121:122]
	v_fma_f64 v[112:113], v[121:122], v[110:111], v[123:124]
	v_div_scale_f64 v[114:115], s[20:21], v[112:113], v[112:113], 1.0
	v_div_scale_f64 v[120:121], vcc, 1.0, v[112:113], 1.0
	v_rcp_f64_e32 v[116:117], v[114:115]
	v_fma_f64 v[118:119], -v[114:115], v[116:117], 1.0
	v_fma_f64 v[116:117], v[116:117], v[118:119], v[116:117]
	v_fma_f64 v[118:119], -v[114:115], v[116:117], 1.0
	v_fma_f64 v[116:117], v[116:117], v[118:119], v[116:117]
	v_mul_f64 v[118:119], v[120:121], v[116:117]
	v_fma_f64 v[114:115], -v[114:115], v[118:119], v[120:121]
	v_div_fmas_f64 v[114:115], v[114:115], v[116:117], v[118:119]
	v_div_fixup_f64 v[123:124], v[114:115], v[112:113], 1.0
	v_mul_f64 v[121:122], v[110:111], v[123:124]
	v_xor_b32_e32 v124, 0x80000000, v124
.LBB64_133:
	s_andn2_saveexec_b64 s[18:19], s[18:19]
	s_cbranch_execz .LBB64_135
; %bb.134:
	v_div_scale_f64 v[110:111], s[20:21], v[121:122], v[121:122], v[123:124]
	v_rcp_f64_e32 v[112:113], v[110:111]
	v_fma_f64 v[114:115], -v[110:111], v[112:113], 1.0
	v_fma_f64 v[112:113], v[112:113], v[114:115], v[112:113]
	v_div_scale_f64 v[114:115], vcc, v[123:124], v[121:122], v[123:124]
	v_fma_f64 v[116:117], -v[110:111], v[112:113], 1.0
	v_fma_f64 v[112:113], v[112:113], v[116:117], v[112:113]
	v_mul_f64 v[116:117], v[114:115], v[112:113]
	v_fma_f64 v[110:111], -v[110:111], v[116:117], v[114:115]
	v_div_fmas_f64 v[110:111], v[110:111], v[112:113], v[116:117]
	v_div_fixup_f64 v[110:111], v[110:111], v[121:122], v[123:124]
	v_fma_f64 v[112:113], v[123:124], v[110:111], v[121:122]
	v_div_scale_f64 v[114:115], s[20:21], v[112:113], v[112:113], 1.0
	v_div_scale_f64 v[120:121], vcc, 1.0, v[112:113], 1.0
	v_rcp_f64_e32 v[116:117], v[114:115]
	v_fma_f64 v[118:119], -v[114:115], v[116:117], 1.0
	v_fma_f64 v[116:117], v[116:117], v[118:119], v[116:117]
	v_fma_f64 v[118:119], -v[114:115], v[116:117], 1.0
	v_fma_f64 v[116:117], v[116:117], v[118:119], v[116:117]
	v_mul_f64 v[118:119], v[120:121], v[116:117]
	v_fma_f64 v[114:115], -v[114:115], v[118:119], v[120:121]
	v_div_fmas_f64 v[114:115], v[114:115], v[116:117], v[118:119]
	v_div_fixup_f64 v[121:122], v[114:115], v[112:113], 1.0
	v_mul_f64 v[123:124], v[110:111], -v[121:122]
.LBB64_135:
	s_or_b64 exec, exec, s[18:19]
.LBB64_136:
	s_or_b64 exec, exec, s[0:1]
	v_cmp_ne_u32_e32 vcc, v108, v109
	s_and_saveexec_b64 s[0:1], vcc
	s_xor_b64 s[0:1], exec, s[0:1]
	s_cbranch_execz .LBB64_142
; %bb.137:
	v_cmp_eq_u32_e32 vcc, 6, v108
	s_and_saveexec_b64 s[18:19], vcc
	s_cbranch_execz .LBB64_141
; %bb.138:
	v_cmp_ne_u32_e32 vcc, 6, v109
	s_xor_b64 s[20:21], s[6:7], -1
	s_and_b64 s[22:23], s[20:21], vcc
	s_and_saveexec_b64 s[20:21], s[22:23]
	s_cbranch_execz .LBB64_140
; %bb.139:
	buffer_load_dword v112, off, s[24:27], 0 offset:80 ; 4-byte Folded Reload
	buffer_load_dword v113, off, s[24:27], 0 offset:84 ; 4-byte Folded Reload
	v_ashrrev_i32_e32 v110, 31, v109
	v_lshlrev_b64 v[110:111], 2, v[109:110]
	s_waitcnt vmcnt(1)
	v_add_co_u32_e32 v110, vcc, v112, v110
	s_waitcnt vmcnt(0)
	v_addc_co_u32_e32 v111, vcc, v113, v111, vcc
	global_load_dword v0, v[110:111], off
	global_load_dword v108, v[112:113], off offset:24
	s_waitcnt vmcnt(1)
	global_store_dword v[112:113], v0, off offset:24
	s_waitcnt vmcnt(1)
	global_store_dword v[110:111], v108, off
.LBB64_140:
	s_or_b64 exec, exec, s[20:21]
	v_mov_b32_e32 v108, v109
	v_mov_b32_e32 v0, v109
.LBB64_141:
	s_or_b64 exec, exec, s[18:19]
.LBB64_142:
	s_andn2_saveexec_b64 s[0:1], s[0:1]
	s_cbranch_execz .LBB64_144
; %bb.143:
	v_mov_b32_e32 v108, 6
	ds_write2_b64 v106, v[101:102], v[103:104] offset0:14 offset1:15
	ds_write2_b64 v106, v[97:98], v[99:100] offset0:16 offset1:17
	;; [unrolled: 1-line block ×26, first 2 shown]
.LBB64_144:
	s_or_b64 exec, exec, s[0:1]
	v_cmp_lt_i32_e32 vcc, 6, v108
	s_waitcnt vmcnt(0) lgkmcnt(0)
	s_barrier
	s_and_saveexec_b64 s[0:1], vcc
	s_cbranch_execz .LBB64_146
; %bb.145:
	buffer_load_dword v113, off, s[24:27], 0 ; 4-byte Folded Reload
	buffer_load_dword v114, off, s[24:27], 0 offset:4 ; 4-byte Folded Reload
	buffer_load_dword v115, off, s[24:27], 0 offset:8 ; 4-byte Folded Reload
	;; [unrolled: 1-line block ×3, first 2 shown]
	s_waitcnt vmcnt(0)
	v_mul_f64 v[109:110], v[123:124], v[115:116]
	v_fma_f64 v[125:126], v[121:122], v[113:114], -v[109:110]
	v_mul_f64 v[109:110], v[121:122], v[115:116]
	v_fma_f64 v[115:116], v[123:124], v[113:114], v[109:110]
	ds_read2_b64 v[109:112], v106 offset0:14 offset1:15
	s_waitcnt lgkmcnt(0)
	v_mul_f64 v[113:114], v[111:112], v[115:116]
	v_fma_f64 v[113:114], v[109:110], v[125:126], -v[113:114]
	v_mul_f64 v[109:110], v[109:110], v[115:116]
	v_add_f64 v[101:102], v[101:102], -v[113:114]
	v_fma_f64 v[109:110], v[111:112], v[125:126], v[109:110]
	v_add_f64 v[103:104], v[103:104], -v[109:110]
	ds_read2_b64 v[109:112], v106 offset0:16 offset1:17
	s_waitcnt lgkmcnt(0)
	v_mul_f64 v[113:114], v[111:112], v[115:116]
	v_fma_f64 v[113:114], v[109:110], v[125:126], -v[113:114]
	v_mul_f64 v[109:110], v[109:110], v[115:116]
	v_add_f64 v[97:98], v[97:98], -v[113:114]
	v_fma_f64 v[109:110], v[111:112], v[125:126], v[109:110]
	v_add_f64 v[99:100], v[99:100], -v[109:110]
	ds_read2_b64 v[109:112], v106 offset0:18 offset1:19
	s_waitcnt lgkmcnt(0)
	v_mul_f64 v[113:114], v[111:112], v[115:116]
	v_fma_f64 v[113:114], v[109:110], v[125:126], -v[113:114]
	v_mul_f64 v[109:110], v[109:110], v[115:116]
	v_add_f64 v[93:94], v[93:94], -v[113:114]
	v_fma_f64 v[109:110], v[111:112], v[125:126], v[109:110]
	v_add_f64 v[95:96], v[95:96], -v[109:110]
	ds_read2_b64 v[109:112], v106 offset0:20 offset1:21
	s_waitcnt lgkmcnt(0)
	v_mul_f64 v[113:114], v[111:112], v[115:116]
	v_fma_f64 v[113:114], v[109:110], v[125:126], -v[113:114]
	v_mul_f64 v[109:110], v[109:110], v[115:116]
	v_add_f64 v[85:86], v[85:86], -v[113:114]
	v_fma_f64 v[109:110], v[111:112], v[125:126], v[109:110]
	v_add_f64 v[87:88], v[87:88], -v[109:110]
	ds_read2_b64 v[109:112], v106 offset0:22 offset1:23
	s_waitcnt lgkmcnt(0)
	v_mul_f64 v[113:114], v[111:112], v[115:116]
	v_fma_f64 v[113:114], v[109:110], v[125:126], -v[113:114]
	v_mul_f64 v[109:110], v[109:110], v[115:116]
	v_add_f64 v[81:82], v[81:82], -v[113:114]
	v_fma_f64 v[109:110], v[111:112], v[125:126], v[109:110]
	v_add_f64 v[83:84], v[83:84], -v[109:110]
	ds_read2_b64 v[109:112], v106 offset0:24 offset1:25
	s_waitcnt lgkmcnt(0)
	v_mul_f64 v[113:114], v[111:112], v[115:116]
	v_fma_f64 v[113:114], v[109:110], v[125:126], -v[113:114]
	v_mul_f64 v[109:110], v[109:110], v[115:116]
	v_add_f64 v[77:78], v[77:78], -v[113:114]
	v_fma_f64 v[109:110], v[111:112], v[125:126], v[109:110]
	v_add_f64 v[79:80], v[79:80], -v[109:110]
	ds_read2_b64 v[109:112], v106 offset0:26 offset1:27
	s_waitcnt lgkmcnt(0)
	v_mul_f64 v[113:114], v[111:112], v[115:116]
	v_fma_f64 v[113:114], v[109:110], v[125:126], -v[113:114]
	v_mul_f64 v[109:110], v[109:110], v[115:116]
	v_add_f64 v[73:74], v[73:74], -v[113:114]
	v_fma_f64 v[109:110], v[111:112], v[125:126], v[109:110]
	v_add_f64 v[75:76], v[75:76], -v[109:110]
	ds_read2_b64 v[109:112], v106 offset0:28 offset1:29
	s_waitcnt lgkmcnt(0)
	v_mul_f64 v[113:114], v[111:112], v[115:116]
	v_fma_f64 v[113:114], v[109:110], v[125:126], -v[113:114]
	v_mul_f64 v[109:110], v[109:110], v[115:116]
	v_add_f64 v[69:70], v[69:70], -v[113:114]
	v_fma_f64 v[109:110], v[111:112], v[125:126], v[109:110]
	v_add_f64 v[71:72], v[71:72], -v[109:110]
	ds_read2_b64 v[109:112], v106 offset0:30 offset1:31
	s_waitcnt lgkmcnt(0)
	v_mul_f64 v[113:114], v[111:112], v[115:116]
	v_fma_f64 v[113:114], v[109:110], v[125:126], -v[113:114]
	v_mul_f64 v[109:110], v[109:110], v[115:116]
	v_add_f64 v[65:66], v[65:66], -v[113:114]
	v_fma_f64 v[109:110], v[111:112], v[125:126], v[109:110]
	v_add_f64 v[67:68], v[67:68], -v[109:110]
	ds_read2_b64 v[109:112], v106 offset0:32 offset1:33
	s_waitcnt lgkmcnt(0)
	v_mul_f64 v[113:114], v[111:112], v[115:116]
	v_fma_f64 v[113:114], v[109:110], v[125:126], -v[113:114]
	v_mul_f64 v[109:110], v[109:110], v[115:116]
	v_add_f64 v[61:62], v[61:62], -v[113:114]
	v_fma_f64 v[109:110], v[111:112], v[125:126], v[109:110]
	v_add_f64 v[63:64], v[63:64], -v[109:110]
	ds_read2_b64 v[109:112], v106 offset0:34 offset1:35
	s_waitcnt lgkmcnt(0)
	v_mul_f64 v[113:114], v[111:112], v[115:116]
	v_fma_f64 v[113:114], v[109:110], v[125:126], -v[113:114]
	v_mul_f64 v[109:110], v[109:110], v[115:116]
	v_add_f64 v[57:58], v[57:58], -v[113:114]
	v_fma_f64 v[109:110], v[111:112], v[125:126], v[109:110]
	v_add_f64 v[59:60], v[59:60], -v[109:110]
	ds_read2_b64 v[109:112], v106 offset0:36 offset1:37
	s_waitcnt lgkmcnt(0)
	v_mul_f64 v[113:114], v[111:112], v[115:116]
	v_fma_f64 v[113:114], v[109:110], v[125:126], -v[113:114]
	v_mul_f64 v[109:110], v[109:110], v[115:116]
	v_add_f64 v[53:54], v[53:54], -v[113:114]
	v_fma_f64 v[109:110], v[111:112], v[125:126], v[109:110]
	v_add_f64 v[55:56], v[55:56], -v[109:110]
	ds_read2_b64 v[109:112], v106 offset0:38 offset1:39
	s_waitcnt lgkmcnt(0)
	v_mul_f64 v[113:114], v[111:112], v[115:116]
	v_fma_f64 v[113:114], v[109:110], v[125:126], -v[113:114]
	v_mul_f64 v[109:110], v[109:110], v[115:116]
	v_add_f64 v[49:50], v[49:50], -v[113:114]
	v_fma_f64 v[109:110], v[111:112], v[125:126], v[109:110]
	v_add_f64 v[51:52], v[51:52], -v[109:110]
	ds_read2_b64 v[109:112], v106 offset0:40 offset1:41
	s_waitcnt lgkmcnt(0)
	v_mul_f64 v[113:114], v[111:112], v[115:116]
	v_fma_f64 v[113:114], v[109:110], v[125:126], -v[113:114]
	v_mul_f64 v[109:110], v[109:110], v[115:116]
	v_add_f64 v[45:46], v[45:46], -v[113:114]
	v_fma_f64 v[109:110], v[111:112], v[125:126], v[109:110]
	v_add_f64 v[47:48], v[47:48], -v[109:110]
	ds_read2_b64 v[109:112], v106 offset0:42 offset1:43
	s_waitcnt lgkmcnt(0)
	v_mul_f64 v[113:114], v[111:112], v[115:116]
	v_fma_f64 v[113:114], v[109:110], v[125:126], -v[113:114]
	v_mul_f64 v[109:110], v[109:110], v[115:116]
	v_add_f64 v[41:42], v[41:42], -v[113:114]
	v_fma_f64 v[109:110], v[111:112], v[125:126], v[109:110]
	v_add_f64 v[43:44], v[43:44], -v[109:110]
	ds_read2_b64 v[109:112], v106 offset0:44 offset1:45
	s_waitcnt lgkmcnt(0)
	v_mul_f64 v[113:114], v[111:112], v[115:116]
	v_fma_f64 v[113:114], v[109:110], v[125:126], -v[113:114]
	v_mul_f64 v[109:110], v[109:110], v[115:116]
	v_add_f64 v[37:38], v[37:38], -v[113:114]
	v_fma_f64 v[109:110], v[111:112], v[125:126], v[109:110]
	v_add_f64 v[39:40], v[39:40], -v[109:110]
	ds_read2_b64 v[109:112], v106 offset0:46 offset1:47
	s_waitcnt lgkmcnt(0)
	v_mul_f64 v[113:114], v[111:112], v[115:116]
	v_fma_f64 v[113:114], v[109:110], v[125:126], -v[113:114]
	v_mul_f64 v[109:110], v[109:110], v[115:116]
	v_add_f64 v[33:34], v[33:34], -v[113:114]
	v_fma_f64 v[109:110], v[111:112], v[125:126], v[109:110]
	v_add_f64 v[35:36], v[35:36], -v[109:110]
	ds_read2_b64 v[109:112], v106 offset0:48 offset1:49
	s_waitcnt lgkmcnt(0)
	v_mul_f64 v[113:114], v[111:112], v[115:116]
	v_fma_f64 v[113:114], v[109:110], v[125:126], -v[113:114]
	v_mul_f64 v[109:110], v[109:110], v[115:116]
	v_add_f64 v[29:30], v[29:30], -v[113:114]
	v_fma_f64 v[109:110], v[111:112], v[125:126], v[109:110]
	v_add_f64 v[31:32], v[31:32], -v[109:110]
	ds_read2_b64 v[109:112], v106 offset0:50 offset1:51
	s_waitcnt lgkmcnt(0)
	v_mul_f64 v[113:114], v[111:112], v[115:116]
	v_fma_f64 v[113:114], v[109:110], v[125:126], -v[113:114]
	v_mul_f64 v[109:110], v[109:110], v[115:116]
	v_add_f64 v[25:26], v[25:26], -v[113:114]
	v_fma_f64 v[109:110], v[111:112], v[125:126], v[109:110]
	v_add_f64 v[27:28], v[27:28], -v[109:110]
	ds_read2_b64 v[109:112], v106 offset0:52 offset1:53
	s_waitcnt lgkmcnt(0)
	v_mul_f64 v[113:114], v[111:112], v[115:116]
	v_fma_f64 v[113:114], v[109:110], v[125:126], -v[113:114]
	v_mul_f64 v[109:110], v[109:110], v[115:116]
	v_add_f64 v[21:22], v[21:22], -v[113:114]
	v_fma_f64 v[109:110], v[111:112], v[125:126], v[109:110]
	v_add_f64 v[23:24], v[23:24], -v[109:110]
	ds_read2_b64 v[109:112], v106 offset0:54 offset1:55
	s_waitcnt lgkmcnt(0)
	v_mul_f64 v[113:114], v[111:112], v[115:116]
	v_fma_f64 v[113:114], v[109:110], v[125:126], -v[113:114]
	v_mul_f64 v[109:110], v[109:110], v[115:116]
	v_add_f64 v[17:18], v[17:18], -v[113:114]
	v_fma_f64 v[109:110], v[111:112], v[125:126], v[109:110]
	v_add_f64 v[19:20], v[19:20], -v[109:110]
	ds_read2_b64 v[109:112], v106 offset0:56 offset1:57
	s_waitcnt lgkmcnt(0)
	v_mul_f64 v[113:114], v[111:112], v[115:116]
	v_fma_f64 v[113:114], v[109:110], v[125:126], -v[113:114]
	v_mul_f64 v[109:110], v[109:110], v[115:116]
	v_add_f64 v[13:14], v[13:14], -v[113:114]
	v_fma_f64 v[109:110], v[111:112], v[125:126], v[109:110]
	v_add_f64 v[15:16], v[15:16], -v[109:110]
	ds_read2_b64 v[109:112], v106 offset0:58 offset1:59
	s_waitcnt lgkmcnt(0)
	v_mul_f64 v[113:114], v[111:112], v[115:116]
	v_fma_f64 v[113:114], v[109:110], v[125:126], -v[113:114]
	v_mul_f64 v[109:110], v[109:110], v[115:116]
	v_add_f64 v[9:10], v[9:10], -v[113:114]
	v_fma_f64 v[109:110], v[111:112], v[125:126], v[109:110]
	v_add_f64 v[11:12], v[11:12], -v[109:110]
	ds_read2_b64 v[109:112], v106 offset0:60 offset1:61
	s_waitcnt lgkmcnt(0)
	v_mul_f64 v[113:114], v[111:112], v[115:116]
	v_fma_f64 v[113:114], v[109:110], v[125:126], -v[113:114]
	v_mul_f64 v[109:110], v[109:110], v[115:116]
	v_add_f64 v[5:6], v[5:6], -v[113:114]
	v_fma_f64 v[109:110], v[111:112], v[125:126], v[109:110]
	v_add_f64 v[7:8], v[7:8], -v[109:110]
	ds_read2_b64 v[109:112], v106 offset0:62 offset1:63
	s_waitcnt lgkmcnt(0)
	v_mul_f64 v[113:114], v[111:112], v[115:116]
	v_fma_f64 v[113:114], v[109:110], v[125:126], -v[113:114]
	v_mul_f64 v[109:110], v[109:110], v[115:116]
	v_add_f64 v[1:2], v[1:2], -v[113:114]
	v_fma_f64 v[109:110], v[111:112], v[125:126], v[109:110]
	v_add_f64 v[3:4], v[3:4], -v[109:110]
	ds_read2_b64 v[109:112], v106 offset0:64 offset1:65
	s_waitcnt lgkmcnt(0)
	v_mul_f64 v[113:114], v[111:112], v[115:116]
	v_fma_f64 v[113:114], v[109:110], v[125:126], -v[113:114]
	v_mul_f64 v[109:110], v[109:110], v[115:116]
	v_add_f64 v[89:90], v[89:90], -v[113:114]
	v_fma_f64 v[109:110], v[111:112], v[125:126], v[109:110]
	v_mov_b32_e32 v113, v125
	v_mov_b32_e32 v114, v126
	buffer_store_dword v113, off, s[24:27], 0 ; 4-byte Folded Spill
	s_nop 0
	buffer_store_dword v114, off, s[24:27], 0 offset:4 ; 4-byte Folded Spill
	buffer_store_dword v115, off, s[24:27], 0 offset:8 ; 4-byte Folded Spill
	;; [unrolled: 1-line block ×3, first 2 shown]
	v_add_f64 v[91:92], v[91:92], -v[109:110]
.LBB64_146:
	s_or_b64 exec, exec, s[0:1]
	v_lshl_add_u32 v109, v108, 4, v106
	s_waitcnt vmcnt(0)
	s_barrier
	ds_write2_b64 v109, v[101:102], v[103:104] offset1:1
	s_waitcnt lgkmcnt(0)
	s_barrier
	ds_read2_b64 v[121:124], v106 offset0:14 offset1:15
	s_cmp_lt_i32 s3, 9
	v_mov_b32_e32 v109, 7
	s_cbranch_scc1 .LBB64_149
; %bb.147:
	v_add_u32_e32 v110, 0x80, v106
	s_mov_b32 s0, 8
	v_mov_b32_e32 v109, 7
.LBB64_148:                             ; =>This Inner Loop Header: Depth=1
	s_waitcnt lgkmcnt(0)
	v_cmp_gt_f64_e32 vcc, 0, v[121:122]
	v_xor_b32_e32 v115, 0x80000000, v122
	ds_read2_b64 v[111:114], v110 offset1:1
	v_xor_b32_e32 v117, 0x80000000, v124
	v_add_u32_e32 v110, 16, v110
	s_waitcnt lgkmcnt(0)
	v_xor_b32_e32 v119, 0x80000000, v114
	v_cndmask_b32_e32 v116, v122, v115, vcc
	v_cmp_gt_f64_e32 vcc, 0, v[123:124]
	v_mov_b32_e32 v115, v121
	v_cndmask_b32_e32 v118, v124, v117, vcc
	v_cmp_gt_f64_e32 vcc, 0, v[111:112]
	v_mov_b32_e32 v117, v123
	v_add_f64 v[115:116], v[115:116], v[117:118]
	v_xor_b32_e32 v117, 0x80000000, v112
	v_cndmask_b32_e32 v118, v112, v117, vcc
	v_cmp_gt_f64_e32 vcc, 0, v[113:114]
	v_mov_b32_e32 v117, v111
	v_cndmask_b32_e32 v120, v114, v119, vcc
	v_mov_b32_e32 v119, v113
	v_add_f64 v[117:118], v[117:118], v[119:120]
	v_cmp_lt_f64_e32 vcc, v[115:116], v[117:118]
	v_cndmask_b32_e32 v121, v121, v111, vcc
	v_mov_b32_e32 v111, s0
	s_add_i32 s0, s0, 1
	v_cndmask_b32_e32 v122, v122, v112, vcc
	v_cndmask_b32_e32 v124, v124, v114, vcc
	;; [unrolled: 1-line block ×4, first 2 shown]
	s_cmp_lg_u32 s3, s0
	s_cbranch_scc1 .LBB64_148
.LBB64_149:
	s_waitcnt lgkmcnt(0)
	v_cmp_eq_f64_e32 vcc, 0, v[121:122]
	v_cmp_eq_f64_e64 s[0:1], 0, v[123:124]
	s_and_b64 s[0:1], vcc, s[0:1]
	s_and_saveexec_b64 s[18:19], s[0:1]
	s_xor_b64 s[0:1], exec, s[18:19]
; %bb.150:
	v_cmp_ne_u32_e32 vcc, 0, v107
	v_cndmask_b32_e32 v107, 8, v107, vcc
; %bb.151:
	s_andn2_saveexec_b64 s[0:1], s[0:1]
	s_cbranch_execz .LBB64_157
; %bb.152:
	v_cmp_ngt_f64_e64 s[18:19], |v[121:122]|, |v[123:124]|
	s_and_saveexec_b64 s[20:21], s[18:19]
	s_xor_b64 s[18:19], exec, s[20:21]
	s_cbranch_execz .LBB64_154
; %bb.153:
	v_div_scale_f64 v[110:111], s[20:21], v[123:124], v[123:124], v[121:122]
	v_rcp_f64_e32 v[112:113], v[110:111]
	v_fma_f64 v[114:115], -v[110:111], v[112:113], 1.0
	v_fma_f64 v[112:113], v[112:113], v[114:115], v[112:113]
	v_div_scale_f64 v[114:115], vcc, v[121:122], v[123:124], v[121:122]
	v_fma_f64 v[116:117], -v[110:111], v[112:113], 1.0
	v_fma_f64 v[112:113], v[112:113], v[116:117], v[112:113]
	v_mul_f64 v[116:117], v[114:115], v[112:113]
	v_fma_f64 v[110:111], -v[110:111], v[116:117], v[114:115]
	v_div_fmas_f64 v[110:111], v[110:111], v[112:113], v[116:117]
	v_div_fixup_f64 v[110:111], v[110:111], v[123:124], v[121:122]
	v_fma_f64 v[112:113], v[121:122], v[110:111], v[123:124]
	v_div_scale_f64 v[114:115], s[20:21], v[112:113], v[112:113], 1.0
	v_div_scale_f64 v[120:121], vcc, 1.0, v[112:113], 1.0
	v_rcp_f64_e32 v[116:117], v[114:115]
	v_fma_f64 v[118:119], -v[114:115], v[116:117], 1.0
	v_fma_f64 v[116:117], v[116:117], v[118:119], v[116:117]
	v_fma_f64 v[118:119], -v[114:115], v[116:117], 1.0
	v_fma_f64 v[116:117], v[116:117], v[118:119], v[116:117]
	v_mul_f64 v[118:119], v[120:121], v[116:117]
	v_fma_f64 v[114:115], -v[114:115], v[118:119], v[120:121]
	v_div_fmas_f64 v[114:115], v[114:115], v[116:117], v[118:119]
	v_div_fixup_f64 v[123:124], v[114:115], v[112:113], 1.0
	v_mul_f64 v[121:122], v[110:111], v[123:124]
	v_xor_b32_e32 v124, 0x80000000, v124
.LBB64_154:
	s_andn2_saveexec_b64 s[18:19], s[18:19]
	s_cbranch_execz .LBB64_156
; %bb.155:
	v_div_scale_f64 v[110:111], s[20:21], v[121:122], v[121:122], v[123:124]
	v_rcp_f64_e32 v[112:113], v[110:111]
	v_fma_f64 v[114:115], -v[110:111], v[112:113], 1.0
	v_fma_f64 v[112:113], v[112:113], v[114:115], v[112:113]
	v_div_scale_f64 v[114:115], vcc, v[123:124], v[121:122], v[123:124]
	v_fma_f64 v[116:117], -v[110:111], v[112:113], 1.0
	v_fma_f64 v[112:113], v[112:113], v[116:117], v[112:113]
	v_mul_f64 v[116:117], v[114:115], v[112:113]
	v_fma_f64 v[110:111], -v[110:111], v[116:117], v[114:115]
	v_div_fmas_f64 v[110:111], v[110:111], v[112:113], v[116:117]
	v_div_fixup_f64 v[110:111], v[110:111], v[121:122], v[123:124]
	v_fma_f64 v[112:113], v[123:124], v[110:111], v[121:122]
	v_div_scale_f64 v[114:115], s[20:21], v[112:113], v[112:113], 1.0
	v_div_scale_f64 v[120:121], vcc, 1.0, v[112:113], 1.0
	v_rcp_f64_e32 v[116:117], v[114:115]
	v_fma_f64 v[118:119], -v[114:115], v[116:117], 1.0
	v_fma_f64 v[116:117], v[116:117], v[118:119], v[116:117]
	v_fma_f64 v[118:119], -v[114:115], v[116:117], 1.0
	v_fma_f64 v[116:117], v[116:117], v[118:119], v[116:117]
	v_mul_f64 v[118:119], v[120:121], v[116:117]
	v_fma_f64 v[114:115], -v[114:115], v[118:119], v[120:121]
	v_div_fmas_f64 v[114:115], v[114:115], v[116:117], v[118:119]
	v_div_fixup_f64 v[121:122], v[114:115], v[112:113], 1.0
	v_mul_f64 v[123:124], v[110:111], -v[121:122]
.LBB64_156:
	s_or_b64 exec, exec, s[18:19]
.LBB64_157:
	s_or_b64 exec, exec, s[0:1]
	v_cmp_ne_u32_e32 vcc, v108, v109
	s_and_saveexec_b64 s[0:1], vcc
	s_xor_b64 s[0:1], exec, s[0:1]
	s_cbranch_execz .LBB64_163
; %bb.158:
	v_cmp_eq_u32_e32 vcc, 7, v108
	s_and_saveexec_b64 s[18:19], vcc
	s_cbranch_execz .LBB64_162
; %bb.159:
	v_cmp_ne_u32_e32 vcc, 7, v109
	s_xor_b64 s[20:21], s[6:7], -1
	s_and_b64 s[22:23], s[20:21], vcc
	s_and_saveexec_b64 s[20:21], s[22:23]
	s_cbranch_execz .LBB64_161
; %bb.160:
	buffer_load_dword v112, off, s[24:27], 0 offset:80 ; 4-byte Folded Reload
	buffer_load_dword v113, off, s[24:27], 0 offset:84 ; 4-byte Folded Reload
	v_ashrrev_i32_e32 v110, 31, v109
	v_lshlrev_b64 v[110:111], 2, v[109:110]
	s_waitcnt vmcnt(1)
	v_add_co_u32_e32 v110, vcc, v112, v110
	s_waitcnt vmcnt(0)
	v_addc_co_u32_e32 v111, vcc, v113, v111, vcc
	global_load_dword v0, v[110:111], off
	global_load_dword v108, v[112:113], off offset:28
	s_waitcnt vmcnt(1)
	global_store_dword v[112:113], v0, off offset:28
	s_waitcnt vmcnt(1)
	global_store_dword v[110:111], v108, off
.LBB64_161:
	s_or_b64 exec, exec, s[20:21]
	v_mov_b32_e32 v108, v109
	v_mov_b32_e32 v0, v109
.LBB64_162:
	s_or_b64 exec, exec, s[18:19]
.LBB64_163:
	s_andn2_saveexec_b64 s[0:1], s[0:1]
	s_cbranch_execz .LBB64_165
; %bb.164:
	v_mov_b32_e32 v108, 7
	ds_write2_b64 v106, v[97:98], v[99:100] offset0:16 offset1:17
	ds_write2_b64 v106, v[93:94], v[95:96] offset0:18 offset1:19
	;; [unrolled: 1-line block ×25, first 2 shown]
.LBB64_165:
	s_or_b64 exec, exec, s[0:1]
	v_cmp_lt_i32_e32 vcc, 7, v108
	s_waitcnt vmcnt(0) lgkmcnt(0)
	s_barrier
	s_and_saveexec_b64 s[0:1], vcc
	s_cbranch_execz .LBB64_167
; %bb.166:
	v_mul_f64 v[109:110], v[123:124], v[103:104]
	v_mul_f64 v[103:104], v[121:122], v[103:104]
	v_fma_f64 v[125:126], v[121:122], v[101:102], -v[109:110]
	v_fma_f64 v[103:104], v[123:124], v[101:102], v[103:104]
	ds_read2_b64 v[109:112], v106 offset0:16 offset1:17
	s_waitcnt lgkmcnt(0)
	v_mul_f64 v[101:102], v[111:112], v[103:104]
	v_fma_f64 v[101:102], v[109:110], v[125:126], -v[101:102]
	v_mul_f64 v[109:110], v[109:110], v[103:104]
	v_add_f64 v[97:98], v[97:98], -v[101:102]
	v_fma_f64 v[109:110], v[111:112], v[125:126], v[109:110]
	v_add_f64 v[99:100], v[99:100], -v[109:110]
	ds_read2_b64 v[109:112], v106 offset0:18 offset1:19
	s_waitcnt lgkmcnt(0)
	v_mul_f64 v[101:102], v[111:112], v[103:104]
	v_fma_f64 v[101:102], v[109:110], v[125:126], -v[101:102]
	v_mul_f64 v[109:110], v[109:110], v[103:104]
	v_add_f64 v[93:94], v[93:94], -v[101:102]
	v_fma_f64 v[109:110], v[111:112], v[125:126], v[109:110]
	v_add_f64 v[95:96], v[95:96], -v[109:110]
	;; [unrolled: 8-line block ×24, first 2 shown]
	ds_read2_b64 v[109:112], v106 offset0:64 offset1:65
	s_waitcnt lgkmcnt(0)
	v_mul_f64 v[101:102], v[111:112], v[103:104]
	v_fma_f64 v[101:102], v[109:110], v[125:126], -v[101:102]
	v_mul_f64 v[109:110], v[109:110], v[103:104]
	v_add_f64 v[89:90], v[89:90], -v[101:102]
	v_fma_f64 v[109:110], v[111:112], v[125:126], v[109:110]
	v_mov_b32_e32 v101, v125
	v_mov_b32_e32 v102, v126
	v_add_f64 v[91:92], v[91:92], -v[109:110]
.LBB64_167:
	s_or_b64 exec, exec, s[0:1]
	v_lshl_add_u32 v109, v108, 4, v106
	s_barrier
	ds_write2_b64 v109, v[97:98], v[99:100] offset1:1
	s_waitcnt lgkmcnt(0)
	s_barrier
	ds_read2_b64 v[121:124], v106 offset0:16 offset1:17
	s_cmp_lt_i32 s3, 10
	v_mov_b32_e32 v109, 8
	s_cbranch_scc1 .LBB64_170
; %bb.168:
	v_add_u32_e32 v110, 0x90, v106
	s_mov_b32 s0, 9
	v_mov_b32_e32 v109, 8
.LBB64_169:                             ; =>This Inner Loop Header: Depth=1
	s_waitcnt lgkmcnt(0)
	v_cmp_gt_f64_e32 vcc, 0, v[121:122]
	v_xor_b32_e32 v115, 0x80000000, v122
	ds_read2_b64 v[111:114], v110 offset1:1
	v_xor_b32_e32 v117, 0x80000000, v124
	v_add_u32_e32 v110, 16, v110
	s_waitcnt lgkmcnt(0)
	v_xor_b32_e32 v119, 0x80000000, v114
	v_cndmask_b32_e32 v116, v122, v115, vcc
	v_cmp_gt_f64_e32 vcc, 0, v[123:124]
	v_mov_b32_e32 v115, v121
	v_cndmask_b32_e32 v118, v124, v117, vcc
	v_cmp_gt_f64_e32 vcc, 0, v[111:112]
	v_mov_b32_e32 v117, v123
	v_add_f64 v[115:116], v[115:116], v[117:118]
	v_xor_b32_e32 v117, 0x80000000, v112
	v_cndmask_b32_e32 v118, v112, v117, vcc
	v_cmp_gt_f64_e32 vcc, 0, v[113:114]
	v_mov_b32_e32 v117, v111
	v_cndmask_b32_e32 v120, v114, v119, vcc
	v_mov_b32_e32 v119, v113
	v_add_f64 v[117:118], v[117:118], v[119:120]
	v_cmp_lt_f64_e32 vcc, v[115:116], v[117:118]
	v_cndmask_b32_e32 v121, v121, v111, vcc
	v_mov_b32_e32 v111, s0
	s_add_i32 s0, s0, 1
	v_cndmask_b32_e32 v122, v122, v112, vcc
	v_cndmask_b32_e32 v124, v124, v114, vcc
	v_cndmask_b32_e32 v123, v123, v113, vcc
	v_cndmask_b32_e32 v109, v109, v111, vcc
	s_cmp_lg_u32 s3, s0
	s_cbranch_scc1 .LBB64_169
.LBB64_170:
	s_waitcnt lgkmcnt(0)
	v_cmp_eq_f64_e32 vcc, 0, v[121:122]
	v_cmp_eq_f64_e64 s[0:1], 0, v[123:124]
	s_and_b64 s[0:1], vcc, s[0:1]
	s_and_saveexec_b64 s[18:19], s[0:1]
	s_xor_b64 s[0:1], exec, s[18:19]
; %bb.171:
	v_cmp_ne_u32_e32 vcc, 0, v107
	v_cndmask_b32_e32 v107, 9, v107, vcc
; %bb.172:
	s_andn2_saveexec_b64 s[0:1], s[0:1]
	s_cbranch_execz .LBB64_178
; %bb.173:
	v_cmp_ngt_f64_e64 s[18:19], |v[121:122]|, |v[123:124]|
	s_and_saveexec_b64 s[20:21], s[18:19]
	s_xor_b64 s[18:19], exec, s[20:21]
	s_cbranch_execz .LBB64_175
; %bb.174:
	v_div_scale_f64 v[110:111], s[20:21], v[123:124], v[123:124], v[121:122]
	v_rcp_f64_e32 v[112:113], v[110:111]
	v_fma_f64 v[114:115], -v[110:111], v[112:113], 1.0
	v_fma_f64 v[112:113], v[112:113], v[114:115], v[112:113]
	v_div_scale_f64 v[114:115], vcc, v[121:122], v[123:124], v[121:122]
	v_fma_f64 v[116:117], -v[110:111], v[112:113], 1.0
	v_fma_f64 v[112:113], v[112:113], v[116:117], v[112:113]
	v_mul_f64 v[116:117], v[114:115], v[112:113]
	v_fma_f64 v[110:111], -v[110:111], v[116:117], v[114:115]
	v_div_fmas_f64 v[110:111], v[110:111], v[112:113], v[116:117]
	v_div_fixup_f64 v[110:111], v[110:111], v[123:124], v[121:122]
	v_fma_f64 v[112:113], v[121:122], v[110:111], v[123:124]
	v_div_scale_f64 v[114:115], s[20:21], v[112:113], v[112:113], 1.0
	v_div_scale_f64 v[120:121], vcc, 1.0, v[112:113], 1.0
	v_rcp_f64_e32 v[116:117], v[114:115]
	v_fma_f64 v[118:119], -v[114:115], v[116:117], 1.0
	v_fma_f64 v[116:117], v[116:117], v[118:119], v[116:117]
	v_fma_f64 v[118:119], -v[114:115], v[116:117], 1.0
	v_fma_f64 v[116:117], v[116:117], v[118:119], v[116:117]
	v_mul_f64 v[118:119], v[120:121], v[116:117]
	v_fma_f64 v[114:115], -v[114:115], v[118:119], v[120:121]
	v_div_fmas_f64 v[114:115], v[114:115], v[116:117], v[118:119]
	v_div_fixup_f64 v[123:124], v[114:115], v[112:113], 1.0
	v_mul_f64 v[121:122], v[110:111], v[123:124]
	v_xor_b32_e32 v124, 0x80000000, v124
.LBB64_175:
	s_andn2_saveexec_b64 s[18:19], s[18:19]
	s_cbranch_execz .LBB64_177
; %bb.176:
	v_div_scale_f64 v[110:111], s[20:21], v[121:122], v[121:122], v[123:124]
	v_rcp_f64_e32 v[112:113], v[110:111]
	v_fma_f64 v[114:115], -v[110:111], v[112:113], 1.0
	v_fma_f64 v[112:113], v[112:113], v[114:115], v[112:113]
	v_div_scale_f64 v[114:115], vcc, v[123:124], v[121:122], v[123:124]
	v_fma_f64 v[116:117], -v[110:111], v[112:113], 1.0
	v_fma_f64 v[112:113], v[112:113], v[116:117], v[112:113]
	v_mul_f64 v[116:117], v[114:115], v[112:113]
	v_fma_f64 v[110:111], -v[110:111], v[116:117], v[114:115]
	v_div_fmas_f64 v[110:111], v[110:111], v[112:113], v[116:117]
	v_div_fixup_f64 v[110:111], v[110:111], v[121:122], v[123:124]
	v_fma_f64 v[112:113], v[123:124], v[110:111], v[121:122]
	v_div_scale_f64 v[114:115], s[20:21], v[112:113], v[112:113], 1.0
	v_div_scale_f64 v[120:121], vcc, 1.0, v[112:113], 1.0
	v_rcp_f64_e32 v[116:117], v[114:115]
	v_fma_f64 v[118:119], -v[114:115], v[116:117], 1.0
	v_fma_f64 v[116:117], v[116:117], v[118:119], v[116:117]
	v_fma_f64 v[118:119], -v[114:115], v[116:117], 1.0
	v_fma_f64 v[116:117], v[116:117], v[118:119], v[116:117]
	v_mul_f64 v[118:119], v[120:121], v[116:117]
	v_fma_f64 v[114:115], -v[114:115], v[118:119], v[120:121]
	v_div_fmas_f64 v[114:115], v[114:115], v[116:117], v[118:119]
	v_div_fixup_f64 v[121:122], v[114:115], v[112:113], 1.0
	v_mul_f64 v[123:124], v[110:111], -v[121:122]
.LBB64_177:
	s_or_b64 exec, exec, s[18:19]
.LBB64_178:
	s_or_b64 exec, exec, s[0:1]
	v_cmp_ne_u32_e32 vcc, v108, v109
	s_and_saveexec_b64 s[0:1], vcc
	s_xor_b64 s[0:1], exec, s[0:1]
	s_cbranch_execz .LBB64_184
; %bb.179:
	v_cmp_eq_u32_e32 vcc, 8, v108
	s_and_saveexec_b64 s[18:19], vcc
	s_cbranch_execz .LBB64_183
; %bb.180:
	v_cmp_ne_u32_e32 vcc, 8, v109
	s_xor_b64 s[20:21], s[6:7], -1
	s_and_b64 s[22:23], s[20:21], vcc
	s_and_saveexec_b64 s[20:21], s[22:23]
	s_cbranch_execz .LBB64_182
; %bb.181:
	buffer_load_dword v112, off, s[24:27], 0 offset:80 ; 4-byte Folded Reload
	buffer_load_dword v113, off, s[24:27], 0 offset:84 ; 4-byte Folded Reload
	v_ashrrev_i32_e32 v110, 31, v109
	v_lshlrev_b64 v[110:111], 2, v[109:110]
	s_waitcnt vmcnt(1)
	v_add_co_u32_e32 v110, vcc, v112, v110
	s_waitcnt vmcnt(0)
	v_addc_co_u32_e32 v111, vcc, v113, v111, vcc
	global_load_dword v0, v[110:111], off
	global_load_dword v108, v[112:113], off offset:32
	s_waitcnt vmcnt(1)
	global_store_dword v[112:113], v0, off offset:32
	s_waitcnt vmcnt(1)
	global_store_dword v[110:111], v108, off
.LBB64_182:
	s_or_b64 exec, exec, s[20:21]
	v_mov_b32_e32 v108, v109
	v_mov_b32_e32 v0, v109
.LBB64_183:
	s_or_b64 exec, exec, s[18:19]
.LBB64_184:
	s_andn2_saveexec_b64 s[0:1], s[0:1]
	s_cbranch_execz .LBB64_186
; %bb.185:
	v_mov_b32_e32 v108, 8
	ds_write2_b64 v106, v[93:94], v[95:96] offset0:18 offset1:19
	ds_write2_b64 v106, v[85:86], v[87:88] offset0:20 offset1:21
	;; [unrolled: 1-line block ×24, first 2 shown]
.LBB64_186:
	s_or_b64 exec, exec, s[0:1]
	v_cmp_lt_i32_e32 vcc, 8, v108
	s_waitcnt vmcnt(0) lgkmcnt(0)
	s_barrier
	s_and_saveexec_b64 s[0:1], vcc
	s_cbranch_execz .LBB64_188
; %bb.187:
	v_mul_f64 v[109:110], v[123:124], v[99:100]
	v_mul_f64 v[99:100], v[121:122], v[99:100]
	v_fma_f64 v[125:126], v[121:122], v[97:98], -v[109:110]
	v_fma_f64 v[99:100], v[123:124], v[97:98], v[99:100]
	ds_read2_b64 v[109:112], v106 offset0:18 offset1:19
	s_waitcnt lgkmcnt(0)
	v_mul_f64 v[97:98], v[111:112], v[99:100]
	v_fma_f64 v[97:98], v[109:110], v[125:126], -v[97:98]
	v_mul_f64 v[109:110], v[109:110], v[99:100]
	v_add_f64 v[93:94], v[93:94], -v[97:98]
	v_fma_f64 v[109:110], v[111:112], v[125:126], v[109:110]
	v_add_f64 v[95:96], v[95:96], -v[109:110]
	ds_read2_b64 v[109:112], v106 offset0:20 offset1:21
	s_waitcnt lgkmcnt(0)
	v_mul_f64 v[97:98], v[111:112], v[99:100]
	v_fma_f64 v[97:98], v[109:110], v[125:126], -v[97:98]
	v_mul_f64 v[109:110], v[109:110], v[99:100]
	v_add_f64 v[85:86], v[85:86], -v[97:98]
	v_fma_f64 v[109:110], v[111:112], v[125:126], v[109:110]
	v_add_f64 v[87:88], v[87:88], -v[109:110]
	;; [unrolled: 8-line block ×23, first 2 shown]
	ds_read2_b64 v[109:112], v106 offset0:64 offset1:65
	s_waitcnt lgkmcnt(0)
	v_mul_f64 v[97:98], v[111:112], v[99:100]
	v_fma_f64 v[97:98], v[109:110], v[125:126], -v[97:98]
	v_mul_f64 v[109:110], v[109:110], v[99:100]
	v_add_f64 v[89:90], v[89:90], -v[97:98]
	v_fma_f64 v[109:110], v[111:112], v[125:126], v[109:110]
	v_mov_b32_e32 v97, v125
	v_mov_b32_e32 v98, v126
	v_add_f64 v[91:92], v[91:92], -v[109:110]
.LBB64_188:
	s_or_b64 exec, exec, s[0:1]
	v_lshl_add_u32 v109, v108, 4, v106
	s_barrier
	ds_write2_b64 v109, v[93:94], v[95:96] offset1:1
	s_waitcnt lgkmcnt(0)
	s_barrier
	ds_read2_b64 v[121:124], v106 offset0:18 offset1:19
	s_cmp_lt_i32 s3, 11
	v_mov_b32_e32 v109, 9
	s_cbranch_scc1 .LBB64_191
; %bb.189:
	v_add_u32_e32 v110, 0xa0, v106
	s_mov_b32 s0, 10
	v_mov_b32_e32 v109, 9
.LBB64_190:                             ; =>This Inner Loop Header: Depth=1
	s_waitcnt lgkmcnt(0)
	v_cmp_gt_f64_e32 vcc, 0, v[121:122]
	v_xor_b32_e32 v115, 0x80000000, v122
	ds_read2_b64 v[111:114], v110 offset1:1
	v_xor_b32_e32 v117, 0x80000000, v124
	v_add_u32_e32 v110, 16, v110
	s_waitcnt lgkmcnt(0)
	v_xor_b32_e32 v119, 0x80000000, v114
	v_cndmask_b32_e32 v116, v122, v115, vcc
	v_cmp_gt_f64_e32 vcc, 0, v[123:124]
	v_mov_b32_e32 v115, v121
	v_cndmask_b32_e32 v118, v124, v117, vcc
	v_cmp_gt_f64_e32 vcc, 0, v[111:112]
	v_mov_b32_e32 v117, v123
	v_add_f64 v[115:116], v[115:116], v[117:118]
	v_xor_b32_e32 v117, 0x80000000, v112
	v_cndmask_b32_e32 v118, v112, v117, vcc
	v_cmp_gt_f64_e32 vcc, 0, v[113:114]
	v_mov_b32_e32 v117, v111
	v_cndmask_b32_e32 v120, v114, v119, vcc
	v_mov_b32_e32 v119, v113
	v_add_f64 v[117:118], v[117:118], v[119:120]
	v_cmp_lt_f64_e32 vcc, v[115:116], v[117:118]
	v_cndmask_b32_e32 v121, v121, v111, vcc
	v_mov_b32_e32 v111, s0
	s_add_i32 s0, s0, 1
	v_cndmask_b32_e32 v122, v122, v112, vcc
	v_cndmask_b32_e32 v124, v124, v114, vcc
	;; [unrolled: 1-line block ×4, first 2 shown]
	s_cmp_lg_u32 s3, s0
	s_cbranch_scc1 .LBB64_190
.LBB64_191:
	s_waitcnt lgkmcnt(0)
	v_cmp_eq_f64_e32 vcc, 0, v[121:122]
	v_cmp_eq_f64_e64 s[0:1], 0, v[123:124]
	s_and_b64 s[0:1], vcc, s[0:1]
	s_and_saveexec_b64 s[18:19], s[0:1]
	s_xor_b64 s[0:1], exec, s[18:19]
; %bb.192:
	v_cmp_ne_u32_e32 vcc, 0, v107
	v_cndmask_b32_e32 v107, 10, v107, vcc
; %bb.193:
	s_andn2_saveexec_b64 s[0:1], s[0:1]
	s_cbranch_execz .LBB64_199
; %bb.194:
	v_cmp_ngt_f64_e64 s[18:19], |v[121:122]|, |v[123:124]|
	s_and_saveexec_b64 s[20:21], s[18:19]
	s_xor_b64 s[18:19], exec, s[20:21]
	s_cbranch_execz .LBB64_196
; %bb.195:
	v_div_scale_f64 v[110:111], s[20:21], v[123:124], v[123:124], v[121:122]
	v_rcp_f64_e32 v[112:113], v[110:111]
	v_fma_f64 v[114:115], -v[110:111], v[112:113], 1.0
	v_fma_f64 v[112:113], v[112:113], v[114:115], v[112:113]
	v_div_scale_f64 v[114:115], vcc, v[121:122], v[123:124], v[121:122]
	v_fma_f64 v[116:117], -v[110:111], v[112:113], 1.0
	v_fma_f64 v[112:113], v[112:113], v[116:117], v[112:113]
	v_mul_f64 v[116:117], v[114:115], v[112:113]
	v_fma_f64 v[110:111], -v[110:111], v[116:117], v[114:115]
	v_div_fmas_f64 v[110:111], v[110:111], v[112:113], v[116:117]
	v_div_fixup_f64 v[110:111], v[110:111], v[123:124], v[121:122]
	v_fma_f64 v[112:113], v[121:122], v[110:111], v[123:124]
	v_div_scale_f64 v[114:115], s[20:21], v[112:113], v[112:113], 1.0
	v_div_scale_f64 v[120:121], vcc, 1.0, v[112:113], 1.0
	v_rcp_f64_e32 v[116:117], v[114:115]
	v_fma_f64 v[118:119], -v[114:115], v[116:117], 1.0
	v_fma_f64 v[116:117], v[116:117], v[118:119], v[116:117]
	v_fma_f64 v[118:119], -v[114:115], v[116:117], 1.0
	v_fma_f64 v[116:117], v[116:117], v[118:119], v[116:117]
	v_mul_f64 v[118:119], v[120:121], v[116:117]
	v_fma_f64 v[114:115], -v[114:115], v[118:119], v[120:121]
	v_div_fmas_f64 v[114:115], v[114:115], v[116:117], v[118:119]
	v_div_fixup_f64 v[123:124], v[114:115], v[112:113], 1.0
	v_mul_f64 v[121:122], v[110:111], v[123:124]
	v_xor_b32_e32 v124, 0x80000000, v124
.LBB64_196:
	s_andn2_saveexec_b64 s[18:19], s[18:19]
	s_cbranch_execz .LBB64_198
; %bb.197:
	v_div_scale_f64 v[110:111], s[20:21], v[121:122], v[121:122], v[123:124]
	v_rcp_f64_e32 v[112:113], v[110:111]
	v_fma_f64 v[114:115], -v[110:111], v[112:113], 1.0
	v_fma_f64 v[112:113], v[112:113], v[114:115], v[112:113]
	v_div_scale_f64 v[114:115], vcc, v[123:124], v[121:122], v[123:124]
	v_fma_f64 v[116:117], -v[110:111], v[112:113], 1.0
	v_fma_f64 v[112:113], v[112:113], v[116:117], v[112:113]
	v_mul_f64 v[116:117], v[114:115], v[112:113]
	v_fma_f64 v[110:111], -v[110:111], v[116:117], v[114:115]
	v_div_fmas_f64 v[110:111], v[110:111], v[112:113], v[116:117]
	v_div_fixup_f64 v[110:111], v[110:111], v[121:122], v[123:124]
	v_fma_f64 v[112:113], v[123:124], v[110:111], v[121:122]
	v_div_scale_f64 v[114:115], s[20:21], v[112:113], v[112:113], 1.0
	v_div_scale_f64 v[120:121], vcc, 1.0, v[112:113], 1.0
	v_rcp_f64_e32 v[116:117], v[114:115]
	v_fma_f64 v[118:119], -v[114:115], v[116:117], 1.0
	v_fma_f64 v[116:117], v[116:117], v[118:119], v[116:117]
	v_fma_f64 v[118:119], -v[114:115], v[116:117], 1.0
	v_fma_f64 v[116:117], v[116:117], v[118:119], v[116:117]
	v_mul_f64 v[118:119], v[120:121], v[116:117]
	v_fma_f64 v[114:115], -v[114:115], v[118:119], v[120:121]
	v_div_fmas_f64 v[114:115], v[114:115], v[116:117], v[118:119]
	v_div_fixup_f64 v[121:122], v[114:115], v[112:113], 1.0
	v_mul_f64 v[123:124], v[110:111], -v[121:122]
.LBB64_198:
	s_or_b64 exec, exec, s[18:19]
.LBB64_199:
	s_or_b64 exec, exec, s[0:1]
	v_cmp_ne_u32_e32 vcc, v108, v109
	s_and_saveexec_b64 s[0:1], vcc
	s_xor_b64 s[0:1], exec, s[0:1]
	s_cbranch_execz .LBB64_205
; %bb.200:
	v_cmp_eq_u32_e32 vcc, 9, v108
	s_and_saveexec_b64 s[18:19], vcc
	s_cbranch_execz .LBB64_204
; %bb.201:
	v_cmp_ne_u32_e32 vcc, 9, v109
	s_xor_b64 s[20:21], s[6:7], -1
	s_and_b64 s[22:23], s[20:21], vcc
	s_and_saveexec_b64 s[20:21], s[22:23]
	s_cbranch_execz .LBB64_203
; %bb.202:
	buffer_load_dword v112, off, s[24:27], 0 offset:80 ; 4-byte Folded Reload
	buffer_load_dword v113, off, s[24:27], 0 offset:84 ; 4-byte Folded Reload
	v_ashrrev_i32_e32 v110, 31, v109
	v_lshlrev_b64 v[110:111], 2, v[109:110]
	s_waitcnt vmcnt(1)
	v_add_co_u32_e32 v110, vcc, v112, v110
	s_waitcnt vmcnt(0)
	v_addc_co_u32_e32 v111, vcc, v113, v111, vcc
	global_load_dword v0, v[110:111], off
	global_load_dword v108, v[112:113], off offset:36
	s_waitcnt vmcnt(1)
	global_store_dword v[112:113], v0, off offset:36
	s_waitcnt vmcnt(1)
	global_store_dword v[110:111], v108, off
.LBB64_203:
	s_or_b64 exec, exec, s[20:21]
	v_mov_b32_e32 v108, v109
	v_mov_b32_e32 v0, v109
.LBB64_204:
	s_or_b64 exec, exec, s[18:19]
.LBB64_205:
	s_andn2_saveexec_b64 s[0:1], s[0:1]
	s_cbranch_execz .LBB64_207
; %bb.206:
	v_mov_b32_e32 v108, 9
	ds_write2_b64 v106, v[85:86], v[87:88] offset0:20 offset1:21
	ds_write2_b64 v106, v[81:82], v[83:84] offset0:22 offset1:23
	;; [unrolled: 1-line block ×23, first 2 shown]
.LBB64_207:
	s_or_b64 exec, exec, s[0:1]
	v_cmp_lt_i32_e32 vcc, 9, v108
	s_waitcnt vmcnt(0) lgkmcnt(0)
	s_barrier
	s_and_saveexec_b64 s[0:1], vcc
	s_cbranch_execz .LBB64_209
; %bb.208:
	v_mul_f64 v[109:110], v[123:124], v[95:96]
	v_mul_f64 v[95:96], v[121:122], v[95:96]
	v_fma_f64 v[125:126], v[121:122], v[93:94], -v[109:110]
	v_fma_f64 v[95:96], v[123:124], v[93:94], v[95:96]
	ds_read2_b64 v[109:112], v106 offset0:20 offset1:21
	s_waitcnt lgkmcnt(0)
	v_mul_f64 v[93:94], v[111:112], v[95:96]
	v_fma_f64 v[93:94], v[109:110], v[125:126], -v[93:94]
	v_mul_f64 v[109:110], v[109:110], v[95:96]
	v_add_f64 v[85:86], v[85:86], -v[93:94]
	v_fma_f64 v[109:110], v[111:112], v[125:126], v[109:110]
	v_add_f64 v[87:88], v[87:88], -v[109:110]
	ds_read2_b64 v[109:112], v106 offset0:22 offset1:23
	s_waitcnt lgkmcnt(0)
	v_mul_f64 v[93:94], v[111:112], v[95:96]
	v_fma_f64 v[93:94], v[109:110], v[125:126], -v[93:94]
	v_mul_f64 v[109:110], v[109:110], v[95:96]
	v_add_f64 v[81:82], v[81:82], -v[93:94]
	v_fma_f64 v[109:110], v[111:112], v[125:126], v[109:110]
	v_add_f64 v[83:84], v[83:84], -v[109:110]
	;; [unrolled: 8-line block ×22, first 2 shown]
	ds_read2_b64 v[109:112], v106 offset0:64 offset1:65
	s_waitcnt lgkmcnt(0)
	v_mul_f64 v[93:94], v[111:112], v[95:96]
	v_fma_f64 v[93:94], v[109:110], v[125:126], -v[93:94]
	v_mul_f64 v[109:110], v[109:110], v[95:96]
	v_add_f64 v[89:90], v[89:90], -v[93:94]
	v_fma_f64 v[109:110], v[111:112], v[125:126], v[109:110]
	v_mov_b32_e32 v93, v125
	v_mov_b32_e32 v94, v126
	v_add_f64 v[91:92], v[91:92], -v[109:110]
.LBB64_209:
	s_or_b64 exec, exec, s[0:1]
	v_lshl_add_u32 v109, v108, 4, v106
	s_barrier
	ds_write2_b64 v109, v[85:86], v[87:88] offset1:1
	s_waitcnt lgkmcnt(0)
	s_barrier
	ds_read2_b64 v[121:124], v106 offset0:20 offset1:21
	s_cmp_lt_i32 s3, 12
	v_mov_b32_e32 v109, 10
	s_cbranch_scc1 .LBB64_212
; %bb.210:
	v_add_u32_e32 v110, 0xb0, v106
	s_mov_b32 s0, 11
	v_mov_b32_e32 v109, 10
.LBB64_211:                             ; =>This Inner Loop Header: Depth=1
	s_waitcnt lgkmcnt(0)
	v_cmp_gt_f64_e32 vcc, 0, v[121:122]
	v_xor_b32_e32 v115, 0x80000000, v122
	ds_read2_b64 v[111:114], v110 offset1:1
	v_xor_b32_e32 v117, 0x80000000, v124
	v_add_u32_e32 v110, 16, v110
	s_waitcnt lgkmcnt(0)
	v_xor_b32_e32 v119, 0x80000000, v114
	v_cndmask_b32_e32 v116, v122, v115, vcc
	v_cmp_gt_f64_e32 vcc, 0, v[123:124]
	v_mov_b32_e32 v115, v121
	v_cndmask_b32_e32 v118, v124, v117, vcc
	v_cmp_gt_f64_e32 vcc, 0, v[111:112]
	v_mov_b32_e32 v117, v123
	v_add_f64 v[115:116], v[115:116], v[117:118]
	v_xor_b32_e32 v117, 0x80000000, v112
	v_cndmask_b32_e32 v118, v112, v117, vcc
	v_cmp_gt_f64_e32 vcc, 0, v[113:114]
	v_mov_b32_e32 v117, v111
	v_cndmask_b32_e32 v120, v114, v119, vcc
	v_mov_b32_e32 v119, v113
	v_add_f64 v[117:118], v[117:118], v[119:120]
	v_cmp_lt_f64_e32 vcc, v[115:116], v[117:118]
	v_cndmask_b32_e32 v121, v121, v111, vcc
	v_mov_b32_e32 v111, s0
	s_add_i32 s0, s0, 1
	v_cndmask_b32_e32 v122, v122, v112, vcc
	v_cndmask_b32_e32 v124, v124, v114, vcc
	;; [unrolled: 1-line block ×4, first 2 shown]
	s_cmp_lg_u32 s3, s0
	s_cbranch_scc1 .LBB64_211
.LBB64_212:
	s_waitcnt lgkmcnt(0)
	v_cmp_eq_f64_e32 vcc, 0, v[121:122]
	v_cmp_eq_f64_e64 s[0:1], 0, v[123:124]
	s_and_b64 s[0:1], vcc, s[0:1]
	s_and_saveexec_b64 s[18:19], s[0:1]
	s_xor_b64 s[0:1], exec, s[18:19]
; %bb.213:
	v_cmp_ne_u32_e32 vcc, 0, v107
	v_cndmask_b32_e32 v107, 11, v107, vcc
; %bb.214:
	s_andn2_saveexec_b64 s[0:1], s[0:1]
	s_cbranch_execz .LBB64_220
; %bb.215:
	v_cmp_ngt_f64_e64 s[18:19], |v[121:122]|, |v[123:124]|
	s_and_saveexec_b64 s[20:21], s[18:19]
	s_xor_b64 s[18:19], exec, s[20:21]
	s_cbranch_execz .LBB64_217
; %bb.216:
	v_div_scale_f64 v[110:111], s[20:21], v[123:124], v[123:124], v[121:122]
	v_rcp_f64_e32 v[112:113], v[110:111]
	v_fma_f64 v[114:115], -v[110:111], v[112:113], 1.0
	v_fma_f64 v[112:113], v[112:113], v[114:115], v[112:113]
	v_div_scale_f64 v[114:115], vcc, v[121:122], v[123:124], v[121:122]
	v_fma_f64 v[116:117], -v[110:111], v[112:113], 1.0
	v_fma_f64 v[112:113], v[112:113], v[116:117], v[112:113]
	v_mul_f64 v[116:117], v[114:115], v[112:113]
	v_fma_f64 v[110:111], -v[110:111], v[116:117], v[114:115]
	v_div_fmas_f64 v[110:111], v[110:111], v[112:113], v[116:117]
	v_div_fixup_f64 v[110:111], v[110:111], v[123:124], v[121:122]
	v_fma_f64 v[112:113], v[121:122], v[110:111], v[123:124]
	v_div_scale_f64 v[114:115], s[20:21], v[112:113], v[112:113], 1.0
	v_div_scale_f64 v[120:121], vcc, 1.0, v[112:113], 1.0
	v_rcp_f64_e32 v[116:117], v[114:115]
	v_fma_f64 v[118:119], -v[114:115], v[116:117], 1.0
	v_fma_f64 v[116:117], v[116:117], v[118:119], v[116:117]
	v_fma_f64 v[118:119], -v[114:115], v[116:117], 1.0
	v_fma_f64 v[116:117], v[116:117], v[118:119], v[116:117]
	v_mul_f64 v[118:119], v[120:121], v[116:117]
	v_fma_f64 v[114:115], -v[114:115], v[118:119], v[120:121]
	v_div_fmas_f64 v[114:115], v[114:115], v[116:117], v[118:119]
	v_div_fixup_f64 v[123:124], v[114:115], v[112:113], 1.0
	v_mul_f64 v[121:122], v[110:111], v[123:124]
	v_xor_b32_e32 v124, 0x80000000, v124
.LBB64_217:
	s_andn2_saveexec_b64 s[18:19], s[18:19]
	s_cbranch_execz .LBB64_219
; %bb.218:
	v_div_scale_f64 v[110:111], s[20:21], v[121:122], v[121:122], v[123:124]
	v_rcp_f64_e32 v[112:113], v[110:111]
	v_fma_f64 v[114:115], -v[110:111], v[112:113], 1.0
	v_fma_f64 v[112:113], v[112:113], v[114:115], v[112:113]
	v_div_scale_f64 v[114:115], vcc, v[123:124], v[121:122], v[123:124]
	v_fma_f64 v[116:117], -v[110:111], v[112:113], 1.0
	v_fma_f64 v[112:113], v[112:113], v[116:117], v[112:113]
	v_mul_f64 v[116:117], v[114:115], v[112:113]
	v_fma_f64 v[110:111], -v[110:111], v[116:117], v[114:115]
	v_div_fmas_f64 v[110:111], v[110:111], v[112:113], v[116:117]
	v_div_fixup_f64 v[110:111], v[110:111], v[121:122], v[123:124]
	v_fma_f64 v[112:113], v[123:124], v[110:111], v[121:122]
	v_div_scale_f64 v[114:115], s[20:21], v[112:113], v[112:113], 1.0
	v_div_scale_f64 v[120:121], vcc, 1.0, v[112:113], 1.0
	v_rcp_f64_e32 v[116:117], v[114:115]
	v_fma_f64 v[118:119], -v[114:115], v[116:117], 1.0
	v_fma_f64 v[116:117], v[116:117], v[118:119], v[116:117]
	v_fma_f64 v[118:119], -v[114:115], v[116:117], 1.0
	v_fma_f64 v[116:117], v[116:117], v[118:119], v[116:117]
	v_mul_f64 v[118:119], v[120:121], v[116:117]
	v_fma_f64 v[114:115], -v[114:115], v[118:119], v[120:121]
	v_div_fmas_f64 v[114:115], v[114:115], v[116:117], v[118:119]
	v_div_fixup_f64 v[121:122], v[114:115], v[112:113], 1.0
	v_mul_f64 v[123:124], v[110:111], -v[121:122]
.LBB64_219:
	s_or_b64 exec, exec, s[18:19]
.LBB64_220:
	s_or_b64 exec, exec, s[0:1]
	v_cmp_ne_u32_e32 vcc, v108, v109
	s_and_saveexec_b64 s[0:1], vcc
	s_xor_b64 s[0:1], exec, s[0:1]
	s_cbranch_execz .LBB64_226
; %bb.221:
	v_cmp_eq_u32_e32 vcc, 10, v108
	s_and_saveexec_b64 s[18:19], vcc
	s_cbranch_execz .LBB64_225
; %bb.222:
	v_cmp_ne_u32_e32 vcc, 10, v109
	s_xor_b64 s[20:21], s[6:7], -1
	s_and_b64 s[22:23], s[20:21], vcc
	s_and_saveexec_b64 s[20:21], s[22:23]
	s_cbranch_execz .LBB64_224
; %bb.223:
	buffer_load_dword v112, off, s[24:27], 0 offset:80 ; 4-byte Folded Reload
	buffer_load_dword v113, off, s[24:27], 0 offset:84 ; 4-byte Folded Reload
	v_ashrrev_i32_e32 v110, 31, v109
	v_lshlrev_b64 v[110:111], 2, v[109:110]
	s_waitcnt vmcnt(1)
	v_add_co_u32_e32 v110, vcc, v112, v110
	s_waitcnt vmcnt(0)
	v_addc_co_u32_e32 v111, vcc, v113, v111, vcc
	global_load_dword v0, v[110:111], off
	global_load_dword v108, v[112:113], off offset:40
	s_waitcnt vmcnt(1)
	global_store_dword v[112:113], v0, off offset:40
	s_waitcnt vmcnt(1)
	global_store_dword v[110:111], v108, off
.LBB64_224:
	s_or_b64 exec, exec, s[20:21]
	v_mov_b32_e32 v108, v109
	v_mov_b32_e32 v0, v109
.LBB64_225:
	s_or_b64 exec, exec, s[18:19]
.LBB64_226:
	s_andn2_saveexec_b64 s[0:1], s[0:1]
	s_cbranch_execz .LBB64_228
; %bb.227:
	v_mov_b32_e32 v108, 10
	ds_write2_b64 v106, v[81:82], v[83:84] offset0:22 offset1:23
	ds_write2_b64 v106, v[77:78], v[79:80] offset0:24 offset1:25
	;; [unrolled: 1-line block ×22, first 2 shown]
.LBB64_228:
	s_or_b64 exec, exec, s[0:1]
	v_cmp_lt_i32_e32 vcc, 10, v108
	s_waitcnt vmcnt(0) lgkmcnt(0)
	s_barrier
	s_and_saveexec_b64 s[0:1], vcc
	s_cbranch_execz .LBB64_230
; %bb.229:
	v_mul_f64 v[109:110], v[123:124], v[87:88]
	v_mul_f64 v[87:88], v[121:122], v[87:88]
	v_fma_f64 v[125:126], v[121:122], v[85:86], -v[109:110]
	v_fma_f64 v[87:88], v[123:124], v[85:86], v[87:88]
	ds_read2_b64 v[109:112], v106 offset0:22 offset1:23
	s_waitcnt lgkmcnt(0)
	v_mul_f64 v[85:86], v[111:112], v[87:88]
	v_fma_f64 v[85:86], v[109:110], v[125:126], -v[85:86]
	v_mul_f64 v[109:110], v[109:110], v[87:88]
	v_add_f64 v[81:82], v[81:82], -v[85:86]
	v_fma_f64 v[109:110], v[111:112], v[125:126], v[109:110]
	v_add_f64 v[83:84], v[83:84], -v[109:110]
	ds_read2_b64 v[109:112], v106 offset0:24 offset1:25
	s_waitcnt lgkmcnt(0)
	v_mul_f64 v[85:86], v[111:112], v[87:88]
	v_fma_f64 v[85:86], v[109:110], v[125:126], -v[85:86]
	v_mul_f64 v[109:110], v[109:110], v[87:88]
	v_add_f64 v[77:78], v[77:78], -v[85:86]
	v_fma_f64 v[109:110], v[111:112], v[125:126], v[109:110]
	v_add_f64 v[79:80], v[79:80], -v[109:110]
	;; [unrolled: 8-line block ×21, first 2 shown]
	ds_read2_b64 v[109:112], v106 offset0:64 offset1:65
	s_waitcnt lgkmcnt(0)
	v_mul_f64 v[85:86], v[111:112], v[87:88]
	v_fma_f64 v[85:86], v[109:110], v[125:126], -v[85:86]
	v_mul_f64 v[109:110], v[109:110], v[87:88]
	v_add_f64 v[89:90], v[89:90], -v[85:86]
	v_fma_f64 v[109:110], v[111:112], v[125:126], v[109:110]
	v_mov_b32_e32 v85, v125
	v_mov_b32_e32 v86, v126
	v_add_f64 v[91:92], v[91:92], -v[109:110]
.LBB64_230:
	s_or_b64 exec, exec, s[0:1]
	v_lshl_add_u32 v109, v108, 4, v106
	s_barrier
	ds_write2_b64 v109, v[81:82], v[83:84] offset1:1
	s_waitcnt lgkmcnt(0)
	s_barrier
	ds_read2_b64 v[121:124], v106 offset0:22 offset1:23
	s_cmp_lt_i32 s3, 13
	v_mov_b32_e32 v109, 11
	s_cbranch_scc1 .LBB64_233
; %bb.231:
	v_add_u32_e32 v110, 0xc0, v106
	s_mov_b32 s0, 12
	v_mov_b32_e32 v109, 11
.LBB64_232:                             ; =>This Inner Loop Header: Depth=1
	s_waitcnt lgkmcnt(0)
	v_cmp_gt_f64_e32 vcc, 0, v[121:122]
	v_xor_b32_e32 v115, 0x80000000, v122
	ds_read2_b64 v[111:114], v110 offset1:1
	v_xor_b32_e32 v117, 0x80000000, v124
	v_add_u32_e32 v110, 16, v110
	s_waitcnt lgkmcnt(0)
	v_xor_b32_e32 v119, 0x80000000, v114
	v_cndmask_b32_e32 v116, v122, v115, vcc
	v_cmp_gt_f64_e32 vcc, 0, v[123:124]
	v_mov_b32_e32 v115, v121
	v_cndmask_b32_e32 v118, v124, v117, vcc
	v_cmp_gt_f64_e32 vcc, 0, v[111:112]
	v_mov_b32_e32 v117, v123
	v_add_f64 v[115:116], v[115:116], v[117:118]
	v_xor_b32_e32 v117, 0x80000000, v112
	v_cndmask_b32_e32 v118, v112, v117, vcc
	v_cmp_gt_f64_e32 vcc, 0, v[113:114]
	v_mov_b32_e32 v117, v111
	v_cndmask_b32_e32 v120, v114, v119, vcc
	v_mov_b32_e32 v119, v113
	v_add_f64 v[117:118], v[117:118], v[119:120]
	v_cmp_lt_f64_e32 vcc, v[115:116], v[117:118]
	v_cndmask_b32_e32 v121, v121, v111, vcc
	v_mov_b32_e32 v111, s0
	s_add_i32 s0, s0, 1
	v_cndmask_b32_e32 v122, v122, v112, vcc
	v_cndmask_b32_e32 v124, v124, v114, vcc
	;; [unrolled: 1-line block ×4, first 2 shown]
	s_cmp_lg_u32 s3, s0
	s_cbranch_scc1 .LBB64_232
.LBB64_233:
	s_waitcnt lgkmcnt(0)
	v_cmp_eq_f64_e32 vcc, 0, v[121:122]
	v_cmp_eq_f64_e64 s[0:1], 0, v[123:124]
	s_and_b64 s[0:1], vcc, s[0:1]
	s_and_saveexec_b64 s[18:19], s[0:1]
	s_xor_b64 s[0:1], exec, s[18:19]
; %bb.234:
	v_cmp_ne_u32_e32 vcc, 0, v107
	v_cndmask_b32_e32 v107, 12, v107, vcc
; %bb.235:
	s_andn2_saveexec_b64 s[0:1], s[0:1]
	s_cbranch_execz .LBB64_241
; %bb.236:
	v_cmp_ngt_f64_e64 s[18:19], |v[121:122]|, |v[123:124]|
	s_and_saveexec_b64 s[20:21], s[18:19]
	s_xor_b64 s[18:19], exec, s[20:21]
	s_cbranch_execz .LBB64_238
; %bb.237:
	v_div_scale_f64 v[110:111], s[20:21], v[123:124], v[123:124], v[121:122]
	v_rcp_f64_e32 v[112:113], v[110:111]
	v_fma_f64 v[114:115], -v[110:111], v[112:113], 1.0
	v_fma_f64 v[112:113], v[112:113], v[114:115], v[112:113]
	v_div_scale_f64 v[114:115], vcc, v[121:122], v[123:124], v[121:122]
	v_fma_f64 v[116:117], -v[110:111], v[112:113], 1.0
	v_fma_f64 v[112:113], v[112:113], v[116:117], v[112:113]
	v_mul_f64 v[116:117], v[114:115], v[112:113]
	v_fma_f64 v[110:111], -v[110:111], v[116:117], v[114:115]
	v_div_fmas_f64 v[110:111], v[110:111], v[112:113], v[116:117]
	v_div_fixup_f64 v[110:111], v[110:111], v[123:124], v[121:122]
	v_fma_f64 v[112:113], v[121:122], v[110:111], v[123:124]
	v_div_scale_f64 v[114:115], s[20:21], v[112:113], v[112:113], 1.0
	v_div_scale_f64 v[120:121], vcc, 1.0, v[112:113], 1.0
	v_rcp_f64_e32 v[116:117], v[114:115]
	v_fma_f64 v[118:119], -v[114:115], v[116:117], 1.0
	v_fma_f64 v[116:117], v[116:117], v[118:119], v[116:117]
	v_fma_f64 v[118:119], -v[114:115], v[116:117], 1.0
	v_fma_f64 v[116:117], v[116:117], v[118:119], v[116:117]
	v_mul_f64 v[118:119], v[120:121], v[116:117]
	v_fma_f64 v[114:115], -v[114:115], v[118:119], v[120:121]
	v_div_fmas_f64 v[114:115], v[114:115], v[116:117], v[118:119]
	v_div_fixup_f64 v[123:124], v[114:115], v[112:113], 1.0
	v_mul_f64 v[121:122], v[110:111], v[123:124]
	v_xor_b32_e32 v124, 0x80000000, v124
.LBB64_238:
	s_andn2_saveexec_b64 s[18:19], s[18:19]
	s_cbranch_execz .LBB64_240
; %bb.239:
	v_div_scale_f64 v[110:111], s[20:21], v[121:122], v[121:122], v[123:124]
	v_rcp_f64_e32 v[112:113], v[110:111]
	v_fma_f64 v[114:115], -v[110:111], v[112:113], 1.0
	v_fma_f64 v[112:113], v[112:113], v[114:115], v[112:113]
	v_div_scale_f64 v[114:115], vcc, v[123:124], v[121:122], v[123:124]
	v_fma_f64 v[116:117], -v[110:111], v[112:113], 1.0
	v_fma_f64 v[112:113], v[112:113], v[116:117], v[112:113]
	v_mul_f64 v[116:117], v[114:115], v[112:113]
	v_fma_f64 v[110:111], -v[110:111], v[116:117], v[114:115]
	v_div_fmas_f64 v[110:111], v[110:111], v[112:113], v[116:117]
	v_div_fixup_f64 v[110:111], v[110:111], v[121:122], v[123:124]
	v_fma_f64 v[112:113], v[123:124], v[110:111], v[121:122]
	v_div_scale_f64 v[114:115], s[20:21], v[112:113], v[112:113], 1.0
	v_div_scale_f64 v[120:121], vcc, 1.0, v[112:113], 1.0
	v_rcp_f64_e32 v[116:117], v[114:115]
	v_fma_f64 v[118:119], -v[114:115], v[116:117], 1.0
	v_fma_f64 v[116:117], v[116:117], v[118:119], v[116:117]
	v_fma_f64 v[118:119], -v[114:115], v[116:117], 1.0
	v_fma_f64 v[116:117], v[116:117], v[118:119], v[116:117]
	v_mul_f64 v[118:119], v[120:121], v[116:117]
	v_fma_f64 v[114:115], -v[114:115], v[118:119], v[120:121]
	v_div_fmas_f64 v[114:115], v[114:115], v[116:117], v[118:119]
	v_div_fixup_f64 v[121:122], v[114:115], v[112:113], 1.0
	v_mul_f64 v[123:124], v[110:111], -v[121:122]
.LBB64_240:
	s_or_b64 exec, exec, s[18:19]
.LBB64_241:
	s_or_b64 exec, exec, s[0:1]
	v_cmp_ne_u32_e32 vcc, v108, v109
	s_and_saveexec_b64 s[0:1], vcc
	s_xor_b64 s[0:1], exec, s[0:1]
	s_cbranch_execz .LBB64_247
; %bb.242:
	v_cmp_eq_u32_e32 vcc, 11, v108
	s_and_saveexec_b64 s[18:19], vcc
	s_cbranch_execz .LBB64_246
; %bb.243:
	v_cmp_ne_u32_e32 vcc, 11, v109
	s_xor_b64 s[20:21], s[6:7], -1
	s_and_b64 s[22:23], s[20:21], vcc
	s_and_saveexec_b64 s[20:21], s[22:23]
	s_cbranch_execz .LBB64_245
; %bb.244:
	buffer_load_dword v112, off, s[24:27], 0 offset:80 ; 4-byte Folded Reload
	buffer_load_dword v113, off, s[24:27], 0 offset:84 ; 4-byte Folded Reload
	v_ashrrev_i32_e32 v110, 31, v109
	v_lshlrev_b64 v[110:111], 2, v[109:110]
	s_waitcnt vmcnt(1)
	v_add_co_u32_e32 v110, vcc, v112, v110
	s_waitcnt vmcnt(0)
	v_addc_co_u32_e32 v111, vcc, v113, v111, vcc
	global_load_dword v0, v[110:111], off
	global_load_dword v108, v[112:113], off offset:44
	s_waitcnt vmcnt(1)
	global_store_dword v[112:113], v0, off offset:44
	s_waitcnt vmcnt(1)
	global_store_dword v[110:111], v108, off
.LBB64_245:
	s_or_b64 exec, exec, s[20:21]
	v_mov_b32_e32 v108, v109
	v_mov_b32_e32 v0, v109
.LBB64_246:
	s_or_b64 exec, exec, s[18:19]
.LBB64_247:
	s_andn2_saveexec_b64 s[0:1], s[0:1]
	s_cbranch_execz .LBB64_249
; %bb.248:
	v_mov_b32_e32 v108, 11
	ds_write2_b64 v106, v[77:78], v[79:80] offset0:24 offset1:25
	ds_write2_b64 v106, v[73:74], v[75:76] offset0:26 offset1:27
	;; [unrolled: 1-line block ×21, first 2 shown]
.LBB64_249:
	s_or_b64 exec, exec, s[0:1]
	v_cmp_lt_i32_e32 vcc, 11, v108
	s_waitcnt vmcnt(0) lgkmcnt(0)
	s_barrier
	s_and_saveexec_b64 s[0:1], vcc
	s_cbranch_execz .LBB64_251
; %bb.250:
	v_mul_f64 v[109:110], v[123:124], v[83:84]
	v_mul_f64 v[83:84], v[121:122], v[83:84]
	v_fma_f64 v[125:126], v[121:122], v[81:82], -v[109:110]
	v_fma_f64 v[83:84], v[123:124], v[81:82], v[83:84]
	ds_read2_b64 v[109:112], v106 offset0:24 offset1:25
	s_waitcnt lgkmcnt(0)
	v_mul_f64 v[81:82], v[111:112], v[83:84]
	v_fma_f64 v[81:82], v[109:110], v[125:126], -v[81:82]
	v_mul_f64 v[109:110], v[109:110], v[83:84]
	v_add_f64 v[77:78], v[77:78], -v[81:82]
	v_fma_f64 v[109:110], v[111:112], v[125:126], v[109:110]
	v_add_f64 v[79:80], v[79:80], -v[109:110]
	ds_read2_b64 v[109:112], v106 offset0:26 offset1:27
	s_waitcnt lgkmcnt(0)
	v_mul_f64 v[81:82], v[111:112], v[83:84]
	v_fma_f64 v[81:82], v[109:110], v[125:126], -v[81:82]
	v_mul_f64 v[109:110], v[109:110], v[83:84]
	v_add_f64 v[73:74], v[73:74], -v[81:82]
	v_fma_f64 v[109:110], v[111:112], v[125:126], v[109:110]
	v_add_f64 v[75:76], v[75:76], -v[109:110]
	;; [unrolled: 8-line block ×20, first 2 shown]
	ds_read2_b64 v[109:112], v106 offset0:64 offset1:65
	s_waitcnt lgkmcnt(0)
	v_mul_f64 v[81:82], v[111:112], v[83:84]
	v_fma_f64 v[81:82], v[109:110], v[125:126], -v[81:82]
	v_mul_f64 v[109:110], v[109:110], v[83:84]
	v_add_f64 v[89:90], v[89:90], -v[81:82]
	v_fma_f64 v[109:110], v[111:112], v[125:126], v[109:110]
	v_mov_b32_e32 v81, v125
	v_mov_b32_e32 v82, v126
	v_add_f64 v[91:92], v[91:92], -v[109:110]
.LBB64_251:
	s_or_b64 exec, exec, s[0:1]
	v_lshl_add_u32 v109, v108, 4, v106
	s_barrier
	ds_write2_b64 v109, v[77:78], v[79:80] offset1:1
	s_waitcnt lgkmcnt(0)
	s_barrier
	ds_read2_b64 v[121:124], v106 offset0:24 offset1:25
	s_cmp_lt_i32 s3, 14
	v_mov_b32_e32 v109, 12
	s_cbranch_scc1 .LBB64_254
; %bb.252:
	v_add_u32_e32 v110, 0xd0, v106
	s_mov_b32 s0, 13
	v_mov_b32_e32 v109, 12
.LBB64_253:                             ; =>This Inner Loop Header: Depth=1
	s_waitcnt lgkmcnt(0)
	v_cmp_gt_f64_e32 vcc, 0, v[121:122]
	v_xor_b32_e32 v115, 0x80000000, v122
	ds_read2_b64 v[111:114], v110 offset1:1
	v_xor_b32_e32 v117, 0x80000000, v124
	v_add_u32_e32 v110, 16, v110
	s_waitcnt lgkmcnt(0)
	v_xor_b32_e32 v119, 0x80000000, v114
	v_cndmask_b32_e32 v116, v122, v115, vcc
	v_cmp_gt_f64_e32 vcc, 0, v[123:124]
	v_mov_b32_e32 v115, v121
	v_cndmask_b32_e32 v118, v124, v117, vcc
	v_cmp_gt_f64_e32 vcc, 0, v[111:112]
	v_mov_b32_e32 v117, v123
	v_add_f64 v[115:116], v[115:116], v[117:118]
	v_xor_b32_e32 v117, 0x80000000, v112
	v_cndmask_b32_e32 v118, v112, v117, vcc
	v_cmp_gt_f64_e32 vcc, 0, v[113:114]
	v_mov_b32_e32 v117, v111
	v_cndmask_b32_e32 v120, v114, v119, vcc
	v_mov_b32_e32 v119, v113
	v_add_f64 v[117:118], v[117:118], v[119:120]
	v_cmp_lt_f64_e32 vcc, v[115:116], v[117:118]
	v_cndmask_b32_e32 v121, v121, v111, vcc
	v_mov_b32_e32 v111, s0
	s_add_i32 s0, s0, 1
	v_cndmask_b32_e32 v122, v122, v112, vcc
	v_cndmask_b32_e32 v124, v124, v114, vcc
	;; [unrolled: 1-line block ×4, first 2 shown]
	s_cmp_lg_u32 s3, s0
	s_cbranch_scc1 .LBB64_253
.LBB64_254:
	s_waitcnt lgkmcnt(0)
	v_cmp_eq_f64_e32 vcc, 0, v[121:122]
	v_cmp_eq_f64_e64 s[0:1], 0, v[123:124]
	s_and_b64 s[0:1], vcc, s[0:1]
	s_and_saveexec_b64 s[18:19], s[0:1]
	s_xor_b64 s[0:1], exec, s[18:19]
; %bb.255:
	v_cmp_ne_u32_e32 vcc, 0, v107
	v_cndmask_b32_e32 v107, 13, v107, vcc
; %bb.256:
	s_andn2_saveexec_b64 s[0:1], s[0:1]
	s_cbranch_execz .LBB64_262
; %bb.257:
	v_cmp_ngt_f64_e64 s[18:19], |v[121:122]|, |v[123:124]|
	s_and_saveexec_b64 s[20:21], s[18:19]
	s_xor_b64 s[18:19], exec, s[20:21]
	s_cbranch_execz .LBB64_259
; %bb.258:
	v_div_scale_f64 v[110:111], s[20:21], v[123:124], v[123:124], v[121:122]
	v_rcp_f64_e32 v[112:113], v[110:111]
	v_fma_f64 v[114:115], -v[110:111], v[112:113], 1.0
	v_fma_f64 v[112:113], v[112:113], v[114:115], v[112:113]
	v_div_scale_f64 v[114:115], vcc, v[121:122], v[123:124], v[121:122]
	v_fma_f64 v[116:117], -v[110:111], v[112:113], 1.0
	v_fma_f64 v[112:113], v[112:113], v[116:117], v[112:113]
	v_mul_f64 v[116:117], v[114:115], v[112:113]
	v_fma_f64 v[110:111], -v[110:111], v[116:117], v[114:115]
	v_div_fmas_f64 v[110:111], v[110:111], v[112:113], v[116:117]
	v_div_fixup_f64 v[110:111], v[110:111], v[123:124], v[121:122]
	v_fma_f64 v[112:113], v[121:122], v[110:111], v[123:124]
	v_div_scale_f64 v[114:115], s[20:21], v[112:113], v[112:113], 1.0
	v_div_scale_f64 v[120:121], vcc, 1.0, v[112:113], 1.0
	v_rcp_f64_e32 v[116:117], v[114:115]
	v_fma_f64 v[118:119], -v[114:115], v[116:117], 1.0
	v_fma_f64 v[116:117], v[116:117], v[118:119], v[116:117]
	v_fma_f64 v[118:119], -v[114:115], v[116:117], 1.0
	v_fma_f64 v[116:117], v[116:117], v[118:119], v[116:117]
	v_mul_f64 v[118:119], v[120:121], v[116:117]
	v_fma_f64 v[114:115], -v[114:115], v[118:119], v[120:121]
	v_div_fmas_f64 v[114:115], v[114:115], v[116:117], v[118:119]
	v_div_fixup_f64 v[123:124], v[114:115], v[112:113], 1.0
	v_mul_f64 v[121:122], v[110:111], v[123:124]
	v_xor_b32_e32 v124, 0x80000000, v124
.LBB64_259:
	s_andn2_saveexec_b64 s[18:19], s[18:19]
	s_cbranch_execz .LBB64_261
; %bb.260:
	v_div_scale_f64 v[110:111], s[20:21], v[121:122], v[121:122], v[123:124]
	v_rcp_f64_e32 v[112:113], v[110:111]
	v_fma_f64 v[114:115], -v[110:111], v[112:113], 1.0
	v_fma_f64 v[112:113], v[112:113], v[114:115], v[112:113]
	v_div_scale_f64 v[114:115], vcc, v[123:124], v[121:122], v[123:124]
	v_fma_f64 v[116:117], -v[110:111], v[112:113], 1.0
	v_fma_f64 v[112:113], v[112:113], v[116:117], v[112:113]
	v_mul_f64 v[116:117], v[114:115], v[112:113]
	v_fma_f64 v[110:111], -v[110:111], v[116:117], v[114:115]
	v_div_fmas_f64 v[110:111], v[110:111], v[112:113], v[116:117]
	v_div_fixup_f64 v[110:111], v[110:111], v[121:122], v[123:124]
	v_fma_f64 v[112:113], v[123:124], v[110:111], v[121:122]
	v_div_scale_f64 v[114:115], s[20:21], v[112:113], v[112:113], 1.0
	v_div_scale_f64 v[120:121], vcc, 1.0, v[112:113], 1.0
	v_rcp_f64_e32 v[116:117], v[114:115]
	v_fma_f64 v[118:119], -v[114:115], v[116:117], 1.0
	v_fma_f64 v[116:117], v[116:117], v[118:119], v[116:117]
	v_fma_f64 v[118:119], -v[114:115], v[116:117], 1.0
	v_fma_f64 v[116:117], v[116:117], v[118:119], v[116:117]
	v_mul_f64 v[118:119], v[120:121], v[116:117]
	v_fma_f64 v[114:115], -v[114:115], v[118:119], v[120:121]
	v_div_fmas_f64 v[114:115], v[114:115], v[116:117], v[118:119]
	v_div_fixup_f64 v[121:122], v[114:115], v[112:113], 1.0
	v_mul_f64 v[123:124], v[110:111], -v[121:122]
.LBB64_261:
	s_or_b64 exec, exec, s[18:19]
.LBB64_262:
	s_or_b64 exec, exec, s[0:1]
	v_cmp_ne_u32_e32 vcc, v108, v109
	s_and_saveexec_b64 s[0:1], vcc
	s_xor_b64 s[0:1], exec, s[0:1]
	s_cbranch_execz .LBB64_268
; %bb.263:
	v_cmp_eq_u32_e32 vcc, 12, v108
	s_and_saveexec_b64 s[18:19], vcc
	s_cbranch_execz .LBB64_267
; %bb.264:
	v_cmp_ne_u32_e32 vcc, 12, v109
	s_xor_b64 s[20:21], s[6:7], -1
	s_and_b64 s[22:23], s[20:21], vcc
	s_and_saveexec_b64 s[20:21], s[22:23]
	s_cbranch_execz .LBB64_266
; %bb.265:
	buffer_load_dword v112, off, s[24:27], 0 offset:80 ; 4-byte Folded Reload
	buffer_load_dword v113, off, s[24:27], 0 offset:84 ; 4-byte Folded Reload
	v_ashrrev_i32_e32 v110, 31, v109
	v_lshlrev_b64 v[110:111], 2, v[109:110]
	s_waitcnt vmcnt(1)
	v_add_co_u32_e32 v110, vcc, v112, v110
	s_waitcnt vmcnt(0)
	v_addc_co_u32_e32 v111, vcc, v113, v111, vcc
	global_load_dword v0, v[110:111], off
	global_load_dword v108, v[112:113], off offset:48
	s_waitcnt vmcnt(1)
	global_store_dword v[112:113], v0, off offset:48
	s_waitcnt vmcnt(1)
	global_store_dword v[110:111], v108, off
.LBB64_266:
	s_or_b64 exec, exec, s[20:21]
	v_mov_b32_e32 v108, v109
	v_mov_b32_e32 v0, v109
.LBB64_267:
	s_or_b64 exec, exec, s[18:19]
.LBB64_268:
	s_andn2_saveexec_b64 s[0:1], s[0:1]
	s_cbranch_execz .LBB64_270
; %bb.269:
	v_mov_b32_e32 v108, 12
	ds_write2_b64 v106, v[73:74], v[75:76] offset0:26 offset1:27
	ds_write2_b64 v106, v[69:70], v[71:72] offset0:28 offset1:29
	;; [unrolled: 1-line block ×20, first 2 shown]
.LBB64_270:
	s_or_b64 exec, exec, s[0:1]
	v_cmp_lt_i32_e32 vcc, 12, v108
	s_waitcnt vmcnt(0) lgkmcnt(0)
	s_barrier
	s_and_saveexec_b64 s[0:1], vcc
	s_cbranch_execz .LBB64_272
; %bb.271:
	v_mul_f64 v[109:110], v[123:124], v[79:80]
	v_mul_f64 v[79:80], v[121:122], v[79:80]
	v_fma_f64 v[125:126], v[121:122], v[77:78], -v[109:110]
	v_fma_f64 v[79:80], v[123:124], v[77:78], v[79:80]
	ds_read2_b64 v[109:112], v106 offset0:26 offset1:27
	s_waitcnt lgkmcnt(0)
	v_mul_f64 v[77:78], v[111:112], v[79:80]
	v_fma_f64 v[77:78], v[109:110], v[125:126], -v[77:78]
	v_mul_f64 v[109:110], v[109:110], v[79:80]
	v_add_f64 v[73:74], v[73:74], -v[77:78]
	v_fma_f64 v[109:110], v[111:112], v[125:126], v[109:110]
	v_add_f64 v[75:76], v[75:76], -v[109:110]
	ds_read2_b64 v[109:112], v106 offset0:28 offset1:29
	s_waitcnt lgkmcnt(0)
	v_mul_f64 v[77:78], v[111:112], v[79:80]
	v_fma_f64 v[77:78], v[109:110], v[125:126], -v[77:78]
	v_mul_f64 v[109:110], v[109:110], v[79:80]
	v_add_f64 v[69:70], v[69:70], -v[77:78]
	v_fma_f64 v[109:110], v[111:112], v[125:126], v[109:110]
	v_add_f64 v[71:72], v[71:72], -v[109:110]
	;; [unrolled: 8-line block ×19, first 2 shown]
	ds_read2_b64 v[109:112], v106 offset0:64 offset1:65
	s_waitcnt lgkmcnt(0)
	v_mul_f64 v[77:78], v[111:112], v[79:80]
	v_fma_f64 v[77:78], v[109:110], v[125:126], -v[77:78]
	v_mul_f64 v[109:110], v[109:110], v[79:80]
	v_add_f64 v[89:90], v[89:90], -v[77:78]
	v_fma_f64 v[109:110], v[111:112], v[125:126], v[109:110]
	v_mov_b32_e32 v77, v125
	v_mov_b32_e32 v78, v126
	v_add_f64 v[91:92], v[91:92], -v[109:110]
.LBB64_272:
	s_or_b64 exec, exec, s[0:1]
	v_lshl_add_u32 v109, v108, 4, v106
	s_barrier
	ds_write2_b64 v109, v[73:74], v[75:76] offset1:1
	s_waitcnt lgkmcnt(0)
	s_barrier
	ds_read2_b64 v[121:124], v106 offset0:26 offset1:27
	s_cmp_lt_i32 s3, 15
	v_mov_b32_e32 v109, 13
	s_cbranch_scc1 .LBB64_275
; %bb.273:
	v_add_u32_e32 v110, 0xe0, v106
	s_mov_b32 s0, 14
	v_mov_b32_e32 v109, 13
.LBB64_274:                             ; =>This Inner Loop Header: Depth=1
	s_waitcnt lgkmcnt(0)
	v_cmp_gt_f64_e32 vcc, 0, v[121:122]
	v_xor_b32_e32 v115, 0x80000000, v122
	ds_read2_b64 v[111:114], v110 offset1:1
	v_xor_b32_e32 v117, 0x80000000, v124
	v_add_u32_e32 v110, 16, v110
	s_waitcnt lgkmcnt(0)
	v_xor_b32_e32 v119, 0x80000000, v114
	v_cndmask_b32_e32 v116, v122, v115, vcc
	v_cmp_gt_f64_e32 vcc, 0, v[123:124]
	v_mov_b32_e32 v115, v121
	v_cndmask_b32_e32 v118, v124, v117, vcc
	v_cmp_gt_f64_e32 vcc, 0, v[111:112]
	v_mov_b32_e32 v117, v123
	v_add_f64 v[115:116], v[115:116], v[117:118]
	v_xor_b32_e32 v117, 0x80000000, v112
	v_cndmask_b32_e32 v118, v112, v117, vcc
	v_cmp_gt_f64_e32 vcc, 0, v[113:114]
	v_mov_b32_e32 v117, v111
	v_cndmask_b32_e32 v120, v114, v119, vcc
	v_mov_b32_e32 v119, v113
	v_add_f64 v[117:118], v[117:118], v[119:120]
	v_cmp_lt_f64_e32 vcc, v[115:116], v[117:118]
	v_cndmask_b32_e32 v121, v121, v111, vcc
	v_mov_b32_e32 v111, s0
	s_add_i32 s0, s0, 1
	v_cndmask_b32_e32 v122, v122, v112, vcc
	v_cndmask_b32_e32 v124, v124, v114, vcc
	;; [unrolled: 1-line block ×4, first 2 shown]
	s_cmp_lg_u32 s3, s0
	s_cbranch_scc1 .LBB64_274
.LBB64_275:
	s_waitcnt lgkmcnt(0)
	v_cmp_eq_f64_e32 vcc, 0, v[121:122]
	v_cmp_eq_f64_e64 s[0:1], 0, v[123:124]
	s_and_b64 s[0:1], vcc, s[0:1]
	s_and_saveexec_b64 s[18:19], s[0:1]
	s_xor_b64 s[0:1], exec, s[18:19]
; %bb.276:
	v_cmp_ne_u32_e32 vcc, 0, v107
	v_cndmask_b32_e32 v107, 14, v107, vcc
; %bb.277:
	s_andn2_saveexec_b64 s[0:1], s[0:1]
	s_cbranch_execz .LBB64_283
; %bb.278:
	v_cmp_ngt_f64_e64 s[18:19], |v[121:122]|, |v[123:124]|
	s_and_saveexec_b64 s[20:21], s[18:19]
	s_xor_b64 s[18:19], exec, s[20:21]
	s_cbranch_execz .LBB64_280
; %bb.279:
	v_div_scale_f64 v[110:111], s[20:21], v[123:124], v[123:124], v[121:122]
	v_rcp_f64_e32 v[112:113], v[110:111]
	v_fma_f64 v[114:115], -v[110:111], v[112:113], 1.0
	v_fma_f64 v[112:113], v[112:113], v[114:115], v[112:113]
	v_div_scale_f64 v[114:115], vcc, v[121:122], v[123:124], v[121:122]
	v_fma_f64 v[116:117], -v[110:111], v[112:113], 1.0
	v_fma_f64 v[112:113], v[112:113], v[116:117], v[112:113]
	v_mul_f64 v[116:117], v[114:115], v[112:113]
	v_fma_f64 v[110:111], -v[110:111], v[116:117], v[114:115]
	v_div_fmas_f64 v[110:111], v[110:111], v[112:113], v[116:117]
	v_div_fixup_f64 v[110:111], v[110:111], v[123:124], v[121:122]
	v_fma_f64 v[112:113], v[121:122], v[110:111], v[123:124]
	v_div_scale_f64 v[114:115], s[20:21], v[112:113], v[112:113], 1.0
	v_div_scale_f64 v[120:121], vcc, 1.0, v[112:113], 1.0
	v_rcp_f64_e32 v[116:117], v[114:115]
	v_fma_f64 v[118:119], -v[114:115], v[116:117], 1.0
	v_fma_f64 v[116:117], v[116:117], v[118:119], v[116:117]
	v_fma_f64 v[118:119], -v[114:115], v[116:117], 1.0
	v_fma_f64 v[116:117], v[116:117], v[118:119], v[116:117]
	v_mul_f64 v[118:119], v[120:121], v[116:117]
	v_fma_f64 v[114:115], -v[114:115], v[118:119], v[120:121]
	v_div_fmas_f64 v[114:115], v[114:115], v[116:117], v[118:119]
	v_div_fixup_f64 v[123:124], v[114:115], v[112:113], 1.0
	v_mul_f64 v[121:122], v[110:111], v[123:124]
	v_xor_b32_e32 v124, 0x80000000, v124
.LBB64_280:
	s_andn2_saveexec_b64 s[18:19], s[18:19]
	s_cbranch_execz .LBB64_282
; %bb.281:
	v_div_scale_f64 v[110:111], s[20:21], v[121:122], v[121:122], v[123:124]
	v_rcp_f64_e32 v[112:113], v[110:111]
	v_fma_f64 v[114:115], -v[110:111], v[112:113], 1.0
	v_fma_f64 v[112:113], v[112:113], v[114:115], v[112:113]
	v_div_scale_f64 v[114:115], vcc, v[123:124], v[121:122], v[123:124]
	v_fma_f64 v[116:117], -v[110:111], v[112:113], 1.0
	v_fma_f64 v[112:113], v[112:113], v[116:117], v[112:113]
	v_mul_f64 v[116:117], v[114:115], v[112:113]
	v_fma_f64 v[110:111], -v[110:111], v[116:117], v[114:115]
	v_div_fmas_f64 v[110:111], v[110:111], v[112:113], v[116:117]
	v_div_fixup_f64 v[110:111], v[110:111], v[121:122], v[123:124]
	v_fma_f64 v[112:113], v[123:124], v[110:111], v[121:122]
	v_div_scale_f64 v[114:115], s[20:21], v[112:113], v[112:113], 1.0
	v_div_scale_f64 v[120:121], vcc, 1.0, v[112:113], 1.0
	v_rcp_f64_e32 v[116:117], v[114:115]
	v_fma_f64 v[118:119], -v[114:115], v[116:117], 1.0
	v_fma_f64 v[116:117], v[116:117], v[118:119], v[116:117]
	v_fma_f64 v[118:119], -v[114:115], v[116:117], 1.0
	v_fma_f64 v[116:117], v[116:117], v[118:119], v[116:117]
	v_mul_f64 v[118:119], v[120:121], v[116:117]
	v_fma_f64 v[114:115], -v[114:115], v[118:119], v[120:121]
	v_div_fmas_f64 v[114:115], v[114:115], v[116:117], v[118:119]
	v_div_fixup_f64 v[121:122], v[114:115], v[112:113], 1.0
	v_mul_f64 v[123:124], v[110:111], -v[121:122]
.LBB64_282:
	s_or_b64 exec, exec, s[18:19]
.LBB64_283:
	s_or_b64 exec, exec, s[0:1]
	v_cmp_ne_u32_e32 vcc, v108, v109
	s_and_saveexec_b64 s[0:1], vcc
	s_xor_b64 s[0:1], exec, s[0:1]
	s_cbranch_execz .LBB64_289
; %bb.284:
	v_cmp_eq_u32_e32 vcc, 13, v108
	s_and_saveexec_b64 s[18:19], vcc
	s_cbranch_execz .LBB64_288
; %bb.285:
	v_cmp_ne_u32_e32 vcc, 13, v109
	s_xor_b64 s[20:21], s[6:7], -1
	s_and_b64 s[22:23], s[20:21], vcc
	s_and_saveexec_b64 s[20:21], s[22:23]
	s_cbranch_execz .LBB64_287
; %bb.286:
	buffer_load_dword v112, off, s[24:27], 0 offset:80 ; 4-byte Folded Reload
	buffer_load_dword v113, off, s[24:27], 0 offset:84 ; 4-byte Folded Reload
	v_ashrrev_i32_e32 v110, 31, v109
	v_lshlrev_b64 v[110:111], 2, v[109:110]
	s_waitcnt vmcnt(1)
	v_add_co_u32_e32 v110, vcc, v112, v110
	s_waitcnt vmcnt(0)
	v_addc_co_u32_e32 v111, vcc, v113, v111, vcc
	global_load_dword v0, v[110:111], off
	global_load_dword v108, v[112:113], off offset:52
	s_waitcnt vmcnt(1)
	global_store_dword v[112:113], v0, off offset:52
	s_waitcnt vmcnt(1)
	global_store_dword v[110:111], v108, off
.LBB64_287:
	s_or_b64 exec, exec, s[20:21]
	v_mov_b32_e32 v108, v109
	v_mov_b32_e32 v0, v109
.LBB64_288:
	s_or_b64 exec, exec, s[18:19]
.LBB64_289:
	s_andn2_saveexec_b64 s[0:1], s[0:1]
	s_cbranch_execz .LBB64_291
; %bb.290:
	v_mov_b32_e32 v108, 13
	ds_write2_b64 v106, v[69:70], v[71:72] offset0:28 offset1:29
	ds_write2_b64 v106, v[65:66], v[67:68] offset0:30 offset1:31
	;; [unrolled: 1-line block ×19, first 2 shown]
.LBB64_291:
	s_or_b64 exec, exec, s[0:1]
	v_cmp_lt_i32_e32 vcc, 13, v108
	s_waitcnt vmcnt(0) lgkmcnt(0)
	s_barrier
	s_and_saveexec_b64 s[0:1], vcc
	s_cbranch_execz .LBB64_293
; %bb.292:
	v_mul_f64 v[109:110], v[123:124], v[75:76]
	v_mul_f64 v[75:76], v[121:122], v[75:76]
	v_fma_f64 v[125:126], v[121:122], v[73:74], -v[109:110]
	v_fma_f64 v[75:76], v[123:124], v[73:74], v[75:76]
	ds_read2_b64 v[109:112], v106 offset0:28 offset1:29
	s_waitcnt lgkmcnt(0)
	v_mul_f64 v[73:74], v[111:112], v[75:76]
	v_fma_f64 v[73:74], v[109:110], v[125:126], -v[73:74]
	v_mul_f64 v[109:110], v[109:110], v[75:76]
	v_add_f64 v[69:70], v[69:70], -v[73:74]
	v_fma_f64 v[109:110], v[111:112], v[125:126], v[109:110]
	v_add_f64 v[71:72], v[71:72], -v[109:110]
	ds_read2_b64 v[109:112], v106 offset0:30 offset1:31
	s_waitcnt lgkmcnt(0)
	v_mul_f64 v[73:74], v[111:112], v[75:76]
	v_fma_f64 v[73:74], v[109:110], v[125:126], -v[73:74]
	v_mul_f64 v[109:110], v[109:110], v[75:76]
	v_add_f64 v[65:66], v[65:66], -v[73:74]
	v_fma_f64 v[109:110], v[111:112], v[125:126], v[109:110]
	v_add_f64 v[67:68], v[67:68], -v[109:110]
	;; [unrolled: 8-line block ×18, first 2 shown]
	ds_read2_b64 v[109:112], v106 offset0:64 offset1:65
	s_waitcnt lgkmcnt(0)
	v_mul_f64 v[73:74], v[111:112], v[75:76]
	v_fma_f64 v[73:74], v[109:110], v[125:126], -v[73:74]
	v_mul_f64 v[109:110], v[109:110], v[75:76]
	v_add_f64 v[89:90], v[89:90], -v[73:74]
	v_fma_f64 v[109:110], v[111:112], v[125:126], v[109:110]
	v_mov_b32_e32 v73, v125
	v_mov_b32_e32 v74, v126
	v_add_f64 v[91:92], v[91:92], -v[109:110]
.LBB64_293:
	s_or_b64 exec, exec, s[0:1]
	v_lshl_add_u32 v109, v108, 4, v106
	s_barrier
	ds_write2_b64 v109, v[69:70], v[71:72] offset1:1
	s_waitcnt lgkmcnt(0)
	s_barrier
	ds_read2_b64 v[121:124], v106 offset0:28 offset1:29
	s_cmp_lt_i32 s3, 16
	v_mov_b32_e32 v109, 14
	s_cbranch_scc1 .LBB64_296
; %bb.294:
	v_add_u32_e32 v110, 0xf0, v106
	s_mov_b32 s0, 15
	v_mov_b32_e32 v109, 14
.LBB64_295:                             ; =>This Inner Loop Header: Depth=1
	s_waitcnt lgkmcnt(0)
	v_cmp_gt_f64_e32 vcc, 0, v[121:122]
	v_xor_b32_e32 v115, 0x80000000, v122
	ds_read2_b64 v[111:114], v110 offset1:1
	v_xor_b32_e32 v117, 0x80000000, v124
	v_add_u32_e32 v110, 16, v110
	s_waitcnt lgkmcnt(0)
	v_xor_b32_e32 v119, 0x80000000, v114
	v_cndmask_b32_e32 v116, v122, v115, vcc
	v_cmp_gt_f64_e32 vcc, 0, v[123:124]
	v_mov_b32_e32 v115, v121
	v_cndmask_b32_e32 v118, v124, v117, vcc
	v_cmp_gt_f64_e32 vcc, 0, v[111:112]
	v_mov_b32_e32 v117, v123
	v_add_f64 v[115:116], v[115:116], v[117:118]
	v_xor_b32_e32 v117, 0x80000000, v112
	v_cndmask_b32_e32 v118, v112, v117, vcc
	v_cmp_gt_f64_e32 vcc, 0, v[113:114]
	v_mov_b32_e32 v117, v111
	v_cndmask_b32_e32 v120, v114, v119, vcc
	v_mov_b32_e32 v119, v113
	v_add_f64 v[117:118], v[117:118], v[119:120]
	v_cmp_lt_f64_e32 vcc, v[115:116], v[117:118]
	v_cndmask_b32_e32 v121, v121, v111, vcc
	v_mov_b32_e32 v111, s0
	s_add_i32 s0, s0, 1
	v_cndmask_b32_e32 v122, v122, v112, vcc
	v_cndmask_b32_e32 v124, v124, v114, vcc
	;; [unrolled: 1-line block ×4, first 2 shown]
	s_cmp_lg_u32 s3, s0
	s_cbranch_scc1 .LBB64_295
.LBB64_296:
	s_waitcnt lgkmcnt(0)
	v_cmp_eq_f64_e32 vcc, 0, v[121:122]
	v_cmp_eq_f64_e64 s[0:1], 0, v[123:124]
	s_and_b64 s[0:1], vcc, s[0:1]
	s_and_saveexec_b64 s[18:19], s[0:1]
	s_xor_b64 s[0:1], exec, s[18:19]
; %bb.297:
	v_cmp_ne_u32_e32 vcc, 0, v107
	v_cndmask_b32_e32 v107, 15, v107, vcc
; %bb.298:
	s_andn2_saveexec_b64 s[0:1], s[0:1]
	s_cbranch_execz .LBB64_304
; %bb.299:
	v_cmp_ngt_f64_e64 s[18:19], |v[121:122]|, |v[123:124]|
	s_and_saveexec_b64 s[20:21], s[18:19]
	s_xor_b64 s[18:19], exec, s[20:21]
	s_cbranch_execz .LBB64_301
; %bb.300:
	v_div_scale_f64 v[110:111], s[20:21], v[123:124], v[123:124], v[121:122]
	v_rcp_f64_e32 v[112:113], v[110:111]
	v_fma_f64 v[114:115], -v[110:111], v[112:113], 1.0
	v_fma_f64 v[112:113], v[112:113], v[114:115], v[112:113]
	v_div_scale_f64 v[114:115], vcc, v[121:122], v[123:124], v[121:122]
	v_fma_f64 v[116:117], -v[110:111], v[112:113], 1.0
	v_fma_f64 v[112:113], v[112:113], v[116:117], v[112:113]
	v_mul_f64 v[116:117], v[114:115], v[112:113]
	v_fma_f64 v[110:111], -v[110:111], v[116:117], v[114:115]
	v_div_fmas_f64 v[110:111], v[110:111], v[112:113], v[116:117]
	v_div_fixup_f64 v[110:111], v[110:111], v[123:124], v[121:122]
	v_fma_f64 v[112:113], v[121:122], v[110:111], v[123:124]
	v_div_scale_f64 v[114:115], s[20:21], v[112:113], v[112:113], 1.0
	v_div_scale_f64 v[120:121], vcc, 1.0, v[112:113], 1.0
	v_rcp_f64_e32 v[116:117], v[114:115]
	v_fma_f64 v[118:119], -v[114:115], v[116:117], 1.0
	v_fma_f64 v[116:117], v[116:117], v[118:119], v[116:117]
	v_fma_f64 v[118:119], -v[114:115], v[116:117], 1.0
	v_fma_f64 v[116:117], v[116:117], v[118:119], v[116:117]
	v_mul_f64 v[118:119], v[120:121], v[116:117]
	v_fma_f64 v[114:115], -v[114:115], v[118:119], v[120:121]
	v_div_fmas_f64 v[114:115], v[114:115], v[116:117], v[118:119]
	v_div_fixup_f64 v[123:124], v[114:115], v[112:113], 1.0
	v_mul_f64 v[121:122], v[110:111], v[123:124]
	v_xor_b32_e32 v124, 0x80000000, v124
.LBB64_301:
	s_andn2_saveexec_b64 s[18:19], s[18:19]
	s_cbranch_execz .LBB64_303
; %bb.302:
	v_div_scale_f64 v[110:111], s[20:21], v[121:122], v[121:122], v[123:124]
	v_rcp_f64_e32 v[112:113], v[110:111]
	v_fma_f64 v[114:115], -v[110:111], v[112:113], 1.0
	v_fma_f64 v[112:113], v[112:113], v[114:115], v[112:113]
	v_div_scale_f64 v[114:115], vcc, v[123:124], v[121:122], v[123:124]
	v_fma_f64 v[116:117], -v[110:111], v[112:113], 1.0
	v_fma_f64 v[112:113], v[112:113], v[116:117], v[112:113]
	v_mul_f64 v[116:117], v[114:115], v[112:113]
	v_fma_f64 v[110:111], -v[110:111], v[116:117], v[114:115]
	v_div_fmas_f64 v[110:111], v[110:111], v[112:113], v[116:117]
	v_div_fixup_f64 v[110:111], v[110:111], v[121:122], v[123:124]
	v_fma_f64 v[112:113], v[123:124], v[110:111], v[121:122]
	v_div_scale_f64 v[114:115], s[20:21], v[112:113], v[112:113], 1.0
	v_div_scale_f64 v[120:121], vcc, 1.0, v[112:113], 1.0
	v_rcp_f64_e32 v[116:117], v[114:115]
	v_fma_f64 v[118:119], -v[114:115], v[116:117], 1.0
	v_fma_f64 v[116:117], v[116:117], v[118:119], v[116:117]
	v_fma_f64 v[118:119], -v[114:115], v[116:117], 1.0
	v_fma_f64 v[116:117], v[116:117], v[118:119], v[116:117]
	v_mul_f64 v[118:119], v[120:121], v[116:117]
	v_fma_f64 v[114:115], -v[114:115], v[118:119], v[120:121]
	v_div_fmas_f64 v[114:115], v[114:115], v[116:117], v[118:119]
	v_div_fixup_f64 v[121:122], v[114:115], v[112:113], 1.0
	v_mul_f64 v[123:124], v[110:111], -v[121:122]
.LBB64_303:
	s_or_b64 exec, exec, s[18:19]
.LBB64_304:
	s_or_b64 exec, exec, s[0:1]
	v_cmp_ne_u32_e32 vcc, v108, v109
	s_and_saveexec_b64 s[0:1], vcc
	s_xor_b64 s[0:1], exec, s[0:1]
	s_cbranch_execz .LBB64_310
; %bb.305:
	v_cmp_eq_u32_e32 vcc, 14, v108
	s_and_saveexec_b64 s[18:19], vcc
	s_cbranch_execz .LBB64_309
; %bb.306:
	v_cmp_ne_u32_e32 vcc, 14, v109
	s_xor_b64 s[20:21], s[6:7], -1
	s_and_b64 s[22:23], s[20:21], vcc
	s_and_saveexec_b64 s[20:21], s[22:23]
	s_cbranch_execz .LBB64_308
; %bb.307:
	buffer_load_dword v112, off, s[24:27], 0 offset:80 ; 4-byte Folded Reload
	buffer_load_dword v113, off, s[24:27], 0 offset:84 ; 4-byte Folded Reload
	v_ashrrev_i32_e32 v110, 31, v109
	v_lshlrev_b64 v[110:111], 2, v[109:110]
	s_waitcnt vmcnt(1)
	v_add_co_u32_e32 v110, vcc, v112, v110
	s_waitcnt vmcnt(0)
	v_addc_co_u32_e32 v111, vcc, v113, v111, vcc
	global_load_dword v0, v[110:111], off
	global_load_dword v108, v[112:113], off offset:56
	s_waitcnt vmcnt(1)
	global_store_dword v[112:113], v0, off offset:56
	s_waitcnt vmcnt(1)
	global_store_dword v[110:111], v108, off
.LBB64_308:
	s_or_b64 exec, exec, s[20:21]
	v_mov_b32_e32 v108, v109
	v_mov_b32_e32 v0, v109
.LBB64_309:
	s_or_b64 exec, exec, s[18:19]
.LBB64_310:
	s_andn2_saveexec_b64 s[0:1], s[0:1]
	s_cbranch_execz .LBB64_312
; %bb.311:
	v_mov_b32_e32 v108, 14
	ds_write2_b64 v106, v[65:66], v[67:68] offset0:30 offset1:31
	ds_write2_b64 v106, v[61:62], v[63:64] offset0:32 offset1:33
	;; [unrolled: 1-line block ×18, first 2 shown]
.LBB64_312:
	s_or_b64 exec, exec, s[0:1]
	v_cmp_lt_i32_e32 vcc, 14, v108
	s_waitcnt vmcnt(0) lgkmcnt(0)
	s_barrier
	s_and_saveexec_b64 s[0:1], vcc
	s_cbranch_execz .LBB64_314
; %bb.313:
	v_mul_f64 v[109:110], v[123:124], v[71:72]
	v_mul_f64 v[71:72], v[121:122], v[71:72]
	v_fma_f64 v[125:126], v[121:122], v[69:70], -v[109:110]
	v_fma_f64 v[71:72], v[123:124], v[69:70], v[71:72]
	ds_read2_b64 v[109:112], v106 offset0:30 offset1:31
	s_waitcnt lgkmcnt(0)
	v_mul_f64 v[69:70], v[111:112], v[71:72]
	v_fma_f64 v[69:70], v[109:110], v[125:126], -v[69:70]
	v_mul_f64 v[109:110], v[109:110], v[71:72]
	v_add_f64 v[65:66], v[65:66], -v[69:70]
	v_fma_f64 v[109:110], v[111:112], v[125:126], v[109:110]
	v_add_f64 v[67:68], v[67:68], -v[109:110]
	ds_read2_b64 v[109:112], v106 offset0:32 offset1:33
	s_waitcnt lgkmcnt(0)
	v_mul_f64 v[69:70], v[111:112], v[71:72]
	v_fma_f64 v[69:70], v[109:110], v[125:126], -v[69:70]
	v_mul_f64 v[109:110], v[109:110], v[71:72]
	v_add_f64 v[61:62], v[61:62], -v[69:70]
	v_fma_f64 v[109:110], v[111:112], v[125:126], v[109:110]
	v_add_f64 v[63:64], v[63:64], -v[109:110]
	ds_read2_b64 v[109:112], v106 offset0:34 offset1:35
	s_waitcnt lgkmcnt(0)
	v_mul_f64 v[69:70], v[111:112], v[71:72]
	v_fma_f64 v[69:70], v[109:110], v[125:126], -v[69:70]
	v_mul_f64 v[109:110], v[109:110], v[71:72]
	v_add_f64 v[57:58], v[57:58], -v[69:70]
	v_fma_f64 v[109:110], v[111:112], v[125:126], v[109:110]
	v_add_f64 v[59:60], v[59:60], -v[109:110]
	ds_read2_b64 v[109:112], v106 offset0:36 offset1:37
	s_waitcnt lgkmcnt(0)
	v_mul_f64 v[69:70], v[111:112], v[71:72]
	v_fma_f64 v[69:70], v[109:110], v[125:126], -v[69:70]
	v_mul_f64 v[109:110], v[109:110], v[71:72]
	v_add_f64 v[53:54], v[53:54], -v[69:70]
	v_fma_f64 v[109:110], v[111:112], v[125:126], v[109:110]
	v_add_f64 v[55:56], v[55:56], -v[109:110]
	ds_read2_b64 v[109:112], v106 offset0:38 offset1:39
	s_waitcnt lgkmcnt(0)
	v_mul_f64 v[69:70], v[111:112], v[71:72]
	v_fma_f64 v[69:70], v[109:110], v[125:126], -v[69:70]
	v_mul_f64 v[109:110], v[109:110], v[71:72]
	v_add_f64 v[49:50], v[49:50], -v[69:70]
	v_fma_f64 v[109:110], v[111:112], v[125:126], v[109:110]
	v_add_f64 v[51:52], v[51:52], -v[109:110]
	ds_read2_b64 v[109:112], v106 offset0:40 offset1:41
	s_waitcnt lgkmcnt(0)
	v_mul_f64 v[69:70], v[111:112], v[71:72]
	v_fma_f64 v[69:70], v[109:110], v[125:126], -v[69:70]
	v_mul_f64 v[109:110], v[109:110], v[71:72]
	v_add_f64 v[45:46], v[45:46], -v[69:70]
	v_fma_f64 v[109:110], v[111:112], v[125:126], v[109:110]
	v_add_f64 v[47:48], v[47:48], -v[109:110]
	ds_read2_b64 v[109:112], v106 offset0:42 offset1:43
	s_waitcnt lgkmcnt(0)
	v_mul_f64 v[69:70], v[111:112], v[71:72]
	v_fma_f64 v[69:70], v[109:110], v[125:126], -v[69:70]
	v_mul_f64 v[109:110], v[109:110], v[71:72]
	v_add_f64 v[41:42], v[41:42], -v[69:70]
	v_fma_f64 v[109:110], v[111:112], v[125:126], v[109:110]
	v_add_f64 v[43:44], v[43:44], -v[109:110]
	ds_read2_b64 v[109:112], v106 offset0:44 offset1:45
	s_waitcnt lgkmcnt(0)
	v_mul_f64 v[69:70], v[111:112], v[71:72]
	v_fma_f64 v[69:70], v[109:110], v[125:126], -v[69:70]
	v_mul_f64 v[109:110], v[109:110], v[71:72]
	v_add_f64 v[37:38], v[37:38], -v[69:70]
	v_fma_f64 v[109:110], v[111:112], v[125:126], v[109:110]
	v_add_f64 v[39:40], v[39:40], -v[109:110]
	ds_read2_b64 v[109:112], v106 offset0:46 offset1:47
	s_waitcnt lgkmcnt(0)
	v_mul_f64 v[69:70], v[111:112], v[71:72]
	v_fma_f64 v[69:70], v[109:110], v[125:126], -v[69:70]
	v_mul_f64 v[109:110], v[109:110], v[71:72]
	v_add_f64 v[33:34], v[33:34], -v[69:70]
	v_fma_f64 v[109:110], v[111:112], v[125:126], v[109:110]
	v_add_f64 v[35:36], v[35:36], -v[109:110]
	ds_read2_b64 v[109:112], v106 offset0:48 offset1:49
	s_waitcnt lgkmcnt(0)
	v_mul_f64 v[69:70], v[111:112], v[71:72]
	v_fma_f64 v[69:70], v[109:110], v[125:126], -v[69:70]
	v_mul_f64 v[109:110], v[109:110], v[71:72]
	v_add_f64 v[29:30], v[29:30], -v[69:70]
	v_fma_f64 v[109:110], v[111:112], v[125:126], v[109:110]
	v_add_f64 v[31:32], v[31:32], -v[109:110]
	ds_read2_b64 v[109:112], v106 offset0:50 offset1:51
	s_waitcnt lgkmcnt(0)
	v_mul_f64 v[69:70], v[111:112], v[71:72]
	v_fma_f64 v[69:70], v[109:110], v[125:126], -v[69:70]
	v_mul_f64 v[109:110], v[109:110], v[71:72]
	v_add_f64 v[25:26], v[25:26], -v[69:70]
	v_fma_f64 v[109:110], v[111:112], v[125:126], v[109:110]
	v_add_f64 v[27:28], v[27:28], -v[109:110]
	ds_read2_b64 v[109:112], v106 offset0:52 offset1:53
	s_waitcnt lgkmcnt(0)
	v_mul_f64 v[69:70], v[111:112], v[71:72]
	v_fma_f64 v[69:70], v[109:110], v[125:126], -v[69:70]
	v_mul_f64 v[109:110], v[109:110], v[71:72]
	v_add_f64 v[21:22], v[21:22], -v[69:70]
	v_fma_f64 v[109:110], v[111:112], v[125:126], v[109:110]
	v_add_f64 v[23:24], v[23:24], -v[109:110]
	ds_read2_b64 v[109:112], v106 offset0:54 offset1:55
	s_waitcnt lgkmcnt(0)
	v_mul_f64 v[69:70], v[111:112], v[71:72]
	v_fma_f64 v[69:70], v[109:110], v[125:126], -v[69:70]
	v_mul_f64 v[109:110], v[109:110], v[71:72]
	v_add_f64 v[17:18], v[17:18], -v[69:70]
	v_fma_f64 v[109:110], v[111:112], v[125:126], v[109:110]
	v_add_f64 v[19:20], v[19:20], -v[109:110]
	ds_read2_b64 v[109:112], v106 offset0:56 offset1:57
	s_waitcnt lgkmcnt(0)
	v_mul_f64 v[69:70], v[111:112], v[71:72]
	v_fma_f64 v[69:70], v[109:110], v[125:126], -v[69:70]
	v_mul_f64 v[109:110], v[109:110], v[71:72]
	v_add_f64 v[13:14], v[13:14], -v[69:70]
	v_fma_f64 v[109:110], v[111:112], v[125:126], v[109:110]
	v_add_f64 v[15:16], v[15:16], -v[109:110]
	ds_read2_b64 v[109:112], v106 offset0:58 offset1:59
	s_waitcnt lgkmcnt(0)
	v_mul_f64 v[69:70], v[111:112], v[71:72]
	v_fma_f64 v[69:70], v[109:110], v[125:126], -v[69:70]
	v_mul_f64 v[109:110], v[109:110], v[71:72]
	v_add_f64 v[9:10], v[9:10], -v[69:70]
	v_fma_f64 v[109:110], v[111:112], v[125:126], v[109:110]
	v_add_f64 v[11:12], v[11:12], -v[109:110]
	ds_read2_b64 v[109:112], v106 offset0:60 offset1:61
	s_waitcnt lgkmcnt(0)
	v_mul_f64 v[69:70], v[111:112], v[71:72]
	v_fma_f64 v[69:70], v[109:110], v[125:126], -v[69:70]
	v_mul_f64 v[109:110], v[109:110], v[71:72]
	v_add_f64 v[5:6], v[5:6], -v[69:70]
	v_fma_f64 v[109:110], v[111:112], v[125:126], v[109:110]
	v_add_f64 v[7:8], v[7:8], -v[109:110]
	ds_read2_b64 v[109:112], v106 offset0:62 offset1:63
	s_waitcnt lgkmcnt(0)
	v_mul_f64 v[69:70], v[111:112], v[71:72]
	v_fma_f64 v[69:70], v[109:110], v[125:126], -v[69:70]
	v_mul_f64 v[109:110], v[109:110], v[71:72]
	v_add_f64 v[1:2], v[1:2], -v[69:70]
	v_fma_f64 v[109:110], v[111:112], v[125:126], v[109:110]
	v_add_f64 v[3:4], v[3:4], -v[109:110]
	ds_read2_b64 v[109:112], v106 offset0:64 offset1:65
	s_waitcnt lgkmcnt(0)
	v_mul_f64 v[69:70], v[111:112], v[71:72]
	v_fma_f64 v[69:70], v[109:110], v[125:126], -v[69:70]
	v_mul_f64 v[109:110], v[109:110], v[71:72]
	v_add_f64 v[89:90], v[89:90], -v[69:70]
	v_fma_f64 v[109:110], v[111:112], v[125:126], v[109:110]
	v_mov_b32_e32 v69, v125
	v_mov_b32_e32 v70, v126
	v_add_f64 v[91:92], v[91:92], -v[109:110]
.LBB64_314:
	s_or_b64 exec, exec, s[0:1]
	v_lshl_add_u32 v109, v108, 4, v106
	s_barrier
	ds_write2_b64 v109, v[65:66], v[67:68] offset1:1
	s_waitcnt lgkmcnt(0)
	s_barrier
	ds_read2_b64 v[121:124], v106 offset0:30 offset1:31
	s_cmp_lt_i32 s3, 17
	v_mov_b32_e32 v109, 15
	s_cbranch_scc1 .LBB64_317
; %bb.315:
	v_add_u32_e32 v110, 0x100, v106
	s_mov_b32 s0, 16
	v_mov_b32_e32 v109, 15
.LBB64_316:                             ; =>This Inner Loop Header: Depth=1
	s_waitcnt lgkmcnt(0)
	v_cmp_gt_f64_e32 vcc, 0, v[121:122]
	v_xor_b32_e32 v115, 0x80000000, v122
	ds_read2_b64 v[111:114], v110 offset1:1
	v_xor_b32_e32 v117, 0x80000000, v124
	v_add_u32_e32 v110, 16, v110
	s_waitcnt lgkmcnt(0)
	v_xor_b32_e32 v119, 0x80000000, v114
	v_cndmask_b32_e32 v116, v122, v115, vcc
	v_cmp_gt_f64_e32 vcc, 0, v[123:124]
	v_mov_b32_e32 v115, v121
	v_cndmask_b32_e32 v118, v124, v117, vcc
	v_cmp_gt_f64_e32 vcc, 0, v[111:112]
	v_mov_b32_e32 v117, v123
	v_add_f64 v[115:116], v[115:116], v[117:118]
	v_xor_b32_e32 v117, 0x80000000, v112
	v_cndmask_b32_e32 v118, v112, v117, vcc
	v_cmp_gt_f64_e32 vcc, 0, v[113:114]
	v_mov_b32_e32 v117, v111
	v_cndmask_b32_e32 v120, v114, v119, vcc
	v_mov_b32_e32 v119, v113
	v_add_f64 v[117:118], v[117:118], v[119:120]
	v_cmp_lt_f64_e32 vcc, v[115:116], v[117:118]
	v_cndmask_b32_e32 v121, v121, v111, vcc
	v_mov_b32_e32 v111, s0
	s_add_i32 s0, s0, 1
	v_cndmask_b32_e32 v122, v122, v112, vcc
	v_cndmask_b32_e32 v124, v124, v114, vcc
	v_cndmask_b32_e32 v123, v123, v113, vcc
	v_cndmask_b32_e32 v109, v109, v111, vcc
	s_cmp_lg_u32 s3, s0
	s_cbranch_scc1 .LBB64_316
.LBB64_317:
	s_waitcnt lgkmcnt(0)
	v_cmp_eq_f64_e32 vcc, 0, v[121:122]
	v_cmp_eq_f64_e64 s[0:1], 0, v[123:124]
	s_and_b64 s[0:1], vcc, s[0:1]
	s_and_saveexec_b64 s[18:19], s[0:1]
	s_xor_b64 s[0:1], exec, s[18:19]
; %bb.318:
	v_cmp_ne_u32_e32 vcc, 0, v107
	v_cndmask_b32_e32 v107, 16, v107, vcc
; %bb.319:
	s_andn2_saveexec_b64 s[0:1], s[0:1]
	s_cbranch_execz .LBB64_325
; %bb.320:
	v_cmp_ngt_f64_e64 s[18:19], |v[121:122]|, |v[123:124]|
	s_and_saveexec_b64 s[20:21], s[18:19]
	s_xor_b64 s[18:19], exec, s[20:21]
	s_cbranch_execz .LBB64_322
; %bb.321:
	v_div_scale_f64 v[110:111], s[20:21], v[123:124], v[123:124], v[121:122]
	v_rcp_f64_e32 v[112:113], v[110:111]
	v_fma_f64 v[114:115], -v[110:111], v[112:113], 1.0
	v_fma_f64 v[112:113], v[112:113], v[114:115], v[112:113]
	v_div_scale_f64 v[114:115], vcc, v[121:122], v[123:124], v[121:122]
	v_fma_f64 v[116:117], -v[110:111], v[112:113], 1.0
	v_fma_f64 v[112:113], v[112:113], v[116:117], v[112:113]
	v_mul_f64 v[116:117], v[114:115], v[112:113]
	v_fma_f64 v[110:111], -v[110:111], v[116:117], v[114:115]
	v_div_fmas_f64 v[110:111], v[110:111], v[112:113], v[116:117]
	v_div_fixup_f64 v[110:111], v[110:111], v[123:124], v[121:122]
	v_fma_f64 v[112:113], v[121:122], v[110:111], v[123:124]
	v_div_scale_f64 v[114:115], s[20:21], v[112:113], v[112:113], 1.0
	v_div_scale_f64 v[120:121], vcc, 1.0, v[112:113], 1.0
	v_rcp_f64_e32 v[116:117], v[114:115]
	v_fma_f64 v[118:119], -v[114:115], v[116:117], 1.0
	v_fma_f64 v[116:117], v[116:117], v[118:119], v[116:117]
	v_fma_f64 v[118:119], -v[114:115], v[116:117], 1.0
	v_fma_f64 v[116:117], v[116:117], v[118:119], v[116:117]
	v_mul_f64 v[118:119], v[120:121], v[116:117]
	v_fma_f64 v[114:115], -v[114:115], v[118:119], v[120:121]
	v_div_fmas_f64 v[114:115], v[114:115], v[116:117], v[118:119]
	v_div_fixup_f64 v[123:124], v[114:115], v[112:113], 1.0
	v_mul_f64 v[121:122], v[110:111], v[123:124]
	v_xor_b32_e32 v124, 0x80000000, v124
.LBB64_322:
	s_andn2_saveexec_b64 s[18:19], s[18:19]
	s_cbranch_execz .LBB64_324
; %bb.323:
	v_div_scale_f64 v[110:111], s[20:21], v[121:122], v[121:122], v[123:124]
	v_rcp_f64_e32 v[112:113], v[110:111]
	v_fma_f64 v[114:115], -v[110:111], v[112:113], 1.0
	v_fma_f64 v[112:113], v[112:113], v[114:115], v[112:113]
	v_div_scale_f64 v[114:115], vcc, v[123:124], v[121:122], v[123:124]
	v_fma_f64 v[116:117], -v[110:111], v[112:113], 1.0
	v_fma_f64 v[112:113], v[112:113], v[116:117], v[112:113]
	v_mul_f64 v[116:117], v[114:115], v[112:113]
	v_fma_f64 v[110:111], -v[110:111], v[116:117], v[114:115]
	v_div_fmas_f64 v[110:111], v[110:111], v[112:113], v[116:117]
	v_div_fixup_f64 v[110:111], v[110:111], v[121:122], v[123:124]
	v_fma_f64 v[112:113], v[123:124], v[110:111], v[121:122]
	v_div_scale_f64 v[114:115], s[20:21], v[112:113], v[112:113], 1.0
	v_div_scale_f64 v[120:121], vcc, 1.0, v[112:113], 1.0
	v_rcp_f64_e32 v[116:117], v[114:115]
	v_fma_f64 v[118:119], -v[114:115], v[116:117], 1.0
	v_fma_f64 v[116:117], v[116:117], v[118:119], v[116:117]
	v_fma_f64 v[118:119], -v[114:115], v[116:117], 1.0
	v_fma_f64 v[116:117], v[116:117], v[118:119], v[116:117]
	v_mul_f64 v[118:119], v[120:121], v[116:117]
	v_fma_f64 v[114:115], -v[114:115], v[118:119], v[120:121]
	v_div_fmas_f64 v[114:115], v[114:115], v[116:117], v[118:119]
	v_div_fixup_f64 v[121:122], v[114:115], v[112:113], 1.0
	v_mul_f64 v[123:124], v[110:111], -v[121:122]
.LBB64_324:
	s_or_b64 exec, exec, s[18:19]
.LBB64_325:
	s_or_b64 exec, exec, s[0:1]
	v_cmp_ne_u32_e32 vcc, v108, v109
	s_and_saveexec_b64 s[0:1], vcc
	s_xor_b64 s[0:1], exec, s[0:1]
	s_cbranch_execz .LBB64_331
; %bb.326:
	v_cmp_eq_u32_e32 vcc, 15, v108
	s_and_saveexec_b64 s[18:19], vcc
	s_cbranch_execz .LBB64_330
; %bb.327:
	v_cmp_ne_u32_e32 vcc, 15, v109
	s_xor_b64 s[20:21], s[6:7], -1
	s_and_b64 s[22:23], s[20:21], vcc
	s_and_saveexec_b64 s[20:21], s[22:23]
	s_cbranch_execz .LBB64_329
; %bb.328:
	buffer_load_dword v112, off, s[24:27], 0 offset:80 ; 4-byte Folded Reload
	buffer_load_dword v113, off, s[24:27], 0 offset:84 ; 4-byte Folded Reload
	v_ashrrev_i32_e32 v110, 31, v109
	v_lshlrev_b64 v[110:111], 2, v[109:110]
	s_waitcnt vmcnt(1)
	v_add_co_u32_e32 v110, vcc, v112, v110
	s_waitcnt vmcnt(0)
	v_addc_co_u32_e32 v111, vcc, v113, v111, vcc
	global_load_dword v0, v[110:111], off
	global_load_dword v108, v[112:113], off offset:60
	s_waitcnt vmcnt(1)
	global_store_dword v[112:113], v0, off offset:60
	s_waitcnt vmcnt(1)
	global_store_dword v[110:111], v108, off
.LBB64_329:
	s_or_b64 exec, exec, s[20:21]
	v_mov_b32_e32 v108, v109
	v_mov_b32_e32 v0, v109
.LBB64_330:
	s_or_b64 exec, exec, s[18:19]
.LBB64_331:
	s_andn2_saveexec_b64 s[0:1], s[0:1]
	s_cbranch_execz .LBB64_333
; %bb.332:
	v_mov_b32_e32 v108, 15
	ds_write2_b64 v106, v[61:62], v[63:64] offset0:32 offset1:33
	ds_write2_b64 v106, v[57:58], v[59:60] offset0:34 offset1:35
	ds_write2_b64 v106, v[53:54], v[55:56] offset0:36 offset1:37
	ds_write2_b64 v106, v[49:50], v[51:52] offset0:38 offset1:39
	ds_write2_b64 v106, v[45:46], v[47:48] offset0:40 offset1:41
	ds_write2_b64 v106, v[41:42], v[43:44] offset0:42 offset1:43
	ds_write2_b64 v106, v[37:38], v[39:40] offset0:44 offset1:45
	ds_write2_b64 v106, v[33:34], v[35:36] offset0:46 offset1:47
	ds_write2_b64 v106, v[29:30], v[31:32] offset0:48 offset1:49
	ds_write2_b64 v106, v[25:26], v[27:28] offset0:50 offset1:51
	ds_write2_b64 v106, v[21:22], v[23:24] offset0:52 offset1:53
	ds_write2_b64 v106, v[17:18], v[19:20] offset0:54 offset1:55
	ds_write2_b64 v106, v[13:14], v[15:16] offset0:56 offset1:57
	ds_write2_b64 v106, v[9:10], v[11:12] offset0:58 offset1:59
	ds_write2_b64 v106, v[5:6], v[7:8] offset0:60 offset1:61
	ds_write2_b64 v106, v[1:2], v[3:4] offset0:62 offset1:63
	ds_write2_b64 v106, v[89:90], v[91:92] offset0:64 offset1:65
.LBB64_333:
	s_or_b64 exec, exec, s[0:1]
	v_cmp_lt_i32_e32 vcc, 15, v108
	s_waitcnt vmcnt(0) lgkmcnt(0)
	s_barrier
	s_and_saveexec_b64 s[0:1], vcc
	s_cbranch_execz .LBB64_335
; %bb.334:
	v_mul_f64 v[109:110], v[123:124], v[67:68]
	v_mul_f64 v[67:68], v[121:122], v[67:68]
	v_fma_f64 v[125:126], v[121:122], v[65:66], -v[109:110]
	v_fma_f64 v[67:68], v[123:124], v[65:66], v[67:68]
	ds_read2_b64 v[109:112], v106 offset0:32 offset1:33
	s_waitcnt lgkmcnt(0)
	v_mul_f64 v[65:66], v[111:112], v[67:68]
	v_fma_f64 v[65:66], v[109:110], v[125:126], -v[65:66]
	v_mul_f64 v[109:110], v[109:110], v[67:68]
	v_add_f64 v[61:62], v[61:62], -v[65:66]
	v_fma_f64 v[109:110], v[111:112], v[125:126], v[109:110]
	v_add_f64 v[63:64], v[63:64], -v[109:110]
	ds_read2_b64 v[109:112], v106 offset0:34 offset1:35
	s_waitcnt lgkmcnt(0)
	v_mul_f64 v[65:66], v[111:112], v[67:68]
	v_fma_f64 v[65:66], v[109:110], v[125:126], -v[65:66]
	v_mul_f64 v[109:110], v[109:110], v[67:68]
	v_add_f64 v[57:58], v[57:58], -v[65:66]
	v_fma_f64 v[109:110], v[111:112], v[125:126], v[109:110]
	v_add_f64 v[59:60], v[59:60], -v[109:110]
	;; [unrolled: 8-line block ×16, first 2 shown]
	ds_read2_b64 v[109:112], v106 offset0:64 offset1:65
	s_waitcnt lgkmcnt(0)
	v_mul_f64 v[65:66], v[111:112], v[67:68]
	v_fma_f64 v[65:66], v[109:110], v[125:126], -v[65:66]
	v_mul_f64 v[109:110], v[109:110], v[67:68]
	v_add_f64 v[89:90], v[89:90], -v[65:66]
	v_fma_f64 v[109:110], v[111:112], v[125:126], v[109:110]
	v_mov_b32_e32 v65, v125
	v_mov_b32_e32 v66, v126
	v_add_f64 v[91:92], v[91:92], -v[109:110]
.LBB64_335:
	s_or_b64 exec, exec, s[0:1]
	v_lshl_add_u32 v109, v108, 4, v106
	s_barrier
	ds_write2_b64 v109, v[61:62], v[63:64] offset1:1
	s_waitcnt lgkmcnt(0)
	s_barrier
	ds_read2_b64 v[121:124], v106 offset0:32 offset1:33
	s_cmp_lt_i32 s3, 18
	v_mov_b32_e32 v109, 16
	s_cbranch_scc1 .LBB64_338
; %bb.336:
	v_add_u32_e32 v110, 0x110, v106
	s_mov_b32 s0, 17
	v_mov_b32_e32 v109, 16
.LBB64_337:                             ; =>This Inner Loop Header: Depth=1
	s_waitcnt lgkmcnt(0)
	v_cmp_gt_f64_e32 vcc, 0, v[121:122]
	v_xor_b32_e32 v115, 0x80000000, v122
	ds_read2_b64 v[111:114], v110 offset1:1
	v_xor_b32_e32 v117, 0x80000000, v124
	v_add_u32_e32 v110, 16, v110
	s_waitcnt lgkmcnt(0)
	v_xor_b32_e32 v119, 0x80000000, v114
	v_cndmask_b32_e32 v116, v122, v115, vcc
	v_cmp_gt_f64_e32 vcc, 0, v[123:124]
	v_mov_b32_e32 v115, v121
	v_cndmask_b32_e32 v118, v124, v117, vcc
	v_cmp_gt_f64_e32 vcc, 0, v[111:112]
	v_mov_b32_e32 v117, v123
	v_add_f64 v[115:116], v[115:116], v[117:118]
	v_xor_b32_e32 v117, 0x80000000, v112
	v_cndmask_b32_e32 v118, v112, v117, vcc
	v_cmp_gt_f64_e32 vcc, 0, v[113:114]
	v_mov_b32_e32 v117, v111
	v_cndmask_b32_e32 v120, v114, v119, vcc
	v_mov_b32_e32 v119, v113
	v_add_f64 v[117:118], v[117:118], v[119:120]
	v_cmp_lt_f64_e32 vcc, v[115:116], v[117:118]
	v_cndmask_b32_e32 v121, v121, v111, vcc
	v_mov_b32_e32 v111, s0
	s_add_i32 s0, s0, 1
	v_cndmask_b32_e32 v122, v122, v112, vcc
	v_cndmask_b32_e32 v124, v124, v114, vcc
	;; [unrolled: 1-line block ×4, first 2 shown]
	s_cmp_lg_u32 s3, s0
	s_cbranch_scc1 .LBB64_337
.LBB64_338:
	s_waitcnt lgkmcnt(0)
	v_cmp_eq_f64_e32 vcc, 0, v[121:122]
	v_cmp_eq_f64_e64 s[0:1], 0, v[123:124]
	s_and_b64 s[0:1], vcc, s[0:1]
	s_and_saveexec_b64 s[18:19], s[0:1]
	s_xor_b64 s[0:1], exec, s[18:19]
; %bb.339:
	v_cmp_ne_u32_e32 vcc, 0, v107
	v_cndmask_b32_e32 v107, 17, v107, vcc
; %bb.340:
	s_andn2_saveexec_b64 s[0:1], s[0:1]
	s_cbranch_execz .LBB64_346
; %bb.341:
	v_cmp_ngt_f64_e64 s[18:19], |v[121:122]|, |v[123:124]|
	s_and_saveexec_b64 s[20:21], s[18:19]
	s_xor_b64 s[18:19], exec, s[20:21]
	s_cbranch_execz .LBB64_343
; %bb.342:
	v_div_scale_f64 v[110:111], s[20:21], v[123:124], v[123:124], v[121:122]
	v_rcp_f64_e32 v[112:113], v[110:111]
	v_fma_f64 v[114:115], -v[110:111], v[112:113], 1.0
	v_fma_f64 v[112:113], v[112:113], v[114:115], v[112:113]
	v_div_scale_f64 v[114:115], vcc, v[121:122], v[123:124], v[121:122]
	v_fma_f64 v[116:117], -v[110:111], v[112:113], 1.0
	v_fma_f64 v[112:113], v[112:113], v[116:117], v[112:113]
	v_mul_f64 v[116:117], v[114:115], v[112:113]
	v_fma_f64 v[110:111], -v[110:111], v[116:117], v[114:115]
	v_div_fmas_f64 v[110:111], v[110:111], v[112:113], v[116:117]
	v_div_fixup_f64 v[110:111], v[110:111], v[123:124], v[121:122]
	v_fma_f64 v[112:113], v[121:122], v[110:111], v[123:124]
	v_div_scale_f64 v[114:115], s[20:21], v[112:113], v[112:113], 1.0
	v_div_scale_f64 v[120:121], vcc, 1.0, v[112:113], 1.0
	v_rcp_f64_e32 v[116:117], v[114:115]
	v_fma_f64 v[118:119], -v[114:115], v[116:117], 1.0
	v_fma_f64 v[116:117], v[116:117], v[118:119], v[116:117]
	v_fma_f64 v[118:119], -v[114:115], v[116:117], 1.0
	v_fma_f64 v[116:117], v[116:117], v[118:119], v[116:117]
	v_mul_f64 v[118:119], v[120:121], v[116:117]
	v_fma_f64 v[114:115], -v[114:115], v[118:119], v[120:121]
	v_div_fmas_f64 v[114:115], v[114:115], v[116:117], v[118:119]
	v_div_fixup_f64 v[123:124], v[114:115], v[112:113], 1.0
	v_mul_f64 v[121:122], v[110:111], v[123:124]
	v_xor_b32_e32 v124, 0x80000000, v124
.LBB64_343:
	s_andn2_saveexec_b64 s[18:19], s[18:19]
	s_cbranch_execz .LBB64_345
; %bb.344:
	v_div_scale_f64 v[110:111], s[20:21], v[121:122], v[121:122], v[123:124]
	v_rcp_f64_e32 v[112:113], v[110:111]
	v_fma_f64 v[114:115], -v[110:111], v[112:113], 1.0
	v_fma_f64 v[112:113], v[112:113], v[114:115], v[112:113]
	v_div_scale_f64 v[114:115], vcc, v[123:124], v[121:122], v[123:124]
	v_fma_f64 v[116:117], -v[110:111], v[112:113], 1.0
	v_fma_f64 v[112:113], v[112:113], v[116:117], v[112:113]
	v_mul_f64 v[116:117], v[114:115], v[112:113]
	v_fma_f64 v[110:111], -v[110:111], v[116:117], v[114:115]
	v_div_fmas_f64 v[110:111], v[110:111], v[112:113], v[116:117]
	v_div_fixup_f64 v[110:111], v[110:111], v[121:122], v[123:124]
	v_fma_f64 v[112:113], v[123:124], v[110:111], v[121:122]
	v_div_scale_f64 v[114:115], s[20:21], v[112:113], v[112:113], 1.0
	v_div_scale_f64 v[120:121], vcc, 1.0, v[112:113], 1.0
	v_rcp_f64_e32 v[116:117], v[114:115]
	v_fma_f64 v[118:119], -v[114:115], v[116:117], 1.0
	v_fma_f64 v[116:117], v[116:117], v[118:119], v[116:117]
	v_fma_f64 v[118:119], -v[114:115], v[116:117], 1.0
	v_fma_f64 v[116:117], v[116:117], v[118:119], v[116:117]
	v_mul_f64 v[118:119], v[120:121], v[116:117]
	v_fma_f64 v[114:115], -v[114:115], v[118:119], v[120:121]
	v_div_fmas_f64 v[114:115], v[114:115], v[116:117], v[118:119]
	v_div_fixup_f64 v[121:122], v[114:115], v[112:113], 1.0
	v_mul_f64 v[123:124], v[110:111], -v[121:122]
.LBB64_345:
	s_or_b64 exec, exec, s[18:19]
.LBB64_346:
	s_or_b64 exec, exec, s[0:1]
	v_cmp_ne_u32_e32 vcc, v108, v109
	s_and_saveexec_b64 s[0:1], vcc
	s_xor_b64 s[0:1], exec, s[0:1]
	s_cbranch_execz .LBB64_352
; %bb.347:
	v_cmp_eq_u32_e32 vcc, 16, v108
	s_and_saveexec_b64 s[18:19], vcc
	s_cbranch_execz .LBB64_351
; %bb.348:
	v_cmp_ne_u32_e32 vcc, 16, v109
	s_xor_b64 s[20:21], s[6:7], -1
	s_and_b64 s[22:23], s[20:21], vcc
	s_and_saveexec_b64 s[20:21], s[22:23]
	s_cbranch_execz .LBB64_350
; %bb.349:
	buffer_load_dword v112, off, s[24:27], 0 offset:80 ; 4-byte Folded Reload
	buffer_load_dword v113, off, s[24:27], 0 offset:84 ; 4-byte Folded Reload
	v_ashrrev_i32_e32 v110, 31, v109
	v_lshlrev_b64 v[110:111], 2, v[109:110]
	s_waitcnt vmcnt(1)
	v_add_co_u32_e32 v110, vcc, v112, v110
	s_waitcnt vmcnt(0)
	v_addc_co_u32_e32 v111, vcc, v113, v111, vcc
	global_load_dword v0, v[110:111], off
	global_load_dword v108, v[112:113], off offset:64
	s_waitcnt vmcnt(1)
	global_store_dword v[112:113], v0, off offset:64
	s_waitcnt vmcnt(1)
	global_store_dword v[110:111], v108, off
.LBB64_350:
	s_or_b64 exec, exec, s[20:21]
	v_mov_b32_e32 v108, v109
	v_mov_b32_e32 v0, v109
.LBB64_351:
	s_or_b64 exec, exec, s[18:19]
.LBB64_352:
	s_andn2_saveexec_b64 s[0:1], s[0:1]
	s_cbranch_execz .LBB64_354
; %bb.353:
	v_mov_b32_e32 v108, 16
	ds_write2_b64 v106, v[57:58], v[59:60] offset0:34 offset1:35
	ds_write2_b64 v106, v[53:54], v[55:56] offset0:36 offset1:37
	;; [unrolled: 1-line block ×16, first 2 shown]
.LBB64_354:
	s_or_b64 exec, exec, s[0:1]
	v_cmp_lt_i32_e32 vcc, 16, v108
	s_waitcnt vmcnt(0) lgkmcnt(0)
	s_barrier
	s_and_saveexec_b64 s[0:1], vcc
	s_cbranch_execz .LBB64_356
; %bb.355:
	v_mul_f64 v[109:110], v[121:122], v[63:64]
	v_mul_f64 v[63:64], v[123:124], v[63:64]
	v_fma_f64 v[125:126], v[123:124], v[61:62], v[109:110]
	ds_read2_b64 v[109:112], v106 offset0:34 offset1:35
	v_fma_f64 v[61:62], v[121:122], v[61:62], -v[63:64]
	s_waitcnt lgkmcnt(0)
	v_mul_f64 v[63:64], v[111:112], v[125:126]
	v_fma_f64 v[63:64], v[109:110], v[61:62], -v[63:64]
	v_mul_f64 v[109:110], v[109:110], v[125:126]
	v_add_f64 v[57:58], v[57:58], -v[63:64]
	v_fma_f64 v[109:110], v[111:112], v[61:62], v[109:110]
	v_add_f64 v[59:60], v[59:60], -v[109:110]
	ds_read2_b64 v[109:112], v106 offset0:36 offset1:37
	s_waitcnt lgkmcnt(0)
	v_mul_f64 v[63:64], v[111:112], v[125:126]
	v_fma_f64 v[63:64], v[109:110], v[61:62], -v[63:64]
	v_mul_f64 v[109:110], v[109:110], v[125:126]
	v_add_f64 v[53:54], v[53:54], -v[63:64]
	v_fma_f64 v[109:110], v[111:112], v[61:62], v[109:110]
	v_add_f64 v[55:56], v[55:56], -v[109:110]
	ds_read2_b64 v[109:112], v106 offset0:38 offset1:39
	;; [unrolled: 8-line block ×15, first 2 shown]
	s_waitcnt lgkmcnt(0)
	v_mul_f64 v[63:64], v[111:112], v[125:126]
	v_fma_f64 v[63:64], v[109:110], v[61:62], -v[63:64]
	v_mul_f64 v[109:110], v[109:110], v[125:126]
	v_add_f64 v[89:90], v[89:90], -v[63:64]
	v_fma_f64 v[109:110], v[111:112], v[61:62], v[109:110]
	v_mov_b32_e32 v63, v125
	v_mov_b32_e32 v64, v126
	v_add_f64 v[91:92], v[91:92], -v[109:110]
.LBB64_356:
	s_or_b64 exec, exec, s[0:1]
	v_lshl_add_u32 v109, v108, 4, v106
	s_barrier
	ds_write2_b64 v109, v[57:58], v[59:60] offset1:1
	s_waitcnt lgkmcnt(0)
	s_barrier
	ds_read2_b64 v[121:124], v106 offset0:34 offset1:35
	s_cmp_lt_i32 s3, 19
	v_mov_b32_e32 v109, 17
	s_cbranch_scc1 .LBB64_359
; %bb.357:
	v_add_u32_e32 v110, 0x120, v106
	s_mov_b32 s0, 18
	v_mov_b32_e32 v109, 17
.LBB64_358:                             ; =>This Inner Loop Header: Depth=1
	s_waitcnt lgkmcnt(0)
	v_cmp_gt_f64_e32 vcc, 0, v[121:122]
	v_xor_b32_e32 v115, 0x80000000, v122
	ds_read2_b64 v[111:114], v110 offset1:1
	v_xor_b32_e32 v117, 0x80000000, v124
	v_add_u32_e32 v110, 16, v110
	s_waitcnt lgkmcnt(0)
	v_xor_b32_e32 v119, 0x80000000, v114
	v_cndmask_b32_e32 v116, v122, v115, vcc
	v_cmp_gt_f64_e32 vcc, 0, v[123:124]
	v_mov_b32_e32 v115, v121
	v_cndmask_b32_e32 v118, v124, v117, vcc
	v_cmp_gt_f64_e32 vcc, 0, v[111:112]
	v_mov_b32_e32 v117, v123
	v_add_f64 v[115:116], v[115:116], v[117:118]
	v_xor_b32_e32 v117, 0x80000000, v112
	v_cndmask_b32_e32 v118, v112, v117, vcc
	v_cmp_gt_f64_e32 vcc, 0, v[113:114]
	v_mov_b32_e32 v117, v111
	v_cndmask_b32_e32 v120, v114, v119, vcc
	v_mov_b32_e32 v119, v113
	v_add_f64 v[117:118], v[117:118], v[119:120]
	v_cmp_lt_f64_e32 vcc, v[115:116], v[117:118]
	v_cndmask_b32_e32 v121, v121, v111, vcc
	v_mov_b32_e32 v111, s0
	s_add_i32 s0, s0, 1
	v_cndmask_b32_e32 v122, v122, v112, vcc
	v_cndmask_b32_e32 v124, v124, v114, vcc
	;; [unrolled: 1-line block ×4, first 2 shown]
	s_cmp_lg_u32 s3, s0
	s_cbranch_scc1 .LBB64_358
.LBB64_359:
	s_waitcnt lgkmcnt(0)
	v_cmp_eq_f64_e32 vcc, 0, v[121:122]
	v_cmp_eq_f64_e64 s[0:1], 0, v[123:124]
	s_and_b64 s[0:1], vcc, s[0:1]
	s_and_saveexec_b64 s[18:19], s[0:1]
	s_xor_b64 s[0:1], exec, s[18:19]
; %bb.360:
	v_cmp_ne_u32_e32 vcc, 0, v107
	v_cndmask_b32_e32 v107, 18, v107, vcc
; %bb.361:
	s_andn2_saveexec_b64 s[0:1], s[0:1]
	s_cbranch_execz .LBB64_367
; %bb.362:
	v_cmp_ngt_f64_e64 s[18:19], |v[121:122]|, |v[123:124]|
	s_and_saveexec_b64 s[20:21], s[18:19]
	s_xor_b64 s[18:19], exec, s[20:21]
	s_cbranch_execz .LBB64_364
; %bb.363:
	v_div_scale_f64 v[110:111], s[20:21], v[123:124], v[123:124], v[121:122]
	v_rcp_f64_e32 v[112:113], v[110:111]
	v_fma_f64 v[114:115], -v[110:111], v[112:113], 1.0
	v_fma_f64 v[112:113], v[112:113], v[114:115], v[112:113]
	v_div_scale_f64 v[114:115], vcc, v[121:122], v[123:124], v[121:122]
	v_fma_f64 v[116:117], -v[110:111], v[112:113], 1.0
	v_fma_f64 v[112:113], v[112:113], v[116:117], v[112:113]
	v_mul_f64 v[116:117], v[114:115], v[112:113]
	v_fma_f64 v[110:111], -v[110:111], v[116:117], v[114:115]
	v_div_fmas_f64 v[110:111], v[110:111], v[112:113], v[116:117]
	v_div_fixup_f64 v[110:111], v[110:111], v[123:124], v[121:122]
	v_fma_f64 v[112:113], v[121:122], v[110:111], v[123:124]
	v_div_scale_f64 v[114:115], s[20:21], v[112:113], v[112:113], 1.0
	v_div_scale_f64 v[120:121], vcc, 1.0, v[112:113], 1.0
	v_rcp_f64_e32 v[116:117], v[114:115]
	v_fma_f64 v[118:119], -v[114:115], v[116:117], 1.0
	v_fma_f64 v[116:117], v[116:117], v[118:119], v[116:117]
	v_fma_f64 v[118:119], -v[114:115], v[116:117], 1.0
	v_fma_f64 v[116:117], v[116:117], v[118:119], v[116:117]
	v_mul_f64 v[118:119], v[120:121], v[116:117]
	v_fma_f64 v[114:115], -v[114:115], v[118:119], v[120:121]
	v_div_fmas_f64 v[114:115], v[114:115], v[116:117], v[118:119]
	v_div_fixup_f64 v[123:124], v[114:115], v[112:113], 1.0
	v_mul_f64 v[121:122], v[110:111], v[123:124]
	v_xor_b32_e32 v124, 0x80000000, v124
.LBB64_364:
	s_andn2_saveexec_b64 s[18:19], s[18:19]
	s_cbranch_execz .LBB64_366
; %bb.365:
	v_div_scale_f64 v[110:111], s[20:21], v[121:122], v[121:122], v[123:124]
	v_rcp_f64_e32 v[112:113], v[110:111]
	v_fma_f64 v[114:115], -v[110:111], v[112:113], 1.0
	v_fma_f64 v[112:113], v[112:113], v[114:115], v[112:113]
	v_div_scale_f64 v[114:115], vcc, v[123:124], v[121:122], v[123:124]
	v_fma_f64 v[116:117], -v[110:111], v[112:113], 1.0
	v_fma_f64 v[112:113], v[112:113], v[116:117], v[112:113]
	v_mul_f64 v[116:117], v[114:115], v[112:113]
	v_fma_f64 v[110:111], -v[110:111], v[116:117], v[114:115]
	v_div_fmas_f64 v[110:111], v[110:111], v[112:113], v[116:117]
	v_div_fixup_f64 v[110:111], v[110:111], v[121:122], v[123:124]
	v_fma_f64 v[112:113], v[123:124], v[110:111], v[121:122]
	v_div_scale_f64 v[114:115], s[20:21], v[112:113], v[112:113], 1.0
	v_div_scale_f64 v[120:121], vcc, 1.0, v[112:113], 1.0
	v_rcp_f64_e32 v[116:117], v[114:115]
	v_fma_f64 v[118:119], -v[114:115], v[116:117], 1.0
	v_fma_f64 v[116:117], v[116:117], v[118:119], v[116:117]
	v_fma_f64 v[118:119], -v[114:115], v[116:117], 1.0
	v_fma_f64 v[116:117], v[116:117], v[118:119], v[116:117]
	v_mul_f64 v[118:119], v[120:121], v[116:117]
	v_fma_f64 v[114:115], -v[114:115], v[118:119], v[120:121]
	v_div_fmas_f64 v[114:115], v[114:115], v[116:117], v[118:119]
	v_div_fixup_f64 v[121:122], v[114:115], v[112:113], 1.0
	v_mul_f64 v[123:124], v[110:111], -v[121:122]
.LBB64_366:
	s_or_b64 exec, exec, s[18:19]
.LBB64_367:
	s_or_b64 exec, exec, s[0:1]
	v_cmp_ne_u32_e32 vcc, v108, v109
	s_and_saveexec_b64 s[0:1], vcc
	s_xor_b64 s[0:1], exec, s[0:1]
	s_cbranch_execz .LBB64_373
; %bb.368:
	v_cmp_eq_u32_e32 vcc, 17, v108
	s_and_saveexec_b64 s[18:19], vcc
	s_cbranch_execz .LBB64_372
; %bb.369:
	v_cmp_ne_u32_e32 vcc, 17, v109
	s_xor_b64 s[20:21], s[6:7], -1
	s_and_b64 s[22:23], s[20:21], vcc
	s_and_saveexec_b64 s[20:21], s[22:23]
	s_cbranch_execz .LBB64_371
; %bb.370:
	buffer_load_dword v112, off, s[24:27], 0 offset:80 ; 4-byte Folded Reload
	buffer_load_dword v113, off, s[24:27], 0 offset:84 ; 4-byte Folded Reload
	v_ashrrev_i32_e32 v110, 31, v109
	v_lshlrev_b64 v[110:111], 2, v[109:110]
	s_waitcnt vmcnt(1)
	v_add_co_u32_e32 v110, vcc, v112, v110
	s_waitcnt vmcnt(0)
	v_addc_co_u32_e32 v111, vcc, v113, v111, vcc
	global_load_dword v0, v[110:111], off
	global_load_dword v108, v[112:113], off offset:68
	s_waitcnt vmcnt(1)
	global_store_dword v[112:113], v0, off offset:68
	s_waitcnt vmcnt(1)
	global_store_dword v[110:111], v108, off
.LBB64_371:
	s_or_b64 exec, exec, s[20:21]
	v_mov_b32_e32 v108, v109
	v_mov_b32_e32 v0, v109
.LBB64_372:
	s_or_b64 exec, exec, s[18:19]
.LBB64_373:
	s_andn2_saveexec_b64 s[0:1], s[0:1]
	s_cbranch_execz .LBB64_375
; %bb.374:
	v_mov_b32_e32 v108, 17
	ds_write2_b64 v106, v[53:54], v[55:56] offset0:36 offset1:37
	ds_write2_b64 v106, v[49:50], v[51:52] offset0:38 offset1:39
	;; [unrolled: 1-line block ×15, first 2 shown]
.LBB64_375:
	s_or_b64 exec, exec, s[0:1]
	v_cmp_lt_i32_e32 vcc, 17, v108
	s_waitcnt vmcnt(0) lgkmcnt(0)
	s_barrier
	s_and_saveexec_b64 s[0:1], vcc
	s_cbranch_execz .LBB64_377
; %bb.376:
	v_mul_f64 v[109:110], v[121:122], v[59:60]
	v_mul_f64 v[59:60], v[123:124], v[59:60]
	v_fma_f64 v[113:114], v[123:124], v[57:58], v[109:110]
	ds_read2_b64 v[109:112], v106 offset0:36 offset1:37
	v_fma_f64 v[57:58], v[121:122], v[57:58], -v[59:60]
	s_waitcnt lgkmcnt(0)
	v_mul_f64 v[59:60], v[111:112], v[113:114]
	v_fma_f64 v[59:60], v[109:110], v[57:58], -v[59:60]
	v_mul_f64 v[109:110], v[109:110], v[113:114]
	v_add_f64 v[53:54], v[53:54], -v[59:60]
	v_fma_f64 v[109:110], v[111:112], v[57:58], v[109:110]
	v_add_f64 v[55:56], v[55:56], -v[109:110]
	ds_read2_b64 v[109:112], v106 offset0:38 offset1:39
	s_waitcnt lgkmcnt(0)
	v_mul_f64 v[59:60], v[111:112], v[113:114]
	v_fma_f64 v[59:60], v[109:110], v[57:58], -v[59:60]
	v_mul_f64 v[109:110], v[109:110], v[113:114]
	v_add_f64 v[49:50], v[49:50], -v[59:60]
	v_fma_f64 v[109:110], v[111:112], v[57:58], v[109:110]
	v_add_f64 v[51:52], v[51:52], -v[109:110]
	ds_read2_b64 v[109:112], v106 offset0:40 offset1:41
	;; [unrolled: 8-line block ×14, first 2 shown]
	s_waitcnt lgkmcnt(0)
	v_mul_f64 v[59:60], v[111:112], v[113:114]
	v_fma_f64 v[59:60], v[109:110], v[57:58], -v[59:60]
	v_mul_f64 v[109:110], v[109:110], v[113:114]
	v_add_f64 v[89:90], v[89:90], -v[59:60]
	v_fma_f64 v[109:110], v[111:112], v[57:58], v[109:110]
	v_mov_b32_e32 v59, v113
	v_mov_b32_e32 v60, v114
	v_add_f64 v[91:92], v[91:92], -v[109:110]
.LBB64_377:
	s_or_b64 exec, exec, s[0:1]
	v_lshl_add_u32 v109, v108, 4, v106
	s_barrier
	ds_write2_b64 v109, v[53:54], v[55:56] offset1:1
	s_waitcnt lgkmcnt(0)
	s_barrier
	ds_read2_b64 v[121:124], v106 offset0:36 offset1:37
	s_cmp_lt_i32 s3, 20
	v_mov_b32_e32 v109, 18
	s_cbranch_scc1 .LBB64_380
; %bb.378:
	v_add_u32_e32 v110, 0x130, v106
	s_mov_b32 s0, 19
	v_mov_b32_e32 v109, 18
.LBB64_379:                             ; =>This Inner Loop Header: Depth=1
	s_waitcnt lgkmcnt(0)
	v_cmp_gt_f64_e32 vcc, 0, v[121:122]
	v_xor_b32_e32 v115, 0x80000000, v122
	ds_read2_b64 v[111:114], v110 offset1:1
	v_xor_b32_e32 v117, 0x80000000, v124
	v_add_u32_e32 v110, 16, v110
	s_waitcnt lgkmcnt(0)
	v_xor_b32_e32 v119, 0x80000000, v114
	v_cndmask_b32_e32 v116, v122, v115, vcc
	v_cmp_gt_f64_e32 vcc, 0, v[123:124]
	v_mov_b32_e32 v115, v121
	v_cndmask_b32_e32 v118, v124, v117, vcc
	v_cmp_gt_f64_e32 vcc, 0, v[111:112]
	v_mov_b32_e32 v117, v123
	v_add_f64 v[115:116], v[115:116], v[117:118]
	v_xor_b32_e32 v117, 0x80000000, v112
	v_cndmask_b32_e32 v118, v112, v117, vcc
	v_cmp_gt_f64_e32 vcc, 0, v[113:114]
	v_mov_b32_e32 v117, v111
	v_cndmask_b32_e32 v120, v114, v119, vcc
	v_mov_b32_e32 v119, v113
	v_add_f64 v[117:118], v[117:118], v[119:120]
	v_cmp_lt_f64_e32 vcc, v[115:116], v[117:118]
	v_cndmask_b32_e32 v121, v121, v111, vcc
	v_mov_b32_e32 v111, s0
	s_add_i32 s0, s0, 1
	v_cndmask_b32_e32 v122, v122, v112, vcc
	v_cndmask_b32_e32 v124, v124, v114, vcc
	;; [unrolled: 1-line block ×4, first 2 shown]
	s_cmp_lg_u32 s3, s0
	s_cbranch_scc1 .LBB64_379
.LBB64_380:
	s_waitcnt lgkmcnt(0)
	v_cmp_eq_f64_e32 vcc, 0, v[121:122]
	v_cmp_eq_f64_e64 s[0:1], 0, v[123:124]
	s_and_b64 s[0:1], vcc, s[0:1]
	s_and_saveexec_b64 s[18:19], s[0:1]
	s_xor_b64 s[0:1], exec, s[18:19]
; %bb.381:
	v_cmp_ne_u32_e32 vcc, 0, v107
	v_cndmask_b32_e32 v107, 19, v107, vcc
; %bb.382:
	s_andn2_saveexec_b64 s[0:1], s[0:1]
	s_cbranch_execz .LBB64_388
; %bb.383:
	v_cmp_ngt_f64_e64 s[18:19], |v[121:122]|, |v[123:124]|
	s_and_saveexec_b64 s[20:21], s[18:19]
	s_xor_b64 s[18:19], exec, s[20:21]
	s_cbranch_execz .LBB64_385
; %bb.384:
	v_div_scale_f64 v[110:111], s[20:21], v[123:124], v[123:124], v[121:122]
	v_rcp_f64_e32 v[112:113], v[110:111]
	v_fma_f64 v[114:115], -v[110:111], v[112:113], 1.0
	v_fma_f64 v[112:113], v[112:113], v[114:115], v[112:113]
	v_div_scale_f64 v[114:115], vcc, v[121:122], v[123:124], v[121:122]
	v_fma_f64 v[116:117], -v[110:111], v[112:113], 1.0
	v_fma_f64 v[112:113], v[112:113], v[116:117], v[112:113]
	v_mul_f64 v[116:117], v[114:115], v[112:113]
	v_fma_f64 v[110:111], -v[110:111], v[116:117], v[114:115]
	v_div_fmas_f64 v[110:111], v[110:111], v[112:113], v[116:117]
	v_div_fixup_f64 v[110:111], v[110:111], v[123:124], v[121:122]
	v_fma_f64 v[112:113], v[121:122], v[110:111], v[123:124]
	v_div_scale_f64 v[114:115], s[20:21], v[112:113], v[112:113], 1.0
	v_div_scale_f64 v[120:121], vcc, 1.0, v[112:113], 1.0
	v_rcp_f64_e32 v[116:117], v[114:115]
	v_fma_f64 v[118:119], -v[114:115], v[116:117], 1.0
	v_fma_f64 v[116:117], v[116:117], v[118:119], v[116:117]
	v_fma_f64 v[118:119], -v[114:115], v[116:117], 1.0
	v_fma_f64 v[116:117], v[116:117], v[118:119], v[116:117]
	v_mul_f64 v[118:119], v[120:121], v[116:117]
	v_fma_f64 v[114:115], -v[114:115], v[118:119], v[120:121]
	v_div_fmas_f64 v[114:115], v[114:115], v[116:117], v[118:119]
	v_div_fixup_f64 v[123:124], v[114:115], v[112:113], 1.0
	v_mul_f64 v[121:122], v[110:111], v[123:124]
	v_xor_b32_e32 v124, 0x80000000, v124
.LBB64_385:
	s_andn2_saveexec_b64 s[18:19], s[18:19]
	s_cbranch_execz .LBB64_387
; %bb.386:
	v_div_scale_f64 v[110:111], s[20:21], v[121:122], v[121:122], v[123:124]
	v_rcp_f64_e32 v[112:113], v[110:111]
	v_fma_f64 v[114:115], -v[110:111], v[112:113], 1.0
	v_fma_f64 v[112:113], v[112:113], v[114:115], v[112:113]
	v_div_scale_f64 v[114:115], vcc, v[123:124], v[121:122], v[123:124]
	v_fma_f64 v[116:117], -v[110:111], v[112:113], 1.0
	v_fma_f64 v[112:113], v[112:113], v[116:117], v[112:113]
	v_mul_f64 v[116:117], v[114:115], v[112:113]
	v_fma_f64 v[110:111], -v[110:111], v[116:117], v[114:115]
	v_div_fmas_f64 v[110:111], v[110:111], v[112:113], v[116:117]
	v_div_fixup_f64 v[110:111], v[110:111], v[121:122], v[123:124]
	v_fma_f64 v[112:113], v[123:124], v[110:111], v[121:122]
	v_div_scale_f64 v[114:115], s[20:21], v[112:113], v[112:113], 1.0
	v_div_scale_f64 v[120:121], vcc, 1.0, v[112:113], 1.0
	v_rcp_f64_e32 v[116:117], v[114:115]
	v_fma_f64 v[118:119], -v[114:115], v[116:117], 1.0
	v_fma_f64 v[116:117], v[116:117], v[118:119], v[116:117]
	v_fma_f64 v[118:119], -v[114:115], v[116:117], 1.0
	v_fma_f64 v[116:117], v[116:117], v[118:119], v[116:117]
	v_mul_f64 v[118:119], v[120:121], v[116:117]
	v_fma_f64 v[114:115], -v[114:115], v[118:119], v[120:121]
	v_div_fmas_f64 v[114:115], v[114:115], v[116:117], v[118:119]
	v_div_fixup_f64 v[121:122], v[114:115], v[112:113], 1.0
	v_mul_f64 v[123:124], v[110:111], -v[121:122]
.LBB64_387:
	s_or_b64 exec, exec, s[18:19]
.LBB64_388:
	s_or_b64 exec, exec, s[0:1]
	v_cmp_ne_u32_e32 vcc, v108, v109
	s_and_saveexec_b64 s[0:1], vcc
	s_xor_b64 s[0:1], exec, s[0:1]
	s_cbranch_execz .LBB64_394
; %bb.389:
	v_cmp_eq_u32_e32 vcc, 18, v108
	s_and_saveexec_b64 s[18:19], vcc
	s_cbranch_execz .LBB64_393
; %bb.390:
	v_cmp_ne_u32_e32 vcc, 18, v109
	s_xor_b64 s[20:21], s[6:7], -1
	s_and_b64 s[22:23], s[20:21], vcc
	s_and_saveexec_b64 s[20:21], s[22:23]
	s_cbranch_execz .LBB64_392
; %bb.391:
	buffer_load_dword v112, off, s[24:27], 0 offset:80 ; 4-byte Folded Reload
	buffer_load_dword v113, off, s[24:27], 0 offset:84 ; 4-byte Folded Reload
	v_ashrrev_i32_e32 v110, 31, v109
	v_lshlrev_b64 v[110:111], 2, v[109:110]
	s_waitcnt vmcnt(1)
	v_add_co_u32_e32 v110, vcc, v112, v110
	s_waitcnt vmcnt(0)
	v_addc_co_u32_e32 v111, vcc, v113, v111, vcc
	global_load_dword v0, v[110:111], off
	global_load_dword v108, v[112:113], off offset:72
	s_waitcnt vmcnt(1)
	global_store_dword v[112:113], v0, off offset:72
	s_waitcnt vmcnt(1)
	global_store_dword v[110:111], v108, off
.LBB64_392:
	s_or_b64 exec, exec, s[20:21]
	v_mov_b32_e32 v108, v109
	v_mov_b32_e32 v0, v109
.LBB64_393:
	s_or_b64 exec, exec, s[18:19]
.LBB64_394:
	s_andn2_saveexec_b64 s[0:1], s[0:1]
	s_cbranch_execz .LBB64_396
; %bb.395:
	v_mov_b32_e32 v108, 18
	ds_write2_b64 v106, v[49:50], v[51:52] offset0:38 offset1:39
	ds_write2_b64 v106, v[45:46], v[47:48] offset0:40 offset1:41
	;; [unrolled: 1-line block ×14, first 2 shown]
.LBB64_396:
	s_or_b64 exec, exec, s[0:1]
	v_cmp_lt_i32_e32 vcc, 18, v108
	s_waitcnt vmcnt(0) lgkmcnt(0)
	s_barrier
	s_and_saveexec_b64 s[0:1], vcc
	s_cbranch_execz .LBB64_398
; %bb.397:
	v_mul_f64 v[109:110], v[121:122], v[55:56]
	v_mul_f64 v[55:56], v[123:124], v[55:56]
	ds_read2_b64 v[111:114], v106 offset0:38 offset1:39
	v_fma_f64 v[109:110], v[123:124], v[53:54], v[109:110]
	v_fma_f64 v[53:54], v[121:122], v[53:54], -v[55:56]
	s_waitcnt lgkmcnt(0)
	v_mul_f64 v[55:56], v[113:114], v[109:110]
	v_fma_f64 v[55:56], v[111:112], v[53:54], -v[55:56]
	v_mul_f64 v[111:112], v[111:112], v[109:110]
	v_add_f64 v[49:50], v[49:50], -v[55:56]
	v_fma_f64 v[111:112], v[113:114], v[53:54], v[111:112]
	v_add_f64 v[51:52], v[51:52], -v[111:112]
	ds_read2_b64 v[111:114], v106 offset0:40 offset1:41
	s_waitcnt lgkmcnt(0)
	v_mul_f64 v[55:56], v[113:114], v[109:110]
	v_fma_f64 v[55:56], v[111:112], v[53:54], -v[55:56]
	v_mul_f64 v[111:112], v[111:112], v[109:110]
	v_add_f64 v[45:46], v[45:46], -v[55:56]
	v_fma_f64 v[111:112], v[113:114], v[53:54], v[111:112]
	v_add_f64 v[47:48], v[47:48], -v[111:112]
	ds_read2_b64 v[111:114], v106 offset0:42 offset1:43
	;; [unrolled: 8-line block ×13, first 2 shown]
	s_waitcnt lgkmcnt(0)
	v_mul_f64 v[55:56], v[113:114], v[109:110]
	v_fma_f64 v[55:56], v[111:112], v[53:54], -v[55:56]
	v_mul_f64 v[111:112], v[111:112], v[109:110]
	v_add_f64 v[89:90], v[89:90], -v[55:56]
	v_fma_f64 v[111:112], v[113:114], v[53:54], v[111:112]
	v_mov_b32_e32 v55, v109
	v_mov_b32_e32 v56, v110
	v_add_f64 v[91:92], v[91:92], -v[111:112]
.LBB64_398:
	s_or_b64 exec, exec, s[0:1]
	v_lshl_add_u32 v109, v108, 4, v106
	s_barrier
	ds_write2_b64 v109, v[49:50], v[51:52] offset1:1
	s_waitcnt lgkmcnt(0)
	s_barrier
	ds_read2_b64 v[121:124], v106 offset0:38 offset1:39
	s_cmp_lt_i32 s3, 21
	v_mov_b32_e32 v109, 19
	s_cbranch_scc1 .LBB64_401
; %bb.399:
	v_add_u32_e32 v110, 0x140, v106
	s_mov_b32 s0, 20
	v_mov_b32_e32 v109, 19
.LBB64_400:                             ; =>This Inner Loop Header: Depth=1
	s_waitcnt lgkmcnt(0)
	v_cmp_gt_f64_e32 vcc, 0, v[121:122]
	v_xor_b32_e32 v115, 0x80000000, v122
	ds_read2_b64 v[111:114], v110 offset1:1
	v_xor_b32_e32 v117, 0x80000000, v124
	v_add_u32_e32 v110, 16, v110
	s_waitcnt lgkmcnt(0)
	v_xor_b32_e32 v119, 0x80000000, v114
	v_cndmask_b32_e32 v116, v122, v115, vcc
	v_cmp_gt_f64_e32 vcc, 0, v[123:124]
	v_mov_b32_e32 v115, v121
	v_cndmask_b32_e32 v118, v124, v117, vcc
	v_cmp_gt_f64_e32 vcc, 0, v[111:112]
	v_mov_b32_e32 v117, v123
	v_add_f64 v[115:116], v[115:116], v[117:118]
	v_xor_b32_e32 v117, 0x80000000, v112
	v_cndmask_b32_e32 v118, v112, v117, vcc
	v_cmp_gt_f64_e32 vcc, 0, v[113:114]
	v_mov_b32_e32 v117, v111
	v_cndmask_b32_e32 v120, v114, v119, vcc
	v_mov_b32_e32 v119, v113
	v_add_f64 v[117:118], v[117:118], v[119:120]
	v_cmp_lt_f64_e32 vcc, v[115:116], v[117:118]
	v_cndmask_b32_e32 v121, v121, v111, vcc
	v_mov_b32_e32 v111, s0
	s_add_i32 s0, s0, 1
	v_cndmask_b32_e32 v122, v122, v112, vcc
	v_cndmask_b32_e32 v124, v124, v114, vcc
	;; [unrolled: 1-line block ×4, first 2 shown]
	s_cmp_lg_u32 s3, s0
	s_cbranch_scc1 .LBB64_400
.LBB64_401:
	s_waitcnt lgkmcnt(0)
	v_cmp_eq_f64_e32 vcc, 0, v[121:122]
	v_cmp_eq_f64_e64 s[0:1], 0, v[123:124]
	s_and_b64 s[0:1], vcc, s[0:1]
	s_and_saveexec_b64 s[18:19], s[0:1]
	s_xor_b64 s[0:1], exec, s[18:19]
; %bb.402:
	v_cmp_ne_u32_e32 vcc, 0, v107
	v_cndmask_b32_e32 v107, 20, v107, vcc
; %bb.403:
	s_andn2_saveexec_b64 s[0:1], s[0:1]
	s_cbranch_execz .LBB64_409
; %bb.404:
	v_cmp_ngt_f64_e64 s[18:19], |v[121:122]|, |v[123:124]|
	s_and_saveexec_b64 s[20:21], s[18:19]
	s_xor_b64 s[18:19], exec, s[20:21]
	s_cbranch_execz .LBB64_406
; %bb.405:
	v_div_scale_f64 v[110:111], s[20:21], v[123:124], v[123:124], v[121:122]
	v_rcp_f64_e32 v[112:113], v[110:111]
	v_fma_f64 v[114:115], -v[110:111], v[112:113], 1.0
	v_fma_f64 v[112:113], v[112:113], v[114:115], v[112:113]
	v_div_scale_f64 v[114:115], vcc, v[121:122], v[123:124], v[121:122]
	v_fma_f64 v[116:117], -v[110:111], v[112:113], 1.0
	v_fma_f64 v[112:113], v[112:113], v[116:117], v[112:113]
	v_mul_f64 v[116:117], v[114:115], v[112:113]
	v_fma_f64 v[110:111], -v[110:111], v[116:117], v[114:115]
	v_div_fmas_f64 v[110:111], v[110:111], v[112:113], v[116:117]
	v_div_fixup_f64 v[110:111], v[110:111], v[123:124], v[121:122]
	v_fma_f64 v[112:113], v[121:122], v[110:111], v[123:124]
	v_div_scale_f64 v[114:115], s[20:21], v[112:113], v[112:113], 1.0
	v_div_scale_f64 v[120:121], vcc, 1.0, v[112:113], 1.0
	v_rcp_f64_e32 v[116:117], v[114:115]
	v_fma_f64 v[118:119], -v[114:115], v[116:117], 1.0
	v_fma_f64 v[116:117], v[116:117], v[118:119], v[116:117]
	v_fma_f64 v[118:119], -v[114:115], v[116:117], 1.0
	v_fma_f64 v[116:117], v[116:117], v[118:119], v[116:117]
	v_mul_f64 v[118:119], v[120:121], v[116:117]
	v_fma_f64 v[114:115], -v[114:115], v[118:119], v[120:121]
	v_div_fmas_f64 v[114:115], v[114:115], v[116:117], v[118:119]
	v_div_fixup_f64 v[123:124], v[114:115], v[112:113], 1.0
	v_mul_f64 v[121:122], v[110:111], v[123:124]
	v_xor_b32_e32 v124, 0x80000000, v124
.LBB64_406:
	s_andn2_saveexec_b64 s[18:19], s[18:19]
	s_cbranch_execz .LBB64_408
; %bb.407:
	v_div_scale_f64 v[110:111], s[20:21], v[121:122], v[121:122], v[123:124]
	v_rcp_f64_e32 v[112:113], v[110:111]
	v_fma_f64 v[114:115], -v[110:111], v[112:113], 1.0
	v_fma_f64 v[112:113], v[112:113], v[114:115], v[112:113]
	v_div_scale_f64 v[114:115], vcc, v[123:124], v[121:122], v[123:124]
	v_fma_f64 v[116:117], -v[110:111], v[112:113], 1.0
	v_fma_f64 v[112:113], v[112:113], v[116:117], v[112:113]
	v_mul_f64 v[116:117], v[114:115], v[112:113]
	v_fma_f64 v[110:111], -v[110:111], v[116:117], v[114:115]
	v_div_fmas_f64 v[110:111], v[110:111], v[112:113], v[116:117]
	v_div_fixup_f64 v[110:111], v[110:111], v[121:122], v[123:124]
	v_fma_f64 v[112:113], v[123:124], v[110:111], v[121:122]
	v_div_scale_f64 v[114:115], s[20:21], v[112:113], v[112:113], 1.0
	v_div_scale_f64 v[120:121], vcc, 1.0, v[112:113], 1.0
	v_rcp_f64_e32 v[116:117], v[114:115]
	v_fma_f64 v[118:119], -v[114:115], v[116:117], 1.0
	v_fma_f64 v[116:117], v[116:117], v[118:119], v[116:117]
	v_fma_f64 v[118:119], -v[114:115], v[116:117], 1.0
	v_fma_f64 v[116:117], v[116:117], v[118:119], v[116:117]
	v_mul_f64 v[118:119], v[120:121], v[116:117]
	v_fma_f64 v[114:115], -v[114:115], v[118:119], v[120:121]
	v_div_fmas_f64 v[114:115], v[114:115], v[116:117], v[118:119]
	v_div_fixup_f64 v[121:122], v[114:115], v[112:113], 1.0
	v_mul_f64 v[123:124], v[110:111], -v[121:122]
.LBB64_408:
	s_or_b64 exec, exec, s[18:19]
.LBB64_409:
	s_or_b64 exec, exec, s[0:1]
	v_cmp_ne_u32_e32 vcc, v108, v109
	s_and_saveexec_b64 s[0:1], vcc
	s_xor_b64 s[0:1], exec, s[0:1]
	s_cbranch_execz .LBB64_415
; %bb.410:
	v_cmp_eq_u32_e32 vcc, 19, v108
	s_and_saveexec_b64 s[18:19], vcc
	s_cbranch_execz .LBB64_414
; %bb.411:
	v_cmp_ne_u32_e32 vcc, 19, v109
	s_xor_b64 s[20:21], s[6:7], -1
	s_and_b64 s[22:23], s[20:21], vcc
	s_and_saveexec_b64 s[20:21], s[22:23]
	s_cbranch_execz .LBB64_413
; %bb.412:
	buffer_load_dword v112, off, s[24:27], 0 offset:80 ; 4-byte Folded Reload
	buffer_load_dword v113, off, s[24:27], 0 offset:84 ; 4-byte Folded Reload
	v_ashrrev_i32_e32 v110, 31, v109
	v_lshlrev_b64 v[110:111], 2, v[109:110]
	s_waitcnt vmcnt(1)
	v_add_co_u32_e32 v110, vcc, v112, v110
	s_waitcnt vmcnt(0)
	v_addc_co_u32_e32 v111, vcc, v113, v111, vcc
	global_load_dword v0, v[110:111], off
	global_load_dword v108, v[112:113], off offset:76
	s_waitcnt vmcnt(1)
	global_store_dword v[112:113], v0, off offset:76
	s_waitcnt vmcnt(1)
	global_store_dword v[110:111], v108, off
.LBB64_413:
	s_or_b64 exec, exec, s[20:21]
	v_mov_b32_e32 v108, v109
	v_mov_b32_e32 v0, v109
.LBB64_414:
	s_or_b64 exec, exec, s[18:19]
.LBB64_415:
	s_andn2_saveexec_b64 s[0:1], s[0:1]
	s_cbranch_execz .LBB64_417
; %bb.416:
	v_mov_b32_e32 v108, 19
	ds_write2_b64 v106, v[45:46], v[47:48] offset0:40 offset1:41
	ds_write2_b64 v106, v[41:42], v[43:44] offset0:42 offset1:43
	;; [unrolled: 1-line block ×13, first 2 shown]
.LBB64_417:
	s_or_b64 exec, exec, s[0:1]
	v_cmp_lt_i32_e32 vcc, 19, v108
	s_waitcnt vmcnt(0) lgkmcnt(0)
	s_barrier
	s_and_saveexec_b64 s[0:1], vcc
	s_cbranch_execz .LBB64_419
; %bb.418:
	v_mul_f64 v[109:110], v[121:122], v[51:52]
	v_mul_f64 v[51:52], v[123:124], v[51:52]
	ds_read2_b64 v[111:114], v106 offset0:40 offset1:41
	v_fma_f64 v[109:110], v[123:124], v[49:50], v[109:110]
	v_fma_f64 v[49:50], v[121:122], v[49:50], -v[51:52]
	s_waitcnt lgkmcnt(0)
	v_mul_f64 v[51:52], v[113:114], v[109:110]
	v_fma_f64 v[51:52], v[111:112], v[49:50], -v[51:52]
	v_mul_f64 v[111:112], v[111:112], v[109:110]
	v_add_f64 v[45:46], v[45:46], -v[51:52]
	v_fma_f64 v[111:112], v[113:114], v[49:50], v[111:112]
	v_add_f64 v[47:48], v[47:48], -v[111:112]
	ds_read2_b64 v[111:114], v106 offset0:42 offset1:43
	s_waitcnt lgkmcnt(0)
	v_mul_f64 v[51:52], v[113:114], v[109:110]
	v_fma_f64 v[51:52], v[111:112], v[49:50], -v[51:52]
	v_mul_f64 v[111:112], v[111:112], v[109:110]
	v_add_f64 v[41:42], v[41:42], -v[51:52]
	v_fma_f64 v[111:112], v[113:114], v[49:50], v[111:112]
	v_add_f64 v[43:44], v[43:44], -v[111:112]
	ds_read2_b64 v[111:114], v106 offset0:44 offset1:45
	;; [unrolled: 8-line block ×12, first 2 shown]
	s_waitcnt lgkmcnt(0)
	v_mul_f64 v[51:52], v[113:114], v[109:110]
	v_fma_f64 v[51:52], v[111:112], v[49:50], -v[51:52]
	v_mul_f64 v[111:112], v[111:112], v[109:110]
	v_add_f64 v[89:90], v[89:90], -v[51:52]
	v_fma_f64 v[111:112], v[113:114], v[49:50], v[111:112]
	v_mov_b32_e32 v51, v109
	v_mov_b32_e32 v52, v110
	v_add_f64 v[91:92], v[91:92], -v[111:112]
.LBB64_419:
	s_or_b64 exec, exec, s[0:1]
	v_lshl_add_u32 v109, v108, 4, v106
	s_barrier
	ds_write2_b64 v109, v[45:46], v[47:48] offset1:1
	s_waitcnt lgkmcnt(0)
	s_barrier
	ds_read2_b64 v[121:124], v106 offset0:40 offset1:41
	s_cmp_lt_i32 s3, 22
	v_mov_b32_e32 v109, 20
	s_cbranch_scc1 .LBB64_422
; %bb.420:
	v_add_u32_e32 v110, 0x150, v106
	s_mov_b32 s0, 21
	v_mov_b32_e32 v109, 20
.LBB64_421:                             ; =>This Inner Loop Header: Depth=1
	s_waitcnt lgkmcnt(0)
	v_cmp_gt_f64_e32 vcc, 0, v[121:122]
	v_xor_b32_e32 v115, 0x80000000, v122
	ds_read2_b64 v[111:114], v110 offset1:1
	v_xor_b32_e32 v117, 0x80000000, v124
	v_add_u32_e32 v110, 16, v110
	s_waitcnt lgkmcnt(0)
	v_xor_b32_e32 v119, 0x80000000, v114
	v_cndmask_b32_e32 v116, v122, v115, vcc
	v_cmp_gt_f64_e32 vcc, 0, v[123:124]
	v_mov_b32_e32 v115, v121
	v_cndmask_b32_e32 v118, v124, v117, vcc
	v_cmp_gt_f64_e32 vcc, 0, v[111:112]
	v_mov_b32_e32 v117, v123
	v_add_f64 v[115:116], v[115:116], v[117:118]
	v_xor_b32_e32 v117, 0x80000000, v112
	v_cndmask_b32_e32 v118, v112, v117, vcc
	v_cmp_gt_f64_e32 vcc, 0, v[113:114]
	v_mov_b32_e32 v117, v111
	v_cndmask_b32_e32 v120, v114, v119, vcc
	v_mov_b32_e32 v119, v113
	v_add_f64 v[117:118], v[117:118], v[119:120]
	v_cmp_lt_f64_e32 vcc, v[115:116], v[117:118]
	v_cndmask_b32_e32 v121, v121, v111, vcc
	v_mov_b32_e32 v111, s0
	s_add_i32 s0, s0, 1
	v_cndmask_b32_e32 v122, v122, v112, vcc
	v_cndmask_b32_e32 v124, v124, v114, vcc
	;; [unrolled: 1-line block ×4, first 2 shown]
	s_cmp_lg_u32 s3, s0
	s_cbranch_scc1 .LBB64_421
.LBB64_422:
	s_waitcnt lgkmcnt(0)
	v_cmp_eq_f64_e32 vcc, 0, v[121:122]
	v_cmp_eq_f64_e64 s[0:1], 0, v[123:124]
	s_and_b64 s[0:1], vcc, s[0:1]
	s_and_saveexec_b64 s[18:19], s[0:1]
	s_xor_b64 s[0:1], exec, s[18:19]
; %bb.423:
	v_cmp_ne_u32_e32 vcc, 0, v107
	v_cndmask_b32_e32 v107, 21, v107, vcc
; %bb.424:
	s_andn2_saveexec_b64 s[0:1], s[0:1]
	s_cbranch_execz .LBB64_430
; %bb.425:
	v_cmp_ngt_f64_e64 s[18:19], |v[121:122]|, |v[123:124]|
	s_and_saveexec_b64 s[20:21], s[18:19]
	s_xor_b64 s[18:19], exec, s[20:21]
	s_cbranch_execz .LBB64_427
; %bb.426:
	v_div_scale_f64 v[110:111], s[20:21], v[123:124], v[123:124], v[121:122]
	v_rcp_f64_e32 v[112:113], v[110:111]
	v_fma_f64 v[114:115], -v[110:111], v[112:113], 1.0
	v_fma_f64 v[112:113], v[112:113], v[114:115], v[112:113]
	v_div_scale_f64 v[114:115], vcc, v[121:122], v[123:124], v[121:122]
	v_fma_f64 v[116:117], -v[110:111], v[112:113], 1.0
	v_fma_f64 v[112:113], v[112:113], v[116:117], v[112:113]
	v_mul_f64 v[116:117], v[114:115], v[112:113]
	v_fma_f64 v[110:111], -v[110:111], v[116:117], v[114:115]
	v_div_fmas_f64 v[110:111], v[110:111], v[112:113], v[116:117]
	v_div_fixup_f64 v[110:111], v[110:111], v[123:124], v[121:122]
	v_fma_f64 v[112:113], v[121:122], v[110:111], v[123:124]
	v_div_scale_f64 v[114:115], s[20:21], v[112:113], v[112:113], 1.0
	v_div_scale_f64 v[120:121], vcc, 1.0, v[112:113], 1.0
	v_rcp_f64_e32 v[116:117], v[114:115]
	v_fma_f64 v[118:119], -v[114:115], v[116:117], 1.0
	v_fma_f64 v[116:117], v[116:117], v[118:119], v[116:117]
	v_fma_f64 v[118:119], -v[114:115], v[116:117], 1.0
	v_fma_f64 v[116:117], v[116:117], v[118:119], v[116:117]
	v_mul_f64 v[118:119], v[120:121], v[116:117]
	v_fma_f64 v[114:115], -v[114:115], v[118:119], v[120:121]
	v_div_fmas_f64 v[114:115], v[114:115], v[116:117], v[118:119]
	v_div_fixup_f64 v[123:124], v[114:115], v[112:113], 1.0
	v_mul_f64 v[121:122], v[110:111], v[123:124]
	v_xor_b32_e32 v124, 0x80000000, v124
.LBB64_427:
	s_andn2_saveexec_b64 s[18:19], s[18:19]
	s_cbranch_execz .LBB64_429
; %bb.428:
	v_div_scale_f64 v[110:111], s[20:21], v[121:122], v[121:122], v[123:124]
	v_rcp_f64_e32 v[112:113], v[110:111]
	v_fma_f64 v[114:115], -v[110:111], v[112:113], 1.0
	v_fma_f64 v[112:113], v[112:113], v[114:115], v[112:113]
	v_div_scale_f64 v[114:115], vcc, v[123:124], v[121:122], v[123:124]
	v_fma_f64 v[116:117], -v[110:111], v[112:113], 1.0
	v_fma_f64 v[112:113], v[112:113], v[116:117], v[112:113]
	v_mul_f64 v[116:117], v[114:115], v[112:113]
	v_fma_f64 v[110:111], -v[110:111], v[116:117], v[114:115]
	v_div_fmas_f64 v[110:111], v[110:111], v[112:113], v[116:117]
	v_div_fixup_f64 v[110:111], v[110:111], v[121:122], v[123:124]
	v_fma_f64 v[112:113], v[123:124], v[110:111], v[121:122]
	v_div_scale_f64 v[114:115], s[20:21], v[112:113], v[112:113], 1.0
	v_div_scale_f64 v[120:121], vcc, 1.0, v[112:113], 1.0
	v_rcp_f64_e32 v[116:117], v[114:115]
	v_fma_f64 v[118:119], -v[114:115], v[116:117], 1.0
	v_fma_f64 v[116:117], v[116:117], v[118:119], v[116:117]
	v_fma_f64 v[118:119], -v[114:115], v[116:117], 1.0
	v_fma_f64 v[116:117], v[116:117], v[118:119], v[116:117]
	v_mul_f64 v[118:119], v[120:121], v[116:117]
	v_fma_f64 v[114:115], -v[114:115], v[118:119], v[120:121]
	v_div_fmas_f64 v[114:115], v[114:115], v[116:117], v[118:119]
	v_div_fixup_f64 v[121:122], v[114:115], v[112:113], 1.0
	v_mul_f64 v[123:124], v[110:111], -v[121:122]
.LBB64_429:
	s_or_b64 exec, exec, s[18:19]
.LBB64_430:
	s_or_b64 exec, exec, s[0:1]
	v_cmp_ne_u32_e32 vcc, v108, v109
	s_and_saveexec_b64 s[0:1], vcc
	s_xor_b64 s[0:1], exec, s[0:1]
	s_cbranch_execz .LBB64_436
; %bb.431:
	v_cmp_eq_u32_e32 vcc, 20, v108
	s_and_saveexec_b64 s[18:19], vcc
	s_cbranch_execz .LBB64_435
; %bb.432:
	v_cmp_ne_u32_e32 vcc, 20, v109
	s_xor_b64 s[20:21], s[6:7], -1
	s_and_b64 s[22:23], s[20:21], vcc
	s_and_saveexec_b64 s[20:21], s[22:23]
	s_cbranch_execz .LBB64_434
; %bb.433:
	buffer_load_dword v112, off, s[24:27], 0 offset:80 ; 4-byte Folded Reload
	buffer_load_dword v113, off, s[24:27], 0 offset:84 ; 4-byte Folded Reload
	v_ashrrev_i32_e32 v110, 31, v109
	v_lshlrev_b64 v[110:111], 2, v[109:110]
	s_waitcnt vmcnt(1)
	v_add_co_u32_e32 v110, vcc, v112, v110
	s_waitcnt vmcnt(0)
	v_addc_co_u32_e32 v111, vcc, v113, v111, vcc
	global_load_dword v0, v[110:111], off
	global_load_dword v108, v[112:113], off offset:80
	s_waitcnt vmcnt(1)
	global_store_dword v[112:113], v0, off offset:80
	s_waitcnt vmcnt(1)
	global_store_dword v[110:111], v108, off
.LBB64_434:
	s_or_b64 exec, exec, s[20:21]
	v_mov_b32_e32 v108, v109
	v_mov_b32_e32 v0, v109
.LBB64_435:
	s_or_b64 exec, exec, s[18:19]
.LBB64_436:
	s_andn2_saveexec_b64 s[0:1], s[0:1]
	s_cbranch_execz .LBB64_438
; %bb.437:
	v_mov_b32_e32 v108, 20
	ds_write2_b64 v106, v[41:42], v[43:44] offset0:42 offset1:43
	ds_write2_b64 v106, v[37:38], v[39:40] offset0:44 offset1:45
	;; [unrolled: 1-line block ×12, first 2 shown]
.LBB64_438:
	s_or_b64 exec, exec, s[0:1]
	v_cmp_lt_i32_e32 vcc, 20, v108
	s_waitcnt vmcnt(0) lgkmcnt(0)
	s_barrier
	s_and_saveexec_b64 s[0:1], vcc
	s_cbranch_execz .LBB64_440
; %bb.439:
	v_mul_f64 v[109:110], v[121:122], v[47:48]
	v_mul_f64 v[47:48], v[123:124], v[47:48]
	ds_read2_b64 v[111:114], v106 offset0:42 offset1:43
	v_fma_f64 v[109:110], v[123:124], v[45:46], v[109:110]
	v_fma_f64 v[45:46], v[121:122], v[45:46], -v[47:48]
	s_waitcnt lgkmcnt(0)
	v_mul_f64 v[47:48], v[113:114], v[109:110]
	v_fma_f64 v[47:48], v[111:112], v[45:46], -v[47:48]
	v_mul_f64 v[111:112], v[111:112], v[109:110]
	v_add_f64 v[41:42], v[41:42], -v[47:48]
	v_fma_f64 v[111:112], v[113:114], v[45:46], v[111:112]
	v_add_f64 v[43:44], v[43:44], -v[111:112]
	ds_read2_b64 v[111:114], v106 offset0:44 offset1:45
	s_waitcnt lgkmcnt(0)
	v_mul_f64 v[47:48], v[113:114], v[109:110]
	v_fma_f64 v[47:48], v[111:112], v[45:46], -v[47:48]
	v_mul_f64 v[111:112], v[111:112], v[109:110]
	v_add_f64 v[37:38], v[37:38], -v[47:48]
	v_fma_f64 v[111:112], v[113:114], v[45:46], v[111:112]
	v_add_f64 v[39:40], v[39:40], -v[111:112]
	ds_read2_b64 v[111:114], v106 offset0:46 offset1:47
	;; [unrolled: 8-line block ×11, first 2 shown]
	s_waitcnt lgkmcnt(0)
	v_mul_f64 v[47:48], v[113:114], v[109:110]
	v_fma_f64 v[47:48], v[111:112], v[45:46], -v[47:48]
	v_mul_f64 v[111:112], v[111:112], v[109:110]
	v_add_f64 v[89:90], v[89:90], -v[47:48]
	v_fma_f64 v[111:112], v[113:114], v[45:46], v[111:112]
	v_mov_b32_e32 v47, v109
	v_mov_b32_e32 v48, v110
	v_add_f64 v[91:92], v[91:92], -v[111:112]
.LBB64_440:
	s_or_b64 exec, exec, s[0:1]
	v_lshl_add_u32 v109, v108, 4, v106
	s_barrier
	ds_write2_b64 v109, v[41:42], v[43:44] offset1:1
	s_waitcnt lgkmcnt(0)
	s_barrier
	ds_read2_b64 v[121:124], v106 offset0:42 offset1:43
	s_cmp_lt_i32 s3, 23
	v_mov_b32_e32 v109, 21
	s_cbranch_scc1 .LBB64_443
; %bb.441:
	v_add_u32_e32 v110, 0x160, v106
	s_mov_b32 s0, 22
	v_mov_b32_e32 v109, 21
.LBB64_442:                             ; =>This Inner Loop Header: Depth=1
	s_waitcnt lgkmcnt(0)
	v_cmp_gt_f64_e32 vcc, 0, v[121:122]
	v_xor_b32_e32 v115, 0x80000000, v122
	ds_read2_b64 v[111:114], v110 offset1:1
	v_xor_b32_e32 v117, 0x80000000, v124
	v_add_u32_e32 v110, 16, v110
	s_waitcnt lgkmcnt(0)
	v_xor_b32_e32 v119, 0x80000000, v114
	v_cndmask_b32_e32 v116, v122, v115, vcc
	v_cmp_gt_f64_e32 vcc, 0, v[123:124]
	v_mov_b32_e32 v115, v121
	v_cndmask_b32_e32 v118, v124, v117, vcc
	v_cmp_gt_f64_e32 vcc, 0, v[111:112]
	v_mov_b32_e32 v117, v123
	v_add_f64 v[115:116], v[115:116], v[117:118]
	v_xor_b32_e32 v117, 0x80000000, v112
	v_cndmask_b32_e32 v118, v112, v117, vcc
	v_cmp_gt_f64_e32 vcc, 0, v[113:114]
	v_mov_b32_e32 v117, v111
	v_cndmask_b32_e32 v120, v114, v119, vcc
	v_mov_b32_e32 v119, v113
	v_add_f64 v[117:118], v[117:118], v[119:120]
	v_cmp_lt_f64_e32 vcc, v[115:116], v[117:118]
	v_cndmask_b32_e32 v121, v121, v111, vcc
	v_mov_b32_e32 v111, s0
	s_add_i32 s0, s0, 1
	v_cndmask_b32_e32 v122, v122, v112, vcc
	v_cndmask_b32_e32 v124, v124, v114, vcc
	;; [unrolled: 1-line block ×4, first 2 shown]
	s_cmp_lg_u32 s3, s0
	s_cbranch_scc1 .LBB64_442
.LBB64_443:
	s_waitcnt lgkmcnt(0)
	v_cmp_eq_f64_e32 vcc, 0, v[121:122]
	v_cmp_eq_f64_e64 s[0:1], 0, v[123:124]
	s_and_b64 s[0:1], vcc, s[0:1]
	s_and_saveexec_b64 s[18:19], s[0:1]
	s_xor_b64 s[0:1], exec, s[18:19]
; %bb.444:
	v_cmp_ne_u32_e32 vcc, 0, v107
	v_cndmask_b32_e32 v107, 22, v107, vcc
; %bb.445:
	s_andn2_saveexec_b64 s[0:1], s[0:1]
	s_cbranch_execz .LBB64_451
; %bb.446:
	v_cmp_ngt_f64_e64 s[18:19], |v[121:122]|, |v[123:124]|
	s_and_saveexec_b64 s[20:21], s[18:19]
	s_xor_b64 s[18:19], exec, s[20:21]
	s_cbranch_execz .LBB64_448
; %bb.447:
	v_div_scale_f64 v[110:111], s[20:21], v[123:124], v[123:124], v[121:122]
	v_rcp_f64_e32 v[112:113], v[110:111]
	v_fma_f64 v[114:115], -v[110:111], v[112:113], 1.0
	v_fma_f64 v[112:113], v[112:113], v[114:115], v[112:113]
	v_div_scale_f64 v[114:115], vcc, v[121:122], v[123:124], v[121:122]
	v_fma_f64 v[116:117], -v[110:111], v[112:113], 1.0
	v_fma_f64 v[112:113], v[112:113], v[116:117], v[112:113]
	v_mul_f64 v[116:117], v[114:115], v[112:113]
	v_fma_f64 v[110:111], -v[110:111], v[116:117], v[114:115]
	v_div_fmas_f64 v[110:111], v[110:111], v[112:113], v[116:117]
	v_div_fixup_f64 v[110:111], v[110:111], v[123:124], v[121:122]
	v_fma_f64 v[112:113], v[121:122], v[110:111], v[123:124]
	v_div_scale_f64 v[114:115], s[20:21], v[112:113], v[112:113], 1.0
	v_div_scale_f64 v[120:121], vcc, 1.0, v[112:113], 1.0
	v_rcp_f64_e32 v[116:117], v[114:115]
	v_fma_f64 v[118:119], -v[114:115], v[116:117], 1.0
	v_fma_f64 v[116:117], v[116:117], v[118:119], v[116:117]
	v_fma_f64 v[118:119], -v[114:115], v[116:117], 1.0
	v_fma_f64 v[116:117], v[116:117], v[118:119], v[116:117]
	v_mul_f64 v[118:119], v[120:121], v[116:117]
	v_fma_f64 v[114:115], -v[114:115], v[118:119], v[120:121]
	v_div_fmas_f64 v[114:115], v[114:115], v[116:117], v[118:119]
	v_div_fixup_f64 v[123:124], v[114:115], v[112:113], 1.0
	v_mul_f64 v[121:122], v[110:111], v[123:124]
	v_xor_b32_e32 v124, 0x80000000, v124
.LBB64_448:
	s_andn2_saveexec_b64 s[18:19], s[18:19]
	s_cbranch_execz .LBB64_450
; %bb.449:
	v_div_scale_f64 v[110:111], s[20:21], v[121:122], v[121:122], v[123:124]
	v_rcp_f64_e32 v[112:113], v[110:111]
	v_fma_f64 v[114:115], -v[110:111], v[112:113], 1.0
	v_fma_f64 v[112:113], v[112:113], v[114:115], v[112:113]
	v_div_scale_f64 v[114:115], vcc, v[123:124], v[121:122], v[123:124]
	v_fma_f64 v[116:117], -v[110:111], v[112:113], 1.0
	v_fma_f64 v[112:113], v[112:113], v[116:117], v[112:113]
	v_mul_f64 v[116:117], v[114:115], v[112:113]
	v_fma_f64 v[110:111], -v[110:111], v[116:117], v[114:115]
	v_div_fmas_f64 v[110:111], v[110:111], v[112:113], v[116:117]
	v_div_fixup_f64 v[110:111], v[110:111], v[121:122], v[123:124]
	v_fma_f64 v[112:113], v[123:124], v[110:111], v[121:122]
	v_div_scale_f64 v[114:115], s[20:21], v[112:113], v[112:113], 1.0
	v_div_scale_f64 v[120:121], vcc, 1.0, v[112:113], 1.0
	v_rcp_f64_e32 v[116:117], v[114:115]
	v_fma_f64 v[118:119], -v[114:115], v[116:117], 1.0
	v_fma_f64 v[116:117], v[116:117], v[118:119], v[116:117]
	v_fma_f64 v[118:119], -v[114:115], v[116:117], 1.0
	v_fma_f64 v[116:117], v[116:117], v[118:119], v[116:117]
	v_mul_f64 v[118:119], v[120:121], v[116:117]
	v_fma_f64 v[114:115], -v[114:115], v[118:119], v[120:121]
	v_div_fmas_f64 v[114:115], v[114:115], v[116:117], v[118:119]
	v_div_fixup_f64 v[121:122], v[114:115], v[112:113], 1.0
	v_mul_f64 v[123:124], v[110:111], -v[121:122]
.LBB64_450:
	s_or_b64 exec, exec, s[18:19]
.LBB64_451:
	s_or_b64 exec, exec, s[0:1]
	v_cmp_ne_u32_e32 vcc, v108, v109
	s_and_saveexec_b64 s[0:1], vcc
	s_xor_b64 s[0:1], exec, s[0:1]
	s_cbranch_execz .LBB64_457
; %bb.452:
	v_cmp_eq_u32_e32 vcc, 21, v108
	s_and_saveexec_b64 s[18:19], vcc
	s_cbranch_execz .LBB64_456
; %bb.453:
	v_cmp_ne_u32_e32 vcc, 21, v109
	s_xor_b64 s[20:21], s[6:7], -1
	s_and_b64 s[22:23], s[20:21], vcc
	s_and_saveexec_b64 s[20:21], s[22:23]
	s_cbranch_execz .LBB64_455
; %bb.454:
	buffer_load_dword v112, off, s[24:27], 0 offset:80 ; 4-byte Folded Reload
	buffer_load_dword v113, off, s[24:27], 0 offset:84 ; 4-byte Folded Reload
	v_ashrrev_i32_e32 v110, 31, v109
	v_lshlrev_b64 v[110:111], 2, v[109:110]
	s_waitcnt vmcnt(1)
	v_add_co_u32_e32 v110, vcc, v112, v110
	s_waitcnt vmcnt(0)
	v_addc_co_u32_e32 v111, vcc, v113, v111, vcc
	global_load_dword v0, v[110:111], off
	global_load_dword v108, v[112:113], off offset:84
	s_waitcnt vmcnt(1)
	global_store_dword v[112:113], v0, off offset:84
	s_waitcnt vmcnt(1)
	global_store_dword v[110:111], v108, off
.LBB64_455:
	s_or_b64 exec, exec, s[20:21]
	v_mov_b32_e32 v108, v109
	v_mov_b32_e32 v0, v109
.LBB64_456:
	s_or_b64 exec, exec, s[18:19]
.LBB64_457:
	s_andn2_saveexec_b64 s[0:1], s[0:1]
	s_cbranch_execz .LBB64_459
; %bb.458:
	v_mov_b32_e32 v108, 21
	ds_write2_b64 v106, v[37:38], v[39:40] offset0:44 offset1:45
	ds_write2_b64 v106, v[33:34], v[35:36] offset0:46 offset1:47
	;; [unrolled: 1-line block ×11, first 2 shown]
.LBB64_459:
	s_or_b64 exec, exec, s[0:1]
	v_cmp_lt_i32_e32 vcc, 21, v108
	s_waitcnt vmcnt(0) lgkmcnt(0)
	s_barrier
	s_and_saveexec_b64 s[0:1], vcc
	s_cbranch_execz .LBB64_461
; %bb.460:
	v_mul_f64 v[109:110], v[121:122], v[43:44]
	v_mul_f64 v[43:44], v[123:124], v[43:44]
	ds_read2_b64 v[111:114], v106 offset0:44 offset1:45
	v_fma_f64 v[109:110], v[123:124], v[41:42], v[109:110]
	v_fma_f64 v[41:42], v[121:122], v[41:42], -v[43:44]
	s_waitcnt lgkmcnt(0)
	v_mul_f64 v[43:44], v[113:114], v[109:110]
	v_fma_f64 v[43:44], v[111:112], v[41:42], -v[43:44]
	v_mul_f64 v[111:112], v[111:112], v[109:110]
	v_add_f64 v[37:38], v[37:38], -v[43:44]
	v_fma_f64 v[111:112], v[113:114], v[41:42], v[111:112]
	v_add_f64 v[39:40], v[39:40], -v[111:112]
	ds_read2_b64 v[111:114], v106 offset0:46 offset1:47
	s_waitcnt lgkmcnt(0)
	v_mul_f64 v[43:44], v[113:114], v[109:110]
	v_fma_f64 v[43:44], v[111:112], v[41:42], -v[43:44]
	v_mul_f64 v[111:112], v[111:112], v[109:110]
	v_add_f64 v[33:34], v[33:34], -v[43:44]
	v_fma_f64 v[111:112], v[113:114], v[41:42], v[111:112]
	v_add_f64 v[35:36], v[35:36], -v[111:112]
	ds_read2_b64 v[111:114], v106 offset0:48 offset1:49
	;; [unrolled: 8-line block ×10, first 2 shown]
	s_waitcnt lgkmcnt(0)
	v_mul_f64 v[43:44], v[113:114], v[109:110]
	v_fma_f64 v[43:44], v[111:112], v[41:42], -v[43:44]
	v_mul_f64 v[111:112], v[111:112], v[109:110]
	v_add_f64 v[89:90], v[89:90], -v[43:44]
	v_fma_f64 v[111:112], v[113:114], v[41:42], v[111:112]
	v_mov_b32_e32 v43, v109
	v_mov_b32_e32 v44, v110
	v_add_f64 v[91:92], v[91:92], -v[111:112]
.LBB64_461:
	s_or_b64 exec, exec, s[0:1]
	v_lshl_add_u32 v109, v108, 4, v106
	s_barrier
	ds_write2_b64 v109, v[37:38], v[39:40] offset1:1
	s_waitcnt lgkmcnt(0)
	s_barrier
	ds_read2_b64 v[121:124], v106 offset0:44 offset1:45
	s_cmp_lt_i32 s3, 24
	v_mov_b32_e32 v109, 22
	s_cbranch_scc1 .LBB64_464
; %bb.462:
	v_add_u32_e32 v110, 0x170, v106
	s_mov_b32 s0, 23
	v_mov_b32_e32 v109, 22
.LBB64_463:                             ; =>This Inner Loop Header: Depth=1
	s_waitcnt lgkmcnt(0)
	v_cmp_gt_f64_e32 vcc, 0, v[121:122]
	v_xor_b32_e32 v115, 0x80000000, v122
	ds_read2_b64 v[111:114], v110 offset1:1
	v_xor_b32_e32 v117, 0x80000000, v124
	v_add_u32_e32 v110, 16, v110
	s_waitcnt lgkmcnt(0)
	v_xor_b32_e32 v119, 0x80000000, v114
	v_cndmask_b32_e32 v116, v122, v115, vcc
	v_cmp_gt_f64_e32 vcc, 0, v[123:124]
	v_mov_b32_e32 v115, v121
	v_cndmask_b32_e32 v118, v124, v117, vcc
	v_cmp_gt_f64_e32 vcc, 0, v[111:112]
	v_mov_b32_e32 v117, v123
	v_add_f64 v[115:116], v[115:116], v[117:118]
	v_xor_b32_e32 v117, 0x80000000, v112
	v_cndmask_b32_e32 v118, v112, v117, vcc
	v_cmp_gt_f64_e32 vcc, 0, v[113:114]
	v_mov_b32_e32 v117, v111
	v_cndmask_b32_e32 v120, v114, v119, vcc
	v_mov_b32_e32 v119, v113
	v_add_f64 v[117:118], v[117:118], v[119:120]
	v_cmp_lt_f64_e32 vcc, v[115:116], v[117:118]
	v_cndmask_b32_e32 v121, v121, v111, vcc
	v_mov_b32_e32 v111, s0
	s_add_i32 s0, s0, 1
	v_cndmask_b32_e32 v122, v122, v112, vcc
	v_cndmask_b32_e32 v124, v124, v114, vcc
	;; [unrolled: 1-line block ×4, first 2 shown]
	s_cmp_lg_u32 s3, s0
	s_cbranch_scc1 .LBB64_463
.LBB64_464:
	s_waitcnt lgkmcnt(0)
	v_cmp_eq_f64_e32 vcc, 0, v[121:122]
	v_cmp_eq_f64_e64 s[0:1], 0, v[123:124]
	s_and_b64 s[0:1], vcc, s[0:1]
	s_and_saveexec_b64 s[18:19], s[0:1]
	s_xor_b64 s[0:1], exec, s[18:19]
; %bb.465:
	v_cmp_ne_u32_e32 vcc, 0, v107
	v_cndmask_b32_e32 v107, 23, v107, vcc
; %bb.466:
	s_andn2_saveexec_b64 s[0:1], s[0:1]
	s_cbranch_execz .LBB64_472
; %bb.467:
	v_cmp_ngt_f64_e64 s[18:19], |v[121:122]|, |v[123:124]|
	s_and_saveexec_b64 s[20:21], s[18:19]
	s_xor_b64 s[18:19], exec, s[20:21]
	s_cbranch_execz .LBB64_469
; %bb.468:
	v_div_scale_f64 v[110:111], s[20:21], v[123:124], v[123:124], v[121:122]
	v_rcp_f64_e32 v[112:113], v[110:111]
	v_fma_f64 v[114:115], -v[110:111], v[112:113], 1.0
	v_fma_f64 v[112:113], v[112:113], v[114:115], v[112:113]
	v_div_scale_f64 v[114:115], vcc, v[121:122], v[123:124], v[121:122]
	v_fma_f64 v[116:117], -v[110:111], v[112:113], 1.0
	v_fma_f64 v[112:113], v[112:113], v[116:117], v[112:113]
	v_mul_f64 v[116:117], v[114:115], v[112:113]
	v_fma_f64 v[110:111], -v[110:111], v[116:117], v[114:115]
	v_div_fmas_f64 v[110:111], v[110:111], v[112:113], v[116:117]
	v_div_fixup_f64 v[110:111], v[110:111], v[123:124], v[121:122]
	v_fma_f64 v[112:113], v[121:122], v[110:111], v[123:124]
	v_div_scale_f64 v[114:115], s[20:21], v[112:113], v[112:113], 1.0
	v_div_scale_f64 v[120:121], vcc, 1.0, v[112:113], 1.0
	v_rcp_f64_e32 v[116:117], v[114:115]
	v_fma_f64 v[118:119], -v[114:115], v[116:117], 1.0
	v_fma_f64 v[116:117], v[116:117], v[118:119], v[116:117]
	v_fma_f64 v[118:119], -v[114:115], v[116:117], 1.0
	v_fma_f64 v[116:117], v[116:117], v[118:119], v[116:117]
	v_mul_f64 v[118:119], v[120:121], v[116:117]
	v_fma_f64 v[114:115], -v[114:115], v[118:119], v[120:121]
	v_div_fmas_f64 v[114:115], v[114:115], v[116:117], v[118:119]
	v_div_fixup_f64 v[123:124], v[114:115], v[112:113], 1.0
	v_mul_f64 v[121:122], v[110:111], v[123:124]
	v_xor_b32_e32 v124, 0x80000000, v124
.LBB64_469:
	s_andn2_saveexec_b64 s[18:19], s[18:19]
	s_cbranch_execz .LBB64_471
; %bb.470:
	v_div_scale_f64 v[110:111], s[20:21], v[121:122], v[121:122], v[123:124]
	v_rcp_f64_e32 v[112:113], v[110:111]
	v_fma_f64 v[114:115], -v[110:111], v[112:113], 1.0
	v_fma_f64 v[112:113], v[112:113], v[114:115], v[112:113]
	v_div_scale_f64 v[114:115], vcc, v[123:124], v[121:122], v[123:124]
	v_fma_f64 v[116:117], -v[110:111], v[112:113], 1.0
	v_fma_f64 v[112:113], v[112:113], v[116:117], v[112:113]
	v_mul_f64 v[116:117], v[114:115], v[112:113]
	v_fma_f64 v[110:111], -v[110:111], v[116:117], v[114:115]
	v_div_fmas_f64 v[110:111], v[110:111], v[112:113], v[116:117]
	v_div_fixup_f64 v[110:111], v[110:111], v[121:122], v[123:124]
	v_fma_f64 v[112:113], v[123:124], v[110:111], v[121:122]
	v_div_scale_f64 v[114:115], s[20:21], v[112:113], v[112:113], 1.0
	v_div_scale_f64 v[120:121], vcc, 1.0, v[112:113], 1.0
	v_rcp_f64_e32 v[116:117], v[114:115]
	v_fma_f64 v[118:119], -v[114:115], v[116:117], 1.0
	v_fma_f64 v[116:117], v[116:117], v[118:119], v[116:117]
	v_fma_f64 v[118:119], -v[114:115], v[116:117], 1.0
	v_fma_f64 v[116:117], v[116:117], v[118:119], v[116:117]
	v_mul_f64 v[118:119], v[120:121], v[116:117]
	v_fma_f64 v[114:115], -v[114:115], v[118:119], v[120:121]
	v_div_fmas_f64 v[114:115], v[114:115], v[116:117], v[118:119]
	v_div_fixup_f64 v[121:122], v[114:115], v[112:113], 1.0
	v_mul_f64 v[123:124], v[110:111], -v[121:122]
.LBB64_471:
	s_or_b64 exec, exec, s[18:19]
.LBB64_472:
	s_or_b64 exec, exec, s[0:1]
	v_cmp_ne_u32_e32 vcc, v108, v109
	s_and_saveexec_b64 s[0:1], vcc
	s_xor_b64 s[0:1], exec, s[0:1]
	s_cbranch_execz .LBB64_478
; %bb.473:
	v_cmp_eq_u32_e32 vcc, 22, v108
	s_and_saveexec_b64 s[18:19], vcc
	s_cbranch_execz .LBB64_477
; %bb.474:
	v_cmp_ne_u32_e32 vcc, 22, v109
	s_xor_b64 s[20:21], s[6:7], -1
	s_and_b64 s[22:23], s[20:21], vcc
	s_and_saveexec_b64 s[20:21], s[22:23]
	s_cbranch_execz .LBB64_476
; %bb.475:
	buffer_load_dword v112, off, s[24:27], 0 offset:80 ; 4-byte Folded Reload
	buffer_load_dword v113, off, s[24:27], 0 offset:84 ; 4-byte Folded Reload
	v_ashrrev_i32_e32 v110, 31, v109
	v_lshlrev_b64 v[110:111], 2, v[109:110]
	s_waitcnt vmcnt(1)
	v_add_co_u32_e32 v110, vcc, v112, v110
	s_waitcnt vmcnt(0)
	v_addc_co_u32_e32 v111, vcc, v113, v111, vcc
	global_load_dword v0, v[110:111], off
	global_load_dword v108, v[112:113], off offset:88
	s_waitcnt vmcnt(1)
	global_store_dword v[112:113], v0, off offset:88
	s_waitcnt vmcnt(1)
	global_store_dword v[110:111], v108, off
.LBB64_476:
	s_or_b64 exec, exec, s[20:21]
	v_mov_b32_e32 v108, v109
	v_mov_b32_e32 v0, v109
.LBB64_477:
	s_or_b64 exec, exec, s[18:19]
.LBB64_478:
	s_andn2_saveexec_b64 s[0:1], s[0:1]
	s_cbranch_execz .LBB64_480
; %bb.479:
	v_mov_b32_e32 v108, 22
	ds_write2_b64 v106, v[33:34], v[35:36] offset0:46 offset1:47
	ds_write2_b64 v106, v[29:30], v[31:32] offset0:48 offset1:49
	;; [unrolled: 1-line block ×10, first 2 shown]
.LBB64_480:
	s_or_b64 exec, exec, s[0:1]
	v_cmp_lt_i32_e32 vcc, 22, v108
	s_waitcnt vmcnt(0) lgkmcnt(0)
	s_barrier
	s_and_saveexec_b64 s[0:1], vcc
	s_cbranch_execz .LBB64_482
; %bb.481:
	v_mul_f64 v[109:110], v[121:122], v[39:40]
	v_mul_f64 v[39:40], v[123:124], v[39:40]
	ds_read2_b64 v[111:114], v106 offset0:46 offset1:47
	v_fma_f64 v[109:110], v[123:124], v[37:38], v[109:110]
	v_fma_f64 v[37:38], v[121:122], v[37:38], -v[39:40]
	s_waitcnt lgkmcnt(0)
	v_mul_f64 v[39:40], v[113:114], v[109:110]
	v_fma_f64 v[39:40], v[111:112], v[37:38], -v[39:40]
	v_mul_f64 v[111:112], v[111:112], v[109:110]
	v_add_f64 v[33:34], v[33:34], -v[39:40]
	v_fma_f64 v[111:112], v[113:114], v[37:38], v[111:112]
	v_add_f64 v[35:36], v[35:36], -v[111:112]
	ds_read2_b64 v[111:114], v106 offset0:48 offset1:49
	s_waitcnt lgkmcnt(0)
	v_mul_f64 v[39:40], v[113:114], v[109:110]
	v_fma_f64 v[39:40], v[111:112], v[37:38], -v[39:40]
	v_mul_f64 v[111:112], v[111:112], v[109:110]
	v_add_f64 v[29:30], v[29:30], -v[39:40]
	v_fma_f64 v[111:112], v[113:114], v[37:38], v[111:112]
	v_add_f64 v[31:32], v[31:32], -v[111:112]
	ds_read2_b64 v[111:114], v106 offset0:50 offset1:51
	;; [unrolled: 8-line block ×9, first 2 shown]
	s_waitcnt lgkmcnt(0)
	v_mul_f64 v[39:40], v[113:114], v[109:110]
	v_fma_f64 v[39:40], v[111:112], v[37:38], -v[39:40]
	v_mul_f64 v[111:112], v[111:112], v[109:110]
	v_add_f64 v[89:90], v[89:90], -v[39:40]
	v_fma_f64 v[111:112], v[113:114], v[37:38], v[111:112]
	v_mov_b32_e32 v39, v109
	v_mov_b32_e32 v40, v110
	v_add_f64 v[91:92], v[91:92], -v[111:112]
.LBB64_482:
	s_or_b64 exec, exec, s[0:1]
	v_lshl_add_u32 v109, v108, 4, v106
	s_barrier
	ds_write2_b64 v109, v[33:34], v[35:36] offset1:1
	s_waitcnt lgkmcnt(0)
	s_barrier
	ds_read2_b64 v[121:124], v106 offset0:46 offset1:47
	s_cmp_lt_i32 s3, 25
	v_mov_b32_e32 v109, 23
	s_cbranch_scc1 .LBB64_485
; %bb.483:
	v_add_u32_e32 v110, 0x180, v106
	s_mov_b32 s0, 24
	v_mov_b32_e32 v109, 23
.LBB64_484:                             ; =>This Inner Loop Header: Depth=1
	s_waitcnt lgkmcnt(0)
	v_cmp_gt_f64_e32 vcc, 0, v[121:122]
	v_xor_b32_e32 v115, 0x80000000, v122
	ds_read2_b64 v[111:114], v110 offset1:1
	v_xor_b32_e32 v117, 0x80000000, v124
	v_add_u32_e32 v110, 16, v110
	s_waitcnt lgkmcnt(0)
	v_xor_b32_e32 v119, 0x80000000, v114
	v_cndmask_b32_e32 v116, v122, v115, vcc
	v_cmp_gt_f64_e32 vcc, 0, v[123:124]
	v_mov_b32_e32 v115, v121
	v_cndmask_b32_e32 v118, v124, v117, vcc
	v_cmp_gt_f64_e32 vcc, 0, v[111:112]
	v_mov_b32_e32 v117, v123
	v_add_f64 v[115:116], v[115:116], v[117:118]
	v_xor_b32_e32 v117, 0x80000000, v112
	v_cndmask_b32_e32 v118, v112, v117, vcc
	v_cmp_gt_f64_e32 vcc, 0, v[113:114]
	v_mov_b32_e32 v117, v111
	v_cndmask_b32_e32 v120, v114, v119, vcc
	v_mov_b32_e32 v119, v113
	v_add_f64 v[117:118], v[117:118], v[119:120]
	v_cmp_lt_f64_e32 vcc, v[115:116], v[117:118]
	v_cndmask_b32_e32 v121, v121, v111, vcc
	v_mov_b32_e32 v111, s0
	s_add_i32 s0, s0, 1
	v_cndmask_b32_e32 v122, v122, v112, vcc
	v_cndmask_b32_e32 v124, v124, v114, vcc
	;; [unrolled: 1-line block ×4, first 2 shown]
	s_cmp_lg_u32 s3, s0
	s_cbranch_scc1 .LBB64_484
.LBB64_485:
	s_waitcnt lgkmcnt(0)
	v_cmp_eq_f64_e32 vcc, 0, v[121:122]
	v_cmp_eq_f64_e64 s[0:1], 0, v[123:124]
	s_and_b64 s[0:1], vcc, s[0:1]
	s_and_saveexec_b64 s[18:19], s[0:1]
	s_xor_b64 s[0:1], exec, s[18:19]
; %bb.486:
	v_cmp_ne_u32_e32 vcc, 0, v107
	v_cndmask_b32_e32 v107, 24, v107, vcc
; %bb.487:
	s_andn2_saveexec_b64 s[0:1], s[0:1]
	s_cbranch_execz .LBB64_493
; %bb.488:
	v_cmp_ngt_f64_e64 s[18:19], |v[121:122]|, |v[123:124]|
	s_and_saveexec_b64 s[20:21], s[18:19]
	s_xor_b64 s[18:19], exec, s[20:21]
	s_cbranch_execz .LBB64_490
; %bb.489:
	v_div_scale_f64 v[110:111], s[20:21], v[123:124], v[123:124], v[121:122]
	v_rcp_f64_e32 v[112:113], v[110:111]
	v_fma_f64 v[114:115], -v[110:111], v[112:113], 1.0
	v_fma_f64 v[112:113], v[112:113], v[114:115], v[112:113]
	v_div_scale_f64 v[114:115], vcc, v[121:122], v[123:124], v[121:122]
	v_fma_f64 v[116:117], -v[110:111], v[112:113], 1.0
	v_fma_f64 v[112:113], v[112:113], v[116:117], v[112:113]
	v_mul_f64 v[116:117], v[114:115], v[112:113]
	v_fma_f64 v[110:111], -v[110:111], v[116:117], v[114:115]
	v_div_fmas_f64 v[110:111], v[110:111], v[112:113], v[116:117]
	v_div_fixup_f64 v[110:111], v[110:111], v[123:124], v[121:122]
	v_fma_f64 v[112:113], v[121:122], v[110:111], v[123:124]
	v_div_scale_f64 v[114:115], s[20:21], v[112:113], v[112:113], 1.0
	v_div_scale_f64 v[120:121], vcc, 1.0, v[112:113], 1.0
	v_rcp_f64_e32 v[116:117], v[114:115]
	v_fma_f64 v[118:119], -v[114:115], v[116:117], 1.0
	v_fma_f64 v[116:117], v[116:117], v[118:119], v[116:117]
	v_fma_f64 v[118:119], -v[114:115], v[116:117], 1.0
	v_fma_f64 v[116:117], v[116:117], v[118:119], v[116:117]
	v_mul_f64 v[118:119], v[120:121], v[116:117]
	v_fma_f64 v[114:115], -v[114:115], v[118:119], v[120:121]
	v_div_fmas_f64 v[114:115], v[114:115], v[116:117], v[118:119]
	v_div_fixup_f64 v[123:124], v[114:115], v[112:113], 1.0
	v_mul_f64 v[121:122], v[110:111], v[123:124]
	v_xor_b32_e32 v124, 0x80000000, v124
.LBB64_490:
	s_andn2_saveexec_b64 s[18:19], s[18:19]
	s_cbranch_execz .LBB64_492
; %bb.491:
	v_div_scale_f64 v[110:111], s[20:21], v[121:122], v[121:122], v[123:124]
	v_rcp_f64_e32 v[112:113], v[110:111]
	v_fma_f64 v[114:115], -v[110:111], v[112:113], 1.0
	v_fma_f64 v[112:113], v[112:113], v[114:115], v[112:113]
	v_div_scale_f64 v[114:115], vcc, v[123:124], v[121:122], v[123:124]
	v_fma_f64 v[116:117], -v[110:111], v[112:113], 1.0
	v_fma_f64 v[112:113], v[112:113], v[116:117], v[112:113]
	v_mul_f64 v[116:117], v[114:115], v[112:113]
	v_fma_f64 v[110:111], -v[110:111], v[116:117], v[114:115]
	v_div_fmas_f64 v[110:111], v[110:111], v[112:113], v[116:117]
	v_div_fixup_f64 v[110:111], v[110:111], v[121:122], v[123:124]
	v_fma_f64 v[112:113], v[123:124], v[110:111], v[121:122]
	v_div_scale_f64 v[114:115], s[20:21], v[112:113], v[112:113], 1.0
	v_div_scale_f64 v[120:121], vcc, 1.0, v[112:113], 1.0
	v_rcp_f64_e32 v[116:117], v[114:115]
	v_fma_f64 v[118:119], -v[114:115], v[116:117], 1.0
	v_fma_f64 v[116:117], v[116:117], v[118:119], v[116:117]
	v_fma_f64 v[118:119], -v[114:115], v[116:117], 1.0
	v_fma_f64 v[116:117], v[116:117], v[118:119], v[116:117]
	v_mul_f64 v[118:119], v[120:121], v[116:117]
	v_fma_f64 v[114:115], -v[114:115], v[118:119], v[120:121]
	v_div_fmas_f64 v[114:115], v[114:115], v[116:117], v[118:119]
	v_div_fixup_f64 v[121:122], v[114:115], v[112:113], 1.0
	v_mul_f64 v[123:124], v[110:111], -v[121:122]
.LBB64_492:
	s_or_b64 exec, exec, s[18:19]
.LBB64_493:
	s_or_b64 exec, exec, s[0:1]
	v_cmp_ne_u32_e32 vcc, v108, v109
	s_and_saveexec_b64 s[0:1], vcc
	s_xor_b64 s[0:1], exec, s[0:1]
	s_cbranch_execz .LBB64_499
; %bb.494:
	v_cmp_eq_u32_e32 vcc, 23, v108
	s_and_saveexec_b64 s[18:19], vcc
	s_cbranch_execz .LBB64_498
; %bb.495:
	v_cmp_ne_u32_e32 vcc, 23, v109
	s_xor_b64 s[20:21], s[6:7], -1
	s_and_b64 s[22:23], s[20:21], vcc
	s_and_saveexec_b64 s[20:21], s[22:23]
	s_cbranch_execz .LBB64_497
; %bb.496:
	buffer_load_dword v112, off, s[24:27], 0 offset:80 ; 4-byte Folded Reload
	buffer_load_dword v113, off, s[24:27], 0 offset:84 ; 4-byte Folded Reload
	v_ashrrev_i32_e32 v110, 31, v109
	v_lshlrev_b64 v[110:111], 2, v[109:110]
	s_waitcnt vmcnt(1)
	v_add_co_u32_e32 v110, vcc, v112, v110
	s_waitcnt vmcnt(0)
	v_addc_co_u32_e32 v111, vcc, v113, v111, vcc
	global_load_dword v0, v[110:111], off
	global_load_dword v108, v[112:113], off offset:92
	s_waitcnt vmcnt(1)
	global_store_dword v[112:113], v0, off offset:92
	s_waitcnt vmcnt(1)
	global_store_dword v[110:111], v108, off
.LBB64_497:
	s_or_b64 exec, exec, s[20:21]
	v_mov_b32_e32 v108, v109
	v_mov_b32_e32 v0, v109
.LBB64_498:
	s_or_b64 exec, exec, s[18:19]
.LBB64_499:
	s_andn2_saveexec_b64 s[0:1], s[0:1]
	s_cbranch_execz .LBB64_501
; %bb.500:
	v_mov_b32_e32 v108, 23
	ds_write2_b64 v106, v[29:30], v[31:32] offset0:48 offset1:49
	ds_write2_b64 v106, v[25:26], v[27:28] offset0:50 offset1:51
	;; [unrolled: 1-line block ×9, first 2 shown]
.LBB64_501:
	s_or_b64 exec, exec, s[0:1]
	v_cmp_lt_i32_e32 vcc, 23, v108
	s_waitcnt vmcnt(0) lgkmcnt(0)
	s_barrier
	s_and_saveexec_b64 s[0:1], vcc
	s_cbranch_execz .LBB64_503
; %bb.502:
	v_mul_f64 v[109:110], v[121:122], v[35:36]
	v_mul_f64 v[35:36], v[123:124], v[35:36]
	ds_read2_b64 v[111:114], v106 offset0:48 offset1:49
	v_fma_f64 v[109:110], v[123:124], v[33:34], v[109:110]
	v_fma_f64 v[33:34], v[121:122], v[33:34], -v[35:36]
	s_waitcnt lgkmcnt(0)
	v_mul_f64 v[35:36], v[113:114], v[109:110]
	v_fma_f64 v[35:36], v[111:112], v[33:34], -v[35:36]
	v_mul_f64 v[111:112], v[111:112], v[109:110]
	v_add_f64 v[29:30], v[29:30], -v[35:36]
	v_fma_f64 v[111:112], v[113:114], v[33:34], v[111:112]
	v_add_f64 v[31:32], v[31:32], -v[111:112]
	ds_read2_b64 v[111:114], v106 offset0:50 offset1:51
	s_waitcnt lgkmcnt(0)
	v_mul_f64 v[35:36], v[113:114], v[109:110]
	v_fma_f64 v[35:36], v[111:112], v[33:34], -v[35:36]
	v_mul_f64 v[111:112], v[111:112], v[109:110]
	v_add_f64 v[25:26], v[25:26], -v[35:36]
	v_fma_f64 v[111:112], v[113:114], v[33:34], v[111:112]
	v_add_f64 v[27:28], v[27:28], -v[111:112]
	ds_read2_b64 v[111:114], v106 offset0:52 offset1:53
	;; [unrolled: 8-line block ×8, first 2 shown]
	s_waitcnt lgkmcnt(0)
	v_mul_f64 v[35:36], v[113:114], v[109:110]
	v_fma_f64 v[35:36], v[111:112], v[33:34], -v[35:36]
	v_mul_f64 v[111:112], v[111:112], v[109:110]
	v_add_f64 v[89:90], v[89:90], -v[35:36]
	v_fma_f64 v[111:112], v[113:114], v[33:34], v[111:112]
	v_mov_b32_e32 v35, v109
	v_mov_b32_e32 v36, v110
	v_add_f64 v[91:92], v[91:92], -v[111:112]
.LBB64_503:
	s_or_b64 exec, exec, s[0:1]
	v_lshl_add_u32 v109, v108, 4, v106
	s_barrier
	ds_write2_b64 v109, v[29:30], v[31:32] offset1:1
	s_waitcnt lgkmcnt(0)
	s_barrier
	ds_read2_b64 v[121:124], v106 offset0:48 offset1:49
	s_cmp_lt_i32 s3, 26
	v_mov_b32_e32 v109, 24
	s_cbranch_scc1 .LBB64_506
; %bb.504:
	v_add_u32_e32 v110, 0x190, v106
	s_mov_b32 s0, 25
	v_mov_b32_e32 v109, 24
.LBB64_505:                             ; =>This Inner Loop Header: Depth=1
	s_waitcnt lgkmcnt(0)
	v_cmp_gt_f64_e32 vcc, 0, v[121:122]
	v_xor_b32_e32 v115, 0x80000000, v122
	ds_read2_b64 v[111:114], v110 offset1:1
	v_xor_b32_e32 v117, 0x80000000, v124
	v_add_u32_e32 v110, 16, v110
	s_waitcnt lgkmcnt(0)
	v_xor_b32_e32 v119, 0x80000000, v114
	v_cndmask_b32_e32 v116, v122, v115, vcc
	v_cmp_gt_f64_e32 vcc, 0, v[123:124]
	v_mov_b32_e32 v115, v121
	v_cndmask_b32_e32 v118, v124, v117, vcc
	v_cmp_gt_f64_e32 vcc, 0, v[111:112]
	v_mov_b32_e32 v117, v123
	v_add_f64 v[115:116], v[115:116], v[117:118]
	v_xor_b32_e32 v117, 0x80000000, v112
	v_cndmask_b32_e32 v118, v112, v117, vcc
	v_cmp_gt_f64_e32 vcc, 0, v[113:114]
	v_mov_b32_e32 v117, v111
	v_cndmask_b32_e32 v120, v114, v119, vcc
	v_mov_b32_e32 v119, v113
	v_add_f64 v[117:118], v[117:118], v[119:120]
	v_cmp_lt_f64_e32 vcc, v[115:116], v[117:118]
	v_cndmask_b32_e32 v121, v121, v111, vcc
	v_mov_b32_e32 v111, s0
	s_add_i32 s0, s0, 1
	v_cndmask_b32_e32 v122, v122, v112, vcc
	v_cndmask_b32_e32 v124, v124, v114, vcc
	;; [unrolled: 1-line block ×4, first 2 shown]
	s_cmp_lg_u32 s3, s0
	s_cbranch_scc1 .LBB64_505
.LBB64_506:
	s_waitcnt lgkmcnt(0)
	v_cmp_eq_f64_e32 vcc, 0, v[121:122]
	v_cmp_eq_f64_e64 s[0:1], 0, v[123:124]
	s_and_b64 s[0:1], vcc, s[0:1]
	s_and_saveexec_b64 s[18:19], s[0:1]
	s_xor_b64 s[0:1], exec, s[18:19]
; %bb.507:
	v_cmp_ne_u32_e32 vcc, 0, v107
	v_cndmask_b32_e32 v107, 25, v107, vcc
; %bb.508:
	s_andn2_saveexec_b64 s[0:1], s[0:1]
	s_cbranch_execz .LBB64_514
; %bb.509:
	v_cmp_ngt_f64_e64 s[18:19], |v[121:122]|, |v[123:124]|
	s_and_saveexec_b64 s[20:21], s[18:19]
	s_xor_b64 s[18:19], exec, s[20:21]
	s_cbranch_execz .LBB64_511
; %bb.510:
	v_div_scale_f64 v[110:111], s[20:21], v[123:124], v[123:124], v[121:122]
	v_rcp_f64_e32 v[112:113], v[110:111]
	v_fma_f64 v[114:115], -v[110:111], v[112:113], 1.0
	v_fma_f64 v[112:113], v[112:113], v[114:115], v[112:113]
	v_div_scale_f64 v[114:115], vcc, v[121:122], v[123:124], v[121:122]
	v_fma_f64 v[116:117], -v[110:111], v[112:113], 1.0
	v_fma_f64 v[112:113], v[112:113], v[116:117], v[112:113]
	v_mul_f64 v[116:117], v[114:115], v[112:113]
	v_fma_f64 v[110:111], -v[110:111], v[116:117], v[114:115]
	v_div_fmas_f64 v[110:111], v[110:111], v[112:113], v[116:117]
	v_div_fixup_f64 v[110:111], v[110:111], v[123:124], v[121:122]
	v_fma_f64 v[112:113], v[121:122], v[110:111], v[123:124]
	v_div_scale_f64 v[114:115], s[20:21], v[112:113], v[112:113], 1.0
	v_div_scale_f64 v[120:121], vcc, 1.0, v[112:113], 1.0
	v_rcp_f64_e32 v[116:117], v[114:115]
	v_fma_f64 v[118:119], -v[114:115], v[116:117], 1.0
	v_fma_f64 v[116:117], v[116:117], v[118:119], v[116:117]
	v_fma_f64 v[118:119], -v[114:115], v[116:117], 1.0
	v_fma_f64 v[116:117], v[116:117], v[118:119], v[116:117]
	v_mul_f64 v[118:119], v[120:121], v[116:117]
	v_fma_f64 v[114:115], -v[114:115], v[118:119], v[120:121]
	v_div_fmas_f64 v[114:115], v[114:115], v[116:117], v[118:119]
	v_div_fixup_f64 v[123:124], v[114:115], v[112:113], 1.0
	v_mul_f64 v[121:122], v[110:111], v[123:124]
	v_xor_b32_e32 v124, 0x80000000, v124
.LBB64_511:
	s_andn2_saveexec_b64 s[18:19], s[18:19]
	s_cbranch_execz .LBB64_513
; %bb.512:
	v_div_scale_f64 v[110:111], s[20:21], v[121:122], v[121:122], v[123:124]
	v_rcp_f64_e32 v[112:113], v[110:111]
	v_fma_f64 v[114:115], -v[110:111], v[112:113], 1.0
	v_fma_f64 v[112:113], v[112:113], v[114:115], v[112:113]
	v_div_scale_f64 v[114:115], vcc, v[123:124], v[121:122], v[123:124]
	v_fma_f64 v[116:117], -v[110:111], v[112:113], 1.0
	v_fma_f64 v[112:113], v[112:113], v[116:117], v[112:113]
	v_mul_f64 v[116:117], v[114:115], v[112:113]
	v_fma_f64 v[110:111], -v[110:111], v[116:117], v[114:115]
	v_div_fmas_f64 v[110:111], v[110:111], v[112:113], v[116:117]
	v_div_fixup_f64 v[110:111], v[110:111], v[121:122], v[123:124]
	v_fma_f64 v[112:113], v[123:124], v[110:111], v[121:122]
	v_div_scale_f64 v[114:115], s[20:21], v[112:113], v[112:113], 1.0
	v_div_scale_f64 v[120:121], vcc, 1.0, v[112:113], 1.0
	v_rcp_f64_e32 v[116:117], v[114:115]
	v_fma_f64 v[118:119], -v[114:115], v[116:117], 1.0
	v_fma_f64 v[116:117], v[116:117], v[118:119], v[116:117]
	v_fma_f64 v[118:119], -v[114:115], v[116:117], 1.0
	v_fma_f64 v[116:117], v[116:117], v[118:119], v[116:117]
	v_mul_f64 v[118:119], v[120:121], v[116:117]
	v_fma_f64 v[114:115], -v[114:115], v[118:119], v[120:121]
	v_div_fmas_f64 v[114:115], v[114:115], v[116:117], v[118:119]
	v_div_fixup_f64 v[121:122], v[114:115], v[112:113], 1.0
	v_mul_f64 v[123:124], v[110:111], -v[121:122]
.LBB64_513:
	s_or_b64 exec, exec, s[18:19]
.LBB64_514:
	s_or_b64 exec, exec, s[0:1]
	v_cmp_ne_u32_e32 vcc, v108, v109
	s_and_saveexec_b64 s[0:1], vcc
	s_xor_b64 s[0:1], exec, s[0:1]
	s_cbranch_execz .LBB64_520
; %bb.515:
	v_cmp_eq_u32_e32 vcc, 24, v108
	s_and_saveexec_b64 s[18:19], vcc
	s_cbranch_execz .LBB64_519
; %bb.516:
	v_cmp_ne_u32_e32 vcc, 24, v109
	s_xor_b64 s[20:21], s[6:7], -1
	s_and_b64 s[22:23], s[20:21], vcc
	s_and_saveexec_b64 s[20:21], s[22:23]
	s_cbranch_execz .LBB64_518
; %bb.517:
	buffer_load_dword v112, off, s[24:27], 0 offset:80 ; 4-byte Folded Reload
	buffer_load_dword v113, off, s[24:27], 0 offset:84 ; 4-byte Folded Reload
	v_ashrrev_i32_e32 v110, 31, v109
	v_lshlrev_b64 v[110:111], 2, v[109:110]
	s_waitcnt vmcnt(1)
	v_add_co_u32_e32 v110, vcc, v112, v110
	s_waitcnt vmcnt(0)
	v_addc_co_u32_e32 v111, vcc, v113, v111, vcc
	global_load_dword v0, v[110:111], off
	global_load_dword v108, v[112:113], off offset:96
	s_waitcnt vmcnt(1)
	global_store_dword v[112:113], v0, off offset:96
	s_waitcnt vmcnt(1)
	global_store_dword v[110:111], v108, off
.LBB64_518:
	s_or_b64 exec, exec, s[20:21]
	v_mov_b32_e32 v108, v109
	v_mov_b32_e32 v0, v109
.LBB64_519:
	s_or_b64 exec, exec, s[18:19]
.LBB64_520:
	s_andn2_saveexec_b64 s[0:1], s[0:1]
	s_cbranch_execz .LBB64_522
; %bb.521:
	v_mov_b32_e32 v108, 24
	ds_write2_b64 v106, v[25:26], v[27:28] offset0:50 offset1:51
	ds_write2_b64 v106, v[21:22], v[23:24] offset0:52 offset1:53
	;; [unrolled: 1-line block ×8, first 2 shown]
.LBB64_522:
	s_or_b64 exec, exec, s[0:1]
	v_cmp_lt_i32_e32 vcc, 24, v108
	s_waitcnt vmcnt(0) lgkmcnt(0)
	s_barrier
	s_and_saveexec_b64 s[0:1], vcc
	s_cbranch_execz .LBB64_524
; %bb.523:
	v_mul_f64 v[109:110], v[121:122], v[31:32]
	v_mul_f64 v[31:32], v[123:124], v[31:32]
	ds_read2_b64 v[111:114], v106 offset0:50 offset1:51
	v_fma_f64 v[109:110], v[123:124], v[29:30], v[109:110]
	v_fma_f64 v[29:30], v[121:122], v[29:30], -v[31:32]
	s_waitcnt lgkmcnt(0)
	v_mul_f64 v[31:32], v[113:114], v[109:110]
	v_fma_f64 v[31:32], v[111:112], v[29:30], -v[31:32]
	v_mul_f64 v[111:112], v[111:112], v[109:110]
	v_add_f64 v[25:26], v[25:26], -v[31:32]
	v_fma_f64 v[111:112], v[113:114], v[29:30], v[111:112]
	v_add_f64 v[27:28], v[27:28], -v[111:112]
	ds_read2_b64 v[111:114], v106 offset0:52 offset1:53
	s_waitcnt lgkmcnt(0)
	v_mul_f64 v[31:32], v[113:114], v[109:110]
	v_fma_f64 v[31:32], v[111:112], v[29:30], -v[31:32]
	v_mul_f64 v[111:112], v[111:112], v[109:110]
	v_add_f64 v[21:22], v[21:22], -v[31:32]
	v_fma_f64 v[111:112], v[113:114], v[29:30], v[111:112]
	v_add_f64 v[23:24], v[23:24], -v[111:112]
	ds_read2_b64 v[111:114], v106 offset0:54 offset1:55
	;; [unrolled: 8-line block ×7, first 2 shown]
	s_waitcnt lgkmcnt(0)
	v_mul_f64 v[31:32], v[113:114], v[109:110]
	v_fma_f64 v[31:32], v[111:112], v[29:30], -v[31:32]
	v_mul_f64 v[111:112], v[111:112], v[109:110]
	v_add_f64 v[89:90], v[89:90], -v[31:32]
	v_fma_f64 v[111:112], v[113:114], v[29:30], v[111:112]
	v_mov_b32_e32 v31, v109
	v_mov_b32_e32 v32, v110
	v_add_f64 v[91:92], v[91:92], -v[111:112]
.LBB64_524:
	s_or_b64 exec, exec, s[0:1]
	v_lshl_add_u32 v109, v108, 4, v106
	s_barrier
	ds_write2_b64 v109, v[25:26], v[27:28] offset1:1
	s_waitcnt lgkmcnt(0)
	s_barrier
	ds_read2_b64 v[121:124], v106 offset0:50 offset1:51
	s_cmp_lt_i32 s3, 27
	v_mov_b32_e32 v109, 25
	s_cbranch_scc1 .LBB64_527
; %bb.525:
	v_add_u32_e32 v110, 0x1a0, v106
	s_mov_b32 s0, 26
	v_mov_b32_e32 v109, 25
.LBB64_526:                             ; =>This Inner Loop Header: Depth=1
	s_waitcnt lgkmcnt(0)
	v_cmp_gt_f64_e32 vcc, 0, v[121:122]
	v_xor_b32_e32 v115, 0x80000000, v122
	ds_read2_b64 v[111:114], v110 offset1:1
	v_xor_b32_e32 v117, 0x80000000, v124
	v_add_u32_e32 v110, 16, v110
	s_waitcnt lgkmcnt(0)
	v_xor_b32_e32 v119, 0x80000000, v114
	v_cndmask_b32_e32 v116, v122, v115, vcc
	v_cmp_gt_f64_e32 vcc, 0, v[123:124]
	v_mov_b32_e32 v115, v121
	v_cndmask_b32_e32 v118, v124, v117, vcc
	v_cmp_gt_f64_e32 vcc, 0, v[111:112]
	v_mov_b32_e32 v117, v123
	v_add_f64 v[115:116], v[115:116], v[117:118]
	v_xor_b32_e32 v117, 0x80000000, v112
	v_cndmask_b32_e32 v118, v112, v117, vcc
	v_cmp_gt_f64_e32 vcc, 0, v[113:114]
	v_mov_b32_e32 v117, v111
	v_cndmask_b32_e32 v120, v114, v119, vcc
	v_mov_b32_e32 v119, v113
	v_add_f64 v[117:118], v[117:118], v[119:120]
	v_cmp_lt_f64_e32 vcc, v[115:116], v[117:118]
	v_cndmask_b32_e32 v121, v121, v111, vcc
	v_mov_b32_e32 v111, s0
	s_add_i32 s0, s0, 1
	v_cndmask_b32_e32 v122, v122, v112, vcc
	v_cndmask_b32_e32 v124, v124, v114, vcc
	v_cndmask_b32_e32 v123, v123, v113, vcc
	v_cndmask_b32_e32 v109, v109, v111, vcc
	s_cmp_lg_u32 s3, s0
	s_cbranch_scc1 .LBB64_526
.LBB64_527:
	s_waitcnt lgkmcnt(0)
	v_cmp_eq_f64_e32 vcc, 0, v[121:122]
	v_cmp_eq_f64_e64 s[0:1], 0, v[123:124]
	s_and_b64 s[0:1], vcc, s[0:1]
	s_and_saveexec_b64 s[18:19], s[0:1]
	s_xor_b64 s[0:1], exec, s[18:19]
; %bb.528:
	v_cmp_ne_u32_e32 vcc, 0, v107
	v_cndmask_b32_e32 v107, 26, v107, vcc
; %bb.529:
	s_andn2_saveexec_b64 s[0:1], s[0:1]
	s_cbranch_execz .LBB64_535
; %bb.530:
	v_cmp_ngt_f64_e64 s[18:19], |v[121:122]|, |v[123:124]|
	s_and_saveexec_b64 s[20:21], s[18:19]
	s_xor_b64 s[18:19], exec, s[20:21]
	s_cbranch_execz .LBB64_532
; %bb.531:
	v_div_scale_f64 v[110:111], s[20:21], v[123:124], v[123:124], v[121:122]
	v_rcp_f64_e32 v[112:113], v[110:111]
	v_fma_f64 v[114:115], -v[110:111], v[112:113], 1.0
	v_fma_f64 v[112:113], v[112:113], v[114:115], v[112:113]
	v_div_scale_f64 v[114:115], vcc, v[121:122], v[123:124], v[121:122]
	v_fma_f64 v[116:117], -v[110:111], v[112:113], 1.0
	v_fma_f64 v[112:113], v[112:113], v[116:117], v[112:113]
	v_mul_f64 v[116:117], v[114:115], v[112:113]
	v_fma_f64 v[110:111], -v[110:111], v[116:117], v[114:115]
	v_div_fmas_f64 v[110:111], v[110:111], v[112:113], v[116:117]
	v_div_fixup_f64 v[110:111], v[110:111], v[123:124], v[121:122]
	v_fma_f64 v[112:113], v[121:122], v[110:111], v[123:124]
	v_div_scale_f64 v[114:115], s[20:21], v[112:113], v[112:113], 1.0
	v_div_scale_f64 v[120:121], vcc, 1.0, v[112:113], 1.0
	v_rcp_f64_e32 v[116:117], v[114:115]
	v_fma_f64 v[118:119], -v[114:115], v[116:117], 1.0
	v_fma_f64 v[116:117], v[116:117], v[118:119], v[116:117]
	v_fma_f64 v[118:119], -v[114:115], v[116:117], 1.0
	v_fma_f64 v[116:117], v[116:117], v[118:119], v[116:117]
	v_mul_f64 v[118:119], v[120:121], v[116:117]
	v_fma_f64 v[114:115], -v[114:115], v[118:119], v[120:121]
	v_div_fmas_f64 v[114:115], v[114:115], v[116:117], v[118:119]
	v_div_fixup_f64 v[123:124], v[114:115], v[112:113], 1.0
	v_mul_f64 v[121:122], v[110:111], v[123:124]
	v_xor_b32_e32 v124, 0x80000000, v124
.LBB64_532:
	s_andn2_saveexec_b64 s[18:19], s[18:19]
	s_cbranch_execz .LBB64_534
; %bb.533:
	v_div_scale_f64 v[110:111], s[20:21], v[121:122], v[121:122], v[123:124]
	v_rcp_f64_e32 v[112:113], v[110:111]
	v_fma_f64 v[114:115], -v[110:111], v[112:113], 1.0
	v_fma_f64 v[112:113], v[112:113], v[114:115], v[112:113]
	v_div_scale_f64 v[114:115], vcc, v[123:124], v[121:122], v[123:124]
	v_fma_f64 v[116:117], -v[110:111], v[112:113], 1.0
	v_fma_f64 v[112:113], v[112:113], v[116:117], v[112:113]
	v_mul_f64 v[116:117], v[114:115], v[112:113]
	v_fma_f64 v[110:111], -v[110:111], v[116:117], v[114:115]
	v_div_fmas_f64 v[110:111], v[110:111], v[112:113], v[116:117]
	v_div_fixup_f64 v[110:111], v[110:111], v[121:122], v[123:124]
	v_fma_f64 v[112:113], v[123:124], v[110:111], v[121:122]
	v_div_scale_f64 v[114:115], s[20:21], v[112:113], v[112:113], 1.0
	v_div_scale_f64 v[120:121], vcc, 1.0, v[112:113], 1.0
	v_rcp_f64_e32 v[116:117], v[114:115]
	v_fma_f64 v[118:119], -v[114:115], v[116:117], 1.0
	v_fma_f64 v[116:117], v[116:117], v[118:119], v[116:117]
	v_fma_f64 v[118:119], -v[114:115], v[116:117], 1.0
	v_fma_f64 v[116:117], v[116:117], v[118:119], v[116:117]
	v_mul_f64 v[118:119], v[120:121], v[116:117]
	v_fma_f64 v[114:115], -v[114:115], v[118:119], v[120:121]
	v_div_fmas_f64 v[114:115], v[114:115], v[116:117], v[118:119]
	v_div_fixup_f64 v[121:122], v[114:115], v[112:113], 1.0
	v_mul_f64 v[123:124], v[110:111], -v[121:122]
.LBB64_534:
	s_or_b64 exec, exec, s[18:19]
.LBB64_535:
	s_or_b64 exec, exec, s[0:1]
	v_cmp_ne_u32_e32 vcc, v108, v109
	s_and_saveexec_b64 s[0:1], vcc
	s_xor_b64 s[0:1], exec, s[0:1]
	s_cbranch_execz .LBB64_541
; %bb.536:
	v_cmp_eq_u32_e32 vcc, 25, v108
	s_and_saveexec_b64 s[18:19], vcc
	s_cbranch_execz .LBB64_540
; %bb.537:
	v_cmp_ne_u32_e32 vcc, 25, v109
	s_xor_b64 s[20:21], s[6:7], -1
	s_and_b64 s[22:23], s[20:21], vcc
	s_and_saveexec_b64 s[20:21], s[22:23]
	s_cbranch_execz .LBB64_539
; %bb.538:
	buffer_load_dword v112, off, s[24:27], 0 offset:80 ; 4-byte Folded Reload
	buffer_load_dword v113, off, s[24:27], 0 offset:84 ; 4-byte Folded Reload
	v_ashrrev_i32_e32 v110, 31, v109
	v_lshlrev_b64 v[110:111], 2, v[109:110]
	s_waitcnt vmcnt(1)
	v_add_co_u32_e32 v110, vcc, v112, v110
	s_waitcnt vmcnt(0)
	v_addc_co_u32_e32 v111, vcc, v113, v111, vcc
	global_load_dword v0, v[110:111], off
	global_load_dword v108, v[112:113], off offset:100
	s_waitcnt vmcnt(1)
	global_store_dword v[112:113], v0, off offset:100
	s_waitcnt vmcnt(1)
	global_store_dword v[110:111], v108, off
.LBB64_539:
	s_or_b64 exec, exec, s[20:21]
	v_mov_b32_e32 v108, v109
	v_mov_b32_e32 v0, v109
.LBB64_540:
	s_or_b64 exec, exec, s[18:19]
.LBB64_541:
	s_andn2_saveexec_b64 s[0:1], s[0:1]
	s_cbranch_execz .LBB64_543
; %bb.542:
	v_mov_b32_e32 v108, 25
	ds_write2_b64 v106, v[21:22], v[23:24] offset0:52 offset1:53
	ds_write2_b64 v106, v[17:18], v[19:20] offset0:54 offset1:55
	;; [unrolled: 1-line block ×7, first 2 shown]
.LBB64_543:
	s_or_b64 exec, exec, s[0:1]
	v_cmp_lt_i32_e32 vcc, 25, v108
	s_waitcnt vmcnt(0) lgkmcnt(0)
	s_barrier
	s_and_saveexec_b64 s[0:1], vcc
	s_cbranch_execz .LBB64_545
; %bb.544:
	v_mul_f64 v[109:110], v[121:122], v[27:28]
	v_mul_f64 v[27:28], v[123:124], v[27:28]
	ds_read2_b64 v[111:114], v106 offset0:52 offset1:53
	v_fma_f64 v[109:110], v[123:124], v[25:26], v[109:110]
	v_fma_f64 v[25:26], v[121:122], v[25:26], -v[27:28]
	s_waitcnt lgkmcnt(0)
	v_mul_f64 v[27:28], v[113:114], v[109:110]
	v_fma_f64 v[27:28], v[111:112], v[25:26], -v[27:28]
	v_mul_f64 v[111:112], v[111:112], v[109:110]
	v_add_f64 v[21:22], v[21:22], -v[27:28]
	v_fma_f64 v[111:112], v[113:114], v[25:26], v[111:112]
	v_add_f64 v[23:24], v[23:24], -v[111:112]
	ds_read2_b64 v[111:114], v106 offset0:54 offset1:55
	s_waitcnt lgkmcnt(0)
	v_mul_f64 v[27:28], v[113:114], v[109:110]
	v_fma_f64 v[27:28], v[111:112], v[25:26], -v[27:28]
	v_mul_f64 v[111:112], v[111:112], v[109:110]
	v_add_f64 v[17:18], v[17:18], -v[27:28]
	v_fma_f64 v[111:112], v[113:114], v[25:26], v[111:112]
	v_add_f64 v[19:20], v[19:20], -v[111:112]
	ds_read2_b64 v[111:114], v106 offset0:56 offset1:57
	;; [unrolled: 8-line block ×6, first 2 shown]
	s_waitcnt lgkmcnt(0)
	v_mul_f64 v[27:28], v[113:114], v[109:110]
	v_fma_f64 v[27:28], v[111:112], v[25:26], -v[27:28]
	v_mul_f64 v[111:112], v[111:112], v[109:110]
	v_add_f64 v[89:90], v[89:90], -v[27:28]
	v_fma_f64 v[111:112], v[113:114], v[25:26], v[111:112]
	v_mov_b32_e32 v27, v109
	v_mov_b32_e32 v28, v110
	v_add_f64 v[91:92], v[91:92], -v[111:112]
.LBB64_545:
	s_or_b64 exec, exec, s[0:1]
	v_lshl_add_u32 v109, v108, 4, v106
	s_barrier
	ds_write2_b64 v109, v[21:22], v[23:24] offset1:1
	s_waitcnt lgkmcnt(0)
	s_barrier
	ds_read2_b64 v[121:124], v106 offset0:52 offset1:53
	s_cmp_lt_i32 s3, 28
	v_mov_b32_e32 v109, 26
	s_cbranch_scc1 .LBB64_548
; %bb.546:
	v_add_u32_e32 v110, 0x1b0, v106
	s_mov_b32 s0, 27
	v_mov_b32_e32 v109, 26
.LBB64_547:                             ; =>This Inner Loop Header: Depth=1
	s_waitcnt lgkmcnt(0)
	v_cmp_gt_f64_e32 vcc, 0, v[121:122]
	v_xor_b32_e32 v115, 0x80000000, v122
	ds_read2_b64 v[111:114], v110 offset1:1
	v_xor_b32_e32 v117, 0x80000000, v124
	v_add_u32_e32 v110, 16, v110
	s_waitcnt lgkmcnt(0)
	v_xor_b32_e32 v119, 0x80000000, v114
	v_cndmask_b32_e32 v116, v122, v115, vcc
	v_cmp_gt_f64_e32 vcc, 0, v[123:124]
	v_mov_b32_e32 v115, v121
	v_cndmask_b32_e32 v118, v124, v117, vcc
	v_cmp_gt_f64_e32 vcc, 0, v[111:112]
	v_mov_b32_e32 v117, v123
	v_add_f64 v[115:116], v[115:116], v[117:118]
	v_xor_b32_e32 v117, 0x80000000, v112
	v_cndmask_b32_e32 v118, v112, v117, vcc
	v_cmp_gt_f64_e32 vcc, 0, v[113:114]
	v_mov_b32_e32 v117, v111
	v_cndmask_b32_e32 v120, v114, v119, vcc
	v_mov_b32_e32 v119, v113
	v_add_f64 v[117:118], v[117:118], v[119:120]
	v_cmp_lt_f64_e32 vcc, v[115:116], v[117:118]
	v_cndmask_b32_e32 v121, v121, v111, vcc
	v_mov_b32_e32 v111, s0
	s_add_i32 s0, s0, 1
	v_cndmask_b32_e32 v122, v122, v112, vcc
	v_cndmask_b32_e32 v124, v124, v114, vcc
	;; [unrolled: 1-line block ×4, first 2 shown]
	s_cmp_lg_u32 s3, s0
	s_cbranch_scc1 .LBB64_547
.LBB64_548:
	s_waitcnt lgkmcnt(0)
	v_cmp_eq_f64_e32 vcc, 0, v[121:122]
	v_cmp_eq_f64_e64 s[0:1], 0, v[123:124]
	s_and_b64 s[0:1], vcc, s[0:1]
	s_and_saveexec_b64 s[18:19], s[0:1]
	s_xor_b64 s[0:1], exec, s[18:19]
; %bb.549:
	v_cmp_ne_u32_e32 vcc, 0, v107
	v_cndmask_b32_e32 v107, 27, v107, vcc
; %bb.550:
	s_andn2_saveexec_b64 s[0:1], s[0:1]
	s_cbranch_execz .LBB64_556
; %bb.551:
	v_cmp_ngt_f64_e64 s[18:19], |v[121:122]|, |v[123:124]|
	s_and_saveexec_b64 s[20:21], s[18:19]
	s_xor_b64 s[18:19], exec, s[20:21]
	s_cbranch_execz .LBB64_553
; %bb.552:
	v_div_scale_f64 v[110:111], s[20:21], v[123:124], v[123:124], v[121:122]
	v_rcp_f64_e32 v[112:113], v[110:111]
	v_fma_f64 v[114:115], -v[110:111], v[112:113], 1.0
	v_fma_f64 v[112:113], v[112:113], v[114:115], v[112:113]
	v_div_scale_f64 v[114:115], vcc, v[121:122], v[123:124], v[121:122]
	v_fma_f64 v[116:117], -v[110:111], v[112:113], 1.0
	v_fma_f64 v[112:113], v[112:113], v[116:117], v[112:113]
	v_mul_f64 v[116:117], v[114:115], v[112:113]
	v_fma_f64 v[110:111], -v[110:111], v[116:117], v[114:115]
	v_div_fmas_f64 v[110:111], v[110:111], v[112:113], v[116:117]
	v_div_fixup_f64 v[110:111], v[110:111], v[123:124], v[121:122]
	v_fma_f64 v[112:113], v[121:122], v[110:111], v[123:124]
	v_div_scale_f64 v[114:115], s[20:21], v[112:113], v[112:113], 1.0
	v_div_scale_f64 v[120:121], vcc, 1.0, v[112:113], 1.0
	v_rcp_f64_e32 v[116:117], v[114:115]
	v_fma_f64 v[118:119], -v[114:115], v[116:117], 1.0
	v_fma_f64 v[116:117], v[116:117], v[118:119], v[116:117]
	v_fma_f64 v[118:119], -v[114:115], v[116:117], 1.0
	v_fma_f64 v[116:117], v[116:117], v[118:119], v[116:117]
	v_mul_f64 v[118:119], v[120:121], v[116:117]
	v_fma_f64 v[114:115], -v[114:115], v[118:119], v[120:121]
	v_div_fmas_f64 v[114:115], v[114:115], v[116:117], v[118:119]
	v_div_fixup_f64 v[123:124], v[114:115], v[112:113], 1.0
	v_mul_f64 v[121:122], v[110:111], v[123:124]
	v_xor_b32_e32 v124, 0x80000000, v124
.LBB64_553:
	s_andn2_saveexec_b64 s[18:19], s[18:19]
	s_cbranch_execz .LBB64_555
; %bb.554:
	v_div_scale_f64 v[110:111], s[20:21], v[121:122], v[121:122], v[123:124]
	v_rcp_f64_e32 v[112:113], v[110:111]
	v_fma_f64 v[114:115], -v[110:111], v[112:113], 1.0
	v_fma_f64 v[112:113], v[112:113], v[114:115], v[112:113]
	v_div_scale_f64 v[114:115], vcc, v[123:124], v[121:122], v[123:124]
	v_fma_f64 v[116:117], -v[110:111], v[112:113], 1.0
	v_fma_f64 v[112:113], v[112:113], v[116:117], v[112:113]
	v_mul_f64 v[116:117], v[114:115], v[112:113]
	v_fma_f64 v[110:111], -v[110:111], v[116:117], v[114:115]
	v_div_fmas_f64 v[110:111], v[110:111], v[112:113], v[116:117]
	v_div_fixup_f64 v[110:111], v[110:111], v[121:122], v[123:124]
	v_fma_f64 v[112:113], v[123:124], v[110:111], v[121:122]
	v_div_scale_f64 v[114:115], s[20:21], v[112:113], v[112:113], 1.0
	v_div_scale_f64 v[120:121], vcc, 1.0, v[112:113], 1.0
	v_rcp_f64_e32 v[116:117], v[114:115]
	v_fma_f64 v[118:119], -v[114:115], v[116:117], 1.0
	v_fma_f64 v[116:117], v[116:117], v[118:119], v[116:117]
	v_fma_f64 v[118:119], -v[114:115], v[116:117], 1.0
	v_fma_f64 v[116:117], v[116:117], v[118:119], v[116:117]
	v_mul_f64 v[118:119], v[120:121], v[116:117]
	v_fma_f64 v[114:115], -v[114:115], v[118:119], v[120:121]
	v_div_fmas_f64 v[114:115], v[114:115], v[116:117], v[118:119]
	v_div_fixup_f64 v[121:122], v[114:115], v[112:113], 1.0
	v_mul_f64 v[123:124], v[110:111], -v[121:122]
.LBB64_555:
	s_or_b64 exec, exec, s[18:19]
.LBB64_556:
	s_or_b64 exec, exec, s[0:1]
	v_cmp_ne_u32_e32 vcc, v108, v109
	s_and_saveexec_b64 s[0:1], vcc
	s_xor_b64 s[0:1], exec, s[0:1]
	s_cbranch_execz .LBB64_562
; %bb.557:
	v_cmp_eq_u32_e32 vcc, 26, v108
	s_and_saveexec_b64 s[18:19], vcc
	s_cbranch_execz .LBB64_561
; %bb.558:
	v_cmp_ne_u32_e32 vcc, 26, v109
	s_xor_b64 s[20:21], s[6:7], -1
	s_and_b64 s[22:23], s[20:21], vcc
	s_and_saveexec_b64 s[20:21], s[22:23]
	s_cbranch_execz .LBB64_560
; %bb.559:
	buffer_load_dword v112, off, s[24:27], 0 offset:80 ; 4-byte Folded Reload
	buffer_load_dword v113, off, s[24:27], 0 offset:84 ; 4-byte Folded Reload
	v_ashrrev_i32_e32 v110, 31, v109
	v_lshlrev_b64 v[110:111], 2, v[109:110]
	s_waitcnt vmcnt(1)
	v_add_co_u32_e32 v110, vcc, v112, v110
	s_waitcnt vmcnt(0)
	v_addc_co_u32_e32 v111, vcc, v113, v111, vcc
	global_load_dword v0, v[110:111], off
	global_load_dword v108, v[112:113], off offset:104
	s_waitcnt vmcnt(1)
	global_store_dword v[112:113], v0, off offset:104
	s_waitcnt vmcnt(1)
	global_store_dword v[110:111], v108, off
.LBB64_560:
	s_or_b64 exec, exec, s[20:21]
	v_mov_b32_e32 v108, v109
	v_mov_b32_e32 v0, v109
.LBB64_561:
	s_or_b64 exec, exec, s[18:19]
.LBB64_562:
	s_andn2_saveexec_b64 s[0:1], s[0:1]
	s_cbranch_execz .LBB64_564
; %bb.563:
	v_mov_b32_e32 v108, 26
	ds_write2_b64 v106, v[17:18], v[19:20] offset0:54 offset1:55
	ds_write2_b64 v106, v[13:14], v[15:16] offset0:56 offset1:57
	;; [unrolled: 1-line block ×6, first 2 shown]
.LBB64_564:
	s_or_b64 exec, exec, s[0:1]
	v_cmp_lt_i32_e32 vcc, 26, v108
	s_waitcnt vmcnt(0) lgkmcnt(0)
	s_barrier
	s_and_saveexec_b64 s[0:1], vcc
	s_cbranch_execz .LBB64_566
; %bb.565:
	v_mul_f64 v[109:110], v[121:122], v[23:24]
	v_mul_f64 v[23:24], v[123:124], v[23:24]
	ds_read2_b64 v[111:114], v106 offset0:54 offset1:55
	v_fma_f64 v[109:110], v[123:124], v[21:22], v[109:110]
	v_fma_f64 v[21:22], v[121:122], v[21:22], -v[23:24]
	s_waitcnt lgkmcnt(0)
	v_mul_f64 v[23:24], v[113:114], v[109:110]
	v_fma_f64 v[23:24], v[111:112], v[21:22], -v[23:24]
	v_mul_f64 v[111:112], v[111:112], v[109:110]
	v_add_f64 v[17:18], v[17:18], -v[23:24]
	v_fma_f64 v[111:112], v[113:114], v[21:22], v[111:112]
	v_add_f64 v[19:20], v[19:20], -v[111:112]
	ds_read2_b64 v[111:114], v106 offset0:56 offset1:57
	s_waitcnt lgkmcnt(0)
	v_mul_f64 v[23:24], v[113:114], v[109:110]
	v_fma_f64 v[23:24], v[111:112], v[21:22], -v[23:24]
	v_mul_f64 v[111:112], v[111:112], v[109:110]
	v_add_f64 v[13:14], v[13:14], -v[23:24]
	v_fma_f64 v[111:112], v[113:114], v[21:22], v[111:112]
	v_add_f64 v[15:16], v[15:16], -v[111:112]
	ds_read2_b64 v[111:114], v106 offset0:58 offset1:59
	;; [unrolled: 8-line block ×5, first 2 shown]
	s_waitcnt lgkmcnt(0)
	v_mul_f64 v[23:24], v[113:114], v[109:110]
	v_fma_f64 v[23:24], v[111:112], v[21:22], -v[23:24]
	v_mul_f64 v[111:112], v[111:112], v[109:110]
	v_add_f64 v[89:90], v[89:90], -v[23:24]
	v_fma_f64 v[111:112], v[113:114], v[21:22], v[111:112]
	v_mov_b32_e32 v23, v109
	v_mov_b32_e32 v24, v110
	v_add_f64 v[91:92], v[91:92], -v[111:112]
.LBB64_566:
	s_or_b64 exec, exec, s[0:1]
	v_lshl_add_u32 v109, v108, 4, v106
	s_barrier
	ds_write2_b64 v109, v[17:18], v[19:20] offset1:1
	s_waitcnt lgkmcnt(0)
	s_barrier
	ds_read2_b64 v[121:124], v106 offset0:54 offset1:55
	s_cmp_lt_i32 s3, 29
	v_mov_b32_e32 v109, 27
	s_cbranch_scc1 .LBB64_569
; %bb.567:
	v_add_u32_e32 v110, 0x1c0, v106
	s_mov_b32 s0, 28
	v_mov_b32_e32 v109, 27
.LBB64_568:                             ; =>This Inner Loop Header: Depth=1
	s_waitcnt lgkmcnt(0)
	v_cmp_gt_f64_e32 vcc, 0, v[121:122]
	v_xor_b32_e32 v115, 0x80000000, v122
	ds_read2_b64 v[111:114], v110 offset1:1
	v_xor_b32_e32 v117, 0x80000000, v124
	v_add_u32_e32 v110, 16, v110
	s_waitcnt lgkmcnt(0)
	v_xor_b32_e32 v119, 0x80000000, v114
	v_cndmask_b32_e32 v116, v122, v115, vcc
	v_cmp_gt_f64_e32 vcc, 0, v[123:124]
	v_mov_b32_e32 v115, v121
	v_cndmask_b32_e32 v118, v124, v117, vcc
	v_cmp_gt_f64_e32 vcc, 0, v[111:112]
	v_mov_b32_e32 v117, v123
	v_add_f64 v[115:116], v[115:116], v[117:118]
	v_xor_b32_e32 v117, 0x80000000, v112
	v_cndmask_b32_e32 v118, v112, v117, vcc
	v_cmp_gt_f64_e32 vcc, 0, v[113:114]
	v_mov_b32_e32 v117, v111
	v_cndmask_b32_e32 v120, v114, v119, vcc
	v_mov_b32_e32 v119, v113
	v_add_f64 v[117:118], v[117:118], v[119:120]
	v_cmp_lt_f64_e32 vcc, v[115:116], v[117:118]
	v_cndmask_b32_e32 v121, v121, v111, vcc
	v_mov_b32_e32 v111, s0
	s_add_i32 s0, s0, 1
	v_cndmask_b32_e32 v122, v122, v112, vcc
	v_cndmask_b32_e32 v124, v124, v114, vcc
	;; [unrolled: 1-line block ×4, first 2 shown]
	s_cmp_lg_u32 s3, s0
	s_cbranch_scc1 .LBB64_568
.LBB64_569:
	s_waitcnt lgkmcnt(0)
	v_cmp_eq_f64_e32 vcc, 0, v[121:122]
	v_cmp_eq_f64_e64 s[0:1], 0, v[123:124]
	s_and_b64 s[0:1], vcc, s[0:1]
	s_and_saveexec_b64 s[18:19], s[0:1]
	s_xor_b64 s[0:1], exec, s[18:19]
; %bb.570:
	v_cmp_ne_u32_e32 vcc, 0, v107
	v_cndmask_b32_e32 v107, 28, v107, vcc
; %bb.571:
	s_andn2_saveexec_b64 s[0:1], s[0:1]
	s_cbranch_execz .LBB64_577
; %bb.572:
	v_cmp_ngt_f64_e64 s[18:19], |v[121:122]|, |v[123:124]|
	s_and_saveexec_b64 s[20:21], s[18:19]
	s_xor_b64 s[18:19], exec, s[20:21]
	s_cbranch_execz .LBB64_574
; %bb.573:
	v_div_scale_f64 v[110:111], s[20:21], v[123:124], v[123:124], v[121:122]
	v_rcp_f64_e32 v[112:113], v[110:111]
	v_fma_f64 v[114:115], -v[110:111], v[112:113], 1.0
	v_fma_f64 v[112:113], v[112:113], v[114:115], v[112:113]
	v_div_scale_f64 v[114:115], vcc, v[121:122], v[123:124], v[121:122]
	v_fma_f64 v[116:117], -v[110:111], v[112:113], 1.0
	v_fma_f64 v[112:113], v[112:113], v[116:117], v[112:113]
	v_mul_f64 v[116:117], v[114:115], v[112:113]
	v_fma_f64 v[110:111], -v[110:111], v[116:117], v[114:115]
	v_div_fmas_f64 v[110:111], v[110:111], v[112:113], v[116:117]
	v_div_fixup_f64 v[110:111], v[110:111], v[123:124], v[121:122]
	v_fma_f64 v[112:113], v[121:122], v[110:111], v[123:124]
	v_div_scale_f64 v[114:115], s[20:21], v[112:113], v[112:113], 1.0
	v_div_scale_f64 v[120:121], vcc, 1.0, v[112:113], 1.0
	v_rcp_f64_e32 v[116:117], v[114:115]
	v_fma_f64 v[118:119], -v[114:115], v[116:117], 1.0
	v_fma_f64 v[116:117], v[116:117], v[118:119], v[116:117]
	v_fma_f64 v[118:119], -v[114:115], v[116:117], 1.0
	v_fma_f64 v[116:117], v[116:117], v[118:119], v[116:117]
	v_mul_f64 v[118:119], v[120:121], v[116:117]
	v_fma_f64 v[114:115], -v[114:115], v[118:119], v[120:121]
	v_div_fmas_f64 v[114:115], v[114:115], v[116:117], v[118:119]
	v_div_fixup_f64 v[123:124], v[114:115], v[112:113], 1.0
	v_mul_f64 v[121:122], v[110:111], v[123:124]
	v_xor_b32_e32 v124, 0x80000000, v124
.LBB64_574:
	s_andn2_saveexec_b64 s[18:19], s[18:19]
	s_cbranch_execz .LBB64_576
; %bb.575:
	v_div_scale_f64 v[110:111], s[20:21], v[121:122], v[121:122], v[123:124]
	v_rcp_f64_e32 v[112:113], v[110:111]
	v_fma_f64 v[114:115], -v[110:111], v[112:113], 1.0
	v_fma_f64 v[112:113], v[112:113], v[114:115], v[112:113]
	v_div_scale_f64 v[114:115], vcc, v[123:124], v[121:122], v[123:124]
	v_fma_f64 v[116:117], -v[110:111], v[112:113], 1.0
	v_fma_f64 v[112:113], v[112:113], v[116:117], v[112:113]
	v_mul_f64 v[116:117], v[114:115], v[112:113]
	v_fma_f64 v[110:111], -v[110:111], v[116:117], v[114:115]
	v_div_fmas_f64 v[110:111], v[110:111], v[112:113], v[116:117]
	v_div_fixup_f64 v[110:111], v[110:111], v[121:122], v[123:124]
	v_fma_f64 v[112:113], v[123:124], v[110:111], v[121:122]
	v_div_scale_f64 v[114:115], s[20:21], v[112:113], v[112:113], 1.0
	v_div_scale_f64 v[120:121], vcc, 1.0, v[112:113], 1.0
	v_rcp_f64_e32 v[116:117], v[114:115]
	v_fma_f64 v[118:119], -v[114:115], v[116:117], 1.0
	v_fma_f64 v[116:117], v[116:117], v[118:119], v[116:117]
	v_fma_f64 v[118:119], -v[114:115], v[116:117], 1.0
	v_fma_f64 v[116:117], v[116:117], v[118:119], v[116:117]
	v_mul_f64 v[118:119], v[120:121], v[116:117]
	v_fma_f64 v[114:115], -v[114:115], v[118:119], v[120:121]
	v_div_fmas_f64 v[114:115], v[114:115], v[116:117], v[118:119]
	v_div_fixup_f64 v[121:122], v[114:115], v[112:113], 1.0
	v_mul_f64 v[123:124], v[110:111], -v[121:122]
.LBB64_576:
	s_or_b64 exec, exec, s[18:19]
.LBB64_577:
	s_or_b64 exec, exec, s[0:1]
	v_cmp_ne_u32_e32 vcc, v108, v109
	s_and_saveexec_b64 s[0:1], vcc
	s_xor_b64 s[0:1], exec, s[0:1]
	s_cbranch_execz .LBB64_583
; %bb.578:
	v_cmp_eq_u32_e32 vcc, 27, v108
	s_and_saveexec_b64 s[18:19], vcc
	s_cbranch_execz .LBB64_582
; %bb.579:
	v_cmp_ne_u32_e32 vcc, 27, v109
	s_xor_b64 s[20:21], s[6:7], -1
	s_and_b64 s[22:23], s[20:21], vcc
	s_and_saveexec_b64 s[20:21], s[22:23]
	s_cbranch_execz .LBB64_581
; %bb.580:
	buffer_load_dword v112, off, s[24:27], 0 offset:80 ; 4-byte Folded Reload
	buffer_load_dword v113, off, s[24:27], 0 offset:84 ; 4-byte Folded Reload
	v_ashrrev_i32_e32 v110, 31, v109
	v_lshlrev_b64 v[110:111], 2, v[109:110]
	s_waitcnt vmcnt(1)
	v_add_co_u32_e32 v110, vcc, v112, v110
	s_waitcnt vmcnt(0)
	v_addc_co_u32_e32 v111, vcc, v113, v111, vcc
	global_load_dword v0, v[110:111], off
	global_load_dword v108, v[112:113], off offset:108
	s_waitcnt vmcnt(1)
	global_store_dword v[112:113], v0, off offset:108
	s_waitcnt vmcnt(1)
	global_store_dword v[110:111], v108, off
.LBB64_581:
	s_or_b64 exec, exec, s[20:21]
	v_mov_b32_e32 v108, v109
	v_mov_b32_e32 v0, v109
.LBB64_582:
	s_or_b64 exec, exec, s[18:19]
.LBB64_583:
	s_andn2_saveexec_b64 s[0:1], s[0:1]
	s_cbranch_execz .LBB64_585
; %bb.584:
	v_mov_b32_e32 v108, 27
	ds_write2_b64 v106, v[13:14], v[15:16] offset0:56 offset1:57
	ds_write2_b64 v106, v[9:10], v[11:12] offset0:58 offset1:59
	;; [unrolled: 1-line block ×5, first 2 shown]
.LBB64_585:
	s_or_b64 exec, exec, s[0:1]
	v_cmp_lt_i32_e32 vcc, 27, v108
	s_waitcnt vmcnt(0) lgkmcnt(0)
	s_barrier
	s_and_saveexec_b64 s[0:1], vcc
	s_cbranch_execz .LBB64_587
; %bb.586:
	v_mul_f64 v[109:110], v[121:122], v[19:20]
	v_mul_f64 v[19:20], v[123:124], v[19:20]
	v_fma_f64 v[113:114], v[123:124], v[17:18], v[109:110]
	ds_read2_b64 v[109:112], v106 offset0:56 offset1:57
	v_fma_f64 v[17:18], v[121:122], v[17:18], -v[19:20]
	s_waitcnt lgkmcnt(0)
	v_mul_f64 v[19:20], v[111:112], v[113:114]
	v_fma_f64 v[19:20], v[109:110], v[17:18], -v[19:20]
	v_mul_f64 v[109:110], v[109:110], v[113:114]
	v_add_f64 v[13:14], v[13:14], -v[19:20]
	v_fma_f64 v[109:110], v[111:112], v[17:18], v[109:110]
	v_add_f64 v[15:16], v[15:16], -v[109:110]
	ds_read2_b64 v[109:112], v106 offset0:58 offset1:59
	s_waitcnt lgkmcnt(0)
	v_mul_f64 v[19:20], v[111:112], v[113:114]
	v_fma_f64 v[19:20], v[109:110], v[17:18], -v[19:20]
	v_mul_f64 v[109:110], v[109:110], v[113:114]
	v_add_f64 v[9:10], v[9:10], -v[19:20]
	v_fma_f64 v[109:110], v[111:112], v[17:18], v[109:110]
	v_add_f64 v[11:12], v[11:12], -v[109:110]
	ds_read2_b64 v[109:112], v106 offset0:60 offset1:61
	;; [unrolled: 8-line block ×4, first 2 shown]
	s_waitcnt lgkmcnt(0)
	v_mul_f64 v[19:20], v[111:112], v[113:114]
	v_fma_f64 v[19:20], v[109:110], v[17:18], -v[19:20]
	v_mul_f64 v[109:110], v[109:110], v[113:114]
	v_add_f64 v[89:90], v[89:90], -v[19:20]
	v_fma_f64 v[109:110], v[111:112], v[17:18], v[109:110]
	v_mov_b32_e32 v19, v113
	v_mov_b32_e32 v20, v114
	v_add_f64 v[91:92], v[91:92], -v[109:110]
.LBB64_587:
	s_or_b64 exec, exec, s[0:1]
	v_lshl_add_u32 v109, v108, 4, v106
	s_barrier
	ds_write2_b64 v109, v[13:14], v[15:16] offset1:1
	s_waitcnt lgkmcnt(0)
	s_barrier
	ds_read2_b64 v[121:124], v106 offset0:56 offset1:57
	s_cmp_lt_i32 s3, 30
	v_mov_b32_e32 v109, 28
	s_cbranch_scc1 .LBB64_590
; %bb.588:
	v_add_u32_e32 v110, 0x1d0, v106
	s_mov_b32 s0, 29
	v_mov_b32_e32 v109, 28
.LBB64_589:                             ; =>This Inner Loop Header: Depth=1
	s_waitcnt lgkmcnt(0)
	v_cmp_gt_f64_e32 vcc, 0, v[121:122]
	v_xor_b32_e32 v115, 0x80000000, v122
	ds_read2_b64 v[111:114], v110 offset1:1
	v_xor_b32_e32 v117, 0x80000000, v124
	v_add_u32_e32 v110, 16, v110
	s_waitcnt lgkmcnt(0)
	v_xor_b32_e32 v119, 0x80000000, v114
	v_cndmask_b32_e32 v116, v122, v115, vcc
	v_cmp_gt_f64_e32 vcc, 0, v[123:124]
	v_mov_b32_e32 v115, v121
	v_cndmask_b32_e32 v118, v124, v117, vcc
	v_cmp_gt_f64_e32 vcc, 0, v[111:112]
	v_mov_b32_e32 v117, v123
	v_add_f64 v[115:116], v[115:116], v[117:118]
	v_xor_b32_e32 v117, 0x80000000, v112
	v_cndmask_b32_e32 v118, v112, v117, vcc
	v_cmp_gt_f64_e32 vcc, 0, v[113:114]
	v_mov_b32_e32 v117, v111
	v_cndmask_b32_e32 v120, v114, v119, vcc
	v_mov_b32_e32 v119, v113
	v_add_f64 v[117:118], v[117:118], v[119:120]
	v_cmp_lt_f64_e32 vcc, v[115:116], v[117:118]
	v_cndmask_b32_e32 v121, v121, v111, vcc
	v_mov_b32_e32 v111, s0
	s_add_i32 s0, s0, 1
	v_cndmask_b32_e32 v122, v122, v112, vcc
	v_cndmask_b32_e32 v124, v124, v114, vcc
	;; [unrolled: 1-line block ×4, first 2 shown]
	s_cmp_lg_u32 s3, s0
	s_cbranch_scc1 .LBB64_589
.LBB64_590:
	s_waitcnt lgkmcnt(0)
	v_cmp_eq_f64_e32 vcc, 0, v[121:122]
	v_cmp_eq_f64_e64 s[0:1], 0, v[123:124]
	s_and_b64 s[0:1], vcc, s[0:1]
	s_and_saveexec_b64 s[18:19], s[0:1]
	s_xor_b64 s[0:1], exec, s[18:19]
; %bb.591:
	v_cmp_ne_u32_e32 vcc, 0, v107
	v_cndmask_b32_e32 v107, 29, v107, vcc
; %bb.592:
	s_andn2_saveexec_b64 s[0:1], s[0:1]
	s_cbranch_execz .LBB64_598
; %bb.593:
	v_cmp_ngt_f64_e64 s[18:19], |v[121:122]|, |v[123:124]|
	s_and_saveexec_b64 s[20:21], s[18:19]
	s_xor_b64 s[18:19], exec, s[20:21]
	s_cbranch_execz .LBB64_595
; %bb.594:
	v_div_scale_f64 v[110:111], s[20:21], v[123:124], v[123:124], v[121:122]
	v_rcp_f64_e32 v[112:113], v[110:111]
	v_fma_f64 v[114:115], -v[110:111], v[112:113], 1.0
	v_fma_f64 v[112:113], v[112:113], v[114:115], v[112:113]
	v_div_scale_f64 v[114:115], vcc, v[121:122], v[123:124], v[121:122]
	v_fma_f64 v[116:117], -v[110:111], v[112:113], 1.0
	v_fma_f64 v[112:113], v[112:113], v[116:117], v[112:113]
	v_mul_f64 v[116:117], v[114:115], v[112:113]
	v_fma_f64 v[110:111], -v[110:111], v[116:117], v[114:115]
	v_div_fmas_f64 v[110:111], v[110:111], v[112:113], v[116:117]
	v_div_fixup_f64 v[110:111], v[110:111], v[123:124], v[121:122]
	v_fma_f64 v[112:113], v[121:122], v[110:111], v[123:124]
	v_div_scale_f64 v[114:115], s[20:21], v[112:113], v[112:113], 1.0
	v_div_scale_f64 v[120:121], vcc, 1.0, v[112:113], 1.0
	v_rcp_f64_e32 v[116:117], v[114:115]
	v_fma_f64 v[118:119], -v[114:115], v[116:117], 1.0
	v_fma_f64 v[116:117], v[116:117], v[118:119], v[116:117]
	v_fma_f64 v[118:119], -v[114:115], v[116:117], 1.0
	v_fma_f64 v[116:117], v[116:117], v[118:119], v[116:117]
	v_mul_f64 v[118:119], v[120:121], v[116:117]
	v_fma_f64 v[114:115], -v[114:115], v[118:119], v[120:121]
	v_div_fmas_f64 v[114:115], v[114:115], v[116:117], v[118:119]
	v_div_fixup_f64 v[123:124], v[114:115], v[112:113], 1.0
	v_mul_f64 v[121:122], v[110:111], v[123:124]
	v_xor_b32_e32 v124, 0x80000000, v124
.LBB64_595:
	s_andn2_saveexec_b64 s[18:19], s[18:19]
	s_cbranch_execz .LBB64_597
; %bb.596:
	v_div_scale_f64 v[110:111], s[20:21], v[121:122], v[121:122], v[123:124]
	v_rcp_f64_e32 v[112:113], v[110:111]
	v_fma_f64 v[114:115], -v[110:111], v[112:113], 1.0
	v_fma_f64 v[112:113], v[112:113], v[114:115], v[112:113]
	v_div_scale_f64 v[114:115], vcc, v[123:124], v[121:122], v[123:124]
	v_fma_f64 v[116:117], -v[110:111], v[112:113], 1.0
	v_fma_f64 v[112:113], v[112:113], v[116:117], v[112:113]
	v_mul_f64 v[116:117], v[114:115], v[112:113]
	v_fma_f64 v[110:111], -v[110:111], v[116:117], v[114:115]
	v_div_fmas_f64 v[110:111], v[110:111], v[112:113], v[116:117]
	v_div_fixup_f64 v[110:111], v[110:111], v[121:122], v[123:124]
	v_fma_f64 v[112:113], v[123:124], v[110:111], v[121:122]
	v_div_scale_f64 v[114:115], s[20:21], v[112:113], v[112:113], 1.0
	v_div_scale_f64 v[120:121], vcc, 1.0, v[112:113], 1.0
	v_rcp_f64_e32 v[116:117], v[114:115]
	v_fma_f64 v[118:119], -v[114:115], v[116:117], 1.0
	v_fma_f64 v[116:117], v[116:117], v[118:119], v[116:117]
	v_fma_f64 v[118:119], -v[114:115], v[116:117], 1.0
	v_fma_f64 v[116:117], v[116:117], v[118:119], v[116:117]
	v_mul_f64 v[118:119], v[120:121], v[116:117]
	v_fma_f64 v[114:115], -v[114:115], v[118:119], v[120:121]
	v_div_fmas_f64 v[114:115], v[114:115], v[116:117], v[118:119]
	v_div_fixup_f64 v[121:122], v[114:115], v[112:113], 1.0
	v_mul_f64 v[123:124], v[110:111], -v[121:122]
.LBB64_597:
	s_or_b64 exec, exec, s[18:19]
.LBB64_598:
	s_or_b64 exec, exec, s[0:1]
	v_cmp_ne_u32_e32 vcc, v108, v109
	s_and_saveexec_b64 s[0:1], vcc
	s_xor_b64 s[0:1], exec, s[0:1]
	s_cbranch_execz .LBB64_604
; %bb.599:
	v_cmp_eq_u32_e32 vcc, 28, v108
	s_and_saveexec_b64 s[18:19], vcc
	s_cbranch_execz .LBB64_603
; %bb.600:
	v_cmp_ne_u32_e32 vcc, 28, v109
	s_xor_b64 s[20:21], s[6:7], -1
	s_and_b64 s[22:23], s[20:21], vcc
	s_and_saveexec_b64 s[20:21], s[22:23]
	s_cbranch_execz .LBB64_602
; %bb.601:
	buffer_load_dword v112, off, s[24:27], 0 offset:80 ; 4-byte Folded Reload
	buffer_load_dword v113, off, s[24:27], 0 offset:84 ; 4-byte Folded Reload
	v_ashrrev_i32_e32 v110, 31, v109
	v_lshlrev_b64 v[110:111], 2, v[109:110]
	s_waitcnt vmcnt(1)
	v_add_co_u32_e32 v110, vcc, v112, v110
	s_waitcnt vmcnt(0)
	v_addc_co_u32_e32 v111, vcc, v113, v111, vcc
	global_load_dword v0, v[110:111], off
	global_load_dword v108, v[112:113], off offset:112
	s_waitcnt vmcnt(1)
	global_store_dword v[112:113], v0, off offset:112
	s_waitcnt vmcnt(1)
	global_store_dword v[110:111], v108, off
.LBB64_602:
	s_or_b64 exec, exec, s[20:21]
	v_mov_b32_e32 v108, v109
	v_mov_b32_e32 v0, v109
.LBB64_603:
	s_or_b64 exec, exec, s[18:19]
.LBB64_604:
	s_andn2_saveexec_b64 s[0:1], s[0:1]
	s_cbranch_execz .LBB64_606
; %bb.605:
	v_mov_b32_e32 v108, 28
	ds_write2_b64 v106, v[9:10], v[11:12] offset0:58 offset1:59
	ds_write2_b64 v106, v[5:6], v[7:8] offset0:60 offset1:61
	;; [unrolled: 1-line block ×4, first 2 shown]
.LBB64_606:
	s_or_b64 exec, exec, s[0:1]
	v_cmp_lt_i32_e32 vcc, 28, v108
	s_waitcnt vmcnt(0) lgkmcnt(0)
	s_barrier
	s_and_saveexec_b64 s[0:1], vcc
	s_cbranch_execz .LBB64_608
; %bb.607:
	v_mul_f64 v[109:110], v[121:122], v[15:16]
	v_mul_f64 v[15:16], v[123:124], v[15:16]
	v_fma_f64 v[113:114], v[123:124], v[13:14], v[109:110]
	ds_read2_b64 v[109:112], v106 offset0:58 offset1:59
	v_fma_f64 v[13:14], v[121:122], v[13:14], -v[15:16]
	s_waitcnt lgkmcnt(0)
	v_mul_f64 v[15:16], v[111:112], v[113:114]
	v_fma_f64 v[15:16], v[109:110], v[13:14], -v[15:16]
	v_mul_f64 v[109:110], v[109:110], v[113:114]
	v_add_f64 v[9:10], v[9:10], -v[15:16]
	v_fma_f64 v[109:110], v[111:112], v[13:14], v[109:110]
	v_add_f64 v[11:12], v[11:12], -v[109:110]
	ds_read2_b64 v[109:112], v106 offset0:60 offset1:61
	s_waitcnt lgkmcnt(0)
	v_mul_f64 v[15:16], v[111:112], v[113:114]
	v_fma_f64 v[15:16], v[109:110], v[13:14], -v[15:16]
	v_mul_f64 v[109:110], v[109:110], v[113:114]
	v_add_f64 v[5:6], v[5:6], -v[15:16]
	v_fma_f64 v[109:110], v[111:112], v[13:14], v[109:110]
	v_add_f64 v[7:8], v[7:8], -v[109:110]
	ds_read2_b64 v[109:112], v106 offset0:62 offset1:63
	;; [unrolled: 8-line block ×3, first 2 shown]
	s_waitcnt lgkmcnt(0)
	v_mul_f64 v[15:16], v[111:112], v[113:114]
	v_fma_f64 v[15:16], v[109:110], v[13:14], -v[15:16]
	v_mul_f64 v[109:110], v[109:110], v[113:114]
	v_add_f64 v[89:90], v[89:90], -v[15:16]
	v_fma_f64 v[109:110], v[111:112], v[13:14], v[109:110]
	v_mov_b32_e32 v15, v113
	v_mov_b32_e32 v16, v114
	v_add_f64 v[91:92], v[91:92], -v[109:110]
.LBB64_608:
	s_or_b64 exec, exec, s[0:1]
	v_lshl_add_u32 v109, v108, 4, v106
	s_barrier
	ds_write2_b64 v109, v[9:10], v[11:12] offset1:1
	s_waitcnt lgkmcnt(0)
	s_barrier
	ds_read2_b64 v[121:124], v106 offset0:58 offset1:59
	s_cmp_lt_i32 s3, 31
	v_mov_b32_e32 v109, 29
	s_cbranch_scc1 .LBB64_611
; %bb.609:
	v_add_u32_e32 v110, 0x1e0, v106
	s_mov_b32 s0, 30
	v_mov_b32_e32 v109, 29
.LBB64_610:                             ; =>This Inner Loop Header: Depth=1
	s_waitcnt lgkmcnt(0)
	v_cmp_gt_f64_e32 vcc, 0, v[121:122]
	v_xor_b32_e32 v115, 0x80000000, v122
	ds_read2_b64 v[111:114], v110 offset1:1
	v_xor_b32_e32 v117, 0x80000000, v124
	v_add_u32_e32 v110, 16, v110
	s_waitcnt lgkmcnt(0)
	v_xor_b32_e32 v119, 0x80000000, v114
	v_cndmask_b32_e32 v116, v122, v115, vcc
	v_cmp_gt_f64_e32 vcc, 0, v[123:124]
	v_mov_b32_e32 v115, v121
	v_cndmask_b32_e32 v118, v124, v117, vcc
	v_cmp_gt_f64_e32 vcc, 0, v[111:112]
	v_mov_b32_e32 v117, v123
	v_add_f64 v[115:116], v[115:116], v[117:118]
	v_xor_b32_e32 v117, 0x80000000, v112
	v_cndmask_b32_e32 v118, v112, v117, vcc
	v_cmp_gt_f64_e32 vcc, 0, v[113:114]
	v_mov_b32_e32 v117, v111
	v_cndmask_b32_e32 v120, v114, v119, vcc
	v_mov_b32_e32 v119, v113
	v_add_f64 v[117:118], v[117:118], v[119:120]
	v_cmp_lt_f64_e32 vcc, v[115:116], v[117:118]
	v_cndmask_b32_e32 v121, v121, v111, vcc
	v_mov_b32_e32 v111, s0
	s_add_i32 s0, s0, 1
	v_cndmask_b32_e32 v122, v122, v112, vcc
	v_cndmask_b32_e32 v124, v124, v114, vcc
	;; [unrolled: 1-line block ×4, first 2 shown]
	s_cmp_lg_u32 s3, s0
	s_cbranch_scc1 .LBB64_610
.LBB64_611:
	s_waitcnt lgkmcnt(0)
	v_cmp_eq_f64_e32 vcc, 0, v[121:122]
	v_cmp_eq_f64_e64 s[0:1], 0, v[123:124]
	s_and_b64 s[0:1], vcc, s[0:1]
	s_and_saveexec_b64 s[18:19], s[0:1]
	s_xor_b64 s[0:1], exec, s[18:19]
; %bb.612:
	v_cmp_ne_u32_e32 vcc, 0, v107
	v_cndmask_b32_e32 v107, 30, v107, vcc
; %bb.613:
	s_andn2_saveexec_b64 s[0:1], s[0:1]
	s_cbranch_execz .LBB64_619
; %bb.614:
	v_cmp_ngt_f64_e64 s[18:19], |v[121:122]|, |v[123:124]|
	s_and_saveexec_b64 s[20:21], s[18:19]
	s_xor_b64 s[18:19], exec, s[20:21]
	s_cbranch_execz .LBB64_616
; %bb.615:
	v_div_scale_f64 v[110:111], s[20:21], v[123:124], v[123:124], v[121:122]
	v_rcp_f64_e32 v[112:113], v[110:111]
	v_fma_f64 v[114:115], -v[110:111], v[112:113], 1.0
	v_fma_f64 v[112:113], v[112:113], v[114:115], v[112:113]
	v_div_scale_f64 v[114:115], vcc, v[121:122], v[123:124], v[121:122]
	v_fma_f64 v[116:117], -v[110:111], v[112:113], 1.0
	v_fma_f64 v[112:113], v[112:113], v[116:117], v[112:113]
	v_mul_f64 v[116:117], v[114:115], v[112:113]
	v_fma_f64 v[110:111], -v[110:111], v[116:117], v[114:115]
	v_div_fmas_f64 v[110:111], v[110:111], v[112:113], v[116:117]
	v_div_fixup_f64 v[110:111], v[110:111], v[123:124], v[121:122]
	v_fma_f64 v[112:113], v[121:122], v[110:111], v[123:124]
	v_div_scale_f64 v[114:115], s[20:21], v[112:113], v[112:113], 1.0
	v_div_scale_f64 v[120:121], vcc, 1.0, v[112:113], 1.0
	v_rcp_f64_e32 v[116:117], v[114:115]
	v_fma_f64 v[118:119], -v[114:115], v[116:117], 1.0
	v_fma_f64 v[116:117], v[116:117], v[118:119], v[116:117]
	v_fma_f64 v[118:119], -v[114:115], v[116:117], 1.0
	v_fma_f64 v[116:117], v[116:117], v[118:119], v[116:117]
	v_mul_f64 v[118:119], v[120:121], v[116:117]
	v_fma_f64 v[114:115], -v[114:115], v[118:119], v[120:121]
	v_div_fmas_f64 v[114:115], v[114:115], v[116:117], v[118:119]
	v_div_fixup_f64 v[123:124], v[114:115], v[112:113], 1.0
	v_mul_f64 v[121:122], v[110:111], v[123:124]
	v_xor_b32_e32 v124, 0x80000000, v124
.LBB64_616:
	s_andn2_saveexec_b64 s[18:19], s[18:19]
	s_cbranch_execz .LBB64_618
; %bb.617:
	v_div_scale_f64 v[110:111], s[20:21], v[121:122], v[121:122], v[123:124]
	v_rcp_f64_e32 v[112:113], v[110:111]
	v_fma_f64 v[114:115], -v[110:111], v[112:113], 1.0
	v_fma_f64 v[112:113], v[112:113], v[114:115], v[112:113]
	v_div_scale_f64 v[114:115], vcc, v[123:124], v[121:122], v[123:124]
	v_fma_f64 v[116:117], -v[110:111], v[112:113], 1.0
	v_fma_f64 v[112:113], v[112:113], v[116:117], v[112:113]
	v_mul_f64 v[116:117], v[114:115], v[112:113]
	v_fma_f64 v[110:111], -v[110:111], v[116:117], v[114:115]
	v_div_fmas_f64 v[110:111], v[110:111], v[112:113], v[116:117]
	v_div_fixup_f64 v[110:111], v[110:111], v[121:122], v[123:124]
	v_fma_f64 v[112:113], v[123:124], v[110:111], v[121:122]
	v_div_scale_f64 v[114:115], s[20:21], v[112:113], v[112:113], 1.0
	v_div_scale_f64 v[120:121], vcc, 1.0, v[112:113], 1.0
	v_rcp_f64_e32 v[116:117], v[114:115]
	v_fma_f64 v[118:119], -v[114:115], v[116:117], 1.0
	v_fma_f64 v[116:117], v[116:117], v[118:119], v[116:117]
	v_fma_f64 v[118:119], -v[114:115], v[116:117], 1.0
	v_fma_f64 v[116:117], v[116:117], v[118:119], v[116:117]
	v_mul_f64 v[118:119], v[120:121], v[116:117]
	v_fma_f64 v[114:115], -v[114:115], v[118:119], v[120:121]
	v_div_fmas_f64 v[114:115], v[114:115], v[116:117], v[118:119]
	v_div_fixup_f64 v[121:122], v[114:115], v[112:113], 1.0
	v_mul_f64 v[123:124], v[110:111], -v[121:122]
.LBB64_618:
	s_or_b64 exec, exec, s[18:19]
.LBB64_619:
	s_or_b64 exec, exec, s[0:1]
	v_cmp_ne_u32_e32 vcc, v108, v109
	s_and_saveexec_b64 s[0:1], vcc
	s_xor_b64 s[0:1], exec, s[0:1]
	s_cbranch_execz .LBB64_625
; %bb.620:
	v_cmp_eq_u32_e32 vcc, 29, v108
	s_and_saveexec_b64 s[18:19], vcc
	s_cbranch_execz .LBB64_624
; %bb.621:
	v_cmp_ne_u32_e32 vcc, 29, v109
	s_xor_b64 s[20:21], s[6:7], -1
	s_and_b64 s[22:23], s[20:21], vcc
	s_and_saveexec_b64 s[20:21], s[22:23]
	s_cbranch_execz .LBB64_623
; %bb.622:
	buffer_load_dword v112, off, s[24:27], 0 offset:80 ; 4-byte Folded Reload
	buffer_load_dword v113, off, s[24:27], 0 offset:84 ; 4-byte Folded Reload
	v_ashrrev_i32_e32 v110, 31, v109
	v_lshlrev_b64 v[110:111], 2, v[109:110]
	s_waitcnt vmcnt(1)
	v_add_co_u32_e32 v110, vcc, v112, v110
	s_waitcnt vmcnt(0)
	v_addc_co_u32_e32 v111, vcc, v113, v111, vcc
	global_load_dword v0, v[110:111], off
	global_load_dword v108, v[112:113], off offset:116
	s_waitcnt vmcnt(1)
	global_store_dword v[112:113], v0, off offset:116
	s_waitcnt vmcnt(1)
	global_store_dword v[110:111], v108, off
.LBB64_623:
	s_or_b64 exec, exec, s[20:21]
	v_mov_b32_e32 v108, v109
	v_mov_b32_e32 v0, v109
.LBB64_624:
	s_or_b64 exec, exec, s[18:19]
.LBB64_625:
	s_andn2_saveexec_b64 s[0:1], s[0:1]
	s_cbranch_execz .LBB64_627
; %bb.626:
	v_mov_b32_e32 v108, 29
	ds_write2_b64 v106, v[5:6], v[7:8] offset0:60 offset1:61
	ds_write2_b64 v106, v[1:2], v[3:4] offset0:62 offset1:63
	;; [unrolled: 1-line block ×3, first 2 shown]
.LBB64_627:
	s_or_b64 exec, exec, s[0:1]
	v_cmp_lt_i32_e32 vcc, 29, v108
	s_waitcnt vmcnt(0) lgkmcnt(0)
	s_barrier
	s_and_saveexec_b64 s[0:1], vcc
	s_cbranch_execz .LBB64_629
; %bb.628:
	v_mul_f64 v[109:110], v[121:122], v[11:12]
	v_mul_f64 v[11:12], v[123:124], v[11:12]
	v_fma_f64 v[113:114], v[123:124], v[9:10], v[109:110]
	ds_read2_b64 v[109:112], v106 offset0:60 offset1:61
	v_fma_f64 v[9:10], v[121:122], v[9:10], -v[11:12]
	s_waitcnt lgkmcnt(0)
	v_mul_f64 v[11:12], v[111:112], v[113:114]
	v_fma_f64 v[11:12], v[109:110], v[9:10], -v[11:12]
	v_mul_f64 v[109:110], v[109:110], v[113:114]
	v_add_f64 v[5:6], v[5:6], -v[11:12]
	v_fma_f64 v[109:110], v[111:112], v[9:10], v[109:110]
	v_add_f64 v[7:8], v[7:8], -v[109:110]
	ds_read2_b64 v[109:112], v106 offset0:62 offset1:63
	s_waitcnt lgkmcnt(0)
	v_mul_f64 v[11:12], v[111:112], v[113:114]
	v_fma_f64 v[11:12], v[109:110], v[9:10], -v[11:12]
	v_mul_f64 v[109:110], v[109:110], v[113:114]
	v_add_f64 v[1:2], v[1:2], -v[11:12]
	v_fma_f64 v[109:110], v[111:112], v[9:10], v[109:110]
	v_add_f64 v[3:4], v[3:4], -v[109:110]
	ds_read2_b64 v[109:112], v106 offset0:64 offset1:65
	s_waitcnt lgkmcnt(0)
	v_mul_f64 v[11:12], v[111:112], v[113:114]
	v_fma_f64 v[11:12], v[109:110], v[9:10], -v[11:12]
	v_mul_f64 v[109:110], v[109:110], v[113:114]
	v_add_f64 v[89:90], v[89:90], -v[11:12]
	v_fma_f64 v[109:110], v[111:112], v[9:10], v[109:110]
	v_mov_b32_e32 v11, v113
	v_mov_b32_e32 v12, v114
	v_add_f64 v[91:92], v[91:92], -v[109:110]
.LBB64_629:
	s_or_b64 exec, exec, s[0:1]
	v_lshl_add_u32 v109, v108, 4, v106
	s_barrier
	ds_write2_b64 v109, v[5:6], v[7:8] offset1:1
	s_waitcnt lgkmcnt(0)
	s_barrier
	ds_read2_b64 v[121:124], v106 offset0:60 offset1:61
	s_cmp_lt_i32 s3, 32
	v_mov_b32_e32 v109, 30
	s_cbranch_scc1 .LBB64_632
; %bb.630:
	v_add_u32_e32 v110, 0x1f0, v106
	s_mov_b32 s0, 31
	v_mov_b32_e32 v109, 30
.LBB64_631:                             ; =>This Inner Loop Header: Depth=1
	s_waitcnt lgkmcnt(0)
	v_cmp_gt_f64_e32 vcc, 0, v[121:122]
	v_xor_b32_e32 v115, 0x80000000, v122
	ds_read2_b64 v[111:114], v110 offset1:1
	v_xor_b32_e32 v117, 0x80000000, v124
	v_add_u32_e32 v110, 16, v110
	s_waitcnt lgkmcnt(0)
	v_xor_b32_e32 v119, 0x80000000, v114
	v_cndmask_b32_e32 v116, v122, v115, vcc
	v_cmp_gt_f64_e32 vcc, 0, v[123:124]
	v_mov_b32_e32 v115, v121
	v_cndmask_b32_e32 v118, v124, v117, vcc
	v_cmp_gt_f64_e32 vcc, 0, v[111:112]
	v_mov_b32_e32 v117, v123
	v_add_f64 v[115:116], v[115:116], v[117:118]
	v_xor_b32_e32 v117, 0x80000000, v112
	v_cndmask_b32_e32 v118, v112, v117, vcc
	v_cmp_gt_f64_e32 vcc, 0, v[113:114]
	v_mov_b32_e32 v117, v111
	v_cndmask_b32_e32 v120, v114, v119, vcc
	v_mov_b32_e32 v119, v113
	v_add_f64 v[117:118], v[117:118], v[119:120]
	v_cmp_lt_f64_e32 vcc, v[115:116], v[117:118]
	v_cndmask_b32_e32 v121, v121, v111, vcc
	v_mov_b32_e32 v111, s0
	s_add_i32 s0, s0, 1
	v_cndmask_b32_e32 v122, v122, v112, vcc
	v_cndmask_b32_e32 v124, v124, v114, vcc
	;; [unrolled: 1-line block ×4, first 2 shown]
	s_cmp_lg_u32 s3, s0
	s_cbranch_scc1 .LBB64_631
.LBB64_632:
	s_waitcnt lgkmcnt(0)
	v_cmp_eq_f64_e32 vcc, 0, v[121:122]
	v_cmp_eq_f64_e64 s[0:1], 0, v[123:124]
	s_and_b64 s[0:1], vcc, s[0:1]
	s_and_saveexec_b64 s[18:19], s[0:1]
	s_xor_b64 s[0:1], exec, s[18:19]
; %bb.633:
	v_cmp_ne_u32_e32 vcc, 0, v107
	v_cndmask_b32_e32 v107, 31, v107, vcc
; %bb.634:
	s_andn2_saveexec_b64 s[0:1], s[0:1]
	s_cbranch_execz .LBB64_640
; %bb.635:
	v_cmp_ngt_f64_e64 s[18:19], |v[121:122]|, |v[123:124]|
	s_and_saveexec_b64 s[20:21], s[18:19]
	s_xor_b64 s[18:19], exec, s[20:21]
	s_cbranch_execz .LBB64_637
; %bb.636:
	v_div_scale_f64 v[110:111], s[20:21], v[123:124], v[123:124], v[121:122]
	v_rcp_f64_e32 v[112:113], v[110:111]
	v_fma_f64 v[114:115], -v[110:111], v[112:113], 1.0
	v_fma_f64 v[112:113], v[112:113], v[114:115], v[112:113]
	v_div_scale_f64 v[114:115], vcc, v[121:122], v[123:124], v[121:122]
	v_fma_f64 v[116:117], -v[110:111], v[112:113], 1.0
	v_fma_f64 v[112:113], v[112:113], v[116:117], v[112:113]
	v_mul_f64 v[116:117], v[114:115], v[112:113]
	v_fma_f64 v[110:111], -v[110:111], v[116:117], v[114:115]
	v_div_fmas_f64 v[110:111], v[110:111], v[112:113], v[116:117]
	v_div_fixup_f64 v[110:111], v[110:111], v[123:124], v[121:122]
	v_fma_f64 v[112:113], v[121:122], v[110:111], v[123:124]
	v_div_scale_f64 v[114:115], s[20:21], v[112:113], v[112:113], 1.0
	v_div_scale_f64 v[120:121], vcc, 1.0, v[112:113], 1.0
	v_rcp_f64_e32 v[116:117], v[114:115]
	v_fma_f64 v[118:119], -v[114:115], v[116:117], 1.0
	v_fma_f64 v[116:117], v[116:117], v[118:119], v[116:117]
	v_fma_f64 v[118:119], -v[114:115], v[116:117], 1.0
	v_fma_f64 v[116:117], v[116:117], v[118:119], v[116:117]
	v_mul_f64 v[118:119], v[120:121], v[116:117]
	v_fma_f64 v[114:115], -v[114:115], v[118:119], v[120:121]
	v_div_fmas_f64 v[114:115], v[114:115], v[116:117], v[118:119]
	v_div_fixup_f64 v[123:124], v[114:115], v[112:113], 1.0
	v_mul_f64 v[121:122], v[110:111], v[123:124]
	v_xor_b32_e32 v124, 0x80000000, v124
.LBB64_637:
	s_andn2_saveexec_b64 s[18:19], s[18:19]
	s_cbranch_execz .LBB64_639
; %bb.638:
	v_div_scale_f64 v[110:111], s[20:21], v[121:122], v[121:122], v[123:124]
	v_rcp_f64_e32 v[112:113], v[110:111]
	v_fma_f64 v[114:115], -v[110:111], v[112:113], 1.0
	v_fma_f64 v[112:113], v[112:113], v[114:115], v[112:113]
	v_div_scale_f64 v[114:115], vcc, v[123:124], v[121:122], v[123:124]
	v_fma_f64 v[116:117], -v[110:111], v[112:113], 1.0
	v_fma_f64 v[112:113], v[112:113], v[116:117], v[112:113]
	v_mul_f64 v[116:117], v[114:115], v[112:113]
	v_fma_f64 v[110:111], -v[110:111], v[116:117], v[114:115]
	v_div_fmas_f64 v[110:111], v[110:111], v[112:113], v[116:117]
	v_div_fixup_f64 v[110:111], v[110:111], v[121:122], v[123:124]
	v_fma_f64 v[112:113], v[123:124], v[110:111], v[121:122]
	v_div_scale_f64 v[114:115], s[20:21], v[112:113], v[112:113], 1.0
	v_div_scale_f64 v[120:121], vcc, 1.0, v[112:113], 1.0
	v_rcp_f64_e32 v[116:117], v[114:115]
	v_fma_f64 v[118:119], -v[114:115], v[116:117], 1.0
	v_fma_f64 v[116:117], v[116:117], v[118:119], v[116:117]
	v_fma_f64 v[118:119], -v[114:115], v[116:117], 1.0
	v_fma_f64 v[116:117], v[116:117], v[118:119], v[116:117]
	v_mul_f64 v[118:119], v[120:121], v[116:117]
	v_fma_f64 v[114:115], -v[114:115], v[118:119], v[120:121]
	v_div_fmas_f64 v[114:115], v[114:115], v[116:117], v[118:119]
	v_div_fixup_f64 v[121:122], v[114:115], v[112:113], 1.0
	v_mul_f64 v[123:124], v[110:111], -v[121:122]
.LBB64_639:
	s_or_b64 exec, exec, s[18:19]
.LBB64_640:
	s_or_b64 exec, exec, s[0:1]
	v_cmp_ne_u32_e32 vcc, v108, v109
	s_and_saveexec_b64 s[0:1], vcc
	s_xor_b64 s[0:1], exec, s[0:1]
	s_cbranch_execz .LBB64_646
; %bb.641:
	v_cmp_eq_u32_e32 vcc, 30, v108
	s_and_saveexec_b64 s[18:19], vcc
	s_cbranch_execz .LBB64_645
; %bb.642:
	v_cmp_ne_u32_e32 vcc, 30, v109
	s_xor_b64 s[20:21], s[6:7], -1
	s_and_b64 s[22:23], s[20:21], vcc
	s_and_saveexec_b64 s[20:21], s[22:23]
	s_cbranch_execz .LBB64_644
; %bb.643:
	buffer_load_dword v112, off, s[24:27], 0 offset:80 ; 4-byte Folded Reload
	buffer_load_dword v113, off, s[24:27], 0 offset:84 ; 4-byte Folded Reload
	v_ashrrev_i32_e32 v110, 31, v109
	v_lshlrev_b64 v[110:111], 2, v[109:110]
	s_waitcnt vmcnt(1)
	v_add_co_u32_e32 v110, vcc, v112, v110
	s_waitcnt vmcnt(0)
	v_addc_co_u32_e32 v111, vcc, v113, v111, vcc
	global_load_dword v0, v[110:111], off
	global_load_dword v108, v[112:113], off offset:120
	s_waitcnt vmcnt(1)
	global_store_dword v[112:113], v0, off offset:120
	s_waitcnt vmcnt(1)
	global_store_dword v[110:111], v108, off
.LBB64_644:
	s_or_b64 exec, exec, s[20:21]
	v_mov_b32_e32 v108, v109
	v_mov_b32_e32 v0, v109
.LBB64_645:
	s_or_b64 exec, exec, s[18:19]
.LBB64_646:
	s_andn2_saveexec_b64 s[0:1], s[0:1]
	s_cbranch_execz .LBB64_648
; %bb.647:
	v_mov_b32_e32 v108, 30
	ds_write2_b64 v106, v[1:2], v[3:4] offset0:62 offset1:63
	ds_write2_b64 v106, v[89:90], v[91:92] offset0:64 offset1:65
.LBB64_648:
	s_or_b64 exec, exec, s[0:1]
	v_cmp_lt_i32_e32 vcc, 30, v108
	s_waitcnt vmcnt(0) lgkmcnt(0)
	s_barrier
	s_and_saveexec_b64 s[0:1], vcc
	s_cbranch_execz .LBB64_650
; %bb.649:
	v_mul_f64 v[109:110], v[121:122], v[7:8]
	v_mul_f64 v[7:8], v[123:124], v[7:8]
	v_fma_f64 v[113:114], v[123:124], v[5:6], v[109:110]
	ds_read2_b64 v[109:112], v106 offset0:62 offset1:63
	v_fma_f64 v[5:6], v[121:122], v[5:6], -v[7:8]
	s_waitcnt lgkmcnt(0)
	v_mul_f64 v[7:8], v[111:112], v[113:114]
	v_fma_f64 v[7:8], v[109:110], v[5:6], -v[7:8]
	v_mul_f64 v[109:110], v[109:110], v[113:114]
	v_add_f64 v[1:2], v[1:2], -v[7:8]
	v_fma_f64 v[109:110], v[111:112], v[5:6], v[109:110]
	v_add_f64 v[3:4], v[3:4], -v[109:110]
	ds_read2_b64 v[109:112], v106 offset0:64 offset1:65
	s_waitcnt lgkmcnt(0)
	v_mul_f64 v[7:8], v[111:112], v[113:114]
	v_fma_f64 v[7:8], v[109:110], v[5:6], -v[7:8]
	v_mul_f64 v[109:110], v[109:110], v[113:114]
	v_add_f64 v[89:90], v[89:90], -v[7:8]
	v_fma_f64 v[109:110], v[111:112], v[5:6], v[109:110]
	v_mov_b32_e32 v7, v113
	v_mov_b32_e32 v8, v114
	v_add_f64 v[91:92], v[91:92], -v[109:110]
.LBB64_650:
	s_or_b64 exec, exec, s[0:1]
	v_lshl_add_u32 v109, v108, 4, v106
	s_barrier
	ds_write2_b64 v109, v[1:2], v[3:4] offset1:1
	s_waitcnt lgkmcnt(0)
	s_barrier
	ds_read2_b64 v[121:124], v106 offset0:62 offset1:63
	s_cmp_lt_i32 s3, 33
	v_mov_b32_e32 v109, 31
	s_cbranch_scc1 .LBB64_653
; %bb.651:
	v_add_u32_e32 v110, 0x200, v106
	s_mov_b32 s0, 32
	v_mov_b32_e32 v109, 31
.LBB64_652:                             ; =>This Inner Loop Header: Depth=1
	s_waitcnt lgkmcnt(0)
	v_cmp_gt_f64_e32 vcc, 0, v[121:122]
	v_xor_b32_e32 v115, 0x80000000, v122
	ds_read2_b64 v[111:114], v110 offset1:1
	v_xor_b32_e32 v117, 0x80000000, v124
	v_add_u32_e32 v110, 16, v110
	s_waitcnt lgkmcnt(0)
	v_xor_b32_e32 v119, 0x80000000, v114
	v_cndmask_b32_e32 v116, v122, v115, vcc
	v_cmp_gt_f64_e32 vcc, 0, v[123:124]
	v_mov_b32_e32 v115, v121
	v_cndmask_b32_e32 v118, v124, v117, vcc
	v_cmp_gt_f64_e32 vcc, 0, v[111:112]
	v_mov_b32_e32 v117, v123
	v_add_f64 v[115:116], v[115:116], v[117:118]
	v_xor_b32_e32 v117, 0x80000000, v112
	v_cndmask_b32_e32 v118, v112, v117, vcc
	v_cmp_gt_f64_e32 vcc, 0, v[113:114]
	v_mov_b32_e32 v117, v111
	v_cndmask_b32_e32 v120, v114, v119, vcc
	v_mov_b32_e32 v119, v113
	v_add_f64 v[117:118], v[117:118], v[119:120]
	v_cmp_lt_f64_e32 vcc, v[115:116], v[117:118]
	v_cndmask_b32_e32 v121, v121, v111, vcc
	v_mov_b32_e32 v111, s0
	s_add_i32 s0, s0, 1
	v_cndmask_b32_e32 v122, v122, v112, vcc
	v_cndmask_b32_e32 v124, v124, v114, vcc
	;; [unrolled: 1-line block ×4, first 2 shown]
	s_cmp_lg_u32 s3, s0
	s_cbranch_scc1 .LBB64_652
.LBB64_653:
	s_waitcnt lgkmcnt(0)
	v_cmp_eq_f64_e32 vcc, 0, v[121:122]
	v_cmp_eq_f64_e64 s[0:1], 0, v[123:124]
	s_and_b64 s[0:1], vcc, s[0:1]
	s_and_saveexec_b64 s[18:19], s[0:1]
	s_xor_b64 s[0:1], exec, s[18:19]
; %bb.654:
	v_cmp_ne_u32_e32 vcc, 0, v107
	v_cndmask_b32_e32 v107, 32, v107, vcc
; %bb.655:
	s_andn2_saveexec_b64 s[0:1], s[0:1]
	s_cbranch_execz .LBB64_661
; %bb.656:
	v_cmp_ngt_f64_e64 s[18:19], |v[121:122]|, |v[123:124]|
	s_and_saveexec_b64 s[20:21], s[18:19]
	s_xor_b64 s[18:19], exec, s[20:21]
	s_cbranch_execz .LBB64_658
; %bb.657:
	v_div_scale_f64 v[110:111], s[20:21], v[123:124], v[123:124], v[121:122]
	v_rcp_f64_e32 v[112:113], v[110:111]
	v_fma_f64 v[114:115], -v[110:111], v[112:113], 1.0
	v_fma_f64 v[112:113], v[112:113], v[114:115], v[112:113]
	v_div_scale_f64 v[114:115], vcc, v[121:122], v[123:124], v[121:122]
	v_fma_f64 v[116:117], -v[110:111], v[112:113], 1.0
	v_fma_f64 v[112:113], v[112:113], v[116:117], v[112:113]
	v_mul_f64 v[116:117], v[114:115], v[112:113]
	v_fma_f64 v[110:111], -v[110:111], v[116:117], v[114:115]
	v_div_fmas_f64 v[110:111], v[110:111], v[112:113], v[116:117]
	v_div_fixup_f64 v[110:111], v[110:111], v[123:124], v[121:122]
	v_fma_f64 v[112:113], v[121:122], v[110:111], v[123:124]
	v_div_scale_f64 v[114:115], s[20:21], v[112:113], v[112:113], 1.0
	v_div_scale_f64 v[120:121], vcc, 1.0, v[112:113], 1.0
	v_rcp_f64_e32 v[116:117], v[114:115]
	v_fma_f64 v[118:119], -v[114:115], v[116:117], 1.0
	v_fma_f64 v[116:117], v[116:117], v[118:119], v[116:117]
	v_fma_f64 v[118:119], -v[114:115], v[116:117], 1.0
	v_fma_f64 v[116:117], v[116:117], v[118:119], v[116:117]
	v_mul_f64 v[118:119], v[120:121], v[116:117]
	v_fma_f64 v[114:115], -v[114:115], v[118:119], v[120:121]
	v_div_fmas_f64 v[114:115], v[114:115], v[116:117], v[118:119]
	v_div_fixup_f64 v[123:124], v[114:115], v[112:113], 1.0
	v_mul_f64 v[121:122], v[110:111], v[123:124]
	v_xor_b32_e32 v124, 0x80000000, v124
.LBB64_658:
	s_andn2_saveexec_b64 s[18:19], s[18:19]
	s_cbranch_execz .LBB64_660
; %bb.659:
	v_div_scale_f64 v[110:111], s[20:21], v[121:122], v[121:122], v[123:124]
	v_rcp_f64_e32 v[112:113], v[110:111]
	v_fma_f64 v[114:115], -v[110:111], v[112:113], 1.0
	v_fma_f64 v[112:113], v[112:113], v[114:115], v[112:113]
	v_div_scale_f64 v[114:115], vcc, v[123:124], v[121:122], v[123:124]
	v_fma_f64 v[116:117], -v[110:111], v[112:113], 1.0
	v_fma_f64 v[112:113], v[112:113], v[116:117], v[112:113]
	v_mul_f64 v[116:117], v[114:115], v[112:113]
	v_fma_f64 v[110:111], -v[110:111], v[116:117], v[114:115]
	v_div_fmas_f64 v[110:111], v[110:111], v[112:113], v[116:117]
	v_div_fixup_f64 v[110:111], v[110:111], v[121:122], v[123:124]
	v_fma_f64 v[112:113], v[123:124], v[110:111], v[121:122]
	v_div_scale_f64 v[114:115], s[20:21], v[112:113], v[112:113], 1.0
	v_div_scale_f64 v[120:121], vcc, 1.0, v[112:113], 1.0
	v_rcp_f64_e32 v[116:117], v[114:115]
	v_fma_f64 v[118:119], -v[114:115], v[116:117], 1.0
	v_fma_f64 v[116:117], v[116:117], v[118:119], v[116:117]
	v_fma_f64 v[118:119], -v[114:115], v[116:117], 1.0
	v_fma_f64 v[116:117], v[116:117], v[118:119], v[116:117]
	v_mul_f64 v[118:119], v[120:121], v[116:117]
	v_fma_f64 v[114:115], -v[114:115], v[118:119], v[120:121]
	v_div_fmas_f64 v[114:115], v[114:115], v[116:117], v[118:119]
	v_div_fixup_f64 v[121:122], v[114:115], v[112:113], 1.0
	v_mul_f64 v[123:124], v[110:111], -v[121:122]
.LBB64_660:
	s_or_b64 exec, exec, s[18:19]
.LBB64_661:
	s_or_b64 exec, exec, s[0:1]
	v_cmp_ne_u32_e32 vcc, v108, v109
	s_and_saveexec_b64 s[0:1], vcc
	s_xor_b64 s[0:1], exec, s[0:1]
	s_cbranch_execz .LBB64_667
; %bb.662:
	v_cmp_eq_u32_e32 vcc, 31, v108
	s_and_saveexec_b64 s[18:19], vcc
	s_cbranch_execz .LBB64_666
; %bb.663:
	v_cmp_ne_u32_e32 vcc, 31, v109
	s_xor_b64 s[20:21], s[6:7], -1
	s_and_b64 s[22:23], s[20:21], vcc
	s_and_saveexec_b64 s[20:21], s[22:23]
	s_cbranch_execz .LBB64_665
; %bb.664:
	buffer_load_dword v112, off, s[24:27], 0 offset:80 ; 4-byte Folded Reload
	buffer_load_dword v113, off, s[24:27], 0 offset:84 ; 4-byte Folded Reload
	v_ashrrev_i32_e32 v110, 31, v109
	v_lshlrev_b64 v[110:111], 2, v[109:110]
	s_waitcnt vmcnt(1)
	v_add_co_u32_e32 v110, vcc, v112, v110
	s_waitcnt vmcnt(0)
	v_addc_co_u32_e32 v111, vcc, v113, v111, vcc
	global_load_dword v0, v[110:111], off
	global_load_dword v108, v[112:113], off offset:124
	s_waitcnt vmcnt(1)
	global_store_dword v[112:113], v0, off offset:124
	s_waitcnt vmcnt(1)
	global_store_dword v[110:111], v108, off
.LBB64_665:
	s_or_b64 exec, exec, s[20:21]
	v_mov_b32_e32 v108, v109
	v_mov_b32_e32 v0, v109
.LBB64_666:
	s_or_b64 exec, exec, s[18:19]
.LBB64_667:
	s_andn2_saveexec_b64 s[0:1], s[0:1]
; %bb.668:
	v_mov_b32_e32 v108, 31
	ds_write2_b64 v106, v[89:90], v[91:92] offset0:64 offset1:65
; %bb.669:
	s_or_b64 exec, exec, s[0:1]
	v_cmp_lt_i32_e32 vcc, 31, v108
	s_waitcnt vmcnt(0) lgkmcnt(0)
	s_barrier
	s_and_saveexec_b64 s[0:1], vcc
	s_cbranch_execz .LBB64_671
; %bb.670:
	v_mul_f64 v[109:110], v[121:122], v[3:4]
	v_mul_f64 v[3:4], v[123:124], v[3:4]
	v_fma_f64 v[113:114], v[123:124], v[1:2], v[109:110]
	ds_read2_b64 v[109:112], v106 offset0:64 offset1:65
	v_fma_f64 v[1:2], v[121:122], v[1:2], -v[3:4]
	s_waitcnt lgkmcnt(0)
	v_mul_f64 v[3:4], v[111:112], v[113:114]
	v_fma_f64 v[3:4], v[109:110], v[1:2], -v[3:4]
	v_mul_f64 v[109:110], v[109:110], v[113:114]
	v_add_f64 v[89:90], v[89:90], -v[3:4]
	v_fma_f64 v[109:110], v[111:112], v[1:2], v[109:110]
	v_mov_b32_e32 v3, v113
	v_mov_b32_e32 v4, v114
	v_add_f64 v[91:92], v[91:92], -v[109:110]
.LBB64_671:
	s_or_b64 exec, exec, s[0:1]
	v_lshl_add_u32 v109, v108, 4, v106
	s_barrier
	ds_write2_b64 v109, v[89:90], v[91:92] offset1:1
	s_waitcnt lgkmcnt(0)
	s_barrier
	ds_read2_b64 v[121:124], v106 offset0:64 offset1:65
	s_cmp_lt_i32 s3, 34
	v_mov_b32_e32 v109, 32
	s_cbranch_scc1 .LBB64_674
; %bb.672:
	v_add_u32_e32 v106, 0x210, v106
	s_mov_b32 s0, 33
	v_mov_b32_e32 v109, 32
.LBB64_673:                             ; =>This Inner Loop Header: Depth=1
	s_waitcnt lgkmcnt(0)
	v_cmp_gt_f64_e32 vcc, 0, v[121:122]
	v_xor_b32_e32 v114, 0x80000000, v122
	ds_read2_b64 v[110:113], v106 offset1:1
	v_xor_b32_e32 v116, 0x80000000, v124
	v_add_u32_e32 v106, 16, v106
	s_waitcnt lgkmcnt(0)
	v_xor_b32_e32 v118, 0x80000000, v113
	v_cndmask_b32_e32 v115, v122, v114, vcc
	v_cmp_gt_f64_e32 vcc, 0, v[123:124]
	v_mov_b32_e32 v114, v121
	v_cndmask_b32_e32 v117, v124, v116, vcc
	v_cmp_gt_f64_e32 vcc, 0, v[110:111]
	v_mov_b32_e32 v116, v123
	v_add_f64 v[114:115], v[114:115], v[116:117]
	v_xor_b32_e32 v116, 0x80000000, v111
	v_cndmask_b32_e32 v117, v111, v116, vcc
	v_cmp_gt_f64_e32 vcc, 0, v[112:113]
	v_mov_b32_e32 v116, v110
	v_cndmask_b32_e32 v119, v113, v118, vcc
	v_mov_b32_e32 v118, v112
	v_add_f64 v[116:117], v[116:117], v[118:119]
	v_cmp_lt_f64_e32 vcc, v[114:115], v[116:117]
	v_cndmask_b32_e32 v121, v121, v110, vcc
	v_mov_b32_e32 v110, s0
	s_add_i32 s0, s0, 1
	v_cndmask_b32_e32 v122, v122, v111, vcc
	v_cndmask_b32_e32 v124, v124, v113, vcc
	;; [unrolled: 1-line block ×4, first 2 shown]
	s_cmp_lg_u32 s3, s0
	s_cbranch_scc1 .LBB64_673
.LBB64_674:
	s_waitcnt lgkmcnt(0)
	v_cmp_eq_f64_e32 vcc, 0, v[121:122]
	v_cmp_eq_f64_e64 s[0:1], 0, v[123:124]
	s_and_b64 s[0:1], vcc, s[0:1]
	s_and_saveexec_b64 s[18:19], s[0:1]
	s_xor_b64 s[0:1], exec, s[18:19]
; %bb.675:
	v_cmp_ne_u32_e32 vcc, 0, v107
	v_cndmask_b32_e32 v107, 33, v107, vcc
; %bb.676:
	s_andn2_saveexec_b64 s[0:1], s[0:1]
	s_cbranch_execz .LBB64_682
; %bb.677:
	v_cmp_ngt_f64_e64 s[18:19], |v[121:122]|, |v[123:124]|
	s_and_saveexec_b64 s[20:21], s[18:19]
	s_xor_b64 s[18:19], exec, s[20:21]
	s_cbranch_execz .LBB64_679
; %bb.678:
	v_div_scale_f64 v[110:111], s[20:21], v[123:124], v[123:124], v[121:122]
	v_rcp_f64_e32 v[112:113], v[110:111]
	v_fma_f64 v[114:115], -v[110:111], v[112:113], 1.0
	v_fma_f64 v[112:113], v[112:113], v[114:115], v[112:113]
	v_div_scale_f64 v[114:115], vcc, v[121:122], v[123:124], v[121:122]
	v_fma_f64 v[116:117], -v[110:111], v[112:113], 1.0
	v_fma_f64 v[112:113], v[112:113], v[116:117], v[112:113]
	v_mul_f64 v[116:117], v[114:115], v[112:113]
	v_fma_f64 v[110:111], -v[110:111], v[116:117], v[114:115]
	v_div_fmas_f64 v[110:111], v[110:111], v[112:113], v[116:117]
	v_div_fixup_f64 v[110:111], v[110:111], v[123:124], v[121:122]
	v_fma_f64 v[112:113], v[121:122], v[110:111], v[123:124]
	v_div_scale_f64 v[114:115], s[20:21], v[112:113], v[112:113], 1.0
	v_div_scale_f64 v[120:121], vcc, 1.0, v[112:113], 1.0
	v_rcp_f64_e32 v[116:117], v[114:115]
	v_fma_f64 v[118:119], -v[114:115], v[116:117], 1.0
	v_fma_f64 v[116:117], v[116:117], v[118:119], v[116:117]
	v_fma_f64 v[118:119], -v[114:115], v[116:117], 1.0
	v_fma_f64 v[116:117], v[116:117], v[118:119], v[116:117]
	v_mul_f64 v[118:119], v[120:121], v[116:117]
	v_fma_f64 v[114:115], -v[114:115], v[118:119], v[120:121]
	v_div_fmas_f64 v[114:115], v[114:115], v[116:117], v[118:119]
	v_div_fixup_f64 v[123:124], v[114:115], v[112:113], 1.0
	v_mul_f64 v[121:122], v[110:111], v[123:124]
	v_xor_b32_e32 v124, 0x80000000, v124
.LBB64_679:
	s_andn2_saveexec_b64 s[18:19], s[18:19]
	s_cbranch_execz .LBB64_681
; %bb.680:
	v_div_scale_f64 v[110:111], s[20:21], v[121:122], v[121:122], v[123:124]
	v_rcp_f64_e32 v[112:113], v[110:111]
	v_fma_f64 v[114:115], -v[110:111], v[112:113], 1.0
	v_fma_f64 v[112:113], v[112:113], v[114:115], v[112:113]
	v_div_scale_f64 v[114:115], vcc, v[123:124], v[121:122], v[123:124]
	v_fma_f64 v[116:117], -v[110:111], v[112:113], 1.0
	v_fma_f64 v[112:113], v[112:113], v[116:117], v[112:113]
	v_mul_f64 v[116:117], v[114:115], v[112:113]
	v_fma_f64 v[110:111], -v[110:111], v[116:117], v[114:115]
	v_div_fmas_f64 v[110:111], v[110:111], v[112:113], v[116:117]
	v_div_fixup_f64 v[110:111], v[110:111], v[121:122], v[123:124]
	v_fma_f64 v[112:113], v[123:124], v[110:111], v[121:122]
	v_div_scale_f64 v[114:115], s[20:21], v[112:113], v[112:113], 1.0
	v_div_scale_f64 v[120:121], vcc, 1.0, v[112:113], 1.0
	v_rcp_f64_e32 v[116:117], v[114:115]
	v_fma_f64 v[118:119], -v[114:115], v[116:117], 1.0
	v_fma_f64 v[116:117], v[116:117], v[118:119], v[116:117]
	v_fma_f64 v[118:119], -v[114:115], v[116:117], 1.0
	v_fma_f64 v[116:117], v[116:117], v[118:119], v[116:117]
	v_mul_f64 v[118:119], v[120:121], v[116:117]
	v_fma_f64 v[114:115], -v[114:115], v[118:119], v[120:121]
	v_div_fmas_f64 v[114:115], v[114:115], v[116:117], v[118:119]
	v_div_fixup_f64 v[121:122], v[114:115], v[112:113], 1.0
	v_mul_f64 v[123:124], v[110:111], -v[121:122]
.LBB64_681:
	s_or_b64 exec, exec, s[18:19]
.LBB64_682:
	s_or_b64 exec, exec, s[0:1]
	v_cmp_ne_u32_e32 vcc, v108, v109
	v_mov_b32_e32 v110, 32
	s_and_saveexec_b64 s[0:1], vcc
	s_cbranch_execz .LBB64_688
; %bb.683:
	v_cmp_eq_u32_e32 vcc, 32, v108
	s_and_saveexec_b64 s[18:19], vcc
	s_cbranch_execz .LBB64_687
; %bb.684:
	v_cmp_ne_u32_e32 vcc, 32, v109
	s_xor_b64 s[6:7], s[6:7], -1
	s_and_b64 s[20:21], s[6:7], vcc
	s_and_saveexec_b64 s[6:7], s[20:21]
	s_cbranch_execz .LBB64_686
; %bb.685:
	buffer_load_dword v112, off, s[24:27], 0 offset:80 ; 4-byte Folded Reload
	buffer_load_dword v113, off, s[24:27], 0 offset:84 ; 4-byte Folded Reload
	v_ashrrev_i32_e32 v110, 31, v109
	v_lshlrev_b64 v[110:111], 2, v[109:110]
	s_waitcnt vmcnt(1)
	v_add_co_u32_e32 v110, vcc, v112, v110
	s_waitcnt vmcnt(0)
	v_addc_co_u32_e32 v111, vcc, v113, v111, vcc
	global_load_dword v0, v[110:111], off
	global_load_dword v106, v[112:113], off offset:128
	s_waitcnt vmcnt(1)
	global_store_dword v[112:113], v0, off offset:128
	s_waitcnt vmcnt(1)
	global_store_dword v[110:111], v106, off
.LBB64_686:
	s_or_b64 exec, exec, s[6:7]
	v_mov_b32_e32 v108, v109
	v_mov_b32_e32 v0, v109
.LBB64_687:
	s_or_b64 exec, exec, s[18:19]
	v_mov_b32_e32 v110, v108
.LBB64_688:
	s_or_b64 exec, exec, s[0:1]
	v_cmp_gt_i32_e32 vcc, 33, v110
	v_ashrrev_i32_e32 v111, 31, v110
	s_waitcnt vmcnt(0)
	s_barrier
	s_barrier
	s_and_saveexec_b64 s[0:1], vcc
	s_cbranch_execz .LBB64_690
; %bb.689:
	buffer_load_dword v108, off, s[24:27], 0 offset:120 ; 4-byte Folded Reload
	buffer_load_dword v109, off, s[24:27], 0 offset:124 ; 4-byte Folded Reload
	v_add3_u32 v0, v0, s17, 1
	s_waitcnt vmcnt(1)
	v_mul_lo_u32 v106, s15, v108
	s_waitcnt vmcnt(0)
	v_mul_lo_u32 v112, s14, v109
	v_mad_u64_u32 v[108:109], s[6:7], s14, v108, 0
	s_lshl_b64 s[6:7], s[12:13], 2
	v_add3_u32 v109, v109, v112, v106
	v_lshlrev_b64 v[108:109], 2, v[108:109]
	v_mov_b32_e32 v106, s11
	v_add_co_u32_e32 v108, vcc, s10, v108
	v_addc_co_u32_e32 v106, vcc, v106, v109, vcc
	v_mov_b32_e32 v109, s7
	v_add_co_u32_e32 v112, vcc, s6, v108
	v_addc_co_u32_e32 v106, vcc, v106, v109, vcc
	v_lshlrev_b64 v[108:109], 2, v[110:111]
	v_add_co_u32_e32 v108, vcc, v112, v108
	v_addc_co_u32_e32 v109, vcc, v106, v109, vcc
	global_store_dword v[108:109], v0, off
.LBB64_690:
	s_or_b64 exec, exec, s[0:1]
	v_cmp_eq_u32_e32 vcc, 0, v110
	s_and_saveexec_b64 s[6:7], vcc
	s_cbranch_execz .LBB64_693
; %bb.691:
	buffer_load_dword v108, off, s[24:27], 0 offset:120 ; 4-byte Folded Reload
	buffer_load_dword v109, off, s[24:27], 0 offset:124 ; 4-byte Folded Reload
	v_mov_b32_e32 v0, s5
	v_cmp_ne_u32_e64 s[0:1], 0, v107
	s_waitcnt vmcnt(0)
	v_lshlrev_b64 v[108:109], 2, v[108:109]
	v_add_co_u32_e32 v112, vcc, s4, v108
	v_addc_co_u32_e32 v113, vcc, v0, v109, vcc
	global_load_dword v0, v[112:113], off
	s_waitcnt vmcnt(0)
	v_cmp_eq_u32_e32 vcc, 0, v0
	s_and_b64 s[0:1], vcc, s[0:1]
	s_and_b64 exec, exec, s[0:1]
	s_cbranch_execz .LBB64_693
; %bb.692:
	v_add_u32_e32 v0, s17, v107
	global_store_dword v[112:113], v0, off
.LBB64_693:
	s_or_b64 exec, exec, s[6:7]
	v_mul_f64 v[106:107], v[121:122], v[91:92]
	v_cmp_lt_i32_e32 vcc, 32, v110
	v_mul_f64 v[108:109], v[123:124], v[91:92]
	v_mov_b32_e32 v0, s9
	v_fma_f64 v[106:107], v[123:124], v[89:90], v[106:107]
	v_fma_f64 v[108:109], v[121:122], v[89:90], -v[108:109]
	v_cndmask_b32_e32 v92, v92, v107, vcc
	v_cndmask_b32_e32 v91, v91, v106, vcc
	v_lshlrev_b64 v[106:107], 4, v[110:111]
	buffer_load_dword v111, off, s[24:27], 0 offset:104 ; 4-byte Folded Reload
	buffer_load_dword v112, off, s[24:27], 0 offset:108 ; 4-byte Folded Reload
	;; [unrolled: 1-line block ×4, first 2 shown]
	v_cndmask_b32_e32 v90, v90, v109, vcc
	v_cndmask_b32_e32 v89, v89, v108, vcc
	v_add_co_u32_e32 v106, vcc, v127, v106
	v_addc_co_u32_e32 v107, vcc, v105, v107, vcc
	s_waitcnt vmcnt(0)
	global_store_dwordx4 v[106:107], v[111:114], off
	buffer_load_dword v111, off, s[24:27], 0 offset:88 ; 4-byte Folded Reload
	s_nop 0
	buffer_load_dword v112, off, s[24:27], 0 offset:92 ; 4-byte Folded Reload
	buffer_load_dword v113, off, s[24:27], 0 offset:96 ; 4-byte Folded Reload
	;; [unrolled: 1-line block ×3, first 2 shown]
	v_add_co_u32_e32 v106, vcc, s8, v106
	v_addc_co_u32_e32 v107, vcc, v107, v0, vcc
	s_waitcnt vmcnt(0)
	global_store_dwordx4 v[106:107], v[111:114], off
	v_add_u32_e32 v106, s16, v110
	buffer_load_dword v109, off, s[24:27], 0 offset:64 ; 4-byte Folded Reload
	buffer_load_dword v110, off, s[24:27], 0 offset:68 ; 4-byte Folded Reload
	;; [unrolled: 1-line block ×4, first 2 shown]
	v_ashrrev_i32_e32 v107, 31, v106
	v_lshlrev_b64 v[107:108], 4, v[106:107]
	v_add_u32_e32 v106, s2, v106
	v_add_co_u32_e32 v107, vcc, v127, v107
	v_addc_co_u32_e32 v108, vcc, v105, v108, vcc
	s_waitcnt vmcnt(0)
	global_store_dwordx4 v[107:108], v[109:112], off
	buffer_load_dword v109, off, s[24:27], 0 offset:48 ; 4-byte Folded Reload
	s_nop 0
	buffer_load_dword v110, off, s[24:27], 0 offset:52 ; 4-byte Folded Reload
	buffer_load_dword v111, off, s[24:27], 0 offset:56 ; 4-byte Folded Reload
	buffer_load_dword v112, off, s[24:27], 0 offset:60 ; 4-byte Folded Reload
	v_ashrrev_i32_e32 v107, 31, v106
	v_lshlrev_b64 v[107:108], 4, v[106:107]
	v_add_u32_e32 v106, s2, v106
	v_add_co_u32_e32 v107, vcc, v127, v107
	v_addc_co_u32_e32 v108, vcc, v105, v108, vcc
	s_waitcnt vmcnt(0)
	global_store_dwordx4 v[107:108], v[109:112], off
	buffer_load_dword v109, off, s[24:27], 0 offset:32 ; 4-byte Folded Reload
	s_nop 0
	buffer_load_dword v110, off, s[24:27], 0 offset:36 ; 4-byte Folded Reload
	buffer_load_dword v111, off, s[24:27], 0 offset:40 ; 4-byte Folded Reload
	buffer_load_dword v112, off, s[24:27], 0 offset:44 ; 4-byte Folded Reload
	;; [unrolled: 12-line block ×3, first 2 shown]
	v_ashrrev_i32_e32 v107, 31, v106
	v_lshlrev_b64 v[107:108], 4, v[106:107]
	v_add_u32_e32 v106, s2, v106
	v_add_co_u32_e32 v107, vcc, v127, v107
	v_addc_co_u32_e32 v108, vcc, v105, v108, vcc
	s_waitcnt vmcnt(0)
	global_store_dwordx4 v[107:108], v[109:112], off
	buffer_load_dword v109, off, s[24:27], 0 ; 4-byte Folded Reload
	s_nop 0
	buffer_load_dword v110, off, s[24:27], 0 offset:4 ; 4-byte Folded Reload
	buffer_load_dword v111, off, s[24:27], 0 offset:8 ; 4-byte Folded Reload
	;; [unrolled: 1-line block ×3, first 2 shown]
	v_ashrrev_i32_e32 v107, 31, v106
	v_lshlrev_b64 v[107:108], 4, v[106:107]
	v_add_u32_e32 v106, s2, v106
	v_add_co_u32_e32 v107, vcc, v127, v107
	v_addc_co_u32_e32 v108, vcc, v105, v108, vcc
	s_waitcnt vmcnt(0)
	global_store_dwordx4 v[107:108], v[109:112], off
	v_ashrrev_i32_e32 v107, 31, v106
	v_lshlrev_b64 v[107:108], 4, v[106:107]
	v_add_co_u32_e32 v107, vcc, v127, v107
	v_addc_co_u32_e32 v108, vcc, v105, v108, vcc
	global_store_dwordx4 v[107:108], v[101:104], off
	s_nop 0
	v_add_u32_e32 v101, s2, v106
	v_ashrrev_i32_e32 v102, 31, v101
	v_lshlrev_b64 v[102:103], 4, v[101:102]
	v_add_co_u32_e32 v102, vcc, v127, v102
	v_addc_co_u32_e32 v103, vcc, v105, v103, vcc
	global_store_dwordx4 v[102:103], v[97:100], off
	s_nop 0
	v_add_u32_e32 v97, s2, v101
	;; [unrolled: 7-line block ×24, first 2 shown]
	v_ashrrev_i32_e32 v6, 31, v5
	v_lshlrev_b64 v[6:7], 4, v[5:6]
	v_add_u32_e32 v0, s2, v5
	v_add_co_u32_e32 v6, vcc, v127, v6
	v_addc_co_u32_e32 v7, vcc, v105, v7, vcc
	global_store_dwordx4 v[6:7], v[1:4], off
	s_nop 0
	v_ashrrev_i32_e32 v1, 31, v0
	v_lshlrev_b64 v[0:1], 4, v[0:1]
	v_add_co_u32_e32 v0, vcc, v127, v0
	v_addc_co_u32_e32 v1, vcc, v105, v1, vcc
	global_store_dwordx4 v[0:1], v[89:92], off
.LBB64_694:
	s_endpgm
	.section	.rodata,"a",@progbits
	.p2align	6, 0x0
	.amdhsa_kernel _ZN9rocsolver6v33100L18getf2_small_kernelILi33E19rocblas_complex_numIdEiiPS3_EEvT1_T3_lS5_lPS5_llPT2_S5_S5_S7_l
		.amdhsa_group_segment_fixed_size 0
		.amdhsa_private_segment_fixed_size 132
		.amdhsa_kernarg_size 352
		.amdhsa_user_sgpr_count 6
		.amdhsa_user_sgpr_private_segment_buffer 1
		.amdhsa_user_sgpr_dispatch_ptr 0
		.amdhsa_user_sgpr_queue_ptr 0
		.amdhsa_user_sgpr_kernarg_segment_ptr 1
		.amdhsa_user_sgpr_dispatch_id 0
		.amdhsa_user_sgpr_flat_scratch_init 0
		.amdhsa_user_sgpr_private_segment_size 0
		.amdhsa_uses_dynamic_stack 0
		.amdhsa_system_sgpr_private_segment_wavefront_offset 1
		.amdhsa_system_sgpr_workgroup_id_x 1
		.amdhsa_system_sgpr_workgroup_id_y 1
		.amdhsa_system_sgpr_workgroup_id_z 0
		.amdhsa_system_sgpr_workgroup_info 0
		.amdhsa_system_vgpr_workitem_id 1
		.amdhsa_next_free_vgpr 128
		.amdhsa_next_free_sgpr 28
		.amdhsa_reserve_vcc 1
		.amdhsa_reserve_flat_scratch 0
		.amdhsa_float_round_mode_32 0
		.amdhsa_float_round_mode_16_64 0
		.amdhsa_float_denorm_mode_32 3
		.amdhsa_float_denorm_mode_16_64 3
		.amdhsa_dx10_clamp 1
		.amdhsa_ieee_mode 1
		.amdhsa_fp16_overflow 0
		.amdhsa_exception_fp_ieee_invalid_op 0
		.amdhsa_exception_fp_denorm_src 0
		.amdhsa_exception_fp_ieee_div_zero 0
		.amdhsa_exception_fp_ieee_overflow 0
		.amdhsa_exception_fp_ieee_underflow 0
		.amdhsa_exception_fp_ieee_inexact 0
		.amdhsa_exception_int_div_zero 0
	.end_amdhsa_kernel
	.section	.text._ZN9rocsolver6v33100L18getf2_small_kernelILi33E19rocblas_complex_numIdEiiPS3_EEvT1_T3_lS5_lPS5_llPT2_S5_S5_S7_l,"axG",@progbits,_ZN9rocsolver6v33100L18getf2_small_kernelILi33E19rocblas_complex_numIdEiiPS3_EEvT1_T3_lS5_lPS5_llPT2_S5_S5_S7_l,comdat
.Lfunc_end64:
	.size	_ZN9rocsolver6v33100L18getf2_small_kernelILi33E19rocblas_complex_numIdEiiPS3_EEvT1_T3_lS5_lPS5_llPT2_S5_S5_S7_l, .Lfunc_end64-_ZN9rocsolver6v33100L18getf2_small_kernelILi33E19rocblas_complex_numIdEiiPS3_EEvT1_T3_lS5_lPS5_llPT2_S5_S5_S7_l
                                        ; -- End function
	.set _ZN9rocsolver6v33100L18getf2_small_kernelILi33E19rocblas_complex_numIdEiiPS3_EEvT1_T3_lS5_lPS5_llPT2_S5_S5_S7_l.num_vgpr, 128
	.set _ZN9rocsolver6v33100L18getf2_small_kernelILi33E19rocblas_complex_numIdEiiPS3_EEvT1_T3_lS5_lPS5_llPT2_S5_S5_S7_l.num_agpr, 0
	.set _ZN9rocsolver6v33100L18getf2_small_kernelILi33E19rocblas_complex_numIdEiiPS3_EEvT1_T3_lS5_lPS5_llPT2_S5_S5_S7_l.numbered_sgpr, 28
	.set _ZN9rocsolver6v33100L18getf2_small_kernelILi33E19rocblas_complex_numIdEiiPS3_EEvT1_T3_lS5_lPS5_llPT2_S5_S5_S7_l.num_named_barrier, 0
	.set _ZN9rocsolver6v33100L18getf2_small_kernelILi33E19rocblas_complex_numIdEiiPS3_EEvT1_T3_lS5_lPS5_llPT2_S5_S5_S7_l.private_seg_size, 132
	.set _ZN9rocsolver6v33100L18getf2_small_kernelILi33E19rocblas_complex_numIdEiiPS3_EEvT1_T3_lS5_lPS5_llPT2_S5_S5_S7_l.uses_vcc, 1
	.set _ZN9rocsolver6v33100L18getf2_small_kernelILi33E19rocblas_complex_numIdEiiPS3_EEvT1_T3_lS5_lPS5_llPT2_S5_S5_S7_l.uses_flat_scratch, 0
	.set _ZN9rocsolver6v33100L18getf2_small_kernelILi33E19rocblas_complex_numIdEiiPS3_EEvT1_T3_lS5_lPS5_llPT2_S5_S5_S7_l.has_dyn_sized_stack, 0
	.set _ZN9rocsolver6v33100L18getf2_small_kernelILi33E19rocblas_complex_numIdEiiPS3_EEvT1_T3_lS5_lPS5_llPT2_S5_S5_S7_l.has_recursion, 0
	.set _ZN9rocsolver6v33100L18getf2_small_kernelILi33E19rocblas_complex_numIdEiiPS3_EEvT1_T3_lS5_lPS5_llPT2_S5_S5_S7_l.has_indirect_call, 0
	.section	.AMDGPU.csdata,"",@progbits
; Kernel info:
; codeLenInByte = 72152
; TotalNumSgprs: 32
; NumVgprs: 128
; ScratchSize: 132
; MemoryBound: 0
; FloatMode: 240
; IeeeMode: 1
; LDSByteSize: 0 bytes/workgroup (compile time only)
; SGPRBlocks: 3
; VGPRBlocks: 31
; NumSGPRsForWavesPerEU: 32
; NumVGPRsForWavesPerEU: 128
; Occupancy: 2
; WaveLimiterHint : 0
; COMPUTE_PGM_RSRC2:SCRATCH_EN: 1
; COMPUTE_PGM_RSRC2:USER_SGPR: 6
; COMPUTE_PGM_RSRC2:TRAP_HANDLER: 0
; COMPUTE_PGM_RSRC2:TGID_X_EN: 1
; COMPUTE_PGM_RSRC2:TGID_Y_EN: 1
; COMPUTE_PGM_RSRC2:TGID_Z_EN: 0
; COMPUTE_PGM_RSRC2:TIDIG_COMP_CNT: 1
	.section	.text._ZN9rocsolver6v33100L23getf2_npvt_small_kernelILi33E19rocblas_complex_numIdEiiPS3_EEvT1_T3_lS5_lPT2_S5_S5_,"axG",@progbits,_ZN9rocsolver6v33100L23getf2_npvt_small_kernelILi33E19rocblas_complex_numIdEiiPS3_EEvT1_T3_lS5_lPT2_S5_S5_,comdat
	.globl	_ZN9rocsolver6v33100L23getf2_npvt_small_kernelILi33E19rocblas_complex_numIdEiiPS3_EEvT1_T3_lS5_lPT2_S5_S5_ ; -- Begin function _ZN9rocsolver6v33100L23getf2_npvt_small_kernelILi33E19rocblas_complex_numIdEiiPS3_EEvT1_T3_lS5_lPT2_S5_S5_
	.p2align	8
	.type	_ZN9rocsolver6v33100L23getf2_npvt_small_kernelILi33E19rocblas_complex_numIdEiiPS3_EEvT1_T3_lS5_lPT2_S5_S5_,@function
_ZN9rocsolver6v33100L23getf2_npvt_small_kernelILi33E19rocblas_complex_numIdEiiPS3_EEvT1_T3_lS5_lPT2_S5_S5_: ; @_ZN9rocsolver6v33100L23getf2_npvt_small_kernelILi33E19rocblas_complex_numIdEiiPS3_EEvT1_T3_lS5_lPT2_S5_S5_
; %bb.0:
	s_mov_b64 s[22:23], s[2:3]
	s_mov_b64 s[20:21], s[0:1]
	s_load_dword s0, s[4:5], 0x44
	s_load_dwordx2 s[12:13], s[4:5], 0x30
	s_add_u32 s20, s20, s8
	s_addc_u32 s21, s21, 0
	s_waitcnt lgkmcnt(0)
	s_lshr_b32 s2, s0, 16
	s_mul_i32 s7, s7, s2
	v_add_u32_e32 v2, s7, v1
	v_cmp_gt_i32_e32 vcc, s12, v2
	s_and_saveexec_b64 s[0:1], vcc
	s_cbranch_execz .LBB65_300
; %bb.1:
	s_load_dwordx4 s[8:11], s[4:5], 0x20
	s_load_dwordx4 s[16:19], s[4:5], 0x8
	v_ashrrev_i32_e32 v3, 31, v2
	s_mulk_i32 s2, 0x210
	s_waitcnt lgkmcnt(0)
	v_mul_lo_u32 v4, s9, v2
	v_mul_lo_u32 v5, s8, v3
	buffer_store_dword v2, off, s[20:23], 0 offset:848 ; 4-byte Folded Spill
	s_nop 0
	buffer_store_dword v3, off, s[20:23], 0 offset:852 ; 4-byte Folded Spill
	v_mov_b32_e32 v6, s17
	v_mad_u64_u32 v[2:3], s[0:1], s8, v2, 0
	s_load_dword s0, s[4:5], 0x18
	s_lshl_b64 s[4:5], s[18:19], 4
	v_add3_u32 v3, v3, v5, v4
	v_lshlrev_b64 v[2:3], 4, v[2:3]
	v_mov_b32_e32 v4, s5
	v_add_co_u32_e32 v2, vcc, s16, v2
	v_addc_co_u32_e32 v3, vcc, v6, v3, vcc
	v_add_co_u32_e32 v2, vcc, s4, v2
	s_waitcnt lgkmcnt(0)
	s_add_i32 s1, s0, s0
	v_addc_co_u32_e32 v3, vcc, v3, v4, vcc
	v_add_u32_e32 v4, s1, v0
	v_ashrrev_i32_e32 v5, 31, v4
	v_lshlrev_b64 v[5:6], 4, v[4:5]
	v_add_u32_e32 v4, s0, v4
	v_add_co_u32_e32 v91, vcc, v2, v5
	v_ashrrev_i32_e32 v5, 31, v4
	v_addc_co_u32_e32 v92, vcc, v3, v6, vcc
	v_lshlrev_b64 v[5:6], 4, v[4:5]
	v_add_u32_e32 v4, s0, v4
	v_add_co_u32_e32 v7, vcc, v2, v5
	v_ashrrev_i32_e32 v5, 31, v4
	v_addc_co_u32_e32 v8, vcc, v3, v6, vcc
	;; [unrolled: 5-line block ×29, first 2 shown]
	v_lshlrev_b64 v[5:6], 4, v[4:5]
	v_add_u32_e32 v4, s0, v4
	v_add_co_u32_e32 v107, vcc, v2, v5
	v_ashrrev_i32_e32 v5, 31, v4
	v_lshlrev_b64 v[4:5], 4, v[4:5]
	v_addc_co_u32_e32 v108, vcc, v3, v6, vcc
	v_add_co_u32_e32 v109, vcc, v2, v4
	v_addc_co_u32_e32 v110, vcc, v3, v5, vcc
	v_lshlrev_b32_e32 v4, 4, v0
	v_add_co_u32_e32 v4, vcc, v2, v4
	s_ashr_i32 s1, s0, 31
	v_addc_co_u32_e32 v5, vcc, 0, v3, vcc
	s_lshl_b64 s[0:1], s[0:1], 4
	v_mov_b32_e32 v2, s1
	v_add_co_u32_e32 v43, vcc, s0, v4
	v_addc_co_u32_e32 v44, vcc, v5, v2, vcc
	buffer_store_dword v4, off, s[20:23], 0 offset:360 ; 4-byte Folded Spill
	s_nop 0
	buffer_store_dword v5, off, s[20:23], 0 offset:364 ; 4-byte Folded Spill
	s_movk_i32 s0, 0x210
	s_add_i32 s1, s2, 0
	v_mad_u32_u24 v125, v1, s0, 0
	v_lshl_add_u32 v127, v1, 4, s1
	v_cmp_ne_u32_e64 s[2:3], 0, v0
	v_cmp_eq_u32_e64 s[0:1], 0, v0
	global_load_dwordx4 v[1:4], v[4:5], off
	s_waitcnt vmcnt(0)
	buffer_store_dword v1, off, s[20:23], 0 offset:96 ; 4-byte Folded Spill
	s_nop 0
	buffer_store_dword v2, off, s[20:23], 0 offset:100 ; 4-byte Folded Spill
	buffer_store_dword v3, off, s[20:23], 0 offset:104 ; 4-byte Folded Spill
	;; [unrolled: 1-line block ×4, first 2 shown]
	s_nop 0
	buffer_store_dword v44, off, s[20:23], 0 offset:372 ; 4-byte Folded Spill
	global_load_dwordx4 v[1:4], v[43:44], off
	s_waitcnt vmcnt(0)
	buffer_store_dword v1, off, s[20:23], 0 offset:80 ; 4-byte Folded Spill
	s_nop 0
	buffer_store_dword v2, off, s[20:23], 0 offset:84 ; 4-byte Folded Spill
	buffer_store_dword v3, off, s[20:23], 0 offset:88 ; 4-byte Folded Spill
	;; [unrolled: 1-line block ×3, first 2 shown]
	global_load_dwordx4 v[1:4], v[91:92], off
	s_waitcnt vmcnt(0)
	buffer_store_dword v1, off, s[20:23], 0 offset:64 ; 4-byte Folded Spill
	s_nop 0
	buffer_store_dword v2, off, s[20:23], 0 offset:68 ; 4-byte Folded Spill
	buffer_store_dword v3, off, s[20:23], 0 offset:72 ; 4-byte Folded Spill
	buffer_store_dword v4, off, s[20:23], 0 offset:76 ; 4-byte Folded Spill
	buffer_store_dword v7, off, s[20:23], 0 offset:112 ; 4-byte Folded Spill
	s_nop 0
	buffer_store_dword v8, off, s[20:23], 0 offset:116 ; 4-byte Folded Spill
	global_load_dwordx4 v[1:4], v[7:8], off
	s_waitcnt vmcnt(0)
	buffer_store_dword v1, off, s[20:23], 0 offset:48 ; 4-byte Folded Spill
	s_nop 0
	buffer_store_dword v2, off, s[20:23], 0 offset:52 ; 4-byte Folded Spill
	buffer_store_dword v3, off, s[20:23], 0 offset:56 ; 4-byte Folded Spill
	buffer_store_dword v4, off, s[20:23], 0 offset:60 ; 4-byte Folded Spill
	buffer_store_dword v45, off, s[20:23], 0 offset:840 ; 4-byte Folded Spill
	s_nop 0
	buffer_store_dword v46, off, s[20:23], 0 offset:844 ; 4-byte Folded Spill
	;; [unrolled: 10-line block ×4, first 2 shown]
	global_load_dwordx4 v[1:4], v[11:12], off
	s_waitcnt vmcnt(0)
	buffer_store_dword v1, off, s[20:23], 0 ; 4-byte Folded Spill
	s_nop 0
	buffer_store_dword v2, off, s[20:23], 0 offset:4 ; 4-byte Folded Spill
	buffer_store_dword v3, off, s[20:23], 0 offset:8 ; 4-byte Folded Spill
	;; [unrolled: 1-line block ×4, first 2 shown]
	s_nop 0
	buffer_store_dword v14, off, s[20:23], 0 offset:140 ; 4-byte Folded Spill
	global_load_dwordx4 v[5:8], v[13:14], off
	s_nop 0
	buffer_store_dword v15, off, s[20:23], 0 offset:144 ; 4-byte Folded Spill
	s_nop 0
	buffer_store_dword v16, off, s[20:23], 0 offset:148 ; 4-byte Folded Spill
	global_load_dwordx4 v[121:124], v[15:16], off
	s_nop 0
	buffer_store_dword v17, off, s[20:23], 0 offset:152 ; 4-byte Folded Spill
	;; [unrolled: 5-line block ×17, first 2 shown]
	s_nop 0
	buffer_store_dword v94, off, s[20:23], 0 offset:276 ; 4-byte Folded Spill
	s_waitcnt vmcnt(50)
	v_mov_b32_e32 v90, v8
	v_mov_b32_e32 v89, v7
	v_mov_b32_e32 v88, v6
	v_mov_b32_e32 v87, v5
	global_load_dwordx4 v[29:32], v[93:94], off
	s_nop 0
	buffer_store_dword v95, off, s[20:23], 0 offset:280 ; 4-byte Folded Spill
	s_nop 0
	buffer_store_dword v96, off, s[20:23], 0 offset:284 ; 4-byte Folded Spill
	global_load_dwordx4 v[25:28], v[95:96], off
	s_nop 0
	buffer_store_dword v97, off, s[20:23], 0 offset:288 ; 4-byte Folded Spill
	s_nop 0
	buffer_store_dword v98, off, s[20:23], 0 offset:292 ; 4-byte Folded Spill
	s_waitcnt vmcnt(47)
	v_mov_b32_e32 v96, v4
	v_mov_b32_e32 v95, v3
	;; [unrolled: 1-line block ×4, first 2 shown]
	global_load_dwordx4 v[21:24], v[97:98], off
	s_nop 0
	buffer_store_dword v99, off, s[20:23], 0 offset:296 ; 4-byte Folded Spill
	s_nop 0
	buffer_store_dword v100, off, s[20:23], 0 offset:300 ; 4-byte Folded Spill
	global_load_dwordx4 v[17:20], v[99:100], off
	s_nop 0
	buffer_store_dword v101, off, s[20:23], 0 offset:304 ; 4-byte Folded Spill
	s_nop 0
	buffer_store_dword v102, off, s[20:23], 0 offset:308 ; 4-byte Folded Spill
	;; [unrolled: 5-line block ×6, first 2 shown]
	global_load_dwordx4 v[113:116], v[109:110], off
	v_mov_b32_e32 v109, v121
	v_mov_b32_e32 v110, v122
	;; [unrolled: 1-line block ×4, first 2 shown]
	s_and_saveexec_b64 s[6:7], s[0:1]
	s_cbranch_execz .LBB65_8
; %bb.2:
	buffer_load_dword v97, off, s[20:23], 0 offset:96 ; 4-byte Folded Reload
	buffer_load_dword v98, off, s[20:23], 0 offset:100 ; 4-byte Folded Reload
	buffer_load_dword v99, off, s[20:23], 0 offset:104 ; 4-byte Folded Reload
	buffer_load_dword v100, off, s[20:23], 0 offset:108 ; 4-byte Folded Reload
	s_waitcnt vmcnt(0)
	ds_write2_b64 v127, v[97:98], v[99:100] offset1:1
	buffer_load_dword v97, off, s[20:23], 0 offset:80 ; 4-byte Folded Reload
	buffer_load_dword v98, off, s[20:23], 0 offset:84 ; 4-byte Folded Reload
	buffer_load_dword v99, off, s[20:23], 0 offset:88 ; 4-byte Folded Reload
	buffer_load_dword v100, off, s[20:23], 0 offset:92 ; 4-byte Folded Reload
	s_waitcnt vmcnt(0)
	ds_write2_b64 v125, v[97:98], v[99:100] offset0:2 offset1:3
	buffer_load_dword v97, off, s[20:23], 0 offset:64 ; 4-byte Folded Reload
	buffer_load_dword v98, off, s[20:23], 0 offset:68 ; 4-byte Folded Reload
	buffer_load_dword v99, off, s[20:23], 0 offset:72 ; 4-byte Folded Reload
	buffer_load_dword v100, off, s[20:23], 0 offset:76 ; 4-byte Folded Reload
	s_waitcnt vmcnt(0)
	ds_write2_b64 v125, v[97:98], v[99:100] offset0:4 offset1:5
	;; [unrolled: 6-line block ×5, first 2 shown]
	buffer_load_dword v97, off, s[20:23], 0 ; 4-byte Folded Reload
	buffer_load_dword v98, off, s[20:23], 0 offset:4 ; 4-byte Folded Reload
	buffer_load_dword v99, off, s[20:23], 0 offset:8 ; 4-byte Folded Reload
	;; [unrolled: 1-line block ×3, first 2 shown]
	s_waitcnt vmcnt(0)
	ds_write2_b64 v125, v[97:98], v[99:100] offset0:12 offset1:13
	ds_write2_b64 v125, v[87:88], v[89:90] offset0:14 offset1:15
	;; [unrolled: 1-line block ×27, first 2 shown]
	ds_read2_b64 v[97:100], v127 offset1:1
	s_waitcnt lgkmcnt(0)
	v_cmp_neq_f64_e32 vcc, 0, v[97:98]
	v_cmp_neq_f64_e64 s[4:5], 0, v[99:100]
	s_or_b64 s[4:5], vcc, s[4:5]
	s_and_b64 exec, exec, s[4:5]
	s_cbranch_execz .LBB65_8
; %bb.3:
	v_cmp_ngt_f64_e64 s[4:5], |v[97:98]|, |v[99:100]|
                                        ; implicit-def: $vgpr101_vgpr102
	s_and_saveexec_b64 s[8:9], s[4:5]
	s_xor_b64 s[4:5], exec, s[8:9]
                                        ; implicit-def: $vgpr103_vgpr104
	s_cbranch_execz .LBB65_5
; %bb.4:
	v_div_scale_f64 v[101:102], s[8:9], v[99:100], v[99:100], v[97:98]
	v_rcp_f64_e32 v[103:104], v[101:102]
	v_fma_f64 v[105:106], -v[101:102], v[103:104], 1.0
	v_fma_f64 v[103:104], v[103:104], v[105:106], v[103:104]
	v_div_scale_f64 v[105:106], vcc, v[97:98], v[99:100], v[97:98]
	v_fma_f64 v[107:108], -v[101:102], v[103:104], 1.0
	v_fma_f64 v[103:104], v[103:104], v[107:108], v[103:104]
	v_mul_f64 v[107:108], v[105:106], v[103:104]
	v_fma_f64 v[101:102], -v[101:102], v[107:108], v[105:106]
	v_div_fmas_f64 v[101:102], v[101:102], v[103:104], v[107:108]
	v_div_fixup_f64 v[101:102], v[101:102], v[99:100], v[97:98]
	v_fma_f64 v[97:98], v[97:98], v[101:102], v[99:100]
	v_div_scale_f64 v[99:100], s[8:9], v[97:98], v[97:98], 1.0
	v_div_scale_f64 v[107:108], vcc, 1.0, v[97:98], 1.0
	v_rcp_f64_e32 v[103:104], v[99:100]
	v_fma_f64 v[105:106], -v[99:100], v[103:104], 1.0
	v_fma_f64 v[103:104], v[103:104], v[105:106], v[103:104]
	v_fma_f64 v[105:106], -v[99:100], v[103:104], 1.0
	v_fma_f64 v[103:104], v[103:104], v[105:106], v[103:104]
	v_mul_f64 v[105:106], v[107:108], v[103:104]
	v_fma_f64 v[99:100], -v[99:100], v[105:106], v[107:108]
	v_div_fmas_f64 v[99:100], v[99:100], v[103:104], v[105:106]
	v_div_fixup_f64 v[103:104], v[99:100], v[97:98], 1.0
                                        ; implicit-def: $vgpr97_vgpr98
	v_mul_f64 v[101:102], v[101:102], v[103:104]
	v_xor_b32_e32 v104, 0x80000000, v104
.LBB65_5:
	s_andn2_saveexec_b64 s[4:5], s[4:5]
	s_cbranch_execz .LBB65_7
; %bb.6:
	v_div_scale_f64 v[101:102], s[8:9], v[97:98], v[97:98], v[99:100]
	v_rcp_f64_e32 v[103:104], v[101:102]
	v_fma_f64 v[105:106], -v[101:102], v[103:104], 1.0
	v_fma_f64 v[103:104], v[103:104], v[105:106], v[103:104]
	v_div_scale_f64 v[105:106], vcc, v[99:100], v[97:98], v[99:100]
	v_fma_f64 v[107:108], -v[101:102], v[103:104], 1.0
	v_fma_f64 v[103:104], v[103:104], v[107:108], v[103:104]
	v_mul_f64 v[107:108], v[105:106], v[103:104]
	v_fma_f64 v[101:102], -v[101:102], v[107:108], v[105:106]
	v_div_fmas_f64 v[101:102], v[101:102], v[103:104], v[107:108]
	v_div_fixup_f64 v[103:104], v[101:102], v[97:98], v[99:100]
	v_fma_f64 v[97:98], v[99:100], v[103:104], v[97:98]
	v_div_scale_f64 v[99:100], s[8:9], v[97:98], v[97:98], 1.0
	v_div_scale_f64 v[107:108], vcc, 1.0, v[97:98], 1.0
	v_rcp_f64_e32 v[101:102], v[99:100]
	v_fma_f64 v[105:106], -v[99:100], v[101:102], 1.0
	v_fma_f64 v[101:102], v[101:102], v[105:106], v[101:102]
	v_fma_f64 v[105:106], -v[99:100], v[101:102], 1.0
	v_fma_f64 v[101:102], v[101:102], v[105:106], v[101:102]
	v_mul_f64 v[105:106], v[107:108], v[101:102]
	v_fma_f64 v[99:100], -v[99:100], v[105:106], v[107:108]
	v_div_fmas_f64 v[99:100], v[99:100], v[101:102], v[105:106]
	v_div_fixup_f64 v[101:102], v[99:100], v[97:98], 1.0
	v_mul_f64 v[103:104], v[103:104], -v[101:102]
.LBB65_7:
	s_or_b64 exec, exec, s[4:5]
	ds_write2_b64 v127, v[101:102], v[103:104] offset1:1
.LBB65_8:
	s_or_b64 exec, exec, s[6:7]
	s_waitcnt vmcnt(0) lgkmcnt(0)
	s_barrier
	ds_read2_b64 v[97:100], v127 offset1:1
	s_waitcnt lgkmcnt(0)
	buffer_store_dword v97, off, s[20:23], 0 offset:376 ; 4-byte Folded Spill
	s_nop 0
	buffer_store_dword v98, off, s[20:23], 0 offset:380 ; 4-byte Folded Spill
	buffer_store_dword v99, off, s[20:23], 0 offset:384 ; 4-byte Folded Spill
	;; [unrolled: 1-line block ×3, first 2 shown]
	s_and_saveexec_b64 s[4:5], s[2:3]
	s_cbranch_execz .LBB65_10
; %bb.9:
	buffer_load_dword v121, off, s[20:23], 0 offset:96 ; 4-byte Folded Reload
	buffer_load_dword v122, off, s[20:23], 0 offset:100 ; 4-byte Folded Reload
	;; [unrolled: 1-line block ×8, first 2 shown]
	s_waitcnt vmcnt(0)
	v_mul_f64 v[97:98], v[101:102], v[123:124]
	v_fma_f64 v[97:98], v[99:100], v[121:122], -v[97:98]
	v_mul_f64 v[99:100], v[99:100], v[123:124]
	v_fma_f64 v[123:124], v[101:102], v[121:122], v[99:100]
	ds_read2_b64 v[99:102], v125 offset0:2 offset1:3
	buffer_load_dword v105, off, s[20:23], 0 offset:80 ; 4-byte Folded Reload
	buffer_load_dword v106, off, s[20:23], 0 offset:84 ; 4-byte Folded Reload
	;; [unrolled: 1-line block ×4, first 2 shown]
	v_mov_b32_e32 v122, v98
	v_mov_b32_e32 v121, v97
	s_waitcnt lgkmcnt(0)
	v_mul_f64 v[103:104], v[101:102], v[123:124]
	v_fma_f64 v[103:104], v[99:100], v[97:98], -v[103:104]
	v_mul_f64 v[99:100], v[99:100], v[123:124]
	v_fma_f64 v[99:100], v[101:102], v[97:98], v[99:100]
	s_waitcnt vmcnt(2)
	v_add_f64 v[105:106], v[105:106], -v[103:104]
	s_waitcnt vmcnt(0)
	v_add_f64 v[107:108], v[107:108], -v[99:100]
	buffer_store_dword v105, off, s[20:23], 0 offset:80 ; 4-byte Folded Spill
	s_nop 0
	buffer_store_dword v106, off, s[20:23], 0 offset:84 ; 4-byte Folded Spill
	buffer_store_dword v107, off, s[20:23], 0 offset:88 ; 4-byte Folded Spill
	buffer_store_dword v108, off, s[20:23], 0 offset:92 ; 4-byte Folded Spill
	ds_read2_b64 v[99:102], v125 offset0:4 offset1:5
	buffer_load_dword v105, off, s[20:23], 0 offset:64 ; 4-byte Folded Reload
	buffer_load_dword v106, off, s[20:23], 0 offset:68 ; 4-byte Folded Reload
	buffer_load_dword v107, off, s[20:23], 0 offset:72 ; 4-byte Folded Reload
	buffer_load_dword v108, off, s[20:23], 0 offset:76 ; 4-byte Folded Reload
	s_waitcnt lgkmcnt(0)
	v_mul_f64 v[103:104], v[101:102], v[123:124]
	v_fma_f64 v[103:104], v[99:100], v[97:98], -v[103:104]
	v_mul_f64 v[99:100], v[99:100], v[123:124]
	v_fma_f64 v[99:100], v[101:102], v[97:98], v[99:100]
	s_waitcnt vmcnt(2)
	v_add_f64 v[105:106], v[105:106], -v[103:104]
	s_waitcnt vmcnt(0)
	v_add_f64 v[107:108], v[107:108], -v[99:100]
	buffer_store_dword v105, off, s[20:23], 0 offset:64 ; 4-byte Folded Spill
	s_nop 0
	buffer_store_dword v106, off, s[20:23], 0 offset:68 ; 4-byte Folded Spill
	buffer_store_dword v107, off, s[20:23], 0 offset:72 ; 4-byte Folded Spill
	buffer_store_dword v108, off, s[20:23], 0 offset:76 ; 4-byte Folded Spill
	ds_read2_b64 v[99:102], v125 offset0:6 offset1:7
	buffer_load_dword v105, off, s[20:23], 0 offset:48 ; 4-byte Folded Reload
	buffer_load_dword v106, off, s[20:23], 0 offset:52 ; 4-byte Folded Reload
	buffer_load_dword v107, off, s[20:23], 0 offset:56 ; 4-byte Folded Reload
	buffer_load_dword v108, off, s[20:23], 0 offset:60 ; 4-byte Folded Reload
	;; [unrolled: 19-line block ×4, first 2 shown]
	s_waitcnt lgkmcnt(0)
	v_mul_f64 v[103:104], v[101:102], v[123:124]
	v_fma_f64 v[103:104], v[99:100], v[97:98], -v[103:104]
	v_mul_f64 v[99:100], v[99:100], v[123:124]
	v_fma_f64 v[99:100], v[101:102], v[97:98], v[99:100]
	s_waitcnt vmcnt(2)
	v_add_f64 v[105:106], v[105:106], -v[103:104]
	s_waitcnt vmcnt(0)
	v_add_f64 v[107:108], v[107:108], -v[99:100]
	buffer_store_dword v105, off, s[20:23], 0 offset:16 ; 4-byte Folded Spill
	s_nop 0
	buffer_store_dword v106, off, s[20:23], 0 offset:20 ; 4-byte Folded Spill
	buffer_store_dword v107, off, s[20:23], 0 offset:24 ; 4-byte Folded Spill
	;; [unrolled: 1-line block ×3, first 2 shown]
	ds_read2_b64 v[99:102], v125 offset0:12 offset1:13
	buffer_load_dword v105, off, s[20:23], 0 ; 4-byte Folded Reload
	buffer_load_dword v106, off, s[20:23], 0 offset:4 ; 4-byte Folded Reload
	buffer_load_dword v107, off, s[20:23], 0 offset:8 ; 4-byte Folded Reload
	;; [unrolled: 1-line block ×3, first 2 shown]
	s_waitcnt lgkmcnt(0)
	v_mul_f64 v[103:104], v[101:102], v[123:124]
	v_fma_f64 v[103:104], v[99:100], v[97:98], -v[103:104]
	v_mul_f64 v[99:100], v[99:100], v[123:124]
	v_fma_f64 v[99:100], v[101:102], v[97:98], v[99:100]
	s_waitcnt vmcnt(2)
	v_add_f64 v[105:106], v[105:106], -v[103:104]
	s_waitcnt vmcnt(0)
	v_add_f64 v[107:108], v[107:108], -v[99:100]
	buffer_store_dword v105, off, s[20:23], 0 ; 4-byte Folded Spill
	s_nop 0
	buffer_store_dword v106, off, s[20:23], 0 offset:4 ; 4-byte Folded Spill
	buffer_store_dword v107, off, s[20:23], 0 offset:8 ; 4-byte Folded Spill
	buffer_store_dword v108, off, s[20:23], 0 offset:12 ; 4-byte Folded Spill
	ds_read2_b64 v[99:102], v125 offset0:14 offset1:15
	s_waitcnt lgkmcnt(0)
	v_mul_f64 v[103:104], v[101:102], v[123:124]
	v_fma_f64 v[103:104], v[99:100], v[97:98], -v[103:104]
	v_mul_f64 v[99:100], v[99:100], v[123:124]
	v_add_f64 v[87:88], v[87:88], -v[103:104]
	v_fma_f64 v[99:100], v[101:102], v[97:98], v[99:100]
	v_add_f64 v[89:90], v[89:90], -v[99:100]
	ds_read2_b64 v[99:102], v125 offset0:16 offset1:17
	s_waitcnt lgkmcnt(0)
	v_mul_f64 v[103:104], v[101:102], v[123:124]
	v_fma_f64 v[103:104], v[99:100], v[97:98], -v[103:104]
	v_mul_f64 v[99:100], v[99:100], v[123:124]
	v_add_f64 v[109:110], v[109:110], -v[103:104]
	v_fma_f64 v[99:100], v[101:102], v[97:98], v[99:100]
	v_add_f64 v[111:112], v[111:112], -v[99:100]
	;; [unrolled: 8-line block ×25, first 2 shown]
	ds_read2_b64 v[99:102], v125 offset0:64 offset1:65
	s_waitcnt lgkmcnt(0)
	v_mul_f64 v[103:104], v[101:102], v[123:124]
	v_fma_f64 v[103:104], v[99:100], v[97:98], -v[103:104]
	v_mul_f64 v[99:100], v[99:100], v[123:124]
	buffer_store_dword v121, off, s[20:23], 0 offset:96 ; 4-byte Folded Spill
	s_nop 0
	buffer_store_dword v122, off, s[20:23], 0 offset:100 ; 4-byte Folded Spill
	buffer_store_dword v123, off, s[20:23], 0 offset:104 ; 4-byte Folded Spill
	;; [unrolled: 1-line block ×3, first 2 shown]
	v_add_f64 v[113:114], v[113:114], -v[103:104]
	v_fma_f64 v[99:100], v[101:102], v[97:98], v[99:100]
	v_add_f64 v[115:116], v[115:116], -v[99:100]
.LBB65_10:
	s_or_b64 exec, exec, s[4:5]
	v_cmp_eq_u32_e32 vcc, 1, v0
	s_waitcnt vmcnt(0)
	s_barrier
	s_and_saveexec_b64 s[4:5], vcc
	s_cbranch_execz .LBB65_17
; %bb.11:
	buffer_load_dword v97, off, s[20:23], 0 offset:80 ; 4-byte Folded Reload
	buffer_load_dword v98, off, s[20:23], 0 offset:84 ; 4-byte Folded Reload
	;; [unrolled: 1-line block ×4, first 2 shown]
	s_waitcnt vmcnt(0)
	ds_write2_b64 v127, v[97:98], v[99:100] offset1:1
	buffer_load_dword v97, off, s[20:23], 0 offset:64 ; 4-byte Folded Reload
	buffer_load_dword v98, off, s[20:23], 0 offset:68 ; 4-byte Folded Reload
	buffer_load_dword v99, off, s[20:23], 0 offset:72 ; 4-byte Folded Reload
	buffer_load_dword v100, off, s[20:23], 0 offset:76 ; 4-byte Folded Reload
	s_waitcnt vmcnt(0)
	ds_write2_b64 v125, v[97:98], v[99:100] offset0:4 offset1:5
	buffer_load_dword v97, off, s[20:23], 0 offset:48 ; 4-byte Folded Reload
	buffer_load_dword v98, off, s[20:23], 0 offset:52 ; 4-byte Folded Reload
	buffer_load_dword v99, off, s[20:23], 0 offset:56 ; 4-byte Folded Reload
	buffer_load_dword v100, off, s[20:23], 0 offset:60 ; 4-byte Folded Reload
	s_waitcnt vmcnt(0)
	ds_write2_b64 v125, v[97:98], v[99:100] offset0:6 offset1:7
	;; [unrolled: 6-line block ×4, first 2 shown]
	buffer_load_dword v97, off, s[20:23], 0 ; 4-byte Folded Reload
	buffer_load_dword v98, off, s[20:23], 0 offset:4 ; 4-byte Folded Reload
	buffer_load_dword v99, off, s[20:23], 0 offset:8 ; 4-byte Folded Reload
	;; [unrolled: 1-line block ×3, first 2 shown]
	s_waitcnt vmcnt(0)
	ds_write2_b64 v125, v[97:98], v[99:100] offset0:12 offset1:13
	ds_write2_b64 v125, v[87:88], v[89:90] offset0:14 offset1:15
	;; [unrolled: 1-line block ×27, first 2 shown]
	ds_read2_b64 v[97:100], v127 offset1:1
	s_waitcnt lgkmcnt(0)
	v_cmp_neq_f64_e32 vcc, 0, v[97:98]
	v_cmp_neq_f64_e64 s[2:3], 0, v[99:100]
	s_or_b64 s[2:3], vcc, s[2:3]
	s_and_b64 exec, exec, s[2:3]
	s_cbranch_execz .LBB65_17
; %bb.12:
	v_cmp_ngt_f64_e64 s[2:3], |v[97:98]|, |v[99:100]|
                                        ; implicit-def: $vgpr101_vgpr102
	s_and_saveexec_b64 s[6:7], s[2:3]
	s_xor_b64 s[2:3], exec, s[6:7]
                                        ; implicit-def: $vgpr103_vgpr104
	s_cbranch_execz .LBB65_14
; %bb.13:
	v_div_scale_f64 v[101:102], s[6:7], v[99:100], v[99:100], v[97:98]
	v_rcp_f64_e32 v[103:104], v[101:102]
	v_fma_f64 v[105:106], -v[101:102], v[103:104], 1.0
	v_fma_f64 v[103:104], v[103:104], v[105:106], v[103:104]
	v_div_scale_f64 v[105:106], vcc, v[97:98], v[99:100], v[97:98]
	v_fma_f64 v[107:108], -v[101:102], v[103:104], 1.0
	v_fma_f64 v[103:104], v[103:104], v[107:108], v[103:104]
	v_mul_f64 v[107:108], v[105:106], v[103:104]
	v_fma_f64 v[101:102], -v[101:102], v[107:108], v[105:106]
	v_div_fmas_f64 v[101:102], v[101:102], v[103:104], v[107:108]
	v_div_fixup_f64 v[101:102], v[101:102], v[99:100], v[97:98]
	v_fma_f64 v[97:98], v[97:98], v[101:102], v[99:100]
	v_div_scale_f64 v[99:100], s[6:7], v[97:98], v[97:98], 1.0
	v_div_scale_f64 v[107:108], vcc, 1.0, v[97:98], 1.0
	v_rcp_f64_e32 v[103:104], v[99:100]
	v_fma_f64 v[105:106], -v[99:100], v[103:104], 1.0
	v_fma_f64 v[103:104], v[103:104], v[105:106], v[103:104]
	v_fma_f64 v[105:106], -v[99:100], v[103:104], 1.0
	v_fma_f64 v[103:104], v[103:104], v[105:106], v[103:104]
	v_mul_f64 v[105:106], v[107:108], v[103:104]
	v_fma_f64 v[99:100], -v[99:100], v[105:106], v[107:108]
	v_div_fmas_f64 v[99:100], v[99:100], v[103:104], v[105:106]
	v_div_fixup_f64 v[103:104], v[99:100], v[97:98], 1.0
                                        ; implicit-def: $vgpr97_vgpr98
	v_mul_f64 v[101:102], v[101:102], v[103:104]
	v_xor_b32_e32 v104, 0x80000000, v104
.LBB65_14:
	s_andn2_saveexec_b64 s[2:3], s[2:3]
	s_cbranch_execz .LBB65_16
; %bb.15:
	v_div_scale_f64 v[101:102], s[6:7], v[97:98], v[97:98], v[99:100]
	v_rcp_f64_e32 v[103:104], v[101:102]
	v_fma_f64 v[105:106], -v[101:102], v[103:104], 1.0
	v_fma_f64 v[103:104], v[103:104], v[105:106], v[103:104]
	v_div_scale_f64 v[105:106], vcc, v[99:100], v[97:98], v[99:100]
	v_fma_f64 v[107:108], -v[101:102], v[103:104], 1.0
	v_fma_f64 v[103:104], v[103:104], v[107:108], v[103:104]
	v_mul_f64 v[107:108], v[105:106], v[103:104]
	v_fma_f64 v[101:102], -v[101:102], v[107:108], v[105:106]
	v_div_fmas_f64 v[101:102], v[101:102], v[103:104], v[107:108]
	v_div_fixup_f64 v[103:104], v[101:102], v[97:98], v[99:100]
	v_fma_f64 v[97:98], v[99:100], v[103:104], v[97:98]
	v_div_scale_f64 v[99:100], s[6:7], v[97:98], v[97:98], 1.0
	v_div_scale_f64 v[107:108], vcc, 1.0, v[97:98], 1.0
	v_rcp_f64_e32 v[101:102], v[99:100]
	v_fma_f64 v[105:106], -v[99:100], v[101:102], 1.0
	v_fma_f64 v[101:102], v[101:102], v[105:106], v[101:102]
	v_fma_f64 v[105:106], -v[99:100], v[101:102], 1.0
	v_fma_f64 v[101:102], v[101:102], v[105:106], v[101:102]
	v_mul_f64 v[105:106], v[107:108], v[101:102]
	v_fma_f64 v[99:100], -v[99:100], v[105:106], v[107:108]
	v_div_fmas_f64 v[99:100], v[99:100], v[101:102], v[105:106]
	v_div_fixup_f64 v[101:102], v[99:100], v[97:98], 1.0
	v_mul_f64 v[103:104], v[103:104], -v[101:102]
.LBB65_16:
	s_or_b64 exec, exec, s[2:3]
	ds_write2_b64 v127, v[101:102], v[103:104] offset1:1
.LBB65_17:
	s_or_b64 exec, exec, s[4:5]
	s_waitcnt lgkmcnt(0)
	s_barrier
	ds_read2_b64 v[97:100], v127 offset1:1
	v_cmp_lt_u32_e32 vcc, 1, v0
	s_waitcnt lgkmcnt(0)
	buffer_store_dword v97, off, s[20:23], 0 offset:392 ; 4-byte Folded Spill
	s_nop 0
	buffer_store_dword v98, off, s[20:23], 0 offset:396 ; 4-byte Folded Spill
	buffer_store_dword v99, off, s[20:23], 0 offset:400 ; 4-byte Folded Spill
	buffer_store_dword v100, off, s[20:23], 0 offset:404 ; 4-byte Folded Spill
	s_and_saveexec_b64 s[2:3], vcc
	s_cbranch_execz .LBB65_19
; %bb.18:
	buffer_load_dword v121, off, s[20:23], 0 offset:80 ; 4-byte Folded Reload
	buffer_load_dword v122, off, s[20:23], 0 offset:84 ; 4-byte Folded Reload
	;; [unrolled: 1-line block ×8, first 2 shown]
	s_waitcnt vmcnt(0)
	v_mul_f64 v[97:98], v[101:102], v[123:124]
	v_fma_f64 v[97:98], v[99:100], v[121:122], -v[97:98]
	v_mul_f64 v[99:100], v[99:100], v[123:124]
	v_fma_f64 v[123:124], v[101:102], v[121:122], v[99:100]
	ds_read2_b64 v[99:102], v125 offset0:4 offset1:5
	buffer_load_dword v105, off, s[20:23], 0 offset:64 ; 4-byte Folded Reload
	buffer_load_dword v106, off, s[20:23], 0 offset:68 ; 4-byte Folded Reload
	buffer_load_dword v107, off, s[20:23], 0 offset:72 ; 4-byte Folded Reload
	buffer_load_dword v108, off, s[20:23], 0 offset:76 ; 4-byte Folded Reload
	v_mov_b32_e32 v122, v98
	v_mov_b32_e32 v121, v97
	s_waitcnt lgkmcnt(0)
	v_mul_f64 v[103:104], v[101:102], v[123:124]
	v_fma_f64 v[103:104], v[99:100], v[97:98], -v[103:104]
	v_mul_f64 v[99:100], v[99:100], v[123:124]
	v_fma_f64 v[99:100], v[101:102], v[97:98], v[99:100]
	s_waitcnt vmcnt(2)
	v_add_f64 v[105:106], v[105:106], -v[103:104]
	s_waitcnt vmcnt(0)
	v_add_f64 v[107:108], v[107:108], -v[99:100]
	buffer_store_dword v105, off, s[20:23], 0 offset:64 ; 4-byte Folded Spill
	s_nop 0
	buffer_store_dword v106, off, s[20:23], 0 offset:68 ; 4-byte Folded Spill
	buffer_store_dword v107, off, s[20:23], 0 offset:72 ; 4-byte Folded Spill
	buffer_store_dword v108, off, s[20:23], 0 offset:76 ; 4-byte Folded Spill
	ds_read2_b64 v[99:102], v125 offset0:6 offset1:7
	buffer_load_dword v105, off, s[20:23], 0 offset:48 ; 4-byte Folded Reload
	buffer_load_dword v106, off, s[20:23], 0 offset:52 ; 4-byte Folded Reload
	buffer_load_dword v107, off, s[20:23], 0 offset:56 ; 4-byte Folded Reload
	buffer_load_dword v108, off, s[20:23], 0 offset:60 ; 4-byte Folded Reload
	s_waitcnt lgkmcnt(0)
	v_mul_f64 v[103:104], v[101:102], v[123:124]
	v_fma_f64 v[103:104], v[99:100], v[97:98], -v[103:104]
	v_mul_f64 v[99:100], v[99:100], v[123:124]
	v_fma_f64 v[99:100], v[101:102], v[97:98], v[99:100]
	s_waitcnt vmcnt(2)
	v_add_f64 v[105:106], v[105:106], -v[103:104]
	s_waitcnt vmcnt(0)
	v_add_f64 v[107:108], v[107:108], -v[99:100]
	buffer_store_dword v105, off, s[20:23], 0 offset:48 ; 4-byte Folded Spill
	s_nop 0
	buffer_store_dword v106, off, s[20:23], 0 offset:52 ; 4-byte Folded Spill
	buffer_store_dword v107, off, s[20:23], 0 offset:56 ; 4-byte Folded Spill
	buffer_store_dword v108, off, s[20:23], 0 offset:60 ; 4-byte Folded Spill
	ds_read2_b64 v[99:102], v125 offset0:8 offset1:9
	buffer_load_dword v105, off, s[20:23], 0 offset:32 ; 4-byte Folded Reload
	buffer_load_dword v106, off, s[20:23], 0 offset:36 ; 4-byte Folded Reload
	buffer_load_dword v107, off, s[20:23], 0 offset:40 ; 4-byte Folded Reload
	buffer_load_dword v108, off, s[20:23], 0 offset:44 ; 4-byte Folded Reload
	;; [unrolled: 19-line block ×3, first 2 shown]
	s_waitcnt lgkmcnt(0)
	v_mul_f64 v[103:104], v[101:102], v[123:124]
	v_fma_f64 v[103:104], v[99:100], v[97:98], -v[103:104]
	v_mul_f64 v[99:100], v[99:100], v[123:124]
	v_fma_f64 v[99:100], v[101:102], v[97:98], v[99:100]
	s_waitcnt vmcnt(2)
	v_add_f64 v[105:106], v[105:106], -v[103:104]
	s_waitcnt vmcnt(0)
	v_add_f64 v[107:108], v[107:108], -v[99:100]
	buffer_store_dword v105, off, s[20:23], 0 offset:16 ; 4-byte Folded Spill
	s_nop 0
	buffer_store_dword v106, off, s[20:23], 0 offset:20 ; 4-byte Folded Spill
	buffer_store_dword v107, off, s[20:23], 0 offset:24 ; 4-byte Folded Spill
	;; [unrolled: 1-line block ×3, first 2 shown]
	ds_read2_b64 v[99:102], v125 offset0:12 offset1:13
	buffer_load_dword v105, off, s[20:23], 0 ; 4-byte Folded Reload
	buffer_load_dword v106, off, s[20:23], 0 offset:4 ; 4-byte Folded Reload
	buffer_load_dword v107, off, s[20:23], 0 offset:8 ; 4-byte Folded Reload
	;; [unrolled: 1-line block ×3, first 2 shown]
	s_waitcnt lgkmcnt(0)
	v_mul_f64 v[103:104], v[101:102], v[123:124]
	v_fma_f64 v[103:104], v[99:100], v[97:98], -v[103:104]
	v_mul_f64 v[99:100], v[99:100], v[123:124]
	v_fma_f64 v[99:100], v[101:102], v[97:98], v[99:100]
	s_waitcnt vmcnt(2)
	v_add_f64 v[105:106], v[105:106], -v[103:104]
	s_waitcnt vmcnt(0)
	v_add_f64 v[107:108], v[107:108], -v[99:100]
	buffer_store_dword v105, off, s[20:23], 0 ; 4-byte Folded Spill
	s_nop 0
	buffer_store_dword v106, off, s[20:23], 0 offset:4 ; 4-byte Folded Spill
	buffer_store_dword v107, off, s[20:23], 0 offset:8 ; 4-byte Folded Spill
	;; [unrolled: 1-line block ×3, first 2 shown]
	ds_read2_b64 v[99:102], v125 offset0:14 offset1:15
	s_waitcnt lgkmcnt(0)
	v_mul_f64 v[103:104], v[101:102], v[123:124]
	v_fma_f64 v[103:104], v[99:100], v[97:98], -v[103:104]
	v_mul_f64 v[99:100], v[99:100], v[123:124]
	v_add_f64 v[87:88], v[87:88], -v[103:104]
	v_fma_f64 v[99:100], v[101:102], v[97:98], v[99:100]
	v_add_f64 v[89:90], v[89:90], -v[99:100]
	ds_read2_b64 v[99:102], v125 offset0:16 offset1:17
	s_waitcnt lgkmcnt(0)
	v_mul_f64 v[103:104], v[101:102], v[123:124]
	v_fma_f64 v[103:104], v[99:100], v[97:98], -v[103:104]
	v_mul_f64 v[99:100], v[99:100], v[123:124]
	v_add_f64 v[109:110], v[109:110], -v[103:104]
	v_fma_f64 v[99:100], v[101:102], v[97:98], v[99:100]
	v_add_f64 v[111:112], v[111:112], -v[99:100]
	;; [unrolled: 8-line block ×25, first 2 shown]
	ds_read2_b64 v[99:102], v125 offset0:64 offset1:65
	s_waitcnt lgkmcnt(0)
	v_mul_f64 v[103:104], v[101:102], v[123:124]
	v_fma_f64 v[103:104], v[99:100], v[97:98], -v[103:104]
	v_mul_f64 v[99:100], v[99:100], v[123:124]
	buffer_store_dword v121, off, s[20:23], 0 offset:80 ; 4-byte Folded Spill
	s_nop 0
	buffer_store_dword v122, off, s[20:23], 0 offset:84 ; 4-byte Folded Spill
	buffer_store_dword v123, off, s[20:23], 0 offset:88 ; 4-byte Folded Spill
	;; [unrolled: 1-line block ×3, first 2 shown]
	v_add_f64 v[113:114], v[113:114], -v[103:104]
	v_fma_f64 v[99:100], v[101:102], v[97:98], v[99:100]
	v_add_f64 v[115:116], v[115:116], -v[99:100]
.LBB65_19:
	s_or_b64 exec, exec, s[2:3]
	v_cmp_eq_u32_e32 vcc, 2, v0
	s_waitcnt vmcnt(0)
	s_barrier
	s_and_saveexec_b64 s[4:5], vcc
	s_cbranch_execz .LBB65_26
; %bb.20:
	buffer_load_dword v97, off, s[20:23], 0 offset:64 ; 4-byte Folded Reload
	buffer_load_dword v98, off, s[20:23], 0 offset:68 ; 4-byte Folded Reload
	;; [unrolled: 1-line block ×4, first 2 shown]
	s_waitcnt vmcnt(0)
	ds_write2_b64 v127, v[97:98], v[99:100] offset1:1
	buffer_load_dword v97, off, s[20:23], 0 offset:48 ; 4-byte Folded Reload
	buffer_load_dword v98, off, s[20:23], 0 offset:52 ; 4-byte Folded Reload
	buffer_load_dword v99, off, s[20:23], 0 offset:56 ; 4-byte Folded Reload
	buffer_load_dword v100, off, s[20:23], 0 offset:60 ; 4-byte Folded Reload
	s_waitcnt vmcnt(0)
	ds_write2_b64 v125, v[97:98], v[99:100] offset0:6 offset1:7
	buffer_load_dword v97, off, s[20:23], 0 offset:32 ; 4-byte Folded Reload
	buffer_load_dword v98, off, s[20:23], 0 offset:36 ; 4-byte Folded Reload
	buffer_load_dword v99, off, s[20:23], 0 offset:40 ; 4-byte Folded Reload
	buffer_load_dword v100, off, s[20:23], 0 offset:44 ; 4-byte Folded Reload
	s_waitcnt vmcnt(0)
	ds_write2_b64 v125, v[97:98], v[99:100] offset0:8 offset1:9
	buffer_load_dword v97, off, s[20:23], 0 offset:16 ; 4-byte Folded Reload
	buffer_load_dword v98, off, s[20:23], 0 offset:20 ; 4-byte Folded Reload
	buffer_load_dword v99, off, s[20:23], 0 offset:24 ; 4-byte Folded Reload
	buffer_load_dword v100, off, s[20:23], 0 offset:28 ; 4-byte Folded Reload
	s_waitcnt vmcnt(0)
	ds_write2_b64 v125, v[97:98], v[99:100] offset0:10 offset1:11
	buffer_load_dword v97, off, s[20:23], 0 ; 4-byte Folded Reload
	buffer_load_dword v98, off, s[20:23], 0 offset:4 ; 4-byte Folded Reload
	buffer_load_dword v99, off, s[20:23], 0 offset:8 ; 4-byte Folded Reload
	buffer_load_dword v100, off, s[20:23], 0 offset:12 ; 4-byte Folded Reload
	s_waitcnt vmcnt(0)
	ds_write2_b64 v125, v[97:98], v[99:100] offset0:12 offset1:13
	ds_write2_b64 v125, v[87:88], v[89:90] offset0:14 offset1:15
	;; [unrolled: 1-line block ×27, first 2 shown]
	ds_read2_b64 v[97:100], v127 offset1:1
	s_waitcnt lgkmcnt(0)
	v_cmp_neq_f64_e32 vcc, 0, v[97:98]
	v_cmp_neq_f64_e64 s[2:3], 0, v[99:100]
	s_or_b64 s[2:3], vcc, s[2:3]
	s_and_b64 exec, exec, s[2:3]
	s_cbranch_execz .LBB65_26
; %bb.21:
	v_cmp_ngt_f64_e64 s[2:3], |v[97:98]|, |v[99:100]|
                                        ; implicit-def: $vgpr101_vgpr102
	s_and_saveexec_b64 s[6:7], s[2:3]
	s_xor_b64 s[2:3], exec, s[6:7]
                                        ; implicit-def: $vgpr103_vgpr104
	s_cbranch_execz .LBB65_23
; %bb.22:
	v_div_scale_f64 v[101:102], s[6:7], v[99:100], v[99:100], v[97:98]
	v_rcp_f64_e32 v[103:104], v[101:102]
	v_fma_f64 v[105:106], -v[101:102], v[103:104], 1.0
	v_fma_f64 v[103:104], v[103:104], v[105:106], v[103:104]
	v_div_scale_f64 v[105:106], vcc, v[97:98], v[99:100], v[97:98]
	v_fma_f64 v[107:108], -v[101:102], v[103:104], 1.0
	v_fma_f64 v[103:104], v[103:104], v[107:108], v[103:104]
	v_mul_f64 v[107:108], v[105:106], v[103:104]
	v_fma_f64 v[101:102], -v[101:102], v[107:108], v[105:106]
	v_div_fmas_f64 v[101:102], v[101:102], v[103:104], v[107:108]
	v_div_fixup_f64 v[101:102], v[101:102], v[99:100], v[97:98]
	v_fma_f64 v[97:98], v[97:98], v[101:102], v[99:100]
	v_div_scale_f64 v[99:100], s[6:7], v[97:98], v[97:98], 1.0
	v_div_scale_f64 v[107:108], vcc, 1.0, v[97:98], 1.0
	v_rcp_f64_e32 v[103:104], v[99:100]
	v_fma_f64 v[105:106], -v[99:100], v[103:104], 1.0
	v_fma_f64 v[103:104], v[103:104], v[105:106], v[103:104]
	v_fma_f64 v[105:106], -v[99:100], v[103:104], 1.0
	v_fma_f64 v[103:104], v[103:104], v[105:106], v[103:104]
	v_mul_f64 v[105:106], v[107:108], v[103:104]
	v_fma_f64 v[99:100], -v[99:100], v[105:106], v[107:108]
	v_div_fmas_f64 v[99:100], v[99:100], v[103:104], v[105:106]
	v_div_fixup_f64 v[103:104], v[99:100], v[97:98], 1.0
                                        ; implicit-def: $vgpr97_vgpr98
	v_mul_f64 v[101:102], v[101:102], v[103:104]
	v_xor_b32_e32 v104, 0x80000000, v104
.LBB65_23:
	s_andn2_saveexec_b64 s[2:3], s[2:3]
	s_cbranch_execz .LBB65_25
; %bb.24:
	v_div_scale_f64 v[101:102], s[6:7], v[97:98], v[97:98], v[99:100]
	v_rcp_f64_e32 v[103:104], v[101:102]
	v_fma_f64 v[105:106], -v[101:102], v[103:104], 1.0
	v_fma_f64 v[103:104], v[103:104], v[105:106], v[103:104]
	v_div_scale_f64 v[105:106], vcc, v[99:100], v[97:98], v[99:100]
	v_fma_f64 v[107:108], -v[101:102], v[103:104], 1.0
	v_fma_f64 v[103:104], v[103:104], v[107:108], v[103:104]
	v_mul_f64 v[107:108], v[105:106], v[103:104]
	v_fma_f64 v[101:102], -v[101:102], v[107:108], v[105:106]
	v_div_fmas_f64 v[101:102], v[101:102], v[103:104], v[107:108]
	v_div_fixup_f64 v[103:104], v[101:102], v[97:98], v[99:100]
	v_fma_f64 v[97:98], v[99:100], v[103:104], v[97:98]
	v_div_scale_f64 v[99:100], s[6:7], v[97:98], v[97:98], 1.0
	v_div_scale_f64 v[107:108], vcc, 1.0, v[97:98], 1.0
	v_rcp_f64_e32 v[101:102], v[99:100]
	v_fma_f64 v[105:106], -v[99:100], v[101:102], 1.0
	v_fma_f64 v[101:102], v[101:102], v[105:106], v[101:102]
	v_fma_f64 v[105:106], -v[99:100], v[101:102], 1.0
	v_fma_f64 v[101:102], v[101:102], v[105:106], v[101:102]
	v_mul_f64 v[105:106], v[107:108], v[101:102]
	v_fma_f64 v[99:100], -v[99:100], v[105:106], v[107:108]
	v_div_fmas_f64 v[99:100], v[99:100], v[101:102], v[105:106]
	v_div_fixup_f64 v[101:102], v[99:100], v[97:98], 1.0
	v_mul_f64 v[103:104], v[103:104], -v[101:102]
.LBB65_25:
	s_or_b64 exec, exec, s[2:3]
	ds_write2_b64 v127, v[101:102], v[103:104] offset1:1
.LBB65_26:
	s_or_b64 exec, exec, s[4:5]
	s_waitcnt lgkmcnt(0)
	s_barrier
	ds_read2_b64 v[97:100], v127 offset1:1
	v_cmp_lt_u32_e32 vcc, 2, v0
	s_waitcnt lgkmcnt(0)
	buffer_store_dword v97, off, s[20:23], 0 offset:408 ; 4-byte Folded Spill
	s_nop 0
	buffer_store_dword v98, off, s[20:23], 0 offset:412 ; 4-byte Folded Spill
	buffer_store_dword v99, off, s[20:23], 0 offset:416 ; 4-byte Folded Spill
	buffer_store_dword v100, off, s[20:23], 0 offset:420 ; 4-byte Folded Spill
	s_and_saveexec_b64 s[2:3], vcc
	s_cbranch_execz .LBB65_28
; %bb.27:
	buffer_load_dword v121, off, s[20:23], 0 offset:64 ; 4-byte Folded Reload
	buffer_load_dword v122, off, s[20:23], 0 offset:68 ; 4-byte Folded Reload
	;; [unrolled: 1-line block ×8, first 2 shown]
	s_waitcnt vmcnt(0)
	v_mul_f64 v[97:98], v[101:102], v[123:124]
	v_fma_f64 v[97:98], v[99:100], v[121:122], -v[97:98]
	v_mul_f64 v[99:100], v[99:100], v[123:124]
	v_fma_f64 v[123:124], v[101:102], v[121:122], v[99:100]
	ds_read2_b64 v[99:102], v125 offset0:6 offset1:7
	buffer_load_dword v105, off, s[20:23], 0 offset:48 ; 4-byte Folded Reload
	buffer_load_dword v106, off, s[20:23], 0 offset:52 ; 4-byte Folded Reload
	;; [unrolled: 1-line block ×4, first 2 shown]
	v_mov_b32_e32 v122, v98
	v_mov_b32_e32 v121, v97
	s_waitcnt lgkmcnt(0)
	v_mul_f64 v[103:104], v[101:102], v[123:124]
	v_fma_f64 v[103:104], v[99:100], v[97:98], -v[103:104]
	v_mul_f64 v[99:100], v[99:100], v[123:124]
	v_fma_f64 v[99:100], v[101:102], v[97:98], v[99:100]
	s_waitcnt vmcnt(2)
	v_add_f64 v[105:106], v[105:106], -v[103:104]
	s_waitcnt vmcnt(0)
	v_add_f64 v[107:108], v[107:108], -v[99:100]
	buffer_store_dword v105, off, s[20:23], 0 offset:48 ; 4-byte Folded Spill
	s_nop 0
	buffer_store_dword v106, off, s[20:23], 0 offset:52 ; 4-byte Folded Spill
	buffer_store_dword v107, off, s[20:23], 0 offset:56 ; 4-byte Folded Spill
	;; [unrolled: 1-line block ×3, first 2 shown]
	ds_read2_b64 v[99:102], v125 offset0:8 offset1:9
	buffer_load_dword v105, off, s[20:23], 0 offset:32 ; 4-byte Folded Reload
	buffer_load_dword v106, off, s[20:23], 0 offset:36 ; 4-byte Folded Reload
	;; [unrolled: 1-line block ×4, first 2 shown]
	s_waitcnt lgkmcnt(0)
	v_mul_f64 v[103:104], v[101:102], v[123:124]
	v_fma_f64 v[103:104], v[99:100], v[97:98], -v[103:104]
	v_mul_f64 v[99:100], v[99:100], v[123:124]
	v_fma_f64 v[99:100], v[101:102], v[97:98], v[99:100]
	s_waitcnt vmcnt(2)
	v_add_f64 v[105:106], v[105:106], -v[103:104]
	s_waitcnt vmcnt(0)
	v_add_f64 v[107:108], v[107:108], -v[99:100]
	buffer_store_dword v105, off, s[20:23], 0 offset:32 ; 4-byte Folded Spill
	s_nop 0
	buffer_store_dword v106, off, s[20:23], 0 offset:36 ; 4-byte Folded Spill
	buffer_store_dword v107, off, s[20:23], 0 offset:40 ; 4-byte Folded Spill
	buffer_store_dword v108, off, s[20:23], 0 offset:44 ; 4-byte Folded Spill
	ds_read2_b64 v[99:102], v125 offset0:10 offset1:11
	buffer_load_dword v105, off, s[20:23], 0 offset:16 ; 4-byte Folded Reload
	buffer_load_dword v106, off, s[20:23], 0 offset:20 ; 4-byte Folded Reload
	;; [unrolled: 1-line block ×4, first 2 shown]
	s_waitcnt lgkmcnt(0)
	v_mul_f64 v[103:104], v[101:102], v[123:124]
	v_fma_f64 v[103:104], v[99:100], v[97:98], -v[103:104]
	v_mul_f64 v[99:100], v[99:100], v[123:124]
	v_fma_f64 v[99:100], v[101:102], v[97:98], v[99:100]
	s_waitcnt vmcnt(2)
	v_add_f64 v[105:106], v[105:106], -v[103:104]
	s_waitcnt vmcnt(0)
	v_add_f64 v[107:108], v[107:108], -v[99:100]
	buffer_store_dword v105, off, s[20:23], 0 offset:16 ; 4-byte Folded Spill
	s_nop 0
	buffer_store_dword v106, off, s[20:23], 0 offset:20 ; 4-byte Folded Spill
	buffer_store_dword v107, off, s[20:23], 0 offset:24 ; 4-byte Folded Spill
	;; [unrolled: 1-line block ×3, first 2 shown]
	ds_read2_b64 v[99:102], v125 offset0:12 offset1:13
	buffer_load_dword v105, off, s[20:23], 0 ; 4-byte Folded Reload
	buffer_load_dword v106, off, s[20:23], 0 offset:4 ; 4-byte Folded Reload
	buffer_load_dword v107, off, s[20:23], 0 offset:8 ; 4-byte Folded Reload
	;; [unrolled: 1-line block ×3, first 2 shown]
	s_waitcnt lgkmcnt(0)
	v_mul_f64 v[103:104], v[101:102], v[123:124]
	v_fma_f64 v[103:104], v[99:100], v[97:98], -v[103:104]
	v_mul_f64 v[99:100], v[99:100], v[123:124]
	v_fma_f64 v[99:100], v[101:102], v[97:98], v[99:100]
	s_waitcnt vmcnt(2)
	v_add_f64 v[105:106], v[105:106], -v[103:104]
	s_waitcnt vmcnt(0)
	v_add_f64 v[107:108], v[107:108], -v[99:100]
	buffer_store_dword v105, off, s[20:23], 0 ; 4-byte Folded Spill
	s_nop 0
	buffer_store_dword v106, off, s[20:23], 0 offset:4 ; 4-byte Folded Spill
	buffer_store_dword v107, off, s[20:23], 0 offset:8 ; 4-byte Folded Spill
	;; [unrolled: 1-line block ×3, first 2 shown]
	ds_read2_b64 v[99:102], v125 offset0:14 offset1:15
	s_waitcnt lgkmcnt(0)
	v_mul_f64 v[103:104], v[101:102], v[123:124]
	v_fma_f64 v[103:104], v[99:100], v[97:98], -v[103:104]
	v_mul_f64 v[99:100], v[99:100], v[123:124]
	v_add_f64 v[87:88], v[87:88], -v[103:104]
	v_fma_f64 v[99:100], v[101:102], v[97:98], v[99:100]
	v_add_f64 v[89:90], v[89:90], -v[99:100]
	ds_read2_b64 v[99:102], v125 offset0:16 offset1:17
	s_waitcnt lgkmcnt(0)
	v_mul_f64 v[103:104], v[101:102], v[123:124]
	v_fma_f64 v[103:104], v[99:100], v[97:98], -v[103:104]
	v_mul_f64 v[99:100], v[99:100], v[123:124]
	v_add_f64 v[109:110], v[109:110], -v[103:104]
	v_fma_f64 v[99:100], v[101:102], v[97:98], v[99:100]
	v_add_f64 v[111:112], v[111:112], -v[99:100]
	;; [unrolled: 8-line block ×25, first 2 shown]
	ds_read2_b64 v[99:102], v125 offset0:64 offset1:65
	s_waitcnt lgkmcnt(0)
	v_mul_f64 v[103:104], v[101:102], v[123:124]
	v_fma_f64 v[103:104], v[99:100], v[97:98], -v[103:104]
	v_mul_f64 v[99:100], v[99:100], v[123:124]
	buffer_store_dword v121, off, s[20:23], 0 offset:64 ; 4-byte Folded Spill
	s_nop 0
	buffer_store_dword v122, off, s[20:23], 0 offset:68 ; 4-byte Folded Spill
	buffer_store_dword v123, off, s[20:23], 0 offset:72 ; 4-byte Folded Spill
	buffer_store_dword v124, off, s[20:23], 0 offset:76 ; 4-byte Folded Spill
	v_add_f64 v[113:114], v[113:114], -v[103:104]
	v_fma_f64 v[99:100], v[101:102], v[97:98], v[99:100]
	v_add_f64 v[115:116], v[115:116], -v[99:100]
.LBB65_28:
	s_or_b64 exec, exec, s[2:3]
	v_cmp_eq_u32_e32 vcc, 3, v0
	s_waitcnt vmcnt(0)
	s_barrier
	s_and_saveexec_b64 s[4:5], vcc
	s_cbranch_execz .LBB65_35
; %bb.29:
	buffer_load_dword v97, off, s[20:23], 0 offset:48 ; 4-byte Folded Reload
	buffer_load_dword v98, off, s[20:23], 0 offset:52 ; 4-byte Folded Reload
	;; [unrolled: 1-line block ×4, first 2 shown]
	s_waitcnt vmcnt(0)
	ds_write2_b64 v127, v[97:98], v[99:100] offset1:1
	buffer_load_dword v97, off, s[20:23], 0 offset:32 ; 4-byte Folded Reload
	buffer_load_dword v98, off, s[20:23], 0 offset:36 ; 4-byte Folded Reload
	;; [unrolled: 1-line block ×4, first 2 shown]
	s_waitcnt vmcnt(0)
	ds_write2_b64 v125, v[97:98], v[99:100] offset0:8 offset1:9
	buffer_load_dword v97, off, s[20:23], 0 offset:16 ; 4-byte Folded Reload
	buffer_load_dword v98, off, s[20:23], 0 offset:20 ; 4-byte Folded Reload
	;; [unrolled: 1-line block ×4, first 2 shown]
	s_waitcnt vmcnt(0)
	ds_write2_b64 v125, v[97:98], v[99:100] offset0:10 offset1:11
	buffer_load_dword v97, off, s[20:23], 0 ; 4-byte Folded Reload
	buffer_load_dword v98, off, s[20:23], 0 offset:4 ; 4-byte Folded Reload
	buffer_load_dword v99, off, s[20:23], 0 offset:8 ; 4-byte Folded Reload
	buffer_load_dword v100, off, s[20:23], 0 offset:12 ; 4-byte Folded Reload
	s_waitcnt vmcnt(0)
	ds_write2_b64 v125, v[97:98], v[99:100] offset0:12 offset1:13
	ds_write2_b64 v125, v[87:88], v[89:90] offset0:14 offset1:15
	;; [unrolled: 1-line block ×27, first 2 shown]
	ds_read2_b64 v[97:100], v127 offset1:1
	s_waitcnt lgkmcnt(0)
	v_cmp_neq_f64_e32 vcc, 0, v[97:98]
	v_cmp_neq_f64_e64 s[2:3], 0, v[99:100]
	s_or_b64 s[2:3], vcc, s[2:3]
	s_and_b64 exec, exec, s[2:3]
	s_cbranch_execz .LBB65_35
; %bb.30:
	v_cmp_ngt_f64_e64 s[2:3], |v[97:98]|, |v[99:100]|
                                        ; implicit-def: $vgpr101_vgpr102
	s_and_saveexec_b64 s[6:7], s[2:3]
	s_xor_b64 s[2:3], exec, s[6:7]
                                        ; implicit-def: $vgpr103_vgpr104
	s_cbranch_execz .LBB65_32
; %bb.31:
	v_div_scale_f64 v[101:102], s[6:7], v[99:100], v[99:100], v[97:98]
	v_rcp_f64_e32 v[103:104], v[101:102]
	v_fma_f64 v[105:106], -v[101:102], v[103:104], 1.0
	v_fma_f64 v[103:104], v[103:104], v[105:106], v[103:104]
	v_div_scale_f64 v[105:106], vcc, v[97:98], v[99:100], v[97:98]
	v_fma_f64 v[107:108], -v[101:102], v[103:104], 1.0
	v_fma_f64 v[103:104], v[103:104], v[107:108], v[103:104]
	v_mul_f64 v[107:108], v[105:106], v[103:104]
	v_fma_f64 v[101:102], -v[101:102], v[107:108], v[105:106]
	v_div_fmas_f64 v[101:102], v[101:102], v[103:104], v[107:108]
	v_div_fixup_f64 v[101:102], v[101:102], v[99:100], v[97:98]
	v_fma_f64 v[97:98], v[97:98], v[101:102], v[99:100]
	v_div_scale_f64 v[99:100], s[6:7], v[97:98], v[97:98], 1.0
	v_div_scale_f64 v[107:108], vcc, 1.0, v[97:98], 1.0
	v_rcp_f64_e32 v[103:104], v[99:100]
	v_fma_f64 v[105:106], -v[99:100], v[103:104], 1.0
	v_fma_f64 v[103:104], v[103:104], v[105:106], v[103:104]
	v_fma_f64 v[105:106], -v[99:100], v[103:104], 1.0
	v_fma_f64 v[103:104], v[103:104], v[105:106], v[103:104]
	v_mul_f64 v[105:106], v[107:108], v[103:104]
	v_fma_f64 v[99:100], -v[99:100], v[105:106], v[107:108]
	v_div_fmas_f64 v[99:100], v[99:100], v[103:104], v[105:106]
	v_div_fixup_f64 v[103:104], v[99:100], v[97:98], 1.0
                                        ; implicit-def: $vgpr97_vgpr98
	v_mul_f64 v[101:102], v[101:102], v[103:104]
	v_xor_b32_e32 v104, 0x80000000, v104
.LBB65_32:
	s_andn2_saveexec_b64 s[2:3], s[2:3]
	s_cbranch_execz .LBB65_34
; %bb.33:
	v_div_scale_f64 v[101:102], s[6:7], v[97:98], v[97:98], v[99:100]
	v_rcp_f64_e32 v[103:104], v[101:102]
	v_fma_f64 v[105:106], -v[101:102], v[103:104], 1.0
	v_fma_f64 v[103:104], v[103:104], v[105:106], v[103:104]
	v_div_scale_f64 v[105:106], vcc, v[99:100], v[97:98], v[99:100]
	v_fma_f64 v[107:108], -v[101:102], v[103:104], 1.0
	v_fma_f64 v[103:104], v[103:104], v[107:108], v[103:104]
	v_mul_f64 v[107:108], v[105:106], v[103:104]
	v_fma_f64 v[101:102], -v[101:102], v[107:108], v[105:106]
	v_div_fmas_f64 v[101:102], v[101:102], v[103:104], v[107:108]
	v_div_fixup_f64 v[103:104], v[101:102], v[97:98], v[99:100]
	v_fma_f64 v[97:98], v[99:100], v[103:104], v[97:98]
	v_div_scale_f64 v[99:100], s[6:7], v[97:98], v[97:98], 1.0
	v_div_scale_f64 v[107:108], vcc, 1.0, v[97:98], 1.0
	v_rcp_f64_e32 v[101:102], v[99:100]
	v_fma_f64 v[105:106], -v[99:100], v[101:102], 1.0
	v_fma_f64 v[101:102], v[101:102], v[105:106], v[101:102]
	v_fma_f64 v[105:106], -v[99:100], v[101:102], 1.0
	v_fma_f64 v[101:102], v[101:102], v[105:106], v[101:102]
	v_mul_f64 v[105:106], v[107:108], v[101:102]
	v_fma_f64 v[99:100], -v[99:100], v[105:106], v[107:108]
	v_div_fmas_f64 v[99:100], v[99:100], v[101:102], v[105:106]
	v_div_fixup_f64 v[101:102], v[99:100], v[97:98], 1.0
	v_mul_f64 v[103:104], v[103:104], -v[101:102]
.LBB65_34:
	s_or_b64 exec, exec, s[2:3]
	ds_write2_b64 v127, v[101:102], v[103:104] offset1:1
.LBB65_35:
	s_or_b64 exec, exec, s[4:5]
	s_waitcnt lgkmcnt(0)
	s_barrier
	ds_read2_b64 v[97:100], v127 offset1:1
	v_cmp_lt_u32_e32 vcc, 3, v0
	s_waitcnt lgkmcnt(0)
	buffer_store_dword v97, off, s[20:23], 0 offset:424 ; 4-byte Folded Spill
	s_nop 0
	buffer_store_dword v98, off, s[20:23], 0 offset:428 ; 4-byte Folded Spill
	buffer_store_dword v99, off, s[20:23], 0 offset:432 ; 4-byte Folded Spill
	;; [unrolled: 1-line block ×3, first 2 shown]
	s_and_saveexec_b64 s[2:3], vcc
	s_cbranch_execz .LBB65_37
; %bb.36:
	buffer_load_dword v121, off, s[20:23], 0 offset:48 ; 4-byte Folded Reload
	buffer_load_dword v122, off, s[20:23], 0 offset:52 ; 4-byte Folded Reload
	buffer_load_dword v123, off, s[20:23], 0 offset:56 ; 4-byte Folded Reload
	buffer_load_dword v124, off, s[20:23], 0 offset:60 ; 4-byte Folded Reload
	buffer_load_dword v99, off, s[20:23], 0 offset:424 ; 4-byte Folded Reload
	buffer_load_dword v100, off, s[20:23], 0 offset:428 ; 4-byte Folded Reload
	buffer_load_dword v101, off, s[20:23], 0 offset:432 ; 4-byte Folded Reload
	buffer_load_dword v102, off, s[20:23], 0 offset:436 ; 4-byte Folded Reload
	s_waitcnt vmcnt(0)
	v_mul_f64 v[97:98], v[101:102], v[123:124]
	v_fma_f64 v[97:98], v[99:100], v[121:122], -v[97:98]
	v_mul_f64 v[99:100], v[99:100], v[123:124]
	v_fma_f64 v[123:124], v[101:102], v[121:122], v[99:100]
	ds_read2_b64 v[99:102], v125 offset0:8 offset1:9
	buffer_load_dword v105, off, s[20:23], 0 offset:32 ; 4-byte Folded Reload
	buffer_load_dword v106, off, s[20:23], 0 offset:36 ; 4-byte Folded Reload
	;; [unrolled: 1-line block ×4, first 2 shown]
	v_mov_b32_e32 v122, v98
	v_mov_b32_e32 v121, v97
	s_waitcnt lgkmcnt(0)
	v_mul_f64 v[103:104], v[101:102], v[123:124]
	v_fma_f64 v[103:104], v[99:100], v[97:98], -v[103:104]
	v_mul_f64 v[99:100], v[99:100], v[123:124]
	v_fma_f64 v[99:100], v[101:102], v[97:98], v[99:100]
	s_waitcnt vmcnt(2)
	v_add_f64 v[105:106], v[105:106], -v[103:104]
	s_waitcnt vmcnt(0)
	v_add_f64 v[107:108], v[107:108], -v[99:100]
	buffer_store_dword v105, off, s[20:23], 0 offset:32 ; 4-byte Folded Spill
	s_nop 0
	buffer_store_dword v106, off, s[20:23], 0 offset:36 ; 4-byte Folded Spill
	buffer_store_dword v107, off, s[20:23], 0 offset:40 ; 4-byte Folded Spill
	;; [unrolled: 1-line block ×3, first 2 shown]
	ds_read2_b64 v[99:102], v125 offset0:10 offset1:11
	buffer_load_dword v105, off, s[20:23], 0 offset:16 ; 4-byte Folded Reload
	buffer_load_dword v106, off, s[20:23], 0 offset:20 ; 4-byte Folded Reload
	;; [unrolled: 1-line block ×4, first 2 shown]
	s_waitcnt lgkmcnt(0)
	v_mul_f64 v[103:104], v[101:102], v[123:124]
	v_fma_f64 v[103:104], v[99:100], v[97:98], -v[103:104]
	v_mul_f64 v[99:100], v[99:100], v[123:124]
	v_fma_f64 v[99:100], v[101:102], v[97:98], v[99:100]
	s_waitcnt vmcnt(2)
	v_add_f64 v[105:106], v[105:106], -v[103:104]
	s_waitcnt vmcnt(0)
	v_add_f64 v[107:108], v[107:108], -v[99:100]
	buffer_store_dword v105, off, s[20:23], 0 offset:16 ; 4-byte Folded Spill
	s_nop 0
	buffer_store_dword v106, off, s[20:23], 0 offset:20 ; 4-byte Folded Spill
	buffer_store_dword v107, off, s[20:23], 0 offset:24 ; 4-byte Folded Spill
	;; [unrolled: 1-line block ×3, first 2 shown]
	ds_read2_b64 v[99:102], v125 offset0:12 offset1:13
	buffer_load_dword v105, off, s[20:23], 0 ; 4-byte Folded Reload
	buffer_load_dword v106, off, s[20:23], 0 offset:4 ; 4-byte Folded Reload
	buffer_load_dword v107, off, s[20:23], 0 offset:8 ; 4-byte Folded Reload
	;; [unrolled: 1-line block ×3, first 2 shown]
	s_waitcnt lgkmcnt(0)
	v_mul_f64 v[103:104], v[101:102], v[123:124]
	v_fma_f64 v[103:104], v[99:100], v[97:98], -v[103:104]
	v_mul_f64 v[99:100], v[99:100], v[123:124]
	v_fma_f64 v[99:100], v[101:102], v[97:98], v[99:100]
	s_waitcnt vmcnt(2)
	v_add_f64 v[105:106], v[105:106], -v[103:104]
	s_waitcnt vmcnt(0)
	v_add_f64 v[107:108], v[107:108], -v[99:100]
	buffer_store_dword v105, off, s[20:23], 0 ; 4-byte Folded Spill
	s_nop 0
	buffer_store_dword v106, off, s[20:23], 0 offset:4 ; 4-byte Folded Spill
	buffer_store_dword v107, off, s[20:23], 0 offset:8 ; 4-byte Folded Spill
	;; [unrolled: 1-line block ×3, first 2 shown]
	ds_read2_b64 v[99:102], v125 offset0:14 offset1:15
	s_waitcnt lgkmcnt(0)
	v_mul_f64 v[103:104], v[101:102], v[123:124]
	v_fma_f64 v[103:104], v[99:100], v[97:98], -v[103:104]
	v_mul_f64 v[99:100], v[99:100], v[123:124]
	v_add_f64 v[87:88], v[87:88], -v[103:104]
	v_fma_f64 v[99:100], v[101:102], v[97:98], v[99:100]
	v_add_f64 v[89:90], v[89:90], -v[99:100]
	ds_read2_b64 v[99:102], v125 offset0:16 offset1:17
	s_waitcnt lgkmcnt(0)
	v_mul_f64 v[103:104], v[101:102], v[123:124]
	v_fma_f64 v[103:104], v[99:100], v[97:98], -v[103:104]
	v_mul_f64 v[99:100], v[99:100], v[123:124]
	v_add_f64 v[109:110], v[109:110], -v[103:104]
	v_fma_f64 v[99:100], v[101:102], v[97:98], v[99:100]
	v_add_f64 v[111:112], v[111:112], -v[99:100]
	ds_read2_b64 v[99:102], v125 offset0:18 offset1:19
	s_waitcnt lgkmcnt(0)
	v_mul_f64 v[103:104], v[101:102], v[123:124]
	v_fma_f64 v[103:104], v[99:100], v[97:98], -v[103:104]
	v_mul_f64 v[99:100], v[99:100], v[123:124]
	v_add_f64 v[117:118], v[117:118], -v[103:104]
	v_fma_f64 v[99:100], v[101:102], v[97:98], v[99:100]
	v_add_f64 v[119:120], v[119:120], -v[99:100]
	ds_read2_b64 v[99:102], v125 offset0:20 offset1:21
	s_waitcnt lgkmcnt(0)
	v_mul_f64 v[103:104], v[101:102], v[123:124]
	v_fma_f64 v[103:104], v[99:100], v[97:98], -v[103:104]
	v_mul_f64 v[99:100], v[99:100], v[123:124]
	v_add_f64 v[93:94], v[93:94], -v[103:104]
	v_fma_f64 v[99:100], v[101:102], v[97:98], v[99:100]
	v_add_f64 v[95:96], v[95:96], -v[99:100]
	ds_read2_b64 v[99:102], v125 offset0:22 offset1:23
	s_waitcnt lgkmcnt(0)
	v_mul_f64 v[103:104], v[101:102], v[123:124]
	v_fma_f64 v[103:104], v[99:100], v[97:98], -v[103:104]
	v_mul_f64 v[99:100], v[99:100], v[123:124]
	v_add_f64 v[81:82], v[81:82], -v[103:104]
	v_fma_f64 v[99:100], v[101:102], v[97:98], v[99:100]
	v_add_f64 v[83:84], v[83:84], -v[99:100]
	ds_read2_b64 v[99:102], v125 offset0:24 offset1:25
	s_waitcnt lgkmcnt(0)
	v_mul_f64 v[103:104], v[101:102], v[123:124]
	v_fma_f64 v[103:104], v[99:100], v[97:98], -v[103:104]
	v_mul_f64 v[99:100], v[99:100], v[123:124]
	v_add_f64 v[77:78], v[77:78], -v[103:104]
	v_fma_f64 v[99:100], v[101:102], v[97:98], v[99:100]
	v_add_f64 v[79:80], v[79:80], -v[99:100]
	ds_read2_b64 v[99:102], v125 offset0:26 offset1:27
	s_waitcnt lgkmcnt(0)
	v_mul_f64 v[103:104], v[101:102], v[123:124]
	v_fma_f64 v[103:104], v[99:100], v[97:98], -v[103:104]
	v_mul_f64 v[99:100], v[99:100], v[123:124]
	v_add_f64 v[73:74], v[73:74], -v[103:104]
	v_fma_f64 v[99:100], v[101:102], v[97:98], v[99:100]
	v_add_f64 v[75:76], v[75:76], -v[99:100]
	ds_read2_b64 v[99:102], v125 offset0:28 offset1:29
	s_waitcnt lgkmcnt(0)
	v_mul_f64 v[103:104], v[101:102], v[123:124]
	v_fma_f64 v[103:104], v[99:100], v[97:98], -v[103:104]
	v_mul_f64 v[99:100], v[99:100], v[123:124]
	v_add_f64 v[69:70], v[69:70], -v[103:104]
	v_fma_f64 v[99:100], v[101:102], v[97:98], v[99:100]
	v_add_f64 v[71:72], v[71:72], -v[99:100]
	ds_read2_b64 v[99:102], v125 offset0:30 offset1:31
	s_waitcnt lgkmcnt(0)
	v_mul_f64 v[103:104], v[101:102], v[123:124]
	v_fma_f64 v[103:104], v[99:100], v[97:98], -v[103:104]
	v_mul_f64 v[99:100], v[99:100], v[123:124]
	v_add_f64 v[65:66], v[65:66], -v[103:104]
	v_fma_f64 v[99:100], v[101:102], v[97:98], v[99:100]
	v_add_f64 v[67:68], v[67:68], -v[99:100]
	ds_read2_b64 v[99:102], v125 offset0:32 offset1:33
	s_waitcnt lgkmcnt(0)
	v_mul_f64 v[103:104], v[101:102], v[123:124]
	v_fma_f64 v[103:104], v[99:100], v[97:98], -v[103:104]
	v_mul_f64 v[99:100], v[99:100], v[123:124]
	v_add_f64 v[61:62], v[61:62], -v[103:104]
	v_fma_f64 v[99:100], v[101:102], v[97:98], v[99:100]
	v_add_f64 v[63:64], v[63:64], -v[99:100]
	ds_read2_b64 v[99:102], v125 offset0:34 offset1:35
	s_waitcnt lgkmcnt(0)
	v_mul_f64 v[103:104], v[101:102], v[123:124]
	v_fma_f64 v[103:104], v[99:100], v[97:98], -v[103:104]
	v_mul_f64 v[99:100], v[99:100], v[123:124]
	v_add_f64 v[57:58], v[57:58], -v[103:104]
	v_fma_f64 v[99:100], v[101:102], v[97:98], v[99:100]
	v_add_f64 v[59:60], v[59:60], -v[99:100]
	ds_read2_b64 v[99:102], v125 offset0:36 offset1:37
	s_waitcnt lgkmcnt(0)
	v_mul_f64 v[103:104], v[101:102], v[123:124]
	v_fma_f64 v[103:104], v[99:100], v[97:98], -v[103:104]
	v_mul_f64 v[99:100], v[99:100], v[123:124]
	v_add_f64 v[53:54], v[53:54], -v[103:104]
	v_fma_f64 v[99:100], v[101:102], v[97:98], v[99:100]
	v_add_f64 v[55:56], v[55:56], -v[99:100]
	ds_read2_b64 v[99:102], v125 offset0:38 offset1:39
	s_waitcnt lgkmcnt(0)
	v_mul_f64 v[103:104], v[101:102], v[123:124]
	v_fma_f64 v[103:104], v[99:100], v[97:98], -v[103:104]
	v_mul_f64 v[99:100], v[99:100], v[123:124]
	v_add_f64 v[49:50], v[49:50], -v[103:104]
	v_fma_f64 v[99:100], v[101:102], v[97:98], v[99:100]
	v_add_f64 v[51:52], v[51:52], -v[99:100]
	ds_read2_b64 v[99:102], v125 offset0:40 offset1:41
	s_waitcnt lgkmcnt(0)
	v_mul_f64 v[103:104], v[101:102], v[123:124]
	v_fma_f64 v[103:104], v[99:100], v[97:98], -v[103:104]
	v_mul_f64 v[99:100], v[99:100], v[123:124]
	v_add_f64 v[45:46], v[45:46], -v[103:104]
	v_fma_f64 v[99:100], v[101:102], v[97:98], v[99:100]
	v_add_f64 v[47:48], v[47:48], -v[99:100]
	ds_read2_b64 v[99:102], v125 offset0:42 offset1:43
	s_waitcnt lgkmcnt(0)
	v_mul_f64 v[103:104], v[101:102], v[123:124]
	v_fma_f64 v[103:104], v[99:100], v[97:98], -v[103:104]
	v_mul_f64 v[99:100], v[99:100], v[123:124]
	v_add_f64 v[41:42], v[41:42], -v[103:104]
	v_fma_f64 v[99:100], v[101:102], v[97:98], v[99:100]
	v_add_f64 v[43:44], v[43:44], -v[99:100]
	ds_read2_b64 v[99:102], v125 offset0:44 offset1:45
	s_waitcnt lgkmcnt(0)
	v_mul_f64 v[103:104], v[101:102], v[123:124]
	v_fma_f64 v[103:104], v[99:100], v[97:98], -v[103:104]
	v_mul_f64 v[99:100], v[99:100], v[123:124]
	v_add_f64 v[37:38], v[37:38], -v[103:104]
	v_fma_f64 v[99:100], v[101:102], v[97:98], v[99:100]
	v_add_f64 v[39:40], v[39:40], -v[99:100]
	ds_read2_b64 v[99:102], v125 offset0:46 offset1:47
	s_waitcnt lgkmcnt(0)
	v_mul_f64 v[103:104], v[101:102], v[123:124]
	v_fma_f64 v[103:104], v[99:100], v[97:98], -v[103:104]
	v_mul_f64 v[99:100], v[99:100], v[123:124]
	v_add_f64 v[33:34], v[33:34], -v[103:104]
	v_fma_f64 v[99:100], v[101:102], v[97:98], v[99:100]
	v_add_f64 v[35:36], v[35:36], -v[99:100]
	ds_read2_b64 v[99:102], v125 offset0:48 offset1:49
	s_waitcnt lgkmcnt(0)
	v_mul_f64 v[103:104], v[101:102], v[123:124]
	v_fma_f64 v[103:104], v[99:100], v[97:98], -v[103:104]
	v_mul_f64 v[99:100], v[99:100], v[123:124]
	v_add_f64 v[29:30], v[29:30], -v[103:104]
	v_fma_f64 v[99:100], v[101:102], v[97:98], v[99:100]
	v_add_f64 v[31:32], v[31:32], -v[99:100]
	ds_read2_b64 v[99:102], v125 offset0:50 offset1:51
	s_waitcnt lgkmcnt(0)
	v_mul_f64 v[103:104], v[101:102], v[123:124]
	v_fma_f64 v[103:104], v[99:100], v[97:98], -v[103:104]
	v_mul_f64 v[99:100], v[99:100], v[123:124]
	v_add_f64 v[25:26], v[25:26], -v[103:104]
	v_fma_f64 v[99:100], v[101:102], v[97:98], v[99:100]
	v_add_f64 v[27:28], v[27:28], -v[99:100]
	ds_read2_b64 v[99:102], v125 offset0:52 offset1:53
	s_waitcnt lgkmcnt(0)
	v_mul_f64 v[103:104], v[101:102], v[123:124]
	v_fma_f64 v[103:104], v[99:100], v[97:98], -v[103:104]
	v_mul_f64 v[99:100], v[99:100], v[123:124]
	v_add_f64 v[21:22], v[21:22], -v[103:104]
	v_fma_f64 v[99:100], v[101:102], v[97:98], v[99:100]
	v_add_f64 v[23:24], v[23:24], -v[99:100]
	ds_read2_b64 v[99:102], v125 offset0:54 offset1:55
	s_waitcnt lgkmcnt(0)
	v_mul_f64 v[103:104], v[101:102], v[123:124]
	v_fma_f64 v[103:104], v[99:100], v[97:98], -v[103:104]
	v_mul_f64 v[99:100], v[99:100], v[123:124]
	v_add_f64 v[17:18], v[17:18], -v[103:104]
	v_fma_f64 v[99:100], v[101:102], v[97:98], v[99:100]
	v_add_f64 v[19:20], v[19:20], -v[99:100]
	ds_read2_b64 v[99:102], v125 offset0:56 offset1:57
	s_waitcnt lgkmcnt(0)
	v_mul_f64 v[103:104], v[101:102], v[123:124]
	v_fma_f64 v[103:104], v[99:100], v[97:98], -v[103:104]
	v_mul_f64 v[99:100], v[99:100], v[123:124]
	v_add_f64 v[13:14], v[13:14], -v[103:104]
	v_fma_f64 v[99:100], v[101:102], v[97:98], v[99:100]
	v_add_f64 v[15:16], v[15:16], -v[99:100]
	ds_read2_b64 v[99:102], v125 offset0:58 offset1:59
	s_waitcnt lgkmcnt(0)
	v_mul_f64 v[103:104], v[101:102], v[123:124]
	v_fma_f64 v[103:104], v[99:100], v[97:98], -v[103:104]
	v_mul_f64 v[99:100], v[99:100], v[123:124]
	v_add_f64 v[9:10], v[9:10], -v[103:104]
	v_fma_f64 v[99:100], v[101:102], v[97:98], v[99:100]
	v_add_f64 v[11:12], v[11:12], -v[99:100]
	ds_read2_b64 v[99:102], v125 offset0:60 offset1:61
	s_waitcnt lgkmcnt(0)
	v_mul_f64 v[103:104], v[101:102], v[123:124]
	v_fma_f64 v[103:104], v[99:100], v[97:98], -v[103:104]
	v_mul_f64 v[99:100], v[99:100], v[123:124]
	v_add_f64 v[5:6], v[5:6], -v[103:104]
	v_fma_f64 v[99:100], v[101:102], v[97:98], v[99:100]
	v_add_f64 v[7:8], v[7:8], -v[99:100]
	ds_read2_b64 v[99:102], v125 offset0:62 offset1:63
	s_waitcnt lgkmcnt(0)
	v_mul_f64 v[103:104], v[101:102], v[123:124]
	v_fma_f64 v[103:104], v[99:100], v[97:98], -v[103:104]
	v_mul_f64 v[99:100], v[99:100], v[123:124]
	v_add_f64 v[1:2], v[1:2], -v[103:104]
	v_fma_f64 v[99:100], v[101:102], v[97:98], v[99:100]
	v_add_f64 v[3:4], v[3:4], -v[99:100]
	ds_read2_b64 v[99:102], v125 offset0:64 offset1:65
	s_waitcnt lgkmcnt(0)
	v_mul_f64 v[103:104], v[101:102], v[123:124]
	v_fma_f64 v[103:104], v[99:100], v[97:98], -v[103:104]
	v_mul_f64 v[99:100], v[99:100], v[123:124]
	buffer_store_dword v121, off, s[20:23], 0 offset:48 ; 4-byte Folded Spill
	s_nop 0
	buffer_store_dword v122, off, s[20:23], 0 offset:52 ; 4-byte Folded Spill
	buffer_store_dword v123, off, s[20:23], 0 offset:56 ; 4-byte Folded Spill
	;; [unrolled: 1-line block ×3, first 2 shown]
	v_add_f64 v[113:114], v[113:114], -v[103:104]
	v_fma_f64 v[99:100], v[101:102], v[97:98], v[99:100]
	v_add_f64 v[115:116], v[115:116], -v[99:100]
.LBB65_37:
	s_or_b64 exec, exec, s[2:3]
	v_cmp_eq_u32_e32 vcc, 4, v0
	s_waitcnt vmcnt(0)
	s_barrier
	s_and_saveexec_b64 s[4:5], vcc
	s_cbranch_execz .LBB65_44
; %bb.38:
	buffer_load_dword v97, off, s[20:23], 0 offset:32 ; 4-byte Folded Reload
	buffer_load_dword v98, off, s[20:23], 0 offset:36 ; 4-byte Folded Reload
	;; [unrolled: 1-line block ×4, first 2 shown]
	s_waitcnt vmcnt(0)
	ds_write2_b64 v127, v[97:98], v[99:100] offset1:1
	buffer_load_dword v97, off, s[20:23], 0 offset:16 ; 4-byte Folded Reload
	buffer_load_dword v98, off, s[20:23], 0 offset:20 ; 4-byte Folded Reload
	;; [unrolled: 1-line block ×4, first 2 shown]
	s_waitcnt vmcnt(0)
	ds_write2_b64 v125, v[97:98], v[99:100] offset0:10 offset1:11
	buffer_load_dword v97, off, s[20:23], 0 ; 4-byte Folded Reload
	buffer_load_dword v98, off, s[20:23], 0 offset:4 ; 4-byte Folded Reload
	buffer_load_dword v99, off, s[20:23], 0 offset:8 ; 4-byte Folded Reload
	;; [unrolled: 1-line block ×3, first 2 shown]
	s_waitcnt vmcnt(0)
	ds_write2_b64 v125, v[97:98], v[99:100] offset0:12 offset1:13
	ds_write2_b64 v125, v[87:88], v[89:90] offset0:14 offset1:15
	;; [unrolled: 1-line block ×27, first 2 shown]
	ds_read2_b64 v[97:100], v127 offset1:1
	s_waitcnt lgkmcnt(0)
	v_cmp_neq_f64_e32 vcc, 0, v[97:98]
	v_cmp_neq_f64_e64 s[2:3], 0, v[99:100]
	s_or_b64 s[2:3], vcc, s[2:3]
	s_and_b64 exec, exec, s[2:3]
	s_cbranch_execz .LBB65_44
; %bb.39:
	v_cmp_ngt_f64_e64 s[2:3], |v[97:98]|, |v[99:100]|
                                        ; implicit-def: $vgpr101_vgpr102
	s_and_saveexec_b64 s[6:7], s[2:3]
	s_xor_b64 s[2:3], exec, s[6:7]
                                        ; implicit-def: $vgpr103_vgpr104
	s_cbranch_execz .LBB65_41
; %bb.40:
	v_div_scale_f64 v[101:102], s[6:7], v[99:100], v[99:100], v[97:98]
	v_rcp_f64_e32 v[103:104], v[101:102]
	v_fma_f64 v[105:106], -v[101:102], v[103:104], 1.0
	v_fma_f64 v[103:104], v[103:104], v[105:106], v[103:104]
	v_div_scale_f64 v[105:106], vcc, v[97:98], v[99:100], v[97:98]
	v_fma_f64 v[107:108], -v[101:102], v[103:104], 1.0
	v_fma_f64 v[103:104], v[103:104], v[107:108], v[103:104]
	v_mul_f64 v[107:108], v[105:106], v[103:104]
	v_fma_f64 v[101:102], -v[101:102], v[107:108], v[105:106]
	v_div_fmas_f64 v[101:102], v[101:102], v[103:104], v[107:108]
	v_div_fixup_f64 v[101:102], v[101:102], v[99:100], v[97:98]
	v_fma_f64 v[97:98], v[97:98], v[101:102], v[99:100]
	v_div_scale_f64 v[99:100], s[6:7], v[97:98], v[97:98], 1.0
	v_div_scale_f64 v[107:108], vcc, 1.0, v[97:98], 1.0
	v_rcp_f64_e32 v[103:104], v[99:100]
	v_fma_f64 v[105:106], -v[99:100], v[103:104], 1.0
	v_fma_f64 v[103:104], v[103:104], v[105:106], v[103:104]
	v_fma_f64 v[105:106], -v[99:100], v[103:104], 1.0
	v_fma_f64 v[103:104], v[103:104], v[105:106], v[103:104]
	v_mul_f64 v[105:106], v[107:108], v[103:104]
	v_fma_f64 v[99:100], -v[99:100], v[105:106], v[107:108]
	v_div_fmas_f64 v[99:100], v[99:100], v[103:104], v[105:106]
	v_div_fixup_f64 v[103:104], v[99:100], v[97:98], 1.0
                                        ; implicit-def: $vgpr97_vgpr98
	v_mul_f64 v[101:102], v[101:102], v[103:104]
	v_xor_b32_e32 v104, 0x80000000, v104
.LBB65_41:
	s_andn2_saveexec_b64 s[2:3], s[2:3]
	s_cbranch_execz .LBB65_43
; %bb.42:
	v_div_scale_f64 v[101:102], s[6:7], v[97:98], v[97:98], v[99:100]
	v_rcp_f64_e32 v[103:104], v[101:102]
	v_fma_f64 v[105:106], -v[101:102], v[103:104], 1.0
	v_fma_f64 v[103:104], v[103:104], v[105:106], v[103:104]
	v_div_scale_f64 v[105:106], vcc, v[99:100], v[97:98], v[99:100]
	v_fma_f64 v[107:108], -v[101:102], v[103:104], 1.0
	v_fma_f64 v[103:104], v[103:104], v[107:108], v[103:104]
	v_mul_f64 v[107:108], v[105:106], v[103:104]
	v_fma_f64 v[101:102], -v[101:102], v[107:108], v[105:106]
	v_div_fmas_f64 v[101:102], v[101:102], v[103:104], v[107:108]
	v_div_fixup_f64 v[103:104], v[101:102], v[97:98], v[99:100]
	v_fma_f64 v[97:98], v[99:100], v[103:104], v[97:98]
	v_div_scale_f64 v[99:100], s[6:7], v[97:98], v[97:98], 1.0
	v_div_scale_f64 v[107:108], vcc, 1.0, v[97:98], 1.0
	v_rcp_f64_e32 v[101:102], v[99:100]
	v_fma_f64 v[105:106], -v[99:100], v[101:102], 1.0
	v_fma_f64 v[101:102], v[101:102], v[105:106], v[101:102]
	v_fma_f64 v[105:106], -v[99:100], v[101:102], 1.0
	v_fma_f64 v[101:102], v[101:102], v[105:106], v[101:102]
	v_mul_f64 v[105:106], v[107:108], v[101:102]
	v_fma_f64 v[99:100], -v[99:100], v[105:106], v[107:108]
	v_div_fmas_f64 v[99:100], v[99:100], v[101:102], v[105:106]
	v_div_fixup_f64 v[101:102], v[99:100], v[97:98], 1.0
	v_mul_f64 v[103:104], v[103:104], -v[101:102]
.LBB65_43:
	s_or_b64 exec, exec, s[2:3]
	ds_write2_b64 v127, v[101:102], v[103:104] offset1:1
.LBB65_44:
	s_or_b64 exec, exec, s[4:5]
	s_waitcnt lgkmcnt(0)
	s_barrier
	ds_read2_b64 v[97:100], v127 offset1:1
	v_cmp_lt_u32_e32 vcc, 4, v0
	s_waitcnt lgkmcnt(0)
	buffer_store_dword v97, off, s[20:23], 0 offset:440 ; 4-byte Folded Spill
	s_nop 0
	buffer_store_dword v98, off, s[20:23], 0 offset:444 ; 4-byte Folded Spill
	buffer_store_dword v99, off, s[20:23], 0 offset:448 ; 4-byte Folded Spill
	;; [unrolled: 1-line block ×3, first 2 shown]
	s_and_saveexec_b64 s[2:3], vcc
	s_cbranch_execz .LBB65_46
; %bb.45:
	buffer_load_dword v121, off, s[20:23], 0 offset:32 ; 4-byte Folded Reload
	buffer_load_dword v122, off, s[20:23], 0 offset:36 ; 4-byte Folded Reload
	;; [unrolled: 1-line block ×8, first 2 shown]
	s_waitcnt vmcnt(0)
	v_mul_f64 v[97:98], v[101:102], v[123:124]
	v_fma_f64 v[97:98], v[99:100], v[121:122], -v[97:98]
	v_mul_f64 v[99:100], v[99:100], v[123:124]
	v_fma_f64 v[123:124], v[101:102], v[121:122], v[99:100]
	ds_read2_b64 v[99:102], v125 offset0:10 offset1:11
	buffer_load_dword v105, off, s[20:23], 0 offset:16 ; 4-byte Folded Reload
	buffer_load_dword v106, off, s[20:23], 0 offset:20 ; 4-byte Folded Reload
	;; [unrolled: 1-line block ×4, first 2 shown]
	v_mov_b32_e32 v122, v98
	v_mov_b32_e32 v121, v97
	s_waitcnt lgkmcnt(0)
	v_mul_f64 v[103:104], v[101:102], v[123:124]
	v_fma_f64 v[103:104], v[99:100], v[97:98], -v[103:104]
	v_mul_f64 v[99:100], v[99:100], v[123:124]
	v_fma_f64 v[99:100], v[101:102], v[97:98], v[99:100]
	s_waitcnt vmcnt(2)
	v_add_f64 v[105:106], v[105:106], -v[103:104]
	s_waitcnt vmcnt(0)
	v_add_f64 v[107:108], v[107:108], -v[99:100]
	buffer_store_dword v105, off, s[20:23], 0 offset:16 ; 4-byte Folded Spill
	s_nop 0
	buffer_store_dword v106, off, s[20:23], 0 offset:20 ; 4-byte Folded Spill
	buffer_store_dword v107, off, s[20:23], 0 offset:24 ; 4-byte Folded Spill
	;; [unrolled: 1-line block ×3, first 2 shown]
	ds_read2_b64 v[99:102], v125 offset0:12 offset1:13
	buffer_load_dword v105, off, s[20:23], 0 ; 4-byte Folded Reload
	buffer_load_dword v106, off, s[20:23], 0 offset:4 ; 4-byte Folded Reload
	buffer_load_dword v107, off, s[20:23], 0 offset:8 ; 4-byte Folded Reload
	;; [unrolled: 1-line block ×3, first 2 shown]
	s_waitcnt lgkmcnt(0)
	v_mul_f64 v[103:104], v[101:102], v[123:124]
	v_fma_f64 v[103:104], v[99:100], v[97:98], -v[103:104]
	v_mul_f64 v[99:100], v[99:100], v[123:124]
	v_fma_f64 v[99:100], v[101:102], v[97:98], v[99:100]
	s_waitcnt vmcnt(2)
	v_add_f64 v[105:106], v[105:106], -v[103:104]
	s_waitcnt vmcnt(0)
	v_add_f64 v[107:108], v[107:108], -v[99:100]
	buffer_store_dword v105, off, s[20:23], 0 ; 4-byte Folded Spill
	s_nop 0
	buffer_store_dword v106, off, s[20:23], 0 offset:4 ; 4-byte Folded Spill
	buffer_store_dword v107, off, s[20:23], 0 offset:8 ; 4-byte Folded Spill
	;; [unrolled: 1-line block ×3, first 2 shown]
	ds_read2_b64 v[99:102], v125 offset0:14 offset1:15
	s_waitcnt lgkmcnt(0)
	v_mul_f64 v[103:104], v[101:102], v[123:124]
	v_fma_f64 v[103:104], v[99:100], v[97:98], -v[103:104]
	v_mul_f64 v[99:100], v[99:100], v[123:124]
	v_add_f64 v[87:88], v[87:88], -v[103:104]
	v_fma_f64 v[99:100], v[101:102], v[97:98], v[99:100]
	v_add_f64 v[89:90], v[89:90], -v[99:100]
	ds_read2_b64 v[99:102], v125 offset0:16 offset1:17
	s_waitcnt lgkmcnt(0)
	v_mul_f64 v[103:104], v[101:102], v[123:124]
	v_fma_f64 v[103:104], v[99:100], v[97:98], -v[103:104]
	v_mul_f64 v[99:100], v[99:100], v[123:124]
	v_add_f64 v[109:110], v[109:110], -v[103:104]
	v_fma_f64 v[99:100], v[101:102], v[97:98], v[99:100]
	v_add_f64 v[111:112], v[111:112], -v[99:100]
	;; [unrolled: 8-line block ×25, first 2 shown]
	ds_read2_b64 v[99:102], v125 offset0:64 offset1:65
	s_waitcnt lgkmcnt(0)
	v_mul_f64 v[103:104], v[101:102], v[123:124]
	v_fma_f64 v[103:104], v[99:100], v[97:98], -v[103:104]
	v_mul_f64 v[99:100], v[99:100], v[123:124]
	buffer_store_dword v121, off, s[20:23], 0 offset:32 ; 4-byte Folded Spill
	s_nop 0
	buffer_store_dword v122, off, s[20:23], 0 offset:36 ; 4-byte Folded Spill
	buffer_store_dword v123, off, s[20:23], 0 offset:40 ; 4-byte Folded Spill
	;; [unrolled: 1-line block ×3, first 2 shown]
	v_add_f64 v[113:114], v[113:114], -v[103:104]
	v_fma_f64 v[99:100], v[101:102], v[97:98], v[99:100]
	v_add_f64 v[115:116], v[115:116], -v[99:100]
.LBB65_46:
	s_or_b64 exec, exec, s[2:3]
	v_cmp_eq_u32_e32 vcc, 5, v0
	s_waitcnt vmcnt(0)
	s_barrier
	s_and_saveexec_b64 s[4:5], vcc
	s_cbranch_execz .LBB65_53
; %bb.47:
	buffer_load_dword v97, off, s[20:23], 0 offset:16 ; 4-byte Folded Reload
	buffer_load_dword v98, off, s[20:23], 0 offset:20 ; 4-byte Folded Reload
	;; [unrolled: 1-line block ×4, first 2 shown]
	s_waitcnt vmcnt(0)
	ds_write2_b64 v127, v[97:98], v[99:100] offset1:1
	buffer_load_dword v97, off, s[20:23], 0 ; 4-byte Folded Reload
	buffer_load_dword v98, off, s[20:23], 0 offset:4 ; 4-byte Folded Reload
	buffer_load_dword v99, off, s[20:23], 0 offset:8 ; 4-byte Folded Reload
	;; [unrolled: 1-line block ×3, first 2 shown]
	s_waitcnt vmcnt(0)
	ds_write2_b64 v125, v[97:98], v[99:100] offset0:12 offset1:13
	ds_write2_b64 v125, v[87:88], v[89:90] offset0:14 offset1:15
	;; [unrolled: 1-line block ×27, first 2 shown]
	ds_read2_b64 v[97:100], v127 offset1:1
	s_waitcnt lgkmcnt(0)
	v_cmp_neq_f64_e32 vcc, 0, v[97:98]
	v_cmp_neq_f64_e64 s[2:3], 0, v[99:100]
	s_or_b64 s[2:3], vcc, s[2:3]
	s_and_b64 exec, exec, s[2:3]
	s_cbranch_execz .LBB65_53
; %bb.48:
	v_cmp_ngt_f64_e64 s[2:3], |v[97:98]|, |v[99:100]|
                                        ; implicit-def: $vgpr101_vgpr102
	s_and_saveexec_b64 s[6:7], s[2:3]
	s_xor_b64 s[2:3], exec, s[6:7]
                                        ; implicit-def: $vgpr103_vgpr104
	s_cbranch_execz .LBB65_50
; %bb.49:
	v_div_scale_f64 v[101:102], s[6:7], v[99:100], v[99:100], v[97:98]
	v_rcp_f64_e32 v[103:104], v[101:102]
	v_fma_f64 v[105:106], -v[101:102], v[103:104], 1.0
	v_fma_f64 v[103:104], v[103:104], v[105:106], v[103:104]
	v_div_scale_f64 v[105:106], vcc, v[97:98], v[99:100], v[97:98]
	v_fma_f64 v[107:108], -v[101:102], v[103:104], 1.0
	v_fma_f64 v[103:104], v[103:104], v[107:108], v[103:104]
	v_mul_f64 v[107:108], v[105:106], v[103:104]
	v_fma_f64 v[101:102], -v[101:102], v[107:108], v[105:106]
	v_div_fmas_f64 v[101:102], v[101:102], v[103:104], v[107:108]
	v_div_fixup_f64 v[101:102], v[101:102], v[99:100], v[97:98]
	v_fma_f64 v[97:98], v[97:98], v[101:102], v[99:100]
	v_div_scale_f64 v[99:100], s[6:7], v[97:98], v[97:98], 1.0
	v_div_scale_f64 v[107:108], vcc, 1.0, v[97:98], 1.0
	v_rcp_f64_e32 v[103:104], v[99:100]
	v_fma_f64 v[105:106], -v[99:100], v[103:104], 1.0
	v_fma_f64 v[103:104], v[103:104], v[105:106], v[103:104]
	v_fma_f64 v[105:106], -v[99:100], v[103:104], 1.0
	v_fma_f64 v[103:104], v[103:104], v[105:106], v[103:104]
	v_mul_f64 v[105:106], v[107:108], v[103:104]
	v_fma_f64 v[99:100], -v[99:100], v[105:106], v[107:108]
	v_div_fmas_f64 v[99:100], v[99:100], v[103:104], v[105:106]
	v_div_fixup_f64 v[103:104], v[99:100], v[97:98], 1.0
                                        ; implicit-def: $vgpr97_vgpr98
	v_mul_f64 v[101:102], v[101:102], v[103:104]
	v_xor_b32_e32 v104, 0x80000000, v104
.LBB65_50:
	s_andn2_saveexec_b64 s[2:3], s[2:3]
	s_cbranch_execz .LBB65_52
; %bb.51:
	v_div_scale_f64 v[101:102], s[6:7], v[97:98], v[97:98], v[99:100]
	v_rcp_f64_e32 v[103:104], v[101:102]
	v_fma_f64 v[105:106], -v[101:102], v[103:104], 1.0
	v_fma_f64 v[103:104], v[103:104], v[105:106], v[103:104]
	v_div_scale_f64 v[105:106], vcc, v[99:100], v[97:98], v[99:100]
	v_fma_f64 v[107:108], -v[101:102], v[103:104], 1.0
	v_fma_f64 v[103:104], v[103:104], v[107:108], v[103:104]
	v_mul_f64 v[107:108], v[105:106], v[103:104]
	v_fma_f64 v[101:102], -v[101:102], v[107:108], v[105:106]
	v_div_fmas_f64 v[101:102], v[101:102], v[103:104], v[107:108]
	v_div_fixup_f64 v[103:104], v[101:102], v[97:98], v[99:100]
	v_fma_f64 v[97:98], v[99:100], v[103:104], v[97:98]
	v_div_scale_f64 v[99:100], s[6:7], v[97:98], v[97:98], 1.0
	v_div_scale_f64 v[107:108], vcc, 1.0, v[97:98], 1.0
	v_rcp_f64_e32 v[101:102], v[99:100]
	v_fma_f64 v[105:106], -v[99:100], v[101:102], 1.0
	v_fma_f64 v[101:102], v[101:102], v[105:106], v[101:102]
	v_fma_f64 v[105:106], -v[99:100], v[101:102], 1.0
	v_fma_f64 v[101:102], v[101:102], v[105:106], v[101:102]
	v_mul_f64 v[105:106], v[107:108], v[101:102]
	v_fma_f64 v[99:100], -v[99:100], v[105:106], v[107:108]
	v_div_fmas_f64 v[99:100], v[99:100], v[101:102], v[105:106]
	v_div_fixup_f64 v[101:102], v[99:100], v[97:98], 1.0
	v_mul_f64 v[103:104], v[103:104], -v[101:102]
.LBB65_52:
	s_or_b64 exec, exec, s[2:3]
	ds_write2_b64 v127, v[101:102], v[103:104] offset1:1
.LBB65_53:
	s_or_b64 exec, exec, s[4:5]
	s_waitcnt lgkmcnt(0)
	s_barrier
	ds_read2_b64 v[97:100], v127 offset1:1
	v_cmp_lt_u32_e32 vcc, 5, v0
	s_waitcnt lgkmcnt(0)
	buffer_store_dword v97, off, s[20:23], 0 offset:456 ; 4-byte Folded Spill
	s_nop 0
	buffer_store_dword v98, off, s[20:23], 0 offset:460 ; 4-byte Folded Spill
	buffer_store_dword v99, off, s[20:23], 0 offset:464 ; 4-byte Folded Spill
	;; [unrolled: 1-line block ×3, first 2 shown]
	s_and_saveexec_b64 s[2:3], vcc
	s_cbranch_execz .LBB65_55
; %bb.54:
	buffer_load_dword v121, off, s[20:23], 0 offset:16 ; 4-byte Folded Reload
	buffer_load_dword v122, off, s[20:23], 0 offset:20 ; 4-byte Folded Reload
	;; [unrolled: 1-line block ×8, first 2 shown]
	s_waitcnt vmcnt(0)
	v_mul_f64 v[97:98], v[101:102], v[123:124]
	v_fma_f64 v[97:98], v[99:100], v[121:122], -v[97:98]
	v_mul_f64 v[99:100], v[99:100], v[123:124]
	v_fma_f64 v[123:124], v[101:102], v[121:122], v[99:100]
	ds_read2_b64 v[99:102], v125 offset0:12 offset1:13
	buffer_load_dword v105, off, s[20:23], 0 ; 4-byte Folded Reload
	buffer_load_dword v106, off, s[20:23], 0 offset:4 ; 4-byte Folded Reload
	buffer_load_dword v107, off, s[20:23], 0 offset:8 ; 4-byte Folded Reload
	;; [unrolled: 1-line block ×3, first 2 shown]
	v_mov_b32_e32 v122, v98
	v_mov_b32_e32 v121, v97
	s_waitcnt lgkmcnt(0)
	v_mul_f64 v[103:104], v[101:102], v[123:124]
	v_fma_f64 v[103:104], v[99:100], v[97:98], -v[103:104]
	v_mul_f64 v[99:100], v[99:100], v[123:124]
	v_fma_f64 v[99:100], v[101:102], v[97:98], v[99:100]
	s_waitcnt vmcnt(2)
	v_add_f64 v[105:106], v[105:106], -v[103:104]
	s_waitcnt vmcnt(0)
	v_add_f64 v[107:108], v[107:108], -v[99:100]
	buffer_store_dword v105, off, s[20:23], 0 ; 4-byte Folded Spill
	s_nop 0
	buffer_store_dword v106, off, s[20:23], 0 offset:4 ; 4-byte Folded Spill
	buffer_store_dword v107, off, s[20:23], 0 offset:8 ; 4-byte Folded Spill
	buffer_store_dword v108, off, s[20:23], 0 offset:12 ; 4-byte Folded Spill
	ds_read2_b64 v[99:102], v125 offset0:14 offset1:15
	s_waitcnt lgkmcnt(0)
	v_mul_f64 v[103:104], v[101:102], v[123:124]
	v_fma_f64 v[103:104], v[99:100], v[97:98], -v[103:104]
	v_mul_f64 v[99:100], v[99:100], v[123:124]
	v_add_f64 v[87:88], v[87:88], -v[103:104]
	v_fma_f64 v[99:100], v[101:102], v[97:98], v[99:100]
	v_add_f64 v[89:90], v[89:90], -v[99:100]
	ds_read2_b64 v[99:102], v125 offset0:16 offset1:17
	s_waitcnt lgkmcnt(0)
	v_mul_f64 v[103:104], v[101:102], v[123:124]
	v_fma_f64 v[103:104], v[99:100], v[97:98], -v[103:104]
	v_mul_f64 v[99:100], v[99:100], v[123:124]
	v_add_f64 v[109:110], v[109:110], -v[103:104]
	v_fma_f64 v[99:100], v[101:102], v[97:98], v[99:100]
	v_add_f64 v[111:112], v[111:112], -v[99:100]
	;; [unrolled: 8-line block ×25, first 2 shown]
	ds_read2_b64 v[99:102], v125 offset0:64 offset1:65
	s_waitcnt lgkmcnt(0)
	v_mul_f64 v[103:104], v[101:102], v[123:124]
	v_fma_f64 v[103:104], v[99:100], v[97:98], -v[103:104]
	v_mul_f64 v[99:100], v[99:100], v[123:124]
	buffer_store_dword v121, off, s[20:23], 0 offset:16 ; 4-byte Folded Spill
	s_nop 0
	buffer_store_dword v122, off, s[20:23], 0 offset:20 ; 4-byte Folded Spill
	buffer_store_dword v123, off, s[20:23], 0 offset:24 ; 4-byte Folded Spill
	buffer_store_dword v124, off, s[20:23], 0 offset:28 ; 4-byte Folded Spill
	v_add_f64 v[113:114], v[113:114], -v[103:104]
	v_fma_f64 v[99:100], v[101:102], v[97:98], v[99:100]
	v_add_f64 v[115:116], v[115:116], -v[99:100]
.LBB65_55:
	s_or_b64 exec, exec, s[2:3]
	v_cmp_eq_u32_e32 vcc, 6, v0
	s_waitcnt vmcnt(0)
	s_barrier
	s_and_saveexec_b64 s[4:5], vcc
	s_cbranch_execz .LBB65_62
; %bb.56:
	buffer_load_dword v97, off, s[20:23], 0 ; 4-byte Folded Reload
	buffer_load_dword v98, off, s[20:23], 0 offset:4 ; 4-byte Folded Reload
	buffer_load_dword v99, off, s[20:23], 0 offset:8 ; 4-byte Folded Reload
	buffer_load_dword v100, off, s[20:23], 0 offset:12 ; 4-byte Folded Reload
	s_waitcnt vmcnt(0)
	ds_write2_b64 v127, v[97:98], v[99:100] offset1:1
	ds_write2_b64 v125, v[87:88], v[89:90] offset0:14 offset1:15
	ds_write2_b64 v125, v[109:110], v[111:112] offset0:16 offset1:17
	;; [unrolled: 1-line block ×26, first 2 shown]
	ds_read2_b64 v[97:100], v127 offset1:1
	s_waitcnt lgkmcnt(0)
	v_cmp_neq_f64_e32 vcc, 0, v[97:98]
	v_cmp_neq_f64_e64 s[2:3], 0, v[99:100]
	s_or_b64 s[2:3], vcc, s[2:3]
	s_and_b64 exec, exec, s[2:3]
	s_cbranch_execz .LBB65_62
; %bb.57:
	v_cmp_ngt_f64_e64 s[2:3], |v[97:98]|, |v[99:100]|
                                        ; implicit-def: $vgpr101_vgpr102
	s_and_saveexec_b64 s[6:7], s[2:3]
	s_xor_b64 s[2:3], exec, s[6:7]
                                        ; implicit-def: $vgpr103_vgpr104
	s_cbranch_execz .LBB65_59
; %bb.58:
	v_div_scale_f64 v[101:102], s[6:7], v[99:100], v[99:100], v[97:98]
	v_rcp_f64_e32 v[103:104], v[101:102]
	v_fma_f64 v[105:106], -v[101:102], v[103:104], 1.0
	v_fma_f64 v[103:104], v[103:104], v[105:106], v[103:104]
	v_div_scale_f64 v[105:106], vcc, v[97:98], v[99:100], v[97:98]
	v_fma_f64 v[107:108], -v[101:102], v[103:104], 1.0
	v_fma_f64 v[103:104], v[103:104], v[107:108], v[103:104]
	v_mul_f64 v[107:108], v[105:106], v[103:104]
	v_fma_f64 v[101:102], -v[101:102], v[107:108], v[105:106]
	v_div_fmas_f64 v[101:102], v[101:102], v[103:104], v[107:108]
	v_div_fixup_f64 v[101:102], v[101:102], v[99:100], v[97:98]
	v_fma_f64 v[97:98], v[97:98], v[101:102], v[99:100]
	v_div_scale_f64 v[99:100], s[6:7], v[97:98], v[97:98], 1.0
	v_div_scale_f64 v[107:108], vcc, 1.0, v[97:98], 1.0
	v_rcp_f64_e32 v[103:104], v[99:100]
	v_fma_f64 v[105:106], -v[99:100], v[103:104], 1.0
	v_fma_f64 v[103:104], v[103:104], v[105:106], v[103:104]
	v_fma_f64 v[105:106], -v[99:100], v[103:104], 1.0
	v_fma_f64 v[103:104], v[103:104], v[105:106], v[103:104]
	v_mul_f64 v[105:106], v[107:108], v[103:104]
	v_fma_f64 v[99:100], -v[99:100], v[105:106], v[107:108]
	v_div_fmas_f64 v[99:100], v[99:100], v[103:104], v[105:106]
	v_div_fixup_f64 v[103:104], v[99:100], v[97:98], 1.0
                                        ; implicit-def: $vgpr97_vgpr98
	v_mul_f64 v[101:102], v[101:102], v[103:104]
	v_xor_b32_e32 v104, 0x80000000, v104
.LBB65_59:
	s_andn2_saveexec_b64 s[2:3], s[2:3]
	s_cbranch_execz .LBB65_61
; %bb.60:
	v_div_scale_f64 v[101:102], s[6:7], v[97:98], v[97:98], v[99:100]
	v_rcp_f64_e32 v[103:104], v[101:102]
	v_fma_f64 v[105:106], -v[101:102], v[103:104], 1.0
	v_fma_f64 v[103:104], v[103:104], v[105:106], v[103:104]
	v_div_scale_f64 v[105:106], vcc, v[99:100], v[97:98], v[99:100]
	v_fma_f64 v[107:108], -v[101:102], v[103:104], 1.0
	v_fma_f64 v[103:104], v[103:104], v[107:108], v[103:104]
	v_mul_f64 v[107:108], v[105:106], v[103:104]
	v_fma_f64 v[101:102], -v[101:102], v[107:108], v[105:106]
	v_div_fmas_f64 v[101:102], v[101:102], v[103:104], v[107:108]
	v_div_fixup_f64 v[103:104], v[101:102], v[97:98], v[99:100]
	v_fma_f64 v[97:98], v[99:100], v[103:104], v[97:98]
	v_div_scale_f64 v[99:100], s[6:7], v[97:98], v[97:98], 1.0
	v_div_scale_f64 v[107:108], vcc, 1.0, v[97:98], 1.0
	v_rcp_f64_e32 v[101:102], v[99:100]
	v_fma_f64 v[105:106], -v[99:100], v[101:102], 1.0
	v_fma_f64 v[101:102], v[101:102], v[105:106], v[101:102]
	v_fma_f64 v[105:106], -v[99:100], v[101:102], 1.0
	v_fma_f64 v[101:102], v[101:102], v[105:106], v[101:102]
	v_mul_f64 v[105:106], v[107:108], v[101:102]
	v_fma_f64 v[99:100], -v[99:100], v[105:106], v[107:108]
	v_div_fmas_f64 v[99:100], v[99:100], v[101:102], v[105:106]
	v_div_fixup_f64 v[101:102], v[99:100], v[97:98], 1.0
	v_mul_f64 v[103:104], v[103:104], -v[101:102]
.LBB65_61:
	s_or_b64 exec, exec, s[2:3]
	ds_write2_b64 v127, v[101:102], v[103:104] offset1:1
.LBB65_62:
	s_or_b64 exec, exec, s[4:5]
	s_waitcnt lgkmcnt(0)
	s_barrier
	ds_read2_b64 v[97:100], v127 offset1:1
	v_cmp_lt_u32_e32 vcc, 6, v0
	s_waitcnt lgkmcnt(0)
	buffer_store_dword v97, off, s[20:23], 0 offset:472 ; 4-byte Folded Spill
	s_nop 0
	buffer_store_dword v98, off, s[20:23], 0 offset:476 ; 4-byte Folded Spill
	buffer_store_dword v99, off, s[20:23], 0 offset:480 ; 4-byte Folded Spill
	;; [unrolled: 1-line block ×3, first 2 shown]
	s_and_saveexec_b64 s[2:3], vcc
	s_cbranch_execz .LBB65_64
; %bb.63:
	buffer_load_dword v103, off, s[20:23], 0 ; 4-byte Folded Reload
	buffer_load_dword v104, off, s[20:23], 0 offset:4 ; 4-byte Folded Reload
	buffer_load_dword v105, off, s[20:23], 0 offset:8 ; 4-byte Folded Reload
	;; [unrolled: 1-line block ×7, first 2 shown]
	s_waitcnt vmcnt(0)
	v_mul_f64 v[97:98], v[101:102], v[105:106]
	v_fma_f64 v[97:98], v[99:100], v[103:104], -v[97:98]
	v_mul_f64 v[99:100], v[99:100], v[105:106]
	v_fma_f64 v[105:106], v[101:102], v[103:104], v[99:100]
	ds_read2_b64 v[99:102], v125 offset0:14 offset1:15
	s_waitcnt lgkmcnt(0)
	v_mul_f64 v[103:104], v[101:102], v[105:106]
	v_fma_f64 v[103:104], v[99:100], v[97:98], -v[103:104]
	v_mul_f64 v[99:100], v[99:100], v[105:106]
	v_add_f64 v[87:88], v[87:88], -v[103:104]
	v_fma_f64 v[99:100], v[101:102], v[97:98], v[99:100]
	v_add_f64 v[89:90], v[89:90], -v[99:100]
	ds_read2_b64 v[99:102], v125 offset0:16 offset1:17
	s_waitcnt lgkmcnt(0)
	v_mul_f64 v[103:104], v[101:102], v[105:106]
	v_fma_f64 v[103:104], v[99:100], v[97:98], -v[103:104]
	v_mul_f64 v[99:100], v[99:100], v[105:106]
	v_add_f64 v[109:110], v[109:110], -v[103:104]
	v_fma_f64 v[99:100], v[101:102], v[97:98], v[99:100]
	v_add_f64 v[111:112], v[111:112], -v[99:100]
	;; [unrolled: 8-line block ×25, first 2 shown]
	ds_read2_b64 v[99:102], v125 offset0:64 offset1:65
	s_waitcnt lgkmcnt(0)
	v_mul_f64 v[103:104], v[101:102], v[105:106]
	v_fma_f64 v[103:104], v[99:100], v[97:98], -v[103:104]
	v_mul_f64 v[99:100], v[99:100], v[105:106]
	v_add_f64 v[113:114], v[113:114], -v[103:104]
	v_fma_f64 v[99:100], v[101:102], v[97:98], v[99:100]
	v_mov_b32_e32 v104, v98
	v_mov_b32_e32 v103, v97
	buffer_store_dword v103, off, s[20:23], 0 ; 4-byte Folded Spill
	s_nop 0
	buffer_store_dword v104, off, s[20:23], 0 offset:4 ; 4-byte Folded Spill
	buffer_store_dword v105, off, s[20:23], 0 offset:8 ; 4-byte Folded Spill
	;; [unrolled: 1-line block ×3, first 2 shown]
	v_add_f64 v[115:116], v[115:116], -v[99:100]
.LBB65_64:
	s_or_b64 exec, exec, s[2:3]
	v_cmp_eq_u32_e32 vcc, 7, v0
	s_waitcnt vmcnt(0)
	s_barrier
	s_and_saveexec_b64 s[4:5], vcc
	s_cbranch_execz .LBB65_71
; %bb.65:
	ds_write2_b64 v127, v[87:88], v[89:90] offset1:1
	ds_write2_b64 v125, v[109:110], v[111:112] offset0:16 offset1:17
	ds_write2_b64 v125, v[117:118], v[119:120] offset0:18 offset1:19
	;; [unrolled: 1-line block ×25, first 2 shown]
	ds_read2_b64 v[97:100], v127 offset1:1
	s_waitcnt lgkmcnt(0)
	v_cmp_neq_f64_e32 vcc, 0, v[97:98]
	v_cmp_neq_f64_e64 s[2:3], 0, v[99:100]
	s_or_b64 s[2:3], vcc, s[2:3]
	s_and_b64 exec, exec, s[2:3]
	s_cbranch_execz .LBB65_71
; %bb.66:
	v_cmp_ngt_f64_e64 s[2:3], |v[97:98]|, |v[99:100]|
                                        ; implicit-def: $vgpr101_vgpr102
	s_and_saveexec_b64 s[6:7], s[2:3]
	s_xor_b64 s[2:3], exec, s[6:7]
                                        ; implicit-def: $vgpr103_vgpr104
	s_cbranch_execz .LBB65_68
; %bb.67:
	v_div_scale_f64 v[101:102], s[6:7], v[99:100], v[99:100], v[97:98]
	v_rcp_f64_e32 v[103:104], v[101:102]
	v_fma_f64 v[105:106], -v[101:102], v[103:104], 1.0
	v_fma_f64 v[103:104], v[103:104], v[105:106], v[103:104]
	v_div_scale_f64 v[105:106], vcc, v[97:98], v[99:100], v[97:98]
	v_fma_f64 v[107:108], -v[101:102], v[103:104], 1.0
	v_fma_f64 v[103:104], v[103:104], v[107:108], v[103:104]
	v_mul_f64 v[107:108], v[105:106], v[103:104]
	v_fma_f64 v[101:102], -v[101:102], v[107:108], v[105:106]
	v_div_fmas_f64 v[101:102], v[101:102], v[103:104], v[107:108]
	v_div_fixup_f64 v[101:102], v[101:102], v[99:100], v[97:98]
	v_fma_f64 v[97:98], v[97:98], v[101:102], v[99:100]
	v_div_scale_f64 v[99:100], s[6:7], v[97:98], v[97:98], 1.0
	v_div_scale_f64 v[107:108], vcc, 1.0, v[97:98], 1.0
	v_rcp_f64_e32 v[103:104], v[99:100]
	v_fma_f64 v[105:106], -v[99:100], v[103:104], 1.0
	v_fma_f64 v[103:104], v[103:104], v[105:106], v[103:104]
	v_fma_f64 v[105:106], -v[99:100], v[103:104], 1.0
	v_fma_f64 v[103:104], v[103:104], v[105:106], v[103:104]
	v_mul_f64 v[105:106], v[107:108], v[103:104]
	v_fma_f64 v[99:100], -v[99:100], v[105:106], v[107:108]
	v_div_fmas_f64 v[99:100], v[99:100], v[103:104], v[105:106]
	v_div_fixup_f64 v[103:104], v[99:100], v[97:98], 1.0
                                        ; implicit-def: $vgpr97_vgpr98
	v_mul_f64 v[101:102], v[101:102], v[103:104]
	v_xor_b32_e32 v104, 0x80000000, v104
.LBB65_68:
	s_andn2_saveexec_b64 s[2:3], s[2:3]
	s_cbranch_execz .LBB65_70
; %bb.69:
	v_div_scale_f64 v[101:102], s[6:7], v[97:98], v[97:98], v[99:100]
	v_rcp_f64_e32 v[103:104], v[101:102]
	v_fma_f64 v[105:106], -v[101:102], v[103:104], 1.0
	v_fma_f64 v[103:104], v[103:104], v[105:106], v[103:104]
	v_div_scale_f64 v[105:106], vcc, v[99:100], v[97:98], v[99:100]
	v_fma_f64 v[107:108], -v[101:102], v[103:104], 1.0
	v_fma_f64 v[103:104], v[103:104], v[107:108], v[103:104]
	v_mul_f64 v[107:108], v[105:106], v[103:104]
	v_fma_f64 v[101:102], -v[101:102], v[107:108], v[105:106]
	v_div_fmas_f64 v[101:102], v[101:102], v[103:104], v[107:108]
	v_div_fixup_f64 v[103:104], v[101:102], v[97:98], v[99:100]
	v_fma_f64 v[97:98], v[99:100], v[103:104], v[97:98]
	v_div_scale_f64 v[99:100], s[6:7], v[97:98], v[97:98], 1.0
	v_div_scale_f64 v[107:108], vcc, 1.0, v[97:98], 1.0
	v_rcp_f64_e32 v[101:102], v[99:100]
	v_fma_f64 v[105:106], -v[99:100], v[101:102], 1.0
	v_fma_f64 v[101:102], v[101:102], v[105:106], v[101:102]
	v_fma_f64 v[105:106], -v[99:100], v[101:102], 1.0
	v_fma_f64 v[101:102], v[101:102], v[105:106], v[101:102]
	v_mul_f64 v[105:106], v[107:108], v[101:102]
	v_fma_f64 v[99:100], -v[99:100], v[105:106], v[107:108]
	v_div_fmas_f64 v[99:100], v[99:100], v[101:102], v[105:106]
	v_div_fixup_f64 v[101:102], v[99:100], v[97:98], 1.0
	v_mul_f64 v[103:104], v[103:104], -v[101:102]
.LBB65_70:
	s_or_b64 exec, exec, s[2:3]
	ds_write2_b64 v127, v[101:102], v[103:104] offset1:1
.LBB65_71:
	s_or_b64 exec, exec, s[4:5]
	s_waitcnt lgkmcnt(0)
	s_barrier
	ds_read2_b64 v[97:100], v127 offset1:1
	v_cmp_lt_u32_e32 vcc, 7, v0
	s_waitcnt lgkmcnt(0)
	buffer_store_dword v97, off, s[20:23], 0 offset:488 ; 4-byte Folded Spill
	s_nop 0
	buffer_store_dword v98, off, s[20:23], 0 offset:492 ; 4-byte Folded Spill
	buffer_store_dword v99, off, s[20:23], 0 offset:496 ; 4-byte Folded Spill
	;; [unrolled: 1-line block ×3, first 2 shown]
	s_and_saveexec_b64 s[2:3], vcc
	s_cbranch_execz .LBB65_73
; %bb.72:
	buffer_load_dword v99, off, s[20:23], 0 offset:488 ; 4-byte Folded Reload
	buffer_load_dword v100, off, s[20:23], 0 offset:492 ; 4-byte Folded Reload
	;; [unrolled: 1-line block ×4, first 2 shown]
	s_waitcnt vmcnt(0)
	v_mul_f64 v[97:98], v[101:102], v[89:90]
	v_fma_f64 v[97:98], v[99:100], v[87:88], -v[97:98]
	v_mul_f64 v[99:100], v[99:100], v[89:90]
	v_fma_f64 v[89:90], v[101:102], v[87:88], v[99:100]
	ds_read2_b64 v[99:102], v125 offset0:16 offset1:17
	v_mov_b32_e32 v87, v97
	v_mov_b32_e32 v88, v98
	s_waitcnt lgkmcnt(0)
	v_mul_f64 v[103:104], v[101:102], v[89:90]
	v_fma_f64 v[103:104], v[99:100], v[97:98], -v[103:104]
	v_mul_f64 v[99:100], v[99:100], v[89:90]
	v_add_f64 v[109:110], v[109:110], -v[103:104]
	v_fma_f64 v[99:100], v[101:102], v[97:98], v[99:100]
	v_add_f64 v[111:112], v[111:112], -v[99:100]
	ds_read2_b64 v[99:102], v125 offset0:18 offset1:19
	s_waitcnt lgkmcnt(0)
	v_mul_f64 v[103:104], v[101:102], v[89:90]
	v_fma_f64 v[103:104], v[99:100], v[97:98], -v[103:104]
	v_mul_f64 v[99:100], v[99:100], v[89:90]
	v_add_f64 v[117:118], v[117:118], -v[103:104]
	v_fma_f64 v[99:100], v[101:102], v[97:98], v[99:100]
	v_add_f64 v[119:120], v[119:120], -v[99:100]
	ds_read2_b64 v[99:102], v125 offset0:20 offset1:21
	;; [unrolled: 8-line block ×24, first 2 shown]
	s_waitcnt lgkmcnt(0)
	v_mul_f64 v[103:104], v[101:102], v[89:90]
	v_fma_f64 v[103:104], v[99:100], v[97:98], -v[103:104]
	v_mul_f64 v[99:100], v[99:100], v[89:90]
	v_add_f64 v[113:114], v[113:114], -v[103:104]
	v_fma_f64 v[99:100], v[101:102], v[97:98], v[99:100]
	v_add_f64 v[115:116], v[115:116], -v[99:100]
.LBB65_73:
	s_or_b64 exec, exec, s[2:3]
	v_cmp_eq_u32_e32 vcc, 8, v0
	s_waitcnt vmcnt(0)
	s_barrier
	s_and_saveexec_b64 s[4:5], vcc
	s_cbranch_execz .LBB65_80
; %bb.74:
	ds_write2_b64 v127, v[109:110], v[111:112] offset1:1
	ds_write2_b64 v125, v[117:118], v[119:120] offset0:18 offset1:19
	ds_write2_b64 v125, v[93:94], v[95:96] offset0:20 offset1:21
	ds_write2_b64 v125, v[81:82], v[83:84] offset0:22 offset1:23
	ds_write2_b64 v125, v[77:78], v[79:80] offset0:24 offset1:25
	ds_write2_b64 v125, v[73:74], v[75:76] offset0:26 offset1:27
	ds_write2_b64 v125, v[69:70], v[71:72] offset0:28 offset1:29
	ds_write2_b64 v125, v[65:66], v[67:68] offset0:30 offset1:31
	ds_write2_b64 v125, v[61:62], v[63:64] offset0:32 offset1:33
	ds_write2_b64 v125, v[57:58], v[59:60] offset0:34 offset1:35
	ds_write2_b64 v125, v[53:54], v[55:56] offset0:36 offset1:37
	ds_write2_b64 v125, v[49:50], v[51:52] offset0:38 offset1:39
	ds_write2_b64 v125, v[45:46], v[47:48] offset0:40 offset1:41
	ds_write2_b64 v125, v[41:42], v[43:44] offset0:42 offset1:43
	ds_write2_b64 v125, v[37:38], v[39:40] offset0:44 offset1:45
	ds_write2_b64 v125, v[33:34], v[35:36] offset0:46 offset1:47
	ds_write2_b64 v125, v[29:30], v[31:32] offset0:48 offset1:49
	ds_write2_b64 v125, v[25:26], v[27:28] offset0:50 offset1:51
	ds_write2_b64 v125, v[21:22], v[23:24] offset0:52 offset1:53
	ds_write2_b64 v125, v[17:18], v[19:20] offset0:54 offset1:55
	ds_write2_b64 v125, v[13:14], v[15:16] offset0:56 offset1:57
	ds_write2_b64 v125, v[9:10], v[11:12] offset0:58 offset1:59
	ds_write2_b64 v125, v[5:6], v[7:8] offset0:60 offset1:61
	ds_write2_b64 v125, v[1:2], v[3:4] offset0:62 offset1:63
	ds_write2_b64 v125, v[113:114], v[115:116] offset0:64 offset1:65
	ds_read2_b64 v[97:100], v127 offset1:1
	s_waitcnt lgkmcnt(0)
	v_cmp_neq_f64_e32 vcc, 0, v[97:98]
	v_cmp_neq_f64_e64 s[2:3], 0, v[99:100]
	s_or_b64 s[2:3], vcc, s[2:3]
	s_and_b64 exec, exec, s[2:3]
	s_cbranch_execz .LBB65_80
; %bb.75:
	v_cmp_ngt_f64_e64 s[2:3], |v[97:98]|, |v[99:100]|
                                        ; implicit-def: $vgpr101_vgpr102
	s_and_saveexec_b64 s[6:7], s[2:3]
	s_xor_b64 s[2:3], exec, s[6:7]
                                        ; implicit-def: $vgpr103_vgpr104
	s_cbranch_execz .LBB65_77
; %bb.76:
	v_div_scale_f64 v[101:102], s[6:7], v[99:100], v[99:100], v[97:98]
	v_rcp_f64_e32 v[103:104], v[101:102]
	v_fma_f64 v[105:106], -v[101:102], v[103:104], 1.0
	v_fma_f64 v[103:104], v[103:104], v[105:106], v[103:104]
	v_div_scale_f64 v[105:106], vcc, v[97:98], v[99:100], v[97:98]
	v_fma_f64 v[107:108], -v[101:102], v[103:104], 1.0
	v_fma_f64 v[103:104], v[103:104], v[107:108], v[103:104]
	v_mul_f64 v[107:108], v[105:106], v[103:104]
	v_fma_f64 v[101:102], -v[101:102], v[107:108], v[105:106]
	v_div_fmas_f64 v[101:102], v[101:102], v[103:104], v[107:108]
	v_div_fixup_f64 v[101:102], v[101:102], v[99:100], v[97:98]
	v_fma_f64 v[97:98], v[97:98], v[101:102], v[99:100]
	v_div_scale_f64 v[99:100], s[6:7], v[97:98], v[97:98], 1.0
	v_div_scale_f64 v[107:108], vcc, 1.0, v[97:98], 1.0
	v_rcp_f64_e32 v[103:104], v[99:100]
	v_fma_f64 v[105:106], -v[99:100], v[103:104], 1.0
	v_fma_f64 v[103:104], v[103:104], v[105:106], v[103:104]
	v_fma_f64 v[105:106], -v[99:100], v[103:104], 1.0
	v_fma_f64 v[103:104], v[103:104], v[105:106], v[103:104]
	v_mul_f64 v[105:106], v[107:108], v[103:104]
	v_fma_f64 v[99:100], -v[99:100], v[105:106], v[107:108]
	v_div_fmas_f64 v[99:100], v[99:100], v[103:104], v[105:106]
	v_div_fixup_f64 v[103:104], v[99:100], v[97:98], 1.0
                                        ; implicit-def: $vgpr97_vgpr98
	v_mul_f64 v[101:102], v[101:102], v[103:104]
	v_xor_b32_e32 v104, 0x80000000, v104
.LBB65_77:
	s_andn2_saveexec_b64 s[2:3], s[2:3]
	s_cbranch_execz .LBB65_79
; %bb.78:
	v_div_scale_f64 v[101:102], s[6:7], v[97:98], v[97:98], v[99:100]
	v_rcp_f64_e32 v[103:104], v[101:102]
	v_fma_f64 v[105:106], -v[101:102], v[103:104], 1.0
	v_fma_f64 v[103:104], v[103:104], v[105:106], v[103:104]
	v_div_scale_f64 v[105:106], vcc, v[99:100], v[97:98], v[99:100]
	v_fma_f64 v[107:108], -v[101:102], v[103:104], 1.0
	v_fma_f64 v[103:104], v[103:104], v[107:108], v[103:104]
	v_mul_f64 v[107:108], v[105:106], v[103:104]
	v_fma_f64 v[101:102], -v[101:102], v[107:108], v[105:106]
	v_div_fmas_f64 v[101:102], v[101:102], v[103:104], v[107:108]
	v_div_fixup_f64 v[103:104], v[101:102], v[97:98], v[99:100]
	v_fma_f64 v[97:98], v[99:100], v[103:104], v[97:98]
	v_div_scale_f64 v[99:100], s[6:7], v[97:98], v[97:98], 1.0
	v_div_scale_f64 v[107:108], vcc, 1.0, v[97:98], 1.0
	v_rcp_f64_e32 v[101:102], v[99:100]
	v_fma_f64 v[105:106], -v[99:100], v[101:102], 1.0
	v_fma_f64 v[101:102], v[101:102], v[105:106], v[101:102]
	v_fma_f64 v[105:106], -v[99:100], v[101:102], 1.0
	v_fma_f64 v[101:102], v[101:102], v[105:106], v[101:102]
	v_mul_f64 v[105:106], v[107:108], v[101:102]
	v_fma_f64 v[99:100], -v[99:100], v[105:106], v[107:108]
	v_div_fmas_f64 v[99:100], v[99:100], v[101:102], v[105:106]
	v_div_fixup_f64 v[101:102], v[99:100], v[97:98], 1.0
	v_mul_f64 v[103:104], v[103:104], -v[101:102]
.LBB65_79:
	s_or_b64 exec, exec, s[2:3]
	ds_write2_b64 v127, v[101:102], v[103:104] offset1:1
.LBB65_80:
	s_or_b64 exec, exec, s[4:5]
	s_waitcnt lgkmcnt(0)
	s_barrier
	ds_read2_b64 v[97:100], v127 offset1:1
	v_cmp_lt_u32_e32 vcc, 8, v0
	s_waitcnt lgkmcnt(0)
	buffer_store_dword v97, off, s[20:23], 0 offset:504 ; 4-byte Folded Spill
	s_nop 0
	buffer_store_dword v98, off, s[20:23], 0 offset:508 ; 4-byte Folded Spill
	buffer_store_dword v99, off, s[20:23], 0 offset:512 ; 4-byte Folded Spill
	buffer_store_dword v100, off, s[20:23], 0 offset:516 ; 4-byte Folded Spill
	s_mov_b64 s[2:3], exec
	s_and_b64 s[4:5], s[2:3], vcc
	buffer_store_dword v87, off, s[20:23], 0 offset:344 ; 4-byte Folded Spill
	s_nop 0
	buffer_store_dword v88, off, s[20:23], 0 offset:348 ; 4-byte Folded Spill
	buffer_store_dword v89, off, s[20:23], 0 offset:352 ; 4-byte Folded Spill
	;; [unrolled: 1-line block ×3, first 2 shown]
	s_mov_b64 exec, s[4:5]
	s_cbranch_execz .LBB65_82
; %bb.81:
	buffer_load_dword v99, off, s[20:23], 0 offset:504 ; 4-byte Folded Reload
	buffer_load_dword v100, off, s[20:23], 0 offset:508 ; 4-byte Folded Reload
	buffer_load_dword v101, off, s[20:23], 0 offset:512 ; 4-byte Folded Reload
	buffer_load_dword v102, off, s[20:23], 0 offset:516 ; 4-byte Folded Reload
	v_mov_b32_e32 v87, v93
	v_mov_b32_e32 v88, v94
	;; [unrolled: 1-line block ×4, first 2 shown]
	s_waitcnt vmcnt(2)
	v_mul_f64 v[95:96], v[99:100], v[111:112]
	s_waitcnt vmcnt(0)
	v_mul_f64 v[97:98], v[101:102], v[111:112]
	v_fma_f64 v[111:112], v[101:102], v[109:110], v[95:96]
	v_fma_f64 v[97:98], v[99:100], v[109:110], -v[97:98]
	ds_read2_b64 v[99:102], v125 offset0:18 offset1:19
	s_waitcnt lgkmcnt(0)
	v_mul_f64 v[93:94], v[101:102], v[111:112]
	v_mov_b32_e32 v110, v98
	v_mov_b32_e32 v109, v97
	v_fma_f64 v[93:94], v[99:100], v[97:98], -v[93:94]
	v_mul_f64 v[99:100], v[99:100], v[111:112]
	v_add_f64 v[117:118], v[117:118], -v[93:94]
	v_fma_f64 v[99:100], v[101:102], v[97:98], v[99:100]
	v_add_f64 v[119:120], v[119:120], -v[99:100]
	ds_read2_b64 v[99:102], v125 offset0:20 offset1:21
	s_waitcnt lgkmcnt(0)
	v_mul_f64 v[93:94], v[101:102], v[111:112]
	v_fma_f64 v[93:94], v[99:100], v[97:98], -v[93:94]
	v_mul_f64 v[99:100], v[99:100], v[111:112]
	v_add_f64 v[87:88], v[87:88], -v[93:94]
	v_fma_f64 v[99:100], v[101:102], v[97:98], v[99:100]
	v_add_f64 v[89:90], v[89:90], -v[99:100]
	ds_read2_b64 v[99:102], v125 offset0:22 offset1:23
	s_waitcnt lgkmcnt(0)
	v_mul_f64 v[93:94], v[101:102], v[111:112]
	v_fma_f64 v[93:94], v[99:100], v[97:98], -v[93:94]
	v_mul_f64 v[99:100], v[99:100], v[111:112]
	v_add_f64 v[81:82], v[81:82], -v[93:94]
	v_fma_f64 v[99:100], v[101:102], v[97:98], v[99:100]
	v_add_f64 v[83:84], v[83:84], -v[99:100]
	ds_read2_b64 v[99:102], v125 offset0:24 offset1:25
	s_waitcnt lgkmcnt(0)
	v_mul_f64 v[93:94], v[101:102], v[111:112]
	v_fma_f64 v[93:94], v[99:100], v[97:98], -v[93:94]
	v_mul_f64 v[99:100], v[99:100], v[111:112]
	v_add_f64 v[77:78], v[77:78], -v[93:94]
	v_fma_f64 v[99:100], v[101:102], v[97:98], v[99:100]
	v_add_f64 v[79:80], v[79:80], -v[99:100]
	ds_read2_b64 v[99:102], v125 offset0:26 offset1:27
	s_waitcnt lgkmcnt(0)
	v_mul_f64 v[93:94], v[101:102], v[111:112]
	v_fma_f64 v[93:94], v[99:100], v[97:98], -v[93:94]
	v_mul_f64 v[99:100], v[99:100], v[111:112]
	v_add_f64 v[73:74], v[73:74], -v[93:94]
	v_fma_f64 v[99:100], v[101:102], v[97:98], v[99:100]
	v_add_f64 v[75:76], v[75:76], -v[99:100]
	ds_read2_b64 v[99:102], v125 offset0:28 offset1:29
	s_waitcnt lgkmcnt(0)
	v_mul_f64 v[93:94], v[101:102], v[111:112]
	v_fma_f64 v[93:94], v[99:100], v[97:98], -v[93:94]
	v_mul_f64 v[99:100], v[99:100], v[111:112]
	v_add_f64 v[69:70], v[69:70], -v[93:94]
	v_fma_f64 v[99:100], v[101:102], v[97:98], v[99:100]
	v_add_f64 v[71:72], v[71:72], -v[99:100]
	ds_read2_b64 v[99:102], v125 offset0:30 offset1:31
	s_waitcnt lgkmcnt(0)
	v_mul_f64 v[93:94], v[101:102], v[111:112]
	v_fma_f64 v[93:94], v[99:100], v[97:98], -v[93:94]
	v_mul_f64 v[99:100], v[99:100], v[111:112]
	v_add_f64 v[65:66], v[65:66], -v[93:94]
	v_fma_f64 v[99:100], v[101:102], v[97:98], v[99:100]
	v_add_f64 v[67:68], v[67:68], -v[99:100]
	ds_read2_b64 v[99:102], v125 offset0:32 offset1:33
	s_waitcnt lgkmcnt(0)
	v_mul_f64 v[93:94], v[101:102], v[111:112]
	v_fma_f64 v[93:94], v[99:100], v[97:98], -v[93:94]
	v_mul_f64 v[99:100], v[99:100], v[111:112]
	v_add_f64 v[61:62], v[61:62], -v[93:94]
	v_fma_f64 v[99:100], v[101:102], v[97:98], v[99:100]
	v_add_f64 v[63:64], v[63:64], -v[99:100]
	ds_read2_b64 v[99:102], v125 offset0:34 offset1:35
	s_waitcnt lgkmcnt(0)
	v_mul_f64 v[93:94], v[101:102], v[111:112]
	v_fma_f64 v[93:94], v[99:100], v[97:98], -v[93:94]
	v_mul_f64 v[99:100], v[99:100], v[111:112]
	v_add_f64 v[57:58], v[57:58], -v[93:94]
	v_fma_f64 v[99:100], v[101:102], v[97:98], v[99:100]
	v_add_f64 v[59:60], v[59:60], -v[99:100]
	ds_read2_b64 v[99:102], v125 offset0:36 offset1:37
	s_waitcnt lgkmcnt(0)
	v_mul_f64 v[93:94], v[101:102], v[111:112]
	v_fma_f64 v[93:94], v[99:100], v[97:98], -v[93:94]
	v_mul_f64 v[99:100], v[99:100], v[111:112]
	v_add_f64 v[53:54], v[53:54], -v[93:94]
	v_fma_f64 v[99:100], v[101:102], v[97:98], v[99:100]
	v_add_f64 v[55:56], v[55:56], -v[99:100]
	ds_read2_b64 v[99:102], v125 offset0:38 offset1:39
	s_waitcnt lgkmcnt(0)
	v_mul_f64 v[93:94], v[101:102], v[111:112]
	v_fma_f64 v[93:94], v[99:100], v[97:98], -v[93:94]
	v_mul_f64 v[99:100], v[99:100], v[111:112]
	v_add_f64 v[49:50], v[49:50], -v[93:94]
	v_fma_f64 v[99:100], v[101:102], v[97:98], v[99:100]
	v_add_f64 v[51:52], v[51:52], -v[99:100]
	ds_read2_b64 v[99:102], v125 offset0:40 offset1:41
	s_waitcnt lgkmcnt(0)
	v_mul_f64 v[93:94], v[101:102], v[111:112]
	v_fma_f64 v[93:94], v[99:100], v[97:98], -v[93:94]
	v_mul_f64 v[99:100], v[99:100], v[111:112]
	v_add_f64 v[45:46], v[45:46], -v[93:94]
	v_fma_f64 v[99:100], v[101:102], v[97:98], v[99:100]
	v_add_f64 v[47:48], v[47:48], -v[99:100]
	ds_read2_b64 v[99:102], v125 offset0:42 offset1:43
	s_waitcnt lgkmcnt(0)
	v_mul_f64 v[93:94], v[101:102], v[111:112]
	v_fma_f64 v[93:94], v[99:100], v[97:98], -v[93:94]
	v_mul_f64 v[99:100], v[99:100], v[111:112]
	v_add_f64 v[41:42], v[41:42], -v[93:94]
	v_fma_f64 v[99:100], v[101:102], v[97:98], v[99:100]
	v_add_f64 v[43:44], v[43:44], -v[99:100]
	ds_read2_b64 v[99:102], v125 offset0:44 offset1:45
	s_waitcnt lgkmcnt(0)
	v_mul_f64 v[93:94], v[101:102], v[111:112]
	v_fma_f64 v[93:94], v[99:100], v[97:98], -v[93:94]
	v_mul_f64 v[99:100], v[99:100], v[111:112]
	v_add_f64 v[37:38], v[37:38], -v[93:94]
	v_fma_f64 v[99:100], v[101:102], v[97:98], v[99:100]
	v_add_f64 v[39:40], v[39:40], -v[99:100]
	ds_read2_b64 v[99:102], v125 offset0:46 offset1:47
	s_waitcnt lgkmcnt(0)
	v_mul_f64 v[93:94], v[101:102], v[111:112]
	v_fma_f64 v[93:94], v[99:100], v[97:98], -v[93:94]
	v_mul_f64 v[99:100], v[99:100], v[111:112]
	v_add_f64 v[33:34], v[33:34], -v[93:94]
	v_fma_f64 v[99:100], v[101:102], v[97:98], v[99:100]
	v_add_f64 v[35:36], v[35:36], -v[99:100]
	ds_read2_b64 v[99:102], v125 offset0:48 offset1:49
	s_waitcnt lgkmcnt(0)
	v_mul_f64 v[93:94], v[101:102], v[111:112]
	v_fma_f64 v[93:94], v[99:100], v[97:98], -v[93:94]
	v_mul_f64 v[99:100], v[99:100], v[111:112]
	v_add_f64 v[29:30], v[29:30], -v[93:94]
	v_fma_f64 v[99:100], v[101:102], v[97:98], v[99:100]
	v_add_f64 v[31:32], v[31:32], -v[99:100]
	ds_read2_b64 v[99:102], v125 offset0:50 offset1:51
	s_waitcnt lgkmcnt(0)
	v_mul_f64 v[93:94], v[101:102], v[111:112]
	v_fma_f64 v[93:94], v[99:100], v[97:98], -v[93:94]
	v_mul_f64 v[99:100], v[99:100], v[111:112]
	v_add_f64 v[25:26], v[25:26], -v[93:94]
	v_fma_f64 v[99:100], v[101:102], v[97:98], v[99:100]
	v_add_f64 v[27:28], v[27:28], -v[99:100]
	ds_read2_b64 v[99:102], v125 offset0:52 offset1:53
	s_waitcnt lgkmcnt(0)
	v_mul_f64 v[93:94], v[101:102], v[111:112]
	v_fma_f64 v[93:94], v[99:100], v[97:98], -v[93:94]
	v_mul_f64 v[99:100], v[99:100], v[111:112]
	v_add_f64 v[21:22], v[21:22], -v[93:94]
	v_fma_f64 v[99:100], v[101:102], v[97:98], v[99:100]
	v_add_f64 v[23:24], v[23:24], -v[99:100]
	ds_read2_b64 v[99:102], v125 offset0:54 offset1:55
	s_waitcnt lgkmcnt(0)
	v_mul_f64 v[93:94], v[101:102], v[111:112]
	v_fma_f64 v[93:94], v[99:100], v[97:98], -v[93:94]
	v_mul_f64 v[99:100], v[99:100], v[111:112]
	v_add_f64 v[17:18], v[17:18], -v[93:94]
	v_fma_f64 v[99:100], v[101:102], v[97:98], v[99:100]
	v_add_f64 v[19:20], v[19:20], -v[99:100]
	ds_read2_b64 v[99:102], v125 offset0:56 offset1:57
	s_waitcnt lgkmcnt(0)
	v_mul_f64 v[93:94], v[101:102], v[111:112]
	v_fma_f64 v[93:94], v[99:100], v[97:98], -v[93:94]
	v_mul_f64 v[99:100], v[99:100], v[111:112]
	v_add_f64 v[13:14], v[13:14], -v[93:94]
	v_fma_f64 v[99:100], v[101:102], v[97:98], v[99:100]
	v_add_f64 v[15:16], v[15:16], -v[99:100]
	ds_read2_b64 v[99:102], v125 offset0:58 offset1:59
	s_waitcnt lgkmcnt(0)
	v_mul_f64 v[93:94], v[101:102], v[111:112]
	v_fma_f64 v[93:94], v[99:100], v[97:98], -v[93:94]
	v_mul_f64 v[99:100], v[99:100], v[111:112]
	v_add_f64 v[9:10], v[9:10], -v[93:94]
	v_fma_f64 v[99:100], v[101:102], v[97:98], v[99:100]
	v_add_f64 v[11:12], v[11:12], -v[99:100]
	ds_read2_b64 v[99:102], v125 offset0:60 offset1:61
	s_waitcnt lgkmcnt(0)
	v_mul_f64 v[93:94], v[101:102], v[111:112]
	v_fma_f64 v[93:94], v[99:100], v[97:98], -v[93:94]
	v_mul_f64 v[99:100], v[99:100], v[111:112]
	v_add_f64 v[5:6], v[5:6], -v[93:94]
	v_fma_f64 v[99:100], v[101:102], v[97:98], v[99:100]
	v_add_f64 v[7:8], v[7:8], -v[99:100]
	ds_read2_b64 v[99:102], v125 offset0:62 offset1:63
	s_waitcnt lgkmcnt(0)
	v_mul_f64 v[93:94], v[101:102], v[111:112]
	v_fma_f64 v[93:94], v[99:100], v[97:98], -v[93:94]
	v_mul_f64 v[99:100], v[99:100], v[111:112]
	v_add_f64 v[1:2], v[1:2], -v[93:94]
	v_fma_f64 v[99:100], v[101:102], v[97:98], v[99:100]
	v_add_f64 v[3:4], v[3:4], -v[99:100]
	ds_read2_b64 v[99:102], v125 offset0:64 offset1:65
	s_waitcnt lgkmcnt(0)
	v_mul_f64 v[93:94], v[101:102], v[111:112]
	v_fma_f64 v[93:94], v[99:100], v[97:98], -v[93:94]
	v_mul_f64 v[99:100], v[99:100], v[111:112]
	v_add_f64 v[113:114], v[113:114], -v[93:94]
	v_fma_f64 v[99:100], v[101:102], v[97:98], v[99:100]
	v_mov_b32_e32 v96, v90
	v_mov_b32_e32 v95, v89
	;; [unrolled: 1-line block ×4, first 2 shown]
	v_add_f64 v[115:116], v[115:116], -v[99:100]
.LBB65_82:
	s_or_b64 exec, exec, s[2:3]
	v_cmp_eq_u32_e32 vcc, 9, v0
	s_waitcnt vmcnt(0)
	s_barrier
	s_and_saveexec_b64 s[4:5], vcc
	s_cbranch_execz .LBB65_89
; %bb.83:
	ds_write2_b64 v127, v[117:118], v[119:120] offset1:1
	ds_write2_b64 v125, v[93:94], v[95:96] offset0:20 offset1:21
	ds_write2_b64 v125, v[81:82], v[83:84] offset0:22 offset1:23
	;; [unrolled: 1-line block ×23, first 2 shown]
	ds_read2_b64 v[97:100], v127 offset1:1
	s_waitcnt lgkmcnt(0)
	v_cmp_neq_f64_e32 vcc, 0, v[97:98]
	v_cmp_neq_f64_e64 s[2:3], 0, v[99:100]
	s_or_b64 s[2:3], vcc, s[2:3]
	s_and_b64 exec, exec, s[2:3]
	s_cbranch_execz .LBB65_89
; %bb.84:
	v_cmp_ngt_f64_e64 s[2:3], |v[97:98]|, |v[99:100]|
                                        ; implicit-def: $vgpr101_vgpr102
	s_and_saveexec_b64 s[6:7], s[2:3]
	s_xor_b64 s[2:3], exec, s[6:7]
                                        ; implicit-def: $vgpr103_vgpr104
	s_cbranch_execz .LBB65_86
; %bb.85:
	v_div_scale_f64 v[101:102], s[6:7], v[99:100], v[99:100], v[97:98]
	v_rcp_f64_e32 v[103:104], v[101:102]
	v_fma_f64 v[105:106], -v[101:102], v[103:104], 1.0
	v_fma_f64 v[103:104], v[103:104], v[105:106], v[103:104]
	v_div_scale_f64 v[105:106], vcc, v[97:98], v[99:100], v[97:98]
	v_fma_f64 v[107:108], -v[101:102], v[103:104], 1.0
	v_fma_f64 v[103:104], v[103:104], v[107:108], v[103:104]
	v_mul_f64 v[107:108], v[105:106], v[103:104]
	v_fma_f64 v[101:102], -v[101:102], v[107:108], v[105:106]
	v_div_fmas_f64 v[101:102], v[101:102], v[103:104], v[107:108]
	v_div_fixup_f64 v[101:102], v[101:102], v[99:100], v[97:98]
	v_fma_f64 v[97:98], v[97:98], v[101:102], v[99:100]
	v_div_scale_f64 v[99:100], s[6:7], v[97:98], v[97:98], 1.0
	v_div_scale_f64 v[107:108], vcc, 1.0, v[97:98], 1.0
	v_rcp_f64_e32 v[103:104], v[99:100]
	v_fma_f64 v[105:106], -v[99:100], v[103:104], 1.0
	v_fma_f64 v[103:104], v[103:104], v[105:106], v[103:104]
	v_fma_f64 v[105:106], -v[99:100], v[103:104], 1.0
	v_fma_f64 v[103:104], v[103:104], v[105:106], v[103:104]
	v_mul_f64 v[105:106], v[107:108], v[103:104]
	v_fma_f64 v[99:100], -v[99:100], v[105:106], v[107:108]
	v_div_fmas_f64 v[99:100], v[99:100], v[103:104], v[105:106]
	v_div_fixup_f64 v[103:104], v[99:100], v[97:98], 1.0
                                        ; implicit-def: $vgpr97_vgpr98
	v_mul_f64 v[101:102], v[101:102], v[103:104]
	v_xor_b32_e32 v104, 0x80000000, v104
.LBB65_86:
	s_andn2_saveexec_b64 s[2:3], s[2:3]
	s_cbranch_execz .LBB65_88
; %bb.87:
	v_div_scale_f64 v[101:102], s[6:7], v[97:98], v[97:98], v[99:100]
	v_rcp_f64_e32 v[103:104], v[101:102]
	v_fma_f64 v[105:106], -v[101:102], v[103:104], 1.0
	v_fma_f64 v[103:104], v[103:104], v[105:106], v[103:104]
	v_div_scale_f64 v[105:106], vcc, v[99:100], v[97:98], v[99:100]
	v_fma_f64 v[107:108], -v[101:102], v[103:104], 1.0
	v_fma_f64 v[103:104], v[103:104], v[107:108], v[103:104]
	v_mul_f64 v[107:108], v[105:106], v[103:104]
	v_fma_f64 v[101:102], -v[101:102], v[107:108], v[105:106]
	v_div_fmas_f64 v[101:102], v[101:102], v[103:104], v[107:108]
	v_div_fixup_f64 v[103:104], v[101:102], v[97:98], v[99:100]
	v_fma_f64 v[97:98], v[99:100], v[103:104], v[97:98]
	v_div_scale_f64 v[99:100], s[6:7], v[97:98], v[97:98], 1.0
	v_div_scale_f64 v[107:108], vcc, 1.0, v[97:98], 1.0
	v_rcp_f64_e32 v[101:102], v[99:100]
	v_fma_f64 v[105:106], -v[99:100], v[101:102], 1.0
	v_fma_f64 v[101:102], v[101:102], v[105:106], v[101:102]
	v_fma_f64 v[105:106], -v[99:100], v[101:102], 1.0
	v_fma_f64 v[101:102], v[101:102], v[105:106], v[101:102]
	v_mul_f64 v[105:106], v[107:108], v[101:102]
	v_fma_f64 v[99:100], -v[99:100], v[105:106], v[107:108]
	v_div_fmas_f64 v[99:100], v[99:100], v[101:102], v[105:106]
	v_div_fixup_f64 v[101:102], v[99:100], v[97:98], 1.0
	v_mul_f64 v[103:104], v[103:104], -v[101:102]
.LBB65_88:
	s_or_b64 exec, exec, s[2:3]
	ds_write2_b64 v127, v[101:102], v[103:104] offset1:1
.LBB65_89:
	s_or_b64 exec, exec, s[4:5]
	s_waitcnt lgkmcnt(0)
	s_barrier
	ds_read2_b64 v[87:90], v127 offset1:1
	v_cmp_lt_u32_e32 vcc, 9, v0
	s_waitcnt lgkmcnt(0)
	buffer_store_dword v87, off, s[20:23], 0 offset:520 ; 4-byte Folded Spill
	s_nop 0
	buffer_store_dword v88, off, s[20:23], 0 offset:524 ; 4-byte Folded Spill
	buffer_store_dword v89, off, s[20:23], 0 offset:528 ; 4-byte Folded Spill
	;; [unrolled: 1-line block ×3, first 2 shown]
	s_and_saveexec_b64 s[2:3], vcc
	s_cbranch_execz .LBB65_91
; %bb.90:
	buffer_load_dword v99, off, s[20:23], 0 offset:520 ; 4-byte Folded Reload
	buffer_load_dword v100, off, s[20:23], 0 offset:524 ; 4-byte Folded Reload
	;; [unrolled: 1-line block ×4, first 2 shown]
	v_mov_b32_e32 v89, v91
	v_mov_b32_e32 v90, v92
	s_waitcnt vmcnt(2)
	v_mul_f64 v[91:92], v[99:100], v[119:120]
	s_waitcnt vmcnt(0)
	v_mul_f64 v[97:98], v[101:102], v[119:120]
	v_fma_f64 v[119:120], v[101:102], v[117:118], v[91:92]
	v_mov_b32_e32 v92, v90
	v_fma_f64 v[97:98], v[99:100], v[117:118], -v[97:98]
	ds_read2_b64 v[99:102], v125 offset0:20 offset1:21
	v_mov_b32_e32 v91, v89
	s_waitcnt lgkmcnt(0)
	v_mul_f64 v[89:90], v[101:102], v[119:120]
	v_mov_b32_e32 v118, v98
	v_mov_b32_e32 v117, v97
	v_fma_f64 v[89:90], v[99:100], v[97:98], -v[89:90]
	v_mul_f64 v[99:100], v[99:100], v[119:120]
	v_add_f64 v[93:94], v[93:94], -v[89:90]
	v_fma_f64 v[99:100], v[101:102], v[97:98], v[99:100]
	v_add_f64 v[95:96], v[95:96], -v[99:100]
	ds_read2_b64 v[99:102], v125 offset0:22 offset1:23
	s_waitcnt lgkmcnt(0)
	v_mul_f64 v[89:90], v[101:102], v[119:120]
	v_fma_f64 v[89:90], v[99:100], v[97:98], -v[89:90]
	v_mul_f64 v[99:100], v[99:100], v[119:120]
	v_add_f64 v[81:82], v[81:82], -v[89:90]
	v_fma_f64 v[99:100], v[101:102], v[97:98], v[99:100]
	v_add_f64 v[83:84], v[83:84], -v[99:100]
	ds_read2_b64 v[99:102], v125 offset0:24 offset1:25
	s_waitcnt lgkmcnt(0)
	v_mul_f64 v[89:90], v[101:102], v[119:120]
	;; [unrolled: 8-line block ×22, first 2 shown]
	v_fma_f64 v[89:90], v[99:100], v[97:98], -v[89:90]
	v_mul_f64 v[99:100], v[99:100], v[119:120]
	v_add_f64 v[113:114], v[113:114], -v[89:90]
	v_fma_f64 v[99:100], v[101:102], v[97:98], v[99:100]
	v_add_f64 v[115:116], v[115:116], -v[99:100]
.LBB65_91:
	s_or_b64 exec, exec, s[2:3]
	v_cmp_eq_u32_e32 vcc, 10, v0
	s_waitcnt vmcnt(0)
	s_barrier
	s_and_saveexec_b64 s[4:5], vcc
	s_cbranch_execz .LBB65_98
; %bb.92:
	ds_write2_b64 v127, v[93:94], v[95:96] offset1:1
	ds_write2_b64 v125, v[81:82], v[83:84] offset0:22 offset1:23
	ds_write2_b64 v125, v[77:78], v[79:80] offset0:24 offset1:25
	;; [unrolled: 1-line block ×22, first 2 shown]
	ds_read2_b64 v[97:100], v127 offset1:1
	s_waitcnt lgkmcnt(0)
	v_cmp_neq_f64_e32 vcc, 0, v[97:98]
	v_cmp_neq_f64_e64 s[2:3], 0, v[99:100]
	s_or_b64 s[2:3], vcc, s[2:3]
	s_and_b64 exec, exec, s[2:3]
	s_cbranch_execz .LBB65_98
; %bb.93:
	v_cmp_ngt_f64_e64 s[2:3], |v[97:98]|, |v[99:100]|
                                        ; implicit-def: $vgpr101_vgpr102
	s_and_saveexec_b64 s[6:7], s[2:3]
	s_xor_b64 s[2:3], exec, s[6:7]
                                        ; implicit-def: $vgpr103_vgpr104
	s_cbranch_execz .LBB65_95
; %bb.94:
	v_div_scale_f64 v[101:102], s[6:7], v[99:100], v[99:100], v[97:98]
	v_rcp_f64_e32 v[103:104], v[101:102]
	v_fma_f64 v[105:106], -v[101:102], v[103:104], 1.0
	v_fma_f64 v[103:104], v[103:104], v[105:106], v[103:104]
	v_div_scale_f64 v[105:106], vcc, v[97:98], v[99:100], v[97:98]
	v_fma_f64 v[107:108], -v[101:102], v[103:104], 1.0
	v_fma_f64 v[103:104], v[103:104], v[107:108], v[103:104]
	v_mul_f64 v[107:108], v[105:106], v[103:104]
	v_fma_f64 v[101:102], -v[101:102], v[107:108], v[105:106]
	v_div_fmas_f64 v[101:102], v[101:102], v[103:104], v[107:108]
	v_div_fixup_f64 v[101:102], v[101:102], v[99:100], v[97:98]
	v_fma_f64 v[97:98], v[97:98], v[101:102], v[99:100]
	v_div_scale_f64 v[99:100], s[6:7], v[97:98], v[97:98], 1.0
	v_div_scale_f64 v[107:108], vcc, 1.0, v[97:98], 1.0
	v_rcp_f64_e32 v[103:104], v[99:100]
	v_fma_f64 v[105:106], -v[99:100], v[103:104], 1.0
	v_fma_f64 v[103:104], v[103:104], v[105:106], v[103:104]
	v_fma_f64 v[105:106], -v[99:100], v[103:104], 1.0
	v_fma_f64 v[103:104], v[103:104], v[105:106], v[103:104]
	v_mul_f64 v[105:106], v[107:108], v[103:104]
	v_fma_f64 v[99:100], -v[99:100], v[105:106], v[107:108]
	v_div_fmas_f64 v[99:100], v[99:100], v[103:104], v[105:106]
	v_div_fixup_f64 v[103:104], v[99:100], v[97:98], 1.0
                                        ; implicit-def: $vgpr97_vgpr98
	v_mul_f64 v[101:102], v[101:102], v[103:104]
	v_xor_b32_e32 v104, 0x80000000, v104
.LBB65_95:
	s_andn2_saveexec_b64 s[2:3], s[2:3]
	s_cbranch_execz .LBB65_97
; %bb.96:
	v_div_scale_f64 v[101:102], s[6:7], v[97:98], v[97:98], v[99:100]
	v_rcp_f64_e32 v[103:104], v[101:102]
	v_fma_f64 v[105:106], -v[101:102], v[103:104], 1.0
	v_fma_f64 v[103:104], v[103:104], v[105:106], v[103:104]
	v_div_scale_f64 v[105:106], vcc, v[99:100], v[97:98], v[99:100]
	v_fma_f64 v[107:108], -v[101:102], v[103:104], 1.0
	v_fma_f64 v[103:104], v[103:104], v[107:108], v[103:104]
	v_mul_f64 v[107:108], v[105:106], v[103:104]
	v_fma_f64 v[101:102], -v[101:102], v[107:108], v[105:106]
	v_div_fmas_f64 v[101:102], v[101:102], v[103:104], v[107:108]
	v_div_fixup_f64 v[103:104], v[101:102], v[97:98], v[99:100]
	v_fma_f64 v[97:98], v[99:100], v[103:104], v[97:98]
	v_div_scale_f64 v[99:100], s[6:7], v[97:98], v[97:98], 1.0
	v_div_scale_f64 v[107:108], vcc, 1.0, v[97:98], 1.0
	v_rcp_f64_e32 v[101:102], v[99:100]
	v_fma_f64 v[105:106], -v[99:100], v[101:102], 1.0
	v_fma_f64 v[101:102], v[101:102], v[105:106], v[101:102]
	v_fma_f64 v[105:106], -v[99:100], v[101:102], 1.0
	v_fma_f64 v[101:102], v[101:102], v[105:106], v[101:102]
	v_mul_f64 v[105:106], v[107:108], v[101:102]
	v_fma_f64 v[99:100], -v[99:100], v[105:106], v[107:108]
	v_div_fmas_f64 v[99:100], v[99:100], v[101:102], v[105:106]
	v_div_fixup_f64 v[101:102], v[99:100], v[97:98], 1.0
	v_mul_f64 v[103:104], v[103:104], -v[101:102]
.LBB65_97:
	s_or_b64 exec, exec, s[2:3]
	ds_write2_b64 v127, v[101:102], v[103:104] offset1:1
.LBB65_98:
	s_or_b64 exec, exec, s[4:5]
	s_waitcnt lgkmcnt(0)
	s_barrier
	ds_read2_b64 v[87:90], v127 offset1:1
	v_cmp_lt_u32_e32 vcc, 10, v0
	s_waitcnt lgkmcnt(0)
	buffer_store_dword v87, off, s[20:23], 0 offset:536 ; 4-byte Folded Spill
	s_nop 0
	buffer_store_dword v88, off, s[20:23], 0 offset:540 ; 4-byte Folded Spill
	buffer_store_dword v89, off, s[20:23], 0 offset:544 ; 4-byte Folded Spill
	;; [unrolled: 1-line block ×3, first 2 shown]
	s_and_saveexec_b64 s[2:3], vcc
	s_cbranch_execz .LBB65_100
; %bb.99:
	buffer_load_dword v99, off, s[20:23], 0 offset:536 ; 4-byte Folded Reload
	buffer_load_dword v100, off, s[20:23], 0 offset:540 ; 4-byte Folded Reload
	;; [unrolled: 1-line block ×4, first 2 shown]
	s_waitcnt vmcnt(2)
	v_mul_f64 v[87:88], v[99:100], v[95:96]
	s_waitcnt vmcnt(0)
	v_mul_f64 v[97:98], v[101:102], v[95:96]
	v_fma_f64 v[95:96], v[101:102], v[93:94], v[87:88]
	v_fma_f64 v[97:98], v[99:100], v[93:94], -v[97:98]
	ds_read2_b64 v[99:102], v125 offset0:22 offset1:23
	s_waitcnt lgkmcnt(0)
	v_mul_f64 v[85:86], v[101:102], v[95:96]
	v_mov_b32_e32 v93, v97
	v_mov_b32_e32 v94, v98
	v_fma_f64 v[85:86], v[99:100], v[97:98], -v[85:86]
	v_mul_f64 v[99:100], v[99:100], v[95:96]
	v_add_f64 v[81:82], v[81:82], -v[85:86]
	v_fma_f64 v[99:100], v[101:102], v[97:98], v[99:100]
	v_add_f64 v[83:84], v[83:84], -v[99:100]
	ds_read2_b64 v[99:102], v125 offset0:24 offset1:25
	s_waitcnt lgkmcnt(0)
	v_mul_f64 v[85:86], v[101:102], v[95:96]
	v_fma_f64 v[85:86], v[99:100], v[97:98], -v[85:86]
	v_mul_f64 v[99:100], v[99:100], v[95:96]
	v_add_f64 v[77:78], v[77:78], -v[85:86]
	v_fma_f64 v[99:100], v[101:102], v[97:98], v[99:100]
	v_add_f64 v[79:80], v[79:80], -v[99:100]
	ds_read2_b64 v[99:102], v125 offset0:26 offset1:27
	s_waitcnt lgkmcnt(0)
	v_mul_f64 v[85:86], v[101:102], v[95:96]
	;; [unrolled: 8-line block ×21, first 2 shown]
	v_fma_f64 v[85:86], v[99:100], v[97:98], -v[85:86]
	v_mul_f64 v[99:100], v[99:100], v[95:96]
	v_add_f64 v[113:114], v[113:114], -v[85:86]
	v_fma_f64 v[99:100], v[101:102], v[97:98], v[99:100]
	v_add_f64 v[115:116], v[115:116], -v[99:100]
.LBB65_100:
	s_or_b64 exec, exec, s[2:3]
	v_cmp_eq_u32_e32 vcc, 11, v0
	s_waitcnt vmcnt(0)
	s_barrier
	s_and_saveexec_b64 s[4:5], vcc
	s_cbranch_execz .LBB65_107
; %bb.101:
	ds_write2_b64 v127, v[81:82], v[83:84] offset1:1
	ds_write2_b64 v125, v[77:78], v[79:80] offset0:24 offset1:25
	ds_write2_b64 v125, v[73:74], v[75:76] offset0:26 offset1:27
	;; [unrolled: 1-line block ×21, first 2 shown]
	ds_read2_b64 v[97:100], v127 offset1:1
	s_waitcnt lgkmcnt(0)
	v_cmp_neq_f64_e32 vcc, 0, v[97:98]
	v_cmp_neq_f64_e64 s[2:3], 0, v[99:100]
	s_or_b64 s[2:3], vcc, s[2:3]
	s_and_b64 exec, exec, s[2:3]
	s_cbranch_execz .LBB65_107
; %bb.102:
	v_cmp_ngt_f64_e64 s[2:3], |v[97:98]|, |v[99:100]|
                                        ; implicit-def: $vgpr101_vgpr102
	s_and_saveexec_b64 s[6:7], s[2:3]
	s_xor_b64 s[2:3], exec, s[6:7]
                                        ; implicit-def: $vgpr103_vgpr104
	s_cbranch_execz .LBB65_104
; %bb.103:
	v_div_scale_f64 v[101:102], s[6:7], v[99:100], v[99:100], v[97:98]
	v_rcp_f64_e32 v[103:104], v[101:102]
	v_fma_f64 v[105:106], -v[101:102], v[103:104], 1.0
	v_fma_f64 v[103:104], v[103:104], v[105:106], v[103:104]
	v_div_scale_f64 v[105:106], vcc, v[97:98], v[99:100], v[97:98]
	v_fma_f64 v[107:108], -v[101:102], v[103:104], 1.0
	v_fma_f64 v[103:104], v[103:104], v[107:108], v[103:104]
	v_mul_f64 v[107:108], v[105:106], v[103:104]
	v_fma_f64 v[101:102], -v[101:102], v[107:108], v[105:106]
	v_div_fmas_f64 v[101:102], v[101:102], v[103:104], v[107:108]
	v_div_fixup_f64 v[101:102], v[101:102], v[99:100], v[97:98]
	v_fma_f64 v[97:98], v[97:98], v[101:102], v[99:100]
	v_div_scale_f64 v[99:100], s[6:7], v[97:98], v[97:98], 1.0
	v_div_scale_f64 v[107:108], vcc, 1.0, v[97:98], 1.0
	v_rcp_f64_e32 v[103:104], v[99:100]
	v_fma_f64 v[105:106], -v[99:100], v[103:104], 1.0
	v_fma_f64 v[103:104], v[103:104], v[105:106], v[103:104]
	v_fma_f64 v[105:106], -v[99:100], v[103:104], 1.0
	v_fma_f64 v[103:104], v[103:104], v[105:106], v[103:104]
	v_mul_f64 v[105:106], v[107:108], v[103:104]
	v_fma_f64 v[99:100], -v[99:100], v[105:106], v[107:108]
	v_div_fmas_f64 v[99:100], v[99:100], v[103:104], v[105:106]
	v_div_fixup_f64 v[103:104], v[99:100], v[97:98], 1.0
                                        ; implicit-def: $vgpr97_vgpr98
	v_mul_f64 v[101:102], v[101:102], v[103:104]
	v_xor_b32_e32 v104, 0x80000000, v104
.LBB65_104:
	s_andn2_saveexec_b64 s[2:3], s[2:3]
	s_cbranch_execz .LBB65_106
; %bb.105:
	v_div_scale_f64 v[101:102], s[6:7], v[97:98], v[97:98], v[99:100]
	v_rcp_f64_e32 v[103:104], v[101:102]
	v_fma_f64 v[105:106], -v[101:102], v[103:104], 1.0
	v_fma_f64 v[103:104], v[103:104], v[105:106], v[103:104]
	v_div_scale_f64 v[105:106], vcc, v[99:100], v[97:98], v[99:100]
	v_fma_f64 v[107:108], -v[101:102], v[103:104], 1.0
	v_fma_f64 v[103:104], v[103:104], v[107:108], v[103:104]
	v_mul_f64 v[107:108], v[105:106], v[103:104]
	v_fma_f64 v[101:102], -v[101:102], v[107:108], v[105:106]
	v_div_fmas_f64 v[101:102], v[101:102], v[103:104], v[107:108]
	v_div_fixup_f64 v[103:104], v[101:102], v[97:98], v[99:100]
	v_fma_f64 v[97:98], v[99:100], v[103:104], v[97:98]
	v_div_scale_f64 v[99:100], s[6:7], v[97:98], v[97:98], 1.0
	v_div_scale_f64 v[107:108], vcc, 1.0, v[97:98], 1.0
	v_rcp_f64_e32 v[101:102], v[99:100]
	v_fma_f64 v[105:106], -v[99:100], v[101:102], 1.0
	v_fma_f64 v[101:102], v[101:102], v[105:106], v[101:102]
	v_fma_f64 v[105:106], -v[99:100], v[101:102], 1.0
	v_fma_f64 v[101:102], v[101:102], v[105:106], v[101:102]
	v_mul_f64 v[105:106], v[107:108], v[101:102]
	v_fma_f64 v[99:100], -v[99:100], v[105:106], v[107:108]
	v_div_fmas_f64 v[99:100], v[99:100], v[101:102], v[105:106]
	v_div_fixup_f64 v[101:102], v[99:100], v[97:98], 1.0
	v_mul_f64 v[103:104], v[103:104], -v[101:102]
.LBB65_106:
	s_or_b64 exec, exec, s[2:3]
	ds_write2_b64 v127, v[101:102], v[103:104] offset1:1
.LBB65_107:
	s_or_b64 exec, exec, s[4:5]
	s_waitcnt lgkmcnt(0)
	s_barrier
	ds_read2_b64 v[87:90], v127 offset1:1
	v_cmp_lt_u32_e32 vcc, 11, v0
	s_waitcnt lgkmcnt(0)
	buffer_store_dword v87, off, s[20:23], 0 offset:552 ; 4-byte Folded Spill
	s_nop 0
	buffer_store_dword v88, off, s[20:23], 0 offset:556 ; 4-byte Folded Spill
	buffer_store_dword v89, off, s[20:23], 0 offset:560 ; 4-byte Folded Spill
	;; [unrolled: 1-line block ×3, first 2 shown]
	s_and_saveexec_b64 s[2:3], vcc
	s_cbranch_execz .LBB65_109
; %bb.108:
	buffer_load_dword v87, off, s[20:23], 0 offset:552 ; 4-byte Folded Reload
	buffer_load_dword v88, off, s[20:23], 0 offset:556 ; 4-byte Folded Reload
	;; [unrolled: 1-line block ×4, first 2 shown]
	ds_read2_b64 v[99:102], v125 offset0:24 offset1:25
	s_waitcnt vmcnt(0)
	v_mul_f64 v[97:98], v[89:90], v[83:84]
	v_mul_f64 v[83:84], v[87:88], v[83:84]
	v_fma_f64 v[97:98], v[87:88], v[81:82], -v[97:98]
	v_fma_f64 v[83:84], v[89:90], v[81:82], v[83:84]
	s_waitcnt lgkmcnt(0)
	v_mul_f64 v[81:82], v[101:102], v[83:84]
	v_fma_f64 v[81:82], v[99:100], v[97:98], -v[81:82]
	v_mul_f64 v[99:100], v[99:100], v[83:84]
	v_add_f64 v[77:78], v[77:78], -v[81:82]
	v_fma_f64 v[99:100], v[101:102], v[97:98], v[99:100]
	v_add_f64 v[79:80], v[79:80], -v[99:100]
	ds_read2_b64 v[99:102], v125 offset0:26 offset1:27
	s_waitcnt lgkmcnt(0)
	v_mul_f64 v[81:82], v[101:102], v[83:84]
	v_fma_f64 v[81:82], v[99:100], v[97:98], -v[81:82]
	v_mul_f64 v[99:100], v[99:100], v[83:84]
	v_add_f64 v[73:74], v[73:74], -v[81:82]
	v_fma_f64 v[99:100], v[101:102], v[97:98], v[99:100]
	v_add_f64 v[75:76], v[75:76], -v[99:100]
	ds_read2_b64 v[99:102], v125 offset0:28 offset1:29
	;; [unrolled: 8-line block ×20, first 2 shown]
	s_waitcnt lgkmcnt(0)
	v_mul_f64 v[81:82], v[101:102], v[83:84]
	v_fma_f64 v[81:82], v[99:100], v[97:98], -v[81:82]
	v_mul_f64 v[99:100], v[99:100], v[83:84]
	v_add_f64 v[113:114], v[113:114], -v[81:82]
	v_fma_f64 v[99:100], v[101:102], v[97:98], v[99:100]
	v_mov_b32_e32 v81, v97
	v_mov_b32_e32 v82, v98
	v_add_f64 v[115:116], v[115:116], -v[99:100]
.LBB65_109:
	s_or_b64 exec, exec, s[2:3]
	v_cmp_eq_u32_e32 vcc, 12, v0
	s_waitcnt vmcnt(0)
	s_barrier
	s_and_saveexec_b64 s[4:5], vcc
	s_cbranch_execz .LBB65_116
; %bb.110:
	ds_write2_b64 v127, v[77:78], v[79:80] offset1:1
	ds_write2_b64 v125, v[73:74], v[75:76] offset0:26 offset1:27
	ds_write2_b64 v125, v[69:70], v[71:72] offset0:28 offset1:29
	;; [unrolled: 1-line block ×20, first 2 shown]
	ds_read2_b64 v[97:100], v127 offset1:1
	s_waitcnt lgkmcnt(0)
	v_cmp_neq_f64_e32 vcc, 0, v[97:98]
	v_cmp_neq_f64_e64 s[2:3], 0, v[99:100]
	s_or_b64 s[2:3], vcc, s[2:3]
	s_and_b64 exec, exec, s[2:3]
	s_cbranch_execz .LBB65_116
; %bb.111:
	v_cmp_ngt_f64_e64 s[2:3], |v[97:98]|, |v[99:100]|
                                        ; implicit-def: $vgpr101_vgpr102
	s_and_saveexec_b64 s[6:7], s[2:3]
	s_xor_b64 s[2:3], exec, s[6:7]
                                        ; implicit-def: $vgpr103_vgpr104
	s_cbranch_execz .LBB65_113
; %bb.112:
	v_div_scale_f64 v[101:102], s[6:7], v[99:100], v[99:100], v[97:98]
	v_rcp_f64_e32 v[103:104], v[101:102]
	v_fma_f64 v[105:106], -v[101:102], v[103:104], 1.0
	v_fma_f64 v[103:104], v[103:104], v[105:106], v[103:104]
	v_div_scale_f64 v[105:106], vcc, v[97:98], v[99:100], v[97:98]
	v_fma_f64 v[107:108], -v[101:102], v[103:104], 1.0
	v_fma_f64 v[103:104], v[103:104], v[107:108], v[103:104]
	v_mul_f64 v[107:108], v[105:106], v[103:104]
	v_fma_f64 v[101:102], -v[101:102], v[107:108], v[105:106]
	v_div_fmas_f64 v[101:102], v[101:102], v[103:104], v[107:108]
	v_div_fixup_f64 v[101:102], v[101:102], v[99:100], v[97:98]
	v_fma_f64 v[97:98], v[97:98], v[101:102], v[99:100]
	v_div_scale_f64 v[99:100], s[6:7], v[97:98], v[97:98], 1.0
	v_div_scale_f64 v[107:108], vcc, 1.0, v[97:98], 1.0
	v_rcp_f64_e32 v[103:104], v[99:100]
	v_fma_f64 v[105:106], -v[99:100], v[103:104], 1.0
	v_fma_f64 v[103:104], v[103:104], v[105:106], v[103:104]
	v_fma_f64 v[105:106], -v[99:100], v[103:104], 1.0
	v_fma_f64 v[103:104], v[103:104], v[105:106], v[103:104]
	v_mul_f64 v[105:106], v[107:108], v[103:104]
	v_fma_f64 v[99:100], -v[99:100], v[105:106], v[107:108]
	v_div_fmas_f64 v[99:100], v[99:100], v[103:104], v[105:106]
	v_div_fixup_f64 v[103:104], v[99:100], v[97:98], 1.0
                                        ; implicit-def: $vgpr97_vgpr98
	v_mul_f64 v[101:102], v[101:102], v[103:104]
	v_xor_b32_e32 v104, 0x80000000, v104
.LBB65_113:
	s_andn2_saveexec_b64 s[2:3], s[2:3]
	s_cbranch_execz .LBB65_115
; %bb.114:
	v_div_scale_f64 v[101:102], s[6:7], v[97:98], v[97:98], v[99:100]
	v_rcp_f64_e32 v[103:104], v[101:102]
	v_fma_f64 v[105:106], -v[101:102], v[103:104], 1.0
	v_fma_f64 v[103:104], v[103:104], v[105:106], v[103:104]
	v_div_scale_f64 v[105:106], vcc, v[99:100], v[97:98], v[99:100]
	v_fma_f64 v[107:108], -v[101:102], v[103:104], 1.0
	v_fma_f64 v[103:104], v[103:104], v[107:108], v[103:104]
	v_mul_f64 v[107:108], v[105:106], v[103:104]
	v_fma_f64 v[101:102], -v[101:102], v[107:108], v[105:106]
	v_div_fmas_f64 v[101:102], v[101:102], v[103:104], v[107:108]
	v_div_fixup_f64 v[103:104], v[101:102], v[97:98], v[99:100]
	v_fma_f64 v[97:98], v[99:100], v[103:104], v[97:98]
	v_div_scale_f64 v[99:100], s[6:7], v[97:98], v[97:98], 1.0
	v_div_scale_f64 v[107:108], vcc, 1.0, v[97:98], 1.0
	v_rcp_f64_e32 v[101:102], v[99:100]
	v_fma_f64 v[105:106], -v[99:100], v[101:102], 1.0
	v_fma_f64 v[101:102], v[101:102], v[105:106], v[101:102]
	v_fma_f64 v[105:106], -v[99:100], v[101:102], 1.0
	v_fma_f64 v[101:102], v[101:102], v[105:106], v[101:102]
	v_mul_f64 v[105:106], v[107:108], v[101:102]
	v_fma_f64 v[99:100], -v[99:100], v[105:106], v[107:108]
	v_div_fmas_f64 v[99:100], v[99:100], v[101:102], v[105:106]
	v_div_fixup_f64 v[101:102], v[99:100], v[97:98], 1.0
	v_mul_f64 v[103:104], v[103:104], -v[101:102]
.LBB65_115:
	s_or_b64 exec, exec, s[2:3]
	ds_write2_b64 v127, v[101:102], v[103:104] offset1:1
.LBB65_116:
	s_or_b64 exec, exec, s[4:5]
	s_waitcnt lgkmcnt(0)
	s_barrier
	ds_read2_b64 v[87:90], v127 offset1:1
	v_cmp_lt_u32_e32 vcc, 12, v0
	s_waitcnt lgkmcnt(0)
	buffer_store_dword v87, off, s[20:23], 0 offset:568 ; 4-byte Folded Spill
	s_nop 0
	buffer_store_dword v88, off, s[20:23], 0 offset:572 ; 4-byte Folded Spill
	buffer_store_dword v89, off, s[20:23], 0 offset:576 ; 4-byte Folded Spill
	;; [unrolled: 1-line block ×3, first 2 shown]
	s_and_saveexec_b64 s[2:3], vcc
	s_cbranch_execz .LBB65_118
; %bb.117:
	buffer_load_dword v87, off, s[20:23], 0 offset:568 ; 4-byte Folded Reload
	buffer_load_dword v88, off, s[20:23], 0 offset:572 ; 4-byte Folded Reload
	;; [unrolled: 1-line block ×4, first 2 shown]
	ds_read2_b64 v[99:102], v125 offset0:26 offset1:27
	s_waitcnt vmcnt(0)
	v_mul_f64 v[97:98], v[89:90], v[79:80]
	v_mul_f64 v[79:80], v[87:88], v[79:80]
	v_fma_f64 v[97:98], v[87:88], v[77:78], -v[97:98]
	v_fma_f64 v[79:80], v[89:90], v[77:78], v[79:80]
	s_waitcnt lgkmcnt(0)
	v_mul_f64 v[77:78], v[101:102], v[79:80]
	v_fma_f64 v[77:78], v[99:100], v[97:98], -v[77:78]
	v_mul_f64 v[99:100], v[99:100], v[79:80]
	v_add_f64 v[73:74], v[73:74], -v[77:78]
	v_fma_f64 v[99:100], v[101:102], v[97:98], v[99:100]
	v_add_f64 v[75:76], v[75:76], -v[99:100]
	ds_read2_b64 v[99:102], v125 offset0:28 offset1:29
	s_waitcnt lgkmcnt(0)
	v_mul_f64 v[77:78], v[101:102], v[79:80]
	v_fma_f64 v[77:78], v[99:100], v[97:98], -v[77:78]
	v_mul_f64 v[99:100], v[99:100], v[79:80]
	v_add_f64 v[69:70], v[69:70], -v[77:78]
	v_fma_f64 v[99:100], v[101:102], v[97:98], v[99:100]
	v_add_f64 v[71:72], v[71:72], -v[99:100]
	ds_read2_b64 v[99:102], v125 offset0:30 offset1:31
	;; [unrolled: 8-line block ×19, first 2 shown]
	s_waitcnt lgkmcnt(0)
	v_mul_f64 v[77:78], v[101:102], v[79:80]
	v_fma_f64 v[77:78], v[99:100], v[97:98], -v[77:78]
	v_mul_f64 v[99:100], v[99:100], v[79:80]
	v_add_f64 v[113:114], v[113:114], -v[77:78]
	v_fma_f64 v[99:100], v[101:102], v[97:98], v[99:100]
	v_mov_b32_e32 v77, v97
	v_mov_b32_e32 v78, v98
	v_add_f64 v[115:116], v[115:116], -v[99:100]
.LBB65_118:
	s_or_b64 exec, exec, s[2:3]
	v_cmp_eq_u32_e32 vcc, 13, v0
	s_waitcnt vmcnt(0)
	s_barrier
	s_and_saveexec_b64 s[4:5], vcc
	s_cbranch_execz .LBB65_125
; %bb.119:
	ds_write2_b64 v127, v[73:74], v[75:76] offset1:1
	ds_write2_b64 v125, v[69:70], v[71:72] offset0:28 offset1:29
	ds_write2_b64 v125, v[65:66], v[67:68] offset0:30 offset1:31
	;; [unrolled: 1-line block ×19, first 2 shown]
	ds_read2_b64 v[97:100], v127 offset1:1
	s_waitcnt lgkmcnt(0)
	v_cmp_neq_f64_e32 vcc, 0, v[97:98]
	v_cmp_neq_f64_e64 s[2:3], 0, v[99:100]
	s_or_b64 s[2:3], vcc, s[2:3]
	s_and_b64 exec, exec, s[2:3]
	s_cbranch_execz .LBB65_125
; %bb.120:
	v_cmp_ngt_f64_e64 s[2:3], |v[97:98]|, |v[99:100]|
                                        ; implicit-def: $vgpr101_vgpr102
	s_and_saveexec_b64 s[6:7], s[2:3]
	s_xor_b64 s[2:3], exec, s[6:7]
                                        ; implicit-def: $vgpr103_vgpr104
	s_cbranch_execz .LBB65_122
; %bb.121:
	v_div_scale_f64 v[101:102], s[6:7], v[99:100], v[99:100], v[97:98]
	v_rcp_f64_e32 v[103:104], v[101:102]
	v_fma_f64 v[105:106], -v[101:102], v[103:104], 1.0
	v_fma_f64 v[103:104], v[103:104], v[105:106], v[103:104]
	v_div_scale_f64 v[105:106], vcc, v[97:98], v[99:100], v[97:98]
	v_fma_f64 v[107:108], -v[101:102], v[103:104], 1.0
	v_fma_f64 v[103:104], v[103:104], v[107:108], v[103:104]
	v_mul_f64 v[107:108], v[105:106], v[103:104]
	v_fma_f64 v[101:102], -v[101:102], v[107:108], v[105:106]
	v_div_fmas_f64 v[101:102], v[101:102], v[103:104], v[107:108]
	v_div_fixup_f64 v[101:102], v[101:102], v[99:100], v[97:98]
	v_fma_f64 v[97:98], v[97:98], v[101:102], v[99:100]
	v_div_scale_f64 v[99:100], s[6:7], v[97:98], v[97:98], 1.0
	v_div_scale_f64 v[107:108], vcc, 1.0, v[97:98], 1.0
	v_rcp_f64_e32 v[103:104], v[99:100]
	v_fma_f64 v[105:106], -v[99:100], v[103:104], 1.0
	v_fma_f64 v[103:104], v[103:104], v[105:106], v[103:104]
	v_fma_f64 v[105:106], -v[99:100], v[103:104], 1.0
	v_fma_f64 v[103:104], v[103:104], v[105:106], v[103:104]
	v_mul_f64 v[105:106], v[107:108], v[103:104]
	v_fma_f64 v[99:100], -v[99:100], v[105:106], v[107:108]
	v_div_fmas_f64 v[99:100], v[99:100], v[103:104], v[105:106]
	v_div_fixup_f64 v[103:104], v[99:100], v[97:98], 1.0
                                        ; implicit-def: $vgpr97_vgpr98
	v_mul_f64 v[101:102], v[101:102], v[103:104]
	v_xor_b32_e32 v104, 0x80000000, v104
.LBB65_122:
	s_andn2_saveexec_b64 s[2:3], s[2:3]
	s_cbranch_execz .LBB65_124
; %bb.123:
	v_div_scale_f64 v[101:102], s[6:7], v[97:98], v[97:98], v[99:100]
	v_rcp_f64_e32 v[103:104], v[101:102]
	v_fma_f64 v[105:106], -v[101:102], v[103:104], 1.0
	v_fma_f64 v[103:104], v[103:104], v[105:106], v[103:104]
	v_div_scale_f64 v[105:106], vcc, v[99:100], v[97:98], v[99:100]
	v_fma_f64 v[107:108], -v[101:102], v[103:104], 1.0
	v_fma_f64 v[103:104], v[103:104], v[107:108], v[103:104]
	v_mul_f64 v[107:108], v[105:106], v[103:104]
	v_fma_f64 v[101:102], -v[101:102], v[107:108], v[105:106]
	v_div_fmas_f64 v[101:102], v[101:102], v[103:104], v[107:108]
	v_div_fixup_f64 v[103:104], v[101:102], v[97:98], v[99:100]
	v_fma_f64 v[97:98], v[99:100], v[103:104], v[97:98]
	v_div_scale_f64 v[99:100], s[6:7], v[97:98], v[97:98], 1.0
	v_div_scale_f64 v[107:108], vcc, 1.0, v[97:98], 1.0
	v_rcp_f64_e32 v[101:102], v[99:100]
	v_fma_f64 v[105:106], -v[99:100], v[101:102], 1.0
	v_fma_f64 v[101:102], v[101:102], v[105:106], v[101:102]
	v_fma_f64 v[105:106], -v[99:100], v[101:102], 1.0
	v_fma_f64 v[101:102], v[101:102], v[105:106], v[101:102]
	v_mul_f64 v[105:106], v[107:108], v[101:102]
	v_fma_f64 v[99:100], -v[99:100], v[105:106], v[107:108]
	v_div_fmas_f64 v[99:100], v[99:100], v[101:102], v[105:106]
	v_div_fixup_f64 v[101:102], v[99:100], v[97:98], 1.0
	v_mul_f64 v[103:104], v[103:104], -v[101:102]
.LBB65_124:
	s_or_b64 exec, exec, s[2:3]
	ds_write2_b64 v127, v[101:102], v[103:104] offset1:1
.LBB65_125:
	s_or_b64 exec, exec, s[4:5]
	s_waitcnt lgkmcnt(0)
	s_barrier
	ds_read2_b64 v[87:90], v127 offset1:1
	v_cmp_lt_u32_e32 vcc, 13, v0
	s_waitcnt lgkmcnt(0)
	buffer_store_dword v87, off, s[20:23], 0 offset:584 ; 4-byte Folded Spill
	s_nop 0
	buffer_store_dword v88, off, s[20:23], 0 offset:588 ; 4-byte Folded Spill
	buffer_store_dword v89, off, s[20:23], 0 offset:592 ; 4-byte Folded Spill
	;; [unrolled: 1-line block ×3, first 2 shown]
	s_and_saveexec_b64 s[2:3], vcc
	s_cbranch_execz .LBB65_127
; %bb.126:
	buffer_load_dword v87, off, s[20:23], 0 offset:584 ; 4-byte Folded Reload
	buffer_load_dword v88, off, s[20:23], 0 offset:588 ; 4-byte Folded Reload
	;; [unrolled: 1-line block ×4, first 2 shown]
	ds_read2_b64 v[99:102], v125 offset0:28 offset1:29
	s_waitcnt vmcnt(0)
	v_mul_f64 v[97:98], v[89:90], v[75:76]
	v_mul_f64 v[75:76], v[87:88], v[75:76]
	v_fma_f64 v[97:98], v[87:88], v[73:74], -v[97:98]
	v_fma_f64 v[75:76], v[89:90], v[73:74], v[75:76]
	s_waitcnt lgkmcnt(0)
	v_mul_f64 v[73:74], v[101:102], v[75:76]
	v_fma_f64 v[73:74], v[99:100], v[97:98], -v[73:74]
	v_mul_f64 v[99:100], v[99:100], v[75:76]
	v_add_f64 v[69:70], v[69:70], -v[73:74]
	v_fma_f64 v[99:100], v[101:102], v[97:98], v[99:100]
	v_add_f64 v[71:72], v[71:72], -v[99:100]
	ds_read2_b64 v[99:102], v125 offset0:30 offset1:31
	s_waitcnt lgkmcnt(0)
	v_mul_f64 v[73:74], v[101:102], v[75:76]
	v_fma_f64 v[73:74], v[99:100], v[97:98], -v[73:74]
	v_mul_f64 v[99:100], v[99:100], v[75:76]
	v_add_f64 v[65:66], v[65:66], -v[73:74]
	v_fma_f64 v[99:100], v[101:102], v[97:98], v[99:100]
	v_add_f64 v[67:68], v[67:68], -v[99:100]
	ds_read2_b64 v[99:102], v125 offset0:32 offset1:33
	;; [unrolled: 8-line block ×18, first 2 shown]
	s_waitcnt lgkmcnt(0)
	v_mul_f64 v[73:74], v[101:102], v[75:76]
	v_fma_f64 v[73:74], v[99:100], v[97:98], -v[73:74]
	v_mul_f64 v[99:100], v[99:100], v[75:76]
	v_add_f64 v[113:114], v[113:114], -v[73:74]
	v_fma_f64 v[99:100], v[101:102], v[97:98], v[99:100]
	v_mov_b32_e32 v73, v97
	v_mov_b32_e32 v74, v98
	v_add_f64 v[115:116], v[115:116], -v[99:100]
.LBB65_127:
	s_or_b64 exec, exec, s[2:3]
	v_cmp_eq_u32_e32 vcc, 14, v0
	s_waitcnt vmcnt(0)
	s_barrier
	s_and_saveexec_b64 s[4:5], vcc
	s_cbranch_execz .LBB65_134
; %bb.128:
	ds_write2_b64 v127, v[69:70], v[71:72] offset1:1
	ds_write2_b64 v125, v[65:66], v[67:68] offset0:30 offset1:31
	ds_write2_b64 v125, v[61:62], v[63:64] offset0:32 offset1:33
	;; [unrolled: 1-line block ×18, first 2 shown]
	ds_read2_b64 v[97:100], v127 offset1:1
	s_waitcnt lgkmcnt(0)
	v_cmp_neq_f64_e32 vcc, 0, v[97:98]
	v_cmp_neq_f64_e64 s[2:3], 0, v[99:100]
	s_or_b64 s[2:3], vcc, s[2:3]
	s_and_b64 exec, exec, s[2:3]
	s_cbranch_execz .LBB65_134
; %bb.129:
	v_cmp_ngt_f64_e64 s[2:3], |v[97:98]|, |v[99:100]|
                                        ; implicit-def: $vgpr101_vgpr102
	s_and_saveexec_b64 s[6:7], s[2:3]
	s_xor_b64 s[2:3], exec, s[6:7]
                                        ; implicit-def: $vgpr103_vgpr104
	s_cbranch_execz .LBB65_131
; %bb.130:
	v_div_scale_f64 v[101:102], s[6:7], v[99:100], v[99:100], v[97:98]
	v_rcp_f64_e32 v[103:104], v[101:102]
	v_fma_f64 v[105:106], -v[101:102], v[103:104], 1.0
	v_fma_f64 v[103:104], v[103:104], v[105:106], v[103:104]
	v_div_scale_f64 v[105:106], vcc, v[97:98], v[99:100], v[97:98]
	v_fma_f64 v[107:108], -v[101:102], v[103:104], 1.0
	v_fma_f64 v[103:104], v[103:104], v[107:108], v[103:104]
	v_mul_f64 v[107:108], v[105:106], v[103:104]
	v_fma_f64 v[101:102], -v[101:102], v[107:108], v[105:106]
	v_div_fmas_f64 v[101:102], v[101:102], v[103:104], v[107:108]
	v_div_fixup_f64 v[101:102], v[101:102], v[99:100], v[97:98]
	v_fma_f64 v[97:98], v[97:98], v[101:102], v[99:100]
	v_div_scale_f64 v[99:100], s[6:7], v[97:98], v[97:98], 1.0
	v_div_scale_f64 v[107:108], vcc, 1.0, v[97:98], 1.0
	v_rcp_f64_e32 v[103:104], v[99:100]
	v_fma_f64 v[105:106], -v[99:100], v[103:104], 1.0
	v_fma_f64 v[103:104], v[103:104], v[105:106], v[103:104]
	v_fma_f64 v[105:106], -v[99:100], v[103:104], 1.0
	v_fma_f64 v[103:104], v[103:104], v[105:106], v[103:104]
	v_mul_f64 v[105:106], v[107:108], v[103:104]
	v_fma_f64 v[99:100], -v[99:100], v[105:106], v[107:108]
	v_div_fmas_f64 v[99:100], v[99:100], v[103:104], v[105:106]
	v_div_fixup_f64 v[103:104], v[99:100], v[97:98], 1.0
                                        ; implicit-def: $vgpr97_vgpr98
	v_mul_f64 v[101:102], v[101:102], v[103:104]
	v_xor_b32_e32 v104, 0x80000000, v104
.LBB65_131:
	s_andn2_saveexec_b64 s[2:3], s[2:3]
	s_cbranch_execz .LBB65_133
; %bb.132:
	v_div_scale_f64 v[101:102], s[6:7], v[97:98], v[97:98], v[99:100]
	v_rcp_f64_e32 v[103:104], v[101:102]
	v_fma_f64 v[105:106], -v[101:102], v[103:104], 1.0
	v_fma_f64 v[103:104], v[103:104], v[105:106], v[103:104]
	v_div_scale_f64 v[105:106], vcc, v[99:100], v[97:98], v[99:100]
	v_fma_f64 v[107:108], -v[101:102], v[103:104], 1.0
	v_fma_f64 v[103:104], v[103:104], v[107:108], v[103:104]
	v_mul_f64 v[107:108], v[105:106], v[103:104]
	v_fma_f64 v[101:102], -v[101:102], v[107:108], v[105:106]
	v_div_fmas_f64 v[101:102], v[101:102], v[103:104], v[107:108]
	v_div_fixup_f64 v[103:104], v[101:102], v[97:98], v[99:100]
	v_fma_f64 v[97:98], v[99:100], v[103:104], v[97:98]
	v_div_scale_f64 v[99:100], s[6:7], v[97:98], v[97:98], 1.0
	v_div_scale_f64 v[107:108], vcc, 1.0, v[97:98], 1.0
	v_rcp_f64_e32 v[101:102], v[99:100]
	v_fma_f64 v[105:106], -v[99:100], v[101:102], 1.0
	v_fma_f64 v[101:102], v[101:102], v[105:106], v[101:102]
	v_fma_f64 v[105:106], -v[99:100], v[101:102], 1.0
	v_fma_f64 v[101:102], v[101:102], v[105:106], v[101:102]
	v_mul_f64 v[105:106], v[107:108], v[101:102]
	v_fma_f64 v[99:100], -v[99:100], v[105:106], v[107:108]
	v_div_fmas_f64 v[99:100], v[99:100], v[101:102], v[105:106]
	v_div_fixup_f64 v[101:102], v[99:100], v[97:98], 1.0
	v_mul_f64 v[103:104], v[103:104], -v[101:102]
.LBB65_133:
	s_or_b64 exec, exec, s[2:3]
	ds_write2_b64 v127, v[101:102], v[103:104] offset1:1
.LBB65_134:
	s_or_b64 exec, exec, s[4:5]
	s_waitcnt lgkmcnt(0)
	s_barrier
	ds_read2_b64 v[87:90], v127 offset1:1
	v_cmp_lt_u32_e32 vcc, 14, v0
	s_waitcnt lgkmcnt(0)
	buffer_store_dword v87, off, s[20:23], 0 offset:600 ; 4-byte Folded Spill
	s_nop 0
	buffer_store_dword v88, off, s[20:23], 0 offset:604 ; 4-byte Folded Spill
	buffer_store_dword v89, off, s[20:23], 0 offset:608 ; 4-byte Folded Spill
	;; [unrolled: 1-line block ×3, first 2 shown]
	s_and_saveexec_b64 s[2:3], vcc
	s_cbranch_execz .LBB65_136
; %bb.135:
	buffer_load_dword v87, off, s[20:23], 0 offset:600 ; 4-byte Folded Reload
	buffer_load_dword v88, off, s[20:23], 0 offset:604 ; 4-byte Folded Reload
	;; [unrolled: 1-line block ×4, first 2 shown]
	ds_read2_b64 v[99:102], v125 offset0:30 offset1:31
	s_waitcnt vmcnt(0)
	v_mul_f64 v[97:98], v[89:90], v[71:72]
	v_mul_f64 v[71:72], v[87:88], v[71:72]
	v_fma_f64 v[97:98], v[87:88], v[69:70], -v[97:98]
	v_fma_f64 v[71:72], v[89:90], v[69:70], v[71:72]
	s_waitcnt lgkmcnt(0)
	v_mul_f64 v[69:70], v[101:102], v[71:72]
	v_fma_f64 v[69:70], v[99:100], v[97:98], -v[69:70]
	v_mul_f64 v[99:100], v[99:100], v[71:72]
	v_add_f64 v[65:66], v[65:66], -v[69:70]
	v_fma_f64 v[99:100], v[101:102], v[97:98], v[99:100]
	v_add_f64 v[67:68], v[67:68], -v[99:100]
	ds_read2_b64 v[99:102], v125 offset0:32 offset1:33
	s_waitcnt lgkmcnt(0)
	v_mul_f64 v[69:70], v[101:102], v[71:72]
	v_fma_f64 v[69:70], v[99:100], v[97:98], -v[69:70]
	v_mul_f64 v[99:100], v[99:100], v[71:72]
	v_add_f64 v[61:62], v[61:62], -v[69:70]
	v_fma_f64 v[99:100], v[101:102], v[97:98], v[99:100]
	v_add_f64 v[63:64], v[63:64], -v[99:100]
	ds_read2_b64 v[99:102], v125 offset0:34 offset1:35
	;; [unrolled: 8-line block ×17, first 2 shown]
	s_waitcnt lgkmcnt(0)
	v_mul_f64 v[69:70], v[101:102], v[71:72]
	v_fma_f64 v[69:70], v[99:100], v[97:98], -v[69:70]
	v_mul_f64 v[99:100], v[99:100], v[71:72]
	v_add_f64 v[113:114], v[113:114], -v[69:70]
	v_fma_f64 v[99:100], v[101:102], v[97:98], v[99:100]
	v_mov_b32_e32 v69, v97
	v_mov_b32_e32 v70, v98
	v_add_f64 v[115:116], v[115:116], -v[99:100]
.LBB65_136:
	s_or_b64 exec, exec, s[2:3]
	v_cmp_eq_u32_e32 vcc, 15, v0
	s_waitcnt vmcnt(0)
	s_barrier
	s_and_saveexec_b64 s[4:5], vcc
	s_cbranch_execz .LBB65_143
; %bb.137:
	ds_write2_b64 v127, v[65:66], v[67:68] offset1:1
	ds_write2_b64 v125, v[61:62], v[63:64] offset0:32 offset1:33
	ds_write2_b64 v125, v[57:58], v[59:60] offset0:34 offset1:35
	;; [unrolled: 1-line block ×17, first 2 shown]
	ds_read2_b64 v[97:100], v127 offset1:1
	s_waitcnt lgkmcnt(0)
	v_cmp_neq_f64_e32 vcc, 0, v[97:98]
	v_cmp_neq_f64_e64 s[2:3], 0, v[99:100]
	s_or_b64 s[2:3], vcc, s[2:3]
	s_and_b64 exec, exec, s[2:3]
	s_cbranch_execz .LBB65_143
; %bb.138:
	v_cmp_ngt_f64_e64 s[2:3], |v[97:98]|, |v[99:100]|
                                        ; implicit-def: $vgpr101_vgpr102
	s_and_saveexec_b64 s[6:7], s[2:3]
	s_xor_b64 s[2:3], exec, s[6:7]
                                        ; implicit-def: $vgpr103_vgpr104
	s_cbranch_execz .LBB65_140
; %bb.139:
	v_div_scale_f64 v[101:102], s[6:7], v[99:100], v[99:100], v[97:98]
	v_rcp_f64_e32 v[103:104], v[101:102]
	v_fma_f64 v[105:106], -v[101:102], v[103:104], 1.0
	v_fma_f64 v[103:104], v[103:104], v[105:106], v[103:104]
	v_div_scale_f64 v[105:106], vcc, v[97:98], v[99:100], v[97:98]
	v_fma_f64 v[107:108], -v[101:102], v[103:104], 1.0
	v_fma_f64 v[103:104], v[103:104], v[107:108], v[103:104]
	v_mul_f64 v[107:108], v[105:106], v[103:104]
	v_fma_f64 v[101:102], -v[101:102], v[107:108], v[105:106]
	v_div_fmas_f64 v[101:102], v[101:102], v[103:104], v[107:108]
	v_div_fixup_f64 v[101:102], v[101:102], v[99:100], v[97:98]
	v_fma_f64 v[97:98], v[97:98], v[101:102], v[99:100]
	v_div_scale_f64 v[99:100], s[6:7], v[97:98], v[97:98], 1.0
	v_div_scale_f64 v[107:108], vcc, 1.0, v[97:98], 1.0
	v_rcp_f64_e32 v[103:104], v[99:100]
	v_fma_f64 v[105:106], -v[99:100], v[103:104], 1.0
	v_fma_f64 v[103:104], v[103:104], v[105:106], v[103:104]
	v_fma_f64 v[105:106], -v[99:100], v[103:104], 1.0
	v_fma_f64 v[103:104], v[103:104], v[105:106], v[103:104]
	v_mul_f64 v[105:106], v[107:108], v[103:104]
	v_fma_f64 v[99:100], -v[99:100], v[105:106], v[107:108]
	v_div_fmas_f64 v[99:100], v[99:100], v[103:104], v[105:106]
	v_div_fixup_f64 v[103:104], v[99:100], v[97:98], 1.0
                                        ; implicit-def: $vgpr97_vgpr98
	v_mul_f64 v[101:102], v[101:102], v[103:104]
	v_xor_b32_e32 v104, 0x80000000, v104
.LBB65_140:
	s_andn2_saveexec_b64 s[2:3], s[2:3]
	s_cbranch_execz .LBB65_142
; %bb.141:
	v_div_scale_f64 v[101:102], s[6:7], v[97:98], v[97:98], v[99:100]
	v_rcp_f64_e32 v[103:104], v[101:102]
	v_fma_f64 v[105:106], -v[101:102], v[103:104], 1.0
	v_fma_f64 v[103:104], v[103:104], v[105:106], v[103:104]
	v_div_scale_f64 v[105:106], vcc, v[99:100], v[97:98], v[99:100]
	v_fma_f64 v[107:108], -v[101:102], v[103:104], 1.0
	v_fma_f64 v[103:104], v[103:104], v[107:108], v[103:104]
	v_mul_f64 v[107:108], v[105:106], v[103:104]
	v_fma_f64 v[101:102], -v[101:102], v[107:108], v[105:106]
	v_div_fmas_f64 v[101:102], v[101:102], v[103:104], v[107:108]
	v_div_fixup_f64 v[103:104], v[101:102], v[97:98], v[99:100]
	v_fma_f64 v[97:98], v[99:100], v[103:104], v[97:98]
	v_div_scale_f64 v[99:100], s[6:7], v[97:98], v[97:98], 1.0
	v_div_scale_f64 v[107:108], vcc, 1.0, v[97:98], 1.0
	v_rcp_f64_e32 v[101:102], v[99:100]
	v_fma_f64 v[105:106], -v[99:100], v[101:102], 1.0
	v_fma_f64 v[101:102], v[101:102], v[105:106], v[101:102]
	v_fma_f64 v[105:106], -v[99:100], v[101:102], 1.0
	v_fma_f64 v[101:102], v[101:102], v[105:106], v[101:102]
	v_mul_f64 v[105:106], v[107:108], v[101:102]
	v_fma_f64 v[99:100], -v[99:100], v[105:106], v[107:108]
	v_div_fmas_f64 v[99:100], v[99:100], v[101:102], v[105:106]
	v_div_fixup_f64 v[101:102], v[99:100], v[97:98], 1.0
	v_mul_f64 v[103:104], v[103:104], -v[101:102]
.LBB65_142:
	s_or_b64 exec, exec, s[2:3]
	ds_write2_b64 v127, v[101:102], v[103:104] offset1:1
.LBB65_143:
	s_or_b64 exec, exec, s[4:5]
	s_waitcnt lgkmcnt(0)
	s_barrier
	ds_read2_b64 v[87:90], v127 offset1:1
	v_cmp_lt_u32_e32 vcc, 15, v0
	s_waitcnt lgkmcnt(0)
	buffer_store_dword v87, off, s[20:23], 0 offset:616 ; 4-byte Folded Spill
	s_nop 0
	buffer_store_dword v88, off, s[20:23], 0 offset:620 ; 4-byte Folded Spill
	buffer_store_dword v89, off, s[20:23], 0 offset:624 ; 4-byte Folded Spill
	;; [unrolled: 1-line block ×3, first 2 shown]
	s_and_saveexec_b64 s[2:3], vcc
	s_cbranch_execz .LBB65_145
; %bb.144:
	buffer_load_dword v87, off, s[20:23], 0 offset:616 ; 4-byte Folded Reload
	buffer_load_dword v88, off, s[20:23], 0 offset:620 ; 4-byte Folded Reload
	;; [unrolled: 1-line block ×4, first 2 shown]
	ds_read2_b64 v[99:102], v125 offset0:32 offset1:33
	s_waitcnt vmcnt(0)
	v_mul_f64 v[97:98], v[89:90], v[67:68]
	v_mul_f64 v[67:68], v[87:88], v[67:68]
	v_fma_f64 v[97:98], v[87:88], v[65:66], -v[97:98]
	v_fma_f64 v[67:68], v[89:90], v[65:66], v[67:68]
	s_waitcnt lgkmcnt(0)
	v_mul_f64 v[65:66], v[101:102], v[67:68]
	v_fma_f64 v[65:66], v[99:100], v[97:98], -v[65:66]
	v_mul_f64 v[99:100], v[99:100], v[67:68]
	v_add_f64 v[61:62], v[61:62], -v[65:66]
	v_fma_f64 v[99:100], v[101:102], v[97:98], v[99:100]
	v_add_f64 v[63:64], v[63:64], -v[99:100]
	ds_read2_b64 v[99:102], v125 offset0:34 offset1:35
	s_waitcnt lgkmcnt(0)
	v_mul_f64 v[65:66], v[101:102], v[67:68]
	v_fma_f64 v[65:66], v[99:100], v[97:98], -v[65:66]
	v_mul_f64 v[99:100], v[99:100], v[67:68]
	v_add_f64 v[57:58], v[57:58], -v[65:66]
	v_fma_f64 v[99:100], v[101:102], v[97:98], v[99:100]
	v_add_f64 v[59:60], v[59:60], -v[99:100]
	ds_read2_b64 v[99:102], v125 offset0:36 offset1:37
	s_waitcnt lgkmcnt(0)
	v_mul_f64 v[65:66], v[101:102], v[67:68]
	v_fma_f64 v[65:66], v[99:100], v[97:98], -v[65:66]
	v_mul_f64 v[99:100], v[99:100], v[67:68]
	v_add_f64 v[53:54], v[53:54], -v[65:66]
	v_fma_f64 v[99:100], v[101:102], v[97:98], v[99:100]
	v_add_f64 v[55:56], v[55:56], -v[99:100]
	ds_read2_b64 v[99:102], v125 offset0:38 offset1:39
	s_waitcnt lgkmcnt(0)
	v_mul_f64 v[65:66], v[101:102], v[67:68]
	v_fma_f64 v[65:66], v[99:100], v[97:98], -v[65:66]
	v_mul_f64 v[99:100], v[99:100], v[67:68]
	v_add_f64 v[49:50], v[49:50], -v[65:66]
	v_fma_f64 v[99:100], v[101:102], v[97:98], v[99:100]
	v_add_f64 v[51:52], v[51:52], -v[99:100]
	ds_read2_b64 v[99:102], v125 offset0:40 offset1:41
	s_waitcnt lgkmcnt(0)
	v_mul_f64 v[65:66], v[101:102], v[67:68]
	v_fma_f64 v[65:66], v[99:100], v[97:98], -v[65:66]
	v_mul_f64 v[99:100], v[99:100], v[67:68]
	v_add_f64 v[45:46], v[45:46], -v[65:66]
	v_fma_f64 v[99:100], v[101:102], v[97:98], v[99:100]
	v_add_f64 v[47:48], v[47:48], -v[99:100]
	ds_read2_b64 v[99:102], v125 offset0:42 offset1:43
	s_waitcnt lgkmcnt(0)
	v_mul_f64 v[65:66], v[101:102], v[67:68]
	v_fma_f64 v[65:66], v[99:100], v[97:98], -v[65:66]
	v_mul_f64 v[99:100], v[99:100], v[67:68]
	v_add_f64 v[41:42], v[41:42], -v[65:66]
	v_fma_f64 v[99:100], v[101:102], v[97:98], v[99:100]
	v_add_f64 v[43:44], v[43:44], -v[99:100]
	ds_read2_b64 v[99:102], v125 offset0:44 offset1:45
	s_waitcnt lgkmcnt(0)
	v_mul_f64 v[65:66], v[101:102], v[67:68]
	v_fma_f64 v[65:66], v[99:100], v[97:98], -v[65:66]
	v_mul_f64 v[99:100], v[99:100], v[67:68]
	v_add_f64 v[37:38], v[37:38], -v[65:66]
	v_fma_f64 v[99:100], v[101:102], v[97:98], v[99:100]
	v_add_f64 v[39:40], v[39:40], -v[99:100]
	ds_read2_b64 v[99:102], v125 offset0:46 offset1:47
	s_waitcnt lgkmcnt(0)
	v_mul_f64 v[65:66], v[101:102], v[67:68]
	v_fma_f64 v[65:66], v[99:100], v[97:98], -v[65:66]
	v_mul_f64 v[99:100], v[99:100], v[67:68]
	v_add_f64 v[33:34], v[33:34], -v[65:66]
	v_fma_f64 v[99:100], v[101:102], v[97:98], v[99:100]
	v_add_f64 v[35:36], v[35:36], -v[99:100]
	ds_read2_b64 v[99:102], v125 offset0:48 offset1:49
	s_waitcnt lgkmcnt(0)
	v_mul_f64 v[65:66], v[101:102], v[67:68]
	v_fma_f64 v[65:66], v[99:100], v[97:98], -v[65:66]
	v_mul_f64 v[99:100], v[99:100], v[67:68]
	v_add_f64 v[29:30], v[29:30], -v[65:66]
	v_fma_f64 v[99:100], v[101:102], v[97:98], v[99:100]
	v_add_f64 v[31:32], v[31:32], -v[99:100]
	ds_read2_b64 v[99:102], v125 offset0:50 offset1:51
	s_waitcnt lgkmcnt(0)
	v_mul_f64 v[65:66], v[101:102], v[67:68]
	v_fma_f64 v[65:66], v[99:100], v[97:98], -v[65:66]
	v_mul_f64 v[99:100], v[99:100], v[67:68]
	v_add_f64 v[25:26], v[25:26], -v[65:66]
	v_fma_f64 v[99:100], v[101:102], v[97:98], v[99:100]
	v_add_f64 v[27:28], v[27:28], -v[99:100]
	ds_read2_b64 v[99:102], v125 offset0:52 offset1:53
	s_waitcnt lgkmcnt(0)
	v_mul_f64 v[65:66], v[101:102], v[67:68]
	v_fma_f64 v[65:66], v[99:100], v[97:98], -v[65:66]
	v_mul_f64 v[99:100], v[99:100], v[67:68]
	v_add_f64 v[21:22], v[21:22], -v[65:66]
	v_fma_f64 v[99:100], v[101:102], v[97:98], v[99:100]
	v_add_f64 v[23:24], v[23:24], -v[99:100]
	ds_read2_b64 v[99:102], v125 offset0:54 offset1:55
	s_waitcnt lgkmcnt(0)
	v_mul_f64 v[65:66], v[101:102], v[67:68]
	v_fma_f64 v[65:66], v[99:100], v[97:98], -v[65:66]
	v_mul_f64 v[99:100], v[99:100], v[67:68]
	v_add_f64 v[17:18], v[17:18], -v[65:66]
	v_fma_f64 v[99:100], v[101:102], v[97:98], v[99:100]
	v_add_f64 v[19:20], v[19:20], -v[99:100]
	ds_read2_b64 v[99:102], v125 offset0:56 offset1:57
	s_waitcnt lgkmcnt(0)
	v_mul_f64 v[65:66], v[101:102], v[67:68]
	v_fma_f64 v[65:66], v[99:100], v[97:98], -v[65:66]
	v_mul_f64 v[99:100], v[99:100], v[67:68]
	v_add_f64 v[13:14], v[13:14], -v[65:66]
	v_fma_f64 v[99:100], v[101:102], v[97:98], v[99:100]
	v_add_f64 v[15:16], v[15:16], -v[99:100]
	ds_read2_b64 v[99:102], v125 offset0:58 offset1:59
	s_waitcnt lgkmcnt(0)
	v_mul_f64 v[65:66], v[101:102], v[67:68]
	v_fma_f64 v[65:66], v[99:100], v[97:98], -v[65:66]
	v_mul_f64 v[99:100], v[99:100], v[67:68]
	v_add_f64 v[9:10], v[9:10], -v[65:66]
	v_fma_f64 v[99:100], v[101:102], v[97:98], v[99:100]
	v_add_f64 v[11:12], v[11:12], -v[99:100]
	ds_read2_b64 v[99:102], v125 offset0:60 offset1:61
	s_waitcnt lgkmcnt(0)
	v_mul_f64 v[65:66], v[101:102], v[67:68]
	v_fma_f64 v[65:66], v[99:100], v[97:98], -v[65:66]
	v_mul_f64 v[99:100], v[99:100], v[67:68]
	v_add_f64 v[5:6], v[5:6], -v[65:66]
	v_fma_f64 v[99:100], v[101:102], v[97:98], v[99:100]
	v_add_f64 v[7:8], v[7:8], -v[99:100]
	ds_read2_b64 v[99:102], v125 offset0:62 offset1:63
	s_waitcnt lgkmcnt(0)
	v_mul_f64 v[65:66], v[101:102], v[67:68]
	v_fma_f64 v[65:66], v[99:100], v[97:98], -v[65:66]
	v_mul_f64 v[99:100], v[99:100], v[67:68]
	v_add_f64 v[1:2], v[1:2], -v[65:66]
	v_fma_f64 v[99:100], v[101:102], v[97:98], v[99:100]
	v_add_f64 v[3:4], v[3:4], -v[99:100]
	ds_read2_b64 v[99:102], v125 offset0:64 offset1:65
	s_waitcnt lgkmcnt(0)
	v_mul_f64 v[65:66], v[101:102], v[67:68]
	v_fma_f64 v[65:66], v[99:100], v[97:98], -v[65:66]
	v_mul_f64 v[99:100], v[99:100], v[67:68]
	v_add_f64 v[113:114], v[113:114], -v[65:66]
	v_fma_f64 v[99:100], v[101:102], v[97:98], v[99:100]
	v_mov_b32_e32 v65, v97
	v_mov_b32_e32 v66, v98
	v_add_f64 v[115:116], v[115:116], -v[99:100]
.LBB65_145:
	s_or_b64 exec, exec, s[2:3]
	v_cmp_eq_u32_e32 vcc, 16, v0
	s_waitcnt vmcnt(0)
	s_barrier
	s_and_saveexec_b64 s[4:5], vcc
	s_cbranch_execz .LBB65_152
; %bb.146:
	ds_write2_b64 v127, v[61:62], v[63:64] offset1:1
	ds_write2_b64 v125, v[57:58], v[59:60] offset0:34 offset1:35
	ds_write2_b64 v125, v[53:54], v[55:56] offset0:36 offset1:37
	;; [unrolled: 1-line block ×16, first 2 shown]
	ds_read2_b64 v[97:100], v127 offset1:1
	s_waitcnt lgkmcnt(0)
	v_cmp_neq_f64_e32 vcc, 0, v[97:98]
	v_cmp_neq_f64_e64 s[2:3], 0, v[99:100]
	s_or_b64 s[2:3], vcc, s[2:3]
	s_and_b64 exec, exec, s[2:3]
	s_cbranch_execz .LBB65_152
; %bb.147:
	v_cmp_ngt_f64_e64 s[2:3], |v[97:98]|, |v[99:100]|
                                        ; implicit-def: $vgpr101_vgpr102
	s_and_saveexec_b64 s[6:7], s[2:3]
	s_xor_b64 s[2:3], exec, s[6:7]
                                        ; implicit-def: $vgpr103_vgpr104
	s_cbranch_execz .LBB65_149
; %bb.148:
	v_div_scale_f64 v[101:102], s[6:7], v[99:100], v[99:100], v[97:98]
	v_rcp_f64_e32 v[103:104], v[101:102]
	v_fma_f64 v[105:106], -v[101:102], v[103:104], 1.0
	v_fma_f64 v[103:104], v[103:104], v[105:106], v[103:104]
	v_div_scale_f64 v[105:106], vcc, v[97:98], v[99:100], v[97:98]
	v_fma_f64 v[107:108], -v[101:102], v[103:104], 1.0
	v_fma_f64 v[103:104], v[103:104], v[107:108], v[103:104]
	v_mul_f64 v[107:108], v[105:106], v[103:104]
	v_fma_f64 v[101:102], -v[101:102], v[107:108], v[105:106]
	v_div_fmas_f64 v[101:102], v[101:102], v[103:104], v[107:108]
	v_div_fixup_f64 v[101:102], v[101:102], v[99:100], v[97:98]
	v_fma_f64 v[97:98], v[97:98], v[101:102], v[99:100]
	v_div_scale_f64 v[99:100], s[6:7], v[97:98], v[97:98], 1.0
	v_div_scale_f64 v[107:108], vcc, 1.0, v[97:98], 1.0
	v_rcp_f64_e32 v[103:104], v[99:100]
	v_fma_f64 v[105:106], -v[99:100], v[103:104], 1.0
	v_fma_f64 v[103:104], v[103:104], v[105:106], v[103:104]
	v_fma_f64 v[105:106], -v[99:100], v[103:104], 1.0
	v_fma_f64 v[103:104], v[103:104], v[105:106], v[103:104]
	v_mul_f64 v[105:106], v[107:108], v[103:104]
	v_fma_f64 v[99:100], -v[99:100], v[105:106], v[107:108]
	v_div_fmas_f64 v[99:100], v[99:100], v[103:104], v[105:106]
	v_div_fixup_f64 v[103:104], v[99:100], v[97:98], 1.0
                                        ; implicit-def: $vgpr97_vgpr98
	v_mul_f64 v[101:102], v[101:102], v[103:104]
	v_xor_b32_e32 v104, 0x80000000, v104
.LBB65_149:
	s_andn2_saveexec_b64 s[2:3], s[2:3]
	s_cbranch_execz .LBB65_151
; %bb.150:
	v_div_scale_f64 v[101:102], s[6:7], v[97:98], v[97:98], v[99:100]
	v_rcp_f64_e32 v[103:104], v[101:102]
	v_fma_f64 v[105:106], -v[101:102], v[103:104], 1.0
	v_fma_f64 v[103:104], v[103:104], v[105:106], v[103:104]
	v_div_scale_f64 v[105:106], vcc, v[99:100], v[97:98], v[99:100]
	v_fma_f64 v[107:108], -v[101:102], v[103:104], 1.0
	v_fma_f64 v[103:104], v[103:104], v[107:108], v[103:104]
	v_mul_f64 v[107:108], v[105:106], v[103:104]
	v_fma_f64 v[101:102], -v[101:102], v[107:108], v[105:106]
	v_div_fmas_f64 v[101:102], v[101:102], v[103:104], v[107:108]
	v_div_fixup_f64 v[103:104], v[101:102], v[97:98], v[99:100]
	v_fma_f64 v[97:98], v[99:100], v[103:104], v[97:98]
	v_div_scale_f64 v[99:100], s[6:7], v[97:98], v[97:98], 1.0
	v_div_scale_f64 v[107:108], vcc, 1.0, v[97:98], 1.0
	v_rcp_f64_e32 v[101:102], v[99:100]
	v_fma_f64 v[105:106], -v[99:100], v[101:102], 1.0
	v_fma_f64 v[101:102], v[101:102], v[105:106], v[101:102]
	v_fma_f64 v[105:106], -v[99:100], v[101:102], 1.0
	v_fma_f64 v[101:102], v[101:102], v[105:106], v[101:102]
	v_mul_f64 v[105:106], v[107:108], v[101:102]
	v_fma_f64 v[99:100], -v[99:100], v[105:106], v[107:108]
	v_div_fmas_f64 v[99:100], v[99:100], v[101:102], v[105:106]
	v_div_fixup_f64 v[101:102], v[99:100], v[97:98], 1.0
	v_mul_f64 v[103:104], v[103:104], -v[101:102]
.LBB65_151:
	s_or_b64 exec, exec, s[2:3]
	ds_write2_b64 v127, v[101:102], v[103:104] offset1:1
.LBB65_152:
	s_or_b64 exec, exec, s[4:5]
	s_waitcnt lgkmcnt(0)
	s_barrier
	ds_read2_b64 v[87:90], v127 offset1:1
	v_cmp_lt_u32_e32 vcc, 16, v0
	s_waitcnt lgkmcnt(0)
	buffer_store_dword v87, off, s[20:23], 0 offset:632 ; 4-byte Folded Spill
	s_nop 0
	buffer_store_dword v88, off, s[20:23], 0 offset:636 ; 4-byte Folded Spill
	buffer_store_dword v89, off, s[20:23], 0 offset:640 ; 4-byte Folded Spill
	;; [unrolled: 1-line block ×3, first 2 shown]
	s_and_saveexec_b64 s[2:3], vcc
	s_cbranch_execz .LBB65_154
; %bb.153:
	buffer_load_dword v87, off, s[20:23], 0 offset:632 ; 4-byte Folded Reload
	buffer_load_dword v88, off, s[20:23], 0 offset:636 ; 4-byte Folded Reload
	buffer_load_dword v89, off, s[20:23], 0 offset:640 ; 4-byte Folded Reload
	buffer_load_dword v90, off, s[20:23], 0 offset:644 ; 4-byte Folded Reload
	ds_read2_b64 v[99:102], v125 offset0:34 offset1:35
	s_waitcnt vmcnt(2)
	v_mul_f64 v[97:98], v[87:88], v[63:64]
	s_waitcnt vmcnt(0)
	v_mul_f64 v[63:64], v[89:90], v[63:64]
	v_fma_f64 v[97:98], v[89:90], v[61:62], v[97:98]
	v_fma_f64 v[61:62], v[87:88], v[61:62], -v[63:64]
	s_waitcnt lgkmcnt(0)
	v_mul_f64 v[63:64], v[101:102], v[97:98]
	v_fma_f64 v[63:64], v[99:100], v[61:62], -v[63:64]
	v_mul_f64 v[99:100], v[99:100], v[97:98]
	v_add_f64 v[57:58], v[57:58], -v[63:64]
	v_fma_f64 v[99:100], v[101:102], v[61:62], v[99:100]
	v_add_f64 v[59:60], v[59:60], -v[99:100]
	ds_read2_b64 v[99:102], v125 offset0:36 offset1:37
	s_waitcnt lgkmcnt(0)
	v_mul_f64 v[63:64], v[101:102], v[97:98]
	v_fma_f64 v[63:64], v[99:100], v[61:62], -v[63:64]
	v_mul_f64 v[99:100], v[99:100], v[97:98]
	v_add_f64 v[53:54], v[53:54], -v[63:64]
	v_fma_f64 v[99:100], v[101:102], v[61:62], v[99:100]
	v_add_f64 v[55:56], v[55:56], -v[99:100]
	ds_read2_b64 v[99:102], v125 offset0:38 offset1:39
	s_waitcnt lgkmcnt(0)
	v_mul_f64 v[63:64], v[101:102], v[97:98]
	v_fma_f64 v[63:64], v[99:100], v[61:62], -v[63:64]
	v_mul_f64 v[99:100], v[99:100], v[97:98]
	v_add_f64 v[49:50], v[49:50], -v[63:64]
	v_fma_f64 v[99:100], v[101:102], v[61:62], v[99:100]
	v_add_f64 v[51:52], v[51:52], -v[99:100]
	ds_read2_b64 v[99:102], v125 offset0:40 offset1:41
	s_waitcnt lgkmcnt(0)
	v_mul_f64 v[63:64], v[101:102], v[97:98]
	v_fma_f64 v[63:64], v[99:100], v[61:62], -v[63:64]
	v_mul_f64 v[99:100], v[99:100], v[97:98]
	v_add_f64 v[45:46], v[45:46], -v[63:64]
	v_fma_f64 v[99:100], v[101:102], v[61:62], v[99:100]
	v_add_f64 v[47:48], v[47:48], -v[99:100]
	ds_read2_b64 v[99:102], v125 offset0:42 offset1:43
	s_waitcnt lgkmcnt(0)
	v_mul_f64 v[63:64], v[101:102], v[97:98]
	v_fma_f64 v[63:64], v[99:100], v[61:62], -v[63:64]
	v_mul_f64 v[99:100], v[99:100], v[97:98]
	v_add_f64 v[41:42], v[41:42], -v[63:64]
	v_fma_f64 v[99:100], v[101:102], v[61:62], v[99:100]
	v_add_f64 v[43:44], v[43:44], -v[99:100]
	ds_read2_b64 v[99:102], v125 offset0:44 offset1:45
	s_waitcnt lgkmcnt(0)
	v_mul_f64 v[63:64], v[101:102], v[97:98]
	v_fma_f64 v[63:64], v[99:100], v[61:62], -v[63:64]
	v_mul_f64 v[99:100], v[99:100], v[97:98]
	v_add_f64 v[37:38], v[37:38], -v[63:64]
	v_fma_f64 v[99:100], v[101:102], v[61:62], v[99:100]
	v_add_f64 v[39:40], v[39:40], -v[99:100]
	ds_read2_b64 v[99:102], v125 offset0:46 offset1:47
	s_waitcnt lgkmcnt(0)
	v_mul_f64 v[63:64], v[101:102], v[97:98]
	v_fma_f64 v[63:64], v[99:100], v[61:62], -v[63:64]
	v_mul_f64 v[99:100], v[99:100], v[97:98]
	v_add_f64 v[33:34], v[33:34], -v[63:64]
	v_fma_f64 v[99:100], v[101:102], v[61:62], v[99:100]
	v_add_f64 v[35:36], v[35:36], -v[99:100]
	ds_read2_b64 v[99:102], v125 offset0:48 offset1:49
	s_waitcnt lgkmcnt(0)
	v_mul_f64 v[63:64], v[101:102], v[97:98]
	v_fma_f64 v[63:64], v[99:100], v[61:62], -v[63:64]
	v_mul_f64 v[99:100], v[99:100], v[97:98]
	v_add_f64 v[29:30], v[29:30], -v[63:64]
	v_fma_f64 v[99:100], v[101:102], v[61:62], v[99:100]
	v_add_f64 v[31:32], v[31:32], -v[99:100]
	ds_read2_b64 v[99:102], v125 offset0:50 offset1:51
	s_waitcnt lgkmcnt(0)
	v_mul_f64 v[63:64], v[101:102], v[97:98]
	v_fma_f64 v[63:64], v[99:100], v[61:62], -v[63:64]
	v_mul_f64 v[99:100], v[99:100], v[97:98]
	v_add_f64 v[25:26], v[25:26], -v[63:64]
	v_fma_f64 v[99:100], v[101:102], v[61:62], v[99:100]
	v_add_f64 v[27:28], v[27:28], -v[99:100]
	ds_read2_b64 v[99:102], v125 offset0:52 offset1:53
	s_waitcnt lgkmcnt(0)
	v_mul_f64 v[63:64], v[101:102], v[97:98]
	v_fma_f64 v[63:64], v[99:100], v[61:62], -v[63:64]
	v_mul_f64 v[99:100], v[99:100], v[97:98]
	v_add_f64 v[21:22], v[21:22], -v[63:64]
	v_fma_f64 v[99:100], v[101:102], v[61:62], v[99:100]
	v_add_f64 v[23:24], v[23:24], -v[99:100]
	ds_read2_b64 v[99:102], v125 offset0:54 offset1:55
	s_waitcnt lgkmcnt(0)
	v_mul_f64 v[63:64], v[101:102], v[97:98]
	v_fma_f64 v[63:64], v[99:100], v[61:62], -v[63:64]
	v_mul_f64 v[99:100], v[99:100], v[97:98]
	v_add_f64 v[17:18], v[17:18], -v[63:64]
	v_fma_f64 v[99:100], v[101:102], v[61:62], v[99:100]
	v_add_f64 v[19:20], v[19:20], -v[99:100]
	ds_read2_b64 v[99:102], v125 offset0:56 offset1:57
	s_waitcnt lgkmcnt(0)
	v_mul_f64 v[63:64], v[101:102], v[97:98]
	v_fma_f64 v[63:64], v[99:100], v[61:62], -v[63:64]
	v_mul_f64 v[99:100], v[99:100], v[97:98]
	v_add_f64 v[13:14], v[13:14], -v[63:64]
	v_fma_f64 v[99:100], v[101:102], v[61:62], v[99:100]
	v_add_f64 v[15:16], v[15:16], -v[99:100]
	ds_read2_b64 v[99:102], v125 offset0:58 offset1:59
	s_waitcnt lgkmcnt(0)
	v_mul_f64 v[63:64], v[101:102], v[97:98]
	v_fma_f64 v[63:64], v[99:100], v[61:62], -v[63:64]
	v_mul_f64 v[99:100], v[99:100], v[97:98]
	v_add_f64 v[9:10], v[9:10], -v[63:64]
	v_fma_f64 v[99:100], v[101:102], v[61:62], v[99:100]
	v_add_f64 v[11:12], v[11:12], -v[99:100]
	ds_read2_b64 v[99:102], v125 offset0:60 offset1:61
	s_waitcnt lgkmcnt(0)
	v_mul_f64 v[63:64], v[101:102], v[97:98]
	v_fma_f64 v[63:64], v[99:100], v[61:62], -v[63:64]
	v_mul_f64 v[99:100], v[99:100], v[97:98]
	v_add_f64 v[5:6], v[5:6], -v[63:64]
	v_fma_f64 v[99:100], v[101:102], v[61:62], v[99:100]
	v_add_f64 v[7:8], v[7:8], -v[99:100]
	ds_read2_b64 v[99:102], v125 offset0:62 offset1:63
	s_waitcnt lgkmcnt(0)
	v_mul_f64 v[63:64], v[101:102], v[97:98]
	v_fma_f64 v[63:64], v[99:100], v[61:62], -v[63:64]
	v_mul_f64 v[99:100], v[99:100], v[97:98]
	v_add_f64 v[1:2], v[1:2], -v[63:64]
	v_fma_f64 v[99:100], v[101:102], v[61:62], v[99:100]
	v_add_f64 v[3:4], v[3:4], -v[99:100]
	ds_read2_b64 v[99:102], v125 offset0:64 offset1:65
	s_waitcnt lgkmcnt(0)
	v_mul_f64 v[63:64], v[101:102], v[97:98]
	v_fma_f64 v[63:64], v[99:100], v[61:62], -v[63:64]
	v_mul_f64 v[99:100], v[99:100], v[97:98]
	v_add_f64 v[113:114], v[113:114], -v[63:64]
	v_fma_f64 v[99:100], v[101:102], v[61:62], v[99:100]
	v_mov_b32_e32 v63, v97
	v_mov_b32_e32 v64, v98
	v_add_f64 v[115:116], v[115:116], -v[99:100]
.LBB65_154:
	s_or_b64 exec, exec, s[2:3]
	v_cmp_eq_u32_e32 vcc, 17, v0
	s_waitcnt vmcnt(0)
	s_barrier
	s_and_saveexec_b64 s[4:5], vcc
	s_cbranch_execz .LBB65_161
; %bb.155:
	ds_write2_b64 v127, v[57:58], v[59:60] offset1:1
	ds_write2_b64 v125, v[53:54], v[55:56] offset0:36 offset1:37
	ds_write2_b64 v125, v[49:50], v[51:52] offset0:38 offset1:39
	ds_write2_b64 v125, v[45:46], v[47:48] offset0:40 offset1:41
	ds_write2_b64 v125, v[41:42], v[43:44] offset0:42 offset1:43
	ds_write2_b64 v125, v[37:38], v[39:40] offset0:44 offset1:45
	ds_write2_b64 v125, v[33:34], v[35:36] offset0:46 offset1:47
	ds_write2_b64 v125, v[29:30], v[31:32] offset0:48 offset1:49
	ds_write2_b64 v125, v[25:26], v[27:28] offset0:50 offset1:51
	ds_write2_b64 v125, v[21:22], v[23:24] offset0:52 offset1:53
	ds_write2_b64 v125, v[17:18], v[19:20] offset0:54 offset1:55
	ds_write2_b64 v125, v[13:14], v[15:16] offset0:56 offset1:57
	ds_write2_b64 v125, v[9:10], v[11:12] offset0:58 offset1:59
	ds_write2_b64 v125, v[5:6], v[7:8] offset0:60 offset1:61
	ds_write2_b64 v125, v[1:2], v[3:4] offset0:62 offset1:63
	ds_write2_b64 v125, v[113:114], v[115:116] offset0:64 offset1:65
	ds_read2_b64 v[97:100], v127 offset1:1
	s_waitcnt lgkmcnt(0)
	v_cmp_neq_f64_e32 vcc, 0, v[97:98]
	v_cmp_neq_f64_e64 s[2:3], 0, v[99:100]
	s_or_b64 s[2:3], vcc, s[2:3]
	s_and_b64 exec, exec, s[2:3]
	s_cbranch_execz .LBB65_161
; %bb.156:
	v_cmp_ngt_f64_e64 s[2:3], |v[97:98]|, |v[99:100]|
                                        ; implicit-def: $vgpr101_vgpr102
	s_and_saveexec_b64 s[6:7], s[2:3]
	s_xor_b64 s[2:3], exec, s[6:7]
                                        ; implicit-def: $vgpr103_vgpr104
	s_cbranch_execz .LBB65_158
; %bb.157:
	v_div_scale_f64 v[101:102], s[6:7], v[99:100], v[99:100], v[97:98]
	v_rcp_f64_e32 v[103:104], v[101:102]
	v_fma_f64 v[105:106], -v[101:102], v[103:104], 1.0
	v_fma_f64 v[103:104], v[103:104], v[105:106], v[103:104]
	v_div_scale_f64 v[105:106], vcc, v[97:98], v[99:100], v[97:98]
	v_fma_f64 v[107:108], -v[101:102], v[103:104], 1.0
	v_fma_f64 v[103:104], v[103:104], v[107:108], v[103:104]
	v_mul_f64 v[107:108], v[105:106], v[103:104]
	v_fma_f64 v[101:102], -v[101:102], v[107:108], v[105:106]
	v_div_fmas_f64 v[101:102], v[101:102], v[103:104], v[107:108]
	v_div_fixup_f64 v[101:102], v[101:102], v[99:100], v[97:98]
	v_fma_f64 v[97:98], v[97:98], v[101:102], v[99:100]
	v_div_scale_f64 v[99:100], s[6:7], v[97:98], v[97:98], 1.0
	v_div_scale_f64 v[107:108], vcc, 1.0, v[97:98], 1.0
	v_rcp_f64_e32 v[103:104], v[99:100]
	v_fma_f64 v[105:106], -v[99:100], v[103:104], 1.0
	v_fma_f64 v[103:104], v[103:104], v[105:106], v[103:104]
	v_fma_f64 v[105:106], -v[99:100], v[103:104], 1.0
	v_fma_f64 v[103:104], v[103:104], v[105:106], v[103:104]
	v_mul_f64 v[105:106], v[107:108], v[103:104]
	v_fma_f64 v[99:100], -v[99:100], v[105:106], v[107:108]
	v_div_fmas_f64 v[99:100], v[99:100], v[103:104], v[105:106]
	v_div_fixup_f64 v[103:104], v[99:100], v[97:98], 1.0
                                        ; implicit-def: $vgpr97_vgpr98
	v_mul_f64 v[101:102], v[101:102], v[103:104]
	v_xor_b32_e32 v104, 0x80000000, v104
.LBB65_158:
	s_andn2_saveexec_b64 s[2:3], s[2:3]
	s_cbranch_execz .LBB65_160
; %bb.159:
	v_div_scale_f64 v[101:102], s[6:7], v[97:98], v[97:98], v[99:100]
	v_rcp_f64_e32 v[103:104], v[101:102]
	v_fma_f64 v[105:106], -v[101:102], v[103:104], 1.0
	v_fma_f64 v[103:104], v[103:104], v[105:106], v[103:104]
	v_div_scale_f64 v[105:106], vcc, v[99:100], v[97:98], v[99:100]
	v_fma_f64 v[107:108], -v[101:102], v[103:104], 1.0
	v_fma_f64 v[103:104], v[103:104], v[107:108], v[103:104]
	v_mul_f64 v[107:108], v[105:106], v[103:104]
	v_fma_f64 v[101:102], -v[101:102], v[107:108], v[105:106]
	v_div_fmas_f64 v[101:102], v[101:102], v[103:104], v[107:108]
	v_div_fixup_f64 v[103:104], v[101:102], v[97:98], v[99:100]
	v_fma_f64 v[97:98], v[99:100], v[103:104], v[97:98]
	v_div_scale_f64 v[99:100], s[6:7], v[97:98], v[97:98], 1.0
	v_div_scale_f64 v[107:108], vcc, 1.0, v[97:98], 1.0
	v_rcp_f64_e32 v[101:102], v[99:100]
	v_fma_f64 v[105:106], -v[99:100], v[101:102], 1.0
	v_fma_f64 v[101:102], v[101:102], v[105:106], v[101:102]
	v_fma_f64 v[105:106], -v[99:100], v[101:102], 1.0
	v_fma_f64 v[101:102], v[101:102], v[105:106], v[101:102]
	v_mul_f64 v[105:106], v[107:108], v[101:102]
	v_fma_f64 v[99:100], -v[99:100], v[105:106], v[107:108]
	v_div_fmas_f64 v[99:100], v[99:100], v[101:102], v[105:106]
	v_div_fixup_f64 v[101:102], v[99:100], v[97:98], 1.0
	v_mul_f64 v[103:104], v[103:104], -v[101:102]
.LBB65_160:
	s_or_b64 exec, exec, s[2:3]
	ds_write2_b64 v127, v[101:102], v[103:104] offset1:1
.LBB65_161:
	s_or_b64 exec, exec, s[4:5]
	s_waitcnt lgkmcnt(0)
	s_barrier
	ds_read2_b64 v[87:90], v127 offset1:1
	v_cmp_lt_u32_e32 vcc, 17, v0
	s_waitcnt lgkmcnt(0)
	buffer_store_dword v87, off, s[20:23], 0 offset:648 ; 4-byte Folded Spill
	s_nop 0
	buffer_store_dword v88, off, s[20:23], 0 offset:652 ; 4-byte Folded Spill
	buffer_store_dword v89, off, s[20:23], 0 offset:656 ; 4-byte Folded Spill
	;; [unrolled: 1-line block ×3, first 2 shown]
	s_and_saveexec_b64 s[2:3], vcc
	s_cbranch_execz .LBB65_163
; %bb.162:
	buffer_load_dword v87, off, s[20:23], 0 offset:648 ; 4-byte Folded Reload
	buffer_load_dword v88, off, s[20:23], 0 offset:652 ; 4-byte Folded Reload
	;; [unrolled: 1-line block ×4, first 2 shown]
	ds_read2_b64 v[99:102], v125 offset0:36 offset1:37
	s_waitcnt vmcnt(2)
	v_mul_f64 v[97:98], v[87:88], v[59:60]
	s_waitcnt vmcnt(0)
	v_mul_f64 v[59:60], v[89:90], v[59:60]
	v_fma_f64 v[97:98], v[89:90], v[57:58], v[97:98]
	v_fma_f64 v[57:58], v[87:88], v[57:58], -v[59:60]
	s_waitcnt lgkmcnt(0)
	v_mul_f64 v[59:60], v[101:102], v[97:98]
	v_fma_f64 v[59:60], v[99:100], v[57:58], -v[59:60]
	v_mul_f64 v[99:100], v[99:100], v[97:98]
	v_add_f64 v[53:54], v[53:54], -v[59:60]
	v_fma_f64 v[99:100], v[101:102], v[57:58], v[99:100]
	v_add_f64 v[55:56], v[55:56], -v[99:100]
	ds_read2_b64 v[99:102], v125 offset0:38 offset1:39
	s_waitcnt lgkmcnt(0)
	v_mul_f64 v[59:60], v[101:102], v[97:98]
	v_fma_f64 v[59:60], v[99:100], v[57:58], -v[59:60]
	v_mul_f64 v[99:100], v[99:100], v[97:98]
	v_add_f64 v[49:50], v[49:50], -v[59:60]
	v_fma_f64 v[99:100], v[101:102], v[57:58], v[99:100]
	v_add_f64 v[51:52], v[51:52], -v[99:100]
	ds_read2_b64 v[99:102], v125 offset0:40 offset1:41
	;; [unrolled: 8-line block ×14, first 2 shown]
	s_waitcnt lgkmcnt(0)
	v_mul_f64 v[59:60], v[101:102], v[97:98]
	v_fma_f64 v[59:60], v[99:100], v[57:58], -v[59:60]
	v_mul_f64 v[99:100], v[99:100], v[97:98]
	v_add_f64 v[113:114], v[113:114], -v[59:60]
	v_fma_f64 v[99:100], v[101:102], v[57:58], v[99:100]
	v_mov_b32_e32 v59, v97
	v_mov_b32_e32 v60, v98
	v_add_f64 v[115:116], v[115:116], -v[99:100]
.LBB65_163:
	s_or_b64 exec, exec, s[2:3]
	v_cmp_eq_u32_e32 vcc, 18, v0
	s_waitcnt vmcnt(0)
	s_barrier
	s_and_saveexec_b64 s[4:5], vcc
	s_cbranch_execz .LBB65_170
; %bb.164:
	ds_write2_b64 v127, v[53:54], v[55:56] offset1:1
	ds_write2_b64 v125, v[49:50], v[51:52] offset0:38 offset1:39
	ds_write2_b64 v125, v[45:46], v[47:48] offset0:40 offset1:41
	;; [unrolled: 1-line block ×14, first 2 shown]
	ds_read2_b64 v[97:100], v127 offset1:1
	s_waitcnt lgkmcnt(0)
	v_cmp_neq_f64_e32 vcc, 0, v[97:98]
	v_cmp_neq_f64_e64 s[2:3], 0, v[99:100]
	s_or_b64 s[2:3], vcc, s[2:3]
	s_and_b64 exec, exec, s[2:3]
	s_cbranch_execz .LBB65_170
; %bb.165:
	v_cmp_ngt_f64_e64 s[2:3], |v[97:98]|, |v[99:100]|
                                        ; implicit-def: $vgpr101_vgpr102
	s_and_saveexec_b64 s[6:7], s[2:3]
	s_xor_b64 s[2:3], exec, s[6:7]
                                        ; implicit-def: $vgpr103_vgpr104
	s_cbranch_execz .LBB65_167
; %bb.166:
	v_div_scale_f64 v[101:102], s[6:7], v[99:100], v[99:100], v[97:98]
	v_rcp_f64_e32 v[103:104], v[101:102]
	v_fma_f64 v[105:106], -v[101:102], v[103:104], 1.0
	v_fma_f64 v[103:104], v[103:104], v[105:106], v[103:104]
	v_div_scale_f64 v[105:106], vcc, v[97:98], v[99:100], v[97:98]
	v_fma_f64 v[107:108], -v[101:102], v[103:104], 1.0
	v_fma_f64 v[103:104], v[103:104], v[107:108], v[103:104]
	v_mul_f64 v[107:108], v[105:106], v[103:104]
	v_fma_f64 v[101:102], -v[101:102], v[107:108], v[105:106]
	v_div_fmas_f64 v[101:102], v[101:102], v[103:104], v[107:108]
	v_div_fixup_f64 v[101:102], v[101:102], v[99:100], v[97:98]
	v_fma_f64 v[97:98], v[97:98], v[101:102], v[99:100]
	v_div_scale_f64 v[99:100], s[6:7], v[97:98], v[97:98], 1.0
	v_div_scale_f64 v[107:108], vcc, 1.0, v[97:98], 1.0
	v_rcp_f64_e32 v[103:104], v[99:100]
	v_fma_f64 v[105:106], -v[99:100], v[103:104], 1.0
	v_fma_f64 v[103:104], v[103:104], v[105:106], v[103:104]
	v_fma_f64 v[105:106], -v[99:100], v[103:104], 1.0
	v_fma_f64 v[103:104], v[103:104], v[105:106], v[103:104]
	v_mul_f64 v[105:106], v[107:108], v[103:104]
	v_fma_f64 v[99:100], -v[99:100], v[105:106], v[107:108]
	v_div_fmas_f64 v[99:100], v[99:100], v[103:104], v[105:106]
	v_div_fixup_f64 v[103:104], v[99:100], v[97:98], 1.0
                                        ; implicit-def: $vgpr97_vgpr98
	v_mul_f64 v[101:102], v[101:102], v[103:104]
	v_xor_b32_e32 v104, 0x80000000, v104
.LBB65_167:
	s_andn2_saveexec_b64 s[2:3], s[2:3]
	s_cbranch_execz .LBB65_169
; %bb.168:
	v_div_scale_f64 v[101:102], s[6:7], v[97:98], v[97:98], v[99:100]
	v_rcp_f64_e32 v[103:104], v[101:102]
	v_fma_f64 v[105:106], -v[101:102], v[103:104], 1.0
	v_fma_f64 v[103:104], v[103:104], v[105:106], v[103:104]
	v_div_scale_f64 v[105:106], vcc, v[99:100], v[97:98], v[99:100]
	v_fma_f64 v[107:108], -v[101:102], v[103:104], 1.0
	v_fma_f64 v[103:104], v[103:104], v[107:108], v[103:104]
	v_mul_f64 v[107:108], v[105:106], v[103:104]
	v_fma_f64 v[101:102], -v[101:102], v[107:108], v[105:106]
	v_div_fmas_f64 v[101:102], v[101:102], v[103:104], v[107:108]
	v_div_fixup_f64 v[103:104], v[101:102], v[97:98], v[99:100]
	v_fma_f64 v[97:98], v[99:100], v[103:104], v[97:98]
	v_div_scale_f64 v[99:100], s[6:7], v[97:98], v[97:98], 1.0
	v_div_scale_f64 v[107:108], vcc, 1.0, v[97:98], 1.0
	v_rcp_f64_e32 v[101:102], v[99:100]
	v_fma_f64 v[105:106], -v[99:100], v[101:102], 1.0
	v_fma_f64 v[101:102], v[101:102], v[105:106], v[101:102]
	v_fma_f64 v[105:106], -v[99:100], v[101:102], 1.0
	v_fma_f64 v[101:102], v[101:102], v[105:106], v[101:102]
	v_mul_f64 v[105:106], v[107:108], v[101:102]
	v_fma_f64 v[99:100], -v[99:100], v[105:106], v[107:108]
	v_div_fmas_f64 v[99:100], v[99:100], v[101:102], v[105:106]
	v_div_fixup_f64 v[101:102], v[99:100], v[97:98], 1.0
	v_mul_f64 v[103:104], v[103:104], -v[101:102]
.LBB65_169:
	s_or_b64 exec, exec, s[2:3]
	ds_write2_b64 v127, v[101:102], v[103:104] offset1:1
.LBB65_170:
	s_or_b64 exec, exec, s[4:5]
	s_waitcnt lgkmcnt(0)
	s_barrier
	ds_read2_b64 v[87:90], v127 offset1:1
	v_cmp_lt_u32_e32 vcc, 18, v0
	s_waitcnt lgkmcnt(0)
	buffer_store_dword v87, off, s[20:23], 0 offset:664 ; 4-byte Folded Spill
	s_nop 0
	buffer_store_dword v88, off, s[20:23], 0 offset:668 ; 4-byte Folded Spill
	buffer_store_dword v89, off, s[20:23], 0 offset:672 ; 4-byte Folded Spill
	;; [unrolled: 1-line block ×3, first 2 shown]
	s_and_saveexec_b64 s[2:3], vcc
	s_cbranch_execz .LBB65_172
; %bb.171:
	buffer_load_dword v87, off, s[20:23], 0 offset:664 ; 4-byte Folded Reload
	buffer_load_dword v88, off, s[20:23], 0 offset:668 ; 4-byte Folded Reload
	buffer_load_dword v89, off, s[20:23], 0 offset:672 ; 4-byte Folded Reload
	buffer_load_dword v90, off, s[20:23], 0 offset:676 ; 4-byte Folded Reload
	ds_read2_b64 v[99:102], v125 offset0:38 offset1:39
	s_waitcnt vmcnt(2)
	v_mul_f64 v[97:98], v[87:88], v[55:56]
	s_waitcnt vmcnt(0)
	v_mul_f64 v[55:56], v[89:90], v[55:56]
	v_fma_f64 v[97:98], v[89:90], v[53:54], v[97:98]
	v_fma_f64 v[53:54], v[87:88], v[53:54], -v[55:56]
	s_waitcnt lgkmcnt(0)
	v_mul_f64 v[55:56], v[101:102], v[97:98]
	v_fma_f64 v[55:56], v[99:100], v[53:54], -v[55:56]
	v_mul_f64 v[99:100], v[99:100], v[97:98]
	v_add_f64 v[49:50], v[49:50], -v[55:56]
	v_fma_f64 v[99:100], v[101:102], v[53:54], v[99:100]
	v_add_f64 v[51:52], v[51:52], -v[99:100]
	ds_read2_b64 v[99:102], v125 offset0:40 offset1:41
	s_waitcnt lgkmcnt(0)
	v_mul_f64 v[55:56], v[101:102], v[97:98]
	v_fma_f64 v[55:56], v[99:100], v[53:54], -v[55:56]
	v_mul_f64 v[99:100], v[99:100], v[97:98]
	v_add_f64 v[45:46], v[45:46], -v[55:56]
	v_fma_f64 v[99:100], v[101:102], v[53:54], v[99:100]
	v_add_f64 v[47:48], v[47:48], -v[99:100]
	ds_read2_b64 v[99:102], v125 offset0:42 offset1:43
	;; [unrolled: 8-line block ×13, first 2 shown]
	s_waitcnt lgkmcnt(0)
	v_mul_f64 v[55:56], v[101:102], v[97:98]
	v_fma_f64 v[55:56], v[99:100], v[53:54], -v[55:56]
	v_mul_f64 v[99:100], v[99:100], v[97:98]
	v_add_f64 v[113:114], v[113:114], -v[55:56]
	v_fma_f64 v[99:100], v[101:102], v[53:54], v[99:100]
	v_mov_b32_e32 v55, v97
	v_mov_b32_e32 v56, v98
	v_add_f64 v[115:116], v[115:116], -v[99:100]
.LBB65_172:
	s_or_b64 exec, exec, s[2:3]
	v_cmp_eq_u32_e32 vcc, 19, v0
	s_waitcnt vmcnt(0)
	s_barrier
	s_and_saveexec_b64 s[4:5], vcc
	s_cbranch_execz .LBB65_179
; %bb.173:
	ds_write2_b64 v127, v[49:50], v[51:52] offset1:1
	ds_write2_b64 v125, v[45:46], v[47:48] offset0:40 offset1:41
	ds_write2_b64 v125, v[41:42], v[43:44] offset0:42 offset1:43
	;; [unrolled: 1-line block ×13, first 2 shown]
	ds_read2_b64 v[97:100], v127 offset1:1
	s_waitcnt lgkmcnt(0)
	v_cmp_neq_f64_e32 vcc, 0, v[97:98]
	v_cmp_neq_f64_e64 s[2:3], 0, v[99:100]
	s_or_b64 s[2:3], vcc, s[2:3]
	s_and_b64 exec, exec, s[2:3]
	s_cbranch_execz .LBB65_179
; %bb.174:
	v_cmp_ngt_f64_e64 s[2:3], |v[97:98]|, |v[99:100]|
                                        ; implicit-def: $vgpr101_vgpr102
	s_and_saveexec_b64 s[6:7], s[2:3]
	s_xor_b64 s[2:3], exec, s[6:7]
                                        ; implicit-def: $vgpr103_vgpr104
	s_cbranch_execz .LBB65_176
; %bb.175:
	v_div_scale_f64 v[101:102], s[6:7], v[99:100], v[99:100], v[97:98]
	v_rcp_f64_e32 v[103:104], v[101:102]
	v_fma_f64 v[105:106], -v[101:102], v[103:104], 1.0
	v_fma_f64 v[103:104], v[103:104], v[105:106], v[103:104]
	v_div_scale_f64 v[105:106], vcc, v[97:98], v[99:100], v[97:98]
	v_fma_f64 v[107:108], -v[101:102], v[103:104], 1.0
	v_fma_f64 v[103:104], v[103:104], v[107:108], v[103:104]
	v_mul_f64 v[107:108], v[105:106], v[103:104]
	v_fma_f64 v[101:102], -v[101:102], v[107:108], v[105:106]
	v_div_fmas_f64 v[101:102], v[101:102], v[103:104], v[107:108]
	v_div_fixup_f64 v[101:102], v[101:102], v[99:100], v[97:98]
	v_fma_f64 v[97:98], v[97:98], v[101:102], v[99:100]
	v_div_scale_f64 v[99:100], s[6:7], v[97:98], v[97:98], 1.0
	v_div_scale_f64 v[107:108], vcc, 1.0, v[97:98], 1.0
	v_rcp_f64_e32 v[103:104], v[99:100]
	v_fma_f64 v[105:106], -v[99:100], v[103:104], 1.0
	v_fma_f64 v[103:104], v[103:104], v[105:106], v[103:104]
	v_fma_f64 v[105:106], -v[99:100], v[103:104], 1.0
	v_fma_f64 v[103:104], v[103:104], v[105:106], v[103:104]
	v_mul_f64 v[105:106], v[107:108], v[103:104]
	v_fma_f64 v[99:100], -v[99:100], v[105:106], v[107:108]
	v_div_fmas_f64 v[99:100], v[99:100], v[103:104], v[105:106]
	v_div_fixup_f64 v[103:104], v[99:100], v[97:98], 1.0
                                        ; implicit-def: $vgpr97_vgpr98
	v_mul_f64 v[101:102], v[101:102], v[103:104]
	v_xor_b32_e32 v104, 0x80000000, v104
.LBB65_176:
	s_andn2_saveexec_b64 s[2:3], s[2:3]
	s_cbranch_execz .LBB65_178
; %bb.177:
	v_div_scale_f64 v[101:102], s[6:7], v[97:98], v[97:98], v[99:100]
	v_rcp_f64_e32 v[103:104], v[101:102]
	v_fma_f64 v[105:106], -v[101:102], v[103:104], 1.0
	v_fma_f64 v[103:104], v[103:104], v[105:106], v[103:104]
	v_div_scale_f64 v[105:106], vcc, v[99:100], v[97:98], v[99:100]
	v_fma_f64 v[107:108], -v[101:102], v[103:104], 1.0
	v_fma_f64 v[103:104], v[103:104], v[107:108], v[103:104]
	v_mul_f64 v[107:108], v[105:106], v[103:104]
	v_fma_f64 v[101:102], -v[101:102], v[107:108], v[105:106]
	v_div_fmas_f64 v[101:102], v[101:102], v[103:104], v[107:108]
	v_div_fixup_f64 v[103:104], v[101:102], v[97:98], v[99:100]
	v_fma_f64 v[97:98], v[99:100], v[103:104], v[97:98]
	v_div_scale_f64 v[99:100], s[6:7], v[97:98], v[97:98], 1.0
	v_div_scale_f64 v[107:108], vcc, 1.0, v[97:98], 1.0
	v_rcp_f64_e32 v[101:102], v[99:100]
	v_fma_f64 v[105:106], -v[99:100], v[101:102], 1.0
	v_fma_f64 v[101:102], v[101:102], v[105:106], v[101:102]
	v_fma_f64 v[105:106], -v[99:100], v[101:102], 1.0
	v_fma_f64 v[101:102], v[101:102], v[105:106], v[101:102]
	v_mul_f64 v[105:106], v[107:108], v[101:102]
	v_fma_f64 v[99:100], -v[99:100], v[105:106], v[107:108]
	v_div_fmas_f64 v[99:100], v[99:100], v[101:102], v[105:106]
	v_div_fixup_f64 v[101:102], v[99:100], v[97:98], 1.0
	v_mul_f64 v[103:104], v[103:104], -v[101:102]
.LBB65_178:
	s_or_b64 exec, exec, s[2:3]
	ds_write2_b64 v127, v[101:102], v[103:104] offset1:1
.LBB65_179:
	s_or_b64 exec, exec, s[4:5]
	s_waitcnt lgkmcnt(0)
	s_barrier
	ds_read2_b64 v[87:90], v127 offset1:1
	v_cmp_lt_u32_e32 vcc, 19, v0
	s_waitcnt lgkmcnt(0)
	buffer_store_dword v87, off, s[20:23], 0 offset:680 ; 4-byte Folded Spill
	s_nop 0
	buffer_store_dword v88, off, s[20:23], 0 offset:684 ; 4-byte Folded Spill
	buffer_store_dword v89, off, s[20:23], 0 offset:688 ; 4-byte Folded Spill
	;; [unrolled: 1-line block ×3, first 2 shown]
	s_and_saveexec_b64 s[2:3], vcc
	s_cbranch_execz .LBB65_181
; %bb.180:
	buffer_load_dword v87, off, s[20:23], 0 offset:680 ; 4-byte Folded Reload
	buffer_load_dword v88, off, s[20:23], 0 offset:684 ; 4-byte Folded Reload
	;; [unrolled: 1-line block ×4, first 2 shown]
	ds_read2_b64 v[99:102], v125 offset0:40 offset1:41
	s_waitcnt vmcnt(2)
	v_mul_f64 v[97:98], v[87:88], v[51:52]
	s_waitcnt vmcnt(0)
	v_mul_f64 v[51:52], v[89:90], v[51:52]
	v_fma_f64 v[97:98], v[89:90], v[49:50], v[97:98]
	v_fma_f64 v[49:50], v[87:88], v[49:50], -v[51:52]
	s_waitcnt lgkmcnt(0)
	v_mul_f64 v[51:52], v[101:102], v[97:98]
	v_fma_f64 v[51:52], v[99:100], v[49:50], -v[51:52]
	v_mul_f64 v[99:100], v[99:100], v[97:98]
	v_add_f64 v[45:46], v[45:46], -v[51:52]
	v_fma_f64 v[99:100], v[101:102], v[49:50], v[99:100]
	v_add_f64 v[47:48], v[47:48], -v[99:100]
	ds_read2_b64 v[99:102], v125 offset0:42 offset1:43
	s_waitcnt lgkmcnt(0)
	v_mul_f64 v[51:52], v[101:102], v[97:98]
	v_fma_f64 v[51:52], v[99:100], v[49:50], -v[51:52]
	v_mul_f64 v[99:100], v[99:100], v[97:98]
	v_add_f64 v[41:42], v[41:42], -v[51:52]
	v_fma_f64 v[99:100], v[101:102], v[49:50], v[99:100]
	v_add_f64 v[43:44], v[43:44], -v[99:100]
	ds_read2_b64 v[99:102], v125 offset0:44 offset1:45
	;; [unrolled: 8-line block ×12, first 2 shown]
	s_waitcnt lgkmcnt(0)
	v_mul_f64 v[51:52], v[101:102], v[97:98]
	v_fma_f64 v[51:52], v[99:100], v[49:50], -v[51:52]
	v_mul_f64 v[99:100], v[99:100], v[97:98]
	v_add_f64 v[113:114], v[113:114], -v[51:52]
	v_fma_f64 v[99:100], v[101:102], v[49:50], v[99:100]
	v_mov_b32_e32 v51, v97
	v_mov_b32_e32 v52, v98
	v_add_f64 v[115:116], v[115:116], -v[99:100]
.LBB65_181:
	s_or_b64 exec, exec, s[2:3]
	v_cmp_eq_u32_e32 vcc, 20, v0
	s_waitcnt vmcnt(0)
	s_barrier
	s_and_saveexec_b64 s[4:5], vcc
	s_cbranch_execz .LBB65_188
; %bb.182:
	ds_write2_b64 v127, v[45:46], v[47:48] offset1:1
	ds_write2_b64 v125, v[41:42], v[43:44] offset0:42 offset1:43
	ds_write2_b64 v125, v[37:38], v[39:40] offset0:44 offset1:45
	;; [unrolled: 1-line block ×12, first 2 shown]
	ds_read2_b64 v[97:100], v127 offset1:1
	s_waitcnt lgkmcnt(0)
	v_cmp_neq_f64_e32 vcc, 0, v[97:98]
	v_cmp_neq_f64_e64 s[2:3], 0, v[99:100]
	s_or_b64 s[2:3], vcc, s[2:3]
	s_and_b64 exec, exec, s[2:3]
	s_cbranch_execz .LBB65_188
; %bb.183:
	v_cmp_ngt_f64_e64 s[2:3], |v[97:98]|, |v[99:100]|
                                        ; implicit-def: $vgpr101_vgpr102
	s_and_saveexec_b64 s[6:7], s[2:3]
	s_xor_b64 s[2:3], exec, s[6:7]
                                        ; implicit-def: $vgpr103_vgpr104
	s_cbranch_execz .LBB65_185
; %bb.184:
	v_div_scale_f64 v[101:102], s[6:7], v[99:100], v[99:100], v[97:98]
	v_rcp_f64_e32 v[103:104], v[101:102]
	v_fma_f64 v[105:106], -v[101:102], v[103:104], 1.0
	v_fma_f64 v[103:104], v[103:104], v[105:106], v[103:104]
	v_div_scale_f64 v[105:106], vcc, v[97:98], v[99:100], v[97:98]
	v_fma_f64 v[107:108], -v[101:102], v[103:104], 1.0
	v_fma_f64 v[103:104], v[103:104], v[107:108], v[103:104]
	v_mul_f64 v[107:108], v[105:106], v[103:104]
	v_fma_f64 v[101:102], -v[101:102], v[107:108], v[105:106]
	v_div_fmas_f64 v[101:102], v[101:102], v[103:104], v[107:108]
	v_div_fixup_f64 v[101:102], v[101:102], v[99:100], v[97:98]
	v_fma_f64 v[97:98], v[97:98], v[101:102], v[99:100]
	v_div_scale_f64 v[99:100], s[6:7], v[97:98], v[97:98], 1.0
	v_div_scale_f64 v[107:108], vcc, 1.0, v[97:98], 1.0
	v_rcp_f64_e32 v[103:104], v[99:100]
	v_fma_f64 v[105:106], -v[99:100], v[103:104], 1.0
	v_fma_f64 v[103:104], v[103:104], v[105:106], v[103:104]
	v_fma_f64 v[105:106], -v[99:100], v[103:104], 1.0
	v_fma_f64 v[103:104], v[103:104], v[105:106], v[103:104]
	v_mul_f64 v[105:106], v[107:108], v[103:104]
	v_fma_f64 v[99:100], -v[99:100], v[105:106], v[107:108]
	v_div_fmas_f64 v[99:100], v[99:100], v[103:104], v[105:106]
	v_div_fixup_f64 v[103:104], v[99:100], v[97:98], 1.0
                                        ; implicit-def: $vgpr97_vgpr98
	v_mul_f64 v[101:102], v[101:102], v[103:104]
	v_xor_b32_e32 v104, 0x80000000, v104
.LBB65_185:
	s_andn2_saveexec_b64 s[2:3], s[2:3]
	s_cbranch_execz .LBB65_187
; %bb.186:
	v_div_scale_f64 v[101:102], s[6:7], v[97:98], v[97:98], v[99:100]
	v_rcp_f64_e32 v[103:104], v[101:102]
	v_fma_f64 v[105:106], -v[101:102], v[103:104], 1.0
	v_fma_f64 v[103:104], v[103:104], v[105:106], v[103:104]
	v_div_scale_f64 v[105:106], vcc, v[99:100], v[97:98], v[99:100]
	v_fma_f64 v[107:108], -v[101:102], v[103:104], 1.0
	v_fma_f64 v[103:104], v[103:104], v[107:108], v[103:104]
	v_mul_f64 v[107:108], v[105:106], v[103:104]
	v_fma_f64 v[101:102], -v[101:102], v[107:108], v[105:106]
	v_div_fmas_f64 v[101:102], v[101:102], v[103:104], v[107:108]
	v_div_fixup_f64 v[103:104], v[101:102], v[97:98], v[99:100]
	v_fma_f64 v[97:98], v[99:100], v[103:104], v[97:98]
	v_div_scale_f64 v[99:100], s[6:7], v[97:98], v[97:98], 1.0
	v_div_scale_f64 v[107:108], vcc, 1.0, v[97:98], 1.0
	v_rcp_f64_e32 v[101:102], v[99:100]
	v_fma_f64 v[105:106], -v[99:100], v[101:102], 1.0
	v_fma_f64 v[101:102], v[101:102], v[105:106], v[101:102]
	v_fma_f64 v[105:106], -v[99:100], v[101:102], 1.0
	v_fma_f64 v[101:102], v[101:102], v[105:106], v[101:102]
	v_mul_f64 v[105:106], v[107:108], v[101:102]
	v_fma_f64 v[99:100], -v[99:100], v[105:106], v[107:108]
	v_div_fmas_f64 v[99:100], v[99:100], v[101:102], v[105:106]
	v_div_fixup_f64 v[101:102], v[99:100], v[97:98], 1.0
	v_mul_f64 v[103:104], v[103:104], -v[101:102]
.LBB65_187:
	s_or_b64 exec, exec, s[2:3]
	ds_write2_b64 v127, v[101:102], v[103:104] offset1:1
.LBB65_188:
	s_or_b64 exec, exec, s[4:5]
	s_waitcnt lgkmcnt(0)
	s_barrier
	ds_read2_b64 v[87:90], v127 offset1:1
	v_cmp_lt_u32_e32 vcc, 20, v0
	s_waitcnt lgkmcnt(0)
	buffer_store_dword v87, off, s[20:23], 0 offset:696 ; 4-byte Folded Spill
	s_nop 0
	buffer_store_dword v88, off, s[20:23], 0 offset:700 ; 4-byte Folded Spill
	buffer_store_dword v89, off, s[20:23], 0 offset:704 ; 4-byte Folded Spill
	;; [unrolled: 1-line block ×3, first 2 shown]
	s_and_saveexec_b64 s[2:3], vcc
	s_cbranch_execz .LBB65_190
; %bb.189:
	buffer_load_dword v87, off, s[20:23], 0 offset:696 ; 4-byte Folded Reload
	buffer_load_dword v88, off, s[20:23], 0 offset:700 ; 4-byte Folded Reload
	;; [unrolled: 1-line block ×4, first 2 shown]
	ds_read2_b64 v[99:102], v125 offset0:42 offset1:43
	s_waitcnt vmcnt(2)
	v_mul_f64 v[97:98], v[87:88], v[47:48]
	s_waitcnt vmcnt(0)
	v_mul_f64 v[47:48], v[89:90], v[47:48]
	v_fma_f64 v[97:98], v[89:90], v[45:46], v[97:98]
	v_fma_f64 v[45:46], v[87:88], v[45:46], -v[47:48]
	s_waitcnt lgkmcnt(0)
	v_mul_f64 v[47:48], v[101:102], v[97:98]
	v_fma_f64 v[47:48], v[99:100], v[45:46], -v[47:48]
	v_mul_f64 v[99:100], v[99:100], v[97:98]
	v_add_f64 v[41:42], v[41:42], -v[47:48]
	v_fma_f64 v[99:100], v[101:102], v[45:46], v[99:100]
	v_add_f64 v[43:44], v[43:44], -v[99:100]
	ds_read2_b64 v[99:102], v125 offset0:44 offset1:45
	s_waitcnt lgkmcnt(0)
	v_mul_f64 v[47:48], v[101:102], v[97:98]
	v_fma_f64 v[47:48], v[99:100], v[45:46], -v[47:48]
	v_mul_f64 v[99:100], v[99:100], v[97:98]
	v_add_f64 v[37:38], v[37:38], -v[47:48]
	v_fma_f64 v[99:100], v[101:102], v[45:46], v[99:100]
	v_add_f64 v[39:40], v[39:40], -v[99:100]
	ds_read2_b64 v[99:102], v125 offset0:46 offset1:47
	;; [unrolled: 8-line block ×11, first 2 shown]
	s_waitcnt lgkmcnt(0)
	v_mul_f64 v[47:48], v[101:102], v[97:98]
	v_fma_f64 v[47:48], v[99:100], v[45:46], -v[47:48]
	v_mul_f64 v[99:100], v[99:100], v[97:98]
	v_add_f64 v[113:114], v[113:114], -v[47:48]
	v_fma_f64 v[99:100], v[101:102], v[45:46], v[99:100]
	v_mov_b32_e32 v47, v97
	v_mov_b32_e32 v48, v98
	v_add_f64 v[115:116], v[115:116], -v[99:100]
.LBB65_190:
	s_or_b64 exec, exec, s[2:3]
	v_cmp_eq_u32_e32 vcc, 21, v0
	s_waitcnt vmcnt(0)
	s_barrier
	s_and_saveexec_b64 s[4:5], vcc
	s_cbranch_execz .LBB65_197
; %bb.191:
	ds_write2_b64 v127, v[41:42], v[43:44] offset1:1
	ds_write2_b64 v125, v[37:38], v[39:40] offset0:44 offset1:45
	ds_write2_b64 v125, v[33:34], v[35:36] offset0:46 offset1:47
	ds_write2_b64 v125, v[29:30], v[31:32] offset0:48 offset1:49
	ds_write2_b64 v125, v[25:26], v[27:28] offset0:50 offset1:51
	ds_write2_b64 v125, v[21:22], v[23:24] offset0:52 offset1:53
	ds_write2_b64 v125, v[17:18], v[19:20] offset0:54 offset1:55
	ds_write2_b64 v125, v[13:14], v[15:16] offset0:56 offset1:57
	ds_write2_b64 v125, v[9:10], v[11:12] offset0:58 offset1:59
	ds_write2_b64 v125, v[5:6], v[7:8] offset0:60 offset1:61
	ds_write2_b64 v125, v[1:2], v[3:4] offset0:62 offset1:63
	ds_write2_b64 v125, v[113:114], v[115:116] offset0:64 offset1:65
	ds_read2_b64 v[97:100], v127 offset1:1
	s_waitcnt lgkmcnt(0)
	v_cmp_neq_f64_e32 vcc, 0, v[97:98]
	v_cmp_neq_f64_e64 s[2:3], 0, v[99:100]
	s_or_b64 s[2:3], vcc, s[2:3]
	s_and_b64 exec, exec, s[2:3]
	s_cbranch_execz .LBB65_197
; %bb.192:
	v_cmp_ngt_f64_e64 s[2:3], |v[97:98]|, |v[99:100]|
                                        ; implicit-def: $vgpr101_vgpr102
	s_and_saveexec_b64 s[6:7], s[2:3]
	s_xor_b64 s[2:3], exec, s[6:7]
                                        ; implicit-def: $vgpr103_vgpr104
	s_cbranch_execz .LBB65_194
; %bb.193:
	v_div_scale_f64 v[101:102], s[6:7], v[99:100], v[99:100], v[97:98]
	v_rcp_f64_e32 v[103:104], v[101:102]
	v_fma_f64 v[105:106], -v[101:102], v[103:104], 1.0
	v_fma_f64 v[103:104], v[103:104], v[105:106], v[103:104]
	v_div_scale_f64 v[105:106], vcc, v[97:98], v[99:100], v[97:98]
	v_fma_f64 v[107:108], -v[101:102], v[103:104], 1.0
	v_fma_f64 v[103:104], v[103:104], v[107:108], v[103:104]
	v_mul_f64 v[107:108], v[105:106], v[103:104]
	v_fma_f64 v[101:102], -v[101:102], v[107:108], v[105:106]
	v_div_fmas_f64 v[101:102], v[101:102], v[103:104], v[107:108]
	v_div_fixup_f64 v[101:102], v[101:102], v[99:100], v[97:98]
	v_fma_f64 v[97:98], v[97:98], v[101:102], v[99:100]
	v_div_scale_f64 v[99:100], s[6:7], v[97:98], v[97:98], 1.0
	v_div_scale_f64 v[107:108], vcc, 1.0, v[97:98], 1.0
	v_rcp_f64_e32 v[103:104], v[99:100]
	v_fma_f64 v[105:106], -v[99:100], v[103:104], 1.0
	v_fma_f64 v[103:104], v[103:104], v[105:106], v[103:104]
	v_fma_f64 v[105:106], -v[99:100], v[103:104], 1.0
	v_fma_f64 v[103:104], v[103:104], v[105:106], v[103:104]
	v_mul_f64 v[105:106], v[107:108], v[103:104]
	v_fma_f64 v[99:100], -v[99:100], v[105:106], v[107:108]
	v_div_fmas_f64 v[99:100], v[99:100], v[103:104], v[105:106]
	v_div_fixup_f64 v[103:104], v[99:100], v[97:98], 1.0
                                        ; implicit-def: $vgpr97_vgpr98
	v_mul_f64 v[101:102], v[101:102], v[103:104]
	v_xor_b32_e32 v104, 0x80000000, v104
.LBB65_194:
	s_andn2_saveexec_b64 s[2:3], s[2:3]
	s_cbranch_execz .LBB65_196
; %bb.195:
	v_div_scale_f64 v[101:102], s[6:7], v[97:98], v[97:98], v[99:100]
	v_rcp_f64_e32 v[103:104], v[101:102]
	v_fma_f64 v[105:106], -v[101:102], v[103:104], 1.0
	v_fma_f64 v[103:104], v[103:104], v[105:106], v[103:104]
	v_div_scale_f64 v[105:106], vcc, v[99:100], v[97:98], v[99:100]
	v_fma_f64 v[107:108], -v[101:102], v[103:104], 1.0
	v_fma_f64 v[103:104], v[103:104], v[107:108], v[103:104]
	v_mul_f64 v[107:108], v[105:106], v[103:104]
	v_fma_f64 v[101:102], -v[101:102], v[107:108], v[105:106]
	v_div_fmas_f64 v[101:102], v[101:102], v[103:104], v[107:108]
	v_div_fixup_f64 v[103:104], v[101:102], v[97:98], v[99:100]
	v_fma_f64 v[97:98], v[99:100], v[103:104], v[97:98]
	v_div_scale_f64 v[99:100], s[6:7], v[97:98], v[97:98], 1.0
	v_div_scale_f64 v[107:108], vcc, 1.0, v[97:98], 1.0
	v_rcp_f64_e32 v[101:102], v[99:100]
	v_fma_f64 v[105:106], -v[99:100], v[101:102], 1.0
	v_fma_f64 v[101:102], v[101:102], v[105:106], v[101:102]
	v_fma_f64 v[105:106], -v[99:100], v[101:102], 1.0
	v_fma_f64 v[101:102], v[101:102], v[105:106], v[101:102]
	v_mul_f64 v[105:106], v[107:108], v[101:102]
	v_fma_f64 v[99:100], -v[99:100], v[105:106], v[107:108]
	v_div_fmas_f64 v[99:100], v[99:100], v[101:102], v[105:106]
	v_div_fixup_f64 v[101:102], v[99:100], v[97:98], 1.0
	v_mul_f64 v[103:104], v[103:104], -v[101:102]
.LBB65_196:
	s_or_b64 exec, exec, s[2:3]
	ds_write2_b64 v127, v[101:102], v[103:104] offset1:1
.LBB65_197:
	s_or_b64 exec, exec, s[4:5]
	s_waitcnt lgkmcnt(0)
	s_barrier
	ds_read2_b64 v[87:90], v127 offset1:1
	v_cmp_lt_u32_e32 vcc, 21, v0
	s_waitcnt lgkmcnt(0)
	buffer_store_dword v87, off, s[20:23], 0 offset:712 ; 4-byte Folded Spill
	s_nop 0
	buffer_store_dword v88, off, s[20:23], 0 offset:716 ; 4-byte Folded Spill
	buffer_store_dword v89, off, s[20:23], 0 offset:720 ; 4-byte Folded Spill
	;; [unrolled: 1-line block ×3, first 2 shown]
	s_and_saveexec_b64 s[2:3], vcc
	s_cbranch_execz .LBB65_199
; %bb.198:
	buffer_load_dword v87, off, s[20:23], 0 offset:712 ; 4-byte Folded Reload
	buffer_load_dword v88, off, s[20:23], 0 offset:716 ; 4-byte Folded Reload
	;; [unrolled: 1-line block ×4, first 2 shown]
	ds_read2_b64 v[99:102], v125 offset0:44 offset1:45
	s_waitcnt vmcnt(2)
	v_mul_f64 v[97:98], v[87:88], v[43:44]
	s_waitcnt vmcnt(0)
	v_mul_f64 v[43:44], v[89:90], v[43:44]
	v_fma_f64 v[97:98], v[89:90], v[41:42], v[97:98]
	v_fma_f64 v[41:42], v[87:88], v[41:42], -v[43:44]
	s_waitcnt lgkmcnt(0)
	v_mul_f64 v[43:44], v[101:102], v[97:98]
	v_fma_f64 v[43:44], v[99:100], v[41:42], -v[43:44]
	v_mul_f64 v[99:100], v[99:100], v[97:98]
	v_add_f64 v[37:38], v[37:38], -v[43:44]
	v_fma_f64 v[99:100], v[101:102], v[41:42], v[99:100]
	v_add_f64 v[39:40], v[39:40], -v[99:100]
	ds_read2_b64 v[99:102], v125 offset0:46 offset1:47
	s_waitcnt lgkmcnt(0)
	v_mul_f64 v[43:44], v[101:102], v[97:98]
	v_fma_f64 v[43:44], v[99:100], v[41:42], -v[43:44]
	v_mul_f64 v[99:100], v[99:100], v[97:98]
	v_add_f64 v[33:34], v[33:34], -v[43:44]
	v_fma_f64 v[99:100], v[101:102], v[41:42], v[99:100]
	v_add_f64 v[35:36], v[35:36], -v[99:100]
	ds_read2_b64 v[99:102], v125 offset0:48 offset1:49
	s_waitcnt lgkmcnt(0)
	v_mul_f64 v[43:44], v[101:102], v[97:98]
	v_fma_f64 v[43:44], v[99:100], v[41:42], -v[43:44]
	v_mul_f64 v[99:100], v[99:100], v[97:98]
	v_add_f64 v[29:30], v[29:30], -v[43:44]
	v_fma_f64 v[99:100], v[101:102], v[41:42], v[99:100]
	v_add_f64 v[31:32], v[31:32], -v[99:100]
	ds_read2_b64 v[99:102], v125 offset0:50 offset1:51
	s_waitcnt lgkmcnt(0)
	v_mul_f64 v[43:44], v[101:102], v[97:98]
	v_fma_f64 v[43:44], v[99:100], v[41:42], -v[43:44]
	v_mul_f64 v[99:100], v[99:100], v[97:98]
	v_add_f64 v[25:26], v[25:26], -v[43:44]
	v_fma_f64 v[99:100], v[101:102], v[41:42], v[99:100]
	v_add_f64 v[27:28], v[27:28], -v[99:100]
	ds_read2_b64 v[99:102], v125 offset0:52 offset1:53
	s_waitcnt lgkmcnt(0)
	v_mul_f64 v[43:44], v[101:102], v[97:98]
	v_fma_f64 v[43:44], v[99:100], v[41:42], -v[43:44]
	v_mul_f64 v[99:100], v[99:100], v[97:98]
	v_add_f64 v[21:22], v[21:22], -v[43:44]
	v_fma_f64 v[99:100], v[101:102], v[41:42], v[99:100]
	v_add_f64 v[23:24], v[23:24], -v[99:100]
	ds_read2_b64 v[99:102], v125 offset0:54 offset1:55
	s_waitcnt lgkmcnt(0)
	v_mul_f64 v[43:44], v[101:102], v[97:98]
	v_fma_f64 v[43:44], v[99:100], v[41:42], -v[43:44]
	v_mul_f64 v[99:100], v[99:100], v[97:98]
	v_add_f64 v[17:18], v[17:18], -v[43:44]
	v_fma_f64 v[99:100], v[101:102], v[41:42], v[99:100]
	v_add_f64 v[19:20], v[19:20], -v[99:100]
	ds_read2_b64 v[99:102], v125 offset0:56 offset1:57
	s_waitcnt lgkmcnt(0)
	v_mul_f64 v[43:44], v[101:102], v[97:98]
	v_fma_f64 v[43:44], v[99:100], v[41:42], -v[43:44]
	v_mul_f64 v[99:100], v[99:100], v[97:98]
	v_add_f64 v[13:14], v[13:14], -v[43:44]
	v_fma_f64 v[99:100], v[101:102], v[41:42], v[99:100]
	v_add_f64 v[15:16], v[15:16], -v[99:100]
	ds_read2_b64 v[99:102], v125 offset0:58 offset1:59
	s_waitcnt lgkmcnt(0)
	v_mul_f64 v[43:44], v[101:102], v[97:98]
	v_fma_f64 v[43:44], v[99:100], v[41:42], -v[43:44]
	v_mul_f64 v[99:100], v[99:100], v[97:98]
	v_add_f64 v[9:10], v[9:10], -v[43:44]
	v_fma_f64 v[99:100], v[101:102], v[41:42], v[99:100]
	v_add_f64 v[11:12], v[11:12], -v[99:100]
	ds_read2_b64 v[99:102], v125 offset0:60 offset1:61
	s_waitcnt lgkmcnt(0)
	v_mul_f64 v[43:44], v[101:102], v[97:98]
	v_fma_f64 v[43:44], v[99:100], v[41:42], -v[43:44]
	v_mul_f64 v[99:100], v[99:100], v[97:98]
	v_add_f64 v[5:6], v[5:6], -v[43:44]
	v_fma_f64 v[99:100], v[101:102], v[41:42], v[99:100]
	v_add_f64 v[7:8], v[7:8], -v[99:100]
	ds_read2_b64 v[99:102], v125 offset0:62 offset1:63
	s_waitcnt lgkmcnt(0)
	v_mul_f64 v[43:44], v[101:102], v[97:98]
	v_fma_f64 v[43:44], v[99:100], v[41:42], -v[43:44]
	v_mul_f64 v[99:100], v[99:100], v[97:98]
	v_add_f64 v[1:2], v[1:2], -v[43:44]
	v_fma_f64 v[99:100], v[101:102], v[41:42], v[99:100]
	v_add_f64 v[3:4], v[3:4], -v[99:100]
	ds_read2_b64 v[99:102], v125 offset0:64 offset1:65
	s_waitcnt lgkmcnt(0)
	v_mul_f64 v[43:44], v[101:102], v[97:98]
	v_fma_f64 v[43:44], v[99:100], v[41:42], -v[43:44]
	v_mul_f64 v[99:100], v[99:100], v[97:98]
	v_add_f64 v[113:114], v[113:114], -v[43:44]
	v_fma_f64 v[99:100], v[101:102], v[41:42], v[99:100]
	v_mov_b32_e32 v43, v97
	v_mov_b32_e32 v44, v98
	v_add_f64 v[115:116], v[115:116], -v[99:100]
.LBB65_199:
	s_or_b64 exec, exec, s[2:3]
	v_cmp_eq_u32_e32 vcc, 22, v0
	s_waitcnt vmcnt(0)
	s_barrier
	s_and_saveexec_b64 s[4:5], vcc
	s_cbranch_execz .LBB65_206
; %bb.200:
	ds_write2_b64 v127, v[37:38], v[39:40] offset1:1
	ds_write2_b64 v125, v[33:34], v[35:36] offset0:46 offset1:47
	ds_write2_b64 v125, v[29:30], v[31:32] offset0:48 offset1:49
	;; [unrolled: 1-line block ×10, first 2 shown]
	ds_read2_b64 v[97:100], v127 offset1:1
	s_waitcnt lgkmcnt(0)
	v_cmp_neq_f64_e32 vcc, 0, v[97:98]
	v_cmp_neq_f64_e64 s[2:3], 0, v[99:100]
	s_or_b64 s[2:3], vcc, s[2:3]
	s_and_b64 exec, exec, s[2:3]
	s_cbranch_execz .LBB65_206
; %bb.201:
	v_cmp_ngt_f64_e64 s[2:3], |v[97:98]|, |v[99:100]|
                                        ; implicit-def: $vgpr101_vgpr102
	s_and_saveexec_b64 s[6:7], s[2:3]
	s_xor_b64 s[2:3], exec, s[6:7]
                                        ; implicit-def: $vgpr103_vgpr104
	s_cbranch_execz .LBB65_203
; %bb.202:
	v_div_scale_f64 v[101:102], s[6:7], v[99:100], v[99:100], v[97:98]
	v_rcp_f64_e32 v[103:104], v[101:102]
	v_fma_f64 v[105:106], -v[101:102], v[103:104], 1.0
	v_fma_f64 v[103:104], v[103:104], v[105:106], v[103:104]
	v_div_scale_f64 v[105:106], vcc, v[97:98], v[99:100], v[97:98]
	v_fma_f64 v[107:108], -v[101:102], v[103:104], 1.0
	v_fma_f64 v[103:104], v[103:104], v[107:108], v[103:104]
	v_mul_f64 v[107:108], v[105:106], v[103:104]
	v_fma_f64 v[101:102], -v[101:102], v[107:108], v[105:106]
	v_div_fmas_f64 v[101:102], v[101:102], v[103:104], v[107:108]
	v_div_fixup_f64 v[101:102], v[101:102], v[99:100], v[97:98]
	v_fma_f64 v[97:98], v[97:98], v[101:102], v[99:100]
	v_div_scale_f64 v[99:100], s[6:7], v[97:98], v[97:98], 1.0
	v_div_scale_f64 v[107:108], vcc, 1.0, v[97:98], 1.0
	v_rcp_f64_e32 v[103:104], v[99:100]
	v_fma_f64 v[105:106], -v[99:100], v[103:104], 1.0
	v_fma_f64 v[103:104], v[103:104], v[105:106], v[103:104]
	v_fma_f64 v[105:106], -v[99:100], v[103:104], 1.0
	v_fma_f64 v[103:104], v[103:104], v[105:106], v[103:104]
	v_mul_f64 v[105:106], v[107:108], v[103:104]
	v_fma_f64 v[99:100], -v[99:100], v[105:106], v[107:108]
	v_div_fmas_f64 v[99:100], v[99:100], v[103:104], v[105:106]
	v_div_fixup_f64 v[103:104], v[99:100], v[97:98], 1.0
                                        ; implicit-def: $vgpr97_vgpr98
	v_mul_f64 v[101:102], v[101:102], v[103:104]
	v_xor_b32_e32 v104, 0x80000000, v104
.LBB65_203:
	s_andn2_saveexec_b64 s[2:3], s[2:3]
	s_cbranch_execz .LBB65_205
; %bb.204:
	v_div_scale_f64 v[101:102], s[6:7], v[97:98], v[97:98], v[99:100]
	v_rcp_f64_e32 v[103:104], v[101:102]
	v_fma_f64 v[105:106], -v[101:102], v[103:104], 1.0
	v_fma_f64 v[103:104], v[103:104], v[105:106], v[103:104]
	v_div_scale_f64 v[105:106], vcc, v[99:100], v[97:98], v[99:100]
	v_fma_f64 v[107:108], -v[101:102], v[103:104], 1.0
	v_fma_f64 v[103:104], v[103:104], v[107:108], v[103:104]
	v_mul_f64 v[107:108], v[105:106], v[103:104]
	v_fma_f64 v[101:102], -v[101:102], v[107:108], v[105:106]
	v_div_fmas_f64 v[101:102], v[101:102], v[103:104], v[107:108]
	v_div_fixup_f64 v[103:104], v[101:102], v[97:98], v[99:100]
	v_fma_f64 v[97:98], v[99:100], v[103:104], v[97:98]
	v_div_scale_f64 v[99:100], s[6:7], v[97:98], v[97:98], 1.0
	v_div_scale_f64 v[107:108], vcc, 1.0, v[97:98], 1.0
	v_rcp_f64_e32 v[101:102], v[99:100]
	v_fma_f64 v[105:106], -v[99:100], v[101:102], 1.0
	v_fma_f64 v[101:102], v[101:102], v[105:106], v[101:102]
	v_fma_f64 v[105:106], -v[99:100], v[101:102], 1.0
	v_fma_f64 v[101:102], v[101:102], v[105:106], v[101:102]
	v_mul_f64 v[105:106], v[107:108], v[101:102]
	v_fma_f64 v[99:100], -v[99:100], v[105:106], v[107:108]
	v_div_fmas_f64 v[99:100], v[99:100], v[101:102], v[105:106]
	v_div_fixup_f64 v[101:102], v[99:100], v[97:98], 1.0
	v_mul_f64 v[103:104], v[103:104], -v[101:102]
.LBB65_205:
	s_or_b64 exec, exec, s[2:3]
	ds_write2_b64 v127, v[101:102], v[103:104] offset1:1
.LBB65_206:
	s_or_b64 exec, exec, s[4:5]
	s_waitcnt lgkmcnt(0)
	s_barrier
	ds_read2_b64 v[87:90], v127 offset1:1
	v_cmp_lt_u32_e32 vcc, 22, v0
	s_waitcnt lgkmcnt(0)
	buffer_store_dword v87, off, s[20:23], 0 offset:728 ; 4-byte Folded Spill
	s_nop 0
	buffer_store_dword v88, off, s[20:23], 0 offset:732 ; 4-byte Folded Spill
	buffer_store_dword v89, off, s[20:23], 0 offset:736 ; 4-byte Folded Spill
	;; [unrolled: 1-line block ×3, first 2 shown]
	s_and_saveexec_b64 s[2:3], vcc
	s_cbranch_execz .LBB65_208
; %bb.207:
	buffer_load_dword v87, off, s[20:23], 0 offset:728 ; 4-byte Folded Reload
	buffer_load_dword v88, off, s[20:23], 0 offset:732 ; 4-byte Folded Reload
	;; [unrolled: 1-line block ×4, first 2 shown]
	ds_read2_b64 v[99:102], v125 offset0:46 offset1:47
	s_waitcnt vmcnt(2)
	v_mul_f64 v[97:98], v[87:88], v[39:40]
	s_waitcnt vmcnt(0)
	v_mul_f64 v[39:40], v[89:90], v[39:40]
	v_fma_f64 v[97:98], v[89:90], v[37:38], v[97:98]
	v_fma_f64 v[37:38], v[87:88], v[37:38], -v[39:40]
	s_waitcnt lgkmcnt(0)
	v_mul_f64 v[39:40], v[101:102], v[97:98]
	v_fma_f64 v[39:40], v[99:100], v[37:38], -v[39:40]
	v_mul_f64 v[99:100], v[99:100], v[97:98]
	v_add_f64 v[33:34], v[33:34], -v[39:40]
	v_fma_f64 v[99:100], v[101:102], v[37:38], v[99:100]
	v_add_f64 v[35:36], v[35:36], -v[99:100]
	ds_read2_b64 v[99:102], v125 offset0:48 offset1:49
	s_waitcnt lgkmcnt(0)
	v_mul_f64 v[39:40], v[101:102], v[97:98]
	v_fma_f64 v[39:40], v[99:100], v[37:38], -v[39:40]
	v_mul_f64 v[99:100], v[99:100], v[97:98]
	v_add_f64 v[29:30], v[29:30], -v[39:40]
	v_fma_f64 v[99:100], v[101:102], v[37:38], v[99:100]
	v_add_f64 v[31:32], v[31:32], -v[99:100]
	ds_read2_b64 v[99:102], v125 offset0:50 offset1:51
	;; [unrolled: 8-line block ×9, first 2 shown]
	s_waitcnt lgkmcnt(0)
	v_mul_f64 v[39:40], v[101:102], v[97:98]
	v_fma_f64 v[39:40], v[99:100], v[37:38], -v[39:40]
	v_mul_f64 v[99:100], v[99:100], v[97:98]
	v_add_f64 v[113:114], v[113:114], -v[39:40]
	v_fma_f64 v[99:100], v[101:102], v[37:38], v[99:100]
	v_mov_b32_e32 v39, v97
	v_mov_b32_e32 v40, v98
	v_add_f64 v[115:116], v[115:116], -v[99:100]
.LBB65_208:
	s_or_b64 exec, exec, s[2:3]
	v_cmp_eq_u32_e32 vcc, 23, v0
	s_waitcnt vmcnt(0)
	s_barrier
	s_and_saveexec_b64 s[4:5], vcc
	s_cbranch_execz .LBB65_215
; %bb.209:
	ds_write2_b64 v127, v[33:34], v[35:36] offset1:1
	ds_write2_b64 v125, v[29:30], v[31:32] offset0:48 offset1:49
	ds_write2_b64 v125, v[25:26], v[27:28] offset0:50 offset1:51
	;; [unrolled: 1-line block ×9, first 2 shown]
	ds_read2_b64 v[97:100], v127 offset1:1
	s_waitcnt lgkmcnt(0)
	v_cmp_neq_f64_e32 vcc, 0, v[97:98]
	v_cmp_neq_f64_e64 s[2:3], 0, v[99:100]
	s_or_b64 s[2:3], vcc, s[2:3]
	s_and_b64 exec, exec, s[2:3]
	s_cbranch_execz .LBB65_215
; %bb.210:
	v_cmp_ngt_f64_e64 s[2:3], |v[97:98]|, |v[99:100]|
                                        ; implicit-def: $vgpr101_vgpr102
	s_and_saveexec_b64 s[6:7], s[2:3]
	s_xor_b64 s[2:3], exec, s[6:7]
                                        ; implicit-def: $vgpr103_vgpr104
	s_cbranch_execz .LBB65_212
; %bb.211:
	v_div_scale_f64 v[101:102], s[6:7], v[99:100], v[99:100], v[97:98]
	v_rcp_f64_e32 v[103:104], v[101:102]
	v_fma_f64 v[105:106], -v[101:102], v[103:104], 1.0
	v_fma_f64 v[103:104], v[103:104], v[105:106], v[103:104]
	v_div_scale_f64 v[105:106], vcc, v[97:98], v[99:100], v[97:98]
	v_fma_f64 v[107:108], -v[101:102], v[103:104], 1.0
	v_fma_f64 v[103:104], v[103:104], v[107:108], v[103:104]
	v_mul_f64 v[107:108], v[105:106], v[103:104]
	v_fma_f64 v[101:102], -v[101:102], v[107:108], v[105:106]
	v_div_fmas_f64 v[101:102], v[101:102], v[103:104], v[107:108]
	v_div_fixup_f64 v[101:102], v[101:102], v[99:100], v[97:98]
	v_fma_f64 v[97:98], v[97:98], v[101:102], v[99:100]
	v_div_scale_f64 v[99:100], s[6:7], v[97:98], v[97:98], 1.0
	v_div_scale_f64 v[107:108], vcc, 1.0, v[97:98], 1.0
	v_rcp_f64_e32 v[103:104], v[99:100]
	v_fma_f64 v[105:106], -v[99:100], v[103:104], 1.0
	v_fma_f64 v[103:104], v[103:104], v[105:106], v[103:104]
	v_fma_f64 v[105:106], -v[99:100], v[103:104], 1.0
	v_fma_f64 v[103:104], v[103:104], v[105:106], v[103:104]
	v_mul_f64 v[105:106], v[107:108], v[103:104]
	v_fma_f64 v[99:100], -v[99:100], v[105:106], v[107:108]
	v_div_fmas_f64 v[99:100], v[99:100], v[103:104], v[105:106]
	v_div_fixup_f64 v[103:104], v[99:100], v[97:98], 1.0
                                        ; implicit-def: $vgpr97_vgpr98
	v_mul_f64 v[101:102], v[101:102], v[103:104]
	v_xor_b32_e32 v104, 0x80000000, v104
.LBB65_212:
	s_andn2_saveexec_b64 s[2:3], s[2:3]
	s_cbranch_execz .LBB65_214
; %bb.213:
	v_div_scale_f64 v[101:102], s[6:7], v[97:98], v[97:98], v[99:100]
	v_rcp_f64_e32 v[103:104], v[101:102]
	v_fma_f64 v[105:106], -v[101:102], v[103:104], 1.0
	v_fma_f64 v[103:104], v[103:104], v[105:106], v[103:104]
	v_div_scale_f64 v[105:106], vcc, v[99:100], v[97:98], v[99:100]
	v_fma_f64 v[107:108], -v[101:102], v[103:104], 1.0
	v_fma_f64 v[103:104], v[103:104], v[107:108], v[103:104]
	v_mul_f64 v[107:108], v[105:106], v[103:104]
	v_fma_f64 v[101:102], -v[101:102], v[107:108], v[105:106]
	v_div_fmas_f64 v[101:102], v[101:102], v[103:104], v[107:108]
	v_div_fixup_f64 v[103:104], v[101:102], v[97:98], v[99:100]
	v_fma_f64 v[97:98], v[99:100], v[103:104], v[97:98]
	v_div_scale_f64 v[99:100], s[6:7], v[97:98], v[97:98], 1.0
	v_div_scale_f64 v[107:108], vcc, 1.0, v[97:98], 1.0
	v_rcp_f64_e32 v[101:102], v[99:100]
	v_fma_f64 v[105:106], -v[99:100], v[101:102], 1.0
	v_fma_f64 v[101:102], v[101:102], v[105:106], v[101:102]
	v_fma_f64 v[105:106], -v[99:100], v[101:102], 1.0
	v_fma_f64 v[101:102], v[101:102], v[105:106], v[101:102]
	v_mul_f64 v[105:106], v[107:108], v[101:102]
	v_fma_f64 v[99:100], -v[99:100], v[105:106], v[107:108]
	v_div_fmas_f64 v[99:100], v[99:100], v[101:102], v[105:106]
	v_div_fixup_f64 v[101:102], v[99:100], v[97:98], 1.0
	v_mul_f64 v[103:104], v[103:104], -v[101:102]
.LBB65_214:
	s_or_b64 exec, exec, s[2:3]
	ds_write2_b64 v127, v[101:102], v[103:104] offset1:1
.LBB65_215:
	s_or_b64 exec, exec, s[4:5]
	s_waitcnt lgkmcnt(0)
	s_barrier
	ds_read2_b64 v[87:90], v127 offset1:1
	v_cmp_lt_u32_e32 vcc, 23, v0
	s_waitcnt lgkmcnt(0)
	buffer_store_dword v87, off, s[20:23], 0 offset:744 ; 4-byte Folded Spill
	s_nop 0
	buffer_store_dword v88, off, s[20:23], 0 offset:748 ; 4-byte Folded Spill
	buffer_store_dword v89, off, s[20:23], 0 offset:752 ; 4-byte Folded Spill
	;; [unrolled: 1-line block ×3, first 2 shown]
	s_and_saveexec_b64 s[2:3], vcc
	s_cbranch_execz .LBB65_217
; %bb.216:
	buffer_load_dword v87, off, s[20:23], 0 offset:744 ; 4-byte Folded Reload
	buffer_load_dword v88, off, s[20:23], 0 offset:748 ; 4-byte Folded Reload
	buffer_load_dword v89, off, s[20:23], 0 offset:752 ; 4-byte Folded Reload
	buffer_load_dword v90, off, s[20:23], 0 offset:756 ; 4-byte Folded Reload
	ds_read2_b64 v[99:102], v125 offset0:48 offset1:49
	s_waitcnt vmcnt(2)
	v_mul_f64 v[97:98], v[87:88], v[35:36]
	s_waitcnt vmcnt(0)
	v_mul_f64 v[35:36], v[89:90], v[35:36]
	v_fma_f64 v[97:98], v[89:90], v[33:34], v[97:98]
	v_fma_f64 v[33:34], v[87:88], v[33:34], -v[35:36]
	s_waitcnt lgkmcnt(0)
	v_mul_f64 v[35:36], v[101:102], v[97:98]
	v_fma_f64 v[35:36], v[99:100], v[33:34], -v[35:36]
	v_mul_f64 v[99:100], v[99:100], v[97:98]
	v_add_f64 v[29:30], v[29:30], -v[35:36]
	v_fma_f64 v[99:100], v[101:102], v[33:34], v[99:100]
	v_add_f64 v[31:32], v[31:32], -v[99:100]
	ds_read2_b64 v[99:102], v125 offset0:50 offset1:51
	s_waitcnt lgkmcnt(0)
	v_mul_f64 v[35:36], v[101:102], v[97:98]
	v_fma_f64 v[35:36], v[99:100], v[33:34], -v[35:36]
	v_mul_f64 v[99:100], v[99:100], v[97:98]
	v_add_f64 v[25:26], v[25:26], -v[35:36]
	v_fma_f64 v[99:100], v[101:102], v[33:34], v[99:100]
	v_add_f64 v[27:28], v[27:28], -v[99:100]
	ds_read2_b64 v[99:102], v125 offset0:52 offset1:53
	s_waitcnt lgkmcnt(0)
	v_mul_f64 v[35:36], v[101:102], v[97:98]
	v_fma_f64 v[35:36], v[99:100], v[33:34], -v[35:36]
	v_mul_f64 v[99:100], v[99:100], v[97:98]
	v_add_f64 v[21:22], v[21:22], -v[35:36]
	v_fma_f64 v[99:100], v[101:102], v[33:34], v[99:100]
	v_add_f64 v[23:24], v[23:24], -v[99:100]
	ds_read2_b64 v[99:102], v125 offset0:54 offset1:55
	s_waitcnt lgkmcnt(0)
	v_mul_f64 v[35:36], v[101:102], v[97:98]
	v_fma_f64 v[35:36], v[99:100], v[33:34], -v[35:36]
	v_mul_f64 v[99:100], v[99:100], v[97:98]
	v_add_f64 v[17:18], v[17:18], -v[35:36]
	v_fma_f64 v[99:100], v[101:102], v[33:34], v[99:100]
	v_add_f64 v[19:20], v[19:20], -v[99:100]
	ds_read2_b64 v[99:102], v125 offset0:56 offset1:57
	s_waitcnt lgkmcnt(0)
	v_mul_f64 v[35:36], v[101:102], v[97:98]
	v_fma_f64 v[35:36], v[99:100], v[33:34], -v[35:36]
	v_mul_f64 v[99:100], v[99:100], v[97:98]
	v_add_f64 v[13:14], v[13:14], -v[35:36]
	v_fma_f64 v[99:100], v[101:102], v[33:34], v[99:100]
	v_add_f64 v[15:16], v[15:16], -v[99:100]
	ds_read2_b64 v[99:102], v125 offset0:58 offset1:59
	s_waitcnt lgkmcnt(0)
	v_mul_f64 v[35:36], v[101:102], v[97:98]
	v_fma_f64 v[35:36], v[99:100], v[33:34], -v[35:36]
	v_mul_f64 v[99:100], v[99:100], v[97:98]
	v_add_f64 v[9:10], v[9:10], -v[35:36]
	v_fma_f64 v[99:100], v[101:102], v[33:34], v[99:100]
	v_add_f64 v[11:12], v[11:12], -v[99:100]
	ds_read2_b64 v[99:102], v125 offset0:60 offset1:61
	s_waitcnt lgkmcnt(0)
	v_mul_f64 v[35:36], v[101:102], v[97:98]
	v_fma_f64 v[35:36], v[99:100], v[33:34], -v[35:36]
	v_mul_f64 v[99:100], v[99:100], v[97:98]
	v_add_f64 v[5:6], v[5:6], -v[35:36]
	v_fma_f64 v[99:100], v[101:102], v[33:34], v[99:100]
	v_add_f64 v[7:8], v[7:8], -v[99:100]
	ds_read2_b64 v[99:102], v125 offset0:62 offset1:63
	s_waitcnt lgkmcnt(0)
	v_mul_f64 v[35:36], v[101:102], v[97:98]
	v_fma_f64 v[35:36], v[99:100], v[33:34], -v[35:36]
	v_mul_f64 v[99:100], v[99:100], v[97:98]
	v_add_f64 v[1:2], v[1:2], -v[35:36]
	v_fma_f64 v[99:100], v[101:102], v[33:34], v[99:100]
	v_add_f64 v[3:4], v[3:4], -v[99:100]
	ds_read2_b64 v[99:102], v125 offset0:64 offset1:65
	s_waitcnt lgkmcnt(0)
	v_mul_f64 v[35:36], v[101:102], v[97:98]
	v_fma_f64 v[35:36], v[99:100], v[33:34], -v[35:36]
	v_mul_f64 v[99:100], v[99:100], v[97:98]
	v_add_f64 v[113:114], v[113:114], -v[35:36]
	v_fma_f64 v[99:100], v[101:102], v[33:34], v[99:100]
	v_mov_b32_e32 v35, v97
	v_mov_b32_e32 v36, v98
	v_add_f64 v[115:116], v[115:116], -v[99:100]
.LBB65_217:
	s_or_b64 exec, exec, s[2:3]
	v_cmp_eq_u32_e32 vcc, 24, v0
	s_waitcnt vmcnt(0)
	s_barrier
	s_and_saveexec_b64 s[4:5], vcc
	s_cbranch_execz .LBB65_224
; %bb.218:
	ds_write2_b64 v127, v[29:30], v[31:32] offset1:1
	ds_write2_b64 v125, v[25:26], v[27:28] offset0:50 offset1:51
	ds_write2_b64 v125, v[21:22], v[23:24] offset0:52 offset1:53
	;; [unrolled: 1-line block ×8, first 2 shown]
	ds_read2_b64 v[97:100], v127 offset1:1
	s_waitcnt lgkmcnt(0)
	v_cmp_neq_f64_e32 vcc, 0, v[97:98]
	v_cmp_neq_f64_e64 s[2:3], 0, v[99:100]
	s_or_b64 s[2:3], vcc, s[2:3]
	s_and_b64 exec, exec, s[2:3]
	s_cbranch_execz .LBB65_224
; %bb.219:
	v_cmp_ngt_f64_e64 s[2:3], |v[97:98]|, |v[99:100]|
                                        ; implicit-def: $vgpr101_vgpr102
	s_and_saveexec_b64 s[6:7], s[2:3]
	s_xor_b64 s[2:3], exec, s[6:7]
                                        ; implicit-def: $vgpr103_vgpr104
	s_cbranch_execz .LBB65_221
; %bb.220:
	v_div_scale_f64 v[101:102], s[6:7], v[99:100], v[99:100], v[97:98]
	v_rcp_f64_e32 v[103:104], v[101:102]
	v_fma_f64 v[105:106], -v[101:102], v[103:104], 1.0
	v_fma_f64 v[103:104], v[103:104], v[105:106], v[103:104]
	v_div_scale_f64 v[105:106], vcc, v[97:98], v[99:100], v[97:98]
	v_fma_f64 v[107:108], -v[101:102], v[103:104], 1.0
	v_fma_f64 v[103:104], v[103:104], v[107:108], v[103:104]
	v_mul_f64 v[107:108], v[105:106], v[103:104]
	v_fma_f64 v[101:102], -v[101:102], v[107:108], v[105:106]
	v_div_fmas_f64 v[101:102], v[101:102], v[103:104], v[107:108]
	v_div_fixup_f64 v[101:102], v[101:102], v[99:100], v[97:98]
	v_fma_f64 v[97:98], v[97:98], v[101:102], v[99:100]
	v_div_scale_f64 v[99:100], s[6:7], v[97:98], v[97:98], 1.0
	v_div_scale_f64 v[107:108], vcc, 1.0, v[97:98], 1.0
	v_rcp_f64_e32 v[103:104], v[99:100]
	v_fma_f64 v[105:106], -v[99:100], v[103:104], 1.0
	v_fma_f64 v[103:104], v[103:104], v[105:106], v[103:104]
	v_fma_f64 v[105:106], -v[99:100], v[103:104], 1.0
	v_fma_f64 v[103:104], v[103:104], v[105:106], v[103:104]
	v_mul_f64 v[105:106], v[107:108], v[103:104]
	v_fma_f64 v[99:100], -v[99:100], v[105:106], v[107:108]
	v_div_fmas_f64 v[99:100], v[99:100], v[103:104], v[105:106]
	v_div_fixup_f64 v[103:104], v[99:100], v[97:98], 1.0
                                        ; implicit-def: $vgpr97_vgpr98
	v_mul_f64 v[101:102], v[101:102], v[103:104]
	v_xor_b32_e32 v104, 0x80000000, v104
.LBB65_221:
	s_andn2_saveexec_b64 s[2:3], s[2:3]
	s_cbranch_execz .LBB65_223
; %bb.222:
	v_div_scale_f64 v[101:102], s[6:7], v[97:98], v[97:98], v[99:100]
	v_rcp_f64_e32 v[103:104], v[101:102]
	v_fma_f64 v[105:106], -v[101:102], v[103:104], 1.0
	v_fma_f64 v[103:104], v[103:104], v[105:106], v[103:104]
	v_div_scale_f64 v[105:106], vcc, v[99:100], v[97:98], v[99:100]
	v_fma_f64 v[107:108], -v[101:102], v[103:104], 1.0
	v_fma_f64 v[103:104], v[103:104], v[107:108], v[103:104]
	v_mul_f64 v[107:108], v[105:106], v[103:104]
	v_fma_f64 v[101:102], -v[101:102], v[107:108], v[105:106]
	v_div_fmas_f64 v[101:102], v[101:102], v[103:104], v[107:108]
	v_div_fixup_f64 v[103:104], v[101:102], v[97:98], v[99:100]
	v_fma_f64 v[97:98], v[99:100], v[103:104], v[97:98]
	v_div_scale_f64 v[99:100], s[6:7], v[97:98], v[97:98], 1.0
	v_div_scale_f64 v[107:108], vcc, 1.0, v[97:98], 1.0
	v_rcp_f64_e32 v[101:102], v[99:100]
	v_fma_f64 v[105:106], -v[99:100], v[101:102], 1.0
	v_fma_f64 v[101:102], v[101:102], v[105:106], v[101:102]
	v_fma_f64 v[105:106], -v[99:100], v[101:102], 1.0
	v_fma_f64 v[101:102], v[101:102], v[105:106], v[101:102]
	v_mul_f64 v[105:106], v[107:108], v[101:102]
	v_fma_f64 v[99:100], -v[99:100], v[105:106], v[107:108]
	v_div_fmas_f64 v[99:100], v[99:100], v[101:102], v[105:106]
	v_div_fixup_f64 v[101:102], v[99:100], v[97:98], 1.0
	v_mul_f64 v[103:104], v[103:104], -v[101:102]
.LBB65_223:
	s_or_b64 exec, exec, s[2:3]
	ds_write2_b64 v127, v[101:102], v[103:104] offset1:1
.LBB65_224:
	s_or_b64 exec, exec, s[4:5]
	s_waitcnt lgkmcnt(0)
	s_barrier
	ds_read2_b64 v[87:90], v127 offset1:1
	v_cmp_lt_u32_e32 vcc, 24, v0
	s_waitcnt lgkmcnt(0)
	buffer_store_dword v87, off, s[20:23], 0 offset:760 ; 4-byte Folded Spill
	s_nop 0
	buffer_store_dword v88, off, s[20:23], 0 offset:764 ; 4-byte Folded Spill
	buffer_store_dword v89, off, s[20:23], 0 offset:768 ; 4-byte Folded Spill
	;; [unrolled: 1-line block ×3, first 2 shown]
	s_and_saveexec_b64 s[2:3], vcc
	s_cbranch_execz .LBB65_226
; %bb.225:
	buffer_load_dword v87, off, s[20:23], 0 offset:760 ; 4-byte Folded Reload
	buffer_load_dword v88, off, s[20:23], 0 offset:764 ; 4-byte Folded Reload
	buffer_load_dword v89, off, s[20:23], 0 offset:768 ; 4-byte Folded Reload
	buffer_load_dword v90, off, s[20:23], 0 offset:772 ; 4-byte Folded Reload
	ds_read2_b64 v[99:102], v125 offset0:50 offset1:51
	s_waitcnt vmcnt(2)
	v_mul_f64 v[97:98], v[87:88], v[31:32]
	s_waitcnt vmcnt(0)
	v_mul_f64 v[31:32], v[89:90], v[31:32]
	v_fma_f64 v[97:98], v[89:90], v[29:30], v[97:98]
	v_fma_f64 v[29:30], v[87:88], v[29:30], -v[31:32]
	s_waitcnt lgkmcnt(0)
	v_mul_f64 v[31:32], v[101:102], v[97:98]
	v_fma_f64 v[31:32], v[99:100], v[29:30], -v[31:32]
	v_mul_f64 v[99:100], v[99:100], v[97:98]
	v_add_f64 v[25:26], v[25:26], -v[31:32]
	v_fma_f64 v[99:100], v[101:102], v[29:30], v[99:100]
	v_add_f64 v[27:28], v[27:28], -v[99:100]
	ds_read2_b64 v[99:102], v125 offset0:52 offset1:53
	s_waitcnt lgkmcnt(0)
	v_mul_f64 v[31:32], v[101:102], v[97:98]
	v_fma_f64 v[31:32], v[99:100], v[29:30], -v[31:32]
	v_mul_f64 v[99:100], v[99:100], v[97:98]
	v_add_f64 v[21:22], v[21:22], -v[31:32]
	v_fma_f64 v[99:100], v[101:102], v[29:30], v[99:100]
	v_add_f64 v[23:24], v[23:24], -v[99:100]
	ds_read2_b64 v[99:102], v125 offset0:54 offset1:55
	;; [unrolled: 8-line block ×7, first 2 shown]
	s_waitcnt lgkmcnt(0)
	v_mul_f64 v[31:32], v[101:102], v[97:98]
	v_fma_f64 v[31:32], v[99:100], v[29:30], -v[31:32]
	v_mul_f64 v[99:100], v[99:100], v[97:98]
	v_add_f64 v[113:114], v[113:114], -v[31:32]
	v_fma_f64 v[99:100], v[101:102], v[29:30], v[99:100]
	v_mov_b32_e32 v31, v97
	v_mov_b32_e32 v32, v98
	v_add_f64 v[115:116], v[115:116], -v[99:100]
.LBB65_226:
	s_or_b64 exec, exec, s[2:3]
	v_cmp_eq_u32_e32 vcc, 25, v0
	s_waitcnt vmcnt(0)
	s_barrier
	s_and_saveexec_b64 s[4:5], vcc
	s_cbranch_execz .LBB65_233
; %bb.227:
	ds_write2_b64 v127, v[25:26], v[27:28] offset1:1
	ds_write2_b64 v125, v[21:22], v[23:24] offset0:52 offset1:53
	ds_write2_b64 v125, v[17:18], v[19:20] offset0:54 offset1:55
	;; [unrolled: 1-line block ×7, first 2 shown]
	ds_read2_b64 v[97:100], v127 offset1:1
	s_waitcnt lgkmcnt(0)
	v_cmp_neq_f64_e32 vcc, 0, v[97:98]
	v_cmp_neq_f64_e64 s[2:3], 0, v[99:100]
	s_or_b64 s[2:3], vcc, s[2:3]
	s_and_b64 exec, exec, s[2:3]
	s_cbranch_execz .LBB65_233
; %bb.228:
	v_cmp_ngt_f64_e64 s[2:3], |v[97:98]|, |v[99:100]|
                                        ; implicit-def: $vgpr101_vgpr102
	s_and_saveexec_b64 s[6:7], s[2:3]
	s_xor_b64 s[2:3], exec, s[6:7]
                                        ; implicit-def: $vgpr103_vgpr104
	s_cbranch_execz .LBB65_230
; %bb.229:
	v_div_scale_f64 v[101:102], s[6:7], v[99:100], v[99:100], v[97:98]
	v_rcp_f64_e32 v[103:104], v[101:102]
	v_fma_f64 v[105:106], -v[101:102], v[103:104], 1.0
	v_fma_f64 v[103:104], v[103:104], v[105:106], v[103:104]
	v_div_scale_f64 v[105:106], vcc, v[97:98], v[99:100], v[97:98]
	v_fma_f64 v[107:108], -v[101:102], v[103:104], 1.0
	v_fma_f64 v[103:104], v[103:104], v[107:108], v[103:104]
	v_mul_f64 v[107:108], v[105:106], v[103:104]
	v_fma_f64 v[101:102], -v[101:102], v[107:108], v[105:106]
	v_div_fmas_f64 v[101:102], v[101:102], v[103:104], v[107:108]
	v_div_fixup_f64 v[101:102], v[101:102], v[99:100], v[97:98]
	v_fma_f64 v[97:98], v[97:98], v[101:102], v[99:100]
	v_div_scale_f64 v[99:100], s[6:7], v[97:98], v[97:98], 1.0
	v_div_scale_f64 v[107:108], vcc, 1.0, v[97:98], 1.0
	v_rcp_f64_e32 v[103:104], v[99:100]
	v_fma_f64 v[105:106], -v[99:100], v[103:104], 1.0
	v_fma_f64 v[103:104], v[103:104], v[105:106], v[103:104]
	v_fma_f64 v[105:106], -v[99:100], v[103:104], 1.0
	v_fma_f64 v[103:104], v[103:104], v[105:106], v[103:104]
	v_mul_f64 v[105:106], v[107:108], v[103:104]
	v_fma_f64 v[99:100], -v[99:100], v[105:106], v[107:108]
	v_div_fmas_f64 v[99:100], v[99:100], v[103:104], v[105:106]
	v_div_fixup_f64 v[103:104], v[99:100], v[97:98], 1.0
                                        ; implicit-def: $vgpr97_vgpr98
	v_mul_f64 v[101:102], v[101:102], v[103:104]
	v_xor_b32_e32 v104, 0x80000000, v104
.LBB65_230:
	s_andn2_saveexec_b64 s[2:3], s[2:3]
	s_cbranch_execz .LBB65_232
; %bb.231:
	v_div_scale_f64 v[101:102], s[6:7], v[97:98], v[97:98], v[99:100]
	v_rcp_f64_e32 v[103:104], v[101:102]
	v_fma_f64 v[105:106], -v[101:102], v[103:104], 1.0
	v_fma_f64 v[103:104], v[103:104], v[105:106], v[103:104]
	v_div_scale_f64 v[105:106], vcc, v[99:100], v[97:98], v[99:100]
	v_fma_f64 v[107:108], -v[101:102], v[103:104], 1.0
	v_fma_f64 v[103:104], v[103:104], v[107:108], v[103:104]
	v_mul_f64 v[107:108], v[105:106], v[103:104]
	v_fma_f64 v[101:102], -v[101:102], v[107:108], v[105:106]
	v_div_fmas_f64 v[101:102], v[101:102], v[103:104], v[107:108]
	v_div_fixup_f64 v[103:104], v[101:102], v[97:98], v[99:100]
	v_fma_f64 v[97:98], v[99:100], v[103:104], v[97:98]
	v_div_scale_f64 v[99:100], s[6:7], v[97:98], v[97:98], 1.0
	v_div_scale_f64 v[107:108], vcc, 1.0, v[97:98], 1.0
	v_rcp_f64_e32 v[101:102], v[99:100]
	v_fma_f64 v[105:106], -v[99:100], v[101:102], 1.0
	v_fma_f64 v[101:102], v[101:102], v[105:106], v[101:102]
	v_fma_f64 v[105:106], -v[99:100], v[101:102], 1.0
	v_fma_f64 v[101:102], v[101:102], v[105:106], v[101:102]
	v_mul_f64 v[105:106], v[107:108], v[101:102]
	v_fma_f64 v[99:100], -v[99:100], v[105:106], v[107:108]
	v_div_fmas_f64 v[99:100], v[99:100], v[101:102], v[105:106]
	v_div_fixup_f64 v[101:102], v[99:100], v[97:98], 1.0
	v_mul_f64 v[103:104], v[103:104], -v[101:102]
.LBB65_232:
	s_or_b64 exec, exec, s[2:3]
	ds_write2_b64 v127, v[101:102], v[103:104] offset1:1
.LBB65_233:
	s_or_b64 exec, exec, s[4:5]
	s_waitcnt lgkmcnt(0)
	s_barrier
	ds_read2_b64 v[87:90], v127 offset1:1
	v_cmp_lt_u32_e32 vcc, 25, v0
	s_waitcnt lgkmcnt(0)
	buffer_store_dword v87, off, s[20:23], 0 offset:776 ; 4-byte Folded Spill
	s_nop 0
	buffer_store_dword v88, off, s[20:23], 0 offset:780 ; 4-byte Folded Spill
	buffer_store_dword v89, off, s[20:23], 0 offset:784 ; 4-byte Folded Spill
	;; [unrolled: 1-line block ×3, first 2 shown]
	s_and_saveexec_b64 s[2:3], vcc
	s_cbranch_execz .LBB65_235
; %bb.234:
	buffer_load_dword v87, off, s[20:23], 0 offset:776 ; 4-byte Folded Reload
	buffer_load_dword v88, off, s[20:23], 0 offset:780 ; 4-byte Folded Reload
	buffer_load_dword v89, off, s[20:23], 0 offset:784 ; 4-byte Folded Reload
	buffer_load_dword v90, off, s[20:23], 0 offset:788 ; 4-byte Folded Reload
	ds_read2_b64 v[99:102], v125 offset0:52 offset1:53
	s_waitcnt vmcnt(2)
	v_mul_f64 v[97:98], v[87:88], v[27:28]
	s_waitcnt vmcnt(0)
	v_mul_f64 v[27:28], v[89:90], v[27:28]
	v_fma_f64 v[97:98], v[89:90], v[25:26], v[97:98]
	v_fma_f64 v[25:26], v[87:88], v[25:26], -v[27:28]
	s_waitcnt lgkmcnt(0)
	v_mul_f64 v[27:28], v[101:102], v[97:98]
	v_fma_f64 v[27:28], v[99:100], v[25:26], -v[27:28]
	v_mul_f64 v[99:100], v[99:100], v[97:98]
	v_add_f64 v[21:22], v[21:22], -v[27:28]
	v_fma_f64 v[99:100], v[101:102], v[25:26], v[99:100]
	v_add_f64 v[23:24], v[23:24], -v[99:100]
	ds_read2_b64 v[99:102], v125 offset0:54 offset1:55
	s_waitcnt lgkmcnt(0)
	v_mul_f64 v[27:28], v[101:102], v[97:98]
	v_fma_f64 v[27:28], v[99:100], v[25:26], -v[27:28]
	v_mul_f64 v[99:100], v[99:100], v[97:98]
	v_add_f64 v[17:18], v[17:18], -v[27:28]
	v_fma_f64 v[99:100], v[101:102], v[25:26], v[99:100]
	v_add_f64 v[19:20], v[19:20], -v[99:100]
	ds_read2_b64 v[99:102], v125 offset0:56 offset1:57
	;; [unrolled: 8-line block ×6, first 2 shown]
	s_waitcnt lgkmcnt(0)
	v_mul_f64 v[27:28], v[101:102], v[97:98]
	v_fma_f64 v[27:28], v[99:100], v[25:26], -v[27:28]
	v_mul_f64 v[99:100], v[99:100], v[97:98]
	v_add_f64 v[113:114], v[113:114], -v[27:28]
	v_fma_f64 v[99:100], v[101:102], v[25:26], v[99:100]
	v_mov_b32_e32 v27, v97
	v_mov_b32_e32 v28, v98
	v_add_f64 v[115:116], v[115:116], -v[99:100]
.LBB65_235:
	s_or_b64 exec, exec, s[2:3]
	v_cmp_eq_u32_e32 vcc, 26, v0
	s_waitcnt vmcnt(0)
	s_barrier
	s_and_saveexec_b64 s[4:5], vcc
	s_cbranch_execz .LBB65_242
; %bb.236:
	ds_write2_b64 v127, v[21:22], v[23:24] offset1:1
	ds_write2_b64 v125, v[17:18], v[19:20] offset0:54 offset1:55
	ds_write2_b64 v125, v[13:14], v[15:16] offset0:56 offset1:57
	;; [unrolled: 1-line block ×6, first 2 shown]
	ds_read2_b64 v[97:100], v127 offset1:1
	s_waitcnt lgkmcnt(0)
	v_cmp_neq_f64_e32 vcc, 0, v[97:98]
	v_cmp_neq_f64_e64 s[2:3], 0, v[99:100]
	s_or_b64 s[2:3], vcc, s[2:3]
	s_and_b64 exec, exec, s[2:3]
	s_cbranch_execz .LBB65_242
; %bb.237:
	v_cmp_ngt_f64_e64 s[2:3], |v[97:98]|, |v[99:100]|
                                        ; implicit-def: $vgpr101_vgpr102
	s_and_saveexec_b64 s[6:7], s[2:3]
	s_xor_b64 s[2:3], exec, s[6:7]
                                        ; implicit-def: $vgpr103_vgpr104
	s_cbranch_execz .LBB65_239
; %bb.238:
	v_div_scale_f64 v[101:102], s[6:7], v[99:100], v[99:100], v[97:98]
	v_rcp_f64_e32 v[103:104], v[101:102]
	v_fma_f64 v[105:106], -v[101:102], v[103:104], 1.0
	v_fma_f64 v[103:104], v[103:104], v[105:106], v[103:104]
	v_div_scale_f64 v[105:106], vcc, v[97:98], v[99:100], v[97:98]
	v_fma_f64 v[107:108], -v[101:102], v[103:104], 1.0
	v_fma_f64 v[103:104], v[103:104], v[107:108], v[103:104]
	v_mul_f64 v[107:108], v[105:106], v[103:104]
	v_fma_f64 v[101:102], -v[101:102], v[107:108], v[105:106]
	v_div_fmas_f64 v[101:102], v[101:102], v[103:104], v[107:108]
	v_div_fixup_f64 v[101:102], v[101:102], v[99:100], v[97:98]
	v_fma_f64 v[97:98], v[97:98], v[101:102], v[99:100]
	v_div_scale_f64 v[99:100], s[6:7], v[97:98], v[97:98], 1.0
	v_div_scale_f64 v[107:108], vcc, 1.0, v[97:98], 1.0
	v_rcp_f64_e32 v[103:104], v[99:100]
	v_fma_f64 v[105:106], -v[99:100], v[103:104], 1.0
	v_fma_f64 v[103:104], v[103:104], v[105:106], v[103:104]
	v_fma_f64 v[105:106], -v[99:100], v[103:104], 1.0
	v_fma_f64 v[103:104], v[103:104], v[105:106], v[103:104]
	v_mul_f64 v[105:106], v[107:108], v[103:104]
	v_fma_f64 v[99:100], -v[99:100], v[105:106], v[107:108]
	v_div_fmas_f64 v[99:100], v[99:100], v[103:104], v[105:106]
	v_div_fixup_f64 v[103:104], v[99:100], v[97:98], 1.0
                                        ; implicit-def: $vgpr97_vgpr98
	v_mul_f64 v[101:102], v[101:102], v[103:104]
	v_xor_b32_e32 v104, 0x80000000, v104
.LBB65_239:
	s_andn2_saveexec_b64 s[2:3], s[2:3]
	s_cbranch_execz .LBB65_241
; %bb.240:
	v_div_scale_f64 v[101:102], s[6:7], v[97:98], v[97:98], v[99:100]
	v_rcp_f64_e32 v[103:104], v[101:102]
	v_fma_f64 v[105:106], -v[101:102], v[103:104], 1.0
	v_fma_f64 v[103:104], v[103:104], v[105:106], v[103:104]
	v_div_scale_f64 v[105:106], vcc, v[99:100], v[97:98], v[99:100]
	v_fma_f64 v[107:108], -v[101:102], v[103:104], 1.0
	v_fma_f64 v[103:104], v[103:104], v[107:108], v[103:104]
	v_mul_f64 v[107:108], v[105:106], v[103:104]
	v_fma_f64 v[101:102], -v[101:102], v[107:108], v[105:106]
	v_div_fmas_f64 v[101:102], v[101:102], v[103:104], v[107:108]
	v_div_fixup_f64 v[103:104], v[101:102], v[97:98], v[99:100]
	v_fma_f64 v[97:98], v[99:100], v[103:104], v[97:98]
	v_div_scale_f64 v[99:100], s[6:7], v[97:98], v[97:98], 1.0
	v_div_scale_f64 v[107:108], vcc, 1.0, v[97:98], 1.0
	v_rcp_f64_e32 v[101:102], v[99:100]
	v_fma_f64 v[105:106], -v[99:100], v[101:102], 1.0
	v_fma_f64 v[101:102], v[101:102], v[105:106], v[101:102]
	v_fma_f64 v[105:106], -v[99:100], v[101:102], 1.0
	v_fma_f64 v[101:102], v[101:102], v[105:106], v[101:102]
	v_mul_f64 v[105:106], v[107:108], v[101:102]
	v_fma_f64 v[99:100], -v[99:100], v[105:106], v[107:108]
	v_div_fmas_f64 v[99:100], v[99:100], v[101:102], v[105:106]
	v_div_fixup_f64 v[101:102], v[99:100], v[97:98], 1.0
	v_mul_f64 v[103:104], v[103:104], -v[101:102]
.LBB65_241:
	s_or_b64 exec, exec, s[2:3]
	ds_write2_b64 v127, v[101:102], v[103:104] offset1:1
.LBB65_242:
	s_or_b64 exec, exec, s[4:5]
	s_waitcnt lgkmcnt(0)
	s_barrier
	ds_read2_b64 v[87:90], v127 offset1:1
	v_cmp_lt_u32_e32 vcc, 26, v0
	s_waitcnt lgkmcnt(0)
	buffer_store_dword v87, off, s[20:23], 0 offset:792 ; 4-byte Folded Spill
	s_nop 0
	buffer_store_dword v88, off, s[20:23], 0 offset:796 ; 4-byte Folded Spill
	buffer_store_dword v89, off, s[20:23], 0 offset:800 ; 4-byte Folded Spill
	buffer_store_dword v90, off, s[20:23], 0 offset:804 ; 4-byte Folded Spill
	s_and_saveexec_b64 s[2:3], vcc
	s_cbranch_execz .LBB65_244
; %bb.243:
	buffer_load_dword v87, off, s[20:23], 0 offset:792 ; 4-byte Folded Reload
	buffer_load_dword v88, off, s[20:23], 0 offset:796 ; 4-byte Folded Reload
	;; [unrolled: 1-line block ×4, first 2 shown]
	ds_read2_b64 v[99:102], v125 offset0:54 offset1:55
	s_waitcnt vmcnt(2)
	v_mul_f64 v[97:98], v[87:88], v[23:24]
	s_waitcnt vmcnt(0)
	v_mul_f64 v[23:24], v[89:90], v[23:24]
	v_fma_f64 v[97:98], v[89:90], v[21:22], v[97:98]
	v_fma_f64 v[21:22], v[87:88], v[21:22], -v[23:24]
	s_waitcnt lgkmcnt(0)
	v_mul_f64 v[23:24], v[101:102], v[97:98]
	v_fma_f64 v[23:24], v[99:100], v[21:22], -v[23:24]
	v_mul_f64 v[99:100], v[99:100], v[97:98]
	v_add_f64 v[17:18], v[17:18], -v[23:24]
	v_fma_f64 v[99:100], v[101:102], v[21:22], v[99:100]
	v_add_f64 v[19:20], v[19:20], -v[99:100]
	ds_read2_b64 v[99:102], v125 offset0:56 offset1:57
	s_waitcnt lgkmcnt(0)
	v_mul_f64 v[23:24], v[101:102], v[97:98]
	v_fma_f64 v[23:24], v[99:100], v[21:22], -v[23:24]
	v_mul_f64 v[99:100], v[99:100], v[97:98]
	v_add_f64 v[13:14], v[13:14], -v[23:24]
	v_fma_f64 v[99:100], v[101:102], v[21:22], v[99:100]
	v_add_f64 v[15:16], v[15:16], -v[99:100]
	ds_read2_b64 v[99:102], v125 offset0:58 offset1:59
	;; [unrolled: 8-line block ×5, first 2 shown]
	s_waitcnt lgkmcnt(0)
	v_mul_f64 v[23:24], v[101:102], v[97:98]
	v_fma_f64 v[23:24], v[99:100], v[21:22], -v[23:24]
	v_mul_f64 v[99:100], v[99:100], v[97:98]
	v_add_f64 v[113:114], v[113:114], -v[23:24]
	v_fma_f64 v[99:100], v[101:102], v[21:22], v[99:100]
	v_mov_b32_e32 v23, v97
	v_mov_b32_e32 v24, v98
	v_add_f64 v[115:116], v[115:116], -v[99:100]
.LBB65_244:
	s_or_b64 exec, exec, s[2:3]
	v_cmp_eq_u32_e32 vcc, 27, v0
	s_waitcnt vmcnt(0)
	s_barrier
	s_and_saveexec_b64 s[4:5], vcc
	s_cbranch_execz .LBB65_251
; %bb.245:
	ds_write2_b64 v127, v[17:18], v[19:20] offset1:1
	ds_write2_b64 v125, v[13:14], v[15:16] offset0:56 offset1:57
	ds_write2_b64 v125, v[9:10], v[11:12] offset0:58 offset1:59
	;; [unrolled: 1-line block ×5, first 2 shown]
	ds_read2_b64 v[97:100], v127 offset1:1
	s_waitcnt lgkmcnt(0)
	v_cmp_neq_f64_e32 vcc, 0, v[97:98]
	v_cmp_neq_f64_e64 s[2:3], 0, v[99:100]
	s_or_b64 s[2:3], vcc, s[2:3]
	s_and_b64 exec, exec, s[2:3]
	s_cbranch_execz .LBB65_251
; %bb.246:
	v_cmp_ngt_f64_e64 s[2:3], |v[97:98]|, |v[99:100]|
                                        ; implicit-def: $vgpr101_vgpr102
	s_and_saveexec_b64 s[6:7], s[2:3]
	s_xor_b64 s[2:3], exec, s[6:7]
                                        ; implicit-def: $vgpr103_vgpr104
	s_cbranch_execz .LBB65_248
; %bb.247:
	v_div_scale_f64 v[101:102], s[6:7], v[99:100], v[99:100], v[97:98]
	v_rcp_f64_e32 v[103:104], v[101:102]
	v_fma_f64 v[105:106], -v[101:102], v[103:104], 1.0
	v_fma_f64 v[103:104], v[103:104], v[105:106], v[103:104]
	v_div_scale_f64 v[105:106], vcc, v[97:98], v[99:100], v[97:98]
	v_fma_f64 v[107:108], -v[101:102], v[103:104], 1.0
	v_fma_f64 v[103:104], v[103:104], v[107:108], v[103:104]
	v_mul_f64 v[107:108], v[105:106], v[103:104]
	v_fma_f64 v[101:102], -v[101:102], v[107:108], v[105:106]
	v_div_fmas_f64 v[101:102], v[101:102], v[103:104], v[107:108]
	v_div_fixup_f64 v[101:102], v[101:102], v[99:100], v[97:98]
	v_fma_f64 v[97:98], v[97:98], v[101:102], v[99:100]
	v_div_scale_f64 v[99:100], s[6:7], v[97:98], v[97:98], 1.0
	v_div_scale_f64 v[107:108], vcc, 1.0, v[97:98], 1.0
	v_rcp_f64_e32 v[103:104], v[99:100]
	v_fma_f64 v[105:106], -v[99:100], v[103:104], 1.0
	v_fma_f64 v[103:104], v[103:104], v[105:106], v[103:104]
	v_fma_f64 v[105:106], -v[99:100], v[103:104], 1.0
	v_fma_f64 v[103:104], v[103:104], v[105:106], v[103:104]
	v_mul_f64 v[105:106], v[107:108], v[103:104]
	v_fma_f64 v[99:100], -v[99:100], v[105:106], v[107:108]
	v_div_fmas_f64 v[99:100], v[99:100], v[103:104], v[105:106]
	v_div_fixup_f64 v[103:104], v[99:100], v[97:98], 1.0
                                        ; implicit-def: $vgpr97_vgpr98
	v_mul_f64 v[101:102], v[101:102], v[103:104]
	v_xor_b32_e32 v104, 0x80000000, v104
.LBB65_248:
	s_andn2_saveexec_b64 s[2:3], s[2:3]
	s_cbranch_execz .LBB65_250
; %bb.249:
	v_div_scale_f64 v[101:102], s[6:7], v[97:98], v[97:98], v[99:100]
	v_rcp_f64_e32 v[103:104], v[101:102]
	v_fma_f64 v[105:106], -v[101:102], v[103:104], 1.0
	v_fma_f64 v[103:104], v[103:104], v[105:106], v[103:104]
	v_div_scale_f64 v[105:106], vcc, v[99:100], v[97:98], v[99:100]
	v_fma_f64 v[107:108], -v[101:102], v[103:104], 1.0
	v_fma_f64 v[103:104], v[103:104], v[107:108], v[103:104]
	v_mul_f64 v[107:108], v[105:106], v[103:104]
	v_fma_f64 v[101:102], -v[101:102], v[107:108], v[105:106]
	v_div_fmas_f64 v[101:102], v[101:102], v[103:104], v[107:108]
	v_div_fixup_f64 v[103:104], v[101:102], v[97:98], v[99:100]
	v_fma_f64 v[97:98], v[99:100], v[103:104], v[97:98]
	v_div_scale_f64 v[99:100], s[6:7], v[97:98], v[97:98], 1.0
	v_div_scale_f64 v[107:108], vcc, 1.0, v[97:98], 1.0
	v_rcp_f64_e32 v[101:102], v[99:100]
	v_fma_f64 v[105:106], -v[99:100], v[101:102], 1.0
	v_fma_f64 v[101:102], v[101:102], v[105:106], v[101:102]
	v_fma_f64 v[105:106], -v[99:100], v[101:102], 1.0
	v_fma_f64 v[101:102], v[101:102], v[105:106], v[101:102]
	v_mul_f64 v[105:106], v[107:108], v[101:102]
	v_fma_f64 v[99:100], -v[99:100], v[105:106], v[107:108]
	v_div_fmas_f64 v[99:100], v[99:100], v[101:102], v[105:106]
	v_div_fixup_f64 v[101:102], v[99:100], v[97:98], 1.0
	v_mul_f64 v[103:104], v[103:104], -v[101:102]
.LBB65_250:
	s_or_b64 exec, exec, s[2:3]
	ds_write2_b64 v127, v[101:102], v[103:104] offset1:1
.LBB65_251:
	s_or_b64 exec, exec, s[4:5]
	s_waitcnt lgkmcnt(0)
	s_barrier
	ds_read2_b64 v[87:90], v127 offset1:1
	v_cmp_lt_u32_e32 vcc, 27, v0
	s_waitcnt lgkmcnt(0)
	buffer_store_dword v87, off, s[20:23], 0 offset:808 ; 4-byte Folded Spill
	s_nop 0
	buffer_store_dword v88, off, s[20:23], 0 offset:812 ; 4-byte Folded Spill
	buffer_store_dword v89, off, s[20:23], 0 offset:816 ; 4-byte Folded Spill
	;; [unrolled: 1-line block ×3, first 2 shown]
	s_and_saveexec_b64 s[2:3], vcc
	s_cbranch_execz .LBB65_253
; %bb.252:
	buffer_load_dword v87, off, s[20:23], 0 offset:808 ; 4-byte Folded Reload
	buffer_load_dword v88, off, s[20:23], 0 offset:812 ; 4-byte Folded Reload
	;; [unrolled: 1-line block ×4, first 2 shown]
	s_waitcnt vmcnt(2)
	v_mul_f64 v[97:98], v[87:88], v[19:20]
	s_waitcnt vmcnt(0)
	v_mul_f64 v[19:20], v[89:90], v[19:20]
	v_fma_f64 v[101:102], v[89:90], v[17:18], v[97:98]
	ds_read2_b64 v[97:100], v125 offset0:56 offset1:57
	v_fma_f64 v[17:18], v[87:88], v[17:18], -v[19:20]
	s_waitcnt lgkmcnt(0)
	v_mul_f64 v[19:20], v[99:100], v[101:102]
	v_fma_f64 v[19:20], v[97:98], v[17:18], -v[19:20]
	v_mul_f64 v[97:98], v[97:98], v[101:102]
	v_add_f64 v[13:14], v[13:14], -v[19:20]
	v_fma_f64 v[97:98], v[99:100], v[17:18], v[97:98]
	v_add_f64 v[15:16], v[15:16], -v[97:98]
	ds_read2_b64 v[97:100], v125 offset0:58 offset1:59
	s_waitcnt lgkmcnt(0)
	v_mul_f64 v[19:20], v[99:100], v[101:102]
	v_fma_f64 v[19:20], v[97:98], v[17:18], -v[19:20]
	v_mul_f64 v[97:98], v[97:98], v[101:102]
	v_add_f64 v[9:10], v[9:10], -v[19:20]
	v_fma_f64 v[97:98], v[99:100], v[17:18], v[97:98]
	v_add_f64 v[11:12], v[11:12], -v[97:98]
	ds_read2_b64 v[97:100], v125 offset0:60 offset1:61
	;; [unrolled: 8-line block ×4, first 2 shown]
	s_waitcnt lgkmcnt(0)
	v_mul_f64 v[19:20], v[99:100], v[101:102]
	v_fma_f64 v[19:20], v[97:98], v[17:18], -v[19:20]
	v_mul_f64 v[97:98], v[97:98], v[101:102]
	v_add_f64 v[113:114], v[113:114], -v[19:20]
	v_fma_f64 v[97:98], v[99:100], v[17:18], v[97:98]
	v_mov_b32_e32 v19, v101
	v_mov_b32_e32 v20, v102
	v_add_f64 v[115:116], v[115:116], -v[97:98]
.LBB65_253:
	s_or_b64 exec, exec, s[2:3]
	v_cmp_eq_u32_e32 vcc, 28, v0
	s_waitcnt vmcnt(0)
	s_barrier
	s_and_saveexec_b64 s[4:5], vcc
	s_cbranch_execz .LBB65_260
; %bb.254:
	ds_write2_b64 v127, v[13:14], v[15:16] offset1:1
	ds_write2_b64 v125, v[9:10], v[11:12] offset0:58 offset1:59
	ds_write2_b64 v125, v[5:6], v[7:8] offset0:60 offset1:61
	;; [unrolled: 1-line block ×4, first 2 shown]
	ds_read2_b64 v[97:100], v127 offset1:1
	s_waitcnt lgkmcnt(0)
	v_cmp_neq_f64_e32 vcc, 0, v[97:98]
	v_cmp_neq_f64_e64 s[2:3], 0, v[99:100]
	s_or_b64 s[2:3], vcc, s[2:3]
	s_and_b64 exec, exec, s[2:3]
	s_cbranch_execz .LBB65_260
; %bb.255:
	v_cmp_ngt_f64_e64 s[2:3], |v[97:98]|, |v[99:100]|
                                        ; implicit-def: $vgpr101_vgpr102
	s_and_saveexec_b64 s[6:7], s[2:3]
	s_xor_b64 s[2:3], exec, s[6:7]
                                        ; implicit-def: $vgpr103_vgpr104
	s_cbranch_execz .LBB65_257
; %bb.256:
	v_div_scale_f64 v[101:102], s[6:7], v[99:100], v[99:100], v[97:98]
	v_rcp_f64_e32 v[103:104], v[101:102]
	v_fma_f64 v[105:106], -v[101:102], v[103:104], 1.0
	v_fma_f64 v[103:104], v[103:104], v[105:106], v[103:104]
	v_div_scale_f64 v[105:106], vcc, v[97:98], v[99:100], v[97:98]
	v_fma_f64 v[107:108], -v[101:102], v[103:104], 1.0
	v_fma_f64 v[103:104], v[103:104], v[107:108], v[103:104]
	v_mul_f64 v[107:108], v[105:106], v[103:104]
	v_fma_f64 v[101:102], -v[101:102], v[107:108], v[105:106]
	v_div_fmas_f64 v[101:102], v[101:102], v[103:104], v[107:108]
	v_div_fixup_f64 v[101:102], v[101:102], v[99:100], v[97:98]
	v_fma_f64 v[97:98], v[97:98], v[101:102], v[99:100]
	v_div_scale_f64 v[99:100], s[6:7], v[97:98], v[97:98], 1.0
	v_div_scale_f64 v[107:108], vcc, 1.0, v[97:98], 1.0
	v_rcp_f64_e32 v[103:104], v[99:100]
	v_fma_f64 v[105:106], -v[99:100], v[103:104], 1.0
	v_fma_f64 v[103:104], v[103:104], v[105:106], v[103:104]
	v_fma_f64 v[105:106], -v[99:100], v[103:104], 1.0
	v_fma_f64 v[103:104], v[103:104], v[105:106], v[103:104]
	v_mul_f64 v[105:106], v[107:108], v[103:104]
	v_fma_f64 v[99:100], -v[99:100], v[105:106], v[107:108]
	v_div_fmas_f64 v[99:100], v[99:100], v[103:104], v[105:106]
	v_div_fixup_f64 v[103:104], v[99:100], v[97:98], 1.0
                                        ; implicit-def: $vgpr97_vgpr98
	v_mul_f64 v[101:102], v[101:102], v[103:104]
	v_xor_b32_e32 v104, 0x80000000, v104
.LBB65_257:
	s_andn2_saveexec_b64 s[2:3], s[2:3]
	s_cbranch_execz .LBB65_259
; %bb.258:
	v_div_scale_f64 v[101:102], s[6:7], v[97:98], v[97:98], v[99:100]
	v_rcp_f64_e32 v[103:104], v[101:102]
	v_fma_f64 v[105:106], -v[101:102], v[103:104], 1.0
	v_fma_f64 v[103:104], v[103:104], v[105:106], v[103:104]
	v_div_scale_f64 v[105:106], vcc, v[99:100], v[97:98], v[99:100]
	v_fma_f64 v[107:108], -v[101:102], v[103:104], 1.0
	v_fma_f64 v[103:104], v[103:104], v[107:108], v[103:104]
	v_mul_f64 v[107:108], v[105:106], v[103:104]
	v_fma_f64 v[101:102], -v[101:102], v[107:108], v[105:106]
	v_div_fmas_f64 v[101:102], v[101:102], v[103:104], v[107:108]
	v_div_fixup_f64 v[103:104], v[101:102], v[97:98], v[99:100]
	v_fma_f64 v[97:98], v[99:100], v[103:104], v[97:98]
	v_div_scale_f64 v[99:100], s[6:7], v[97:98], v[97:98], 1.0
	v_div_scale_f64 v[107:108], vcc, 1.0, v[97:98], 1.0
	v_rcp_f64_e32 v[101:102], v[99:100]
	v_fma_f64 v[105:106], -v[99:100], v[101:102], 1.0
	v_fma_f64 v[101:102], v[101:102], v[105:106], v[101:102]
	v_fma_f64 v[105:106], -v[99:100], v[101:102], 1.0
	v_fma_f64 v[101:102], v[101:102], v[105:106], v[101:102]
	v_mul_f64 v[105:106], v[107:108], v[101:102]
	v_fma_f64 v[99:100], -v[99:100], v[105:106], v[107:108]
	v_div_fmas_f64 v[99:100], v[99:100], v[101:102], v[105:106]
	v_div_fixup_f64 v[101:102], v[99:100], v[97:98], 1.0
	v_mul_f64 v[103:104], v[103:104], -v[101:102]
.LBB65_259:
	s_or_b64 exec, exec, s[2:3]
	ds_write2_b64 v127, v[101:102], v[103:104] offset1:1
.LBB65_260:
	s_or_b64 exec, exec, s[4:5]
	s_waitcnt lgkmcnt(0)
	s_barrier
	ds_read2_b64 v[87:90], v127 offset1:1
	v_cmp_lt_u32_e32 vcc, 28, v0
	s_waitcnt lgkmcnt(0)
	buffer_store_dword v87, off, s[20:23], 0 offset:824 ; 4-byte Folded Spill
	s_nop 0
	buffer_store_dword v88, off, s[20:23], 0 offset:828 ; 4-byte Folded Spill
	buffer_store_dword v89, off, s[20:23], 0 offset:832 ; 4-byte Folded Spill
	;; [unrolled: 1-line block ×3, first 2 shown]
	s_and_saveexec_b64 s[2:3], vcc
	s_cbranch_execz .LBB65_262
; %bb.261:
	buffer_load_dword v87, off, s[20:23], 0 offset:824 ; 4-byte Folded Reload
	buffer_load_dword v88, off, s[20:23], 0 offset:828 ; 4-byte Folded Reload
	;; [unrolled: 1-line block ×4, first 2 shown]
	s_waitcnt vmcnt(2)
	v_mul_f64 v[97:98], v[87:88], v[15:16]
	s_waitcnt vmcnt(0)
	v_mul_f64 v[15:16], v[89:90], v[15:16]
	v_fma_f64 v[101:102], v[89:90], v[13:14], v[97:98]
	ds_read2_b64 v[97:100], v125 offset0:58 offset1:59
	v_fma_f64 v[13:14], v[87:88], v[13:14], -v[15:16]
	s_waitcnt lgkmcnt(0)
	v_mul_f64 v[15:16], v[99:100], v[101:102]
	v_fma_f64 v[15:16], v[97:98], v[13:14], -v[15:16]
	v_mul_f64 v[97:98], v[97:98], v[101:102]
	v_add_f64 v[9:10], v[9:10], -v[15:16]
	v_fma_f64 v[97:98], v[99:100], v[13:14], v[97:98]
	v_add_f64 v[11:12], v[11:12], -v[97:98]
	ds_read2_b64 v[97:100], v125 offset0:60 offset1:61
	s_waitcnt lgkmcnt(0)
	v_mul_f64 v[15:16], v[99:100], v[101:102]
	v_fma_f64 v[15:16], v[97:98], v[13:14], -v[15:16]
	v_mul_f64 v[97:98], v[97:98], v[101:102]
	v_add_f64 v[5:6], v[5:6], -v[15:16]
	v_fma_f64 v[97:98], v[99:100], v[13:14], v[97:98]
	v_add_f64 v[7:8], v[7:8], -v[97:98]
	ds_read2_b64 v[97:100], v125 offset0:62 offset1:63
	;; [unrolled: 8-line block ×3, first 2 shown]
	s_waitcnt lgkmcnt(0)
	v_mul_f64 v[15:16], v[99:100], v[101:102]
	v_fma_f64 v[15:16], v[97:98], v[13:14], -v[15:16]
	v_mul_f64 v[97:98], v[97:98], v[101:102]
	v_add_f64 v[113:114], v[113:114], -v[15:16]
	v_fma_f64 v[97:98], v[99:100], v[13:14], v[97:98]
	v_mov_b32_e32 v15, v101
	v_mov_b32_e32 v16, v102
	v_add_f64 v[115:116], v[115:116], -v[97:98]
.LBB65_262:
	s_or_b64 exec, exec, s[2:3]
	v_cmp_eq_u32_e32 vcc, 29, v0
	s_waitcnt vmcnt(0)
	s_barrier
	s_and_saveexec_b64 s[4:5], vcc
	s_cbranch_execz .LBB65_269
; %bb.263:
	ds_write2_b64 v127, v[9:10], v[11:12] offset1:1
	ds_write2_b64 v125, v[5:6], v[7:8] offset0:60 offset1:61
	ds_write2_b64 v125, v[1:2], v[3:4] offset0:62 offset1:63
	;; [unrolled: 1-line block ×3, first 2 shown]
	ds_read2_b64 v[97:100], v127 offset1:1
	s_waitcnt lgkmcnt(0)
	v_cmp_neq_f64_e32 vcc, 0, v[97:98]
	v_cmp_neq_f64_e64 s[2:3], 0, v[99:100]
	s_or_b64 s[2:3], vcc, s[2:3]
	s_and_b64 exec, exec, s[2:3]
	s_cbranch_execz .LBB65_269
; %bb.264:
	v_cmp_ngt_f64_e64 s[2:3], |v[97:98]|, |v[99:100]|
                                        ; implicit-def: $vgpr101_vgpr102
	s_and_saveexec_b64 s[6:7], s[2:3]
	s_xor_b64 s[2:3], exec, s[6:7]
                                        ; implicit-def: $vgpr103_vgpr104
	s_cbranch_execz .LBB65_266
; %bb.265:
	v_div_scale_f64 v[101:102], s[6:7], v[99:100], v[99:100], v[97:98]
	v_rcp_f64_e32 v[103:104], v[101:102]
	v_fma_f64 v[105:106], -v[101:102], v[103:104], 1.0
	v_fma_f64 v[103:104], v[103:104], v[105:106], v[103:104]
	v_div_scale_f64 v[105:106], vcc, v[97:98], v[99:100], v[97:98]
	v_fma_f64 v[107:108], -v[101:102], v[103:104], 1.0
	v_fma_f64 v[103:104], v[103:104], v[107:108], v[103:104]
	v_mul_f64 v[107:108], v[105:106], v[103:104]
	v_fma_f64 v[101:102], -v[101:102], v[107:108], v[105:106]
	v_div_fmas_f64 v[101:102], v[101:102], v[103:104], v[107:108]
	v_div_fixup_f64 v[101:102], v[101:102], v[99:100], v[97:98]
	v_fma_f64 v[97:98], v[97:98], v[101:102], v[99:100]
	v_div_scale_f64 v[99:100], s[6:7], v[97:98], v[97:98], 1.0
	v_div_scale_f64 v[107:108], vcc, 1.0, v[97:98], 1.0
	v_rcp_f64_e32 v[103:104], v[99:100]
	v_fma_f64 v[105:106], -v[99:100], v[103:104], 1.0
	v_fma_f64 v[103:104], v[103:104], v[105:106], v[103:104]
	v_fma_f64 v[105:106], -v[99:100], v[103:104], 1.0
	v_fma_f64 v[103:104], v[103:104], v[105:106], v[103:104]
	v_mul_f64 v[105:106], v[107:108], v[103:104]
	v_fma_f64 v[99:100], -v[99:100], v[105:106], v[107:108]
	v_div_fmas_f64 v[99:100], v[99:100], v[103:104], v[105:106]
	v_div_fixup_f64 v[103:104], v[99:100], v[97:98], 1.0
                                        ; implicit-def: $vgpr97_vgpr98
	v_mul_f64 v[101:102], v[101:102], v[103:104]
	v_xor_b32_e32 v104, 0x80000000, v104
.LBB65_266:
	s_andn2_saveexec_b64 s[2:3], s[2:3]
	s_cbranch_execz .LBB65_268
; %bb.267:
	v_div_scale_f64 v[101:102], s[6:7], v[97:98], v[97:98], v[99:100]
	v_rcp_f64_e32 v[103:104], v[101:102]
	v_fma_f64 v[105:106], -v[101:102], v[103:104], 1.0
	v_fma_f64 v[103:104], v[103:104], v[105:106], v[103:104]
	v_div_scale_f64 v[105:106], vcc, v[99:100], v[97:98], v[99:100]
	v_fma_f64 v[107:108], -v[101:102], v[103:104], 1.0
	v_fma_f64 v[103:104], v[103:104], v[107:108], v[103:104]
	v_mul_f64 v[107:108], v[105:106], v[103:104]
	v_fma_f64 v[101:102], -v[101:102], v[107:108], v[105:106]
	v_div_fmas_f64 v[101:102], v[101:102], v[103:104], v[107:108]
	v_div_fixup_f64 v[103:104], v[101:102], v[97:98], v[99:100]
	v_fma_f64 v[97:98], v[99:100], v[103:104], v[97:98]
	v_div_scale_f64 v[99:100], s[6:7], v[97:98], v[97:98], 1.0
	v_div_scale_f64 v[107:108], vcc, 1.0, v[97:98], 1.0
	v_rcp_f64_e32 v[101:102], v[99:100]
	v_fma_f64 v[105:106], -v[99:100], v[101:102], 1.0
	v_fma_f64 v[101:102], v[101:102], v[105:106], v[101:102]
	v_fma_f64 v[105:106], -v[99:100], v[101:102], 1.0
	v_fma_f64 v[101:102], v[101:102], v[105:106], v[101:102]
	v_mul_f64 v[105:106], v[107:108], v[101:102]
	v_fma_f64 v[99:100], -v[99:100], v[105:106], v[107:108]
	v_div_fmas_f64 v[99:100], v[99:100], v[101:102], v[105:106]
	v_div_fixup_f64 v[101:102], v[99:100], v[97:98], 1.0
	v_mul_f64 v[103:104], v[103:104], -v[101:102]
.LBB65_268:
	s_or_b64 exec, exec, s[2:3]
	ds_write2_b64 v127, v[101:102], v[103:104] offset1:1
.LBB65_269:
	s_or_b64 exec, exec, s[4:5]
	s_waitcnt lgkmcnt(0)
	s_barrier
	ds_read2_b64 v[105:108], v127 offset1:1
	v_cmp_lt_u32_e32 vcc, 29, v0
	s_and_saveexec_b64 s[2:3], vcc
	s_cbranch_execz .LBB65_271
; %bb.270:
	s_waitcnt lgkmcnt(0)
	v_mul_f64 v[97:98], v[105:106], v[11:12]
	v_mul_f64 v[11:12], v[107:108], v[11:12]
	v_fma_f64 v[101:102], v[107:108], v[9:10], v[97:98]
	ds_read2_b64 v[97:100], v125 offset0:60 offset1:61
	v_fma_f64 v[9:10], v[105:106], v[9:10], -v[11:12]
	s_waitcnt lgkmcnt(0)
	v_mul_f64 v[11:12], v[99:100], v[101:102]
	v_fma_f64 v[11:12], v[97:98], v[9:10], -v[11:12]
	v_mul_f64 v[97:98], v[97:98], v[101:102]
	v_add_f64 v[5:6], v[5:6], -v[11:12]
	v_fma_f64 v[97:98], v[99:100], v[9:10], v[97:98]
	v_add_f64 v[7:8], v[7:8], -v[97:98]
	ds_read2_b64 v[97:100], v125 offset0:62 offset1:63
	s_waitcnt lgkmcnt(0)
	v_mul_f64 v[11:12], v[99:100], v[101:102]
	v_fma_f64 v[11:12], v[97:98], v[9:10], -v[11:12]
	v_mul_f64 v[97:98], v[97:98], v[101:102]
	v_add_f64 v[1:2], v[1:2], -v[11:12]
	v_fma_f64 v[97:98], v[99:100], v[9:10], v[97:98]
	v_add_f64 v[3:4], v[3:4], -v[97:98]
	ds_read2_b64 v[97:100], v125 offset0:64 offset1:65
	s_waitcnt lgkmcnt(0)
	v_mul_f64 v[11:12], v[99:100], v[101:102]
	v_fma_f64 v[11:12], v[97:98], v[9:10], -v[11:12]
	v_mul_f64 v[97:98], v[97:98], v[101:102]
	v_add_f64 v[113:114], v[113:114], -v[11:12]
	v_fma_f64 v[97:98], v[99:100], v[9:10], v[97:98]
	v_mov_b32_e32 v11, v101
	v_mov_b32_e32 v12, v102
	v_add_f64 v[115:116], v[115:116], -v[97:98]
.LBB65_271:
	s_or_b64 exec, exec, s[2:3]
	v_cmp_eq_u32_e32 vcc, 30, v0
	s_waitcnt lgkmcnt(0)
	s_barrier
	s_and_saveexec_b64 s[4:5], vcc
	s_cbranch_execz .LBB65_278
; %bb.272:
	ds_write2_b64 v127, v[5:6], v[7:8] offset1:1
	ds_write2_b64 v125, v[1:2], v[3:4] offset0:62 offset1:63
	ds_write2_b64 v125, v[113:114], v[115:116] offset0:64 offset1:65
	ds_read2_b64 v[97:100], v127 offset1:1
	s_waitcnt lgkmcnt(0)
	v_cmp_neq_f64_e32 vcc, 0, v[97:98]
	v_cmp_neq_f64_e64 s[2:3], 0, v[99:100]
	s_or_b64 s[2:3], vcc, s[2:3]
	s_and_b64 exec, exec, s[2:3]
	s_cbranch_execz .LBB65_278
; %bb.273:
	v_cmp_ngt_f64_e64 s[2:3], |v[97:98]|, |v[99:100]|
                                        ; implicit-def: $vgpr101_vgpr102
	s_and_saveexec_b64 s[6:7], s[2:3]
	s_xor_b64 s[2:3], exec, s[6:7]
                                        ; implicit-def: $vgpr103_vgpr104
	s_cbranch_execz .LBB65_275
; %bb.274:
	v_div_scale_f64 v[101:102], s[6:7], v[99:100], v[99:100], v[97:98]
	v_rcp_f64_e32 v[103:104], v[101:102]
	v_fma_f64 v[121:122], -v[101:102], v[103:104], 1.0
	v_fma_f64 v[103:104], v[103:104], v[121:122], v[103:104]
	v_div_scale_f64 v[121:122], vcc, v[97:98], v[99:100], v[97:98]
	v_fma_f64 v[123:124], -v[101:102], v[103:104], 1.0
	v_fma_f64 v[103:104], v[103:104], v[123:124], v[103:104]
	v_mul_f64 v[123:124], v[121:122], v[103:104]
	v_fma_f64 v[101:102], -v[101:102], v[123:124], v[121:122]
	v_div_fmas_f64 v[101:102], v[101:102], v[103:104], v[123:124]
	v_div_fixup_f64 v[101:102], v[101:102], v[99:100], v[97:98]
	v_fma_f64 v[97:98], v[97:98], v[101:102], v[99:100]
	v_div_scale_f64 v[99:100], s[6:7], v[97:98], v[97:98], 1.0
	v_div_scale_f64 v[123:124], vcc, 1.0, v[97:98], 1.0
	v_rcp_f64_e32 v[103:104], v[99:100]
	v_fma_f64 v[121:122], -v[99:100], v[103:104], 1.0
	v_fma_f64 v[103:104], v[103:104], v[121:122], v[103:104]
	v_fma_f64 v[121:122], -v[99:100], v[103:104], 1.0
	v_fma_f64 v[103:104], v[103:104], v[121:122], v[103:104]
	v_mul_f64 v[121:122], v[123:124], v[103:104]
	v_fma_f64 v[99:100], -v[99:100], v[121:122], v[123:124]
	v_div_fmas_f64 v[99:100], v[99:100], v[103:104], v[121:122]
	v_div_fixup_f64 v[103:104], v[99:100], v[97:98], 1.0
                                        ; implicit-def: $vgpr97_vgpr98
	v_mul_f64 v[101:102], v[101:102], v[103:104]
	v_xor_b32_e32 v104, 0x80000000, v104
.LBB65_275:
	s_andn2_saveexec_b64 s[2:3], s[2:3]
	s_cbranch_execz .LBB65_277
; %bb.276:
	v_div_scale_f64 v[101:102], s[6:7], v[97:98], v[97:98], v[99:100]
	v_rcp_f64_e32 v[103:104], v[101:102]
	v_fma_f64 v[121:122], -v[101:102], v[103:104], 1.0
	v_fma_f64 v[103:104], v[103:104], v[121:122], v[103:104]
	v_div_scale_f64 v[121:122], vcc, v[99:100], v[97:98], v[99:100]
	v_fma_f64 v[123:124], -v[101:102], v[103:104], 1.0
	v_fma_f64 v[103:104], v[103:104], v[123:124], v[103:104]
	v_mul_f64 v[123:124], v[121:122], v[103:104]
	v_fma_f64 v[101:102], -v[101:102], v[123:124], v[121:122]
	v_div_fmas_f64 v[101:102], v[101:102], v[103:104], v[123:124]
	v_div_fixup_f64 v[103:104], v[101:102], v[97:98], v[99:100]
	v_fma_f64 v[97:98], v[99:100], v[103:104], v[97:98]
	v_div_scale_f64 v[99:100], s[6:7], v[97:98], v[97:98], 1.0
	v_div_scale_f64 v[123:124], vcc, 1.0, v[97:98], 1.0
	v_rcp_f64_e32 v[101:102], v[99:100]
	v_fma_f64 v[121:122], -v[99:100], v[101:102], 1.0
	v_fma_f64 v[101:102], v[101:102], v[121:122], v[101:102]
	v_fma_f64 v[121:122], -v[99:100], v[101:102], 1.0
	v_fma_f64 v[101:102], v[101:102], v[121:122], v[101:102]
	v_mul_f64 v[121:122], v[123:124], v[101:102]
	v_fma_f64 v[99:100], -v[99:100], v[121:122], v[123:124]
	v_div_fmas_f64 v[99:100], v[99:100], v[101:102], v[121:122]
	v_div_fixup_f64 v[101:102], v[99:100], v[97:98], 1.0
	v_mul_f64 v[103:104], v[103:104], -v[101:102]
.LBB65_277:
	s_or_b64 exec, exec, s[2:3]
	ds_write2_b64 v127, v[101:102], v[103:104] offset1:1
.LBB65_278:
	s_or_b64 exec, exec, s[4:5]
	s_waitcnt lgkmcnt(0)
	s_barrier
	ds_read2_b64 v[121:124], v127 offset1:1
	v_cmp_lt_u32_e32 vcc, 30, v0
	s_and_saveexec_b64 s[2:3], vcc
	s_cbranch_execz .LBB65_280
; %bb.279:
	s_waitcnt lgkmcnt(0)
	v_mul_f64 v[97:98], v[121:122], v[7:8]
	v_mul_f64 v[7:8], v[123:124], v[7:8]
	v_fma_f64 v[101:102], v[123:124], v[5:6], v[97:98]
	ds_read2_b64 v[97:100], v125 offset0:62 offset1:63
	v_fma_f64 v[5:6], v[121:122], v[5:6], -v[7:8]
	s_waitcnt lgkmcnt(0)
	v_mul_f64 v[7:8], v[99:100], v[101:102]
	v_fma_f64 v[7:8], v[97:98], v[5:6], -v[7:8]
	v_mul_f64 v[97:98], v[97:98], v[101:102]
	v_add_f64 v[1:2], v[1:2], -v[7:8]
	v_fma_f64 v[97:98], v[99:100], v[5:6], v[97:98]
	v_add_f64 v[3:4], v[3:4], -v[97:98]
	ds_read2_b64 v[97:100], v125 offset0:64 offset1:65
	s_waitcnt lgkmcnt(0)
	v_mul_f64 v[7:8], v[99:100], v[101:102]
	v_fma_f64 v[7:8], v[97:98], v[5:6], -v[7:8]
	v_mul_f64 v[97:98], v[97:98], v[101:102]
	v_add_f64 v[113:114], v[113:114], -v[7:8]
	v_fma_f64 v[97:98], v[99:100], v[5:6], v[97:98]
	v_mov_b32_e32 v7, v101
	v_mov_b32_e32 v8, v102
	v_add_f64 v[115:116], v[115:116], -v[97:98]
.LBB65_280:
	s_or_b64 exec, exec, s[2:3]
	v_cmp_eq_u32_e32 vcc, 31, v0
	s_waitcnt lgkmcnt(0)
	s_barrier
	s_and_saveexec_b64 s[4:5], vcc
	s_cbranch_execz .LBB65_287
; %bb.281:
	ds_write2_b64 v127, v[1:2], v[3:4] offset1:1
	ds_write2_b64 v125, v[113:114], v[115:116] offset0:64 offset1:65
	ds_read2_b64 v[97:100], v127 offset1:1
	s_waitcnt lgkmcnt(0)
	v_cmp_neq_f64_e32 vcc, 0, v[97:98]
	v_cmp_neq_f64_e64 s[2:3], 0, v[99:100]
	s_or_b64 s[2:3], vcc, s[2:3]
	s_and_b64 exec, exec, s[2:3]
	s_cbranch_execz .LBB65_287
; %bb.282:
	v_cmp_ngt_f64_e64 s[2:3], |v[97:98]|, |v[99:100]|
                                        ; implicit-def: $vgpr101_vgpr102
	s_and_saveexec_b64 s[6:7], s[2:3]
	s_xor_b64 s[2:3], exec, s[6:7]
                                        ; implicit-def: $vgpr103_vgpr104
	s_cbranch_execz .LBB65_284
; %bb.283:
	v_div_scale_f64 v[101:102], s[6:7], v[99:100], v[99:100], v[97:98]
	v_mov_b32_e32 v90, v76
	v_mov_b32_e32 v89, v75
	;; [unrolled: 1-line block ×14, first 2 shown]
	v_rcp_f64_e32 v[103:104], v[101:102]
	v_mov_b32_e32 v83, v95
	v_mov_b32_e32 v84, v96
	v_div_scale_f64 v[95:96], vcc, v[97:98], v[99:100], v[97:98]
	v_fma_f64 v[93:94], -v[101:102], v[103:104], 1.0
	v_fma_f64 v[93:94], v[103:104], v[93:94], v[103:104]
	v_fma_f64 v[103:104], -v[101:102], v[93:94], 1.0
	v_fma_f64 v[93:94], v[93:94], v[103:104], v[93:94]
	v_mul_f64 v[103:104], v[95:96], v[93:94]
	v_fma_f64 v[95:96], -v[101:102], v[103:104], v[95:96]
	v_div_fmas_f64 v[93:94], v[95:96], v[93:94], v[103:104]
	v_div_fixup_f64 v[93:94], v[93:94], v[99:100], v[97:98]
	v_fma_f64 v[95:96], v[97:98], v[93:94], v[99:100]
	v_div_scale_f64 v[97:98], s[6:7], v[95:96], v[95:96], 1.0
	v_div_scale_f64 v[103:104], vcc, 1.0, v[95:96], 1.0
	v_rcp_f64_e32 v[99:100], v[97:98]
	v_fma_f64 v[101:102], -v[97:98], v[99:100], 1.0
	v_fma_f64 v[99:100], v[99:100], v[101:102], v[99:100]
	v_fma_f64 v[101:102], -v[97:98], v[99:100], 1.0
	v_fma_f64 v[99:100], v[99:100], v[101:102], v[99:100]
	v_mul_f64 v[101:102], v[103:104], v[99:100]
	v_fma_f64 v[97:98], -v[97:98], v[101:102], v[103:104]
	v_div_fmas_f64 v[97:98], v[97:98], v[99:100], v[101:102]
	v_div_fixup_f64 v[103:104], v[97:98], v[95:96], 1.0
                                        ; implicit-def: $vgpr97_vgpr98
	v_mul_f64 v[101:102], v[93:94], v[103:104]
	v_mov_b32_e32 v96, v84
	v_mov_b32_e32 v95, v83
	;; [unrolled: 1-line block ×16, first 2 shown]
	v_xor_b32_e32 v104, 0x80000000, v104
.LBB65_284:
	s_andn2_saveexec_b64 s[2:3], s[2:3]
	s_cbranch_execz .LBB65_286
; %bb.285:
	v_mov_b32_e32 v87, v93
	v_mov_b32_e32 v88, v94
	;; [unrolled: 1-line block ×4, first 2 shown]
	v_div_scale_f64 v[93:94], s[6:7], v[97:98], v[97:98], v[99:100]
	v_rcp_f64_e32 v[95:96], v[93:94]
	v_fma_f64 v[101:102], -v[93:94], v[95:96], 1.0
	v_fma_f64 v[95:96], v[95:96], v[101:102], v[95:96]
	v_div_scale_f64 v[101:102], vcc, v[99:100], v[97:98], v[99:100]
	v_fma_f64 v[103:104], -v[93:94], v[95:96], 1.0
	v_fma_f64 v[95:96], v[95:96], v[103:104], v[95:96]
	v_mul_f64 v[103:104], v[101:102], v[95:96]
	v_fma_f64 v[93:94], -v[93:94], v[103:104], v[101:102]
	v_div_fmas_f64 v[93:94], v[93:94], v[95:96], v[103:104]
	v_div_fixup_f64 v[93:94], v[93:94], v[97:98], v[99:100]
	v_fma_f64 v[95:96], v[99:100], v[93:94], v[97:98]
	v_div_scale_f64 v[97:98], s[6:7], v[95:96], v[95:96], 1.0
	v_div_scale_f64 v[103:104], vcc, 1.0, v[95:96], 1.0
	v_rcp_f64_e32 v[99:100], v[97:98]
	v_fma_f64 v[101:102], -v[97:98], v[99:100], 1.0
	v_fma_f64 v[99:100], v[99:100], v[101:102], v[99:100]
	v_fma_f64 v[101:102], -v[97:98], v[99:100], 1.0
	v_fma_f64 v[99:100], v[99:100], v[101:102], v[99:100]
	v_mul_f64 v[101:102], v[103:104], v[99:100]
	v_fma_f64 v[97:98], -v[97:98], v[101:102], v[103:104]
	v_div_fmas_f64 v[97:98], v[97:98], v[99:100], v[101:102]
	v_div_fixup_f64 v[101:102], v[97:98], v[95:96], 1.0
	v_mul_f64 v[103:104], v[93:94], -v[101:102]
	v_mov_b32_e32 v96, v90
	v_mov_b32_e32 v95, v89
	;; [unrolled: 1-line block ×4, first 2 shown]
.LBB65_286:
	s_or_b64 exec, exec, s[2:3]
	ds_write2_b64 v127, v[101:102], v[103:104] offset1:1
.LBB65_287:
	s_or_b64 exec, exec, s[4:5]
	s_waitcnt lgkmcnt(0)
	s_barrier
	ds_read2_b64 v[97:100], v127 offset1:1
	v_cmp_lt_u32_e32 vcc, 31, v0
	s_and_saveexec_b64 s[2:3], vcc
	s_cbranch_execz .LBB65_289
; %bb.288:
	v_mov_b32_e32 v87, v93
	v_mov_b32_e32 v88, v94
	;; [unrolled: 1-line block ×4, first 2 shown]
	s_waitcnt lgkmcnt(0)
	v_mul_f64 v[93:94], v[97:98], v[3:4]
	v_mul_f64 v[3:4], v[99:100], v[3:4]
	ds_read2_b64 v[101:104], v125 offset0:64 offset1:65
	v_fma_f64 v[93:94], v[99:100], v[1:2], v[93:94]
	v_fma_f64 v[1:2], v[97:98], v[1:2], -v[3:4]
	s_waitcnt lgkmcnt(0)
	v_mul_f64 v[3:4], v[103:104], v[93:94]
	v_mul_f64 v[95:96], v[101:102], v[93:94]
	v_fma_f64 v[3:4], v[101:102], v[1:2], -v[3:4]
	v_fma_f64 v[95:96], v[103:104], v[1:2], v[95:96]
	v_add_f64 v[113:114], v[113:114], -v[3:4]
	v_add_f64 v[115:116], v[115:116], -v[95:96]
	v_mov_b32_e32 v3, v93
	v_mov_b32_e32 v4, v94
	;; [unrolled: 1-line block ×6, first 2 shown]
.LBB65_289:
	s_or_b64 exec, exec, s[2:3]
	v_cmp_eq_u32_e32 vcc, 32, v0
	s_waitcnt lgkmcnt(0)
	s_barrier
	s_and_saveexec_b64 s[4:5], vcc
	s_cbranch_execz .LBB65_296
; %bb.290:
	v_cmp_neq_f64_e32 vcc, 0, v[113:114]
	v_cmp_neq_f64_e64 s[2:3], 0, v[115:116]
	ds_write2_b64 v127, v[113:114], v[115:116] offset1:1
	s_or_b64 s[2:3], vcc, s[2:3]
	s_and_b64 exec, exec, s[2:3]
	s_cbranch_execz .LBB65_296
; %bb.291:
	v_cmp_ngt_f64_e64 s[2:3], |v[113:114]|, |v[115:116]|
                                        ; implicit-def: $vgpr101_vgpr102
	s_and_saveexec_b64 s[6:7], s[2:3]
	s_xor_b64 s[2:3], exec, s[6:7]
                                        ; implicit-def: $vgpr103_vgpr104
	s_cbranch_execz .LBB65_293
; %bb.292:
	buffer_store_dword v121, off, s[20:23], 0 offset:856 ; 4-byte Folded Spill
	s_nop 0
	buffer_store_dword v122, off, s[20:23], 0 offset:860 ; 4-byte Folded Spill
	buffer_store_dword v123, off, s[20:23], 0 offset:864 ; 4-byte Folded Spill
	buffer_store_dword v124, off, s[20:23], 0 offset:868 ; 4-byte Folded Spill
	v_mov_b32_e32 v124, v108
	v_mov_b32_e32 v123, v107
	;; [unrolled: 1-line block ×100, first 2 shown]
	v_div_scale_f64 v[93:94], s[6:7], v[115:116], v[115:116], v[113:114]
	v_mov_b32_e32 v85, v91
	v_mov_b32_e32 v86, v92
	v_rcp_f64_e32 v[95:96], v[93:94]
	v_fma_f64 v[101:102], -v[93:94], v[95:96], 1.0
	v_fma_f64 v[95:96], v[95:96], v[101:102], v[95:96]
	v_div_scale_f64 v[101:102], vcc, v[113:114], v[115:116], v[113:114]
	v_fma_f64 v[103:104], -v[93:94], v[95:96], 1.0
	v_fma_f64 v[95:96], v[95:96], v[103:104], v[95:96]
	v_mul_f64 v[103:104], v[101:102], v[95:96]
	v_fma_f64 v[93:94], -v[93:94], v[103:104], v[101:102]
	v_div_fmas_f64 v[93:94], v[93:94], v[95:96], v[103:104]
	v_div_fixup_f64 v[93:94], v[93:94], v[115:116], v[113:114]
	v_fma_f64 v[95:96], v[113:114], v[93:94], v[115:116]
	v_div_scale_f64 v[101:102], s[6:7], v[95:96], v[95:96], 1.0
	v_div_scale_f64 v[89:90], vcc, 1.0, v[95:96], 1.0
	v_rcp_f64_e32 v[103:104], v[101:102]
	v_fma_f64 v[125:126], -v[101:102], v[103:104], 1.0
	v_fma_f64 v[103:104], v[103:104], v[125:126], v[103:104]
	v_fma_f64 v[125:126], -v[101:102], v[103:104], 1.0
	v_fma_f64 v[91:92], v[103:104], v[125:126], v[103:104]
	v_mul_f64 v[103:104], v[89:90], v[91:92]
	v_fma_f64 v[89:90], -v[101:102], v[103:104], v[89:90]
	v_div_fmas_f64 v[89:90], v[89:90], v[91:92], v[103:104]
	v_mov_b32_e32 v92, v86
	v_mov_b32_e32 v91, v85
	v_div_fixup_f64 v[103:104], v[89:90], v[95:96], 1.0
	v_mul_f64 v[101:102], v[93:94], v[103:104]
	v_mov_b32_e32 v96, v84
	v_mov_b32_e32 v95, v83
	;; [unrolled: 1-line block ×100, first 2 shown]
	buffer_load_dword v121, off, s[20:23], 0 offset:856 ; 4-byte Folded Reload
	buffer_load_dword v122, off, s[20:23], 0 offset:860 ; 4-byte Folded Reload
	;; [unrolled: 1-line block ×4, first 2 shown]
	v_xor_b32_e32 v104, 0x80000000, v104
.LBB65_293:
	s_andn2_saveexec_b64 s[2:3], s[2:3]
	s_cbranch_execz .LBB65_295
; %bb.294:
	v_div_scale_f64 v[89:90], s[6:7], v[113:114], v[113:114], v[115:116]
	v_mov_b32_e32 v85, v105
	v_mov_b32_e32 v86, v106
	;; [unrolled: 1-line block ×35, first 2 shown]
	v_rcp_f64_e32 v[91:92], v[89:90]
	v_mov_b32_e32 v26, v30
	v_mov_b32_e32 v27, v31
	;; [unrolled: 1-line block ×67, first 2 shown]
	v_fma_f64 v[93:94], -v[89:90], v[91:92], 1.0
	v_fma_f64 v[91:92], v[91:92], v[93:94], v[91:92]
	v_div_scale_f64 v[93:94], vcc, v[115:116], v[113:114], v[115:116]
	v_fma_f64 v[95:96], -v[89:90], v[91:92], 1.0
	v_fma_f64 v[91:92], v[91:92], v[95:96], v[91:92]
	v_mul_f64 v[95:96], v[93:94], v[91:92]
	v_fma_f64 v[89:90], -v[89:90], v[95:96], v[93:94]
	v_div_fmas_f64 v[89:90], v[89:90], v[91:92], v[95:96]
	v_div_fixup_f64 v[89:90], v[89:90], v[113:114], v[115:116]
	v_fma_f64 v[91:92], v[115:116], v[89:90], v[113:114]
	v_div_scale_f64 v[93:94], s[6:7], v[91:92], v[91:92], 1.0
	v_div_scale_f64 v[103:104], vcc, 1.0, v[91:92], 1.0
	v_rcp_f64_e32 v[95:96], v[93:94]
	v_fma_f64 v[101:102], -v[93:94], v[95:96], 1.0
	v_fma_f64 v[95:96], v[95:96], v[101:102], v[95:96]
	v_fma_f64 v[101:102], -v[93:94], v[95:96], 1.0
	v_fma_f64 v[95:96], v[95:96], v[101:102], v[95:96]
	v_mul_f64 v[101:102], v[103:104], v[95:96]
	v_fma_f64 v[93:94], -v[93:94], v[101:102], v[103:104]
	v_div_fmas_f64 v[93:94], v[93:94], v[95:96], v[101:102]
	v_div_fixup_f64 v[101:102], v[93:94], v[91:92], 1.0
	v_mov_b32_e32 v96, v84
	v_mov_b32_e32 v95, v83
	;; [unrolled: 1-line block ×73, first 2 shown]
	v_mul_f64 v[103:104], v[89:90], -v[101:102]
	v_mov_b32_e32 v23, v19
	v_mov_b32_e32 v22, v18
	;; [unrolled: 1-line block ×29, first 2 shown]
.LBB65_295:
	s_or_b64 exec, exec, s[2:3]
	ds_write2_b64 v127, v[101:102], v[103:104] offset1:1
.LBB65_296:
	s_or_b64 exec, exec, s[4:5]
	s_waitcnt vmcnt(0) lgkmcnt(0)
	s_barrier
	ds_read2_b64 v[101:104], v127 offset1:1
	s_waitcnt lgkmcnt(0)
	s_barrier
	s_and_saveexec_b64 s[2:3], s[0:1]
	s_cbranch_execz .LBB65_299
; %bb.297:
	buffer_load_dword v87, off, s[20:23], 0 offset:376 ; 4-byte Folded Reload
	buffer_load_dword v88, off, s[20:23], 0 offset:380 ; 4-byte Folded Reload
	;; [unrolled: 1-line block ×4, first 2 shown]
	s_waitcnt vmcnt(2)
	v_cmp_eq_f64_e32 vcc, 0, v[87:88]
	v_mov_b32_e32 v85, v105
	v_mov_b32_e32 v86, v106
	;; [unrolled: 1-line block ×4, first 2 shown]
	buffer_load_dword v105, off, s[20:23], 0 offset:392 ; 4-byte Folded Reload
	buffer_load_dword v106, off, s[20:23], 0 offset:396 ; 4-byte Folded Reload
	;; [unrolled: 1-line block ×4, first 2 shown]
	s_waitcnt vmcnt(4)
	v_cmp_eq_f64_e64 s[0:1], 0, v[89:90]
	s_and_b64 s[4:5], vcc, s[0:1]
	v_cndmask_b32_e64 v89, 0, 1, s[4:5]
	s_waitcnt vmcnt(2)
	v_cmp_neq_f64_e32 vcc, 0, v[105:106]
	s_waitcnt vmcnt(0)
	v_cmp_neq_f64_e64 s[0:1], 0, v[107:108]
	buffer_load_dword v105, off, s[20:23], 0 offset:408 ; 4-byte Folded Reload
	buffer_load_dword v106, off, s[20:23], 0 offset:412 ; 4-byte Folded Reload
	;; [unrolled: 1-line block ×4, first 2 shown]
	s_or_b64 s[0:1], vcc, s[0:1]
	s_or_b64 vcc, s[0:1], s[4:5]
	v_cndmask_b32_e32 v89, 2, v89, vcc
	s_waitcnt vmcnt(2)
	v_cmp_eq_f64_e32 vcc, 0, v[105:106]
	s_waitcnt vmcnt(0)
	v_cmp_eq_f64_e64 s[0:1], 0, v[107:108]
	buffer_load_dword v105, off, s[20:23], 0 offset:424 ; 4-byte Folded Reload
	buffer_load_dword v106, off, s[20:23], 0 offset:428 ; 4-byte Folded Reload
	buffer_load_dword v107, off, s[20:23], 0 offset:432 ; 4-byte Folded Reload
	buffer_load_dword v108, off, s[20:23], 0 offset:436 ; 4-byte Folded Reload
	s_and_b64 s[0:1], vcc, s[0:1]
	v_cmp_eq_u32_e32 vcc, 0, v89
	s_and_b64 s[0:1], s[0:1], vcc
	v_cndmask_b32_e64 v89, v89, 3, s[0:1]
	s_waitcnt vmcnt(2)
	v_cmp_eq_f64_e32 vcc, 0, v[105:106]
	s_waitcnt vmcnt(0)
	v_cmp_eq_f64_e64 s[0:1], 0, v[107:108]
	buffer_load_dword v105, off, s[20:23], 0 offset:440 ; 4-byte Folded Reload
	buffer_load_dword v106, off, s[20:23], 0 offset:444 ; 4-byte Folded Reload
	buffer_load_dword v107, off, s[20:23], 0 offset:448 ; 4-byte Folded Reload
	buffer_load_dword v108, off, s[20:23], 0 offset:452 ; 4-byte Folded Reload
	s_and_b64 s[0:1], vcc, s[0:1]
	v_cmp_eq_u32_e32 vcc, 0, v89
	s_and_b64 s[0:1], s[0:1], vcc
	v_cndmask_b32_e64 v89, v89, 4, s[0:1]
	s_waitcnt vmcnt(2)
	v_cmp_eq_f64_e32 vcc, 0, v[105:106]
	s_waitcnt vmcnt(0)
	v_cmp_eq_f64_e64 s[0:1], 0, v[107:108]
	buffer_load_dword v105, off, s[20:23], 0 offset:456 ; 4-byte Folded Reload
	buffer_load_dword v106, off, s[20:23], 0 offset:460 ; 4-byte Folded Reload
	buffer_load_dword v107, off, s[20:23], 0 offset:464 ; 4-byte Folded Reload
	buffer_load_dword v108, off, s[20:23], 0 offset:468 ; 4-byte Folded Reload
	s_and_b64 s[0:1], vcc, s[0:1]
	v_cmp_eq_u32_e32 vcc, 0, v89
	s_and_b64 s[0:1], s[0:1], vcc
	v_cndmask_b32_e64 v89, v89, 5, s[0:1]
	s_waitcnt vmcnt(2)
	v_cmp_eq_f64_e32 vcc, 0, v[105:106]
	s_waitcnt vmcnt(0)
	v_cmp_eq_f64_e64 s[0:1], 0, v[107:108]
	buffer_load_dword v105, off, s[20:23], 0 offset:472 ; 4-byte Folded Reload
	buffer_load_dword v106, off, s[20:23], 0 offset:476 ; 4-byte Folded Reload
	buffer_load_dword v107, off, s[20:23], 0 offset:480 ; 4-byte Folded Reload
	buffer_load_dword v108, off, s[20:23], 0 offset:484 ; 4-byte Folded Reload
	s_and_b64 s[0:1], vcc, s[0:1]
	v_cmp_eq_u32_e32 vcc, 0, v89
	s_and_b64 s[0:1], s[0:1], vcc
	v_cndmask_b32_e64 v89, v89, 6, s[0:1]
	s_waitcnt vmcnt(2)
	v_cmp_eq_f64_e32 vcc, 0, v[105:106]
	s_waitcnt vmcnt(0)
	v_cmp_eq_f64_e64 s[0:1], 0, v[107:108]
	buffer_load_dword v105, off, s[20:23], 0 offset:488 ; 4-byte Folded Reload
	buffer_load_dword v106, off, s[20:23], 0 offset:492 ; 4-byte Folded Reload
	buffer_load_dword v107, off, s[20:23], 0 offset:496 ; 4-byte Folded Reload
	buffer_load_dword v108, off, s[20:23], 0 offset:500 ; 4-byte Folded Reload
	s_and_b64 s[0:1], vcc, s[0:1]
	v_cmp_eq_u32_e32 vcc, 0, v89
	s_and_b64 s[0:1], s[0:1], vcc
	v_cndmask_b32_e64 v89, v89, 7, s[0:1]
	s_waitcnt vmcnt(2)
	v_cmp_eq_f64_e32 vcc, 0, v[105:106]
	s_waitcnt vmcnt(0)
	v_cmp_eq_f64_e64 s[0:1], 0, v[107:108]
	buffer_load_dword v105, off, s[20:23], 0 offset:504 ; 4-byte Folded Reload
	buffer_load_dword v106, off, s[20:23], 0 offset:508 ; 4-byte Folded Reload
	buffer_load_dword v107, off, s[20:23], 0 offset:512 ; 4-byte Folded Reload
	buffer_load_dword v108, off, s[20:23], 0 offset:516 ; 4-byte Folded Reload
	s_and_b64 s[0:1], vcc, s[0:1]
	v_cmp_eq_u32_e32 vcc, 0, v89
	s_and_b64 s[0:1], s[0:1], vcc
	v_cndmask_b32_e64 v89, v89, 8, s[0:1]
	s_waitcnt vmcnt(2)
	v_cmp_eq_f64_e32 vcc, 0, v[105:106]
	s_waitcnt vmcnt(0)
	v_cmp_eq_f64_e64 s[0:1], 0, v[107:108]
	buffer_load_dword v105, off, s[20:23], 0 offset:520 ; 4-byte Folded Reload
	buffer_load_dword v106, off, s[20:23], 0 offset:524 ; 4-byte Folded Reload
	buffer_load_dword v107, off, s[20:23], 0 offset:528 ; 4-byte Folded Reload
	buffer_load_dword v108, off, s[20:23], 0 offset:532 ; 4-byte Folded Reload
	s_and_b64 s[0:1], vcc, s[0:1]
	v_cmp_eq_u32_e32 vcc, 0, v89
	s_and_b64 s[0:1], s[0:1], vcc
	v_cndmask_b32_e64 v89, v89, 9, s[0:1]
	s_waitcnt vmcnt(2)
	v_cmp_eq_f64_e32 vcc, 0, v[105:106]
	s_waitcnt vmcnt(0)
	v_cmp_eq_f64_e64 s[0:1], 0, v[107:108]
	buffer_load_dword v105, off, s[20:23], 0 offset:536 ; 4-byte Folded Reload
	buffer_load_dword v106, off, s[20:23], 0 offset:540 ; 4-byte Folded Reload
	buffer_load_dword v107, off, s[20:23], 0 offset:544 ; 4-byte Folded Reload
	buffer_load_dword v108, off, s[20:23], 0 offset:548 ; 4-byte Folded Reload
	s_and_b64 s[0:1], vcc, s[0:1]
	v_cmp_eq_u32_e32 vcc, 0, v89
	s_and_b64 s[0:1], s[0:1], vcc
	v_cndmask_b32_e64 v89, v89, 10, s[0:1]
	s_waitcnt vmcnt(2)
	v_cmp_eq_f64_e32 vcc, 0, v[105:106]
	s_waitcnt vmcnt(0)
	v_cmp_eq_f64_e64 s[0:1], 0, v[107:108]
	buffer_load_dword v105, off, s[20:23], 0 offset:552 ; 4-byte Folded Reload
	buffer_load_dword v106, off, s[20:23], 0 offset:556 ; 4-byte Folded Reload
	buffer_load_dword v107, off, s[20:23], 0 offset:560 ; 4-byte Folded Reload
	buffer_load_dword v108, off, s[20:23], 0 offset:564 ; 4-byte Folded Reload
	s_and_b64 s[0:1], vcc, s[0:1]
	v_cmp_eq_u32_e32 vcc, 0, v89
	s_and_b64 s[0:1], s[0:1], vcc
	v_cndmask_b32_e64 v89, v89, 11, s[0:1]
	s_waitcnt vmcnt(2)
	v_cmp_eq_f64_e32 vcc, 0, v[105:106]
	s_waitcnt vmcnt(0)
	v_cmp_eq_f64_e64 s[0:1], 0, v[107:108]
	buffer_load_dword v105, off, s[20:23], 0 offset:568 ; 4-byte Folded Reload
	buffer_load_dword v106, off, s[20:23], 0 offset:572 ; 4-byte Folded Reload
	buffer_load_dword v107, off, s[20:23], 0 offset:576 ; 4-byte Folded Reload
	buffer_load_dword v108, off, s[20:23], 0 offset:580 ; 4-byte Folded Reload
	s_and_b64 s[0:1], vcc, s[0:1]
	v_cmp_eq_u32_e32 vcc, 0, v89
	s_and_b64 s[0:1], s[0:1], vcc
	v_cndmask_b32_e64 v89, v89, 12, s[0:1]
	s_waitcnt vmcnt(2)
	v_cmp_eq_f64_e32 vcc, 0, v[105:106]
	s_waitcnt vmcnt(0)
	v_cmp_eq_f64_e64 s[0:1], 0, v[107:108]
	buffer_load_dword v105, off, s[20:23], 0 offset:584 ; 4-byte Folded Reload
	buffer_load_dword v106, off, s[20:23], 0 offset:588 ; 4-byte Folded Reload
	buffer_load_dword v107, off, s[20:23], 0 offset:592 ; 4-byte Folded Reload
	buffer_load_dword v108, off, s[20:23], 0 offset:596 ; 4-byte Folded Reload
	s_and_b64 s[0:1], vcc, s[0:1]
	v_cmp_eq_u32_e32 vcc, 0, v89
	s_and_b64 s[0:1], s[0:1], vcc
	v_cndmask_b32_e64 v89, v89, 13, s[0:1]
	s_waitcnt vmcnt(2)
	v_cmp_eq_f64_e32 vcc, 0, v[105:106]
	s_waitcnt vmcnt(0)
	v_cmp_eq_f64_e64 s[0:1], 0, v[107:108]
	buffer_load_dword v105, off, s[20:23], 0 offset:600 ; 4-byte Folded Reload
	buffer_load_dword v106, off, s[20:23], 0 offset:604 ; 4-byte Folded Reload
	buffer_load_dword v107, off, s[20:23], 0 offset:608 ; 4-byte Folded Reload
	buffer_load_dword v108, off, s[20:23], 0 offset:612 ; 4-byte Folded Reload
	s_and_b64 s[0:1], vcc, s[0:1]
	v_cmp_eq_u32_e32 vcc, 0, v89
	s_and_b64 s[0:1], s[0:1], vcc
	v_cndmask_b32_e64 v89, v89, 14, s[0:1]
	s_waitcnt vmcnt(2)
	v_cmp_eq_f64_e32 vcc, 0, v[105:106]
	s_waitcnt vmcnt(0)
	v_cmp_eq_f64_e64 s[0:1], 0, v[107:108]
	buffer_load_dword v105, off, s[20:23], 0 offset:616 ; 4-byte Folded Reload
	buffer_load_dword v106, off, s[20:23], 0 offset:620 ; 4-byte Folded Reload
	buffer_load_dword v107, off, s[20:23], 0 offset:624 ; 4-byte Folded Reload
	buffer_load_dword v108, off, s[20:23], 0 offset:628 ; 4-byte Folded Reload
	s_and_b64 s[0:1], vcc, s[0:1]
	v_cmp_eq_u32_e32 vcc, 0, v89
	s_and_b64 s[0:1], s[0:1], vcc
	v_cndmask_b32_e64 v89, v89, 15, s[0:1]
	s_waitcnt vmcnt(2)
	v_cmp_eq_f64_e32 vcc, 0, v[105:106]
	s_waitcnt vmcnt(0)
	v_cmp_eq_f64_e64 s[0:1], 0, v[107:108]
	buffer_load_dword v105, off, s[20:23], 0 offset:632 ; 4-byte Folded Reload
	buffer_load_dword v106, off, s[20:23], 0 offset:636 ; 4-byte Folded Reload
	buffer_load_dword v107, off, s[20:23], 0 offset:640 ; 4-byte Folded Reload
	buffer_load_dword v108, off, s[20:23], 0 offset:644 ; 4-byte Folded Reload
	s_and_b64 s[0:1], vcc, s[0:1]
	v_cmp_eq_u32_e32 vcc, 0, v89
	s_and_b64 s[0:1], s[0:1], vcc
	v_cndmask_b32_e64 v89, v89, 16, s[0:1]
	s_waitcnt vmcnt(2)
	v_cmp_eq_f64_e32 vcc, 0, v[105:106]
	s_waitcnt vmcnt(0)
	v_cmp_eq_f64_e64 s[0:1], 0, v[107:108]
	buffer_load_dword v105, off, s[20:23], 0 offset:648 ; 4-byte Folded Reload
	buffer_load_dword v106, off, s[20:23], 0 offset:652 ; 4-byte Folded Reload
	buffer_load_dword v107, off, s[20:23], 0 offset:656 ; 4-byte Folded Reload
	buffer_load_dword v108, off, s[20:23], 0 offset:660 ; 4-byte Folded Reload
	s_and_b64 s[0:1], vcc, s[0:1]
	v_cmp_eq_u32_e32 vcc, 0, v89
	s_and_b64 s[0:1], s[0:1], vcc
	v_cndmask_b32_e64 v89, v89, 17, s[0:1]
	s_waitcnt vmcnt(2)
	v_cmp_eq_f64_e32 vcc, 0, v[105:106]
	s_waitcnt vmcnt(0)
	v_cmp_eq_f64_e64 s[0:1], 0, v[107:108]
	buffer_load_dword v105, off, s[20:23], 0 offset:664 ; 4-byte Folded Reload
	buffer_load_dword v106, off, s[20:23], 0 offset:668 ; 4-byte Folded Reload
	buffer_load_dword v107, off, s[20:23], 0 offset:672 ; 4-byte Folded Reload
	buffer_load_dword v108, off, s[20:23], 0 offset:676 ; 4-byte Folded Reload
	s_and_b64 s[0:1], vcc, s[0:1]
	v_cmp_eq_u32_e32 vcc, 0, v89
	s_and_b64 s[0:1], s[0:1], vcc
	v_cndmask_b32_e64 v89, v89, 18, s[0:1]
	s_waitcnt vmcnt(2)
	v_cmp_eq_f64_e32 vcc, 0, v[105:106]
	s_waitcnt vmcnt(0)
	v_cmp_eq_f64_e64 s[0:1], 0, v[107:108]
	buffer_load_dword v105, off, s[20:23], 0 offset:680 ; 4-byte Folded Reload
	buffer_load_dword v106, off, s[20:23], 0 offset:684 ; 4-byte Folded Reload
	buffer_load_dword v107, off, s[20:23], 0 offset:688 ; 4-byte Folded Reload
	buffer_load_dword v108, off, s[20:23], 0 offset:692 ; 4-byte Folded Reload
	s_and_b64 s[0:1], vcc, s[0:1]
	v_cmp_eq_u32_e32 vcc, 0, v89
	s_and_b64 s[0:1], s[0:1], vcc
	v_cndmask_b32_e64 v89, v89, 19, s[0:1]
	s_waitcnt vmcnt(2)
	v_cmp_eq_f64_e32 vcc, 0, v[105:106]
	s_waitcnt vmcnt(0)
	v_cmp_eq_f64_e64 s[0:1], 0, v[107:108]
	buffer_load_dword v105, off, s[20:23], 0 offset:696 ; 4-byte Folded Reload
	buffer_load_dword v106, off, s[20:23], 0 offset:700 ; 4-byte Folded Reload
	buffer_load_dword v107, off, s[20:23], 0 offset:704 ; 4-byte Folded Reload
	buffer_load_dword v108, off, s[20:23], 0 offset:708 ; 4-byte Folded Reload
	s_and_b64 s[0:1], vcc, s[0:1]
	v_cmp_eq_u32_e32 vcc, 0, v89
	s_and_b64 s[0:1], s[0:1], vcc
	v_cndmask_b32_e64 v89, v89, 20, s[0:1]
	s_waitcnt vmcnt(2)
	v_cmp_eq_f64_e32 vcc, 0, v[105:106]
	s_waitcnt vmcnt(0)
	v_cmp_eq_f64_e64 s[0:1], 0, v[107:108]
	buffer_load_dword v105, off, s[20:23], 0 offset:712 ; 4-byte Folded Reload
	buffer_load_dword v106, off, s[20:23], 0 offset:716 ; 4-byte Folded Reload
	buffer_load_dword v107, off, s[20:23], 0 offset:720 ; 4-byte Folded Reload
	buffer_load_dword v108, off, s[20:23], 0 offset:724 ; 4-byte Folded Reload
	s_and_b64 s[0:1], vcc, s[0:1]
	v_cmp_eq_u32_e32 vcc, 0, v89
	s_and_b64 s[0:1], s[0:1], vcc
	v_cndmask_b32_e64 v89, v89, 21, s[0:1]
	s_waitcnt vmcnt(2)
	v_cmp_eq_f64_e32 vcc, 0, v[105:106]
	s_waitcnt vmcnt(0)
	v_cmp_eq_f64_e64 s[0:1], 0, v[107:108]
	buffer_load_dword v105, off, s[20:23], 0 offset:728 ; 4-byte Folded Reload
	buffer_load_dword v106, off, s[20:23], 0 offset:732 ; 4-byte Folded Reload
	buffer_load_dword v107, off, s[20:23], 0 offset:736 ; 4-byte Folded Reload
	buffer_load_dword v108, off, s[20:23], 0 offset:740 ; 4-byte Folded Reload
	s_and_b64 s[0:1], vcc, s[0:1]
	v_cmp_eq_u32_e32 vcc, 0, v89
	s_and_b64 s[0:1], s[0:1], vcc
	v_cndmask_b32_e64 v89, v89, 22, s[0:1]
	s_waitcnt vmcnt(2)
	v_cmp_eq_f64_e32 vcc, 0, v[105:106]
	s_waitcnt vmcnt(0)
	v_cmp_eq_f64_e64 s[0:1], 0, v[107:108]
	buffer_load_dword v105, off, s[20:23], 0 offset:744 ; 4-byte Folded Reload
	buffer_load_dword v106, off, s[20:23], 0 offset:748 ; 4-byte Folded Reload
	buffer_load_dword v107, off, s[20:23], 0 offset:752 ; 4-byte Folded Reload
	buffer_load_dword v108, off, s[20:23], 0 offset:756 ; 4-byte Folded Reload
	s_and_b64 s[0:1], vcc, s[0:1]
	v_cmp_eq_u32_e32 vcc, 0, v89
	s_and_b64 s[0:1], s[0:1], vcc
	v_cndmask_b32_e64 v89, v89, 23, s[0:1]
	s_waitcnt vmcnt(2)
	v_cmp_eq_f64_e32 vcc, 0, v[105:106]
	s_waitcnt vmcnt(0)
	v_cmp_eq_f64_e64 s[0:1], 0, v[107:108]
	buffer_load_dword v105, off, s[20:23], 0 offset:760 ; 4-byte Folded Reload
	buffer_load_dword v106, off, s[20:23], 0 offset:764 ; 4-byte Folded Reload
	buffer_load_dword v107, off, s[20:23], 0 offset:768 ; 4-byte Folded Reload
	buffer_load_dword v108, off, s[20:23], 0 offset:772 ; 4-byte Folded Reload
	s_and_b64 s[0:1], vcc, s[0:1]
	v_cmp_eq_u32_e32 vcc, 0, v89
	s_and_b64 s[0:1], s[0:1], vcc
	v_cndmask_b32_e64 v89, v89, 24, s[0:1]
	s_waitcnt vmcnt(2)
	v_cmp_eq_f64_e32 vcc, 0, v[105:106]
	s_waitcnt vmcnt(0)
	v_cmp_eq_f64_e64 s[0:1], 0, v[107:108]
	buffer_load_dword v105, off, s[20:23], 0 offset:776 ; 4-byte Folded Reload
	buffer_load_dword v106, off, s[20:23], 0 offset:780 ; 4-byte Folded Reload
	buffer_load_dword v107, off, s[20:23], 0 offset:784 ; 4-byte Folded Reload
	buffer_load_dword v108, off, s[20:23], 0 offset:788 ; 4-byte Folded Reload
	s_and_b64 s[0:1], vcc, s[0:1]
	v_cmp_eq_u32_e32 vcc, 0, v89
	s_and_b64 s[0:1], s[0:1], vcc
	v_cndmask_b32_e64 v89, v89, 25, s[0:1]
	s_waitcnt vmcnt(2)
	v_cmp_eq_f64_e32 vcc, 0, v[105:106]
	s_waitcnt vmcnt(0)
	v_cmp_eq_f64_e64 s[0:1], 0, v[107:108]
	buffer_load_dword v105, off, s[20:23], 0 offset:792 ; 4-byte Folded Reload
	buffer_load_dword v106, off, s[20:23], 0 offset:796 ; 4-byte Folded Reload
	buffer_load_dword v107, off, s[20:23], 0 offset:800 ; 4-byte Folded Reload
	buffer_load_dword v108, off, s[20:23], 0 offset:804 ; 4-byte Folded Reload
	s_and_b64 s[0:1], vcc, s[0:1]
	v_cmp_eq_u32_e32 vcc, 0, v89
	s_and_b64 s[0:1], s[0:1], vcc
	v_cndmask_b32_e64 v89, v89, 26, s[0:1]
	s_waitcnt vmcnt(2)
	v_cmp_eq_f64_e32 vcc, 0, v[105:106]
	s_waitcnt vmcnt(0)
	v_cmp_eq_f64_e64 s[0:1], 0, v[107:108]
	buffer_load_dword v105, off, s[20:23], 0 offset:808 ; 4-byte Folded Reload
	buffer_load_dword v106, off, s[20:23], 0 offset:812 ; 4-byte Folded Reload
	buffer_load_dword v107, off, s[20:23], 0 offset:816 ; 4-byte Folded Reload
	buffer_load_dword v108, off, s[20:23], 0 offset:820 ; 4-byte Folded Reload
	s_and_b64 s[0:1], vcc, s[0:1]
	v_cmp_eq_u32_e32 vcc, 0, v89
	s_and_b64 s[0:1], s[0:1], vcc
	v_cndmask_b32_e64 v89, v89, 27, s[0:1]
	s_waitcnt vmcnt(2)
	v_cmp_eq_f64_e32 vcc, 0, v[105:106]
	s_waitcnt vmcnt(0)
	v_cmp_eq_f64_e64 s[0:1], 0, v[107:108]
	buffer_load_dword v105, off, s[20:23], 0 offset:824 ; 4-byte Folded Reload
	buffer_load_dword v106, off, s[20:23], 0 offset:828 ; 4-byte Folded Reload
	buffer_load_dword v107, off, s[20:23], 0 offset:832 ; 4-byte Folded Reload
	buffer_load_dword v108, off, s[20:23], 0 offset:836 ; 4-byte Folded Reload
	s_and_b64 s[0:1], vcc, s[0:1]
	v_cmp_eq_u32_e32 vcc, 0, v89
	s_and_b64 s[0:1], s[0:1], vcc
	v_cndmask_b32_e64 v89, v89, 28, s[0:1]
	s_waitcnt vmcnt(2)
	v_cmp_eq_f64_e32 vcc, 0, v[105:106]
	s_waitcnt vmcnt(0)
	v_cmp_eq_f64_e64 s[0:1], 0, v[107:108]
	s_and_b64 s[0:1], vcc, s[0:1]
	v_cmp_eq_u32_e32 vcc, 0, v89
	s_and_b64 s[0:1], s[0:1], vcc
	v_cndmask_b32_e64 v89, v89, 29, s[0:1]
	v_cmp_eq_f64_e64 s[0:1], 0, v[87:88]
	buffer_load_dword v87, off, s[20:23], 0 offset:848 ; 4-byte Folded Reload
	buffer_load_dword v88, off, s[20:23], 0 offset:852 ; 4-byte Folded Reload
	v_cmp_eq_f64_e32 vcc, 0, v[85:86]
	s_and_b64 s[0:1], vcc, s[0:1]
	v_cmp_eq_u32_e32 vcc, 0, v89
	s_and_b64 s[0:1], s[0:1], vcc
	v_cndmask_b32_e64 v89, v89, 30, s[0:1]
	v_cmp_eq_f64_e32 vcc, 0, v[121:122]
	v_cmp_eq_f64_e64 s[0:1], 0, v[123:124]
	s_and_b64 s[0:1], vcc, s[0:1]
	v_cmp_eq_u32_e32 vcc, 0, v89
	s_and_b64 s[0:1], s[0:1], vcc
	v_cndmask_b32_e64 v89, v89, 31, s[0:1]
	v_cmp_eq_f64_e32 vcc, 0, v[97:98]
	v_cmp_eq_f64_e64 s[0:1], 0, v[99:100]
	s_and_b64 s[0:1], vcc, s[0:1]
	v_cmp_eq_u32_e32 vcc, 0, v89
	s_and_b64 s[0:1], s[0:1], vcc
	v_cndmask_b32_e64 v89, v89, 32, s[0:1]
	v_cmp_eq_f64_e32 vcc, 0, v[101:102]
	v_cmp_eq_f64_e64 s[0:1], 0, v[103:104]
	s_and_b64 s[0:1], vcc, s[0:1]
	v_cmp_eq_u32_e32 vcc, 0, v89
	s_and_b64 s[0:1], s[0:1], vcc
	v_cndmask_b32_e64 v99, v89, 33, s[0:1]
	v_cmp_ne_u32_e64 s[0:1], 0, v99
	s_waitcnt vmcnt(0)
	v_lshlrev_b64 v[89:90], 2, v[87:88]
	v_add_co_u32_e32 v97, vcc, s10, v89
	v_mov_b32_e32 v89, s11
	v_addc_co_u32_e32 v98, vcc, v89, v90, vcc
	global_load_dword v89, v[97:98], off
	s_waitcnt vmcnt(0)
	v_cmp_eq_u32_e32 vcc, 0, v89
	s_and_b64 s[0:1], vcc, s[0:1]
	s_and_b64 exec, exec, s[0:1]
	s_cbranch_execz .LBB65_299
; %bb.298:
	v_add_u32_e32 v89, s13, v99
	global_store_dword v[97:98], v89, off
.LBB65_299:
	s_or_b64 exec, exec, s[2:3]
	buffer_load_dword v87, off, s[20:23], 0 offset:360 ; 4-byte Folded Reload
	buffer_load_dword v88, off, s[20:23], 0 offset:364 ; 4-byte Folded Reload
	;; [unrolled: 1-line block ×6, first 2 shown]
	v_cmp_lt_u32_e32 vcc, 32, v0
	s_waitcnt vmcnt(0)
	global_store_dwordx4 v[87:88], v[97:100], off
	buffer_load_dword v87, off, s[20:23], 0 offset:368 ; 4-byte Folded Reload
	s_nop 0
	buffer_load_dword v88, off, s[20:23], 0 offset:372 ; 4-byte Folded Reload
	buffer_load_dword v97, off, s[20:23], 0 offset:80 ; 4-byte Folded Reload
	;; [unrolled: 1-line block ×5, first 2 shown]
	s_waitcnt vmcnt(0)
	global_store_dwordx4 v[87:88], v[97:100], off
	buffer_load_dword v87, off, s[20:23], 0 offset:64 ; 4-byte Folded Reload
	s_nop 0
	buffer_load_dword v88, off, s[20:23], 0 offset:68 ; 4-byte Folded Reload
	buffer_load_dword v89, off, s[20:23], 0 offset:72 ; 4-byte Folded Reload
	;; [unrolled: 1-line block ×3, first 2 shown]
	s_waitcnt vmcnt(0)
	global_store_dwordx4 v[91:92], v[87:90], off
	buffer_load_dword v87, off, s[20:23], 0 offset:112 ; 4-byte Folded Reload
	s_nop 0
	buffer_load_dword v88, off, s[20:23], 0 offset:116 ; 4-byte Folded Reload
	buffer_load_dword v89, off, s[20:23], 0 offset:48 ; 4-byte Folded Reload
	;; [unrolled: 1-line block ×5, first 2 shown]
	s_waitcnt vmcnt(0)
	global_store_dwordx4 v[87:88], v[89:92], off
	buffer_load_dword v87, off, s[20:23], 0 offset:32 ; 4-byte Folded Reload
	s_nop 0
	buffer_load_dword v88, off, s[20:23], 0 offset:36 ; 4-byte Folded Reload
	buffer_load_dword v89, off, s[20:23], 0 offset:40 ; 4-byte Folded Reload
	;; [unrolled: 1-line block ×5, first 2 shown]
	v_mul_f64 v[91:92], v[103:104], v[115:116]
	v_fma_f64 v[91:92], v[101:102], v[113:114], -v[91:92]
	v_cndmask_b32_e32 v98, v114, v92, vcc
	v_cndmask_b32_e32 v97, v113, v91, vcc
	s_waitcnt vmcnt(0)
	global_store_dwordx4 v[85:86], v[87:90], off
	buffer_load_dword v85, off, s[20:23], 0 offset:120 ; 4-byte Folded Reload
	s_nop 0
	buffer_load_dword v86, off, s[20:23], 0 offset:124 ; 4-byte Folded Reload
	buffer_load_dword v87, off, s[20:23], 0 offset:16 ; 4-byte Folded Reload
	;; [unrolled: 1-line block ×5, first 2 shown]
	s_waitcnt vmcnt(0)
	global_store_dwordx4 v[85:86], v[87:90], off
	buffer_load_dword v85, off, s[20:23], 0 offset:128 ; 4-byte Folded Reload
	s_nop 0
	buffer_load_dword v86, off, s[20:23], 0 offset:132 ; 4-byte Folded Reload
	buffer_load_dword v87, off, s[20:23], 0 ; 4-byte Folded Reload
	buffer_load_dword v88, off, s[20:23], 0 offset:4 ; 4-byte Folded Reload
	buffer_load_dword v89, off, s[20:23], 0 offset:8 ; 4-byte Folded Reload
	;; [unrolled: 1-line block ×3, first 2 shown]
	s_waitcnt vmcnt(0)
	global_store_dwordx4 v[85:86], v[87:90], off
	buffer_load_dword v85, off, s[20:23], 0 offset:136 ; 4-byte Folded Reload
	s_nop 0
	buffer_load_dword v86, off, s[20:23], 0 offset:140 ; 4-byte Folded Reload
	buffer_load_dword v87, off, s[20:23], 0 offset:344 ; 4-byte Folded Reload
	;; [unrolled: 1-line block ×5, first 2 shown]
	s_waitcnt vmcnt(0)
	global_store_dwordx4 v[85:86], v[87:90], off
	buffer_load_dword v85, off, s[20:23], 0 offset:144 ; 4-byte Folded Reload
	s_nop 0
	buffer_load_dword v86, off, s[20:23], 0 offset:148 ; 4-byte Folded Reload
	v_mul_f64 v[89:90], v[101:102], v[115:116]
	v_fma_f64 v[89:90], v[103:104], v[113:114], v[89:90]
	v_cndmask_b32_e32 v100, v116, v90, vcc
	v_cndmask_b32_e32 v99, v115, v89, vcc
	s_waitcnt vmcnt(0)
	global_store_dwordx4 v[85:86], v[109:112], off
	buffer_load_dword v85, off, s[20:23], 0 offset:152 ; 4-byte Folded Reload
	s_nop 0
	buffer_load_dword v86, off, s[20:23], 0 offset:156 ; 4-byte Folded Reload
	s_waitcnt vmcnt(0)
	global_store_dwordx4 v[85:86], v[117:120], off
	buffer_load_dword v85, off, s[20:23], 0 offset:160 ; 4-byte Folded Reload
	s_nop 0
	buffer_load_dword v86, off, s[20:23], 0 offset:164 ; 4-byte Folded Reload
	s_waitcnt vmcnt(0)
	global_store_dwordx4 v[85:86], v[93:96], off
	buffer_load_dword v85, off, s[20:23], 0 offset:168 ; 4-byte Folded Reload
	s_nop 0
	buffer_load_dword v86, off, s[20:23], 0 offset:172 ; 4-byte Folded Reload
	s_waitcnt vmcnt(0)
	global_store_dwordx4 v[85:86], v[81:84], off
	buffer_load_dword v81, off, s[20:23], 0 offset:176 ; 4-byte Folded Reload
	s_nop 0
	buffer_load_dword v82, off, s[20:23], 0 offset:180 ; 4-byte Folded Reload
	s_waitcnt vmcnt(0)
	global_store_dwordx4 v[81:82], v[77:80], off
	buffer_load_dword v77, off, s[20:23], 0 offset:184 ; 4-byte Folded Reload
	s_nop 0
	buffer_load_dword v78, off, s[20:23], 0 offset:188 ; 4-byte Folded Reload
	s_waitcnt vmcnt(0)
	global_store_dwordx4 v[77:78], v[73:76], off
	buffer_load_dword v73, off, s[20:23], 0 offset:192 ; 4-byte Folded Reload
	s_nop 0
	buffer_load_dword v74, off, s[20:23], 0 offset:196 ; 4-byte Folded Reload
	s_waitcnt vmcnt(0)
	global_store_dwordx4 v[73:74], v[69:72], off
	buffer_load_dword v69, off, s[20:23], 0 offset:200 ; 4-byte Folded Reload
	s_nop 0
	buffer_load_dword v70, off, s[20:23], 0 offset:204 ; 4-byte Folded Reload
	s_waitcnt vmcnt(0)
	global_store_dwordx4 v[69:70], v[65:68], off
	buffer_load_dword v65, off, s[20:23], 0 offset:208 ; 4-byte Folded Reload
	s_nop 0
	buffer_load_dword v66, off, s[20:23], 0 offset:212 ; 4-byte Folded Reload
	s_waitcnt vmcnt(0)
	global_store_dwordx4 v[65:66], v[61:64], off
	buffer_load_dword v61, off, s[20:23], 0 offset:216 ; 4-byte Folded Reload
	s_nop 0
	buffer_load_dword v62, off, s[20:23], 0 offset:220 ; 4-byte Folded Reload
	s_waitcnt vmcnt(0)
	global_store_dwordx4 v[61:62], v[57:60], off
	buffer_load_dword v57, off, s[20:23], 0 offset:224 ; 4-byte Folded Reload
	s_nop 0
	buffer_load_dword v58, off, s[20:23], 0 offset:228 ; 4-byte Folded Reload
	s_waitcnt vmcnt(0)
	global_store_dwordx4 v[57:58], v[53:56], off
	buffer_load_dword v53, off, s[20:23], 0 offset:232 ; 4-byte Folded Reload
	s_nop 0
	buffer_load_dword v54, off, s[20:23], 0 offset:236 ; 4-byte Folded Reload
	s_waitcnt vmcnt(0)
	global_store_dwordx4 v[53:54], v[49:52], off
	buffer_load_dword v49, off, s[20:23], 0 offset:240 ; 4-byte Folded Reload
	s_nop 0
	buffer_load_dword v50, off, s[20:23], 0 offset:244 ; 4-byte Folded Reload
	s_waitcnt vmcnt(0)
	global_store_dwordx4 v[49:50], v[45:48], off
	buffer_load_dword v45, off, s[20:23], 0 offset:248 ; 4-byte Folded Reload
	s_nop 0
	buffer_load_dword v46, off, s[20:23], 0 offset:252 ; 4-byte Folded Reload
	s_waitcnt vmcnt(0)
	global_store_dwordx4 v[45:46], v[41:44], off
	buffer_load_dword v41, off, s[20:23], 0 offset:256 ; 4-byte Folded Reload
	s_nop 0
	buffer_load_dword v42, off, s[20:23], 0 offset:260 ; 4-byte Folded Reload
	s_waitcnt vmcnt(0)
	global_store_dwordx4 v[41:42], v[37:40], off
	buffer_load_dword v37, off, s[20:23], 0 offset:264 ; 4-byte Folded Reload
	s_nop 0
	buffer_load_dword v38, off, s[20:23], 0 offset:268 ; 4-byte Folded Reload
	s_waitcnt vmcnt(0)
	global_store_dwordx4 v[37:38], v[33:36], off
	buffer_load_dword v33, off, s[20:23], 0 offset:272 ; 4-byte Folded Reload
	s_nop 0
	buffer_load_dword v34, off, s[20:23], 0 offset:276 ; 4-byte Folded Reload
	s_waitcnt vmcnt(0)
	global_store_dwordx4 v[33:34], v[29:32], off
	buffer_load_dword v29, off, s[20:23], 0 offset:280 ; 4-byte Folded Reload
	s_nop 0
	buffer_load_dword v30, off, s[20:23], 0 offset:284 ; 4-byte Folded Reload
	s_waitcnt vmcnt(0)
	global_store_dwordx4 v[29:30], v[25:28], off
	buffer_load_dword v25, off, s[20:23], 0 offset:288 ; 4-byte Folded Reload
	s_nop 0
	buffer_load_dword v26, off, s[20:23], 0 offset:292 ; 4-byte Folded Reload
	s_waitcnt vmcnt(0)
	global_store_dwordx4 v[25:26], v[21:24], off
	buffer_load_dword v21, off, s[20:23], 0 offset:296 ; 4-byte Folded Reload
	s_nop 0
	buffer_load_dword v22, off, s[20:23], 0 offset:300 ; 4-byte Folded Reload
	s_waitcnt vmcnt(0)
	global_store_dwordx4 v[21:22], v[17:20], off
	buffer_load_dword v17, off, s[20:23], 0 offset:304 ; 4-byte Folded Reload
	s_nop 0
	buffer_load_dword v18, off, s[20:23], 0 offset:308 ; 4-byte Folded Reload
	s_waitcnt vmcnt(0)
	global_store_dwordx4 v[17:18], v[13:16], off
	buffer_load_dword v13, off, s[20:23], 0 offset:312 ; 4-byte Folded Reload
	s_nop 0
	buffer_load_dword v14, off, s[20:23], 0 offset:316 ; 4-byte Folded Reload
	s_waitcnt vmcnt(0)
	global_store_dwordx4 v[13:14], v[9:12], off
	buffer_load_dword v9, off, s[20:23], 0 offset:320 ; 4-byte Folded Reload
	s_nop 0
	buffer_load_dword v10, off, s[20:23], 0 offset:324 ; 4-byte Folded Reload
	s_waitcnt vmcnt(0)
	global_store_dwordx4 v[9:10], v[5:8], off
	buffer_load_dword v5, off, s[20:23], 0 offset:328 ; 4-byte Folded Reload
	s_nop 0
	buffer_load_dword v6, off, s[20:23], 0 offset:332 ; 4-byte Folded Reload
	s_waitcnt vmcnt(0)
	global_store_dwordx4 v[5:6], v[1:4], off
	buffer_load_dword v0, off, s[20:23], 0 offset:336 ; 4-byte Folded Reload
	s_nop 0
	buffer_load_dword v1, off, s[20:23], 0 offset:340 ; 4-byte Folded Reload
	s_waitcnt vmcnt(0)
	global_store_dwordx4 v[0:1], v[97:100], off
.LBB65_300:
	s_endpgm
	.section	.rodata,"a",@progbits
	.p2align	6, 0x0
	.amdhsa_kernel _ZN9rocsolver6v33100L23getf2_npvt_small_kernelILi33E19rocblas_complex_numIdEiiPS3_EEvT1_T3_lS5_lPT2_S5_S5_
		.amdhsa_group_segment_fixed_size 0
		.amdhsa_private_segment_fixed_size 876
		.amdhsa_kernarg_size 312
		.amdhsa_user_sgpr_count 6
		.amdhsa_user_sgpr_private_segment_buffer 1
		.amdhsa_user_sgpr_dispatch_ptr 0
		.amdhsa_user_sgpr_queue_ptr 0
		.amdhsa_user_sgpr_kernarg_segment_ptr 1
		.amdhsa_user_sgpr_dispatch_id 0
		.amdhsa_user_sgpr_flat_scratch_init 0
		.amdhsa_user_sgpr_private_segment_size 0
		.amdhsa_uses_dynamic_stack 0
		.amdhsa_system_sgpr_private_segment_wavefront_offset 1
		.amdhsa_system_sgpr_workgroup_id_x 1
		.amdhsa_system_sgpr_workgroup_id_y 1
		.amdhsa_system_sgpr_workgroup_id_z 0
		.amdhsa_system_sgpr_workgroup_info 0
		.amdhsa_system_vgpr_workitem_id 1
		.amdhsa_next_free_vgpr 128
		.amdhsa_next_free_sgpr 24
		.amdhsa_reserve_vcc 1
		.amdhsa_reserve_flat_scratch 0
		.amdhsa_float_round_mode_32 0
		.amdhsa_float_round_mode_16_64 0
		.amdhsa_float_denorm_mode_32 3
		.amdhsa_float_denorm_mode_16_64 3
		.amdhsa_dx10_clamp 1
		.amdhsa_ieee_mode 1
		.amdhsa_fp16_overflow 0
		.amdhsa_exception_fp_ieee_invalid_op 0
		.amdhsa_exception_fp_denorm_src 0
		.amdhsa_exception_fp_ieee_div_zero 0
		.amdhsa_exception_fp_ieee_overflow 0
		.amdhsa_exception_fp_ieee_underflow 0
		.amdhsa_exception_fp_ieee_inexact 0
		.amdhsa_exception_int_div_zero 0
	.end_amdhsa_kernel
	.section	.text._ZN9rocsolver6v33100L23getf2_npvt_small_kernelILi33E19rocblas_complex_numIdEiiPS3_EEvT1_T3_lS5_lPT2_S5_S5_,"axG",@progbits,_ZN9rocsolver6v33100L23getf2_npvt_small_kernelILi33E19rocblas_complex_numIdEiiPS3_EEvT1_T3_lS5_lPT2_S5_S5_,comdat
.Lfunc_end65:
	.size	_ZN9rocsolver6v33100L23getf2_npvt_small_kernelILi33E19rocblas_complex_numIdEiiPS3_EEvT1_T3_lS5_lPT2_S5_S5_, .Lfunc_end65-_ZN9rocsolver6v33100L23getf2_npvt_small_kernelILi33E19rocblas_complex_numIdEiiPS3_EEvT1_T3_lS5_lPT2_S5_S5_
                                        ; -- End function
	.set _ZN9rocsolver6v33100L23getf2_npvt_small_kernelILi33E19rocblas_complex_numIdEiiPS3_EEvT1_T3_lS5_lPT2_S5_S5_.num_vgpr, 128
	.set _ZN9rocsolver6v33100L23getf2_npvt_small_kernelILi33E19rocblas_complex_numIdEiiPS3_EEvT1_T3_lS5_lPT2_S5_S5_.num_agpr, 0
	.set _ZN9rocsolver6v33100L23getf2_npvt_small_kernelILi33E19rocblas_complex_numIdEiiPS3_EEvT1_T3_lS5_lPT2_S5_S5_.numbered_sgpr, 24
	.set _ZN9rocsolver6v33100L23getf2_npvt_small_kernelILi33E19rocblas_complex_numIdEiiPS3_EEvT1_T3_lS5_lPT2_S5_S5_.num_named_barrier, 0
	.set _ZN9rocsolver6v33100L23getf2_npvt_small_kernelILi33E19rocblas_complex_numIdEiiPS3_EEvT1_T3_lS5_lPT2_S5_S5_.private_seg_size, 876
	.set _ZN9rocsolver6v33100L23getf2_npvt_small_kernelILi33E19rocblas_complex_numIdEiiPS3_EEvT1_T3_lS5_lPT2_S5_S5_.uses_vcc, 1
	.set _ZN9rocsolver6v33100L23getf2_npvt_small_kernelILi33E19rocblas_complex_numIdEiiPS3_EEvT1_T3_lS5_lPT2_S5_S5_.uses_flat_scratch, 0
	.set _ZN9rocsolver6v33100L23getf2_npvt_small_kernelILi33E19rocblas_complex_numIdEiiPS3_EEvT1_T3_lS5_lPT2_S5_S5_.has_dyn_sized_stack, 0
	.set _ZN9rocsolver6v33100L23getf2_npvt_small_kernelILi33E19rocblas_complex_numIdEiiPS3_EEvT1_T3_lS5_lPT2_S5_S5_.has_recursion, 0
	.set _ZN9rocsolver6v33100L23getf2_npvt_small_kernelILi33E19rocblas_complex_numIdEiiPS3_EEvT1_T3_lS5_lPT2_S5_S5_.has_indirect_call, 0
	.section	.AMDGPU.csdata,"",@progbits
; Kernel info:
; codeLenInByte = 67532
; TotalNumSgprs: 28
; NumVgprs: 128
; ScratchSize: 876
; MemoryBound: 1
; FloatMode: 240
; IeeeMode: 1
; LDSByteSize: 0 bytes/workgroup (compile time only)
; SGPRBlocks: 3
; VGPRBlocks: 31
; NumSGPRsForWavesPerEU: 28
; NumVGPRsForWavesPerEU: 128
; Occupancy: 2
; WaveLimiterHint : 0
; COMPUTE_PGM_RSRC2:SCRATCH_EN: 1
; COMPUTE_PGM_RSRC2:USER_SGPR: 6
; COMPUTE_PGM_RSRC2:TRAP_HANDLER: 0
; COMPUTE_PGM_RSRC2:TGID_X_EN: 1
; COMPUTE_PGM_RSRC2:TGID_Y_EN: 1
; COMPUTE_PGM_RSRC2:TGID_Z_EN: 0
; COMPUTE_PGM_RSRC2:TIDIG_COMP_CNT: 1
	.section	.text._ZN9rocsolver6v33100L18getf2_small_kernelILi34E19rocblas_complex_numIdEiiPS3_EEvT1_T3_lS5_lPS5_llPT2_S5_S5_S7_l,"axG",@progbits,_ZN9rocsolver6v33100L18getf2_small_kernelILi34E19rocblas_complex_numIdEiiPS3_EEvT1_T3_lS5_lPS5_llPT2_S5_S5_S7_l,comdat
	.globl	_ZN9rocsolver6v33100L18getf2_small_kernelILi34E19rocblas_complex_numIdEiiPS3_EEvT1_T3_lS5_lPS5_llPT2_S5_S5_S7_l ; -- Begin function _ZN9rocsolver6v33100L18getf2_small_kernelILi34E19rocblas_complex_numIdEiiPS3_EEvT1_T3_lS5_lPS5_llPT2_S5_S5_S7_l
	.p2align	8
	.type	_ZN9rocsolver6v33100L18getf2_small_kernelILi34E19rocblas_complex_numIdEiiPS3_EEvT1_T3_lS5_lPS5_llPT2_S5_S5_S7_l,@function
_ZN9rocsolver6v33100L18getf2_small_kernelILi34E19rocblas_complex_numIdEiiPS3_EEvT1_T3_lS5_lPS5_llPT2_S5_S5_S7_l: ; @_ZN9rocsolver6v33100L18getf2_small_kernelILi34E19rocblas_complex_numIdEiiPS3_EEvT1_T3_lS5_lPS5_llPT2_S5_S5_S7_l
; %bb.0:
	s_mov_b64 s[26:27], s[2:3]
	s_mov_b64 s[24:25], s[0:1]
	s_load_dword s0, s[4:5], 0x6c
	s_load_dwordx2 s[16:17], s[4:5], 0x48
	s_add_u32 s24, s24, s8
	s_addc_u32 s25, s25, 0
	s_waitcnt lgkmcnt(0)
	s_lshr_b32 s0, s0, 16
	s_mul_i32 s7, s7, s0
	v_add_u32_e32 v6, s7, v1
	v_cmp_gt_i32_e32 vcc, s16, v6
	s_and_saveexec_b64 s[0:1], vcc
	s_cbranch_execz .LBB66_715
; %bb.1:
	s_load_dwordx4 s[0:3], s[4:5], 0x50
	v_mov_b32_e32 v2, 0
	v_ashrrev_i32_e32 v7, 31, v6
	v_mov_b32_e32 v3, 0
	buffer_store_dword v2, off, s[24:27], 0 offset:96 ; 4-byte Folded Spill
	s_nop 0
	buffer_store_dword v3, off, s[24:27], 0 offset:100 ; 4-byte Folded Spill
	s_waitcnt lgkmcnt(0)
	s_cmp_eq_u64 s[0:1], 0
	s_cselect_b64 s[6:7], -1, 0
	s_and_b64 vcc, exec, s[6:7]
	s_cbranch_vccnz .LBB66_3
; %bb.2:
	v_mul_lo_u32 v4, s3, v6
	v_mul_lo_u32 v5, s2, v7
	v_mad_u64_u32 v[2:3], s[2:3], s2, v6, 0
	v_add3_u32 v3, v3, v5, v4
	v_lshlrev_b64 v[2:3], 2, v[2:3]
	v_mov_b32_e32 v4, s1
	v_add_co_u32_e32 v2, vcc, s0, v2
	v_addc_co_u32_e32 v3, vcc, v4, v3, vcc
	buffer_store_dword v2, off, s[24:27], 0 offset:96 ; 4-byte Folded Spill
	s_nop 0
	buffer_store_dword v3, off, s[24:27], 0 offset:100 ; 4-byte Folded Spill
.LBB66_3:
	s_load_dwordx8 s[8:15], s[4:5], 0x20
	s_load_dwordx4 s[20:23], s[4:5], 0x8
	s_load_dword s2, s[4:5], 0x18
	v_lshlrev_b32_e32 v48, 4, v0
	s_waitcnt lgkmcnt(0)
	v_mul_lo_u32 v4, s9, v6
	v_mul_lo_u32 v5, s8, v7
	buffer_store_dword v6, off, s[24:27], 0 offset:136 ; 4-byte Folded Spill
	s_nop 0
	buffer_store_dword v7, off, s[24:27], 0 offset:140 ; 4-byte Folded Spill
	s_add_i32 s16, s2, s2
	s_ashr_i32 s3, s2, 31
	v_mad_u64_u32 v[2:3], s[0:1], s8, v6, 0
	v_mov_b32_e32 v6, s21
	s_lshl_b64 s[0:1], s[22:23], 4
	v_add3_u32 v3, v3, v5, v4
	v_lshlrev_b64 v[2:3], 4, v[2:3]
	v_mov_b32_e32 v4, s1
	v_add_co_u32_e32 v2, vcc, s20, v2
	v_addc_co_u32_e32 v3, vcc, v6, v3, vcc
	v_add_co_u32_e32 v127, vcc, s0, v2
	v_addc_co_u32_e32 v105, vcc, v3, v4, vcc
	v_add_u32_e32 v4, s16, v0
	v_ashrrev_i32_e32 v5, 31, v4
	v_lshlrev_b64 v[2:3], 4, v[4:5]
	v_add_u32_e32 v6, s2, v4
	v_ashrrev_i32_e32 v7, 31, v6
	v_add_co_u32_e32 v2, vcc, v127, v2
	v_lshlrev_b64 v[4:5], 4, v[6:7]
	v_add_u32_e32 v8, s2, v6
	v_addc_co_u32_e32 v3, vcc, v105, v3, vcc
	v_ashrrev_i32_e32 v9, 31, v8
	v_add_co_u32_e32 v4, vcc, v127, v4
	v_lshlrev_b64 v[6:7], 4, v[8:9]
	v_add_u32_e32 v10, s2, v8
	v_addc_co_u32_e32 v5, vcc, v105, v5, vcc
	;; [unrolled: 5-line block ×20, first 2 shown]
	v_ashrrev_i32_e32 v45, 31, v44
	v_add_co_u32_e32 v42, vcc, v127, v42
	v_lshlrev_b64 v[45:46], 4, v[44:45]
	v_addc_co_u32_e32 v43, vcc, v105, v43, vcc
	v_add_u32_e32 v44, s2, v44
	v_add_co_u32_e32 v93, vcc, v127, v45
	v_ashrrev_i32_e32 v45, 31, v44
	v_addc_co_u32_e32 v94, vcc, v105, v46, vcc
	v_lshlrev_b64 v[45:46], 4, v[44:45]
	v_add_u32_e32 v44, s2, v44
	v_add_co_u32_e32 v95, vcc, v127, v45
	v_ashrrev_i32_e32 v45, 31, v44
	v_addc_co_u32_e32 v96, vcc, v105, v46, vcc
	v_lshlrev_b64 v[45:46], 4, v[44:45]
	v_add_u32_e32 v44, s2, v44
	v_add_co_u32_e32 v121, vcc, v127, v45
	v_ashrrev_i32_e32 v45, 31, v44
	v_addc_co_u32_e32 v122, vcc, v105, v46, vcc
	v_lshlrev_b64 v[45:46], 4, v[44:45]
	v_add_u32_e32 v44, s2, v44
	v_add_co_u32_e32 v123, vcc, v127, v45
	v_ashrrev_i32_e32 v45, 31, v44
	v_addc_co_u32_e32 v124, vcc, v105, v46, vcc
	v_lshlrev_b64 v[45:46], 4, v[44:45]
	v_add_u32_e32 v44, s2, v44
	v_add_co_u32_e32 v125, vcc, v127, v45
	v_ashrrev_i32_e32 v45, 31, v44
	v_addc_co_u32_e32 v126, vcc, v105, v46, vcc
	v_lshlrev_b64 v[45:46], 4, v[44:45]
	v_add_u32_e32 v44, s2, v44
	v_add_co_u32_e32 v117, vcc, v127, v45
	v_ashrrev_i32_e32 v45, 31, v44
	v_addc_co_u32_e32 v118, vcc, v105, v46, vcc
	v_lshlrev_b64 v[45:46], 4, v[44:45]
	v_add_u32_e32 v44, s2, v44
	v_add_co_u32_e32 v119, vcc, v127, v45
	v_ashrrev_i32_e32 v45, 31, v44
	v_addc_co_u32_e32 v120, vcc, v105, v46, vcc
	v_lshlrev_b64 v[45:46], 4, v[44:45]
	v_add_u32_e32 v44, s2, v44
	v_add_co_u32_e32 v113, vcc, v127, v45
	v_ashrrev_i32_e32 v45, 31, v44
	v_addc_co_u32_e32 v114, vcc, v105, v46, vcc
	v_lshlrev_b64 v[45:46], 4, v[44:45]
	v_add_u32_e32 v44, s2, v44
	v_add_co_u32_e32 v115, vcc, v127, v45
	v_ashrrev_i32_e32 v45, 31, v44
	s_lshl_b64 s[8:9], s[2:3], 4
	s_load_dword s3, s[4:5], 0x0
	v_addc_co_u32_e32 v116, vcc, v105, v46, vcc
	v_lshlrev_b64 v[45:46], 4, v[44:45]
	v_add_u32_e32 v44, s2, v44
	v_add_co_u32_e32 v109, vcc, v127, v45
	v_ashrrev_i32_e32 v45, 31, v44
	v_lshlrev_b64 v[44:45], 4, v[44:45]
	v_addc_co_u32_e32 v110, vcc, v105, v46, vcc
	s_waitcnt lgkmcnt(0)
	s_max_i32 s0, s3, 34
	v_add_co_u32_e32 v111, vcc, v127, v44
	v_mul_lo_u32 v107, s0, v1
	v_addc_co_u32_e32 v112, vcc, v105, v45, vcc
	v_add_co_u32_e32 v46, vcc, v127, v48
	v_addc_co_u32_e32 v47, vcc, 0, v105, vcc
	v_mov_b32_e32 v45, s9
	v_add_co_u32_e32 v44, vcc, s8, v46
	v_lshl_add_u32 v106, v107, 4, 0
	v_addc_co_u32_e32 v45, vcc, v47, v45, vcc
	v_add_u32_e32 v1, v106, v48
	global_load_dwordx4 v[46:49], v[46:47], off
	s_nop 0
	global_load_dwordx4 v[50:53], v[44:45], off
	s_waitcnt vmcnt(0)
	buffer_store_dword v50, off, s[24:27], 0 offset:104 ; 4-byte Folded Spill
	s_nop 0
	buffer_store_dword v51, off, s[24:27], 0 offset:108 ; 4-byte Folded Spill
	buffer_store_dword v52, off, s[24:27], 0 offset:112 ; 4-byte Folded Spill
	;; [unrolled: 1-line block ×4, first 2 shown]
	s_nop 0
	buffer_store_dword v47, off, s[24:27], 0 offset:124 ; 4-byte Folded Spill
	buffer_store_dword v48, off, s[24:27], 0 offset:128 ; 4-byte Folded Spill
	;; [unrolled: 1-line block ×3, first 2 shown]
	s_load_dwordx2 s[4:5], s[4:5], 0x40
	s_cmp_lt_i32 s3, 2
	ds_write2_b64 v1, v[46:47], v[48:49] offset1:1
	global_load_dwordx4 v[44:47], v[2:3], off
	s_waitcnt vmcnt(0)
	buffer_store_dword v44, off, s[24:27], 0 offset:80 ; 4-byte Folded Spill
	s_nop 0
	buffer_store_dword v45, off, s[24:27], 0 offset:84 ; 4-byte Folded Spill
	buffer_store_dword v46, off, s[24:27], 0 offset:88 ; 4-byte Folded Spill
	buffer_store_dword v47, off, s[24:27], 0 offset:92 ; 4-byte Folded Spill
	global_load_dwordx4 v[1:4], v[4:5], off
	s_waitcnt vmcnt(0)
	buffer_store_dword v1, off, s[24:27], 0 offset:64 ; 4-byte Folded Spill
	s_nop 0
	buffer_store_dword v2, off, s[24:27], 0 offset:68 ; 4-byte Folded Spill
	buffer_store_dword v3, off, s[24:27], 0 offset:72 ; 4-byte Folded Spill
	buffer_store_dword v4, off, s[24:27], 0 offset:76 ; 4-byte Folded Spill
	;; [unrolled: 7-line block ×5, first 2 shown]
	global_load_dwordx4 v[1:4], v[12:13], off
	s_waitcnt vmcnt(0)
	buffer_store_dword v1, off, s[24:27], 0 ; 4-byte Folded Spill
	s_nop 0
	buffer_store_dword v2, off, s[24:27], 0 offset:4 ; 4-byte Folded Spill
	buffer_store_dword v3, off, s[24:27], 0 offset:8 ; 4-byte Folded Spill
	;; [unrolled: 1-line block ×3, first 2 shown]
	global_load_dwordx4 v[101:104], v[14:15], off
	global_load_dwordx4 v[97:100], v[16:17], off
	;; [unrolled: 1-line block ×14, first 2 shown]
	s_nop 0
	global_load_dwordx4 v[41:44], v[42:43], off
	s_nop 0
	global_load_dwordx4 v[37:40], v[93:94], off
	global_load_dwordx4 v[33:36], v[95:96], off
	;; [unrolled: 1-line block ×11, first 2 shown]
	s_waitcnt vmcnt(0) lgkmcnt(0)
	s_barrier
	ds_read2_b64 v[121:124], v106 offset1:1
	v_lshlrev_b32_e32 v111, 4, v107
	v_mov_b32_e32 v109, 0
	s_cbranch_scc1 .LBB66_6
; %bb.4:
	v_add3_u32 v107, v111, 0, 16
	s_mov_b32 s0, 1
	v_mov_b32_e32 v109, 0
.LBB66_5:                               ; =>This Inner Loop Header: Depth=1
	s_waitcnt lgkmcnt(0)
	v_cmp_gt_f64_e32 vcc, 0, v[121:122]
	v_xor_b32_e32 v108, 0x80000000, v122
	ds_read2_b64 v[112:115], v107 offset1:1
	v_mov_b32_e32 v116, v121
	v_mov_b32_e32 v118, v123
	v_add_u32_e32 v107, 16, v107
	s_waitcnt lgkmcnt(0)
	v_mov_b32_e32 v125, v114
	v_cndmask_b32_e32 v117, v122, v108, vcc
	v_cmp_gt_f64_e32 vcc, 0, v[123:124]
	v_xor_b32_e32 v108, 0x80000000, v124
	v_cndmask_b32_e32 v119, v124, v108, vcc
	v_cmp_gt_f64_e32 vcc, 0, v[112:113]
	v_xor_b32_e32 v108, 0x80000000, v113
	v_add_f64 v[116:117], v[116:117], v[118:119]
	v_mov_b32_e32 v118, v112
	v_cndmask_b32_e32 v119, v113, v108, vcc
	v_cmp_gt_f64_e32 vcc, 0, v[114:115]
	v_xor_b32_e32 v108, 0x80000000, v115
	v_cndmask_b32_e32 v126, v115, v108, vcc
	v_add_f64 v[118:119], v[118:119], v[125:126]
	v_mov_b32_e32 v108, s0
	s_add_i32 s0, s0, 1
	s_cmp_eq_u32 s3, s0
	v_cmp_lt_f64_e32 vcc, v[116:117], v[118:119]
	v_cndmask_b32_e32 v122, v122, v113, vcc
	v_cndmask_b32_e32 v121, v121, v112, vcc
	;; [unrolled: 1-line block ×5, first 2 shown]
	s_cbranch_scc0 .LBB66_5
.LBB66_6:
	s_waitcnt lgkmcnt(0)
	v_cmp_neq_f64_e32 vcc, 0, v[121:122]
	v_cmp_neq_f64_e64 s[0:1], 0, v[123:124]
	v_mov_b32_e32 v107, 1
	v_mov_b32_e32 v112, 1
	s_or_b64 s[18:19], vcc, s[0:1]
	s_and_saveexec_b64 s[0:1], s[18:19]
	s_cbranch_execz .LBB66_12
; %bb.7:
	v_cmp_ngt_f64_e64 s[18:19], |v[121:122]|, |v[123:124]|
	s_and_saveexec_b64 s[20:21], s[18:19]
	s_xor_b64 s[18:19], exec, s[20:21]
	s_cbranch_execz .LBB66_9
; %bb.8:
	v_div_scale_f64 v[107:108], s[20:21], v[123:124], v[123:124], v[121:122]
	v_rcp_f64_e32 v[112:113], v[107:108]
	v_fma_f64 v[114:115], -v[107:108], v[112:113], 1.0
	v_fma_f64 v[112:113], v[112:113], v[114:115], v[112:113]
	v_div_scale_f64 v[114:115], vcc, v[121:122], v[123:124], v[121:122]
	v_fma_f64 v[116:117], -v[107:108], v[112:113], 1.0
	v_fma_f64 v[112:113], v[112:113], v[116:117], v[112:113]
	v_mul_f64 v[116:117], v[114:115], v[112:113]
	v_fma_f64 v[107:108], -v[107:108], v[116:117], v[114:115]
	v_div_fmas_f64 v[107:108], v[107:108], v[112:113], v[116:117]
	v_div_fixup_f64 v[107:108], v[107:108], v[123:124], v[121:122]
	v_fma_f64 v[112:113], v[121:122], v[107:108], v[123:124]
	v_div_scale_f64 v[114:115], s[20:21], v[112:113], v[112:113], 1.0
	v_div_scale_f64 v[120:121], vcc, 1.0, v[112:113], 1.0
	v_rcp_f64_e32 v[116:117], v[114:115]
	v_fma_f64 v[118:119], -v[114:115], v[116:117], 1.0
	v_fma_f64 v[116:117], v[116:117], v[118:119], v[116:117]
	v_fma_f64 v[118:119], -v[114:115], v[116:117], 1.0
	v_fma_f64 v[116:117], v[116:117], v[118:119], v[116:117]
	v_mul_f64 v[118:119], v[120:121], v[116:117]
	v_fma_f64 v[114:115], -v[114:115], v[118:119], v[120:121]
	v_div_fmas_f64 v[114:115], v[114:115], v[116:117], v[118:119]
	v_div_fixup_f64 v[123:124], v[114:115], v[112:113], 1.0
	v_mul_f64 v[121:122], v[107:108], v[123:124]
	v_xor_b32_e32 v124, 0x80000000, v124
.LBB66_9:
	s_andn2_saveexec_b64 s[18:19], s[18:19]
	s_cbranch_execz .LBB66_11
; %bb.10:
	v_div_scale_f64 v[107:108], s[20:21], v[121:122], v[121:122], v[123:124]
	v_rcp_f64_e32 v[112:113], v[107:108]
	v_fma_f64 v[114:115], -v[107:108], v[112:113], 1.0
	v_fma_f64 v[112:113], v[112:113], v[114:115], v[112:113]
	v_div_scale_f64 v[114:115], vcc, v[123:124], v[121:122], v[123:124]
	v_fma_f64 v[116:117], -v[107:108], v[112:113], 1.0
	v_fma_f64 v[112:113], v[112:113], v[116:117], v[112:113]
	v_mul_f64 v[116:117], v[114:115], v[112:113]
	v_fma_f64 v[107:108], -v[107:108], v[116:117], v[114:115]
	v_div_fmas_f64 v[107:108], v[107:108], v[112:113], v[116:117]
	v_div_fixup_f64 v[107:108], v[107:108], v[121:122], v[123:124]
	v_fma_f64 v[112:113], v[123:124], v[107:108], v[121:122]
	v_div_scale_f64 v[114:115], s[20:21], v[112:113], v[112:113], 1.0
	v_div_scale_f64 v[120:121], vcc, 1.0, v[112:113], 1.0
	v_rcp_f64_e32 v[116:117], v[114:115]
	v_fma_f64 v[118:119], -v[114:115], v[116:117], 1.0
	v_fma_f64 v[116:117], v[116:117], v[118:119], v[116:117]
	v_fma_f64 v[118:119], -v[114:115], v[116:117], 1.0
	v_fma_f64 v[116:117], v[116:117], v[118:119], v[116:117]
	v_mul_f64 v[118:119], v[120:121], v[116:117]
	v_fma_f64 v[114:115], -v[114:115], v[118:119], v[120:121]
	v_div_fmas_f64 v[114:115], v[114:115], v[116:117], v[118:119]
	v_div_fixup_f64 v[121:122], v[114:115], v[112:113], 1.0
	v_mul_f64 v[123:124], v[107:108], -v[121:122]
.LBB66_11:
	s_or_b64 exec, exec, s[18:19]
	v_mov_b32_e32 v112, 0
	v_mov_b32_e32 v107, 2
.LBB66_12:
	s_or_b64 exec, exec, s[0:1]
	v_cmp_ne_u32_e32 vcc, v0, v109
	s_and_saveexec_b64 s[0:1], vcc
	s_xor_b64 s[0:1], exec, s[0:1]
	s_cbranch_execz .LBB66_18
; %bb.13:
	v_cmp_eq_u32_e32 vcc, 0, v0
	s_and_saveexec_b64 s[18:19], vcc
	s_cbranch_execz .LBB66_17
; %bb.14:
	v_cmp_ne_u32_e32 vcc, 0, v109
	s_xor_b64 s[20:21], s[6:7], -1
	s_and_b64 s[22:23], s[20:21], vcc
	s_and_saveexec_b64 s[20:21], s[22:23]
	s_cbranch_execz .LBB66_16
; %bb.15:
	buffer_load_dword v115, off, s[24:27], 0 offset:96 ; 4-byte Folded Reload
	buffer_load_dword v116, off, s[24:27], 0 offset:100 ; 4-byte Folded Reload
	v_ashrrev_i32_e32 v110, 31, v109
	v_lshlrev_b64 v[113:114], 2, v[109:110]
	s_waitcnt vmcnt(1)
	v_add_co_u32_e32 v113, vcc, v115, v113
	s_waitcnt vmcnt(0)
	v_addc_co_u32_e32 v114, vcc, v116, v114, vcc
	global_load_dword v0, v[113:114], off
	global_load_dword v108, v[115:116], off
	s_waitcnt vmcnt(1)
	global_store_dword v[115:116], v0, off
	s_waitcnt vmcnt(1)
	global_store_dword v[113:114], v108, off
.LBB66_16:
	s_or_b64 exec, exec, s[20:21]
	v_mov_b32_e32 v0, v109
.LBB66_17:
	s_or_b64 exec, exec, s[18:19]
.LBB66_18:
	s_or_saveexec_b64 s[0:1], s[0:1]
	v_mov_b32_e32 v108, v0
	s_xor_b64 exec, exec, s[0:1]
	s_cbranch_execz .LBB66_20
; %bb.19:
	buffer_load_dword v113, off, s[24:27], 0 offset:104 ; 4-byte Folded Reload
	buffer_load_dword v114, off, s[24:27], 0 offset:108 ; 4-byte Folded Reload
	;; [unrolled: 1-line block ×4, first 2 shown]
	v_mov_b32_e32 v108, 0
	s_waitcnt vmcnt(0)
	ds_write2_b64 v106, v[113:114], v[115:116] offset0:2 offset1:3
	buffer_load_dword v113, off, s[24:27], 0 offset:80 ; 4-byte Folded Reload
	buffer_load_dword v114, off, s[24:27], 0 offset:84 ; 4-byte Folded Reload
	buffer_load_dword v115, off, s[24:27], 0 offset:88 ; 4-byte Folded Reload
	buffer_load_dword v116, off, s[24:27], 0 offset:92 ; 4-byte Folded Reload
	s_waitcnt vmcnt(0)
	ds_write2_b64 v106, v[113:114], v[115:116] offset0:4 offset1:5
	buffer_load_dword v113, off, s[24:27], 0 offset:64 ; 4-byte Folded Reload
	buffer_load_dword v114, off, s[24:27], 0 offset:68 ; 4-byte Folded Reload
	buffer_load_dword v115, off, s[24:27], 0 offset:72 ; 4-byte Folded Reload
	buffer_load_dword v116, off, s[24:27], 0 offset:76 ; 4-byte Folded Reload
	;; [unrolled: 6-line block ×5, first 2 shown]
	s_waitcnt vmcnt(0)
	ds_write2_b64 v106, v[113:114], v[115:116] offset0:12 offset1:13
	buffer_load_dword v113, off, s[24:27], 0 ; 4-byte Folded Reload
	buffer_load_dword v114, off, s[24:27], 0 offset:4 ; 4-byte Folded Reload
	buffer_load_dword v115, off, s[24:27], 0 offset:8 ; 4-byte Folded Reload
	;; [unrolled: 1-line block ×3, first 2 shown]
	s_waitcnt vmcnt(0)
	ds_write2_b64 v106, v[113:114], v[115:116] offset0:14 offset1:15
	ds_write2_b64 v106, v[101:102], v[103:104] offset0:16 offset1:17
	;; [unrolled: 1-line block ×27, first 2 shown]
.LBB66_20:
	s_or_b64 exec, exec, s[0:1]
	v_cmp_lt_i32_e32 vcc, 0, v108
	s_waitcnt vmcnt(0) lgkmcnt(0)
	s_barrier
	s_and_saveexec_b64 s[0:1], vcc
	s_cbranch_execz .LBB66_22
; %bb.21:
	buffer_load_dword v115, off, s[24:27], 0 offset:120 ; 4-byte Folded Reload
	buffer_load_dword v116, off, s[24:27], 0 offset:124 ; 4-byte Folded Reload
	;; [unrolled: 1-line block ×4, first 2 shown]
	s_waitcnt vmcnt(0)
	v_mul_f64 v[109:110], v[123:124], v[117:118]
	v_fma_f64 v[125:126], v[121:122], v[115:116], -v[109:110]
	v_mul_f64 v[109:110], v[121:122], v[117:118]
	v_fma_f64 v[117:118], v[123:124], v[115:116], v[109:110]
	ds_read2_b64 v[113:116], v106 offset0:2 offset1:3
	buffer_load_dword v119, off, s[24:27], 0 offset:104 ; 4-byte Folded Reload
	buffer_load_dword v120, off, s[24:27], 0 offset:108 ; 4-byte Folded Reload
	buffer_load_dword v121, off, s[24:27], 0 offset:112 ; 4-byte Folded Reload
	buffer_load_dword v122, off, s[24:27], 0 offset:116 ; 4-byte Folded Reload
	s_waitcnt lgkmcnt(0)
	v_mul_f64 v[109:110], v[115:116], v[117:118]
	v_fma_f64 v[109:110], v[113:114], v[125:126], -v[109:110]
	v_mul_f64 v[113:114], v[113:114], v[117:118]
	v_fma_f64 v[113:114], v[115:116], v[125:126], v[113:114]
	s_waitcnt vmcnt(2)
	v_add_f64 v[119:120], v[119:120], -v[109:110]
	s_waitcnt vmcnt(0)
	v_add_f64 v[121:122], v[121:122], -v[113:114]
	buffer_store_dword v119, off, s[24:27], 0 offset:104 ; 4-byte Folded Spill
	s_nop 0
	buffer_store_dword v120, off, s[24:27], 0 offset:108 ; 4-byte Folded Spill
	buffer_store_dword v121, off, s[24:27], 0 offset:112 ; 4-byte Folded Spill
	buffer_store_dword v122, off, s[24:27], 0 offset:116 ; 4-byte Folded Spill
	ds_read2_b64 v[113:116], v106 offset0:4 offset1:5
	buffer_load_dword v119, off, s[24:27], 0 offset:80 ; 4-byte Folded Reload
	buffer_load_dword v120, off, s[24:27], 0 offset:84 ; 4-byte Folded Reload
	buffer_load_dword v121, off, s[24:27], 0 offset:88 ; 4-byte Folded Reload
	buffer_load_dword v122, off, s[24:27], 0 offset:92 ; 4-byte Folded Reload
	s_waitcnt lgkmcnt(0)
	v_mul_f64 v[109:110], v[115:116], v[117:118]
	v_fma_f64 v[109:110], v[113:114], v[125:126], -v[109:110]
	v_mul_f64 v[113:114], v[113:114], v[117:118]
	v_fma_f64 v[113:114], v[115:116], v[125:126], v[113:114]
	s_waitcnt vmcnt(2)
	v_add_f64 v[119:120], v[119:120], -v[109:110]
	s_waitcnt vmcnt(0)
	v_add_f64 v[121:122], v[121:122], -v[113:114]
	buffer_store_dword v119, off, s[24:27], 0 offset:80 ; 4-byte Folded Spill
	s_nop 0
	buffer_store_dword v120, off, s[24:27], 0 offset:84 ; 4-byte Folded Spill
	buffer_store_dword v121, off, s[24:27], 0 offset:88 ; 4-byte Folded Spill
	buffer_store_dword v122, off, s[24:27], 0 offset:92 ; 4-byte Folded Spill
	;; [unrolled: 19-line block ×6, first 2 shown]
	ds_read2_b64 v[113:116], v106 offset0:14 offset1:15
	buffer_load_dword v119, off, s[24:27], 0 ; 4-byte Folded Reload
	buffer_load_dword v120, off, s[24:27], 0 offset:4 ; 4-byte Folded Reload
	buffer_load_dword v121, off, s[24:27], 0 offset:8 ; 4-byte Folded Reload
	;; [unrolled: 1-line block ×3, first 2 shown]
	s_waitcnt lgkmcnt(0)
	v_mul_f64 v[109:110], v[115:116], v[117:118]
	v_fma_f64 v[109:110], v[113:114], v[125:126], -v[109:110]
	v_mul_f64 v[113:114], v[113:114], v[117:118]
	v_fma_f64 v[113:114], v[115:116], v[125:126], v[113:114]
	s_waitcnt vmcnt(2)
	v_add_f64 v[119:120], v[119:120], -v[109:110]
	s_waitcnt vmcnt(0)
	v_add_f64 v[121:122], v[121:122], -v[113:114]
	buffer_store_dword v119, off, s[24:27], 0 ; 4-byte Folded Spill
	s_nop 0
	buffer_store_dword v120, off, s[24:27], 0 offset:4 ; 4-byte Folded Spill
	buffer_store_dword v121, off, s[24:27], 0 offset:8 ; 4-byte Folded Spill
	;; [unrolled: 1-line block ×3, first 2 shown]
	ds_read2_b64 v[113:116], v106 offset0:16 offset1:17
	s_waitcnt lgkmcnt(0)
	v_mul_f64 v[109:110], v[115:116], v[117:118]
	v_fma_f64 v[109:110], v[113:114], v[125:126], -v[109:110]
	v_mul_f64 v[113:114], v[113:114], v[117:118]
	v_add_f64 v[101:102], v[101:102], -v[109:110]
	v_fma_f64 v[113:114], v[115:116], v[125:126], v[113:114]
	v_add_f64 v[103:104], v[103:104], -v[113:114]
	ds_read2_b64 v[113:116], v106 offset0:18 offset1:19
	s_waitcnt lgkmcnt(0)
	v_mul_f64 v[109:110], v[115:116], v[117:118]
	v_fma_f64 v[109:110], v[113:114], v[125:126], -v[109:110]
	v_mul_f64 v[113:114], v[113:114], v[117:118]
	v_add_f64 v[97:98], v[97:98], -v[109:110]
	v_fma_f64 v[113:114], v[115:116], v[125:126], v[113:114]
	v_add_f64 v[99:100], v[99:100], -v[113:114]
	ds_read2_b64 v[113:116], v106 offset0:20 offset1:21
	s_waitcnt lgkmcnt(0)
	v_mul_f64 v[109:110], v[115:116], v[117:118]
	v_fma_f64 v[109:110], v[113:114], v[125:126], -v[109:110]
	v_mul_f64 v[113:114], v[113:114], v[117:118]
	v_add_f64 v[89:90], v[89:90], -v[109:110]
	v_fma_f64 v[113:114], v[115:116], v[125:126], v[113:114]
	v_add_f64 v[91:92], v[91:92], -v[113:114]
	ds_read2_b64 v[113:116], v106 offset0:22 offset1:23
	s_waitcnt lgkmcnt(0)
	v_mul_f64 v[109:110], v[115:116], v[117:118]
	v_fma_f64 v[109:110], v[113:114], v[125:126], -v[109:110]
	v_mul_f64 v[113:114], v[113:114], v[117:118]
	v_add_f64 v[85:86], v[85:86], -v[109:110]
	v_fma_f64 v[113:114], v[115:116], v[125:126], v[113:114]
	v_add_f64 v[87:88], v[87:88], -v[113:114]
	ds_read2_b64 v[113:116], v106 offset0:24 offset1:25
	s_waitcnt lgkmcnt(0)
	v_mul_f64 v[109:110], v[115:116], v[117:118]
	v_fma_f64 v[109:110], v[113:114], v[125:126], -v[109:110]
	v_mul_f64 v[113:114], v[113:114], v[117:118]
	v_add_f64 v[81:82], v[81:82], -v[109:110]
	v_fma_f64 v[113:114], v[115:116], v[125:126], v[113:114]
	v_add_f64 v[83:84], v[83:84], -v[113:114]
	ds_read2_b64 v[113:116], v106 offset0:26 offset1:27
	s_waitcnt lgkmcnt(0)
	v_mul_f64 v[109:110], v[115:116], v[117:118]
	v_fma_f64 v[109:110], v[113:114], v[125:126], -v[109:110]
	v_mul_f64 v[113:114], v[113:114], v[117:118]
	v_add_f64 v[77:78], v[77:78], -v[109:110]
	v_fma_f64 v[113:114], v[115:116], v[125:126], v[113:114]
	v_add_f64 v[79:80], v[79:80], -v[113:114]
	ds_read2_b64 v[113:116], v106 offset0:28 offset1:29
	s_waitcnt lgkmcnt(0)
	v_mul_f64 v[109:110], v[115:116], v[117:118]
	v_fma_f64 v[109:110], v[113:114], v[125:126], -v[109:110]
	v_mul_f64 v[113:114], v[113:114], v[117:118]
	v_add_f64 v[73:74], v[73:74], -v[109:110]
	v_fma_f64 v[113:114], v[115:116], v[125:126], v[113:114]
	v_add_f64 v[75:76], v[75:76], -v[113:114]
	ds_read2_b64 v[113:116], v106 offset0:30 offset1:31
	s_waitcnt lgkmcnt(0)
	v_mul_f64 v[109:110], v[115:116], v[117:118]
	v_fma_f64 v[109:110], v[113:114], v[125:126], -v[109:110]
	v_mul_f64 v[113:114], v[113:114], v[117:118]
	v_add_f64 v[69:70], v[69:70], -v[109:110]
	v_fma_f64 v[113:114], v[115:116], v[125:126], v[113:114]
	v_add_f64 v[71:72], v[71:72], -v[113:114]
	ds_read2_b64 v[113:116], v106 offset0:32 offset1:33
	s_waitcnt lgkmcnt(0)
	v_mul_f64 v[109:110], v[115:116], v[117:118]
	v_fma_f64 v[109:110], v[113:114], v[125:126], -v[109:110]
	v_mul_f64 v[113:114], v[113:114], v[117:118]
	v_add_f64 v[65:66], v[65:66], -v[109:110]
	v_fma_f64 v[113:114], v[115:116], v[125:126], v[113:114]
	v_add_f64 v[67:68], v[67:68], -v[113:114]
	ds_read2_b64 v[113:116], v106 offset0:34 offset1:35
	s_waitcnt lgkmcnt(0)
	v_mul_f64 v[109:110], v[115:116], v[117:118]
	v_fma_f64 v[109:110], v[113:114], v[125:126], -v[109:110]
	v_mul_f64 v[113:114], v[113:114], v[117:118]
	v_add_f64 v[61:62], v[61:62], -v[109:110]
	v_fma_f64 v[113:114], v[115:116], v[125:126], v[113:114]
	v_add_f64 v[63:64], v[63:64], -v[113:114]
	ds_read2_b64 v[113:116], v106 offset0:36 offset1:37
	s_waitcnt lgkmcnt(0)
	v_mul_f64 v[109:110], v[115:116], v[117:118]
	v_fma_f64 v[109:110], v[113:114], v[125:126], -v[109:110]
	v_mul_f64 v[113:114], v[113:114], v[117:118]
	v_add_f64 v[57:58], v[57:58], -v[109:110]
	v_fma_f64 v[113:114], v[115:116], v[125:126], v[113:114]
	v_add_f64 v[59:60], v[59:60], -v[113:114]
	ds_read2_b64 v[113:116], v106 offset0:38 offset1:39
	s_waitcnt lgkmcnt(0)
	v_mul_f64 v[109:110], v[115:116], v[117:118]
	v_fma_f64 v[109:110], v[113:114], v[125:126], -v[109:110]
	v_mul_f64 v[113:114], v[113:114], v[117:118]
	v_add_f64 v[53:54], v[53:54], -v[109:110]
	v_fma_f64 v[113:114], v[115:116], v[125:126], v[113:114]
	v_add_f64 v[55:56], v[55:56], -v[113:114]
	ds_read2_b64 v[113:116], v106 offset0:40 offset1:41
	s_waitcnt lgkmcnt(0)
	v_mul_f64 v[109:110], v[115:116], v[117:118]
	v_fma_f64 v[109:110], v[113:114], v[125:126], -v[109:110]
	v_mul_f64 v[113:114], v[113:114], v[117:118]
	v_add_f64 v[49:50], v[49:50], -v[109:110]
	v_fma_f64 v[113:114], v[115:116], v[125:126], v[113:114]
	v_add_f64 v[51:52], v[51:52], -v[113:114]
	ds_read2_b64 v[113:116], v106 offset0:42 offset1:43
	s_waitcnt lgkmcnt(0)
	v_mul_f64 v[109:110], v[115:116], v[117:118]
	v_fma_f64 v[109:110], v[113:114], v[125:126], -v[109:110]
	v_mul_f64 v[113:114], v[113:114], v[117:118]
	v_add_f64 v[45:46], v[45:46], -v[109:110]
	v_fma_f64 v[113:114], v[115:116], v[125:126], v[113:114]
	v_add_f64 v[47:48], v[47:48], -v[113:114]
	ds_read2_b64 v[113:116], v106 offset0:44 offset1:45
	s_waitcnt lgkmcnt(0)
	v_mul_f64 v[109:110], v[115:116], v[117:118]
	v_fma_f64 v[109:110], v[113:114], v[125:126], -v[109:110]
	v_mul_f64 v[113:114], v[113:114], v[117:118]
	v_add_f64 v[41:42], v[41:42], -v[109:110]
	v_fma_f64 v[113:114], v[115:116], v[125:126], v[113:114]
	v_add_f64 v[43:44], v[43:44], -v[113:114]
	ds_read2_b64 v[113:116], v106 offset0:46 offset1:47
	s_waitcnt lgkmcnt(0)
	v_mul_f64 v[109:110], v[115:116], v[117:118]
	v_fma_f64 v[109:110], v[113:114], v[125:126], -v[109:110]
	v_mul_f64 v[113:114], v[113:114], v[117:118]
	v_add_f64 v[37:38], v[37:38], -v[109:110]
	v_fma_f64 v[113:114], v[115:116], v[125:126], v[113:114]
	v_add_f64 v[39:40], v[39:40], -v[113:114]
	ds_read2_b64 v[113:116], v106 offset0:48 offset1:49
	s_waitcnt lgkmcnt(0)
	v_mul_f64 v[109:110], v[115:116], v[117:118]
	v_fma_f64 v[109:110], v[113:114], v[125:126], -v[109:110]
	v_mul_f64 v[113:114], v[113:114], v[117:118]
	v_add_f64 v[33:34], v[33:34], -v[109:110]
	v_fma_f64 v[113:114], v[115:116], v[125:126], v[113:114]
	v_add_f64 v[35:36], v[35:36], -v[113:114]
	ds_read2_b64 v[113:116], v106 offset0:50 offset1:51
	s_waitcnt lgkmcnt(0)
	v_mul_f64 v[109:110], v[115:116], v[117:118]
	v_fma_f64 v[109:110], v[113:114], v[125:126], -v[109:110]
	v_mul_f64 v[113:114], v[113:114], v[117:118]
	v_add_f64 v[29:30], v[29:30], -v[109:110]
	v_fma_f64 v[113:114], v[115:116], v[125:126], v[113:114]
	v_add_f64 v[31:32], v[31:32], -v[113:114]
	ds_read2_b64 v[113:116], v106 offset0:52 offset1:53
	s_waitcnt lgkmcnt(0)
	v_mul_f64 v[109:110], v[115:116], v[117:118]
	v_fma_f64 v[109:110], v[113:114], v[125:126], -v[109:110]
	v_mul_f64 v[113:114], v[113:114], v[117:118]
	v_add_f64 v[25:26], v[25:26], -v[109:110]
	v_fma_f64 v[113:114], v[115:116], v[125:126], v[113:114]
	v_add_f64 v[27:28], v[27:28], -v[113:114]
	ds_read2_b64 v[113:116], v106 offset0:54 offset1:55
	s_waitcnt lgkmcnt(0)
	v_mul_f64 v[109:110], v[115:116], v[117:118]
	v_fma_f64 v[109:110], v[113:114], v[125:126], -v[109:110]
	v_mul_f64 v[113:114], v[113:114], v[117:118]
	v_add_f64 v[21:22], v[21:22], -v[109:110]
	v_fma_f64 v[113:114], v[115:116], v[125:126], v[113:114]
	v_add_f64 v[23:24], v[23:24], -v[113:114]
	ds_read2_b64 v[113:116], v106 offset0:56 offset1:57
	s_waitcnt lgkmcnt(0)
	v_mul_f64 v[109:110], v[115:116], v[117:118]
	v_fma_f64 v[109:110], v[113:114], v[125:126], -v[109:110]
	v_mul_f64 v[113:114], v[113:114], v[117:118]
	v_add_f64 v[17:18], v[17:18], -v[109:110]
	v_fma_f64 v[113:114], v[115:116], v[125:126], v[113:114]
	v_add_f64 v[19:20], v[19:20], -v[113:114]
	ds_read2_b64 v[113:116], v106 offset0:58 offset1:59
	s_waitcnt lgkmcnt(0)
	v_mul_f64 v[109:110], v[115:116], v[117:118]
	v_fma_f64 v[109:110], v[113:114], v[125:126], -v[109:110]
	v_mul_f64 v[113:114], v[113:114], v[117:118]
	v_add_f64 v[13:14], v[13:14], -v[109:110]
	v_fma_f64 v[113:114], v[115:116], v[125:126], v[113:114]
	v_add_f64 v[15:16], v[15:16], -v[113:114]
	ds_read2_b64 v[113:116], v106 offset0:60 offset1:61
	s_waitcnt lgkmcnt(0)
	v_mul_f64 v[109:110], v[115:116], v[117:118]
	v_fma_f64 v[109:110], v[113:114], v[125:126], -v[109:110]
	v_mul_f64 v[113:114], v[113:114], v[117:118]
	v_add_f64 v[9:10], v[9:10], -v[109:110]
	v_fma_f64 v[113:114], v[115:116], v[125:126], v[113:114]
	v_add_f64 v[11:12], v[11:12], -v[113:114]
	ds_read2_b64 v[113:116], v106 offset0:62 offset1:63
	s_waitcnt lgkmcnt(0)
	v_mul_f64 v[109:110], v[115:116], v[117:118]
	v_fma_f64 v[109:110], v[113:114], v[125:126], -v[109:110]
	v_mul_f64 v[113:114], v[113:114], v[117:118]
	v_add_f64 v[5:6], v[5:6], -v[109:110]
	v_fma_f64 v[113:114], v[115:116], v[125:126], v[113:114]
	v_add_f64 v[7:8], v[7:8], -v[113:114]
	ds_read2_b64 v[113:116], v106 offset0:64 offset1:65
	s_waitcnt lgkmcnt(0)
	v_mul_f64 v[109:110], v[115:116], v[117:118]
	v_fma_f64 v[109:110], v[113:114], v[125:126], -v[109:110]
	v_mul_f64 v[113:114], v[113:114], v[117:118]
	v_add_f64 v[1:2], v[1:2], -v[109:110]
	v_fma_f64 v[113:114], v[115:116], v[125:126], v[113:114]
	v_add_f64 v[3:4], v[3:4], -v[113:114]
	ds_read2_b64 v[113:116], v106 offset0:66 offset1:67
	s_waitcnt lgkmcnt(0)
	v_mul_f64 v[109:110], v[115:116], v[117:118]
	v_fma_f64 v[109:110], v[113:114], v[125:126], -v[109:110]
	v_mul_f64 v[113:114], v[113:114], v[117:118]
	v_add_f64 v[93:94], v[93:94], -v[109:110]
	v_fma_f64 v[113:114], v[115:116], v[125:126], v[113:114]
	v_mov_b32_e32 v115, v125
	v_mov_b32_e32 v116, v126
	buffer_store_dword v115, off, s[24:27], 0 offset:120 ; 4-byte Folded Spill
	s_nop 0
	buffer_store_dword v116, off, s[24:27], 0 offset:124 ; 4-byte Folded Spill
	buffer_store_dword v117, off, s[24:27], 0 offset:128 ; 4-byte Folded Spill
	;; [unrolled: 1-line block ×3, first 2 shown]
	v_add_f64 v[95:96], v[95:96], -v[113:114]
.LBB66_22:
	s_or_b64 exec, exec, s[0:1]
	s_waitcnt vmcnt(0)
	s_barrier
	buffer_load_dword v113, off, s[24:27], 0 offset:104 ; 4-byte Folded Reload
	buffer_load_dword v114, off, s[24:27], 0 offset:108 ; 4-byte Folded Reload
	;; [unrolled: 1-line block ×4, first 2 shown]
	v_lshl_add_u32 v109, v108, 4, v106
	s_cmp_lt_i32 s3, 3
	s_waitcnt vmcnt(0)
	ds_write2_b64 v109, v[113:114], v[115:116] offset1:1
	s_waitcnt lgkmcnt(0)
	s_barrier
	ds_read2_b64 v[121:124], v106 offset0:2 offset1:3
	v_mov_b32_e32 v109, 1
	s_cbranch_scc1 .LBB66_25
; %bb.23:
	v_add3_u32 v110, v111, 0, 32
	s_mov_b32 s0, 2
	v_mov_b32_e32 v109, 1
.LBB66_24:                              ; =>This Inner Loop Header: Depth=1
	s_waitcnt lgkmcnt(0)
	v_cmp_gt_f64_e32 vcc, 0, v[121:122]
	v_xor_b32_e32 v117, 0x80000000, v122
	ds_read2_b64 v[113:116], v110 offset1:1
	v_xor_b32_e32 v119, 0x80000000, v124
	v_add_u32_e32 v110, 16, v110
	s_waitcnt lgkmcnt(0)
	v_xor_b32_e32 v125, 0x80000000, v116
	v_cndmask_b32_e32 v118, v122, v117, vcc
	v_cmp_gt_f64_e32 vcc, 0, v[123:124]
	v_mov_b32_e32 v117, v121
	v_cndmask_b32_e32 v120, v124, v119, vcc
	v_cmp_gt_f64_e32 vcc, 0, v[113:114]
	v_mov_b32_e32 v119, v123
	v_add_f64 v[117:118], v[117:118], v[119:120]
	v_xor_b32_e32 v119, 0x80000000, v114
	v_cndmask_b32_e32 v120, v114, v119, vcc
	v_cmp_gt_f64_e32 vcc, 0, v[115:116]
	v_mov_b32_e32 v119, v113
	v_cndmask_b32_e32 v126, v116, v125, vcc
	v_mov_b32_e32 v125, v115
	v_add_f64 v[119:120], v[119:120], v[125:126]
	v_cmp_lt_f64_e32 vcc, v[117:118], v[119:120]
	v_cndmask_b32_e32 v121, v121, v113, vcc
	v_mov_b32_e32 v113, s0
	s_add_i32 s0, s0, 1
	v_cndmask_b32_e32 v122, v122, v114, vcc
	v_cndmask_b32_e32 v124, v124, v116, vcc
	;; [unrolled: 1-line block ×4, first 2 shown]
	s_cmp_lg_u32 s3, s0
	s_cbranch_scc1 .LBB66_24
.LBB66_25:
	s_waitcnt lgkmcnt(0)
	v_cmp_neq_f64_e32 vcc, 0, v[121:122]
	v_cmp_neq_f64_e64 s[0:1], 0, v[123:124]
	s_or_b64 s[18:19], vcc, s[0:1]
	s_and_saveexec_b64 s[0:1], s[18:19]
	s_cbranch_execz .LBB66_31
; %bb.26:
	v_cmp_ngt_f64_e64 s[18:19], |v[121:122]|, |v[123:124]|
	s_and_saveexec_b64 s[20:21], s[18:19]
	s_xor_b64 s[18:19], exec, s[20:21]
	s_cbranch_execz .LBB66_28
; %bb.27:
	v_div_scale_f64 v[113:114], s[20:21], v[123:124], v[123:124], v[121:122]
	v_rcp_f64_e32 v[115:116], v[113:114]
	v_fma_f64 v[117:118], -v[113:114], v[115:116], 1.0
	v_fma_f64 v[115:116], v[115:116], v[117:118], v[115:116]
	v_div_scale_f64 v[117:118], vcc, v[121:122], v[123:124], v[121:122]
	v_fma_f64 v[119:120], -v[113:114], v[115:116], 1.0
	v_fma_f64 v[115:116], v[115:116], v[119:120], v[115:116]
	v_mul_f64 v[119:120], v[117:118], v[115:116]
	v_fma_f64 v[113:114], -v[113:114], v[119:120], v[117:118]
	v_div_fmas_f64 v[113:114], v[113:114], v[115:116], v[119:120]
	v_div_fixup_f64 v[113:114], v[113:114], v[123:124], v[121:122]
	v_fma_f64 v[115:116], v[121:122], v[113:114], v[123:124]
	v_div_scale_f64 v[117:118], s[20:21], v[115:116], v[115:116], 1.0
	v_div_scale_f64 v[123:124], vcc, 1.0, v[115:116], 1.0
	v_rcp_f64_e32 v[119:120], v[117:118]
	v_fma_f64 v[121:122], -v[117:118], v[119:120], 1.0
	v_fma_f64 v[119:120], v[119:120], v[121:122], v[119:120]
	v_fma_f64 v[121:122], -v[117:118], v[119:120], 1.0
	v_fma_f64 v[119:120], v[119:120], v[121:122], v[119:120]
	v_mul_f64 v[121:122], v[123:124], v[119:120]
	v_fma_f64 v[117:118], -v[117:118], v[121:122], v[123:124]
	v_div_fmas_f64 v[117:118], v[117:118], v[119:120], v[121:122]
	v_div_fixup_f64 v[123:124], v[117:118], v[115:116], 1.0
	v_mul_f64 v[121:122], v[113:114], v[123:124]
	v_xor_b32_e32 v124, 0x80000000, v124
.LBB66_28:
	s_andn2_saveexec_b64 s[18:19], s[18:19]
	s_cbranch_execz .LBB66_30
; %bb.29:
	v_div_scale_f64 v[113:114], s[20:21], v[121:122], v[121:122], v[123:124]
	v_rcp_f64_e32 v[115:116], v[113:114]
	v_fma_f64 v[117:118], -v[113:114], v[115:116], 1.0
	v_fma_f64 v[115:116], v[115:116], v[117:118], v[115:116]
	v_div_scale_f64 v[117:118], vcc, v[123:124], v[121:122], v[123:124]
	v_fma_f64 v[119:120], -v[113:114], v[115:116], 1.0
	v_fma_f64 v[115:116], v[115:116], v[119:120], v[115:116]
	v_mul_f64 v[119:120], v[117:118], v[115:116]
	v_fma_f64 v[113:114], -v[113:114], v[119:120], v[117:118]
	v_div_fmas_f64 v[113:114], v[113:114], v[115:116], v[119:120]
	v_div_fixup_f64 v[113:114], v[113:114], v[121:122], v[123:124]
	v_fma_f64 v[115:116], v[123:124], v[113:114], v[121:122]
	v_div_scale_f64 v[117:118], s[20:21], v[115:116], v[115:116], 1.0
	v_div_scale_f64 v[123:124], vcc, 1.0, v[115:116], 1.0
	v_rcp_f64_e32 v[119:120], v[117:118]
	v_fma_f64 v[121:122], -v[117:118], v[119:120], 1.0
	v_fma_f64 v[119:120], v[119:120], v[121:122], v[119:120]
	v_fma_f64 v[121:122], -v[117:118], v[119:120], 1.0
	v_fma_f64 v[119:120], v[119:120], v[121:122], v[119:120]
	v_mul_f64 v[121:122], v[123:124], v[119:120]
	v_fma_f64 v[117:118], -v[117:118], v[121:122], v[123:124]
	v_div_fmas_f64 v[117:118], v[117:118], v[119:120], v[121:122]
	v_div_fixup_f64 v[121:122], v[117:118], v[115:116], 1.0
	v_mul_f64 v[123:124], v[113:114], -v[121:122]
.LBB66_30:
	s_or_b64 exec, exec, s[18:19]
	v_mov_b32_e32 v107, v112
.LBB66_31:
	s_or_b64 exec, exec, s[0:1]
	v_cmp_ne_u32_e32 vcc, v108, v109
	s_and_saveexec_b64 s[0:1], vcc
	s_xor_b64 s[0:1], exec, s[0:1]
	s_cbranch_execz .LBB66_37
; %bb.32:
	v_cmp_eq_u32_e32 vcc, 1, v108
	s_and_saveexec_b64 s[18:19], vcc
	s_cbranch_execz .LBB66_36
; %bb.33:
	v_cmp_ne_u32_e32 vcc, 1, v109
	s_xor_b64 s[20:21], s[6:7], -1
	s_and_b64 s[22:23], s[20:21], vcc
	s_and_saveexec_b64 s[20:21], s[22:23]
	s_cbranch_execz .LBB66_35
; %bb.34:
	buffer_load_dword v114, off, s[24:27], 0 offset:96 ; 4-byte Folded Reload
	buffer_load_dword v115, off, s[24:27], 0 offset:100 ; 4-byte Folded Reload
	v_ashrrev_i32_e32 v110, 31, v109
	v_lshlrev_b64 v[112:113], 2, v[109:110]
	s_waitcnt vmcnt(1)
	v_add_co_u32_e32 v112, vcc, v114, v112
	s_waitcnt vmcnt(0)
	v_addc_co_u32_e32 v113, vcc, v115, v113, vcc
	global_load_dword v0, v[112:113], off
	global_load_dword v108, v[114:115], off offset:4
	s_waitcnt vmcnt(1)
	global_store_dword v[114:115], v0, off offset:4
	s_waitcnt vmcnt(1)
	global_store_dword v[112:113], v108, off
.LBB66_35:
	s_or_b64 exec, exec, s[20:21]
	v_mov_b32_e32 v108, v109
	v_mov_b32_e32 v0, v109
.LBB66_36:
	s_or_b64 exec, exec, s[18:19]
.LBB66_37:
	s_andn2_saveexec_b64 s[0:1], s[0:1]
	s_cbranch_execz .LBB66_39
; %bb.38:
	buffer_load_dword v112, off, s[24:27], 0 offset:80 ; 4-byte Folded Reload
	buffer_load_dword v113, off, s[24:27], 0 offset:84 ; 4-byte Folded Reload
	;; [unrolled: 1-line block ×4, first 2 shown]
	v_mov_b32_e32 v108, 1
	s_waitcnt vmcnt(0)
	ds_write2_b64 v106, v[112:113], v[114:115] offset0:4 offset1:5
	buffer_load_dword v112, off, s[24:27], 0 offset:64 ; 4-byte Folded Reload
	buffer_load_dword v113, off, s[24:27], 0 offset:68 ; 4-byte Folded Reload
	buffer_load_dword v114, off, s[24:27], 0 offset:72 ; 4-byte Folded Reload
	buffer_load_dword v115, off, s[24:27], 0 offset:76 ; 4-byte Folded Reload
	s_waitcnt vmcnt(0)
	ds_write2_b64 v106, v[112:113], v[114:115] offset0:6 offset1:7
	buffer_load_dword v112, off, s[24:27], 0 offset:48 ; 4-byte Folded Reload
	buffer_load_dword v113, off, s[24:27], 0 offset:52 ; 4-byte Folded Reload
	buffer_load_dword v114, off, s[24:27], 0 offset:56 ; 4-byte Folded Reload
	buffer_load_dword v115, off, s[24:27], 0 offset:60 ; 4-byte Folded Reload
	;; [unrolled: 6-line block ×4, first 2 shown]
	s_waitcnt vmcnt(0)
	ds_write2_b64 v106, v[112:113], v[114:115] offset0:12 offset1:13
	buffer_load_dword v112, off, s[24:27], 0 ; 4-byte Folded Reload
	buffer_load_dword v113, off, s[24:27], 0 offset:4 ; 4-byte Folded Reload
	buffer_load_dword v114, off, s[24:27], 0 offset:8 ; 4-byte Folded Reload
	;; [unrolled: 1-line block ×3, first 2 shown]
	s_waitcnt vmcnt(0)
	ds_write2_b64 v106, v[112:113], v[114:115] offset0:14 offset1:15
	ds_write2_b64 v106, v[101:102], v[103:104] offset0:16 offset1:17
	;; [unrolled: 1-line block ×27, first 2 shown]
.LBB66_39:
	s_or_b64 exec, exec, s[0:1]
	v_cmp_lt_i32_e32 vcc, 1, v108
	s_waitcnt vmcnt(0) lgkmcnt(0)
	s_barrier
	s_and_saveexec_b64 s[0:1], vcc
	s_cbranch_execz .LBB66_41
; %bb.40:
	buffer_load_dword v116, off, s[24:27], 0 offset:104 ; 4-byte Folded Reload
	buffer_load_dword v117, off, s[24:27], 0 offset:108 ; 4-byte Folded Reload
	;; [unrolled: 1-line block ×4, first 2 shown]
	ds_read2_b64 v[112:115], v106 offset0:4 offset1:5
	s_waitcnt vmcnt(0)
	v_mul_f64 v[109:110], v[123:124], v[118:119]
	v_fma_f64 v[125:126], v[121:122], v[116:117], -v[109:110]
	v_mul_f64 v[109:110], v[121:122], v[118:119]
	v_fma_f64 v[118:119], v[123:124], v[116:117], v[109:110]
	s_waitcnt lgkmcnt(0)
	v_mul_f64 v[109:110], v[114:115], v[118:119]
	v_fma_f64 v[109:110], v[112:113], v[125:126], -v[109:110]
	v_mul_f64 v[112:113], v[112:113], v[118:119]
	v_fma_f64 v[112:113], v[114:115], v[125:126], v[112:113]
	buffer_load_dword v114, off, s[24:27], 0 offset:80 ; 4-byte Folded Reload
	buffer_load_dword v115, off, s[24:27], 0 offset:84 ; 4-byte Folded Reload
	buffer_load_dword v116, off, s[24:27], 0 offset:88 ; 4-byte Folded Reload
	buffer_load_dword v117, off, s[24:27], 0 offset:92 ; 4-byte Folded Reload
	s_waitcnt vmcnt(2)
	v_add_f64 v[114:115], v[114:115], -v[109:110]
	s_waitcnt vmcnt(0)
	v_add_f64 v[116:117], v[116:117], -v[112:113]
	buffer_store_dword v114, off, s[24:27], 0 offset:80 ; 4-byte Folded Spill
	s_nop 0
	buffer_store_dword v115, off, s[24:27], 0 offset:84 ; 4-byte Folded Spill
	buffer_store_dword v116, off, s[24:27], 0 offset:88 ; 4-byte Folded Spill
	buffer_store_dword v117, off, s[24:27], 0 offset:92 ; 4-byte Folded Spill
	ds_read2_b64 v[112:115], v106 offset0:6 offset1:7
	s_waitcnt lgkmcnt(0)
	v_mul_f64 v[109:110], v[114:115], v[118:119]
	v_fma_f64 v[109:110], v[112:113], v[125:126], -v[109:110]
	v_mul_f64 v[112:113], v[112:113], v[118:119]
	v_fma_f64 v[112:113], v[114:115], v[125:126], v[112:113]
	buffer_load_dword v114, off, s[24:27], 0 offset:64 ; 4-byte Folded Reload
	buffer_load_dword v115, off, s[24:27], 0 offset:68 ; 4-byte Folded Reload
	buffer_load_dword v116, off, s[24:27], 0 offset:72 ; 4-byte Folded Reload
	buffer_load_dword v117, off, s[24:27], 0 offset:76 ; 4-byte Folded Reload
	s_waitcnt vmcnt(2)
	v_add_f64 v[114:115], v[114:115], -v[109:110]
	s_waitcnt vmcnt(0)
	v_add_f64 v[116:117], v[116:117], -v[112:113]
	buffer_store_dword v114, off, s[24:27], 0 offset:64 ; 4-byte Folded Spill
	s_nop 0
	buffer_store_dword v115, off, s[24:27], 0 offset:68 ; 4-byte Folded Spill
	buffer_store_dword v116, off, s[24:27], 0 offset:72 ; 4-byte Folded Spill
	buffer_store_dword v117, off, s[24:27], 0 offset:76 ; 4-byte Folded Spill
	ds_read2_b64 v[112:115], v106 offset0:8 offset1:9
	;; [unrolled: 19-line block ×5, first 2 shown]
	s_waitcnt lgkmcnt(0)
	v_mul_f64 v[109:110], v[114:115], v[118:119]
	v_fma_f64 v[109:110], v[112:113], v[125:126], -v[109:110]
	v_mul_f64 v[112:113], v[112:113], v[118:119]
	v_fma_f64 v[112:113], v[114:115], v[125:126], v[112:113]
	buffer_load_dword v114, off, s[24:27], 0 ; 4-byte Folded Reload
	buffer_load_dword v115, off, s[24:27], 0 offset:4 ; 4-byte Folded Reload
	buffer_load_dword v116, off, s[24:27], 0 offset:8 ; 4-byte Folded Reload
	;; [unrolled: 1-line block ×3, first 2 shown]
	s_waitcnt vmcnt(2)
	v_add_f64 v[114:115], v[114:115], -v[109:110]
	s_waitcnt vmcnt(0)
	v_add_f64 v[116:117], v[116:117], -v[112:113]
	buffer_store_dword v114, off, s[24:27], 0 ; 4-byte Folded Spill
	s_nop 0
	buffer_store_dword v115, off, s[24:27], 0 offset:4 ; 4-byte Folded Spill
	buffer_store_dword v116, off, s[24:27], 0 offset:8 ; 4-byte Folded Spill
	buffer_store_dword v117, off, s[24:27], 0 offset:12 ; 4-byte Folded Spill
	ds_read2_b64 v[112:115], v106 offset0:16 offset1:17
	v_mov_b32_e32 v116, v125
	v_mov_b32_e32 v117, v126
	s_waitcnt lgkmcnt(0)
	v_mul_f64 v[109:110], v[114:115], v[118:119]
	v_fma_f64 v[109:110], v[112:113], v[125:126], -v[109:110]
	v_mul_f64 v[112:113], v[112:113], v[118:119]
	v_add_f64 v[101:102], v[101:102], -v[109:110]
	v_fma_f64 v[112:113], v[114:115], v[125:126], v[112:113]
	v_add_f64 v[103:104], v[103:104], -v[112:113]
	ds_read2_b64 v[112:115], v106 offset0:18 offset1:19
	s_waitcnt lgkmcnt(0)
	v_mul_f64 v[109:110], v[114:115], v[118:119]
	v_fma_f64 v[109:110], v[112:113], v[125:126], -v[109:110]
	v_mul_f64 v[112:113], v[112:113], v[118:119]
	v_add_f64 v[97:98], v[97:98], -v[109:110]
	v_fma_f64 v[112:113], v[114:115], v[125:126], v[112:113]
	v_add_f64 v[99:100], v[99:100], -v[112:113]
	ds_read2_b64 v[112:115], v106 offset0:20 offset1:21
	;; [unrolled: 8-line block ×25, first 2 shown]
	s_waitcnt lgkmcnt(0)
	v_mul_f64 v[109:110], v[114:115], v[118:119]
	v_fma_f64 v[109:110], v[112:113], v[125:126], -v[109:110]
	v_mul_f64 v[112:113], v[112:113], v[118:119]
	buffer_store_dword v116, off, s[24:27], 0 offset:104 ; 4-byte Folded Spill
	s_nop 0
	buffer_store_dword v117, off, s[24:27], 0 offset:108 ; 4-byte Folded Spill
	buffer_store_dword v118, off, s[24:27], 0 offset:112 ; 4-byte Folded Spill
	;; [unrolled: 1-line block ×3, first 2 shown]
	v_add_f64 v[93:94], v[93:94], -v[109:110]
	v_fma_f64 v[112:113], v[114:115], v[125:126], v[112:113]
	v_add_f64 v[95:96], v[95:96], -v[112:113]
.LBB66_41:
	s_or_b64 exec, exec, s[0:1]
	s_waitcnt vmcnt(0)
	s_barrier
	buffer_load_dword v112, off, s[24:27], 0 offset:80 ; 4-byte Folded Reload
	buffer_load_dword v113, off, s[24:27], 0 offset:84 ; 4-byte Folded Reload
	;; [unrolled: 1-line block ×4, first 2 shown]
	v_lshl_add_u32 v109, v108, 4, v106
	s_cmp_lt_i32 s3, 4
	s_waitcnt vmcnt(0)
	ds_write2_b64 v109, v[112:113], v[114:115] offset1:1
	s_waitcnt lgkmcnt(0)
	s_barrier
	ds_read2_b64 v[121:124], v106 offset0:4 offset1:5
	v_mov_b32_e32 v109, 2
	s_cbranch_scc1 .LBB66_44
; %bb.42:
	v_add3_u32 v110, v111, 0, 48
	s_mov_b32 s0, 3
	v_mov_b32_e32 v109, 2
.LBB66_43:                              ; =>This Inner Loop Header: Depth=1
	s_waitcnt lgkmcnt(0)
	v_cmp_gt_f64_e32 vcc, 0, v[121:122]
	v_xor_b32_e32 v116, 0x80000000, v122
	ds_read2_b64 v[112:115], v110 offset1:1
	v_xor_b32_e32 v118, 0x80000000, v124
	v_add_u32_e32 v110, 16, v110
	s_waitcnt lgkmcnt(0)
	v_xor_b32_e32 v120, 0x80000000, v115
	v_cndmask_b32_e32 v117, v122, v116, vcc
	v_cmp_gt_f64_e32 vcc, 0, v[123:124]
	v_mov_b32_e32 v116, v121
	v_mov_b32_e32 v125, v114
	v_cndmask_b32_e32 v119, v124, v118, vcc
	v_cmp_gt_f64_e32 vcc, 0, v[112:113]
	v_mov_b32_e32 v118, v123
	v_add_f64 v[116:117], v[116:117], v[118:119]
	v_xor_b32_e32 v118, 0x80000000, v113
	v_cndmask_b32_e32 v119, v113, v118, vcc
	v_cmp_gt_f64_e32 vcc, 0, v[114:115]
	v_mov_b32_e32 v118, v112
	v_cndmask_b32_e32 v126, v115, v120, vcc
	v_add_f64 v[118:119], v[118:119], v[125:126]
	v_cmp_lt_f64_e32 vcc, v[116:117], v[118:119]
	v_cndmask_b32_e32 v121, v121, v112, vcc
	v_mov_b32_e32 v112, s0
	s_add_i32 s0, s0, 1
	v_cndmask_b32_e32 v122, v122, v113, vcc
	v_cndmask_b32_e32 v124, v124, v115, vcc
	;; [unrolled: 1-line block ×4, first 2 shown]
	s_cmp_lg_u32 s3, s0
	s_cbranch_scc1 .LBB66_43
.LBB66_44:
	s_waitcnt lgkmcnt(0)
	v_cmp_eq_f64_e32 vcc, 0, v[121:122]
	v_cmp_eq_f64_e64 s[0:1], 0, v[123:124]
	s_and_b64 s[0:1], vcc, s[0:1]
	s_and_saveexec_b64 s[18:19], s[0:1]
	s_xor_b64 s[0:1], exec, s[18:19]
; %bb.45:
	v_cmp_ne_u32_e32 vcc, 0, v107
	v_cndmask_b32_e32 v107, 3, v107, vcc
; %bb.46:
	s_andn2_saveexec_b64 s[0:1], s[0:1]
	s_cbranch_execz .LBB66_52
; %bb.47:
	v_cmp_ngt_f64_e64 s[18:19], |v[121:122]|, |v[123:124]|
	s_and_saveexec_b64 s[20:21], s[18:19]
	s_xor_b64 s[18:19], exec, s[20:21]
	s_cbranch_execz .LBB66_49
; %bb.48:
	v_div_scale_f64 v[112:113], s[20:21], v[123:124], v[123:124], v[121:122]
	v_rcp_f64_e32 v[114:115], v[112:113]
	v_fma_f64 v[116:117], -v[112:113], v[114:115], 1.0
	v_fma_f64 v[114:115], v[114:115], v[116:117], v[114:115]
	v_div_scale_f64 v[116:117], vcc, v[121:122], v[123:124], v[121:122]
	v_fma_f64 v[118:119], -v[112:113], v[114:115], 1.0
	v_fma_f64 v[114:115], v[114:115], v[118:119], v[114:115]
	v_mul_f64 v[118:119], v[116:117], v[114:115]
	v_fma_f64 v[112:113], -v[112:113], v[118:119], v[116:117]
	v_div_fmas_f64 v[112:113], v[112:113], v[114:115], v[118:119]
	v_div_fixup_f64 v[112:113], v[112:113], v[123:124], v[121:122]
	v_fma_f64 v[114:115], v[121:122], v[112:113], v[123:124]
	v_div_scale_f64 v[116:117], s[20:21], v[114:115], v[114:115], 1.0
	v_div_scale_f64 v[122:123], vcc, 1.0, v[114:115], 1.0
	v_rcp_f64_e32 v[118:119], v[116:117]
	v_fma_f64 v[120:121], -v[116:117], v[118:119], 1.0
	v_fma_f64 v[118:119], v[118:119], v[120:121], v[118:119]
	v_fma_f64 v[120:121], -v[116:117], v[118:119], 1.0
	v_fma_f64 v[118:119], v[118:119], v[120:121], v[118:119]
	v_mul_f64 v[120:121], v[122:123], v[118:119]
	v_fma_f64 v[116:117], -v[116:117], v[120:121], v[122:123]
	v_div_fmas_f64 v[116:117], v[116:117], v[118:119], v[120:121]
	v_div_fixup_f64 v[123:124], v[116:117], v[114:115], 1.0
	v_mul_f64 v[121:122], v[112:113], v[123:124]
	v_xor_b32_e32 v124, 0x80000000, v124
.LBB66_49:
	s_andn2_saveexec_b64 s[18:19], s[18:19]
	s_cbranch_execz .LBB66_51
; %bb.50:
	v_div_scale_f64 v[112:113], s[20:21], v[121:122], v[121:122], v[123:124]
	v_rcp_f64_e32 v[114:115], v[112:113]
	v_fma_f64 v[116:117], -v[112:113], v[114:115], 1.0
	v_fma_f64 v[114:115], v[114:115], v[116:117], v[114:115]
	v_div_scale_f64 v[116:117], vcc, v[123:124], v[121:122], v[123:124]
	v_fma_f64 v[118:119], -v[112:113], v[114:115], 1.0
	v_fma_f64 v[114:115], v[114:115], v[118:119], v[114:115]
	v_mul_f64 v[118:119], v[116:117], v[114:115]
	v_fma_f64 v[112:113], -v[112:113], v[118:119], v[116:117]
	v_div_fmas_f64 v[112:113], v[112:113], v[114:115], v[118:119]
	v_div_fixup_f64 v[112:113], v[112:113], v[121:122], v[123:124]
	v_fma_f64 v[114:115], v[123:124], v[112:113], v[121:122]
	v_div_scale_f64 v[116:117], s[20:21], v[114:115], v[114:115], 1.0
	v_div_scale_f64 v[122:123], vcc, 1.0, v[114:115], 1.0
	v_rcp_f64_e32 v[118:119], v[116:117]
	v_fma_f64 v[120:121], -v[116:117], v[118:119], 1.0
	v_fma_f64 v[118:119], v[118:119], v[120:121], v[118:119]
	v_fma_f64 v[120:121], -v[116:117], v[118:119], 1.0
	v_fma_f64 v[118:119], v[118:119], v[120:121], v[118:119]
	v_mul_f64 v[120:121], v[122:123], v[118:119]
	v_fma_f64 v[116:117], -v[116:117], v[120:121], v[122:123]
	v_div_fmas_f64 v[116:117], v[116:117], v[118:119], v[120:121]
	v_div_fixup_f64 v[121:122], v[116:117], v[114:115], 1.0
	v_mul_f64 v[123:124], v[112:113], -v[121:122]
.LBB66_51:
	s_or_b64 exec, exec, s[18:19]
.LBB66_52:
	s_or_b64 exec, exec, s[0:1]
	v_cmp_ne_u32_e32 vcc, v108, v109
	s_and_saveexec_b64 s[0:1], vcc
	s_xor_b64 s[0:1], exec, s[0:1]
	s_cbranch_execz .LBB66_58
; %bb.53:
	v_cmp_eq_u32_e32 vcc, 2, v108
	s_and_saveexec_b64 s[18:19], vcc
	s_cbranch_execz .LBB66_57
; %bb.54:
	v_cmp_ne_u32_e32 vcc, 2, v109
	s_xor_b64 s[20:21], s[6:7], -1
	s_and_b64 s[22:23], s[20:21], vcc
	s_and_saveexec_b64 s[20:21], s[22:23]
	s_cbranch_execz .LBB66_56
; %bb.55:
	buffer_load_dword v114, off, s[24:27], 0 offset:96 ; 4-byte Folded Reload
	buffer_load_dword v115, off, s[24:27], 0 offset:100 ; 4-byte Folded Reload
	v_ashrrev_i32_e32 v110, 31, v109
	v_lshlrev_b64 v[112:113], 2, v[109:110]
	s_waitcnt vmcnt(1)
	v_add_co_u32_e32 v112, vcc, v114, v112
	s_waitcnt vmcnt(0)
	v_addc_co_u32_e32 v113, vcc, v115, v113, vcc
	global_load_dword v0, v[112:113], off
	global_load_dword v108, v[114:115], off offset:8
	s_waitcnt vmcnt(1)
	global_store_dword v[114:115], v0, off offset:8
	s_waitcnt vmcnt(1)
	global_store_dword v[112:113], v108, off
.LBB66_56:
	s_or_b64 exec, exec, s[20:21]
	v_mov_b32_e32 v108, v109
	v_mov_b32_e32 v0, v109
.LBB66_57:
	s_or_b64 exec, exec, s[18:19]
.LBB66_58:
	s_andn2_saveexec_b64 s[0:1], s[0:1]
	s_cbranch_execz .LBB66_60
; %bb.59:
	buffer_load_dword v112, off, s[24:27], 0 offset:64 ; 4-byte Folded Reload
	buffer_load_dword v113, off, s[24:27], 0 offset:68 ; 4-byte Folded Reload
	buffer_load_dword v114, off, s[24:27], 0 offset:72 ; 4-byte Folded Reload
	buffer_load_dword v115, off, s[24:27], 0 offset:76 ; 4-byte Folded Reload
	v_mov_b32_e32 v108, 2
	s_waitcnt vmcnt(0)
	ds_write2_b64 v106, v[112:113], v[114:115] offset0:6 offset1:7
	buffer_load_dword v112, off, s[24:27], 0 offset:48 ; 4-byte Folded Reload
	buffer_load_dword v113, off, s[24:27], 0 offset:52 ; 4-byte Folded Reload
	buffer_load_dword v114, off, s[24:27], 0 offset:56 ; 4-byte Folded Reload
	buffer_load_dword v115, off, s[24:27], 0 offset:60 ; 4-byte Folded Reload
	s_waitcnt vmcnt(0)
	ds_write2_b64 v106, v[112:113], v[114:115] offset0:8 offset1:9
	buffer_load_dword v112, off, s[24:27], 0 offset:32 ; 4-byte Folded Reload
	buffer_load_dword v113, off, s[24:27], 0 offset:36 ; 4-byte Folded Reload
	buffer_load_dword v114, off, s[24:27], 0 offset:40 ; 4-byte Folded Reload
	buffer_load_dword v115, off, s[24:27], 0 offset:44 ; 4-byte Folded Reload
	;; [unrolled: 6-line block ×3, first 2 shown]
	s_waitcnt vmcnt(0)
	ds_write2_b64 v106, v[112:113], v[114:115] offset0:12 offset1:13
	buffer_load_dword v112, off, s[24:27], 0 ; 4-byte Folded Reload
	buffer_load_dword v113, off, s[24:27], 0 offset:4 ; 4-byte Folded Reload
	buffer_load_dword v114, off, s[24:27], 0 offset:8 ; 4-byte Folded Reload
	;; [unrolled: 1-line block ×3, first 2 shown]
	s_waitcnt vmcnt(0)
	ds_write2_b64 v106, v[112:113], v[114:115] offset0:14 offset1:15
	ds_write2_b64 v106, v[101:102], v[103:104] offset0:16 offset1:17
	;; [unrolled: 1-line block ×27, first 2 shown]
.LBB66_60:
	s_or_b64 exec, exec, s[0:1]
	v_cmp_lt_i32_e32 vcc, 2, v108
	s_waitcnt vmcnt(0) lgkmcnt(0)
	s_barrier
	s_and_saveexec_b64 s[0:1], vcc
	s_cbranch_execz .LBB66_62
; %bb.61:
	buffer_load_dword v116, off, s[24:27], 0 offset:80 ; 4-byte Folded Reload
	buffer_load_dword v117, off, s[24:27], 0 offset:84 ; 4-byte Folded Reload
	;; [unrolled: 1-line block ×4, first 2 shown]
	ds_read2_b64 v[112:115], v106 offset0:6 offset1:7
	s_waitcnt vmcnt(0)
	v_mul_f64 v[109:110], v[123:124], v[118:119]
	v_fma_f64 v[125:126], v[121:122], v[116:117], -v[109:110]
	v_mul_f64 v[109:110], v[121:122], v[118:119]
	v_fma_f64 v[118:119], v[123:124], v[116:117], v[109:110]
	s_waitcnt lgkmcnt(0)
	v_mul_f64 v[109:110], v[114:115], v[118:119]
	v_fma_f64 v[109:110], v[112:113], v[125:126], -v[109:110]
	v_mul_f64 v[112:113], v[112:113], v[118:119]
	v_fma_f64 v[112:113], v[114:115], v[125:126], v[112:113]
	buffer_load_dword v114, off, s[24:27], 0 offset:64 ; 4-byte Folded Reload
	buffer_load_dword v115, off, s[24:27], 0 offset:68 ; 4-byte Folded Reload
	buffer_load_dword v116, off, s[24:27], 0 offset:72 ; 4-byte Folded Reload
	buffer_load_dword v117, off, s[24:27], 0 offset:76 ; 4-byte Folded Reload
	s_waitcnt vmcnt(2)
	v_add_f64 v[114:115], v[114:115], -v[109:110]
	s_waitcnt vmcnt(0)
	v_add_f64 v[116:117], v[116:117], -v[112:113]
	buffer_store_dword v114, off, s[24:27], 0 offset:64 ; 4-byte Folded Spill
	s_nop 0
	buffer_store_dword v115, off, s[24:27], 0 offset:68 ; 4-byte Folded Spill
	buffer_store_dword v116, off, s[24:27], 0 offset:72 ; 4-byte Folded Spill
	buffer_store_dword v117, off, s[24:27], 0 offset:76 ; 4-byte Folded Spill
	ds_read2_b64 v[112:115], v106 offset0:8 offset1:9
	s_waitcnt lgkmcnt(0)
	v_mul_f64 v[109:110], v[114:115], v[118:119]
	v_fma_f64 v[109:110], v[112:113], v[125:126], -v[109:110]
	v_mul_f64 v[112:113], v[112:113], v[118:119]
	v_fma_f64 v[112:113], v[114:115], v[125:126], v[112:113]
	buffer_load_dword v114, off, s[24:27], 0 offset:48 ; 4-byte Folded Reload
	buffer_load_dword v115, off, s[24:27], 0 offset:52 ; 4-byte Folded Reload
	buffer_load_dword v116, off, s[24:27], 0 offset:56 ; 4-byte Folded Reload
	buffer_load_dword v117, off, s[24:27], 0 offset:60 ; 4-byte Folded Reload
	s_waitcnt vmcnt(2)
	v_add_f64 v[114:115], v[114:115], -v[109:110]
	s_waitcnt vmcnt(0)
	v_add_f64 v[116:117], v[116:117], -v[112:113]
	buffer_store_dword v114, off, s[24:27], 0 offset:48 ; 4-byte Folded Spill
	s_nop 0
	buffer_store_dword v115, off, s[24:27], 0 offset:52 ; 4-byte Folded Spill
	buffer_store_dword v116, off, s[24:27], 0 offset:56 ; 4-byte Folded Spill
	buffer_store_dword v117, off, s[24:27], 0 offset:60 ; 4-byte Folded Spill
	ds_read2_b64 v[112:115], v106 offset0:10 offset1:11
	;; [unrolled: 19-line block ×4, first 2 shown]
	s_waitcnt lgkmcnt(0)
	v_mul_f64 v[109:110], v[114:115], v[118:119]
	v_fma_f64 v[109:110], v[112:113], v[125:126], -v[109:110]
	v_mul_f64 v[112:113], v[112:113], v[118:119]
	v_fma_f64 v[112:113], v[114:115], v[125:126], v[112:113]
	buffer_load_dword v114, off, s[24:27], 0 ; 4-byte Folded Reload
	buffer_load_dword v115, off, s[24:27], 0 offset:4 ; 4-byte Folded Reload
	buffer_load_dword v116, off, s[24:27], 0 offset:8 ; 4-byte Folded Reload
	;; [unrolled: 1-line block ×3, first 2 shown]
	s_waitcnt vmcnt(2)
	v_add_f64 v[114:115], v[114:115], -v[109:110]
	s_waitcnt vmcnt(0)
	v_add_f64 v[116:117], v[116:117], -v[112:113]
	buffer_store_dword v114, off, s[24:27], 0 ; 4-byte Folded Spill
	s_nop 0
	buffer_store_dword v115, off, s[24:27], 0 offset:4 ; 4-byte Folded Spill
	buffer_store_dword v116, off, s[24:27], 0 offset:8 ; 4-byte Folded Spill
	;; [unrolled: 1-line block ×3, first 2 shown]
	ds_read2_b64 v[112:115], v106 offset0:16 offset1:17
	v_mov_b32_e32 v116, v125
	v_mov_b32_e32 v117, v126
	s_waitcnt lgkmcnt(0)
	v_mul_f64 v[109:110], v[114:115], v[118:119]
	v_fma_f64 v[109:110], v[112:113], v[125:126], -v[109:110]
	v_mul_f64 v[112:113], v[112:113], v[118:119]
	v_add_f64 v[101:102], v[101:102], -v[109:110]
	v_fma_f64 v[112:113], v[114:115], v[125:126], v[112:113]
	v_add_f64 v[103:104], v[103:104], -v[112:113]
	ds_read2_b64 v[112:115], v106 offset0:18 offset1:19
	s_waitcnt lgkmcnt(0)
	v_mul_f64 v[109:110], v[114:115], v[118:119]
	v_fma_f64 v[109:110], v[112:113], v[125:126], -v[109:110]
	v_mul_f64 v[112:113], v[112:113], v[118:119]
	v_add_f64 v[97:98], v[97:98], -v[109:110]
	v_fma_f64 v[112:113], v[114:115], v[125:126], v[112:113]
	v_add_f64 v[99:100], v[99:100], -v[112:113]
	ds_read2_b64 v[112:115], v106 offset0:20 offset1:21
	;; [unrolled: 8-line block ×25, first 2 shown]
	s_waitcnt lgkmcnt(0)
	v_mul_f64 v[109:110], v[114:115], v[118:119]
	v_fma_f64 v[109:110], v[112:113], v[125:126], -v[109:110]
	v_mul_f64 v[112:113], v[112:113], v[118:119]
	buffer_store_dword v116, off, s[24:27], 0 offset:80 ; 4-byte Folded Spill
	s_nop 0
	buffer_store_dword v117, off, s[24:27], 0 offset:84 ; 4-byte Folded Spill
	buffer_store_dword v118, off, s[24:27], 0 offset:88 ; 4-byte Folded Spill
	;; [unrolled: 1-line block ×3, first 2 shown]
	v_add_f64 v[93:94], v[93:94], -v[109:110]
	v_fma_f64 v[112:113], v[114:115], v[125:126], v[112:113]
	v_add_f64 v[95:96], v[95:96], -v[112:113]
.LBB66_62:
	s_or_b64 exec, exec, s[0:1]
	s_waitcnt vmcnt(0)
	s_barrier
	buffer_load_dword v112, off, s[24:27], 0 offset:64 ; 4-byte Folded Reload
	buffer_load_dword v113, off, s[24:27], 0 offset:68 ; 4-byte Folded Reload
	;; [unrolled: 1-line block ×4, first 2 shown]
	v_lshl_add_u32 v109, v108, 4, v106
	s_mov_b32 s0, 4
	s_cmp_lt_i32 s3, 5
	s_waitcnt vmcnt(0)
	ds_write2_b64 v109, v[112:113], v[114:115] offset1:1
	s_waitcnt lgkmcnt(0)
	s_barrier
	ds_read2_b64 v[121:124], v106 offset0:6 offset1:7
	v_mov_b32_e32 v109, 3
	s_cbranch_scc1 .LBB66_65
; %bb.63:
	v_add3_u32 v110, v111, 0, 64
	v_mov_b32_e32 v109, 3
.LBB66_64:                              ; =>This Inner Loop Header: Depth=1
	s_waitcnt lgkmcnt(0)
	v_cmp_gt_f64_e32 vcc, 0, v[121:122]
	v_xor_b32_e32 v115, 0x80000000, v122
	ds_read2_b64 v[111:114], v110 offset1:1
	v_xor_b32_e32 v117, 0x80000000, v124
	v_add_u32_e32 v110, 16, v110
	s_waitcnt lgkmcnt(0)
	v_xor_b32_e32 v119, 0x80000000, v114
	v_cndmask_b32_e32 v116, v122, v115, vcc
	v_cmp_gt_f64_e32 vcc, 0, v[123:124]
	v_mov_b32_e32 v115, v121
	v_cndmask_b32_e32 v118, v124, v117, vcc
	v_cmp_gt_f64_e32 vcc, 0, v[111:112]
	v_mov_b32_e32 v117, v123
	v_add_f64 v[115:116], v[115:116], v[117:118]
	v_xor_b32_e32 v117, 0x80000000, v112
	v_cndmask_b32_e32 v118, v112, v117, vcc
	v_cmp_gt_f64_e32 vcc, 0, v[113:114]
	v_mov_b32_e32 v117, v111
	v_cndmask_b32_e32 v120, v114, v119, vcc
	v_mov_b32_e32 v119, v113
	v_add_f64 v[117:118], v[117:118], v[119:120]
	v_cmp_lt_f64_e32 vcc, v[115:116], v[117:118]
	v_cndmask_b32_e32 v121, v121, v111, vcc
	v_mov_b32_e32 v111, s0
	s_add_i32 s0, s0, 1
	v_cndmask_b32_e32 v122, v122, v112, vcc
	v_cndmask_b32_e32 v124, v124, v114, vcc
	;; [unrolled: 1-line block ×4, first 2 shown]
	s_cmp_lg_u32 s3, s0
	s_cbranch_scc1 .LBB66_64
.LBB66_65:
	s_waitcnt lgkmcnt(0)
	v_cmp_eq_f64_e32 vcc, 0, v[121:122]
	v_cmp_eq_f64_e64 s[0:1], 0, v[123:124]
	s_and_b64 s[0:1], vcc, s[0:1]
	s_and_saveexec_b64 s[18:19], s[0:1]
	s_xor_b64 s[0:1], exec, s[18:19]
; %bb.66:
	v_cmp_ne_u32_e32 vcc, 0, v107
	v_cndmask_b32_e32 v107, 4, v107, vcc
; %bb.67:
	s_andn2_saveexec_b64 s[0:1], s[0:1]
	s_cbranch_execz .LBB66_73
; %bb.68:
	v_cmp_ngt_f64_e64 s[18:19], |v[121:122]|, |v[123:124]|
	s_and_saveexec_b64 s[20:21], s[18:19]
	s_xor_b64 s[18:19], exec, s[20:21]
	s_cbranch_execz .LBB66_70
; %bb.69:
	v_div_scale_f64 v[110:111], s[20:21], v[123:124], v[123:124], v[121:122]
	v_rcp_f64_e32 v[112:113], v[110:111]
	v_fma_f64 v[114:115], -v[110:111], v[112:113], 1.0
	v_fma_f64 v[112:113], v[112:113], v[114:115], v[112:113]
	v_div_scale_f64 v[114:115], vcc, v[121:122], v[123:124], v[121:122]
	v_fma_f64 v[116:117], -v[110:111], v[112:113], 1.0
	v_fma_f64 v[112:113], v[112:113], v[116:117], v[112:113]
	v_mul_f64 v[116:117], v[114:115], v[112:113]
	v_fma_f64 v[110:111], -v[110:111], v[116:117], v[114:115]
	v_div_fmas_f64 v[110:111], v[110:111], v[112:113], v[116:117]
	v_div_fixup_f64 v[110:111], v[110:111], v[123:124], v[121:122]
	v_fma_f64 v[112:113], v[121:122], v[110:111], v[123:124]
	v_div_scale_f64 v[114:115], s[20:21], v[112:113], v[112:113], 1.0
	v_div_scale_f64 v[120:121], vcc, 1.0, v[112:113], 1.0
	v_rcp_f64_e32 v[116:117], v[114:115]
	v_fma_f64 v[118:119], -v[114:115], v[116:117], 1.0
	v_fma_f64 v[116:117], v[116:117], v[118:119], v[116:117]
	v_fma_f64 v[118:119], -v[114:115], v[116:117], 1.0
	v_fma_f64 v[116:117], v[116:117], v[118:119], v[116:117]
	v_mul_f64 v[118:119], v[120:121], v[116:117]
	v_fma_f64 v[114:115], -v[114:115], v[118:119], v[120:121]
	v_div_fmas_f64 v[114:115], v[114:115], v[116:117], v[118:119]
	v_div_fixup_f64 v[123:124], v[114:115], v[112:113], 1.0
	v_mul_f64 v[121:122], v[110:111], v[123:124]
	v_xor_b32_e32 v124, 0x80000000, v124
.LBB66_70:
	s_andn2_saveexec_b64 s[18:19], s[18:19]
	s_cbranch_execz .LBB66_72
; %bb.71:
	v_div_scale_f64 v[110:111], s[20:21], v[121:122], v[121:122], v[123:124]
	v_rcp_f64_e32 v[112:113], v[110:111]
	v_fma_f64 v[114:115], -v[110:111], v[112:113], 1.0
	v_fma_f64 v[112:113], v[112:113], v[114:115], v[112:113]
	v_div_scale_f64 v[114:115], vcc, v[123:124], v[121:122], v[123:124]
	v_fma_f64 v[116:117], -v[110:111], v[112:113], 1.0
	v_fma_f64 v[112:113], v[112:113], v[116:117], v[112:113]
	v_mul_f64 v[116:117], v[114:115], v[112:113]
	v_fma_f64 v[110:111], -v[110:111], v[116:117], v[114:115]
	v_div_fmas_f64 v[110:111], v[110:111], v[112:113], v[116:117]
	v_div_fixup_f64 v[110:111], v[110:111], v[121:122], v[123:124]
	v_fma_f64 v[112:113], v[123:124], v[110:111], v[121:122]
	v_div_scale_f64 v[114:115], s[20:21], v[112:113], v[112:113], 1.0
	v_div_scale_f64 v[120:121], vcc, 1.0, v[112:113], 1.0
	v_rcp_f64_e32 v[116:117], v[114:115]
	v_fma_f64 v[118:119], -v[114:115], v[116:117], 1.0
	v_fma_f64 v[116:117], v[116:117], v[118:119], v[116:117]
	v_fma_f64 v[118:119], -v[114:115], v[116:117], 1.0
	v_fma_f64 v[116:117], v[116:117], v[118:119], v[116:117]
	v_mul_f64 v[118:119], v[120:121], v[116:117]
	v_fma_f64 v[114:115], -v[114:115], v[118:119], v[120:121]
	v_div_fmas_f64 v[114:115], v[114:115], v[116:117], v[118:119]
	v_div_fixup_f64 v[121:122], v[114:115], v[112:113], 1.0
	v_mul_f64 v[123:124], v[110:111], -v[121:122]
.LBB66_72:
	s_or_b64 exec, exec, s[18:19]
.LBB66_73:
	s_or_b64 exec, exec, s[0:1]
	v_cmp_ne_u32_e32 vcc, v108, v109
	s_and_saveexec_b64 s[0:1], vcc
	s_xor_b64 s[0:1], exec, s[0:1]
	s_cbranch_execz .LBB66_79
; %bb.74:
	v_cmp_eq_u32_e32 vcc, 3, v108
	s_and_saveexec_b64 s[18:19], vcc
	s_cbranch_execz .LBB66_78
; %bb.75:
	v_cmp_ne_u32_e32 vcc, 3, v109
	s_xor_b64 s[20:21], s[6:7], -1
	s_and_b64 s[22:23], s[20:21], vcc
	s_and_saveexec_b64 s[20:21], s[22:23]
	s_cbranch_execz .LBB66_77
; %bb.76:
	buffer_load_dword v112, off, s[24:27], 0 offset:96 ; 4-byte Folded Reload
	buffer_load_dword v113, off, s[24:27], 0 offset:100 ; 4-byte Folded Reload
	v_ashrrev_i32_e32 v110, 31, v109
	v_lshlrev_b64 v[110:111], 2, v[109:110]
	s_waitcnt vmcnt(1)
	v_add_co_u32_e32 v110, vcc, v112, v110
	s_waitcnt vmcnt(0)
	v_addc_co_u32_e32 v111, vcc, v113, v111, vcc
	global_load_dword v0, v[110:111], off
	global_load_dword v108, v[112:113], off offset:12
	s_waitcnt vmcnt(1)
	global_store_dword v[112:113], v0, off offset:12
	s_waitcnt vmcnt(1)
	global_store_dword v[110:111], v108, off
.LBB66_77:
	s_or_b64 exec, exec, s[20:21]
	v_mov_b32_e32 v108, v109
	v_mov_b32_e32 v0, v109
.LBB66_78:
	s_or_b64 exec, exec, s[18:19]
.LBB66_79:
	s_andn2_saveexec_b64 s[0:1], s[0:1]
	s_cbranch_execz .LBB66_81
; %bb.80:
	buffer_load_dword v108, off, s[24:27], 0 offset:48 ; 4-byte Folded Reload
	buffer_load_dword v109, off, s[24:27], 0 offset:52 ; 4-byte Folded Reload
	buffer_load_dword v110, off, s[24:27], 0 offset:56 ; 4-byte Folded Reload
	buffer_load_dword v111, off, s[24:27], 0 offset:60 ; 4-byte Folded Reload
	s_waitcnt vmcnt(0)
	ds_write2_b64 v106, v[108:109], v[110:111] offset0:8 offset1:9
	buffer_load_dword v108, off, s[24:27], 0 offset:32 ; 4-byte Folded Reload
	buffer_load_dword v109, off, s[24:27], 0 offset:36 ; 4-byte Folded Reload
	buffer_load_dword v110, off, s[24:27], 0 offset:40 ; 4-byte Folded Reload
	buffer_load_dword v111, off, s[24:27], 0 offset:44 ; 4-byte Folded Reload
	s_waitcnt vmcnt(0)
	ds_write2_b64 v106, v[108:109], v[110:111] offset0:10 offset1:11
	;; [unrolled: 6-line block ×3, first 2 shown]
	buffer_load_dword v108, off, s[24:27], 0 ; 4-byte Folded Reload
	buffer_load_dword v109, off, s[24:27], 0 offset:4 ; 4-byte Folded Reload
	buffer_load_dword v110, off, s[24:27], 0 offset:8 ; 4-byte Folded Reload
	;; [unrolled: 1-line block ×3, first 2 shown]
	s_waitcnt vmcnt(0)
	ds_write2_b64 v106, v[108:109], v[110:111] offset0:14 offset1:15
	ds_write2_b64 v106, v[101:102], v[103:104] offset0:16 offset1:17
	ds_write2_b64 v106, v[97:98], v[99:100] offset0:18 offset1:19
	ds_write2_b64 v106, v[89:90], v[91:92] offset0:20 offset1:21
	ds_write2_b64 v106, v[85:86], v[87:88] offset0:22 offset1:23
	ds_write2_b64 v106, v[81:82], v[83:84] offset0:24 offset1:25
	ds_write2_b64 v106, v[77:78], v[79:80] offset0:26 offset1:27
	ds_write2_b64 v106, v[73:74], v[75:76] offset0:28 offset1:29
	ds_write2_b64 v106, v[69:70], v[71:72] offset0:30 offset1:31
	ds_write2_b64 v106, v[65:66], v[67:68] offset0:32 offset1:33
	ds_write2_b64 v106, v[61:62], v[63:64] offset0:34 offset1:35
	ds_write2_b64 v106, v[57:58], v[59:60] offset0:36 offset1:37
	ds_write2_b64 v106, v[53:54], v[55:56] offset0:38 offset1:39
	ds_write2_b64 v106, v[49:50], v[51:52] offset0:40 offset1:41
	ds_write2_b64 v106, v[45:46], v[47:48] offset0:42 offset1:43
	ds_write2_b64 v106, v[41:42], v[43:44] offset0:44 offset1:45
	ds_write2_b64 v106, v[37:38], v[39:40] offset0:46 offset1:47
	ds_write2_b64 v106, v[33:34], v[35:36] offset0:48 offset1:49
	ds_write2_b64 v106, v[29:30], v[31:32] offset0:50 offset1:51
	ds_write2_b64 v106, v[25:26], v[27:28] offset0:52 offset1:53
	ds_write2_b64 v106, v[21:22], v[23:24] offset0:54 offset1:55
	ds_write2_b64 v106, v[17:18], v[19:20] offset0:56 offset1:57
	ds_write2_b64 v106, v[13:14], v[15:16] offset0:58 offset1:59
	ds_write2_b64 v106, v[9:10], v[11:12] offset0:60 offset1:61
	ds_write2_b64 v106, v[5:6], v[7:8] offset0:62 offset1:63
	ds_write2_b64 v106, v[1:2], v[3:4] offset0:64 offset1:65
	ds_write2_b64 v106, v[93:94], v[95:96] offset0:66 offset1:67
	v_mov_b32_e32 v108, 3
.LBB66_81:
	s_or_b64 exec, exec, s[0:1]
	v_cmp_lt_i32_e32 vcc, 3, v108
	s_waitcnt vmcnt(0) lgkmcnt(0)
	s_barrier
	s_and_saveexec_b64 s[0:1], vcc
	s_cbranch_execz .LBB66_83
; %bb.82:
	buffer_load_dword v117, off, s[24:27], 0 offset:64 ; 4-byte Folded Reload
	buffer_load_dword v118, off, s[24:27], 0 offset:68 ; 4-byte Folded Reload
	;; [unrolled: 1-line block ×4, first 2 shown]
	s_waitcnt vmcnt(0)
	v_mul_f64 v[109:110], v[123:124], v[119:120]
	v_fma_f64 v[125:126], v[121:122], v[117:118], -v[109:110]
	v_mul_f64 v[109:110], v[121:122], v[119:120]
	v_fma_f64 v[119:120], v[123:124], v[117:118], v[109:110]
	ds_read2_b64 v[109:112], v106 offset0:8 offset1:9
	buffer_load_dword v115, off, s[24:27], 0 offset:48 ; 4-byte Folded Reload
	buffer_load_dword v116, off, s[24:27], 0 offset:52 ; 4-byte Folded Reload
	buffer_load_dword v117, off, s[24:27], 0 offset:56 ; 4-byte Folded Reload
	buffer_load_dword v118, off, s[24:27], 0 offset:60 ; 4-byte Folded Reload
	s_waitcnt lgkmcnt(0)
	v_mul_f64 v[113:114], v[111:112], v[119:120]
	v_fma_f64 v[113:114], v[109:110], v[125:126], -v[113:114]
	v_mul_f64 v[109:110], v[109:110], v[119:120]
	v_fma_f64 v[109:110], v[111:112], v[125:126], v[109:110]
	s_waitcnt vmcnt(2)
	v_add_f64 v[115:116], v[115:116], -v[113:114]
	s_waitcnt vmcnt(0)
	v_add_f64 v[117:118], v[117:118], -v[109:110]
	buffer_store_dword v115, off, s[24:27], 0 offset:48 ; 4-byte Folded Spill
	s_nop 0
	buffer_store_dword v116, off, s[24:27], 0 offset:52 ; 4-byte Folded Spill
	buffer_store_dword v117, off, s[24:27], 0 offset:56 ; 4-byte Folded Spill
	buffer_store_dword v118, off, s[24:27], 0 offset:60 ; 4-byte Folded Spill
	ds_read2_b64 v[109:112], v106 offset0:10 offset1:11
	buffer_load_dword v115, off, s[24:27], 0 offset:32 ; 4-byte Folded Reload
	buffer_load_dword v116, off, s[24:27], 0 offset:36 ; 4-byte Folded Reload
	buffer_load_dword v117, off, s[24:27], 0 offset:40 ; 4-byte Folded Reload
	buffer_load_dword v118, off, s[24:27], 0 offset:44 ; 4-byte Folded Reload
	s_waitcnt lgkmcnt(0)
	v_mul_f64 v[113:114], v[111:112], v[119:120]
	v_fma_f64 v[113:114], v[109:110], v[125:126], -v[113:114]
	v_mul_f64 v[109:110], v[109:110], v[119:120]
	v_fma_f64 v[109:110], v[111:112], v[125:126], v[109:110]
	s_waitcnt vmcnt(2)
	v_add_f64 v[115:116], v[115:116], -v[113:114]
	s_waitcnt vmcnt(0)
	v_add_f64 v[117:118], v[117:118], -v[109:110]
	buffer_store_dword v115, off, s[24:27], 0 offset:32 ; 4-byte Folded Spill
	s_nop 0
	buffer_store_dword v116, off, s[24:27], 0 offset:36 ; 4-byte Folded Spill
	buffer_store_dword v117, off, s[24:27], 0 offset:40 ; 4-byte Folded Spill
	buffer_store_dword v118, off, s[24:27], 0 offset:44 ; 4-byte Folded Spill
	;; [unrolled: 19-line block ×3, first 2 shown]
	ds_read2_b64 v[109:112], v106 offset0:14 offset1:15
	buffer_load_dword v115, off, s[24:27], 0 ; 4-byte Folded Reload
	buffer_load_dword v116, off, s[24:27], 0 offset:4 ; 4-byte Folded Reload
	buffer_load_dword v117, off, s[24:27], 0 offset:8 ; 4-byte Folded Reload
	;; [unrolled: 1-line block ×3, first 2 shown]
	s_waitcnt lgkmcnt(0)
	v_mul_f64 v[113:114], v[111:112], v[119:120]
	v_fma_f64 v[113:114], v[109:110], v[125:126], -v[113:114]
	v_mul_f64 v[109:110], v[109:110], v[119:120]
	v_fma_f64 v[109:110], v[111:112], v[125:126], v[109:110]
	s_waitcnt vmcnt(2)
	v_add_f64 v[115:116], v[115:116], -v[113:114]
	s_waitcnt vmcnt(0)
	v_add_f64 v[117:118], v[117:118], -v[109:110]
	buffer_store_dword v115, off, s[24:27], 0 ; 4-byte Folded Spill
	s_nop 0
	buffer_store_dword v116, off, s[24:27], 0 offset:4 ; 4-byte Folded Spill
	buffer_store_dword v117, off, s[24:27], 0 offset:8 ; 4-byte Folded Spill
	;; [unrolled: 1-line block ×3, first 2 shown]
	ds_read2_b64 v[109:112], v106 offset0:16 offset1:17
	v_mov_b32_e32 v117, v125
	v_mov_b32_e32 v118, v126
	s_waitcnt lgkmcnt(0)
	v_mul_f64 v[113:114], v[111:112], v[119:120]
	v_fma_f64 v[113:114], v[109:110], v[125:126], -v[113:114]
	v_mul_f64 v[109:110], v[109:110], v[119:120]
	v_add_f64 v[101:102], v[101:102], -v[113:114]
	v_fma_f64 v[109:110], v[111:112], v[125:126], v[109:110]
	v_add_f64 v[103:104], v[103:104], -v[109:110]
	ds_read2_b64 v[109:112], v106 offset0:18 offset1:19
	s_waitcnt lgkmcnt(0)
	v_mul_f64 v[113:114], v[111:112], v[119:120]
	v_fma_f64 v[113:114], v[109:110], v[125:126], -v[113:114]
	v_mul_f64 v[109:110], v[109:110], v[119:120]
	v_add_f64 v[97:98], v[97:98], -v[113:114]
	v_fma_f64 v[109:110], v[111:112], v[125:126], v[109:110]
	v_add_f64 v[99:100], v[99:100], -v[109:110]
	ds_read2_b64 v[109:112], v106 offset0:20 offset1:21
	;; [unrolled: 8-line block ×25, first 2 shown]
	s_waitcnt lgkmcnt(0)
	v_mul_f64 v[113:114], v[111:112], v[119:120]
	v_fma_f64 v[113:114], v[109:110], v[125:126], -v[113:114]
	v_mul_f64 v[109:110], v[109:110], v[119:120]
	buffer_store_dword v117, off, s[24:27], 0 offset:64 ; 4-byte Folded Spill
	s_nop 0
	buffer_store_dword v118, off, s[24:27], 0 offset:68 ; 4-byte Folded Spill
	buffer_store_dword v119, off, s[24:27], 0 offset:72 ; 4-byte Folded Spill
	;; [unrolled: 1-line block ×3, first 2 shown]
	v_add_f64 v[93:94], v[93:94], -v[113:114]
	v_fma_f64 v[109:110], v[111:112], v[125:126], v[109:110]
	v_add_f64 v[95:96], v[95:96], -v[109:110]
.LBB66_83:
	s_or_b64 exec, exec, s[0:1]
	s_waitcnt vmcnt(0)
	s_barrier
	buffer_load_dword v110, off, s[24:27], 0 offset:48 ; 4-byte Folded Reload
	buffer_load_dword v111, off, s[24:27], 0 offset:52 ; 4-byte Folded Reload
	;; [unrolled: 1-line block ×4, first 2 shown]
	v_lshl_add_u32 v109, v108, 4, v106
	s_cmp_lt_i32 s3, 6
	s_waitcnt vmcnt(0)
	ds_write2_b64 v109, v[110:111], v[112:113] offset1:1
	s_waitcnt lgkmcnt(0)
	s_barrier
	ds_read2_b64 v[121:124], v106 offset0:8 offset1:9
	v_mov_b32_e32 v109, 4
	s_cbranch_scc1 .LBB66_86
; %bb.84:
	v_mov_b32_e32 v109, 4
	v_add_u32_e32 v110, 0x50, v106
	s_mov_b32 s0, 5
.LBB66_85:                              ; =>This Inner Loop Header: Depth=1
	s_waitcnt lgkmcnt(0)
	v_cmp_gt_f64_e32 vcc, 0, v[121:122]
	v_xor_b32_e32 v115, 0x80000000, v122
	ds_read2_b64 v[111:114], v110 offset1:1
	v_xor_b32_e32 v117, 0x80000000, v124
	v_add_u32_e32 v110, 16, v110
	s_waitcnt lgkmcnt(0)
	v_xor_b32_e32 v119, 0x80000000, v114
	v_cndmask_b32_e32 v116, v122, v115, vcc
	v_cmp_gt_f64_e32 vcc, 0, v[123:124]
	v_mov_b32_e32 v115, v121
	v_cndmask_b32_e32 v118, v124, v117, vcc
	v_cmp_gt_f64_e32 vcc, 0, v[111:112]
	v_mov_b32_e32 v117, v123
	v_add_f64 v[115:116], v[115:116], v[117:118]
	v_xor_b32_e32 v117, 0x80000000, v112
	v_cndmask_b32_e32 v118, v112, v117, vcc
	v_cmp_gt_f64_e32 vcc, 0, v[113:114]
	v_mov_b32_e32 v117, v111
	v_cndmask_b32_e32 v120, v114, v119, vcc
	v_mov_b32_e32 v119, v113
	v_add_f64 v[117:118], v[117:118], v[119:120]
	v_cmp_lt_f64_e32 vcc, v[115:116], v[117:118]
	v_cndmask_b32_e32 v121, v121, v111, vcc
	v_mov_b32_e32 v111, s0
	s_add_i32 s0, s0, 1
	v_cndmask_b32_e32 v122, v122, v112, vcc
	v_cndmask_b32_e32 v124, v124, v114, vcc
	;; [unrolled: 1-line block ×4, first 2 shown]
	s_cmp_lg_u32 s3, s0
	s_cbranch_scc1 .LBB66_85
.LBB66_86:
	s_waitcnt lgkmcnt(0)
	v_cmp_eq_f64_e32 vcc, 0, v[121:122]
	v_cmp_eq_f64_e64 s[0:1], 0, v[123:124]
	s_and_b64 s[0:1], vcc, s[0:1]
	s_and_saveexec_b64 s[18:19], s[0:1]
	s_xor_b64 s[0:1], exec, s[18:19]
; %bb.87:
	v_cmp_ne_u32_e32 vcc, 0, v107
	v_cndmask_b32_e32 v107, 5, v107, vcc
; %bb.88:
	s_andn2_saveexec_b64 s[0:1], s[0:1]
	s_cbranch_execz .LBB66_94
; %bb.89:
	v_cmp_ngt_f64_e64 s[18:19], |v[121:122]|, |v[123:124]|
	s_and_saveexec_b64 s[20:21], s[18:19]
	s_xor_b64 s[18:19], exec, s[20:21]
	s_cbranch_execz .LBB66_91
; %bb.90:
	v_div_scale_f64 v[110:111], s[20:21], v[123:124], v[123:124], v[121:122]
	v_rcp_f64_e32 v[112:113], v[110:111]
	v_fma_f64 v[114:115], -v[110:111], v[112:113], 1.0
	v_fma_f64 v[112:113], v[112:113], v[114:115], v[112:113]
	v_div_scale_f64 v[114:115], vcc, v[121:122], v[123:124], v[121:122]
	v_fma_f64 v[116:117], -v[110:111], v[112:113], 1.0
	v_fma_f64 v[112:113], v[112:113], v[116:117], v[112:113]
	v_mul_f64 v[116:117], v[114:115], v[112:113]
	v_fma_f64 v[110:111], -v[110:111], v[116:117], v[114:115]
	v_div_fmas_f64 v[110:111], v[110:111], v[112:113], v[116:117]
	v_div_fixup_f64 v[110:111], v[110:111], v[123:124], v[121:122]
	v_fma_f64 v[112:113], v[121:122], v[110:111], v[123:124]
	v_div_scale_f64 v[114:115], s[20:21], v[112:113], v[112:113], 1.0
	v_div_scale_f64 v[120:121], vcc, 1.0, v[112:113], 1.0
	v_rcp_f64_e32 v[116:117], v[114:115]
	v_fma_f64 v[118:119], -v[114:115], v[116:117], 1.0
	v_fma_f64 v[116:117], v[116:117], v[118:119], v[116:117]
	v_fma_f64 v[118:119], -v[114:115], v[116:117], 1.0
	v_fma_f64 v[116:117], v[116:117], v[118:119], v[116:117]
	v_mul_f64 v[118:119], v[120:121], v[116:117]
	v_fma_f64 v[114:115], -v[114:115], v[118:119], v[120:121]
	v_div_fmas_f64 v[114:115], v[114:115], v[116:117], v[118:119]
	v_div_fixup_f64 v[123:124], v[114:115], v[112:113], 1.0
	v_mul_f64 v[121:122], v[110:111], v[123:124]
	v_xor_b32_e32 v124, 0x80000000, v124
.LBB66_91:
	s_andn2_saveexec_b64 s[18:19], s[18:19]
	s_cbranch_execz .LBB66_93
; %bb.92:
	v_div_scale_f64 v[110:111], s[20:21], v[121:122], v[121:122], v[123:124]
	v_rcp_f64_e32 v[112:113], v[110:111]
	v_fma_f64 v[114:115], -v[110:111], v[112:113], 1.0
	v_fma_f64 v[112:113], v[112:113], v[114:115], v[112:113]
	v_div_scale_f64 v[114:115], vcc, v[123:124], v[121:122], v[123:124]
	v_fma_f64 v[116:117], -v[110:111], v[112:113], 1.0
	v_fma_f64 v[112:113], v[112:113], v[116:117], v[112:113]
	v_mul_f64 v[116:117], v[114:115], v[112:113]
	v_fma_f64 v[110:111], -v[110:111], v[116:117], v[114:115]
	v_div_fmas_f64 v[110:111], v[110:111], v[112:113], v[116:117]
	v_div_fixup_f64 v[110:111], v[110:111], v[121:122], v[123:124]
	v_fma_f64 v[112:113], v[123:124], v[110:111], v[121:122]
	v_div_scale_f64 v[114:115], s[20:21], v[112:113], v[112:113], 1.0
	v_div_scale_f64 v[120:121], vcc, 1.0, v[112:113], 1.0
	v_rcp_f64_e32 v[116:117], v[114:115]
	v_fma_f64 v[118:119], -v[114:115], v[116:117], 1.0
	v_fma_f64 v[116:117], v[116:117], v[118:119], v[116:117]
	v_fma_f64 v[118:119], -v[114:115], v[116:117], 1.0
	v_fma_f64 v[116:117], v[116:117], v[118:119], v[116:117]
	v_mul_f64 v[118:119], v[120:121], v[116:117]
	v_fma_f64 v[114:115], -v[114:115], v[118:119], v[120:121]
	v_div_fmas_f64 v[114:115], v[114:115], v[116:117], v[118:119]
	v_div_fixup_f64 v[121:122], v[114:115], v[112:113], 1.0
	v_mul_f64 v[123:124], v[110:111], -v[121:122]
.LBB66_93:
	s_or_b64 exec, exec, s[18:19]
.LBB66_94:
	s_or_b64 exec, exec, s[0:1]
	v_cmp_ne_u32_e32 vcc, v108, v109
	s_and_saveexec_b64 s[0:1], vcc
	s_xor_b64 s[0:1], exec, s[0:1]
	s_cbranch_execz .LBB66_100
; %bb.95:
	v_cmp_eq_u32_e32 vcc, 4, v108
	s_and_saveexec_b64 s[18:19], vcc
	s_cbranch_execz .LBB66_99
; %bb.96:
	v_cmp_ne_u32_e32 vcc, 4, v109
	s_xor_b64 s[20:21], s[6:7], -1
	s_and_b64 s[22:23], s[20:21], vcc
	s_and_saveexec_b64 s[20:21], s[22:23]
	s_cbranch_execz .LBB66_98
; %bb.97:
	buffer_load_dword v112, off, s[24:27], 0 offset:96 ; 4-byte Folded Reload
	buffer_load_dword v113, off, s[24:27], 0 offset:100 ; 4-byte Folded Reload
	v_ashrrev_i32_e32 v110, 31, v109
	v_lshlrev_b64 v[110:111], 2, v[109:110]
	s_waitcnt vmcnt(1)
	v_add_co_u32_e32 v110, vcc, v112, v110
	s_waitcnt vmcnt(0)
	v_addc_co_u32_e32 v111, vcc, v113, v111, vcc
	global_load_dword v0, v[110:111], off
	global_load_dword v108, v[112:113], off offset:16
	s_waitcnt vmcnt(1)
	global_store_dword v[112:113], v0, off offset:16
	s_waitcnt vmcnt(1)
	global_store_dword v[110:111], v108, off
.LBB66_98:
	s_or_b64 exec, exec, s[20:21]
	v_mov_b32_e32 v108, v109
	v_mov_b32_e32 v0, v109
.LBB66_99:
	s_or_b64 exec, exec, s[18:19]
.LBB66_100:
	s_andn2_saveexec_b64 s[0:1], s[0:1]
	s_cbranch_execz .LBB66_102
; %bb.101:
	buffer_load_dword v108, off, s[24:27], 0 offset:32 ; 4-byte Folded Reload
	buffer_load_dword v109, off, s[24:27], 0 offset:36 ; 4-byte Folded Reload
	;; [unrolled: 1-line block ×4, first 2 shown]
	s_waitcnt vmcnt(0)
	ds_write2_b64 v106, v[108:109], v[110:111] offset0:10 offset1:11
	buffer_load_dword v108, off, s[24:27], 0 offset:16 ; 4-byte Folded Reload
	buffer_load_dword v109, off, s[24:27], 0 offset:20 ; 4-byte Folded Reload
	;; [unrolled: 1-line block ×4, first 2 shown]
	s_waitcnt vmcnt(0)
	ds_write2_b64 v106, v[108:109], v[110:111] offset0:12 offset1:13
	buffer_load_dword v108, off, s[24:27], 0 ; 4-byte Folded Reload
	buffer_load_dword v109, off, s[24:27], 0 offset:4 ; 4-byte Folded Reload
	buffer_load_dword v110, off, s[24:27], 0 offset:8 ; 4-byte Folded Reload
	;; [unrolled: 1-line block ×3, first 2 shown]
	s_waitcnt vmcnt(0)
	ds_write2_b64 v106, v[108:109], v[110:111] offset0:14 offset1:15
	ds_write2_b64 v106, v[101:102], v[103:104] offset0:16 offset1:17
	;; [unrolled: 1-line block ×27, first 2 shown]
	v_mov_b32_e32 v108, 4
.LBB66_102:
	s_or_b64 exec, exec, s[0:1]
	v_cmp_lt_i32_e32 vcc, 4, v108
	s_waitcnt vmcnt(0) lgkmcnt(0)
	s_barrier
	s_and_saveexec_b64 s[0:1], vcc
	s_cbranch_execz .LBB66_104
; %bb.103:
	buffer_load_dword v117, off, s[24:27], 0 offset:48 ; 4-byte Folded Reload
	buffer_load_dword v118, off, s[24:27], 0 offset:52 ; 4-byte Folded Reload
	;; [unrolled: 1-line block ×4, first 2 shown]
	s_waitcnt vmcnt(0)
	v_mul_f64 v[109:110], v[123:124], v[119:120]
	v_fma_f64 v[125:126], v[121:122], v[117:118], -v[109:110]
	v_mul_f64 v[109:110], v[121:122], v[119:120]
	v_fma_f64 v[119:120], v[123:124], v[117:118], v[109:110]
	ds_read2_b64 v[109:112], v106 offset0:10 offset1:11
	buffer_load_dword v115, off, s[24:27], 0 offset:32 ; 4-byte Folded Reload
	buffer_load_dword v116, off, s[24:27], 0 offset:36 ; 4-byte Folded Reload
	;; [unrolled: 1-line block ×4, first 2 shown]
	s_waitcnt lgkmcnt(0)
	v_mul_f64 v[113:114], v[111:112], v[119:120]
	v_fma_f64 v[113:114], v[109:110], v[125:126], -v[113:114]
	v_mul_f64 v[109:110], v[109:110], v[119:120]
	v_fma_f64 v[109:110], v[111:112], v[125:126], v[109:110]
	s_waitcnt vmcnt(2)
	v_add_f64 v[115:116], v[115:116], -v[113:114]
	s_waitcnt vmcnt(0)
	v_add_f64 v[117:118], v[117:118], -v[109:110]
	buffer_store_dword v115, off, s[24:27], 0 offset:32 ; 4-byte Folded Spill
	s_nop 0
	buffer_store_dword v116, off, s[24:27], 0 offset:36 ; 4-byte Folded Spill
	buffer_store_dword v117, off, s[24:27], 0 offset:40 ; 4-byte Folded Spill
	;; [unrolled: 1-line block ×3, first 2 shown]
	ds_read2_b64 v[109:112], v106 offset0:12 offset1:13
	buffer_load_dword v115, off, s[24:27], 0 offset:16 ; 4-byte Folded Reload
	buffer_load_dword v116, off, s[24:27], 0 offset:20 ; 4-byte Folded Reload
	buffer_load_dword v117, off, s[24:27], 0 offset:24 ; 4-byte Folded Reload
	buffer_load_dword v118, off, s[24:27], 0 offset:28 ; 4-byte Folded Reload
	s_waitcnt lgkmcnt(0)
	v_mul_f64 v[113:114], v[111:112], v[119:120]
	v_fma_f64 v[113:114], v[109:110], v[125:126], -v[113:114]
	v_mul_f64 v[109:110], v[109:110], v[119:120]
	v_fma_f64 v[109:110], v[111:112], v[125:126], v[109:110]
	s_waitcnt vmcnt(2)
	v_add_f64 v[115:116], v[115:116], -v[113:114]
	s_waitcnt vmcnt(0)
	v_add_f64 v[117:118], v[117:118], -v[109:110]
	buffer_store_dword v115, off, s[24:27], 0 offset:16 ; 4-byte Folded Spill
	s_nop 0
	buffer_store_dword v116, off, s[24:27], 0 offset:20 ; 4-byte Folded Spill
	buffer_store_dword v117, off, s[24:27], 0 offset:24 ; 4-byte Folded Spill
	;; [unrolled: 1-line block ×3, first 2 shown]
	ds_read2_b64 v[109:112], v106 offset0:14 offset1:15
	buffer_load_dword v115, off, s[24:27], 0 ; 4-byte Folded Reload
	buffer_load_dword v116, off, s[24:27], 0 offset:4 ; 4-byte Folded Reload
	buffer_load_dword v117, off, s[24:27], 0 offset:8 ; 4-byte Folded Reload
	;; [unrolled: 1-line block ×3, first 2 shown]
	s_waitcnt lgkmcnt(0)
	v_mul_f64 v[113:114], v[111:112], v[119:120]
	v_fma_f64 v[113:114], v[109:110], v[125:126], -v[113:114]
	v_mul_f64 v[109:110], v[109:110], v[119:120]
	v_fma_f64 v[109:110], v[111:112], v[125:126], v[109:110]
	s_waitcnt vmcnt(2)
	v_add_f64 v[115:116], v[115:116], -v[113:114]
	s_waitcnt vmcnt(0)
	v_add_f64 v[117:118], v[117:118], -v[109:110]
	buffer_store_dword v115, off, s[24:27], 0 ; 4-byte Folded Spill
	s_nop 0
	buffer_store_dword v116, off, s[24:27], 0 offset:4 ; 4-byte Folded Spill
	buffer_store_dword v117, off, s[24:27], 0 offset:8 ; 4-byte Folded Spill
	;; [unrolled: 1-line block ×3, first 2 shown]
	ds_read2_b64 v[109:112], v106 offset0:16 offset1:17
	v_mov_b32_e32 v117, v125
	v_mov_b32_e32 v118, v126
	s_waitcnt lgkmcnt(0)
	v_mul_f64 v[113:114], v[111:112], v[119:120]
	v_fma_f64 v[113:114], v[109:110], v[125:126], -v[113:114]
	v_mul_f64 v[109:110], v[109:110], v[119:120]
	v_add_f64 v[101:102], v[101:102], -v[113:114]
	v_fma_f64 v[109:110], v[111:112], v[125:126], v[109:110]
	v_add_f64 v[103:104], v[103:104], -v[109:110]
	ds_read2_b64 v[109:112], v106 offset0:18 offset1:19
	s_waitcnt lgkmcnt(0)
	v_mul_f64 v[113:114], v[111:112], v[119:120]
	v_fma_f64 v[113:114], v[109:110], v[125:126], -v[113:114]
	v_mul_f64 v[109:110], v[109:110], v[119:120]
	v_add_f64 v[97:98], v[97:98], -v[113:114]
	v_fma_f64 v[109:110], v[111:112], v[125:126], v[109:110]
	v_add_f64 v[99:100], v[99:100], -v[109:110]
	ds_read2_b64 v[109:112], v106 offset0:20 offset1:21
	;; [unrolled: 8-line block ×25, first 2 shown]
	s_waitcnt lgkmcnt(0)
	v_mul_f64 v[113:114], v[111:112], v[119:120]
	v_fma_f64 v[113:114], v[109:110], v[125:126], -v[113:114]
	v_mul_f64 v[109:110], v[109:110], v[119:120]
	buffer_store_dword v117, off, s[24:27], 0 offset:48 ; 4-byte Folded Spill
	s_nop 0
	buffer_store_dword v118, off, s[24:27], 0 offset:52 ; 4-byte Folded Spill
	buffer_store_dword v119, off, s[24:27], 0 offset:56 ; 4-byte Folded Spill
	;; [unrolled: 1-line block ×3, first 2 shown]
	v_add_f64 v[93:94], v[93:94], -v[113:114]
	v_fma_f64 v[109:110], v[111:112], v[125:126], v[109:110]
	v_add_f64 v[95:96], v[95:96], -v[109:110]
.LBB66_104:
	s_or_b64 exec, exec, s[0:1]
	s_waitcnt vmcnt(0)
	s_barrier
	buffer_load_dword v110, off, s[24:27], 0 offset:32 ; 4-byte Folded Reload
	buffer_load_dword v111, off, s[24:27], 0 offset:36 ; 4-byte Folded Reload
	;; [unrolled: 1-line block ×4, first 2 shown]
	v_lshl_add_u32 v109, v108, 4, v106
	s_cmp_lt_i32 s3, 7
	s_waitcnt vmcnt(0)
	ds_write2_b64 v109, v[110:111], v[112:113] offset1:1
	s_waitcnt lgkmcnt(0)
	s_barrier
	ds_read2_b64 v[121:124], v106 offset0:10 offset1:11
	v_mov_b32_e32 v109, 5
	s_cbranch_scc1 .LBB66_107
; %bb.105:
	v_add_u32_e32 v110, 0x60, v106
	s_mov_b32 s0, 6
	v_mov_b32_e32 v109, 5
.LBB66_106:                             ; =>This Inner Loop Header: Depth=1
	s_waitcnt lgkmcnt(0)
	v_cmp_gt_f64_e32 vcc, 0, v[121:122]
	v_xor_b32_e32 v115, 0x80000000, v122
	ds_read2_b64 v[111:114], v110 offset1:1
	v_xor_b32_e32 v117, 0x80000000, v124
	v_add_u32_e32 v110, 16, v110
	s_waitcnt lgkmcnt(0)
	v_xor_b32_e32 v119, 0x80000000, v114
	v_cndmask_b32_e32 v116, v122, v115, vcc
	v_cmp_gt_f64_e32 vcc, 0, v[123:124]
	v_mov_b32_e32 v115, v121
	v_cndmask_b32_e32 v118, v124, v117, vcc
	v_cmp_gt_f64_e32 vcc, 0, v[111:112]
	v_mov_b32_e32 v117, v123
	v_add_f64 v[115:116], v[115:116], v[117:118]
	v_xor_b32_e32 v117, 0x80000000, v112
	v_cndmask_b32_e32 v118, v112, v117, vcc
	v_cmp_gt_f64_e32 vcc, 0, v[113:114]
	v_mov_b32_e32 v117, v111
	v_cndmask_b32_e32 v120, v114, v119, vcc
	v_mov_b32_e32 v119, v113
	v_add_f64 v[117:118], v[117:118], v[119:120]
	v_cmp_lt_f64_e32 vcc, v[115:116], v[117:118]
	v_cndmask_b32_e32 v121, v121, v111, vcc
	v_mov_b32_e32 v111, s0
	s_add_i32 s0, s0, 1
	v_cndmask_b32_e32 v122, v122, v112, vcc
	v_cndmask_b32_e32 v124, v124, v114, vcc
	;; [unrolled: 1-line block ×4, first 2 shown]
	s_cmp_lg_u32 s3, s0
	s_cbranch_scc1 .LBB66_106
.LBB66_107:
	s_waitcnt lgkmcnt(0)
	v_cmp_eq_f64_e32 vcc, 0, v[121:122]
	v_cmp_eq_f64_e64 s[0:1], 0, v[123:124]
	s_and_b64 s[0:1], vcc, s[0:1]
	s_and_saveexec_b64 s[18:19], s[0:1]
	s_xor_b64 s[0:1], exec, s[18:19]
; %bb.108:
	v_cmp_ne_u32_e32 vcc, 0, v107
	v_cndmask_b32_e32 v107, 6, v107, vcc
; %bb.109:
	s_andn2_saveexec_b64 s[0:1], s[0:1]
	s_cbranch_execz .LBB66_115
; %bb.110:
	v_cmp_ngt_f64_e64 s[18:19], |v[121:122]|, |v[123:124]|
	s_and_saveexec_b64 s[20:21], s[18:19]
	s_xor_b64 s[18:19], exec, s[20:21]
	s_cbranch_execz .LBB66_112
; %bb.111:
	v_div_scale_f64 v[110:111], s[20:21], v[123:124], v[123:124], v[121:122]
	v_rcp_f64_e32 v[112:113], v[110:111]
	v_fma_f64 v[114:115], -v[110:111], v[112:113], 1.0
	v_fma_f64 v[112:113], v[112:113], v[114:115], v[112:113]
	v_div_scale_f64 v[114:115], vcc, v[121:122], v[123:124], v[121:122]
	v_fma_f64 v[116:117], -v[110:111], v[112:113], 1.0
	v_fma_f64 v[112:113], v[112:113], v[116:117], v[112:113]
	v_mul_f64 v[116:117], v[114:115], v[112:113]
	v_fma_f64 v[110:111], -v[110:111], v[116:117], v[114:115]
	v_div_fmas_f64 v[110:111], v[110:111], v[112:113], v[116:117]
	v_div_fixup_f64 v[110:111], v[110:111], v[123:124], v[121:122]
	v_fma_f64 v[112:113], v[121:122], v[110:111], v[123:124]
	v_div_scale_f64 v[114:115], s[20:21], v[112:113], v[112:113], 1.0
	v_div_scale_f64 v[120:121], vcc, 1.0, v[112:113], 1.0
	v_rcp_f64_e32 v[116:117], v[114:115]
	v_fma_f64 v[118:119], -v[114:115], v[116:117], 1.0
	v_fma_f64 v[116:117], v[116:117], v[118:119], v[116:117]
	v_fma_f64 v[118:119], -v[114:115], v[116:117], 1.0
	v_fma_f64 v[116:117], v[116:117], v[118:119], v[116:117]
	v_mul_f64 v[118:119], v[120:121], v[116:117]
	v_fma_f64 v[114:115], -v[114:115], v[118:119], v[120:121]
	v_div_fmas_f64 v[114:115], v[114:115], v[116:117], v[118:119]
	v_div_fixup_f64 v[123:124], v[114:115], v[112:113], 1.0
	v_mul_f64 v[121:122], v[110:111], v[123:124]
	v_xor_b32_e32 v124, 0x80000000, v124
.LBB66_112:
	s_andn2_saveexec_b64 s[18:19], s[18:19]
	s_cbranch_execz .LBB66_114
; %bb.113:
	v_div_scale_f64 v[110:111], s[20:21], v[121:122], v[121:122], v[123:124]
	v_rcp_f64_e32 v[112:113], v[110:111]
	v_fma_f64 v[114:115], -v[110:111], v[112:113], 1.0
	v_fma_f64 v[112:113], v[112:113], v[114:115], v[112:113]
	v_div_scale_f64 v[114:115], vcc, v[123:124], v[121:122], v[123:124]
	v_fma_f64 v[116:117], -v[110:111], v[112:113], 1.0
	v_fma_f64 v[112:113], v[112:113], v[116:117], v[112:113]
	v_mul_f64 v[116:117], v[114:115], v[112:113]
	v_fma_f64 v[110:111], -v[110:111], v[116:117], v[114:115]
	v_div_fmas_f64 v[110:111], v[110:111], v[112:113], v[116:117]
	v_div_fixup_f64 v[110:111], v[110:111], v[121:122], v[123:124]
	v_fma_f64 v[112:113], v[123:124], v[110:111], v[121:122]
	v_div_scale_f64 v[114:115], s[20:21], v[112:113], v[112:113], 1.0
	v_div_scale_f64 v[120:121], vcc, 1.0, v[112:113], 1.0
	v_rcp_f64_e32 v[116:117], v[114:115]
	v_fma_f64 v[118:119], -v[114:115], v[116:117], 1.0
	v_fma_f64 v[116:117], v[116:117], v[118:119], v[116:117]
	v_fma_f64 v[118:119], -v[114:115], v[116:117], 1.0
	v_fma_f64 v[116:117], v[116:117], v[118:119], v[116:117]
	v_mul_f64 v[118:119], v[120:121], v[116:117]
	v_fma_f64 v[114:115], -v[114:115], v[118:119], v[120:121]
	v_div_fmas_f64 v[114:115], v[114:115], v[116:117], v[118:119]
	v_div_fixup_f64 v[121:122], v[114:115], v[112:113], 1.0
	v_mul_f64 v[123:124], v[110:111], -v[121:122]
.LBB66_114:
	s_or_b64 exec, exec, s[18:19]
.LBB66_115:
	s_or_b64 exec, exec, s[0:1]
	v_cmp_ne_u32_e32 vcc, v108, v109
	s_and_saveexec_b64 s[0:1], vcc
	s_xor_b64 s[0:1], exec, s[0:1]
	s_cbranch_execz .LBB66_121
; %bb.116:
	v_cmp_eq_u32_e32 vcc, 5, v108
	s_and_saveexec_b64 s[18:19], vcc
	s_cbranch_execz .LBB66_120
; %bb.117:
	v_cmp_ne_u32_e32 vcc, 5, v109
	s_xor_b64 s[20:21], s[6:7], -1
	s_and_b64 s[22:23], s[20:21], vcc
	s_and_saveexec_b64 s[20:21], s[22:23]
	s_cbranch_execz .LBB66_119
; %bb.118:
	buffer_load_dword v112, off, s[24:27], 0 offset:96 ; 4-byte Folded Reload
	buffer_load_dword v113, off, s[24:27], 0 offset:100 ; 4-byte Folded Reload
	v_ashrrev_i32_e32 v110, 31, v109
	v_lshlrev_b64 v[110:111], 2, v[109:110]
	s_waitcnt vmcnt(1)
	v_add_co_u32_e32 v110, vcc, v112, v110
	s_waitcnt vmcnt(0)
	v_addc_co_u32_e32 v111, vcc, v113, v111, vcc
	global_load_dword v0, v[110:111], off
	global_load_dword v108, v[112:113], off offset:20
	s_waitcnt vmcnt(1)
	global_store_dword v[112:113], v0, off offset:20
	s_waitcnt vmcnt(1)
	global_store_dword v[110:111], v108, off
.LBB66_119:
	s_or_b64 exec, exec, s[20:21]
	v_mov_b32_e32 v108, v109
	v_mov_b32_e32 v0, v109
.LBB66_120:
	s_or_b64 exec, exec, s[18:19]
.LBB66_121:
	s_andn2_saveexec_b64 s[0:1], s[0:1]
	s_cbranch_execz .LBB66_123
; %bb.122:
	buffer_load_dword v108, off, s[24:27], 0 offset:16 ; 4-byte Folded Reload
	buffer_load_dword v109, off, s[24:27], 0 offset:20 ; 4-byte Folded Reload
	;; [unrolled: 1-line block ×4, first 2 shown]
	s_waitcnt vmcnt(0)
	ds_write2_b64 v106, v[108:109], v[110:111] offset0:12 offset1:13
	buffer_load_dword v108, off, s[24:27], 0 ; 4-byte Folded Reload
	buffer_load_dword v109, off, s[24:27], 0 offset:4 ; 4-byte Folded Reload
	buffer_load_dword v110, off, s[24:27], 0 offset:8 ; 4-byte Folded Reload
	;; [unrolled: 1-line block ×3, first 2 shown]
	s_waitcnt vmcnt(0)
	ds_write2_b64 v106, v[108:109], v[110:111] offset0:14 offset1:15
	ds_write2_b64 v106, v[101:102], v[103:104] offset0:16 offset1:17
	;; [unrolled: 1-line block ×27, first 2 shown]
	v_mov_b32_e32 v108, 5
.LBB66_123:
	s_or_b64 exec, exec, s[0:1]
	v_cmp_lt_i32_e32 vcc, 5, v108
	s_waitcnt vmcnt(0) lgkmcnt(0)
	s_barrier
	s_and_saveexec_b64 s[0:1], vcc
	s_cbranch_execz .LBB66_125
; %bb.124:
	buffer_load_dword v117, off, s[24:27], 0 offset:32 ; 4-byte Folded Reload
	buffer_load_dword v118, off, s[24:27], 0 offset:36 ; 4-byte Folded Reload
	;; [unrolled: 1-line block ×4, first 2 shown]
	s_waitcnt vmcnt(0)
	v_mul_f64 v[109:110], v[123:124], v[119:120]
	v_fma_f64 v[125:126], v[121:122], v[117:118], -v[109:110]
	v_mul_f64 v[109:110], v[121:122], v[119:120]
	v_fma_f64 v[119:120], v[123:124], v[117:118], v[109:110]
	ds_read2_b64 v[109:112], v106 offset0:12 offset1:13
	buffer_load_dword v115, off, s[24:27], 0 offset:16 ; 4-byte Folded Reload
	buffer_load_dword v116, off, s[24:27], 0 offset:20 ; 4-byte Folded Reload
	;; [unrolled: 1-line block ×4, first 2 shown]
	s_waitcnt lgkmcnt(0)
	v_mul_f64 v[113:114], v[111:112], v[119:120]
	v_fma_f64 v[113:114], v[109:110], v[125:126], -v[113:114]
	v_mul_f64 v[109:110], v[109:110], v[119:120]
	v_fma_f64 v[109:110], v[111:112], v[125:126], v[109:110]
	s_waitcnt vmcnt(2)
	v_add_f64 v[115:116], v[115:116], -v[113:114]
	s_waitcnt vmcnt(0)
	v_add_f64 v[117:118], v[117:118], -v[109:110]
	buffer_store_dword v115, off, s[24:27], 0 offset:16 ; 4-byte Folded Spill
	s_nop 0
	buffer_store_dword v116, off, s[24:27], 0 offset:20 ; 4-byte Folded Spill
	buffer_store_dword v117, off, s[24:27], 0 offset:24 ; 4-byte Folded Spill
	buffer_store_dword v118, off, s[24:27], 0 offset:28 ; 4-byte Folded Spill
	ds_read2_b64 v[109:112], v106 offset0:14 offset1:15
	buffer_load_dword v115, off, s[24:27], 0 ; 4-byte Folded Reload
	buffer_load_dword v116, off, s[24:27], 0 offset:4 ; 4-byte Folded Reload
	buffer_load_dword v117, off, s[24:27], 0 offset:8 ; 4-byte Folded Reload
	;; [unrolled: 1-line block ×3, first 2 shown]
	s_waitcnt lgkmcnt(0)
	v_mul_f64 v[113:114], v[111:112], v[119:120]
	v_fma_f64 v[113:114], v[109:110], v[125:126], -v[113:114]
	v_mul_f64 v[109:110], v[109:110], v[119:120]
	v_fma_f64 v[109:110], v[111:112], v[125:126], v[109:110]
	s_waitcnt vmcnt(2)
	v_add_f64 v[115:116], v[115:116], -v[113:114]
	s_waitcnt vmcnt(0)
	v_add_f64 v[117:118], v[117:118], -v[109:110]
	buffer_store_dword v115, off, s[24:27], 0 ; 4-byte Folded Spill
	s_nop 0
	buffer_store_dword v116, off, s[24:27], 0 offset:4 ; 4-byte Folded Spill
	buffer_store_dword v117, off, s[24:27], 0 offset:8 ; 4-byte Folded Spill
	;; [unrolled: 1-line block ×3, first 2 shown]
	ds_read2_b64 v[109:112], v106 offset0:16 offset1:17
	v_mov_b32_e32 v117, v125
	v_mov_b32_e32 v118, v126
	s_waitcnt lgkmcnt(0)
	v_mul_f64 v[113:114], v[111:112], v[119:120]
	v_fma_f64 v[113:114], v[109:110], v[125:126], -v[113:114]
	v_mul_f64 v[109:110], v[109:110], v[119:120]
	v_add_f64 v[101:102], v[101:102], -v[113:114]
	v_fma_f64 v[109:110], v[111:112], v[125:126], v[109:110]
	v_add_f64 v[103:104], v[103:104], -v[109:110]
	ds_read2_b64 v[109:112], v106 offset0:18 offset1:19
	s_waitcnt lgkmcnt(0)
	v_mul_f64 v[113:114], v[111:112], v[119:120]
	v_fma_f64 v[113:114], v[109:110], v[125:126], -v[113:114]
	v_mul_f64 v[109:110], v[109:110], v[119:120]
	v_add_f64 v[97:98], v[97:98], -v[113:114]
	v_fma_f64 v[109:110], v[111:112], v[125:126], v[109:110]
	v_add_f64 v[99:100], v[99:100], -v[109:110]
	ds_read2_b64 v[109:112], v106 offset0:20 offset1:21
	;; [unrolled: 8-line block ×25, first 2 shown]
	s_waitcnt lgkmcnt(0)
	v_mul_f64 v[113:114], v[111:112], v[119:120]
	v_fma_f64 v[113:114], v[109:110], v[125:126], -v[113:114]
	v_mul_f64 v[109:110], v[109:110], v[119:120]
	buffer_store_dword v117, off, s[24:27], 0 offset:32 ; 4-byte Folded Spill
	s_nop 0
	buffer_store_dword v118, off, s[24:27], 0 offset:36 ; 4-byte Folded Spill
	buffer_store_dword v119, off, s[24:27], 0 offset:40 ; 4-byte Folded Spill
	;; [unrolled: 1-line block ×3, first 2 shown]
	v_add_f64 v[93:94], v[93:94], -v[113:114]
	v_fma_f64 v[109:110], v[111:112], v[125:126], v[109:110]
	v_add_f64 v[95:96], v[95:96], -v[109:110]
.LBB66_125:
	s_or_b64 exec, exec, s[0:1]
	s_waitcnt vmcnt(0)
	s_barrier
	buffer_load_dword v110, off, s[24:27], 0 offset:16 ; 4-byte Folded Reload
	buffer_load_dword v111, off, s[24:27], 0 offset:20 ; 4-byte Folded Reload
	;; [unrolled: 1-line block ×4, first 2 shown]
	v_lshl_add_u32 v109, v108, 4, v106
	s_cmp_lt_i32 s3, 8
	s_waitcnt vmcnt(0)
	ds_write2_b64 v109, v[110:111], v[112:113] offset1:1
	s_waitcnt lgkmcnt(0)
	s_barrier
	ds_read2_b64 v[121:124], v106 offset0:12 offset1:13
	v_mov_b32_e32 v109, 6
	s_cbranch_scc1 .LBB66_128
; %bb.126:
	v_add_u32_e32 v110, 0x70, v106
	s_mov_b32 s0, 7
	v_mov_b32_e32 v109, 6
.LBB66_127:                             ; =>This Inner Loop Header: Depth=1
	s_waitcnt lgkmcnt(0)
	v_cmp_gt_f64_e32 vcc, 0, v[121:122]
	v_xor_b32_e32 v115, 0x80000000, v122
	ds_read2_b64 v[111:114], v110 offset1:1
	v_xor_b32_e32 v117, 0x80000000, v124
	v_add_u32_e32 v110, 16, v110
	s_waitcnt lgkmcnt(0)
	v_xor_b32_e32 v119, 0x80000000, v114
	v_cndmask_b32_e32 v116, v122, v115, vcc
	v_cmp_gt_f64_e32 vcc, 0, v[123:124]
	v_mov_b32_e32 v115, v121
	v_cndmask_b32_e32 v118, v124, v117, vcc
	v_cmp_gt_f64_e32 vcc, 0, v[111:112]
	v_mov_b32_e32 v117, v123
	v_add_f64 v[115:116], v[115:116], v[117:118]
	v_xor_b32_e32 v117, 0x80000000, v112
	v_cndmask_b32_e32 v118, v112, v117, vcc
	v_cmp_gt_f64_e32 vcc, 0, v[113:114]
	v_mov_b32_e32 v117, v111
	v_cndmask_b32_e32 v120, v114, v119, vcc
	v_mov_b32_e32 v119, v113
	v_add_f64 v[117:118], v[117:118], v[119:120]
	v_cmp_lt_f64_e32 vcc, v[115:116], v[117:118]
	v_cndmask_b32_e32 v121, v121, v111, vcc
	v_mov_b32_e32 v111, s0
	s_add_i32 s0, s0, 1
	v_cndmask_b32_e32 v122, v122, v112, vcc
	v_cndmask_b32_e32 v124, v124, v114, vcc
	;; [unrolled: 1-line block ×4, first 2 shown]
	s_cmp_lg_u32 s3, s0
	s_cbranch_scc1 .LBB66_127
.LBB66_128:
	s_waitcnt lgkmcnt(0)
	v_cmp_eq_f64_e32 vcc, 0, v[121:122]
	v_cmp_eq_f64_e64 s[0:1], 0, v[123:124]
	s_and_b64 s[0:1], vcc, s[0:1]
	s_and_saveexec_b64 s[18:19], s[0:1]
	s_xor_b64 s[0:1], exec, s[18:19]
; %bb.129:
	v_cmp_ne_u32_e32 vcc, 0, v107
	v_cndmask_b32_e32 v107, 7, v107, vcc
; %bb.130:
	s_andn2_saveexec_b64 s[0:1], s[0:1]
	s_cbranch_execz .LBB66_136
; %bb.131:
	v_cmp_ngt_f64_e64 s[18:19], |v[121:122]|, |v[123:124]|
	s_and_saveexec_b64 s[20:21], s[18:19]
	s_xor_b64 s[18:19], exec, s[20:21]
	s_cbranch_execz .LBB66_133
; %bb.132:
	v_div_scale_f64 v[110:111], s[20:21], v[123:124], v[123:124], v[121:122]
	v_rcp_f64_e32 v[112:113], v[110:111]
	v_fma_f64 v[114:115], -v[110:111], v[112:113], 1.0
	v_fma_f64 v[112:113], v[112:113], v[114:115], v[112:113]
	v_div_scale_f64 v[114:115], vcc, v[121:122], v[123:124], v[121:122]
	v_fma_f64 v[116:117], -v[110:111], v[112:113], 1.0
	v_fma_f64 v[112:113], v[112:113], v[116:117], v[112:113]
	v_mul_f64 v[116:117], v[114:115], v[112:113]
	v_fma_f64 v[110:111], -v[110:111], v[116:117], v[114:115]
	v_div_fmas_f64 v[110:111], v[110:111], v[112:113], v[116:117]
	v_div_fixup_f64 v[110:111], v[110:111], v[123:124], v[121:122]
	v_fma_f64 v[112:113], v[121:122], v[110:111], v[123:124]
	v_div_scale_f64 v[114:115], s[20:21], v[112:113], v[112:113], 1.0
	v_div_scale_f64 v[120:121], vcc, 1.0, v[112:113], 1.0
	v_rcp_f64_e32 v[116:117], v[114:115]
	v_fma_f64 v[118:119], -v[114:115], v[116:117], 1.0
	v_fma_f64 v[116:117], v[116:117], v[118:119], v[116:117]
	v_fma_f64 v[118:119], -v[114:115], v[116:117], 1.0
	v_fma_f64 v[116:117], v[116:117], v[118:119], v[116:117]
	v_mul_f64 v[118:119], v[120:121], v[116:117]
	v_fma_f64 v[114:115], -v[114:115], v[118:119], v[120:121]
	v_div_fmas_f64 v[114:115], v[114:115], v[116:117], v[118:119]
	v_div_fixup_f64 v[123:124], v[114:115], v[112:113], 1.0
	v_mul_f64 v[121:122], v[110:111], v[123:124]
	v_xor_b32_e32 v124, 0x80000000, v124
.LBB66_133:
	s_andn2_saveexec_b64 s[18:19], s[18:19]
	s_cbranch_execz .LBB66_135
; %bb.134:
	v_div_scale_f64 v[110:111], s[20:21], v[121:122], v[121:122], v[123:124]
	v_rcp_f64_e32 v[112:113], v[110:111]
	v_fma_f64 v[114:115], -v[110:111], v[112:113], 1.0
	v_fma_f64 v[112:113], v[112:113], v[114:115], v[112:113]
	v_div_scale_f64 v[114:115], vcc, v[123:124], v[121:122], v[123:124]
	v_fma_f64 v[116:117], -v[110:111], v[112:113], 1.0
	v_fma_f64 v[112:113], v[112:113], v[116:117], v[112:113]
	v_mul_f64 v[116:117], v[114:115], v[112:113]
	v_fma_f64 v[110:111], -v[110:111], v[116:117], v[114:115]
	v_div_fmas_f64 v[110:111], v[110:111], v[112:113], v[116:117]
	v_div_fixup_f64 v[110:111], v[110:111], v[121:122], v[123:124]
	v_fma_f64 v[112:113], v[123:124], v[110:111], v[121:122]
	v_div_scale_f64 v[114:115], s[20:21], v[112:113], v[112:113], 1.0
	v_div_scale_f64 v[120:121], vcc, 1.0, v[112:113], 1.0
	v_rcp_f64_e32 v[116:117], v[114:115]
	v_fma_f64 v[118:119], -v[114:115], v[116:117], 1.0
	v_fma_f64 v[116:117], v[116:117], v[118:119], v[116:117]
	v_fma_f64 v[118:119], -v[114:115], v[116:117], 1.0
	v_fma_f64 v[116:117], v[116:117], v[118:119], v[116:117]
	v_mul_f64 v[118:119], v[120:121], v[116:117]
	v_fma_f64 v[114:115], -v[114:115], v[118:119], v[120:121]
	v_div_fmas_f64 v[114:115], v[114:115], v[116:117], v[118:119]
	v_div_fixup_f64 v[121:122], v[114:115], v[112:113], 1.0
	v_mul_f64 v[123:124], v[110:111], -v[121:122]
.LBB66_135:
	s_or_b64 exec, exec, s[18:19]
.LBB66_136:
	s_or_b64 exec, exec, s[0:1]
	v_cmp_ne_u32_e32 vcc, v108, v109
	s_and_saveexec_b64 s[0:1], vcc
	s_xor_b64 s[0:1], exec, s[0:1]
	s_cbranch_execz .LBB66_142
; %bb.137:
	v_cmp_eq_u32_e32 vcc, 6, v108
	s_and_saveexec_b64 s[18:19], vcc
	s_cbranch_execz .LBB66_141
; %bb.138:
	v_cmp_ne_u32_e32 vcc, 6, v109
	s_xor_b64 s[20:21], s[6:7], -1
	s_and_b64 s[22:23], s[20:21], vcc
	s_and_saveexec_b64 s[20:21], s[22:23]
	s_cbranch_execz .LBB66_140
; %bb.139:
	buffer_load_dword v112, off, s[24:27], 0 offset:96 ; 4-byte Folded Reload
	buffer_load_dword v113, off, s[24:27], 0 offset:100 ; 4-byte Folded Reload
	v_ashrrev_i32_e32 v110, 31, v109
	v_lshlrev_b64 v[110:111], 2, v[109:110]
	s_waitcnt vmcnt(1)
	v_add_co_u32_e32 v110, vcc, v112, v110
	s_waitcnt vmcnt(0)
	v_addc_co_u32_e32 v111, vcc, v113, v111, vcc
	global_load_dword v0, v[110:111], off
	global_load_dword v108, v[112:113], off offset:24
	s_waitcnt vmcnt(1)
	global_store_dword v[112:113], v0, off offset:24
	s_waitcnt vmcnt(1)
	global_store_dword v[110:111], v108, off
.LBB66_140:
	s_or_b64 exec, exec, s[20:21]
	v_mov_b32_e32 v108, v109
	v_mov_b32_e32 v0, v109
.LBB66_141:
	s_or_b64 exec, exec, s[18:19]
.LBB66_142:
	s_andn2_saveexec_b64 s[0:1], s[0:1]
	s_cbranch_execz .LBB66_144
; %bb.143:
	buffer_load_dword v108, off, s[24:27], 0 ; 4-byte Folded Reload
	buffer_load_dword v109, off, s[24:27], 0 offset:4 ; 4-byte Folded Reload
	buffer_load_dword v110, off, s[24:27], 0 offset:8 ; 4-byte Folded Reload
	;; [unrolled: 1-line block ×3, first 2 shown]
	s_waitcnt vmcnt(0)
	ds_write2_b64 v106, v[108:109], v[110:111] offset0:14 offset1:15
	ds_write2_b64 v106, v[101:102], v[103:104] offset0:16 offset1:17
	;; [unrolled: 1-line block ×27, first 2 shown]
	v_mov_b32_e32 v108, 6
.LBB66_144:
	s_or_b64 exec, exec, s[0:1]
	v_cmp_lt_i32_e32 vcc, 6, v108
	s_waitcnt vmcnt(0) lgkmcnt(0)
	s_barrier
	s_and_saveexec_b64 s[0:1], vcc
	s_cbranch_execz .LBB66_146
; %bb.145:
	buffer_load_dword v117, off, s[24:27], 0 offset:16 ; 4-byte Folded Reload
	buffer_load_dword v118, off, s[24:27], 0 offset:20 ; 4-byte Folded Reload
	;; [unrolled: 1-line block ×4, first 2 shown]
	s_waitcnt vmcnt(0)
	v_mul_f64 v[109:110], v[123:124], v[119:120]
	v_fma_f64 v[125:126], v[121:122], v[117:118], -v[109:110]
	v_mul_f64 v[109:110], v[121:122], v[119:120]
	v_fma_f64 v[119:120], v[123:124], v[117:118], v[109:110]
	ds_read2_b64 v[109:112], v106 offset0:14 offset1:15
	buffer_load_dword v115, off, s[24:27], 0 ; 4-byte Folded Reload
	buffer_load_dword v116, off, s[24:27], 0 offset:4 ; 4-byte Folded Reload
	buffer_load_dword v117, off, s[24:27], 0 offset:8 ; 4-byte Folded Reload
	;; [unrolled: 1-line block ×3, first 2 shown]
	s_waitcnt lgkmcnt(0)
	v_mul_f64 v[113:114], v[111:112], v[119:120]
	v_fma_f64 v[113:114], v[109:110], v[125:126], -v[113:114]
	v_mul_f64 v[109:110], v[109:110], v[119:120]
	v_fma_f64 v[109:110], v[111:112], v[125:126], v[109:110]
	s_waitcnt vmcnt(2)
	v_add_f64 v[115:116], v[115:116], -v[113:114]
	s_waitcnt vmcnt(0)
	v_add_f64 v[117:118], v[117:118], -v[109:110]
	buffer_store_dword v115, off, s[24:27], 0 ; 4-byte Folded Spill
	s_nop 0
	buffer_store_dword v116, off, s[24:27], 0 offset:4 ; 4-byte Folded Spill
	buffer_store_dword v117, off, s[24:27], 0 offset:8 ; 4-byte Folded Spill
	buffer_store_dword v118, off, s[24:27], 0 offset:12 ; 4-byte Folded Spill
	ds_read2_b64 v[109:112], v106 offset0:16 offset1:17
	v_mov_b32_e32 v117, v125
	v_mov_b32_e32 v118, v126
	s_waitcnt lgkmcnt(0)
	v_mul_f64 v[113:114], v[111:112], v[119:120]
	v_fma_f64 v[113:114], v[109:110], v[125:126], -v[113:114]
	v_mul_f64 v[109:110], v[109:110], v[119:120]
	v_add_f64 v[101:102], v[101:102], -v[113:114]
	v_fma_f64 v[109:110], v[111:112], v[125:126], v[109:110]
	v_add_f64 v[103:104], v[103:104], -v[109:110]
	ds_read2_b64 v[109:112], v106 offset0:18 offset1:19
	s_waitcnt lgkmcnt(0)
	v_mul_f64 v[113:114], v[111:112], v[119:120]
	v_fma_f64 v[113:114], v[109:110], v[125:126], -v[113:114]
	v_mul_f64 v[109:110], v[109:110], v[119:120]
	v_add_f64 v[97:98], v[97:98], -v[113:114]
	v_fma_f64 v[109:110], v[111:112], v[125:126], v[109:110]
	v_add_f64 v[99:100], v[99:100], -v[109:110]
	ds_read2_b64 v[109:112], v106 offset0:20 offset1:21
	;; [unrolled: 8-line block ×25, first 2 shown]
	s_waitcnt lgkmcnt(0)
	v_mul_f64 v[113:114], v[111:112], v[119:120]
	v_fma_f64 v[113:114], v[109:110], v[125:126], -v[113:114]
	v_mul_f64 v[109:110], v[109:110], v[119:120]
	buffer_store_dword v117, off, s[24:27], 0 offset:16 ; 4-byte Folded Spill
	s_nop 0
	buffer_store_dword v118, off, s[24:27], 0 offset:20 ; 4-byte Folded Spill
	buffer_store_dword v119, off, s[24:27], 0 offset:24 ; 4-byte Folded Spill
	;; [unrolled: 1-line block ×3, first 2 shown]
	v_add_f64 v[93:94], v[93:94], -v[113:114]
	v_fma_f64 v[109:110], v[111:112], v[125:126], v[109:110]
	v_add_f64 v[95:96], v[95:96], -v[109:110]
.LBB66_146:
	s_or_b64 exec, exec, s[0:1]
	s_waitcnt vmcnt(0)
	s_barrier
	buffer_load_dword v110, off, s[24:27], 0 ; 4-byte Folded Reload
	buffer_load_dword v111, off, s[24:27], 0 offset:4 ; 4-byte Folded Reload
	buffer_load_dword v112, off, s[24:27], 0 offset:8 ; 4-byte Folded Reload
	;; [unrolled: 1-line block ×3, first 2 shown]
	v_lshl_add_u32 v109, v108, 4, v106
	s_cmp_lt_i32 s3, 9
	s_waitcnt vmcnt(0)
	ds_write2_b64 v109, v[110:111], v[112:113] offset1:1
	s_waitcnt lgkmcnt(0)
	s_barrier
	ds_read2_b64 v[121:124], v106 offset0:14 offset1:15
	v_mov_b32_e32 v109, 7
	s_cbranch_scc1 .LBB66_149
; %bb.147:
	v_add_u32_e32 v110, 0x80, v106
	s_mov_b32 s0, 8
	v_mov_b32_e32 v109, 7
.LBB66_148:                             ; =>This Inner Loop Header: Depth=1
	s_waitcnt lgkmcnt(0)
	v_cmp_gt_f64_e32 vcc, 0, v[121:122]
	v_xor_b32_e32 v115, 0x80000000, v122
	ds_read2_b64 v[111:114], v110 offset1:1
	v_xor_b32_e32 v117, 0x80000000, v124
	v_add_u32_e32 v110, 16, v110
	s_waitcnt lgkmcnt(0)
	v_xor_b32_e32 v119, 0x80000000, v114
	v_cndmask_b32_e32 v116, v122, v115, vcc
	v_cmp_gt_f64_e32 vcc, 0, v[123:124]
	v_mov_b32_e32 v115, v121
	v_cndmask_b32_e32 v118, v124, v117, vcc
	v_cmp_gt_f64_e32 vcc, 0, v[111:112]
	v_mov_b32_e32 v117, v123
	v_add_f64 v[115:116], v[115:116], v[117:118]
	v_xor_b32_e32 v117, 0x80000000, v112
	v_cndmask_b32_e32 v118, v112, v117, vcc
	v_cmp_gt_f64_e32 vcc, 0, v[113:114]
	v_mov_b32_e32 v117, v111
	v_cndmask_b32_e32 v120, v114, v119, vcc
	v_mov_b32_e32 v119, v113
	v_add_f64 v[117:118], v[117:118], v[119:120]
	v_cmp_lt_f64_e32 vcc, v[115:116], v[117:118]
	v_cndmask_b32_e32 v121, v121, v111, vcc
	v_mov_b32_e32 v111, s0
	s_add_i32 s0, s0, 1
	v_cndmask_b32_e32 v122, v122, v112, vcc
	v_cndmask_b32_e32 v124, v124, v114, vcc
	;; [unrolled: 1-line block ×4, first 2 shown]
	s_cmp_lg_u32 s3, s0
	s_cbranch_scc1 .LBB66_148
.LBB66_149:
	s_waitcnt lgkmcnt(0)
	v_cmp_eq_f64_e32 vcc, 0, v[121:122]
	v_cmp_eq_f64_e64 s[0:1], 0, v[123:124]
	s_and_b64 s[0:1], vcc, s[0:1]
	s_and_saveexec_b64 s[18:19], s[0:1]
	s_xor_b64 s[0:1], exec, s[18:19]
; %bb.150:
	v_cmp_ne_u32_e32 vcc, 0, v107
	v_cndmask_b32_e32 v107, 8, v107, vcc
; %bb.151:
	s_andn2_saveexec_b64 s[0:1], s[0:1]
	s_cbranch_execz .LBB66_157
; %bb.152:
	v_cmp_ngt_f64_e64 s[18:19], |v[121:122]|, |v[123:124]|
	s_and_saveexec_b64 s[20:21], s[18:19]
	s_xor_b64 s[18:19], exec, s[20:21]
	s_cbranch_execz .LBB66_154
; %bb.153:
	v_div_scale_f64 v[110:111], s[20:21], v[123:124], v[123:124], v[121:122]
	v_rcp_f64_e32 v[112:113], v[110:111]
	v_fma_f64 v[114:115], -v[110:111], v[112:113], 1.0
	v_fma_f64 v[112:113], v[112:113], v[114:115], v[112:113]
	v_div_scale_f64 v[114:115], vcc, v[121:122], v[123:124], v[121:122]
	v_fma_f64 v[116:117], -v[110:111], v[112:113], 1.0
	v_fma_f64 v[112:113], v[112:113], v[116:117], v[112:113]
	v_mul_f64 v[116:117], v[114:115], v[112:113]
	v_fma_f64 v[110:111], -v[110:111], v[116:117], v[114:115]
	v_div_fmas_f64 v[110:111], v[110:111], v[112:113], v[116:117]
	v_div_fixup_f64 v[110:111], v[110:111], v[123:124], v[121:122]
	v_fma_f64 v[112:113], v[121:122], v[110:111], v[123:124]
	v_div_scale_f64 v[114:115], s[20:21], v[112:113], v[112:113], 1.0
	v_div_scale_f64 v[120:121], vcc, 1.0, v[112:113], 1.0
	v_rcp_f64_e32 v[116:117], v[114:115]
	v_fma_f64 v[118:119], -v[114:115], v[116:117], 1.0
	v_fma_f64 v[116:117], v[116:117], v[118:119], v[116:117]
	v_fma_f64 v[118:119], -v[114:115], v[116:117], 1.0
	v_fma_f64 v[116:117], v[116:117], v[118:119], v[116:117]
	v_mul_f64 v[118:119], v[120:121], v[116:117]
	v_fma_f64 v[114:115], -v[114:115], v[118:119], v[120:121]
	v_div_fmas_f64 v[114:115], v[114:115], v[116:117], v[118:119]
	v_div_fixup_f64 v[123:124], v[114:115], v[112:113], 1.0
	v_mul_f64 v[121:122], v[110:111], v[123:124]
	v_xor_b32_e32 v124, 0x80000000, v124
.LBB66_154:
	s_andn2_saveexec_b64 s[18:19], s[18:19]
	s_cbranch_execz .LBB66_156
; %bb.155:
	v_div_scale_f64 v[110:111], s[20:21], v[121:122], v[121:122], v[123:124]
	v_rcp_f64_e32 v[112:113], v[110:111]
	v_fma_f64 v[114:115], -v[110:111], v[112:113], 1.0
	v_fma_f64 v[112:113], v[112:113], v[114:115], v[112:113]
	v_div_scale_f64 v[114:115], vcc, v[123:124], v[121:122], v[123:124]
	v_fma_f64 v[116:117], -v[110:111], v[112:113], 1.0
	v_fma_f64 v[112:113], v[112:113], v[116:117], v[112:113]
	v_mul_f64 v[116:117], v[114:115], v[112:113]
	v_fma_f64 v[110:111], -v[110:111], v[116:117], v[114:115]
	v_div_fmas_f64 v[110:111], v[110:111], v[112:113], v[116:117]
	v_div_fixup_f64 v[110:111], v[110:111], v[121:122], v[123:124]
	v_fma_f64 v[112:113], v[123:124], v[110:111], v[121:122]
	v_div_scale_f64 v[114:115], s[20:21], v[112:113], v[112:113], 1.0
	v_div_scale_f64 v[120:121], vcc, 1.0, v[112:113], 1.0
	v_rcp_f64_e32 v[116:117], v[114:115]
	v_fma_f64 v[118:119], -v[114:115], v[116:117], 1.0
	v_fma_f64 v[116:117], v[116:117], v[118:119], v[116:117]
	v_fma_f64 v[118:119], -v[114:115], v[116:117], 1.0
	v_fma_f64 v[116:117], v[116:117], v[118:119], v[116:117]
	v_mul_f64 v[118:119], v[120:121], v[116:117]
	v_fma_f64 v[114:115], -v[114:115], v[118:119], v[120:121]
	v_div_fmas_f64 v[114:115], v[114:115], v[116:117], v[118:119]
	v_div_fixup_f64 v[121:122], v[114:115], v[112:113], 1.0
	v_mul_f64 v[123:124], v[110:111], -v[121:122]
.LBB66_156:
	s_or_b64 exec, exec, s[18:19]
.LBB66_157:
	s_or_b64 exec, exec, s[0:1]
	v_cmp_ne_u32_e32 vcc, v108, v109
	s_and_saveexec_b64 s[0:1], vcc
	s_xor_b64 s[0:1], exec, s[0:1]
	s_cbranch_execz .LBB66_163
; %bb.158:
	v_cmp_eq_u32_e32 vcc, 7, v108
	s_and_saveexec_b64 s[18:19], vcc
	s_cbranch_execz .LBB66_162
; %bb.159:
	v_cmp_ne_u32_e32 vcc, 7, v109
	s_xor_b64 s[20:21], s[6:7], -1
	s_and_b64 s[22:23], s[20:21], vcc
	s_and_saveexec_b64 s[20:21], s[22:23]
	s_cbranch_execz .LBB66_161
; %bb.160:
	buffer_load_dword v112, off, s[24:27], 0 offset:96 ; 4-byte Folded Reload
	buffer_load_dword v113, off, s[24:27], 0 offset:100 ; 4-byte Folded Reload
	v_ashrrev_i32_e32 v110, 31, v109
	v_lshlrev_b64 v[110:111], 2, v[109:110]
	s_waitcnt vmcnt(1)
	v_add_co_u32_e32 v110, vcc, v112, v110
	s_waitcnt vmcnt(0)
	v_addc_co_u32_e32 v111, vcc, v113, v111, vcc
	global_load_dword v0, v[110:111], off
	global_load_dword v108, v[112:113], off offset:28
	s_waitcnt vmcnt(1)
	global_store_dword v[112:113], v0, off offset:28
	s_waitcnt vmcnt(1)
	global_store_dword v[110:111], v108, off
.LBB66_161:
	s_or_b64 exec, exec, s[20:21]
	v_mov_b32_e32 v108, v109
	v_mov_b32_e32 v0, v109
.LBB66_162:
	s_or_b64 exec, exec, s[18:19]
.LBB66_163:
	s_andn2_saveexec_b64 s[0:1], s[0:1]
	s_cbranch_execz .LBB66_165
; %bb.164:
	v_mov_b32_e32 v108, 7
	ds_write2_b64 v106, v[101:102], v[103:104] offset0:16 offset1:17
	ds_write2_b64 v106, v[97:98], v[99:100] offset0:18 offset1:19
	;; [unrolled: 1-line block ×26, first 2 shown]
.LBB66_165:
	s_or_b64 exec, exec, s[0:1]
	v_cmp_lt_i32_e32 vcc, 7, v108
	s_waitcnt vmcnt(0) lgkmcnt(0)
	s_barrier
	s_and_saveexec_b64 s[0:1], vcc
	s_cbranch_execz .LBB66_167
; %bb.166:
	buffer_load_dword v113, off, s[24:27], 0 ; 4-byte Folded Reload
	buffer_load_dword v114, off, s[24:27], 0 offset:4 ; 4-byte Folded Reload
	buffer_load_dword v115, off, s[24:27], 0 offset:8 ; 4-byte Folded Reload
	;; [unrolled: 1-line block ×3, first 2 shown]
	s_waitcnt vmcnt(0)
	v_mul_f64 v[109:110], v[123:124], v[115:116]
	v_fma_f64 v[125:126], v[121:122], v[113:114], -v[109:110]
	v_mul_f64 v[109:110], v[121:122], v[115:116]
	v_fma_f64 v[115:116], v[123:124], v[113:114], v[109:110]
	ds_read2_b64 v[109:112], v106 offset0:16 offset1:17
	s_waitcnt lgkmcnt(0)
	v_mul_f64 v[113:114], v[111:112], v[115:116]
	v_fma_f64 v[113:114], v[109:110], v[125:126], -v[113:114]
	v_mul_f64 v[109:110], v[109:110], v[115:116]
	v_add_f64 v[101:102], v[101:102], -v[113:114]
	v_fma_f64 v[109:110], v[111:112], v[125:126], v[109:110]
	v_add_f64 v[103:104], v[103:104], -v[109:110]
	ds_read2_b64 v[109:112], v106 offset0:18 offset1:19
	s_waitcnt lgkmcnt(0)
	v_mul_f64 v[113:114], v[111:112], v[115:116]
	v_fma_f64 v[113:114], v[109:110], v[125:126], -v[113:114]
	v_mul_f64 v[109:110], v[109:110], v[115:116]
	v_add_f64 v[97:98], v[97:98], -v[113:114]
	v_fma_f64 v[109:110], v[111:112], v[125:126], v[109:110]
	v_add_f64 v[99:100], v[99:100], -v[109:110]
	ds_read2_b64 v[109:112], v106 offset0:20 offset1:21
	s_waitcnt lgkmcnt(0)
	v_mul_f64 v[113:114], v[111:112], v[115:116]
	v_fma_f64 v[113:114], v[109:110], v[125:126], -v[113:114]
	v_mul_f64 v[109:110], v[109:110], v[115:116]
	v_add_f64 v[89:90], v[89:90], -v[113:114]
	v_fma_f64 v[109:110], v[111:112], v[125:126], v[109:110]
	v_add_f64 v[91:92], v[91:92], -v[109:110]
	ds_read2_b64 v[109:112], v106 offset0:22 offset1:23
	s_waitcnt lgkmcnt(0)
	v_mul_f64 v[113:114], v[111:112], v[115:116]
	v_fma_f64 v[113:114], v[109:110], v[125:126], -v[113:114]
	v_mul_f64 v[109:110], v[109:110], v[115:116]
	v_add_f64 v[85:86], v[85:86], -v[113:114]
	v_fma_f64 v[109:110], v[111:112], v[125:126], v[109:110]
	v_add_f64 v[87:88], v[87:88], -v[109:110]
	ds_read2_b64 v[109:112], v106 offset0:24 offset1:25
	s_waitcnt lgkmcnt(0)
	v_mul_f64 v[113:114], v[111:112], v[115:116]
	v_fma_f64 v[113:114], v[109:110], v[125:126], -v[113:114]
	v_mul_f64 v[109:110], v[109:110], v[115:116]
	v_add_f64 v[81:82], v[81:82], -v[113:114]
	v_fma_f64 v[109:110], v[111:112], v[125:126], v[109:110]
	v_add_f64 v[83:84], v[83:84], -v[109:110]
	ds_read2_b64 v[109:112], v106 offset0:26 offset1:27
	s_waitcnt lgkmcnt(0)
	v_mul_f64 v[113:114], v[111:112], v[115:116]
	v_fma_f64 v[113:114], v[109:110], v[125:126], -v[113:114]
	v_mul_f64 v[109:110], v[109:110], v[115:116]
	v_add_f64 v[77:78], v[77:78], -v[113:114]
	v_fma_f64 v[109:110], v[111:112], v[125:126], v[109:110]
	v_add_f64 v[79:80], v[79:80], -v[109:110]
	ds_read2_b64 v[109:112], v106 offset0:28 offset1:29
	s_waitcnt lgkmcnt(0)
	v_mul_f64 v[113:114], v[111:112], v[115:116]
	v_fma_f64 v[113:114], v[109:110], v[125:126], -v[113:114]
	v_mul_f64 v[109:110], v[109:110], v[115:116]
	v_add_f64 v[73:74], v[73:74], -v[113:114]
	v_fma_f64 v[109:110], v[111:112], v[125:126], v[109:110]
	v_add_f64 v[75:76], v[75:76], -v[109:110]
	ds_read2_b64 v[109:112], v106 offset0:30 offset1:31
	s_waitcnt lgkmcnt(0)
	v_mul_f64 v[113:114], v[111:112], v[115:116]
	v_fma_f64 v[113:114], v[109:110], v[125:126], -v[113:114]
	v_mul_f64 v[109:110], v[109:110], v[115:116]
	v_add_f64 v[69:70], v[69:70], -v[113:114]
	v_fma_f64 v[109:110], v[111:112], v[125:126], v[109:110]
	v_add_f64 v[71:72], v[71:72], -v[109:110]
	ds_read2_b64 v[109:112], v106 offset0:32 offset1:33
	s_waitcnt lgkmcnt(0)
	v_mul_f64 v[113:114], v[111:112], v[115:116]
	v_fma_f64 v[113:114], v[109:110], v[125:126], -v[113:114]
	v_mul_f64 v[109:110], v[109:110], v[115:116]
	v_add_f64 v[65:66], v[65:66], -v[113:114]
	v_fma_f64 v[109:110], v[111:112], v[125:126], v[109:110]
	v_add_f64 v[67:68], v[67:68], -v[109:110]
	ds_read2_b64 v[109:112], v106 offset0:34 offset1:35
	s_waitcnt lgkmcnt(0)
	v_mul_f64 v[113:114], v[111:112], v[115:116]
	v_fma_f64 v[113:114], v[109:110], v[125:126], -v[113:114]
	v_mul_f64 v[109:110], v[109:110], v[115:116]
	v_add_f64 v[61:62], v[61:62], -v[113:114]
	v_fma_f64 v[109:110], v[111:112], v[125:126], v[109:110]
	v_add_f64 v[63:64], v[63:64], -v[109:110]
	ds_read2_b64 v[109:112], v106 offset0:36 offset1:37
	s_waitcnt lgkmcnt(0)
	v_mul_f64 v[113:114], v[111:112], v[115:116]
	v_fma_f64 v[113:114], v[109:110], v[125:126], -v[113:114]
	v_mul_f64 v[109:110], v[109:110], v[115:116]
	v_add_f64 v[57:58], v[57:58], -v[113:114]
	v_fma_f64 v[109:110], v[111:112], v[125:126], v[109:110]
	v_add_f64 v[59:60], v[59:60], -v[109:110]
	ds_read2_b64 v[109:112], v106 offset0:38 offset1:39
	s_waitcnt lgkmcnt(0)
	v_mul_f64 v[113:114], v[111:112], v[115:116]
	v_fma_f64 v[113:114], v[109:110], v[125:126], -v[113:114]
	v_mul_f64 v[109:110], v[109:110], v[115:116]
	v_add_f64 v[53:54], v[53:54], -v[113:114]
	v_fma_f64 v[109:110], v[111:112], v[125:126], v[109:110]
	v_add_f64 v[55:56], v[55:56], -v[109:110]
	ds_read2_b64 v[109:112], v106 offset0:40 offset1:41
	s_waitcnt lgkmcnt(0)
	v_mul_f64 v[113:114], v[111:112], v[115:116]
	v_fma_f64 v[113:114], v[109:110], v[125:126], -v[113:114]
	v_mul_f64 v[109:110], v[109:110], v[115:116]
	v_add_f64 v[49:50], v[49:50], -v[113:114]
	v_fma_f64 v[109:110], v[111:112], v[125:126], v[109:110]
	v_add_f64 v[51:52], v[51:52], -v[109:110]
	ds_read2_b64 v[109:112], v106 offset0:42 offset1:43
	s_waitcnt lgkmcnt(0)
	v_mul_f64 v[113:114], v[111:112], v[115:116]
	v_fma_f64 v[113:114], v[109:110], v[125:126], -v[113:114]
	v_mul_f64 v[109:110], v[109:110], v[115:116]
	v_add_f64 v[45:46], v[45:46], -v[113:114]
	v_fma_f64 v[109:110], v[111:112], v[125:126], v[109:110]
	v_add_f64 v[47:48], v[47:48], -v[109:110]
	ds_read2_b64 v[109:112], v106 offset0:44 offset1:45
	s_waitcnt lgkmcnt(0)
	v_mul_f64 v[113:114], v[111:112], v[115:116]
	v_fma_f64 v[113:114], v[109:110], v[125:126], -v[113:114]
	v_mul_f64 v[109:110], v[109:110], v[115:116]
	v_add_f64 v[41:42], v[41:42], -v[113:114]
	v_fma_f64 v[109:110], v[111:112], v[125:126], v[109:110]
	v_add_f64 v[43:44], v[43:44], -v[109:110]
	ds_read2_b64 v[109:112], v106 offset0:46 offset1:47
	s_waitcnt lgkmcnt(0)
	v_mul_f64 v[113:114], v[111:112], v[115:116]
	v_fma_f64 v[113:114], v[109:110], v[125:126], -v[113:114]
	v_mul_f64 v[109:110], v[109:110], v[115:116]
	v_add_f64 v[37:38], v[37:38], -v[113:114]
	v_fma_f64 v[109:110], v[111:112], v[125:126], v[109:110]
	v_add_f64 v[39:40], v[39:40], -v[109:110]
	ds_read2_b64 v[109:112], v106 offset0:48 offset1:49
	s_waitcnt lgkmcnt(0)
	v_mul_f64 v[113:114], v[111:112], v[115:116]
	v_fma_f64 v[113:114], v[109:110], v[125:126], -v[113:114]
	v_mul_f64 v[109:110], v[109:110], v[115:116]
	v_add_f64 v[33:34], v[33:34], -v[113:114]
	v_fma_f64 v[109:110], v[111:112], v[125:126], v[109:110]
	v_add_f64 v[35:36], v[35:36], -v[109:110]
	ds_read2_b64 v[109:112], v106 offset0:50 offset1:51
	s_waitcnt lgkmcnt(0)
	v_mul_f64 v[113:114], v[111:112], v[115:116]
	v_fma_f64 v[113:114], v[109:110], v[125:126], -v[113:114]
	v_mul_f64 v[109:110], v[109:110], v[115:116]
	v_add_f64 v[29:30], v[29:30], -v[113:114]
	v_fma_f64 v[109:110], v[111:112], v[125:126], v[109:110]
	v_add_f64 v[31:32], v[31:32], -v[109:110]
	ds_read2_b64 v[109:112], v106 offset0:52 offset1:53
	s_waitcnt lgkmcnt(0)
	v_mul_f64 v[113:114], v[111:112], v[115:116]
	v_fma_f64 v[113:114], v[109:110], v[125:126], -v[113:114]
	v_mul_f64 v[109:110], v[109:110], v[115:116]
	v_add_f64 v[25:26], v[25:26], -v[113:114]
	v_fma_f64 v[109:110], v[111:112], v[125:126], v[109:110]
	v_add_f64 v[27:28], v[27:28], -v[109:110]
	ds_read2_b64 v[109:112], v106 offset0:54 offset1:55
	s_waitcnt lgkmcnt(0)
	v_mul_f64 v[113:114], v[111:112], v[115:116]
	v_fma_f64 v[113:114], v[109:110], v[125:126], -v[113:114]
	v_mul_f64 v[109:110], v[109:110], v[115:116]
	v_add_f64 v[21:22], v[21:22], -v[113:114]
	v_fma_f64 v[109:110], v[111:112], v[125:126], v[109:110]
	v_add_f64 v[23:24], v[23:24], -v[109:110]
	ds_read2_b64 v[109:112], v106 offset0:56 offset1:57
	s_waitcnt lgkmcnt(0)
	v_mul_f64 v[113:114], v[111:112], v[115:116]
	v_fma_f64 v[113:114], v[109:110], v[125:126], -v[113:114]
	v_mul_f64 v[109:110], v[109:110], v[115:116]
	v_add_f64 v[17:18], v[17:18], -v[113:114]
	v_fma_f64 v[109:110], v[111:112], v[125:126], v[109:110]
	v_add_f64 v[19:20], v[19:20], -v[109:110]
	ds_read2_b64 v[109:112], v106 offset0:58 offset1:59
	s_waitcnt lgkmcnt(0)
	v_mul_f64 v[113:114], v[111:112], v[115:116]
	v_fma_f64 v[113:114], v[109:110], v[125:126], -v[113:114]
	v_mul_f64 v[109:110], v[109:110], v[115:116]
	v_add_f64 v[13:14], v[13:14], -v[113:114]
	v_fma_f64 v[109:110], v[111:112], v[125:126], v[109:110]
	v_add_f64 v[15:16], v[15:16], -v[109:110]
	ds_read2_b64 v[109:112], v106 offset0:60 offset1:61
	s_waitcnt lgkmcnt(0)
	v_mul_f64 v[113:114], v[111:112], v[115:116]
	v_fma_f64 v[113:114], v[109:110], v[125:126], -v[113:114]
	v_mul_f64 v[109:110], v[109:110], v[115:116]
	v_add_f64 v[9:10], v[9:10], -v[113:114]
	v_fma_f64 v[109:110], v[111:112], v[125:126], v[109:110]
	v_add_f64 v[11:12], v[11:12], -v[109:110]
	ds_read2_b64 v[109:112], v106 offset0:62 offset1:63
	s_waitcnt lgkmcnt(0)
	v_mul_f64 v[113:114], v[111:112], v[115:116]
	v_fma_f64 v[113:114], v[109:110], v[125:126], -v[113:114]
	v_mul_f64 v[109:110], v[109:110], v[115:116]
	v_add_f64 v[5:6], v[5:6], -v[113:114]
	v_fma_f64 v[109:110], v[111:112], v[125:126], v[109:110]
	v_add_f64 v[7:8], v[7:8], -v[109:110]
	ds_read2_b64 v[109:112], v106 offset0:64 offset1:65
	s_waitcnt lgkmcnt(0)
	v_mul_f64 v[113:114], v[111:112], v[115:116]
	v_fma_f64 v[113:114], v[109:110], v[125:126], -v[113:114]
	v_mul_f64 v[109:110], v[109:110], v[115:116]
	v_add_f64 v[1:2], v[1:2], -v[113:114]
	v_fma_f64 v[109:110], v[111:112], v[125:126], v[109:110]
	v_add_f64 v[3:4], v[3:4], -v[109:110]
	ds_read2_b64 v[109:112], v106 offset0:66 offset1:67
	s_waitcnt lgkmcnt(0)
	v_mul_f64 v[113:114], v[111:112], v[115:116]
	v_fma_f64 v[113:114], v[109:110], v[125:126], -v[113:114]
	v_mul_f64 v[109:110], v[109:110], v[115:116]
	v_add_f64 v[93:94], v[93:94], -v[113:114]
	v_fma_f64 v[109:110], v[111:112], v[125:126], v[109:110]
	v_mov_b32_e32 v113, v125
	v_mov_b32_e32 v114, v126
	buffer_store_dword v113, off, s[24:27], 0 ; 4-byte Folded Spill
	s_nop 0
	buffer_store_dword v114, off, s[24:27], 0 offset:4 ; 4-byte Folded Spill
	buffer_store_dword v115, off, s[24:27], 0 offset:8 ; 4-byte Folded Spill
	;; [unrolled: 1-line block ×3, first 2 shown]
	v_add_f64 v[95:96], v[95:96], -v[109:110]
.LBB66_167:
	s_or_b64 exec, exec, s[0:1]
	v_lshl_add_u32 v109, v108, 4, v106
	s_waitcnt vmcnt(0)
	s_barrier
	ds_write2_b64 v109, v[101:102], v[103:104] offset1:1
	s_waitcnt lgkmcnt(0)
	s_barrier
	ds_read2_b64 v[121:124], v106 offset0:16 offset1:17
	s_cmp_lt_i32 s3, 10
	v_mov_b32_e32 v109, 8
	s_cbranch_scc1 .LBB66_170
; %bb.168:
	v_add_u32_e32 v110, 0x90, v106
	s_mov_b32 s0, 9
	v_mov_b32_e32 v109, 8
.LBB66_169:                             ; =>This Inner Loop Header: Depth=1
	s_waitcnt lgkmcnt(0)
	v_cmp_gt_f64_e32 vcc, 0, v[121:122]
	v_xor_b32_e32 v115, 0x80000000, v122
	ds_read2_b64 v[111:114], v110 offset1:1
	v_xor_b32_e32 v117, 0x80000000, v124
	v_add_u32_e32 v110, 16, v110
	s_waitcnt lgkmcnt(0)
	v_xor_b32_e32 v119, 0x80000000, v114
	v_cndmask_b32_e32 v116, v122, v115, vcc
	v_cmp_gt_f64_e32 vcc, 0, v[123:124]
	v_mov_b32_e32 v115, v121
	v_cndmask_b32_e32 v118, v124, v117, vcc
	v_cmp_gt_f64_e32 vcc, 0, v[111:112]
	v_mov_b32_e32 v117, v123
	v_add_f64 v[115:116], v[115:116], v[117:118]
	v_xor_b32_e32 v117, 0x80000000, v112
	v_cndmask_b32_e32 v118, v112, v117, vcc
	v_cmp_gt_f64_e32 vcc, 0, v[113:114]
	v_mov_b32_e32 v117, v111
	v_cndmask_b32_e32 v120, v114, v119, vcc
	v_mov_b32_e32 v119, v113
	v_add_f64 v[117:118], v[117:118], v[119:120]
	v_cmp_lt_f64_e32 vcc, v[115:116], v[117:118]
	v_cndmask_b32_e32 v121, v121, v111, vcc
	v_mov_b32_e32 v111, s0
	s_add_i32 s0, s0, 1
	v_cndmask_b32_e32 v122, v122, v112, vcc
	v_cndmask_b32_e32 v124, v124, v114, vcc
	v_cndmask_b32_e32 v123, v123, v113, vcc
	v_cndmask_b32_e32 v109, v109, v111, vcc
	s_cmp_lg_u32 s3, s0
	s_cbranch_scc1 .LBB66_169
.LBB66_170:
	s_waitcnt lgkmcnt(0)
	v_cmp_eq_f64_e32 vcc, 0, v[121:122]
	v_cmp_eq_f64_e64 s[0:1], 0, v[123:124]
	s_and_b64 s[0:1], vcc, s[0:1]
	s_and_saveexec_b64 s[18:19], s[0:1]
	s_xor_b64 s[0:1], exec, s[18:19]
; %bb.171:
	v_cmp_ne_u32_e32 vcc, 0, v107
	v_cndmask_b32_e32 v107, 9, v107, vcc
; %bb.172:
	s_andn2_saveexec_b64 s[0:1], s[0:1]
	s_cbranch_execz .LBB66_178
; %bb.173:
	v_cmp_ngt_f64_e64 s[18:19], |v[121:122]|, |v[123:124]|
	s_and_saveexec_b64 s[20:21], s[18:19]
	s_xor_b64 s[18:19], exec, s[20:21]
	s_cbranch_execz .LBB66_175
; %bb.174:
	v_div_scale_f64 v[110:111], s[20:21], v[123:124], v[123:124], v[121:122]
	v_rcp_f64_e32 v[112:113], v[110:111]
	v_fma_f64 v[114:115], -v[110:111], v[112:113], 1.0
	v_fma_f64 v[112:113], v[112:113], v[114:115], v[112:113]
	v_div_scale_f64 v[114:115], vcc, v[121:122], v[123:124], v[121:122]
	v_fma_f64 v[116:117], -v[110:111], v[112:113], 1.0
	v_fma_f64 v[112:113], v[112:113], v[116:117], v[112:113]
	v_mul_f64 v[116:117], v[114:115], v[112:113]
	v_fma_f64 v[110:111], -v[110:111], v[116:117], v[114:115]
	v_div_fmas_f64 v[110:111], v[110:111], v[112:113], v[116:117]
	v_div_fixup_f64 v[110:111], v[110:111], v[123:124], v[121:122]
	v_fma_f64 v[112:113], v[121:122], v[110:111], v[123:124]
	v_div_scale_f64 v[114:115], s[20:21], v[112:113], v[112:113], 1.0
	v_div_scale_f64 v[120:121], vcc, 1.0, v[112:113], 1.0
	v_rcp_f64_e32 v[116:117], v[114:115]
	v_fma_f64 v[118:119], -v[114:115], v[116:117], 1.0
	v_fma_f64 v[116:117], v[116:117], v[118:119], v[116:117]
	v_fma_f64 v[118:119], -v[114:115], v[116:117], 1.0
	v_fma_f64 v[116:117], v[116:117], v[118:119], v[116:117]
	v_mul_f64 v[118:119], v[120:121], v[116:117]
	v_fma_f64 v[114:115], -v[114:115], v[118:119], v[120:121]
	v_div_fmas_f64 v[114:115], v[114:115], v[116:117], v[118:119]
	v_div_fixup_f64 v[123:124], v[114:115], v[112:113], 1.0
	v_mul_f64 v[121:122], v[110:111], v[123:124]
	v_xor_b32_e32 v124, 0x80000000, v124
.LBB66_175:
	s_andn2_saveexec_b64 s[18:19], s[18:19]
	s_cbranch_execz .LBB66_177
; %bb.176:
	v_div_scale_f64 v[110:111], s[20:21], v[121:122], v[121:122], v[123:124]
	v_rcp_f64_e32 v[112:113], v[110:111]
	v_fma_f64 v[114:115], -v[110:111], v[112:113], 1.0
	v_fma_f64 v[112:113], v[112:113], v[114:115], v[112:113]
	v_div_scale_f64 v[114:115], vcc, v[123:124], v[121:122], v[123:124]
	v_fma_f64 v[116:117], -v[110:111], v[112:113], 1.0
	v_fma_f64 v[112:113], v[112:113], v[116:117], v[112:113]
	v_mul_f64 v[116:117], v[114:115], v[112:113]
	v_fma_f64 v[110:111], -v[110:111], v[116:117], v[114:115]
	v_div_fmas_f64 v[110:111], v[110:111], v[112:113], v[116:117]
	v_div_fixup_f64 v[110:111], v[110:111], v[121:122], v[123:124]
	v_fma_f64 v[112:113], v[123:124], v[110:111], v[121:122]
	v_div_scale_f64 v[114:115], s[20:21], v[112:113], v[112:113], 1.0
	v_div_scale_f64 v[120:121], vcc, 1.0, v[112:113], 1.0
	v_rcp_f64_e32 v[116:117], v[114:115]
	v_fma_f64 v[118:119], -v[114:115], v[116:117], 1.0
	v_fma_f64 v[116:117], v[116:117], v[118:119], v[116:117]
	v_fma_f64 v[118:119], -v[114:115], v[116:117], 1.0
	v_fma_f64 v[116:117], v[116:117], v[118:119], v[116:117]
	v_mul_f64 v[118:119], v[120:121], v[116:117]
	v_fma_f64 v[114:115], -v[114:115], v[118:119], v[120:121]
	v_div_fmas_f64 v[114:115], v[114:115], v[116:117], v[118:119]
	v_div_fixup_f64 v[121:122], v[114:115], v[112:113], 1.0
	v_mul_f64 v[123:124], v[110:111], -v[121:122]
.LBB66_177:
	s_or_b64 exec, exec, s[18:19]
.LBB66_178:
	s_or_b64 exec, exec, s[0:1]
	v_cmp_ne_u32_e32 vcc, v108, v109
	s_and_saveexec_b64 s[0:1], vcc
	s_xor_b64 s[0:1], exec, s[0:1]
	s_cbranch_execz .LBB66_184
; %bb.179:
	v_cmp_eq_u32_e32 vcc, 8, v108
	s_and_saveexec_b64 s[18:19], vcc
	s_cbranch_execz .LBB66_183
; %bb.180:
	v_cmp_ne_u32_e32 vcc, 8, v109
	s_xor_b64 s[20:21], s[6:7], -1
	s_and_b64 s[22:23], s[20:21], vcc
	s_and_saveexec_b64 s[20:21], s[22:23]
	s_cbranch_execz .LBB66_182
; %bb.181:
	buffer_load_dword v112, off, s[24:27], 0 offset:96 ; 4-byte Folded Reload
	buffer_load_dword v113, off, s[24:27], 0 offset:100 ; 4-byte Folded Reload
	v_ashrrev_i32_e32 v110, 31, v109
	v_lshlrev_b64 v[110:111], 2, v[109:110]
	s_waitcnt vmcnt(1)
	v_add_co_u32_e32 v110, vcc, v112, v110
	s_waitcnt vmcnt(0)
	v_addc_co_u32_e32 v111, vcc, v113, v111, vcc
	global_load_dword v0, v[110:111], off
	global_load_dword v108, v[112:113], off offset:32
	s_waitcnt vmcnt(1)
	global_store_dword v[112:113], v0, off offset:32
	s_waitcnt vmcnt(1)
	global_store_dword v[110:111], v108, off
.LBB66_182:
	s_or_b64 exec, exec, s[20:21]
	v_mov_b32_e32 v108, v109
	v_mov_b32_e32 v0, v109
.LBB66_183:
	s_or_b64 exec, exec, s[18:19]
.LBB66_184:
	s_andn2_saveexec_b64 s[0:1], s[0:1]
	s_cbranch_execz .LBB66_186
; %bb.185:
	v_mov_b32_e32 v108, 8
	ds_write2_b64 v106, v[97:98], v[99:100] offset0:18 offset1:19
	ds_write2_b64 v106, v[89:90], v[91:92] offset0:20 offset1:21
	ds_write2_b64 v106, v[85:86], v[87:88] offset0:22 offset1:23
	ds_write2_b64 v106, v[81:82], v[83:84] offset0:24 offset1:25
	ds_write2_b64 v106, v[77:78], v[79:80] offset0:26 offset1:27
	ds_write2_b64 v106, v[73:74], v[75:76] offset0:28 offset1:29
	ds_write2_b64 v106, v[69:70], v[71:72] offset0:30 offset1:31
	ds_write2_b64 v106, v[65:66], v[67:68] offset0:32 offset1:33
	ds_write2_b64 v106, v[61:62], v[63:64] offset0:34 offset1:35
	ds_write2_b64 v106, v[57:58], v[59:60] offset0:36 offset1:37
	ds_write2_b64 v106, v[53:54], v[55:56] offset0:38 offset1:39
	ds_write2_b64 v106, v[49:50], v[51:52] offset0:40 offset1:41
	ds_write2_b64 v106, v[45:46], v[47:48] offset0:42 offset1:43
	ds_write2_b64 v106, v[41:42], v[43:44] offset0:44 offset1:45
	ds_write2_b64 v106, v[37:38], v[39:40] offset0:46 offset1:47
	ds_write2_b64 v106, v[33:34], v[35:36] offset0:48 offset1:49
	ds_write2_b64 v106, v[29:30], v[31:32] offset0:50 offset1:51
	ds_write2_b64 v106, v[25:26], v[27:28] offset0:52 offset1:53
	ds_write2_b64 v106, v[21:22], v[23:24] offset0:54 offset1:55
	ds_write2_b64 v106, v[17:18], v[19:20] offset0:56 offset1:57
	ds_write2_b64 v106, v[13:14], v[15:16] offset0:58 offset1:59
	ds_write2_b64 v106, v[9:10], v[11:12] offset0:60 offset1:61
	ds_write2_b64 v106, v[5:6], v[7:8] offset0:62 offset1:63
	ds_write2_b64 v106, v[1:2], v[3:4] offset0:64 offset1:65
	ds_write2_b64 v106, v[93:94], v[95:96] offset0:66 offset1:67
.LBB66_186:
	s_or_b64 exec, exec, s[0:1]
	v_cmp_lt_i32_e32 vcc, 8, v108
	s_waitcnt vmcnt(0) lgkmcnt(0)
	s_barrier
	s_and_saveexec_b64 s[0:1], vcc
	s_cbranch_execz .LBB66_188
; %bb.187:
	v_mul_f64 v[109:110], v[123:124], v[103:104]
	v_mul_f64 v[103:104], v[121:122], v[103:104]
	v_fma_f64 v[125:126], v[121:122], v[101:102], -v[109:110]
	v_fma_f64 v[103:104], v[123:124], v[101:102], v[103:104]
	ds_read2_b64 v[109:112], v106 offset0:18 offset1:19
	s_waitcnt lgkmcnt(0)
	v_mul_f64 v[101:102], v[111:112], v[103:104]
	v_fma_f64 v[101:102], v[109:110], v[125:126], -v[101:102]
	v_mul_f64 v[109:110], v[109:110], v[103:104]
	v_add_f64 v[97:98], v[97:98], -v[101:102]
	v_fma_f64 v[109:110], v[111:112], v[125:126], v[109:110]
	v_add_f64 v[99:100], v[99:100], -v[109:110]
	ds_read2_b64 v[109:112], v106 offset0:20 offset1:21
	s_waitcnt lgkmcnt(0)
	v_mul_f64 v[101:102], v[111:112], v[103:104]
	v_fma_f64 v[101:102], v[109:110], v[125:126], -v[101:102]
	v_mul_f64 v[109:110], v[109:110], v[103:104]
	v_add_f64 v[89:90], v[89:90], -v[101:102]
	v_fma_f64 v[109:110], v[111:112], v[125:126], v[109:110]
	v_add_f64 v[91:92], v[91:92], -v[109:110]
	;; [unrolled: 8-line block ×24, first 2 shown]
	ds_read2_b64 v[109:112], v106 offset0:66 offset1:67
	s_waitcnt lgkmcnt(0)
	v_mul_f64 v[101:102], v[111:112], v[103:104]
	v_fma_f64 v[101:102], v[109:110], v[125:126], -v[101:102]
	v_mul_f64 v[109:110], v[109:110], v[103:104]
	v_add_f64 v[93:94], v[93:94], -v[101:102]
	v_fma_f64 v[109:110], v[111:112], v[125:126], v[109:110]
	v_mov_b32_e32 v101, v125
	v_mov_b32_e32 v102, v126
	v_add_f64 v[95:96], v[95:96], -v[109:110]
.LBB66_188:
	s_or_b64 exec, exec, s[0:1]
	v_lshl_add_u32 v109, v108, 4, v106
	s_barrier
	ds_write2_b64 v109, v[97:98], v[99:100] offset1:1
	s_waitcnt lgkmcnt(0)
	s_barrier
	ds_read2_b64 v[121:124], v106 offset0:18 offset1:19
	s_cmp_lt_i32 s3, 11
	v_mov_b32_e32 v109, 9
	s_cbranch_scc1 .LBB66_191
; %bb.189:
	v_add_u32_e32 v110, 0xa0, v106
	s_mov_b32 s0, 10
	v_mov_b32_e32 v109, 9
.LBB66_190:                             ; =>This Inner Loop Header: Depth=1
	s_waitcnt lgkmcnt(0)
	v_cmp_gt_f64_e32 vcc, 0, v[121:122]
	v_xor_b32_e32 v115, 0x80000000, v122
	ds_read2_b64 v[111:114], v110 offset1:1
	v_xor_b32_e32 v117, 0x80000000, v124
	v_add_u32_e32 v110, 16, v110
	s_waitcnt lgkmcnt(0)
	v_xor_b32_e32 v119, 0x80000000, v114
	v_cndmask_b32_e32 v116, v122, v115, vcc
	v_cmp_gt_f64_e32 vcc, 0, v[123:124]
	v_mov_b32_e32 v115, v121
	v_cndmask_b32_e32 v118, v124, v117, vcc
	v_cmp_gt_f64_e32 vcc, 0, v[111:112]
	v_mov_b32_e32 v117, v123
	v_add_f64 v[115:116], v[115:116], v[117:118]
	v_xor_b32_e32 v117, 0x80000000, v112
	v_cndmask_b32_e32 v118, v112, v117, vcc
	v_cmp_gt_f64_e32 vcc, 0, v[113:114]
	v_mov_b32_e32 v117, v111
	v_cndmask_b32_e32 v120, v114, v119, vcc
	v_mov_b32_e32 v119, v113
	v_add_f64 v[117:118], v[117:118], v[119:120]
	v_cmp_lt_f64_e32 vcc, v[115:116], v[117:118]
	v_cndmask_b32_e32 v121, v121, v111, vcc
	v_mov_b32_e32 v111, s0
	s_add_i32 s0, s0, 1
	v_cndmask_b32_e32 v122, v122, v112, vcc
	v_cndmask_b32_e32 v124, v124, v114, vcc
	;; [unrolled: 1-line block ×4, first 2 shown]
	s_cmp_lg_u32 s3, s0
	s_cbranch_scc1 .LBB66_190
.LBB66_191:
	s_waitcnt lgkmcnt(0)
	v_cmp_eq_f64_e32 vcc, 0, v[121:122]
	v_cmp_eq_f64_e64 s[0:1], 0, v[123:124]
	s_and_b64 s[0:1], vcc, s[0:1]
	s_and_saveexec_b64 s[18:19], s[0:1]
	s_xor_b64 s[0:1], exec, s[18:19]
; %bb.192:
	v_cmp_ne_u32_e32 vcc, 0, v107
	v_cndmask_b32_e32 v107, 10, v107, vcc
; %bb.193:
	s_andn2_saveexec_b64 s[0:1], s[0:1]
	s_cbranch_execz .LBB66_199
; %bb.194:
	v_cmp_ngt_f64_e64 s[18:19], |v[121:122]|, |v[123:124]|
	s_and_saveexec_b64 s[20:21], s[18:19]
	s_xor_b64 s[18:19], exec, s[20:21]
	s_cbranch_execz .LBB66_196
; %bb.195:
	v_div_scale_f64 v[110:111], s[20:21], v[123:124], v[123:124], v[121:122]
	v_rcp_f64_e32 v[112:113], v[110:111]
	v_fma_f64 v[114:115], -v[110:111], v[112:113], 1.0
	v_fma_f64 v[112:113], v[112:113], v[114:115], v[112:113]
	v_div_scale_f64 v[114:115], vcc, v[121:122], v[123:124], v[121:122]
	v_fma_f64 v[116:117], -v[110:111], v[112:113], 1.0
	v_fma_f64 v[112:113], v[112:113], v[116:117], v[112:113]
	v_mul_f64 v[116:117], v[114:115], v[112:113]
	v_fma_f64 v[110:111], -v[110:111], v[116:117], v[114:115]
	v_div_fmas_f64 v[110:111], v[110:111], v[112:113], v[116:117]
	v_div_fixup_f64 v[110:111], v[110:111], v[123:124], v[121:122]
	v_fma_f64 v[112:113], v[121:122], v[110:111], v[123:124]
	v_div_scale_f64 v[114:115], s[20:21], v[112:113], v[112:113], 1.0
	v_div_scale_f64 v[120:121], vcc, 1.0, v[112:113], 1.0
	v_rcp_f64_e32 v[116:117], v[114:115]
	v_fma_f64 v[118:119], -v[114:115], v[116:117], 1.0
	v_fma_f64 v[116:117], v[116:117], v[118:119], v[116:117]
	v_fma_f64 v[118:119], -v[114:115], v[116:117], 1.0
	v_fma_f64 v[116:117], v[116:117], v[118:119], v[116:117]
	v_mul_f64 v[118:119], v[120:121], v[116:117]
	v_fma_f64 v[114:115], -v[114:115], v[118:119], v[120:121]
	v_div_fmas_f64 v[114:115], v[114:115], v[116:117], v[118:119]
	v_div_fixup_f64 v[123:124], v[114:115], v[112:113], 1.0
	v_mul_f64 v[121:122], v[110:111], v[123:124]
	v_xor_b32_e32 v124, 0x80000000, v124
.LBB66_196:
	s_andn2_saveexec_b64 s[18:19], s[18:19]
	s_cbranch_execz .LBB66_198
; %bb.197:
	v_div_scale_f64 v[110:111], s[20:21], v[121:122], v[121:122], v[123:124]
	v_rcp_f64_e32 v[112:113], v[110:111]
	v_fma_f64 v[114:115], -v[110:111], v[112:113], 1.0
	v_fma_f64 v[112:113], v[112:113], v[114:115], v[112:113]
	v_div_scale_f64 v[114:115], vcc, v[123:124], v[121:122], v[123:124]
	v_fma_f64 v[116:117], -v[110:111], v[112:113], 1.0
	v_fma_f64 v[112:113], v[112:113], v[116:117], v[112:113]
	v_mul_f64 v[116:117], v[114:115], v[112:113]
	v_fma_f64 v[110:111], -v[110:111], v[116:117], v[114:115]
	v_div_fmas_f64 v[110:111], v[110:111], v[112:113], v[116:117]
	v_div_fixup_f64 v[110:111], v[110:111], v[121:122], v[123:124]
	v_fma_f64 v[112:113], v[123:124], v[110:111], v[121:122]
	v_div_scale_f64 v[114:115], s[20:21], v[112:113], v[112:113], 1.0
	v_div_scale_f64 v[120:121], vcc, 1.0, v[112:113], 1.0
	v_rcp_f64_e32 v[116:117], v[114:115]
	v_fma_f64 v[118:119], -v[114:115], v[116:117], 1.0
	v_fma_f64 v[116:117], v[116:117], v[118:119], v[116:117]
	v_fma_f64 v[118:119], -v[114:115], v[116:117], 1.0
	v_fma_f64 v[116:117], v[116:117], v[118:119], v[116:117]
	v_mul_f64 v[118:119], v[120:121], v[116:117]
	v_fma_f64 v[114:115], -v[114:115], v[118:119], v[120:121]
	v_div_fmas_f64 v[114:115], v[114:115], v[116:117], v[118:119]
	v_div_fixup_f64 v[121:122], v[114:115], v[112:113], 1.0
	v_mul_f64 v[123:124], v[110:111], -v[121:122]
.LBB66_198:
	s_or_b64 exec, exec, s[18:19]
.LBB66_199:
	s_or_b64 exec, exec, s[0:1]
	v_cmp_ne_u32_e32 vcc, v108, v109
	s_and_saveexec_b64 s[0:1], vcc
	s_xor_b64 s[0:1], exec, s[0:1]
	s_cbranch_execz .LBB66_205
; %bb.200:
	v_cmp_eq_u32_e32 vcc, 9, v108
	s_and_saveexec_b64 s[18:19], vcc
	s_cbranch_execz .LBB66_204
; %bb.201:
	v_cmp_ne_u32_e32 vcc, 9, v109
	s_xor_b64 s[20:21], s[6:7], -1
	s_and_b64 s[22:23], s[20:21], vcc
	s_and_saveexec_b64 s[20:21], s[22:23]
	s_cbranch_execz .LBB66_203
; %bb.202:
	buffer_load_dword v112, off, s[24:27], 0 offset:96 ; 4-byte Folded Reload
	buffer_load_dword v113, off, s[24:27], 0 offset:100 ; 4-byte Folded Reload
	v_ashrrev_i32_e32 v110, 31, v109
	v_lshlrev_b64 v[110:111], 2, v[109:110]
	s_waitcnt vmcnt(1)
	v_add_co_u32_e32 v110, vcc, v112, v110
	s_waitcnt vmcnt(0)
	v_addc_co_u32_e32 v111, vcc, v113, v111, vcc
	global_load_dword v0, v[110:111], off
	global_load_dword v108, v[112:113], off offset:36
	s_waitcnt vmcnt(1)
	global_store_dword v[112:113], v0, off offset:36
	s_waitcnt vmcnt(1)
	global_store_dword v[110:111], v108, off
.LBB66_203:
	s_or_b64 exec, exec, s[20:21]
	v_mov_b32_e32 v108, v109
	v_mov_b32_e32 v0, v109
.LBB66_204:
	s_or_b64 exec, exec, s[18:19]
.LBB66_205:
	s_andn2_saveexec_b64 s[0:1], s[0:1]
	s_cbranch_execz .LBB66_207
; %bb.206:
	v_mov_b32_e32 v108, 9
	ds_write2_b64 v106, v[89:90], v[91:92] offset0:20 offset1:21
	ds_write2_b64 v106, v[85:86], v[87:88] offset0:22 offset1:23
	;; [unrolled: 1-line block ×24, first 2 shown]
.LBB66_207:
	s_or_b64 exec, exec, s[0:1]
	v_cmp_lt_i32_e32 vcc, 9, v108
	s_waitcnt vmcnt(0) lgkmcnt(0)
	s_barrier
	s_and_saveexec_b64 s[0:1], vcc
	s_cbranch_execz .LBB66_209
; %bb.208:
	v_mul_f64 v[109:110], v[123:124], v[99:100]
	v_mul_f64 v[99:100], v[121:122], v[99:100]
	v_fma_f64 v[125:126], v[121:122], v[97:98], -v[109:110]
	v_fma_f64 v[99:100], v[123:124], v[97:98], v[99:100]
	ds_read2_b64 v[109:112], v106 offset0:20 offset1:21
	s_waitcnt lgkmcnt(0)
	v_mul_f64 v[97:98], v[111:112], v[99:100]
	v_fma_f64 v[97:98], v[109:110], v[125:126], -v[97:98]
	v_mul_f64 v[109:110], v[109:110], v[99:100]
	v_add_f64 v[89:90], v[89:90], -v[97:98]
	v_fma_f64 v[109:110], v[111:112], v[125:126], v[109:110]
	v_add_f64 v[91:92], v[91:92], -v[109:110]
	ds_read2_b64 v[109:112], v106 offset0:22 offset1:23
	s_waitcnt lgkmcnt(0)
	v_mul_f64 v[97:98], v[111:112], v[99:100]
	v_fma_f64 v[97:98], v[109:110], v[125:126], -v[97:98]
	v_mul_f64 v[109:110], v[109:110], v[99:100]
	v_add_f64 v[85:86], v[85:86], -v[97:98]
	v_fma_f64 v[109:110], v[111:112], v[125:126], v[109:110]
	v_add_f64 v[87:88], v[87:88], -v[109:110]
	ds_read2_b64 v[109:112], v106 offset0:24 offset1:25
	s_waitcnt lgkmcnt(0)
	v_mul_f64 v[97:98], v[111:112], v[99:100]
	v_fma_f64 v[97:98], v[109:110], v[125:126], -v[97:98]
	v_mul_f64 v[109:110], v[109:110], v[99:100]
	v_add_f64 v[81:82], v[81:82], -v[97:98]
	v_fma_f64 v[109:110], v[111:112], v[125:126], v[109:110]
	v_add_f64 v[83:84], v[83:84], -v[109:110]
	ds_read2_b64 v[109:112], v106 offset0:26 offset1:27
	s_waitcnt lgkmcnt(0)
	v_mul_f64 v[97:98], v[111:112], v[99:100]
	v_fma_f64 v[97:98], v[109:110], v[125:126], -v[97:98]
	v_mul_f64 v[109:110], v[109:110], v[99:100]
	v_add_f64 v[77:78], v[77:78], -v[97:98]
	v_fma_f64 v[109:110], v[111:112], v[125:126], v[109:110]
	v_add_f64 v[79:80], v[79:80], -v[109:110]
	ds_read2_b64 v[109:112], v106 offset0:28 offset1:29
	s_waitcnt lgkmcnt(0)
	v_mul_f64 v[97:98], v[111:112], v[99:100]
	v_fma_f64 v[97:98], v[109:110], v[125:126], -v[97:98]
	v_mul_f64 v[109:110], v[109:110], v[99:100]
	v_add_f64 v[73:74], v[73:74], -v[97:98]
	v_fma_f64 v[109:110], v[111:112], v[125:126], v[109:110]
	v_add_f64 v[75:76], v[75:76], -v[109:110]
	ds_read2_b64 v[109:112], v106 offset0:30 offset1:31
	s_waitcnt lgkmcnt(0)
	v_mul_f64 v[97:98], v[111:112], v[99:100]
	v_fma_f64 v[97:98], v[109:110], v[125:126], -v[97:98]
	v_mul_f64 v[109:110], v[109:110], v[99:100]
	v_add_f64 v[69:70], v[69:70], -v[97:98]
	v_fma_f64 v[109:110], v[111:112], v[125:126], v[109:110]
	v_add_f64 v[71:72], v[71:72], -v[109:110]
	ds_read2_b64 v[109:112], v106 offset0:32 offset1:33
	s_waitcnt lgkmcnt(0)
	v_mul_f64 v[97:98], v[111:112], v[99:100]
	v_fma_f64 v[97:98], v[109:110], v[125:126], -v[97:98]
	v_mul_f64 v[109:110], v[109:110], v[99:100]
	v_add_f64 v[65:66], v[65:66], -v[97:98]
	v_fma_f64 v[109:110], v[111:112], v[125:126], v[109:110]
	v_add_f64 v[67:68], v[67:68], -v[109:110]
	ds_read2_b64 v[109:112], v106 offset0:34 offset1:35
	s_waitcnt lgkmcnt(0)
	v_mul_f64 v[97:98], v[111:112], v[99:100]
	v_fma_f64 v[97:98], v[109:110], v[125:126], -v[97:98]
	v_mul_f64 v[109:110], v[109:110], v[99:100]
	v_add_f64 v[61:62], v[61:62], -v[97:98]
	v_fma_f64 v[109:110], v[111:112], v[125:126], v[109:110]
	v_add_f64 v[63:64], v[63:64], -v[109:110]
	ds_read2_b64 v[109:112], v106 offset0:36 offset1:37
	s_waitcnt lgkmcnt(0)
	v_mul_f64 v[97:98], v[111:112], v[99:100]
	v_fma_f64 v[97:98], v[109:110], v[125:126], -v[97:98]
	v_mul_f64 v[109:110], v[109:110], v[99:100]
	v_add_f64 v[57:58], v[57:58], -v[97:98]
	v_fma_f64 v[109:110], v[111:112], v[125:126], v[109:110]
	v_add_f64 v[59:60], v[59:60], -v[109:110]
	ds_read2_b64 v[109:112], v106 offset0:38 offset1:39
	s_waitcnt lgkmcnt(0)
	v_mul_f64 v[97:98], v[111:112], v[99:100]
	v_fma_f64 v[97:98], v[109:110], v[125:126], -v[97:98]
	v_mul_f64 v[109:110], v[109:110], v[99:100]
	v_add_f64 v[53:54], v[53:54], -v[97:98]
	v_fma_f64 v[109:110], v[111:112], v[125:126], v[109:110]
	v_add_f64 v[55:56], v[55:56], -v[109:110]
	ds_read2_b64 v[109:112], v106 offset0:40 offset1:41
	s_waitcnt lgkmcnt(0)
	v_mul_f64 v[97:98], v[111:112], v[99:100]
	v_fma_f64 v[97:98], v[109:110], v[125:126], -v[97:98]
	v_mul_f64 v[109:110], v[109:110], v[99:100]
	v_add_f64 v[49:50], v[49:50], -v[97:98]
	v_fma_f64 v[109:110], v[111:112], v[125:126], v[109:110]
	v_add_f64 v[51:52], v[51:52], -v[109:110]
	ds_read2_b64 v[109:112], v106 offset0:42 offset1:43
	s_waitcnt lgkmcnt(0)
	v_mul_f64 v[97:98], v[111:112], v[99:100]
	v_fma_f64 v[97:98], v[109:110], v[125:126], -v[97:98]
	v_mul_f64 v[109:110], v[109:110], v[99:100]
	v_add_f64 v[45:46], v[45:46], -v[97:98]
	v_fma_f64 v[109:110], v[111:112], v[125:126], v[109:110]
	v_add_f64 v[47:48], v[47:48], -v[109:110]
	ds_read2_b64 v[109:112], v106 offset0:44 offset1:45
	s_waitcnt lgkmcnt(0)
	v_mul_f64 v[97:98], v[111:112], v[99:100]
	v_fma_f64 v[97:98], v[109:110], v[125:126], -v[97:98]
	v_mul_f64 v[109:110], v[109:110], v[99:100]
	v_add_f64 v[41:42], v[41:42], -v[97:98]
	v_fma_f64 v[109:110], v[111:112], v[125:126], v[109:110]
	v_add_f64 v[43:44], v[43:44], -v[109:110]
	ds_read2_b64 v[109:112], v106 offset0:46 offset1:47
	s_waitcnt lgkmcnt(0)
	v_mul_f64 v[97:98], v[111:112], v[99:100]
	v_fma_f64 v[97:98], v[109:110], v[125:126], -v[97:98]
	v_mul_f64 v[109:110], v[109:110], v[99:100]
	v_add_f64 v[37:38], v[37:38], -v[97:98]
	v_fma_f64 v[109:110], v[111:112], v[125:126], v[109:110]
	v_add_f64 v[39:40], v[39:40], -v[109:110]
	ds_read2_b64 v[109:112], v106 offset0:48 offset1:49
	s_waitcnt lgkmcnt(0)
	v_mul_f64 v[97:98], v[111:112], v[99:100]
	v_fma_f64 v[97:98], v[109:110], v[125:126], -v[97:98]
	v_mul_f64 v[109:110], v[109:110], v[99:100]
	v_add_f64 v[33:34], v[33:34], -v[97:98]
	v_fma_f64 v[109:110], v[111:112], v[125:126], v[109:110]
	v_add_f64 v[35:36], v[35:36], -v[109:110]
	ds_read2_b64 v[109:112], v106 offset0:50 offset1:51
	s_waitcnt lgkmcnt(0)
	v_mul_f64 v[97:98], v[111:112], v[99:100]
	v_fma_f64 v[97:98], v[109:110], v[125:126], -v[97:98]
	v_mul_f64 v[109:110], v[109:110], v[99:100]
	v_add_f64 v[29:30], v[29:30], -v[97:98]
	v_fma_f64 v[109:110], v[111:112], v[125:126], v[109:110]
	v_add_f64 v[31:32], v[31:32], -v[109:110]
	ds_read2_b64 v[109:112], v106 offset0:52 offset1:53
	s_waitcnt lgkmcnt(0)
	v_mul_f64 v[97:98], v[111:112], v[99:100]
	v_fma_f64 v[97:98], v[109:110], v[125:126], -v[97:98]
	v_mul_f64 v[109:110], v[109:110], v[99:100]
	v_add_f64 v[25:26], v[25:26], -v[97:98]
	v_fma_f64 v[109:110], v[111:112], v[125:126], v[109:110]
	v_add_f64 v[27:28], v[27:28], -v[109:110]
	ds_read2_b64 v[109:112], v106 offset0:54 offset1:55
	s_waitcnt lgkmcnt(0)
	v_mul_f64 v[97:98], v[111:112], v[99:100]
	v_fma_f64 v[97:98], v[109:110], v[125:126], -v[97:98]
	v_mul_f64 v[109:110], v[109:110], v[99:100]
	v_add_f64 v[21:22], v[21:22], -v[97:98]
	v_fma_f64 v[109:110], v[111:112], v[125:126], v[109:110]
	v_add_f64 v[23:24], v[23:24], -v[109:110]
	ds_read2_b64 v[109:112], v106 offset0:56 offset1:57
	s_waitcnt lgkmcnt(0)
	v_mul_f64 v[97:98], v[111:112], v[99:100]
	v_fma_f64 v[97:98], v[109:110], v[125:126], -v[97:98]
	v_mul_f64 v[109:110], v[109:110], v[99:100]
	v_add_f64 v[17:18], v[17:18], -v[97:98]
	v_fma_f64 v[109:110], v[111:112], v[125:126], v[109:110]
	v_add_f64 v[19:20], v[19:20], -v[109:110]
	ds_read2_b64 v[109:112], v106 offset0:58 offset1:59
	s_waitcnt lgkmcnt(0)
	v_mul_f64 v[97:98], v[111:112], v[99:100]
	v_fma_f64 v[97:98], v[109:110], v[125:126], -v[97:98]
	v_mul_f64 v[109:110], v[109:110], v[99:100]
	v_add_f64 v[13:14], v[13:14], -v[97:98]
	v_fma_f64 v[109:110], v[111:112], v[125:126], v[109:110]
	v_add_f64 v[15:16], v[15:16], -v[109:110]
	ds_read2_b64 v[109:112], v106 offset0:60 offset1:61
	s_waitcnt lgkmcnt(0)
	v_mul_f64 v[97:98], v[111:112], v[99:100]
	v_fma_f64 v[97:98], v[109:110], v[125:126], -v[97:98]
	v_mul_f64 v[109:110], v[109:110], v[99:100]
	v_add_f64 v[9:10], v[9:10], -v[97:98]
	v_fma_f64 v[109:110], v[111:112], v[125:126], v[109:110]
	v_add_f64 v[11:12], v[11:12], -v[109:110]
	ds_read2_b64 v[109:112], v106 offset0:62 offset1:63
	s_waitcnt lgkmcnt(0)
	v_mul_f64 v[97:98], v[111:112], v[99:100]
	v_fma_f64 v[97:98], v[109:110], v[125:126], -v[97:98]
	v_mul_f64 v[109:110], v[109:110], v[99:100]
	v_add_f64 v[5:6], v[5:6], -v[97:98]
	v_fma_f64 v[109:110], v[111:112], v[125:126], v[109:110]
	v_add_f64 v[7:8], v[7:8], -v[109:110]
	ds_read2_b64 v[109:112], v106 offset0:64 offset1:65
	s_waitcnt lgkmcnt(0)
	v_mul_f64 v[97:98], v[111:112], v[99:100]
	v_fma_f64 v[97:98], v[109:110], v[125:126], -v[97:98]
	v_mul_f64 v[109:110], v[109:110], v[99:100]
	v_add_f64 v[1:2], v[1:2], -v[97:98]
	v_fma_f64 v[109:110], v[111:112], v[125:126], v[109:110]
	v_add_f64 v[3:4], v[3:4], -v[109:110]
	ds_read2_b64 v[109:112], v106 offset0:66 offset1:67
	s_waitcnt lgkmcnt(0)
	v_mul_f64 v[97:98], v[111:112], v[99:100]
	v_fma_f64 v[97:98], v[109:110], v[125:126], -v[97:98]
	v_mul_f64 v[109:110], v[109:110], v[99:100]
	v_add_f64 v[93:94], v[93:94], -v[97:98]
	v_fma_f64 v[109:110], v[111:112], v[125:126], v[109:110]
	v_mov_b32_e32 v97, v125
	v_mov_b32_e32 v98, v126
	v_add_f64 v[95:96], v[95:96], -v[109:110]
.LBB66_209:
	s_or_b64 exec, exec, s[0:1]
	v_lshl_add_u32 v109, v108, 4, v106
	s_barrier
	ds_write2_b64 v109, v[89:90], v[91:92] offset1:1
	s_waitcnt lgkmcnt(0)
	s_barrier
	ds_read2_b64 v[121:124], v106 offset0:20 offset1:21
	s_cmp_lt_i32 s3, 12
	v_mov_b32_e32 v109, 10
	s_cbranch_scc1 .LBB66_212
; %bb.210:
	v_add_u32_e32 v110, 0xb0, v106
	s_mov_b32 s0, 11
	v_mov_b32_e32 v109, 10
.LBB66_211:                             ; =>This Inner Loop Header: Depth=1
	s_waitcnt lgkmcnt(0)
	v_cmp_gt_f64_e32 vcc, 0, v[121:122]
	v_xor_b32_e32 v115, 0x80000000, v122
	ds_read2_b64 v[111:114], v110 offset1:1
	v_xor_b32_e32 v117, 0x80000000, v124
	v_add_u32_e32 v110, 16, v110
	s_waitcnt lgkmcnt(0)
	v_xor_b32_e32 v119, 0x80000000, v114
	v_cndmask_b32_e32 v116, v122, v115, vcc
	v_cmp_gt_f64_e32 vcc, 0, v[123:124]
	v_mov_b32_e32 v115, v121
	v_cndmask_b32_e32 v118, v124, v117, vcc
	v_cmp_gt_f64_e32 vcc, 0, v[111:112]
	v_mov_b32_e32 v117, v123
	v_add_f64 v[115:116], v[115:116], v[117:118]
	v_xor_b32_e32 v117, 0x80000000, v112
	v_cndmask_b32_e32 v118, v112, v117, vcc
	v_cmp_gt_f64_e32 vcc, 0, v[113:114]
	v_mov_b32_e32 v117, v111
	v_cndmask_b32_e32 v120, v114, v119, vcc
	v_mov_b32_e32 v119, v113
	v_add_f64 v[117:118], v[117:118], v[119:120]
	v_cmp_lt_f64_e32 vcc, v[115:116], v[117:118]
	v_cndmask_b32_e32 v121, v121, v111, vcc
	v_mov_b32_e32 v111, s0
	s_add_i32 s0, s0, 1
	v_cndmask_b32_e32 v122, v122, v112, vcc
	v_cndmask_b32_e32 v124, v124, v114, vcc
	v_cndmask_b32_e32 v123, v123, v113, vcc
	v_cndmask_b32_e32 v109, v109, v111, vcc
	s_cmp_lg_u32 s3, s0
	s_cbranch_scc1 .LBB66_211
.LBB66_212:
	s_waitcnt lgkmcnt(0)
	v_cmp_eq_f64_e32 vcc, 0, v[121:122]
	v_cmp_eq_f64_e64 s[0:1], 0, v[123:124]
	s_and_b64 s[0:1], vcc, s[0:1]
	s_and_saveexec_b64 s[18:19], s[0:1]
	s_xor_b64 s[0:1], exec, s[18:19]
; %bb.213:
	v_cmp_ne_u32_e32 vcc, 0, v107
	v_cndmask_b32_e32 v107, 11, v107, vcc
; %bb.214:
	s_andn2_saveexec_b64 s[0:1], s[0:1]
	s_cbranch_execz .LBB66_220
; %bb.215:
	v_cmp_ngt_f64_e64 s[18:19], |v[121:122]|, |v[123:124]|
	s_and_saveexec_b64 s[20:21], s[18:19]
	s_xor_b64 s[18:19], exec, s[20:21]
	s_cbranch_execz .LBB66_217
; %bb.216:
	v_div_scale_f64 v[110:111], s[20:21], v[123:124], v[123:124], v[121:122]
	v_rcp_f64_e32 v[112:113], v[110:111]
	v_fma_f64 v[114:115], -v[110:111], v[112:113], 1.0
	v_fma_f64 v[112:113], v[112:113], v[114:115], v[112:113]
	v_div_scale_f64 v[114:115], vcc, v[121:122], v[123:124], v[121:122]
	v_fma_f64 v[116:117], -v[110:111], v[112:113], 1.0
	v_fma_f64 v[112:113], v[112:113], v[116:117], v[112:113]
	v_mul_f64 v[116:117], v[114:115], v[112:113]
	v_fma_f64 v[110:111], -v[110:111], v[116:117], v[114:115]
	v_div_fmas_f64 v[110:111], v[110:111], v[112:113], v[116:117]
	v_div_fixup_f64 v[110:111], v[110:111], v[123:124], v[121:122]
	v_fma_f64 v[112:113], v[121:122], v[110:111], v[123:124]
	v_div_scale_f64 v[114:115], s[20:21], v[112:113], v[112:113], 1.0
	v_div_scale_f64 v[120:121], vcc, 1.0, v[112:113], 1.0
	v_rcp_f64_e32 v[116:117], v[114:115]
	v_fma_f64 v[118:119], -v[114:115], v[116:117], 1.0
	v_fma_f64 v[116:117], v[116:117], v[118:119], v[116:117]
	v_fma_f64 v[118:119], -v[114:115], v[116:117], 1.0
	v_fma_f64 v[116:117], v[116:117], v[118:119], v[116:117]
	v_mul_f64 v[118:119], v[120:121], v[116:117]
	v_fma_f64 v[114:115], -v[114:115], v[118:119], v[120:121]
	v_div_fmas_f64 v[114:115], v[114:115], v[116:117], v[118:119]
	v_div_fixup_f64 v[123:124], v[114:115], v[112:113], 1.0
	v_mul_f64 v[121:122], v[110:111], v[123:124]
	v_xor_b32_e32 v124, 0x80000000, v124
.LBB66_217:
	s_andn2_saveexec_b64 s[18:19], s[18:19]
	s_cbranch_execz .LBB66_219
; %bb.218:
	v_div_scale_f64 v[110:111], s[20:21], v[121:122], v[121:122], v[123:124]
	v_rcp_f64_e32 v[112:113], v[110:111]
	v_fma_f64 v[114:115], -v[110:111], v[112:113], 1.0
	v_fma_f64 v[112:113], v[112:113], v[114:115], v[112:113]
	v_div_scale_f64 v[114:115], vcc, v[123:124], v[121:122], v[123:124]
	v_fma_f64 v[116:117], -v[110:111], v[112:113], 1.0
	v_fma_f64 v[112:113], v[112:113], v[116:117], v[112:113]
	v_mul_f64 v[116:117], v[114:115], v[112:113]
	v_fma_f64 v[110:111], -v[110:111], v[116:117], v[114:115]
	v_div_fmas_f64 v[110:111], v[110:111], v[112:113], v[116:117]
	v_div_fixup_f64 v[110:111], v[110:111], v[121:122], v[123:124]
	v_fma_f64 v[112:113], v[123:124], v[110:111], v[121:122]
	v_div_scale_f64 v[114:115], s[20:21], v[112:113], v[112:113], 1.0
	v_div_scale_f64 v[120:121], vcc, 1.0, v[112:113], 1.0
	v_rcp_f64_e32 v[116:117], v[114:115]
	v_fma_f64 v[118:119], -v[114:115], v[116:117], 1.0
	v_fma_f64 v[116:117], v[116:117], v[118:119], v[116:117]
	v_fma_f64 v[118:119], -v[114:115], v[116:117], 1.0
	v_fma_f64 v[116:117], v[116:117], v[118:119], v[116:117]
	v_mul_f64 v[118:119], v[120:121], v[116:117]
	v_fma_f64 v[114:115], -v[114:115], v[118:119], v[120:121]
	v_div_fmas_f64 v[114:115], v[114:115], v[116:117], v[118:119]
	v_div_fixup_f64 v[121:122], v[114:115], v[112:113], 1.0
	v_mul_f64 v[123:124], v[110:111], -v[121:122]
.LBB66_219:
	s_or_b64 exec, exec, s[18:19]
.LBB66_220:
	s_or_b64 exec, exec, s[0:1]
	v_cmp_ne_u32_e32 vcc, v108, v109
	s_and_saveexec_b64 s[0:1], vcc
	s_xor_b64 s[0:1], exec, s[0:1]
	s_cbranch_execz .LBB66_226
; %bb.221:
	v_cmp_eq_u32_e32 vcc, 10, v108
	s_and_saveexec_b64 s[18:19], vcc
	s_cbranch_execz .LBB66_225
; %bb.222:
	v_cmp_ne_u32_e32 vcc, 10, v109
	s_xor_b64 s[20:21], s[6:7], -1
	s_and_b64 s[22:23], s[20:21], vcc
	s_and_saveexec_b64 s[20:21], s[22:23]
	s_cbranch_execz .LBB66_224
; %bb.223:
	buffer_load_dword v112, off, s[24:27], 0 offset:96 ; 4-byte Folded Reload
	buffer_load_dword v113, off, s[24:27], 0 offset:100 ; 4-byte Folded Reload
	v_ashrrev_i32_e32 v110, 31, v109
	v_lshlrev_b64 v[110:111], 2, v[109:110]
	s_waitcnt vmcnt(1)
	v_add_co_u32_e32 v110, vcc, v112, v110
	s_waitcnt vmcnt(0)
	v_addc_co_u32_e32 v111, vcc, v113, v111, vcc
	global_load_dword v0, v[110:111], off
	global_load_dword v108, v[112:113], off offset:40
	s_waitcnt vmcnt(1)
	global_store_dword v[112:113], v0, off offset:40
	s_waitcnt vmcnt(1)
	global_store_dword v[110:111], v108, off
.LBB66_224:
	s_or_b64 exec, exec, s[20:21]
	v_mov_b32_e32 v108, v109
	v_mov_b32_e32 v0, v109
.LBB66_225:
	s_or_b64 exec, exec, s[18:19]
.LBB66_226:
	s_andn2_saveexec_b64 s[0:1], s[0:1]
	s_cbranch_execz .LBB66_228
; %bb.227:
	v_mov_b32_e32 v108, 10
	ds_write2_b64 v106, v[85:86], v[87:88] offset0:22 offset1:23
	ds_write2_b64 v106, v[81:82], v[83:84] offset0:24 offset1:25
	;; [unrolled: 1-line block ×23, first 2 shown]
.LBB66_228:
	s_or_b64 exec, exec, s[0:1]
	v_cmp_lt_i32_e32 vcc, 10, v108
	s_waitcnt vmcnt(0) lgkmcnt(0)
	s_barrier
	s_and_saveexec_b64 s[0:1], vcc
	s_cbranch_execz .LBB66_230
; %bb.229:
	v_mul_f64 v[109:110], v[123:124], v[91:92]
	v_mul_f64 v[91:92], v[121:122], v[91:92]
	v_fma_f64 v[125:126], v[121:122], v[89:90], -v[109:110]
	v_fma_f64 v[91:92], v[123:124], v[89:90], v[91:92]
	ds_read2_b64 v[109:112], v106 offset0:22 offset1:23
	s_waitcnt lgkmcnt(0)
	v_mul_f64 v[89:90], v[111:112], v[91:92]
	v_fma_f64 v[89:90], v[109:110], v[125:126], -v[89:90]
	v_mul_f64 v[109:110], v[109:110], v[91:92]
	v_add_f64 v[85:86], v[85:86], -v[89:90]
	v_fma_f64 v[109:110], v[111:112], v[125:126], v[109:110]
	v_add_f64 v[87:88], v[87:88], -v[109:110]
	ds_read2_b64 v[109:112], v106 offset0:24 offset1:25
	s_waitcnt lgkmcnt(0)
	v_mul_f64 v[89:90], v[111:112], v[91:92]
	v_fma_f64 v[89:90], v[109:110], v[125:126], -v[89:90]
	v_mul_f64 v[109:110], v[109:110], v[91:92]
	v_add_f64 v[81:82], v[81:82], -v[89:90]
	v_fma_f64 v[109:110], v[111:112], v[125:126], v[109:110]
	v_add_f64 v[83:84], v[83:84], -v[109:110]
	;; [unrolled: 8-line block ×22, first 2 shown]
	ds_read2_b64 v[109:112], v106 offset0:66 offset1:67
	s_waitcnt lgkmcnt(0)
	v_mul_f64 v[89:90], v[111:112], v[91:92]
	v_fma_f64 v[89:90], v[109:110], v[125:126], -v[89:90]
	v_mul_f64 v[109:110], v[109:110], v[91:92]
	v_add_f64 v[93:94], v[93:94], -v[89:90]
	v_fma_f64 v[109:110], v[111:112], v[125:126], v[109:110]
	v_mov_b32_e32 v89, v125
	v_mov_b32_e32 v90, v126
	v_add_f64 v[95:96], v[95:96], -v[109:110]
.LBB66_230:
	s_or_b64 exec, exec, s[0:1]
	v_lshl_add_u32 v109, v108, 4, v106
	s_barrier
	ds_write2_b64 v109, v[85:86], v[87:88] offset1:1
	s_waitcnt lgkmcnt(0)
	s_barrier
	ds_read2_b64 v[121:124], v106 offset0:22 offset1:23
	s_cmp_lt_i32 s3, 13
	v_mov_b32_e32 v109, 11
	s_cbranch_scc1 .LBB66_233
; %bb.231:
	v_add_u32_e32 v110, 0xc0, v106
	s_mov_b32 s0, 12
	v_mov_b32_e32 v109, 11
.LBB66_232:                             ; =>This Inner Loop Header: Depth=1
	s_waitcnt lgkmcnt(0)
	v_cmp_gt_f64_e32 vcc, 0, v[121:122]
	v_xor_b32_e32 v115, 0x80000000, v122
	ds_read2_b64 v[111:114], v110 offset1:1
	v_xor_b32_e32 v117, 0x80000000, v124
	v_add_u32_e32 v110, 16, v110
	s_waitcnt lgkmcnt(0)
	v_xor_b32_e32 v119, 0x80000000, v114
	v_cndmask_b32_e32 v116, v122, v115, vcc
	v_cmp_gt_f64_e32 vcc, 0, v[123:124]
	v_mov_b32_e32 v115, v121
	v_cndmask_b32_e32 v118, v124, v117, vcc
	v_cmp_gt_f64_e32 vcc, 0, v[111:112]
	v_mov_b32_e32 v117, v123
	v_add_f64 v[115:116], v[115:116], v[117:118]
	v_xor_b32_e32 v117, 0x80000000, v112
	v_cndmask_b32_e32 v118, v112, v117, vcc
	v_cmp_gt_f64_e32 vcc, 0, v[113:114]
	v_mov_b32_e32 v117, v111
	v_cndmask_b32_e32 v120, v114, v119, vcc
	v_mov_b32_e32 v119, v113
	v_add_f64 v[117:118], v[117:118], v[119:120]
	v_cmp_lt_f64_e32 vcc, v[115:116], v[117:118]
	v_cndmask_b32_e32 v121, v121, v111, vcc
	v_mov_b32_e32 v111, s0
	s_add_i32 s0, s0, 1
	v_cndmask_b32_e32 v122, v122, v112, vcc
	v_cndmask_b32_e32 v124, v124, v114, vcc
	;; [unrolled: 1-line block ×4, first 2 shown]
	s_cmp_lg_u32 s3, s0
	s_cbranch_scc1 .LBB66_232
.LBB66_233:
	s_waitcnt lgkmcnt(0)
	v_cmp_eq_f64_e32 vcc, 0, v[121:122]
	v_cmp_eq_f64_e64 s[0:1], 0, v[123:124]
	s_and_b64 s[0:1], vcc, s[0:1]
	s_and_saveexec_b64 s[18:19], s[0:1]
	s_xor_b64 s[0:1], exec, s[18:19]
; %bb.234:
	v_cmp_ne_u32_e32 vcc, 0, v107
	v_cndmask_b32_e32 v107, 12, v107, vcc
; %bb.235:
	s_andn2_saveexec_b64 s[0:1], s[0:1]
	s_cbranch_execz .LBB66_241
; %bb.236:
	v_cmp_ngt_f64_e64 s[18:19], |v[121:122]|, |v[123:124]|
	s_and_saveexec_b64 s[20:21], s[18:19]
	s_xor_b64 s[18:19], exec, s[20:21]
	s_cbranch_execz .LBB66_238
; %bb.237:
	v_div_scale_f64 v[110:111], s[20:21], v[123:124], v[123:124], v[121:122]
	v_rcp_f64_e32 v[112:113], v[110:111]
	v_fma_f64 v[114:115], -v[110:111], v[112:113], 1.0
	v_fma_f64 v[112:113], v[112:113], v[114:115], v[112:113]
	v_div_scale_f64 v[114:115], vcc, v[121:122], v[123:124], v[121:122]
	v_fma_f64 v[116:117], -v[110:111], v[112:113], 1.0
	v_fma_f64 v[112:113], v[112:113], v[116:117], v[112:113]
	v_mul_f64 v[116:117], v[114:115], v[112:113]
	v_fma_f64 v[110:111], -v[110:111], v[116:117], v[114:115]
	v_div_fmas_f64 v[110:111], v[110:111], v[112:113], v[116:117]
	v_div_fixup_f64 v[110:111], v[110:111], v[123:124], v[121:122]
	v_fma_f64 v[112:113], v[121:122], v[110:111], v[123:124]
	v_div_scale_f64 v[114:115], s[20:21], v[112:113], v[112:113], 1.0
	v_div_scale_f64 v[120:121], vcc, 1.0, v[112:113], 1.0
	v_rcp_f64_e32 v[116:117], v[114:115]
	v_fma_f64 v[118:119], -v[114:115], v[116:117], 1.0
	v_fma_f64 v[116:117], v[116:117], v[118:119], v[116:117]
	v_fma_f64 v[118:119], -v[114:115], v[116:117], 1.0
	v_fma_f64 v[116:117], v[116:117], v[118:119], v[116:117]
	v_mul_f64 v[118:119], v[120:121], v[116:117]
	v_fma_f64 v[114:115], -v[114:115], v[118:119], v[120:121]
	v_div_fmas_f64 v[114:115], v[114:115], v[116:117], v[118:119]
	v_div_fixup_f64 v[123:124], v[114:115], v[112:113], 1.0
	v_mul_f64 v[121:122], v[110:111], v[123:124]
	v_xor_b32_e32 v124, 0x80000000, v124
.LBB66_238:
	s_andn2_saveexec_b64 s[18:19], s[18:19]
	s_cbranch_execz .LBB66_240
; %bb.239:
	v_div_scale_f64 v[110:111], s[20:21], v[121:122], v[121:122], v[123:124]
	v_rcp_f64_e32 v[112:113], v[110:111]
	v_fma_f64 v[114:115], -v[110:111], v[112:113], 1.0
	v_fma_f64 v[112:113], v[112:113], v[114:115], v[112:113]
	v_div_scale_f64 v[114:115], vcc, v[123:124], v[121:122], v[123:124]
	v_fma_f64 v[116:117], -v[110:111], v[112:113], 1.0
	v_fma_f64 v[112:113], v[112:113], v[116:117], v[112:113]
	v_mul_f64 v[116:117], v[114:115], v[112:113]
	v_fma_f64 v[110:111], -v[110:111], v[116:117], v[114:115]
	v_div_fmas_f64 v[110:111], v[110:111], v[112:113], v[116:117]
	v_div_fixup_f64 v[110:111], v[110:111], v[121:122], v[123:124]
	v_fma_f64 v[112:113], v[123:124], v[110:111], v[121:122]
	v_div_scale_f64 v[114:115], s[20:21], v[112:113], v[112:113], 1.0
	v_div_scale_f64 v[120:121], vcc, 1.0, v[112:113], 1.0
	v_rcp_f64_e32 v[116:117], v[114:115]
	v_fma_f64 v[118:119], -v[114:115], v[116:117], 1.0
	v_fma_f64 v[116:117], v[116:117], v[118:119], v[116:117]
	v_fma_f64 v[118:119], -v[114:115], v[116:117], 1.0
	v_fma_f64 v[116:117], v[116:117], v[118:119], v[116:117]
	v_mul_f64 v[118:119], v[120:121], v[116:117]
	v_fma_f64 v[114:115], -v[114:115], v[118:119], v[120:121]
	v_div_fmas_f64 v[114:115], v[114:115], v[116:117], v[118:119]
	v_div_fixup_f64 v[121:122], v[114:115], v[112:113], 1.0
	v_mul_f64 v[123:124], v[110:111], -v[121:122]
.LBB66_240:
	s_or_b64 exec, exec, s[18:19]
.LBB66_241:
	s_or_b64 exec, exec, s[0:1]
	v_cmp_ne_u32_e32 vcc, v108, v109
	s_and_saveexec_b64 s[0:1], vcc
	s_xor_b64 s[0:1], exec, s[0:1]
	s_cbranch_execz .LBB66_247
; %bb.242:
	v_cmp_eq_u32_e32 vcc, 11, v108
	s_and_saveexec_b64 s[18:19], vcc
	s_cbranch_execz .LBB66_246
; %bb.243:
	v_cmp_ne_u32_e32 vcc, 11, v109
	s_xor_b64 s[20:21], s[6:7], -1
	s_and_b64 s[22:23], s[20:21], vcc
	s_and_saveexec_b64 s[20:21], s[22:23]
	s_cbranch_execz .LBB66_245
; %bb.244:
	buffer_load_dword v112, off, s[24:27], 0 offset:96 ; 4-byte Folded Reload
	buffer_load_dword v113, off, s[24:27], 0 offset:100 ; 4-byte Folded Reload
	v_ashrrev_i32_e32 v110, 31, v109
	v_lshlrev_b64 v[110:111], 2, v[109:110]
	s_waitcnt vmcnt(1)
	v_add_co_u32_e32 v110, vcc, v112, v110
	s_waitcnt vmcnt(0)
	v_addc_co_u32_e32 v111, vcc, v113, v111, vcc
	global_load_dword v0, v[110:111], off
	global_load_dword v108, v[112:113], off offset:44
	s_waitcnt vmcnt(1)
	global_store_dword v[112:113], v0, off offset:44
	s_waitcnt vmcnt(1)
	global_store_dword v[110:111], v108, off
.LBB66_245:
	s_or_b64 exec, exec, s[20:21]
	v_mov_b32_e32 v108, v109
	v_mov_b32_e32 v0, v109
.LBB66_246:
	s_or_b64 exec, exec, s[18:19]
.LBB66_247:
	s_andn2_saveexec_b64 s[0:1], s[0:1]
	s_cbranch_execz .LBB66_249
; %bb.248:
	v_mov_b32_e32 v108, 11
	ds_write2_b64 v106, v[81:82], v[83:84] offset0:24 offset1:25
	ds_write2_b64 v106, v[77:78], v[79:80] offset0:26 offset1:27
	;; [unrolled: 1-line block ×22, first 2 shown]
.LBB66_249:
	s_or_b64 exec, exec, s[0:1]
	v_cmp_lt_i32_e32 vcc, 11, v108
	s_waitcnt vmcnt(0) lgkmcnt(0)
	s_barrier
	s_and_saveexec_b64 s[0:1], vcc
	s_cbranch_execz .LBB66_251
; %bb.250:
	v_mul_f64 v[109:110], v[123:124], v[87:88]
	v_mul_f64 v[87:88], v[121:122], v[87:88]
	v_fma_f64 v[125:126], v[121:122], v[85:86], -v[109:110]
	v_fma_f64 v[87:88], v[123:124], v[85:86], v[87:88]
	ds_read2_b64 v[109:112], v106 offset0:24 offset1:25
	s_waitcnt lgkmcnt(0)
	v_mul_f64 v[85:86], v[111:112], v[87:88]
	v_fma_f64 v[85:86], v[109:110], v[125:126], -v[85:86]
	v_mul_f64 v[109:110], v[109:110], v[87:88]
	v_add_f64 v[81:82], v[81:82], -v[85:86]
	v_fma_f64 v[109:110], v[111:112], v[125:126], v[109:110]
	v_add_f64 v[83:84], v[83:84], -v[109:110]
	ds_read2_b64 v[109:112], v106 offset0:26 offset1:27
	s_waitcnt lgkmcnt(0)
	v_mul_f64 v[85:86], v[111:112], v[87:88]
	v_fma_f64 v[85:86], v[109:110], v[125:126], -v[85:86]
	v_mul_f64 v[109:110], v[109:110], v[87:88]
	v_add_f64 v[77:78], v[77:78], -v[85:86]
	v_fma_f64 v[109:110], v[111:112], v[125:126], v[109:110]
	v_add_f64 v[79:80], v[79:80], -v[109:110]
	;; [unrolled: 8-line block ×21, first 2 shown]
	ds_read2_b64 v[109:112], v106 offset0:66 offset1:67
	s_waitcnt lgkmcnt(0)
	v_mul_f64 v[85:86], v[111:112], v[87:88]
	v_fma_f64 v[85:86], v[109:110], v[125:126], -v[85:86]
	v_mul_f64 v[109:110], v[109:110], v[87:88]
	v_add_f64 v[93:94], v[93:94], -v[85:86]
	v_fma_f64 v[109:110], v[111:112], v[125:126], v[109:110]
	v_mov_b32_e32 v85, v125
	v_mov_b32_e32 v86, v126
	v_add_f64 v[95:96], v[95:96], -v[109:110]
.LBB66_251:
	s_or_b64 exec, exec, s[0:1]
	v_lshl_add_u32 v109, v108, 4, v106
	s_barrier
	ds_write2_b64 v109, v[81:82], v[83:84] offset1:1
	s_waitcnt lgkmcnt(0)
	s_barrier
	ds_read2_b64 v[121:124], v106 offset0:24 offset1:25
	s_cmp_lt_i32 s3, 14
	v_mov_b32_e32 v109, 12
	s_cbranch_scc1 .LBB66_254
; %bb.252:
	v_add_u32_e32 v110, 0xd0, v106
	s_mov_b32 s0, 13
	v_mov_b32_e32 v109, 12
.LBB66_253:                             ; =>This Inner Loop Header: Depth=1
	s_waitcnt lgkmcnt(0)
	v_cmp_gt_f64_e32 vcc, 0, v[121:122]
	v_xor_b32_e32 v115, 0x80000000, v122
	ds_read2_b64 v[111:114], v110 offset1:1
	v_xor_b32_e32 v117, 0x80000000, v124
	v_add_u32_e32 v110, 16, v110
	s_waitcnt lgkmcnt(0)
	v_xor_b32_e32 v119, 0x80000000, v114
	v_cndmask_b32_e32 v116, v122, v115, vcc
	v_cmp_gt_f64_e32 vcc, 0, v[123:124]
	v_mov_b32_e32 v115, v121
	v_cndmask_b32_e32 v118, v124, v117, vcc
	v_cmp_gt_f64_e32 vcc, 0, v[111:112]
	v_mov_b32_e32 v117, v123
	v_add_f64 v[115:116], v[115:116], v[117:118]
	v_xor_b32_e32 v117, 0x80000000, v112
	v_cndmask_b32_e32 v118, v112, v117, vcc
	v_cmp_gt_f64_e32 vcc, 0, v[113:114]
	v_mov_b32_e32 v117, v111
	v_cndmask_b32_e32 v120, v114, v119, vcc
	v_mov_b32_e32 v119, v113
	v_add_f64 v[117:118], v[117:118], v[119:120]
	v_cmp_lt_f64_e32 vcc, v[115:116], v[117:118]
	v_cndmask_b32_e32 v121, v121, v111, vcc
	v_mov_b32_e32 v111, s0
	s_add_i32 s0, s0, 1
	v_cndmask_b32_e32 v122, v122, v112, vcc
	v_cndmask_b32_e32 v124, v124, v114, vcc
	;; [unrolled: 1-line block ×4, first 2 shown]
	s_cmp_lg_u32 s3, s0
	s_cbranch_scc1 .LBB66_253
.LBB66_254:
	s_waitcnt lgkmcnt(0)
	v_cmp_eq_f64_e32 vcc, 0, v[121:122]
	v_cmp_eq_f64_e64 s[0:1], 0, v[123:124]
	s_and_b64 s[0:1], vcc, s[0:1]
	s_and_saveexec_b64 s[18:19], s[0:1]
	s_xor_b64 s[0:1], exec, s[18:19]
; %bb.255:
	v_cmp_ne_u32_e32 vcc, 0, v107
	v_cndmask_b32_e32 v107, 13, v107, vcc
; %bb.256:
	s_andn2_saveexec_b64 s[0:1], s[0:1]
	s_cbranch_execz .LBB66_262
; %bb.257:
	v_cmp_ngt_f64_e64 s[18:19], |v[121:122]|, |v[123:124]|
	s_and_saveexec_b64 s[20:21], s[18:19]
	s_xor_b64 s[18:19], exec, s[20:21]
	s_cbranch_execz .LBB66_259
; %bb.258:
	v_div_scale_f64 v[110:111], s[20:21], v[123:124], v[123:124], v[121:122]
	v_rcp_f64_e32 v[112:113], v[110:111]
	v_fma_f64 v[114:115], -v[110:111], v[112:113], 1.0
	v_fma_f64 v[112:113], v[112:113], v[114:115], v[112:113]
	v_div_scale_f64 v[114:115], vcc, v[121:122], v[123:124], v[121:122]
	v_fma_f64 v[116:117], -v[110:111], v[112:113], 1.0
	v_fma_f64 v[112:113], v[112:113], v[116:117], v[112:113]
	v_mul_f64 v[116:117], v[114:115], v[112:113]
	v_fma_f64 v[110:111], -v[110:111], v[116:117], v[114:115]
	v_div_fmas_f64 v[110:111], v[110:111], v[112:113], v[116:117]
	v_div_fixup_f64 v[110:111], v[110:111], v[123:124], v[121:122]
	v_fma_f64 v[112:113], v[121:122], v[110:111], v[123:124]
	v_div_scale_f64 v[114:115], s[20:21], v[112:113], v[112:113], 1.0
	v_div_scale_f64 v[120:121], vcc, 1.0, v[112:113], 1.0
	v_rcp_f64_e32 v[116:117], v[114:115]
	v_fma_f64 v[118:119], -v[114:115], v[116:117], 1.0
	v_fma_f64 v[116:117], v[116:117], v[118:119], v[116:117]
	v_fma_f64 v[118:119], -v[114:115], v[116:117], 1.0
	v_fma_f64 v[116:117], v[116:117], v[118:119], v[116:117]
	v_mul_f64 v[118:119], v[120:121], v[116:117]
	v_fma_f64 v[114:115], -v[114:115], v[118:119], v[120:121]
	v_div_fmas_f64 v[114:115], v[114:115], v[116:117], v[118:119]
	v_div_fixup_f64 v[123:124], v[114:115], v[112:113], 1.0
	v_mul_f64 v[121:122], v[110:111], v[123:124]
	v_xor_b32_e32 v124, 0x80000000, v124
.LBB66_259:
	s_andn2_saveexec_b64 s[18:19], s[18:19]
	s_cbranch_execz .LBB66_261
; %bb.260:
	v_div_scale_f64 v[110:111], s[20:21], v[121:122], v[121:122], v[123:124]
	v_rcp_f64_e32 v[112:113], v[110:111]
	v_fma_f64 v[114:115], -v[110:111], v[112:113], 1.0
	v_fma_f64 v[112:113], v[112:113], v[114:115], v[112:113]
	v_div_scale_f64 v[114:115], vcc, v[123:124], v[121:122], v[123:124]
	v_fma_f64 v[116:117], -v[110:111], v[112:113], 1.0
	v_fma_f64 v[112:113], v[112:113], v[116:117], v[112:113]
	v_mul_f64 v[116:117], v[114:115], v[112:113]
	v_fma_f64 v[110:111], -v[110:111], v[116:117], v[114:115]
	v_div_fmas_f64 v[110:111], v[110:111], v[112:113], v[116:117]
	v_div_fixup_f64 v[110:111], v[110:111], v[121:122], v[123:124]
	v_fma_f64 v[112:113], v[123:124], v[110:111], v[121:122]
	v_div_scale_f64 v[114:115], s[20:21], v[112:113], v[112:113], 1.0
	v_div_scale_f64 v[120:121], vcc, 1.0, v[112:113], 1.0
	v_rcp_f64_e32 v[116:117], v[114:115]
	v_fma_f64 v[118:119], -v[114:115], v[116:117], 1.0
	v_fma_f64 v[116:117], v[116:117], v[118:119], v[116:117]
	v_fma_f64 v[118:119], -v[114:115], v[116:117], 1.0
	v_fma_f64 v[116:117], v[116:117], v[118:119], v[116:117]
	v_mul_f64 v[118:119], v[120:121], v[116:117]
	v_fma_f64 v[114:115], -v[114:115], v[118:119], v[120:121]
	v_div_fmas_f64 v[114:115], v[114:115], v[116:117], v[118:119]
	v_div_fixup_f64 v[121:122], v[114:115], v[112:113], 1.0
	v_mul_f64 v[123:124], v[110:111], -v[121:122]
.LBB66_261:
	s_or_b64 exec, exec, s[18:19]
.LBB66_262:
	s_or_b64 exec, exec, s[0:1]
	v_cmp_ne_u32_e32 vcc, v108, v109
	s_and_saveexec_b64 s[0:1], vcc
	s_xor_b64 s[0:1], exec, s[0:1]
	s_cbranch_execz .LBB66_268
; %bb.263:
	v_cmp_eq_u32_e32 vcc, 12, v108
	s_and_saveexec_b64 s[18:19], vcc
	s_cbranch_execz .LBB66_267
; %bb.264:
	v_cmp_ne_u32_e32 vcc, 12, v109
	s_xor_b64 s[20:21], s[6:7], -1
	s_and_b64 s[22:23], s[20:21], vcc
	s_and_saveexec_b64 s[20:21], s[22:23]
	s_cbranch_execz .LBB66_266
; %bb.265:
	buffer_load_dword v112, off, s[24:27], 0 offset:96 ; 4-byte Folded Reload
	buffer_load_dword v113, off, s[24:27], 0 offset:100 ; 4-byte Folded Reload
	v_ashrrev_i32_e32 v110, 31, v109
	v_lshlrev_b64 v[110:111], 2, v[109:110]
	s_waitcnt vmcnt(1)
	v_add_co_u32_e32 v110, vcc, v112, v110
	s_waitcnt vmcnt(0)
	v_addc_co_u32_e32 v111, vcc, v113, v111, vcc
	global_load_dword v0, v[110:111], off
	global_load_dword v108, v[112:113], off offset:48
	s_waitcnt vmcnt(1)
	global_store_dword v[112:113], v0, off offset:48
	s_waitcnt vmcnt(1)
	global_store_dword v[110:111], v108, off
.LBB66_266:
	s_or_b64 exec, exec, s[20:21]
	v_mov_b32_e32 v108, v109
	v_mov_b32_e32 v0, v109
.LBB66_267:
	s_or_b64 exec, exec, s[18:19]
.LBB66_268:
	s_andn2_saveexec_b64 s[0:1], s[0:1]
	s_cbranch_execz .LBB66_270
; %bb.269:
	v_mov_b32_e32 v108, 12
	ds_write2_b64 v106, v[77:78], v[79:80] offset0:26 offset1:27
	ds_write2_b64 v106, v[73:74], v[75:76] offset0:28 offset1:29
	;; [unrolled: 1-line block ×21, first 2 shown]
.LBB66_270:
	s_or_b64 exec, exec, s[0:1]
	v_cmp_lt_i32_e32 vcc, 12, v108
	s_waitcnt vmcnt(0) lgkmcnt(0)
	s_barrier
	s_and_saveexec_b64 s[0:1], vcc
	s_cbranch_execz .LBB66_272
; %bb.271:
	v_mul_f64 v[109:110], v[123:124], v[83:84]
	v_mul_f64 v[83:84], v[121:122], v[83:84]
	v_fma_f64 v[125:126], v[121:122], v[81:82], -v[109:110]
	v_fma_f64 v[83:84], v[123:124], v[81:82], v[83:84]
	ds_read2_b64 v[109:112], v106 offset0:26 offset1:27
	s_waitcnt lgkmcnt(0)
	v_mul_f64 v[81:82], v[111:112], v[83:84]
	v_fma_f64 v[81:82], v[109:110], v[125:126], -v[81:82]
	v_mul_f64 v[109:110], v[109:110], v[83:84]
	v_add_f64 v[77:78], v[77:78], -v[81:82]
	v_fma_f64 v[109:110], v[111:112], v[125:126], v[109:110]
	v_add_f64 v[79:80], v[79:80], -v[109:110]
	ds_read2_b64 v[109:112], v106 offset0:28 offset1:29
	s_waitcnt lgkmcnt(0)
	v_mul_f64 v[81:82], v[111:112], v[83:84]
	v_fma_f64 v[81:82], v[109:110], v[125:126], -v[81:82]
	v_mul_f64 v[109:110], v[109:110], v[83:84]
	v_add_f64 v[73:74], v[73:74], -v[81:82]
	v_fma_f64 v[109:110], v[111:112], v[125:126], v[109:110]
	v_add_f64 v[75:76], v[75:76], -v[109:110]
	;; [unrolled: 8-line block ×20, first 2 shown]
	ds_read2_b64 v[109:112], v106 offset0:66 offset1:67
	s_waitcnt lgkmcnt(0)
	v_mul_f64 v[81:82], v[111:112], v[83:84]
	v_fma_f64 v[81:82], v[109:110], v[125:126], -v[81:82]
	v_mul_f64 v[109:110], v[109:110], v[83:84]
	v_add_f64 v[93:94], v[93:94], -v[81:82]
	v_fma_f64 v[109:110], v[111:112], v[125:126], v[109:110]
	v_mov_b32_e32 v81, v125
	v_mov_b32_e32 v82, v126
	v_add_f64 v[95:96], v[95:96], -v[109:110]
.LBB66_272:
	s_or_b64 exec, exec, s[0:1]
	v_lshl_add_u32 v109, v108, 4, v106
	s_barrier
	ds_write2_b64 v109, v[77:78], v[79:80] offset1:1
	s_waitcnt lgkmcnt(0)
	s_barrier
	ds_read2_b64 v[121:124], v106 offset0:26 offset1:27
	s_cmp_lt_i32 s3, 15
	v_mov_b32_e32 v109, 13
	s_cbranch_scc1 .LBB66_275
; %bb.273:
	v_add_u32_e32 v110, 0xe0, v106
	s_mov_b32 s0, 14
	v_mov_b32_e32 v109, 13
.LBB66_274:                             ; =>This Inner Loop Header: Depth=1
	s_waitcnt lgkmcnt(0)
	v_cmp_gt_f64_e32 vcc, 0, v[121:122]
	v_xor_b32_e32 v115, 0x80000000, v122
	ds_read2_b64 v[111:114], v110 offset1:1
	v_xor_b32_e32 v117, 0x80000000, v124
	v_add_u32_e32 v110, 16, v110
	s_waitcnt lgkmcnt(0)
	v_xor_b32_e32 v119, 0x80000000, v114
	v_cndmask_b32_e32 v116, v122, v115, vcc
	v_cmp_gt_f64_e32 vcc, 0, v[123:124]
	v_mov_b32_e32 v115, v121
	v_cndmask_b32_e32 v118, v124, v117, vcc
	v_cmp_gt_f64_e32 vcc, 0, v[111:112]
	v_mov_b32_e32 v117, v123
	v_add_f64 v[115:116], v[115:116], v[117:118]
	v_xor_b32_e32 v117, 0x80000000, v112
	v_cndmask_b32_e32 v118, v112, v117, vcc
	v_cmp_gt_f64_e32 vcc, 0, v[113:114]
	v_mov_b32_e32 v117, v111
	v_cndmask_b32_e32 v120, v114, v119, vcc
	v_mov_b32_e32 v119, v113
	v_add_f64 v[117:118], v[117:118], v[119:120]
	v_cmp_lt_f64_e32 vcc, v[115:116], v[117:118]
	v_cndmask_b32_e32 v121, v121, v111, vcc
	v_mov_b32_e32 v111, s0
	s_add_i32 s0, s0, 1
	v_cndmask_b32_e32 v122, v122, v112, vcc
	v_cndmask_b32_e32 v124, v124, v114, vcc
	;; [unrolled: 1-line block ×4, first 2 shown]
	s_cmp_lg_u32 s3, s0
	s_cbranch_scc1 .LBB66_274
.LBB66_275:
	s_waitcnt lgkmcnt(0)
	v_cmp_eq_f64_e32 vcc, 0, v[121:122]
	v_cmp_eq_f64_e64 s[0:1], 0, v[123:124]
	s_and_b64 s[0:1], vcc, s[0:1]
	s_and_saveexec_b64 s[18:19], s[0:1]
	s_xor_b64 s[0:1], exec, s[18:19]
; %bb.276:
	v_cmp_ne_u32_e32 vcc, 0, v107
	v_cndmask_b32_e32 v107, 14, v107, vcc
; %bb.277:
	s_andn2_saveexec_b64 s[0:1], s[0:1]
	s_cbranch_execz .LBB66_283
; %bb.278:
	v_cmp_ngt_f64_e64 s[18:19], |v[121:122]|, |v[123:124]|
	s_and_saveexec_b64 s[20:21], s[18:19]
	s_xor_b64 s[18:19], exec, s[20:21]
	s_cbranch_execz .LBB66_280
; %bb.279:
	v_div_scale_f64 v[110:111], s[20:21], v[123:124], v[123:124], v[121:122]
	v_rcp_f64_e32 v[112:113], v[110:111]
	v_fma_f64 v[114:115], -v[110:111], v[112:113], 1.0
	v_fma_f64 v[112:113], v[112:113], v[114:115], v[112:113]
	v_div_scale_f64 v[114:115], vcc, v[121:122], v[123:124], v[121:122]
	v_fma_f64 v[116:117], -v[110:111], v[112:113], 1.0
	v_fma_f64 v[112:113], v[112:113], v[116:117], v[112:113]
	v_mul_f64 v[116:117], v[114:115], v[112:113]
	v_fma_f64 v[110:111], -v[110:111], v[116:117], v[114:115]
	v_div_fmas_f64 v[110:111], v[110:111], v[112:113], v[116:117]
	v_div_fixup_f64 v[110:111], v[110:111], v[123:124], v[121:122]
	v_fma_f64 v[112:113], v[121:122], v[110:111], v[123:124]
	v_div_scale_f64 v[114:115], s[20:21], v[112:113], v[112:113], 1.0
	v_div_scale_f64 v[120:121], vcc, 1.0, v[112:113], 1.0
	v_rcp_f64_e32 v[116:117], v[114:115]
	v_fma_f64 v[118:119], -v[114:115], v[116:117], 1.0
	v_fma_f64 v[116:117], v[116:117], v[118:119], v[116:117]
	v_fma_f64 v[118:119], -v[114:115], v[116:117], 1.0
	v_fma_f64 v[116:117], v[116:117], v[118:119], v[116:117]
	v_mul_f64 v[118:119], v[120:121], v[116:117]
	v_fma_f64 v[114:115], -v[114:115], v[118:119], v[120:121]
	v_div_fmas_f64 v[114:115], v[114:115], v[116:117], v[118:119]
	v_div_fixup_f64 v[123:124], v[114:115], v[112:113], 1.0
	v_mul_f64 v[121:122], v[110:111], v[123:124]
	v_xor_b32_e32 v124, 0x80000000, v124
.LBB66_280:
	s_andn2_saveexec_b64 s[18:19], s[18:19]
	s_cbranch_execz .LBB66_282
; %bb.281:
	v_div_scale_f64 v[110:111], s[20:21], v[121:122], v[121:122], v[123:124]
	v_rcp_f64_e32 v[112:113], v[110:111]
	v_fma_f64 v[114:115], -v[110:111], v[112:113], 1.0
	v_fma_f64 v[112:113], v[112:113], v[114:115], v[112:113]
	v_div_scale_f64 v[114:115], vcc, v[123:124], v[121:122], v[123:124]
	v_fma_f64 v[116:117], -v[110:111], v[112:113], 1.0
	v_fma_f64 v[112:113], v[112:113], v[116:117], v[112:113]
	v_mul_f64 v[116:117], v[114:115], v[112:113]
	v_fma_f64 v[110:111], -v[110:111], v[116:117], v[114:115]
	v_div_fmas_f64 v[110:111], v[110:111], v[112:113], v[116:117]
	v_div_fixup_f64 v[110:111], v[110:111], v[121:122], v[123:124]
	v_fma_f64 v[112:113], v[123:124], v[110:111], v[121:122]
	v_div_scale_f64 v[114:115], s[20:21], v[112:113], v[112:113], 1.0
	v_div_scale_f64 v[120:121], vcc, 1.0, v[112:113], 1.0
	v_rcp_f64_e32 v[116:117], v[114:115]
	v_fma_f64 v[118:119], -v[114:115], v[116:117], 1.0
	v_fma_f64 v[116:117], v[116:117], v[118:119], v[116:117]
	v_fma_f64 v[118:119], -v[114:115], v[116:117], 1.0
	v_fma_f64 v[116:117], v[116:117], v[118:119], v[116:117]
	v_mul_f64 v[118:119], v[120:121], v[116:117]
	v_fma_f64 v[114:115], -v[114:115], v[118:119], v[120:121]
	v_div_fmas_f64 v[114:115], v[114:115], v[116:117], v[118:119]
	v_div_fixup_f64 v[121:122], v[114:115], v[112:113], 1.0
	v_mul_f64 v[123:124], v[110:111], -v[121:122]
.LBB66_282:
	s_or_b64 exec, exec, s[18:19]
.LBB66_283:
	s_or_b64 exec, exec, s[0:1]
	v_cmp_ne_u32_e32 vcc, v108, v109
	s_and_saveexec_b64 s[0:1], vcc
	s_xor_b64 s[0:1], exec, s[0:1]
	s_cbranch_execz .LBB66_289
; %bb.284:
	v_cmp_eq_u32_e32 vcc, 13, v108
	s_and_saveexec_b64 s[18:19], vcc
	s_cbranch_execz .LBB66_288
; %bb.285:
	v_cmp_ne_u32_e32 vcc, 13, v109
	s_xor_b64 s[20:21], s[6:7], -1
	s_and_b64 s[22:23], s[20:21], vcc
	s_and_saveexec_b64 s[20:21], s[22:23]
	s_cbranch_execz .LBB66_287
; %bb.286:
	buffer_load_dword v112, off, s[24:27], 0 offset:96 ; 4-byte Folded Reload
	buffer_load_dword v113, off, s[24:27], 0 offset:100 ; 4-byte Folded Reload
	v_ashrrev_i32_e32 v110, 31, v109
	v_lshlrev_b64 v[110:111], 2, v[109:110]
	s_waitcnt vmcnt(1)
	v_add_co_u32_e32 v110, vcc, v112, v110
	s_waitcnt vmcnt(0)
	v_addc_co_u32_e32 v111, vcc, v113, v111, vcc
	global_load_dword v0, v[110:111], off
	global_load_dword v108, v[112:113], off offset:52
	s_waitcnt vmcnt(1)
	global_store_dword v[112:113], v0, off offset:52
	s_waitcnt vmcnt(1)
	global_store_dword v[110:111], v108, off
.LBB66_287:
	s_or_b64 exec, exec, s[20:21]
	v_mov_b32_e32 v108, v109
	v_mov_b32_e32 v0, v109
.LBB66_288:
	s_or_b64 exec, exec, s[18:19]
.LBB66_289:
	s_andn2_saveexec_b64 s[0:1], s[0:1]
	s_cbranch_execz .LBB66_291
; %bb.290:
	v_mov_b32_e32 v108, 13
	ds_write2_b64 v106, v[73:74], v[75:76] offset0:28 offset1:29
	ds_write2_b64 v106, v[69:70], v[71:72] offset0:30 offset1:31
	;; [unrolled: 1-line block ×20, first 2 shown]
.LBB66_291:
	s_or_b64 exec, exec, s[0:1]
	v_cmp_lt_i32_e32 vcc, 13, v108
	s_waitcnt vmcnt(0) lgkmcnt(0)
	s_barrier
	s_and_saveexec_b64 s[0:1], vcc
	s_cbranch_execz .LBB66_293
; %bb.292:
	v_mul_f64 v[109:110], v[123:124], v[79:80]
	v_mul_f64 v[79:80], v[121:122], v[79:80]
	v_fma_f64 v[125:126], v[121:122], v[77:78], -v[109:110]
	v_fma_f64 v[79:80], v[123:124], v[77:78], v[79:80]
	ds_read2_b64 v[109:112], v106 offset0:28 offset1:29
	s_waitcnt lgkmcnt(0)
	v_mul_f64 v[77:78], v[111:112], v[79:80]
	v_fma_f64 v[77:78], v[109:110], v[125:126], -v[77:78]
	v_mul_f64 v[109:110], v[109:110], v[79:80]
	v_add_f64 v[73:74], v[73:74], -v[77:78]
	v_fma_f64 v[109:110], v[111:112], v[125:126], v[109:110]
	v_add_f64 v[75:76], v[75:76], -v[109:110]
	ds_read2_b64 v[109:112], v106 offset0:30 offset1:31
	s_waitcnt lgkmcnt(0)
	v_mul_f64 v[77:78], v[111:112], v[79:80]
	v_fma_f64 v[77:78], v[109:110], v[125:126], -v[77:78]
	v_mul_f64 v[109:110], v[109:110], v[79:80]
	v_add_f64 v[69:70], v[69:70], -v[77:78]
	v_fma_f64 v[109:110], v[111:112], v[125:126], v[109:110]
	v_add_f64 v[71:72], v[71:72], -v[109:110]
	;; [unrolled: 8-line block ×19, first 2 shown]
	ds_read2_b64 v[109:112], v106 offset0:66 offset1:67
	s_waitcnt lgkmcnt(0)
	v_mul_f64 v[77:78], v[111:112], v[79:80]
	v_fma_f64 v[77:78], v[109:110], v[125:126], -v[77:78]
	v_mul_f64 v[109:110], v[109:110], v[79:80]
	v_add_f64 v[93:94], v[93:94], -v[77:78]
	v_fma_f64 v[109:110], v[111:112], v[125:126], v[109:110]
	v_mov_b32_e32 v77, v125
	v_mov_b32_e32 v78, v126
	v_add_f64 v[95:96], v[95:96], -v[109:110]
.LBB66_293:
	s_or_b64 exec, exec, s[0:1]
	v_lshl_add_u32 v109, v108, 4, v106
	s_barrier
	ds_write2_b64 v109, v[73:74], v[75:76] offset1:1
	s_waitcnt lgkmcnt(0)
	s_barrier
	ds_read2_b64 v[121:124], v106 offset0:28 offset1:29
	s_cmp_lt_i32 s3, 16
	v_mov_b32_e32 v109, 14
	s_cbranch_scc1 .LBB66_296
; %bb.294:
	v_add_u32_e32 v110, 0xf0, v106
	s_mov_b32 s0, 15
	v_mov_b32_e32 v109, 14
.LBB66_295:                             ; =>This Inner Loop Header: Depth=1
	s_waitcnt lgkmcnt(0)
	v_cmp_gt_f64_e32 vcc, 0, v[121:122]
	v_xor_b32_e32 v115, 0x80000000, v122
	ds_read2_b64 v[111:114], v110 offset1:1
	v_xor_b32_e32 v117, 0x80000000, v124
	v_add_u32_e32 v110, 16, v110
	s_waitcnt lgkmcnt(0)
	v_xor_b32_e32 v119, 0x80000000, v114
	v_cndmask_b32_e32 v116, v122, v115, vcc
	v_cmp_gt_f64_e32 vcc, 0, v[123:124]
	v_mov_b32_e32 v115, v121
	v_cndmask_b32_e32 v118, v124, v117, vcc
	v_cmp_gt_f64_e32 vcc, 0, v[111:112]
	v_mov_b32_e32 v117, v123
	v_add_f64 v[115:116], v[115:116], v[117:118]
	v_xor_b32_e32 v117, 0x80000000, v112
	v_cndmask_b32_e32 v118, v112, v117, vcc
	v_cmp_gt_f64_e32 vcc, 0, v[113:114]
	v_mov_b32_e32 v117, v111
	v_cndmask_b32_e32 v120, v114, v119, vcc
	v_mov_b32_e32 v119, v113
	v_add_f64 v[117:118], v[117:118], v[119:120]
	v_cmp_lt_f64_e32 vcc, v[115:116], v[117:118]
	v_cndmask_b32_e32 v121, v121, v111, vcc
	v_mov_b32_e32 v111, s0
	s_add_i32 s0, s0, 1
	v_cndmask_b32_e32 v122, v122, v112, vcc
	v_cndmask_b32_e32 v124, v124, v114, vcc
	;; [unrolled: 1-line block ×4, first 2 shown]
	s_cmp_lg_u32 s3, s0
	s_cbranch_scc1 .LBB66_295
.LBB66_296:
	s_waitcnt lgkmcnt(0)
	v_cmp_eq_f64_e32 vcc, 0, v[121:122]
	v_cmp_eq_f64_e64 s[0:1], 0, v[123:124]
	s_and_b64 s[0:1], vcc, s[0:1]
	s_and_saveexec_b64 s[18:19], s[0:1]
	s_xor_b64 s[0:1], exec, s[18:19]
; %bb.297:
	v_cmp_ne_u32_e32 vcc, 0, v107
	v_cndmask_b32_e32 v107, 15, v107, vcc
; %bb.298:
	s_andn2_saveexec_b64 s[0:1], s[0:1]
	s_cbranch_execz .LBB66_304
; %bb.299:
	v_cmp_ngt_f64_e64 s[18:19], |v[121:122]|, |v[123:124]|
	s_and_saveexec_b64 s[20:21], s[18:19]
	s_xor_b64 s[18:19], exec, s[20:21]
	s_cbranch_execz .LBB66_301
; %bb.300:
	v_div_scale_f64 v[110:111], s[20:21], v[123:124], v[123:124], v[121:122]
	v_rcp_f64_e32 v[112:113], v[110:111]
	v_fma_f64 v[114:115], -v[110:111], v[112:113], 1.0
	v_fma_f64 v[112:113], v[112:113], v[114:115], v[112:113]
	v_div_scale_f64 v[114:115], vcc, v[121:122], v[123:124], v[121:122]
	v_fma_f64 v[116:117], -v[110:111], v[112:113], 1.0
	v_fma_f64 v[112:113], v[112:113], v[116:117], v[112:113]
	v_mul_f64 v[116:117], v[114:115], v[112:113]
	v_fma_f64 v[110:111], -v[110:111], v[116:117], v[114:115]
	v_div_fmas_f64 v[110:111], v[110:111], v[112:113], v[116:117]
	v_div_fixup_f64 v[110:111], v[110:111], v[123:124], v[121:122]
	v_fma_f64 v[112:113], v[121:122], v[110:111], v[123:124]
	v_div_scale_f64 v[114:115], s[20:21], v[112:113], v[112:113], 1.0
	v_div_scale_f64 v[120:121], vcc, 1.0, v[112:113], 1.0
	v_rcp_f64_e32 v[116:117], v[114:115]
	v_fma_f64 v[118:119], -v[114:115], v[116:117], 1.0
	v_fma_f64 v[116:117], v[116:117], v[118:119], v[116:117]
	v_fma_f64 v[118:119], -v[114:115], v[116:117], 1.0
	v_fma_f64 v[116:117], v[116:117], v[118:119], v[116:117]
	v_mul_f64 v[118:119], v[120:121], v[116:117]
	v_fma_f64 v[114:115], -v[114:115], v[118:119], v[120:121]
	v_div_fmas_f64 v[114:115], v[114:115], v[116:117], v[118:119]
	v_div_fixup_f64 v[123:124], v[114:115], v[112:113], 1.0
	v_mul_f64 v[121:122], v[110:111], v[123:124]
	v_xor_b32_e32 v124, 0x80000000, v124
.LBB66_301:
	s_andn2_saveexec_b64 s[18:19], s[18:19]
	s_cbranch_execz .LBB66_303
; %bb.302:
	v_div_scale_f64 v[110:111], s[20:21], v[121:122], v[121:122], v[123:124]
	v_rcp_f64_e32 v[112:113], v[110:111]
	v_fma_f64 v[114:115], -v[110:111], v[112:113], 1.0
	v_fma_f64 v[112:113], v[112:113], v[114:115], v[112:113]
	v_div_scale_f64 v[114:115], vcc, v[123:124], v[121:122], v[123:124]
	v_fma_f64 v[116:117], -v[110:111], v[112:113], 1.0
	v_fma_f64 v[112:113], v[112:113], v[116:117], v[112:113]
	v_mul_f64 v[116:117], v[114:115], v[112:113]
	v_fma_f64 v[110:111], -v[110:111], v[116:117], v[114:115]
	v_div_fmas_f64 v[110:111], v[110:111], v[112:113], v[116:117]
	v_div_fixup_f64 v[110:111], v[110:111], v[121:122], v[123:124]
	v_fma_f64 v[112:113], v[123:124], v[110:111], v[121:122]
	v_div_scale_f64 v[114:115], s[20:21], v[112:113], v[112:113], 1.0
	v_div_scale_f64 v[120:121], vcc, 1.0, v[112:113], 1.0
	v_rcp_f64_e32 v[116:117], v[114:115]
	v_fma_f64 v[118:119], -v[114:115], v[116:117], 1.0
	v_fma_f64 v[116:117], v[116:117], v[118:119], v[116:117]
	v_fma_f64 v[118:119], -v[114:115], v[116:117], 1.0
	v_fma_f64 v[116:117], v[116:117], v[118:119], v[116:117]
	v_mul_f64 v[118:119], v[120:121], v[116:117]
	v_fma_f64 v[114:115], -v[114:115], v[118:119], v[120:121]
	v_div_fmas_f64 v[114:115], v[114:115], v[116:117], v[118:119]
	v_div_fixup_f64 v[121:122], v[114:115], v[112:113], 1.0
	v_mul_f64 v[123:124], v[110:111], -v[121:122]
.LBB66_303:
	s_or_b64 exec, exec, s[18:19]
.LBB66_304:
	s_or_b64 exec, exec, s[0:1]
	v_cmp_ne_u32_e32 vcc, v108, v109
	s_and_saveexec_b64 s[0:1], vcc
	s_xor_b64 s[0:1], exec, s[0:1]
	s_cbranch_execz .LBB66_310
; %bb.305:
	v_cmp_eq_u32_e32 vcc, 14, v108
	s_and_saveexec_b64 s[18:19], vcc
	s_cbranch_execz .LBB66_309
; %bb.306:
	v_cmp_ne_u32_e32 vcc, 14, v109
	s_xor_b64 s[20:21], s[6:7], -1
	s_and_b64 s[22:23], s[20:21], vcc
	s_and_saveexec_b64 s[20:21], s[22:23]
	s_cbranch_execz .LBB66_308
; %bb.307:
	buffer_load_dword v112, off, s[24:27], 0 offset:96 ; 4-byte Folded Reload
	buffer_load_dword v113, off, s[24:27], 0 offset:100 ; 4-byte Folded Reload
	v_ashrrev_i32_e32 v110, 31, v109
	v_lshlrev_b64 v[110:111], 2, v[109:110]
	s_waitcnt vmcnt(1)
	v_add_co_u32_e32 v110, vcc, v112, v110
	s_waitcnt vmcnt(0)
	v_addc_co_u32_e32 v111, vcc, v113, v111, vcc
	global_load_dword v0, v[110:111], off
	global_load_dword v108, v[112:113], off offset:56
	s_waitcnt vmcnt(1)
	global_store_dword v[112:113], v0, off offset:56
	s_waitcnt vmcnt(1)
	global_store_dword v[110:111], v108, off
.LBB66_308:
	s_or_b64 exec, exec, s[20:21]
	v_mov_b32_e32 v108, v109
	v_mov_b32_e32 v0, v109
.LBB66_309:
	s_or_b64 exec, exec, s[18:19]
.LBB66_310:
	s_andn2_saveexec_b64 s[0:1], s[0:1]
	s_cbranch_execz .LBB66_312
; %bb.311:
	v_mov_b32_e32 v108, 14
	ds_write2_b64 v106, v[69:70], v[71:72] offset0:30 offset1:31
	ds_write2_b64 v106, v[65:66], v[67:68] offset0:32 offset1:33
	;; [unrolled: 1-line block ×19, first 2 shown]
.LBB66_312:
	s_or_b64 exec, exec, s[0:1]
	v_cmp_lt_i32_e32 vcc, 14, v108
	s_waitcnt vmcnt(0) lgkmcnt(0)
	s_barrier
	s_and_saveexec_b64 s[0:1], vcc
	s_cbranch_execz .LBB66_314
; %bb.313:
	v_mul_f64 v[109:110], v[123:124], v[75:76]
	v_mul_f64 v[75:76], v[121:122], v[75:76]
	v_fma_f64 v[125:126], v[121:122], v[73:74], -v[109:110]
	v_fma_f64 v[75:76], v[123:124], v[73:74], v[75:76]
	ds_read2_b64 v[109:112], v106 offset0:30 offset1:31
	s_waitcnt lgkmcnt(0)
	v_mul_f64 v[73:74], v[111:112], v[75:76]
	v_fma_f64 v[73:74], v[109:110], v[125:126], -v[73:74]
	v_mul_f64 v[109:110], v[109:110], v[75:76]
	v_add_f64 v[69:70], v[69:70], -v[73:74]
	v_fma_f64 v[109:110], v[111:112], v[125:126], v[109:110]
	v_add_f64 v[71:72], v[71:72], -v[109:110]
	ds_read2_b64 v[109:112], v106 offset0:32 offset1:33
	s_waitcnt lgkmcnt(0)
	v_mul_f64 v[73:74], v[111:112], v[75:76]
	v_fma_f64 v[73:74], v[109:110], v[125:126], -v[73:74]
	v_mul_f64 v[109:110], v[109:110], v[75:76]
	v_add_f64 v[65:66], v[65:66], -v[73:74]
	v_fma_f64 v[109:110], v[111:112], v[125:126], v[109:110]
	v_add_f64 v[67:68], v[67:68], -v[109:110]
	ds_read2_b64 v[109:112], v106 offset0:34 offset1:35
	s_waitcnt lgkmcnt(0)
	v_mul_f64 v[73:74], v[111:112], v[75:76]
	v_fma_f64 v[73:74], v[109:110], v[125:126], -v[73:74]
	v_mul_f64 v[109:110], v[109:110], v[75:76]
	v_add_f64 v[61:62], v[61:62], -v[73:74]
	v_fma_f64 v[109:110], v[111:112], v[125:126], v[109:110]
	v_add_f64 v[63:64], v[63:64], -v[109:110]
	ds_read2_b64 v[109:112], v106 offset0:36 offset1:37
	s_waitcnt lgkmcnt(0)
	v_mul_f64 v[73:74], v[111:112], v[75:76]
	v_fma_f64 v[73:74], v[109:110], v[125:126], -v[73:74]
	v_mul_f64 v[109:110], v[109:110], v[75:76]
	v_add_f64 v[57:58], v[57:58], -v[73:74]
	v_fma_f64 v[109:110], v[111:112], v[125:126], v[109:110]
	v_add_f64 v[59:60], v[59:60], -v[109:110]
	ds_read2_b64 v[109:112], v106 offset0:38 offset1:39
	s_waitcnt lgkmcnt(0)
	v_mul_f64 v[73:74], v[111:112], v[75:76]
	v_fma_f64 v[73:74], v[109:110], v[125:126], -v[73:74]
	v_mul_f64 v[109:110], v[109:110], v[75:76]
	v_add_f64 v[53:54], v[53:54], -v[73:74]
	v_fma_f64 v[109:110], v[111:112], v[125:126], v[109:110]
	v_add_f64 v[55:56], v[55:56], -v[109:110]
	ds_read2_b64 v[109:112], v106 offset0:40 offset1:41
	s_waitcnt lgkmcnt(0)
	v_mul_f64 v[73:74], v[111:112], v[75:76]
	v_fma_f64 v[73:74], v[109:110], v[125:126], -v[73:74]
	v_mul_f64 v[109:110], v[109:110], v[75:76]
	v_add_f64 v[49:50], v[49:50], -v[73:74]
	v_fma_f64 v[109:110], v[111:112], v[125:126], v[109:110]
	v_add_f64 v[51:52], v[51:52], -v[109:110]
	ds_read2_b64 v[109:112], v106 offset0:42 offset1:43
	s_waitcnt lgkmcnt(0)
	v_mul_f64 v[73:74], v[111:112], v[75:76]
	v_fma_f64 v[73:74], v[109:110], v[125:126], -v[73:74]
	v_mul_f64 v[109:110], v[109:110], v[75:76]
	v_add_f64 v[45:46], v[45:46], -v[73:74]
	v_fma_f64 v[109:110], v[111:112], v[125:126], v[109:110]
	v_add_f64 v[47:48], v[47:48], -v[109:110]
	ds_read2_b64 v[109:112], v106 offset0:44 offset1:45
	s_waitcnt lgkmcnt(0)
	v_mul_f64 v[73:74], v[111:112], v[75:76]
	v_fma_f64 v[73:74], v[109:110], v[125:126], -v[73:74]
	v_mul_f64 v[109:110], v[109:110], v[75:76]
	v_add_f64 v[41:42], v[41:42], -v[73:74]
	v_fma_f64 v[109:110], v[111:112], v[125:126], v[109:110]
	v_add_f64 v[43:44], v[43:44], -v[109:110]
	ds_read2_b64 v[109:112], v106 offset0:46 offset1:47
	s_waitcnt lgkmcnt(0)
	v_mul_f64 v[73:74], v[111:112], v[75:76]
	v_fma_f64 v[73:74], v[109:110], v[125:126], -v[73:74]
	v_mul_f64 v[109:110], v[109:110], v[75:76]
	v_add_f64 v[37:38], v[37:38], -v[73:74]
	v_fma_f64 v[109:110], v[111:112], v[125:126], v[109:110]
	v_add_f64 v[39:40], v[39:40], -v[109:110]
	ds_read2_b64 v[109:112], v106 offset0:48 offset1:49
	s_waitcnt lgkmcnt(0)
	v_mul_f64 v[73:74], v[111:112], v[75:76]
	v_fma_f64 v[73:74], v[109:110], v[125:126], -v[73:74]
	v_mul_f64 v[109:110], v[109:110], v[75:76]
	v_add_f64 v[33:34], v[33:34], -v[73:74]
	v_fma_f64 v[109:110], v[111:112], v[125:126], v[109:110]
	v_add_f64 v[35:36], v[35:36], -v[109:110]
	ds_read2_b64 v[109:112], v106 offset0:50 offset1:51
	s_waitcnt lgkmcnt(0)
	v_mul_f64 v[73:74], v[111:112], v[75:76]
	v_fma_f64 v[73:74], v[109:110], v[125:126], -v[73:74]
	v_mul_f64 v[109:110], v[109:110], v[75:76]
	v_add_f64 v[29:30], v[29:30], -v[73:74]
	v_fma_f64 v[109:110], v[111:112], v[125:126], v[109:110]
	v_add_f64 v[31:32], v[31:32], -v[109:110]
	ds_read2_b64 v[109:112], v106 offset0:52 offset1:53
	s_waitcnt lgkmcnt(0)
	v_mul_f64 v[73:74], v[111:112], v[75:76]
	v_fma_f64 v[73:74], v[109:110], v[125:126], -v[73:74]
	v_mul_f64 v[109:110], v[109:110], v[75:76]
	v_add_f64 v[25:26], v[25:26], -v[73:74]
	v_fma_f64 v[109:110], v[111:112], v[125:126], v[109:110]
	v_add_f64 v[27:28], v[27:28], -v[109:110]
	ds_read2_b64 v[109:112], v106 offset0:54 offset1:55
	s_waitcnt lgkmcnt(0)
	v_mul_f64 v[73:74], v[111:112], v[75:76]
	v_fma_f64 v[73:74], v[109:110], v[125:126], -v[73:74]
	v_mul_f64 v[109:110], v[109:110], v[75:76]
	v_add_f64 v[21:22], v[21:22], -v[73:74]
	v_fma_f64 v[109:110], v[111:112], v[125:126], v[109:110]
	v_add_f64 v[23:24], v[23:24], -v[109:110]
	ds_read2_b64 v[109:112], v106 offset0:56 offset1:57
	s_waitcnt lgkmcnt(0)
	v_mul_f64 v[73:74], v[111:112], v[75:76]
	v_fma_f64 v[73:74], v[109:110], v[125:126], -v[73:74]
	v_mul_f64 v[109:110], v[109:110], v[75:76]
	v_add_f64 v[17:18], v[17:18], -v[73:74]
	v_fma_f64 v[109:110], v[111:112], v[125:126], v[109:110]
	v_add_f64 v[19:20], v[19:20], -v[109:110]
	ds_read2_b64 v[109:112], v106 offset0:58 offset1:59
	s_waitcnt lgkmcnt(0)
	v_mul_f64 v[73:74], v[111:112], v[75:76]
	v_fma_f64 v[73:74], v[109:110], v[125:126], -v[73:74]
	v_mul_f64 v[109:110], v[109:110], v[75:76]
	v_add_f64 v[13:14], v[13:14], -v[73:74]
	v_fma_f64 v[109:110], v[111:112], v[125:126], v[109:110]
	v_add_f64 v[15:16], v[15:16], -v[109:110]
	ds_read2_b64 v[109:112], v106 offset0:60 offset1:61
	s_waitcnt lgkmcnt(0)
	v_mul_f64 v[73:74], v[111:112], v[75:76]
	v_fma_f64 v[73:74], v[109:110], v[125:126], -v[73:74]
	v_mul_f64 v[109:110], v[109:110], v[75:76]
	v_add_f64 v[9:10], v[9:10], -v[73:74]
	v_fma_f64 v[109:110], v[111:112], v[125:126], v[109:110]
	v_add_f64 v[11:12], v[11:12], -v[109:110]
	ds_read2_b64 v[109:112], v106 offset0:62 offset1:63
	s_waitcnt lgkmcnt(0)
	v_mul_f64 v[73:74], v[111:112], v[75:76]
	v_fma_f64 v[73:74], v[109:110], v[125:126], -v[73:74]
	v_mul_f64 v[109:110], v[109:110], v[75:76]
	v_add_f64 v[5:6], v[5:6], -v[73:74]
	v_fma_f64 v[109:110], v[111:112], v[125:126], v[109:110]
	v_add_f64 v[7:8], v[7:8], -v[109:110]
	ds_read2_b64 v[109:112], v106 offset0:64 offset1:65
	s_waitcnt lgkmcnt(0)
	v_mul_f64 v[73:74], v[111:112], v[75:76]
	v_fma_f64 v[73:74], v[109:110], v[125:126], -v[73:74]
	v_mul_f64 v[109:110], v[109:110], v[75:76]
	v_add_f64 v[1:2], v[1:2], -v[73:74]
	v_fma_f64 v[109:110], v[111:112], v[125:126], v[109:110]
	v_add_f64 v[3:4], v[3:4], -v[109:110]
	ds_read2_b64 v[109:112], v106 offset0:66 offset1:67
	s_waitcnt lgkmcnt(0)
	v_mul_f64 v[73:74], v[111:112], v[75:76]
	v_fma_f64 v[73:74], v[109:110], v[125:126], -v[73:74]
	v_mul_f64 v[109:110], v[109:110], v[75:76]
	v_add_f64 v[93:94], v[93:94], -v[73:74]
	v_fma_f64 v[109:110], v[111:112], v[125:126], v[109:110]
	v_mov_b32_e32 v73, v125
	v_mov_b32_e32 v74, v126
	v_add_f64 v[95:96], v[95:96], -v[109:110]
.LBB66_314:
	s_or_b64 exec, exec, s[0:1]
	v_lshl_add_u32 v109, v108, 4, v106
	s_barrier
	ds_write2_b64 v109, v[69:70], v[71:72] offset1:1
	s_waitcnt lgkmcnt(0)
	s_barrier
	ds_read2_b64 v[121:124], v106 offset0:30 offset1:31
	s_cmp_lt_i32 s3, 17
	v_mov_b32_e32 v109, 15
	s_cbranch_scc1 .LBB66_317
; %bb.315:
	v_add_u32_e32 v110, 0x100, v106
	s_mov_b32 s0, 16
	v_mov_b32_e32 v109, 15
.LBB66_316:                             ; =>This Inner Loop Header: Depth=1
	s_waitcnt lgkmcnt(0)
	v_cmp_gt_f64_e32 vcc, 0, v[121:122]
	v_xor_b32_e32 v115, 0x80000000, v122
	ds_read2_b64 v[111:114], v110 offset1:1
	v_xor_b32_e32 v117, 0x80000000, v124
	v_add_u32_e32 v110, 16, v110
	s_waitcnt lgkmcnt(0)
	v_xor_b32_e32 v119, 0x80000000, v114
	v_cndmask_b32_e32 v116, v122, v115, vcc
	v_cmp_gt_f64_e32 vcc, 0, v[123:124]
	v_mov_b32_e32 v115, v121
	v_cndmask_b32_e32 v118, v124, v117, vcc
	v_cmp_gt_f64_e32 vcc, 0, v[111:112]
	v_mov_b32_e32 v117, v123
	v_add_f64 v[115:116], v[115:116], v[117:118]
	v_xor_b32_e32 v117, 0x80000000, v112
	v_cndmask_b32_e32 v118, v112, v117, vcc
	v_cmp_gt_f64_e32 vcc, 0, v[113:114]
	v_mov_b32_e32 v117, v111
	v_cndmask_b32_e32 v120, v114, v119, vcc
	v_mov_b32_e32 v119, v113
	v_add_f64 v[117:118], v[117:118], v[119:120]
	v_cmp_lt_f64_e32 vcc, v[115:116], v[117:118]
	v_cndmask_b32_e32 v121, v121, v111, vcc
	v_mov_b32_e32 v111, s0
	s_add_i32 s0, s0, 1
	v_cndmask_b32_e32 v122, v122, v112, vcc
	v_cndmask_b32_e32 v124, v124, v114, vcc
	;; [unrolled: 1-line block ×4, first 2 shown]
	s_cmp_lg_u32 s3, s0
	s_cbranch_scc1 .LBB66_316
.LBB66_317:
	s_waitcnt lgkmcnt(0)
	v_cmp_eq_f64_e32 vcc, 0, v[121:122]
	v_cmp_eq_f64_e64 s[0:1], 0, v[123:124]
	s_and_b64 s[0:1], vcc, s[0:1]
	s_and_saveexec_b64 s[18:19], s[0:1]
	s_xor_b64 s[0:1], exec, s[18:19]
; %bb.318:
	v_cmp_ne_u32_e32 vcc, 0, v107
	v_cndmask_b32_e32 v107, 16, v107, vcc
; %bb.319:
	s_andn2_saveexec_b64 s[0:1], s[0:1]
	s_cbranch_execz .LBB66_325
; %bb.320:
	v_cmp_ngt_f64_e64 s[18:19], |v[121:122]|, |v[123:124]|
	s_and_saveexec_b64 s[20:21], s[18:19]
	s_xor_b64 s[18:19], exec, s[20:21]
	s_cbranch_execz .LBB66_322
; %bb.321:
	v_div_scale_f64 v[110:111], s[20:21], v[123:124], v[123:124], v[121:122]
	v_rcp_f64_e32 v[112:113], v[110:111]
	v_fma_f64 v[114:115], -v[110:111], v[112:113], 1.0
	v_fma_f64 v[112:113], v[112:113], v[114:115], v[112:113]
	v_div_scale_f64 v[114:115], vcc, v[121:122], v[123:124], v[121:122]
	v_fma_f64 v[116:117], -v[110:111], v[112:113], 1.0
	v_fma_f64 v[112:113], v[112:113], v[116:117], v[112:113]
	v_mul_f64 v[116:117], v[114:115], v[112:113]
	v_fma_f64 v[110:111], -v[110:111], v[116:117], v[114:115]
	v_div_fmas_f64 v[110:111], v[110:111], v[112:113], v[116:117]
	v_div_fixup_f64 v[110:111], v[110:111], v[123:124], v[121:122]
	v_fma_f64 v[112:113], v[121:122], v[110:111], v[123:124]
	v_div_scale_f64 v[114:115], s[20:21], v[112:113], v[112:113], 1.0
	v_div_scale_f64 v[120:121], vcc, 1.0, v[112:113], 1.0
	v_rcp_f64_e32 v[116:117], v[114:115]
	v_fma_f64 v[118:119], -v[114:115], v[116:117], 1.0
	v_fma_f64 v[116:117], v[116:117], v[118:119], v[116:117]
	v_fma_f64 v[118:119], -v[114:115], v[116:117], 1.0
	v_fma_f64 v[116:117], v[116:117], v[118:119], v[116:117]
	v_mul_f64 v[118:119], v[120:121], v[116:117]
	v_fma_f64 v[114:115], -v[114:115], v[118:119], v[120:121]
	v_div_fmas_f64 v[114:115], v[114:115], v[116:117], v[118:119]
	v_div_fixup_f64 v[123:124], v[114:115], v[112:113], 1.0
	v_mul_f64 v[121:122], v[110:111], v[123:124]
	v_xor_b32_e32 v124, 0x80000000, v124
.LBB66_322:
	s_andn2_saveexec_b64 s[18:19], s[18:19]
	s_cbranch_execz .LBB66_324
; %bb.323:
	v_div_scale_f64 v[110:111], s[20:21], v[121:122], v[121:122], v[123:124]
	v_rcp_f64_e32 v[112:113], v[110:111]
	v_fma_f64 v[114:115], -v[110:111], v[112:113], 1.0
	v_fma_f64 v[112:113], v[112:113], v[114:115], v[112:113]
	v_div_scale_f64 v[114:115], vcc, v[123:124], v[121:122], v[123:124]
	v_fma_f64 v[116:117], -v[110:111], v[112:113], 1.0
	v_fma_f64 v[112:113], v[112:113], v[116:117], v[112:113]
	v_mul_f64 v[116:117], v[114:115], v[112:113]
	v_fma_f64 v[110:111], -v[110:111], v[116:117], v[114:115]
	v_div_fmas_f64 v[110:111], v[110:111], v[112:113], v[116:117]
	v_div_fixup_f64 v[110:111], v[110:111], v[121:122], v[123:124]
	v_fma_f64 v[112:113], v[123:124], v[110:111], v[121:122]
	v_div_scale_f64 v[114:115], s[20:21], v[112:113], v[112:113], 1.0
	v_div_scale_f64 v[120:121], vcc, 1.0, v[112:113], 1.0
	v_rcp_f64_e32 v[116:117], v[114:115]
	v_fma_f64 v[118:119], -v[114:115], v[116:117], 1.0
	v_fma_f64 v[116:117], v[116:117], v[118:119], v[116:117]
	v_fma_f64 v[118:119], -v[114:115], v[116:117], 1.0
	v_fma_f64 v[116:117], v[116:117], v[118:119], v[116:117]
	v_mul_f64 v[118:119], v[120:121], v[116:117]
	v_fma_f64 v[114:115], -v[114:115], v[118:119], v[120:121]
	v_div_fmas_f64 v[114:115], v[114:115], v[116:117], v[118:119]
	v_div_fixup_f64 v[121:122], v[114:115], v[112:113], 1.0
	v_mul_f64 v[123:124], v[110:111], -v[121:122]
.LBB66_324:
	s_or_b64 exec, exec, s[18:19]
.LBB66_325:
	s_or_b64 exec, exec, s[0:1]
	v_cmp_ne_u32_e32 vcc, v108, v109
	s_and_saveexec_b64 s[0:1], vcc
	s_xor_b64 s[0:1], exec, s[0:1]
	s_cbranch_execz .LBB66_331
; %bb.326:
	v_cmp_eq_u32_e32 vcc, 15, v108
	s_and_saveexec_b64 s[18:19], vcc
	s_cbranch_execz .LBB66_330
; %bb.327:
	v_cmp_ne_u32_e32 vcc, 15, v109
	s_xor_b64 s[20:21], s[6:7], -1
	s_and_b64 s[22:23], s[20:21], vcc
	s_and_saveexec_b64 s[20:21], s[22:23]
	s_cbranch_execz .LBB66_329
; %bb.328:
	buffer_load_dword v112, off, s[24:27], 0 offset:96 ; 4-byte Folded Reload
	buffer_load_dword v113, off, s[24:27], 0 offset:100 ; 4-byte Folded Reload
	v_ashrrev_i32_e32 v110, 31, v109
	v_lshlrev_b64 v[110:111], 2, v[109:110]
	s_waitcnt vmcnt(1)
	v_add_co_u32_e32 v110, vcc, v112, v110
	s_waitcnt vmcnt(0)
	v_addc_co_u32_e32 v111, vcc, v113, v111, vcc
	global_load_dword v0, v[110:111], off
	global_load_dword v108, v[112:113], off offset:60
	s_waitcnt vmcnt(1)
	global_store_dword v[112:113], v0, off offset:60
	s_waitcnt vmcnt(1)
	global_store_dword v[110:111], v108, off
.LBB66_329:
	s_or_b64 exec, exec, s[20:21]
	v_mov_b32_e32 v108, v109
	v_mov_b32_e32 v0, v109
.LBB66_330:
	s_or_b64 exec, exec, s[18:19]
.LBB66_331:
	s_andn2_saveexec_b64 s[0:1], s[0:1]
	s_cbranch_execz .LBB66_333
; %bb.332:
	v_mov_b32_e32 v108, 15
	ds_write2_b64 v106, v[65:66], v[67:68] offset0:32 offset1:33
	ds_write2_b64 v106, v[61:62], v[63:64] offset0:34 offset1:35
	;; [unrolled: 1-line block ×18, first 2 shown]
.LBB66_333:
	s_or_b64 exec, exec, s[0:1]
	v_cmp_lt_i32_e32 vcc, 15, v108
	s_waitcnt vmcnt(0) lgkmcnt(0)
	s_barrier
	s_and_saveexec_b64 s[0:1], vcc
	s_cbranch_execz .LBB66_335
; %bb.334:
	v_mul_f64 v[109:110], v[123:124], v[71:72]
	v_mul_f64 v[71:72], v[121:122], v[71:72]
	v_fma_f64 v[125:126], v[121:122], v[69:70], -v[109:110]
	v_fma_f64 v[71:72], v[123:124], v[69:70], v[71:72]
	ds_read2_b64 v[109:112], v106 offset0:32 offset1:33
	s_waitcnt lgkmcnt(0)
	v_mul_f64 v[69:70], v[111:112], v[71:72]
	v_fma_f64 v[69:70], v[109:110], v[125:126], -v[69:70]
	v_mul_f64 v[109:110], v[109:110], v[71:72]
	v_add_f64 v[65:66], v[65:66], -v[69:70]
	v_fma_f64 v[109:110], v[111:112], v[125:126], v[109:110]
	v_add_f64 v[67:68], v[67:68], -v[109:110]
	ds_read2_b64 v[109:112], v106 offset0:34 offset1:35
	s_waitcnt lgkmcnt(0)
	v_mul_f64 v[69:70], v[111:112], v[71:72]
	v_fma_f64 v[69:70], v[109:110], v[125:126], -v[69:70]
	v_mul_f64 v[109:110], v[109:110], v[71:72]
	v_add_f64 v[61:62], v[61:62], -v[69:70]
	v_fma_f64 v[109:110], v[111:112], v[125:126], v[109:110]
	v_add_f64 v[63:64], v[63:64], -v[109:110]
	ds_read2_b64 v[109:112], v106 offset0:36 offset1:37
	s_waitcnt lgkmcnt(0)
	v_mul_f64 v[69:70], v[111:112], v[71:72]
	v_fma_f64 v[69:70], v[109:110], v[125:126], -v[69:70]
	v_mul_f64 v[109:110], v[109:110], v[71:72]
	v_add_f64 v[57:58], v[57:58], -v[69:70]
	v_fma_f64 v[109:110], v[111:112], v[125:126], v[109:110]
	v_add_f64 v[59:60], v[59:60], -v[109:110]
	ds_read2_b64 v[109:112], v106 offset0:38 offset1:39
	s_waitcnt lgkmcnt(0)
	v_mul_f64 v[69:70], v[111:112], v[71:72]
	v_fma_f64 v[69:70], v[109:110], v[125:126], -v[69:70]
	v_mul_f64 v[109:110], v[109:110], v[71:72]
	v_add_f64 v[53:54], v[53:54], -v[69:70]
	v_fma_f64 v[109:110], v[111:112], v[125:126], v[109:110]
	v_add_f64 v[55:56], v[55:56], -v[109:110]
	ds_read2_b64 v[109:112], v106 offset0:40 offset1:41
	s_waitcnt lgkmcnt(0)
	v_mul_f64 v[69:70], v[111:112], v[71:72]
	v_fma_f64 v[69:70], v[109:110], v[125:126], -v[69:70]
	v_mul_f64 v[109:110], v[109:110], v[71:72]
	v_add_f64 v[49:50], v[49:50], -v[69:70]
	v_fma_f64 v[109:110], v[111:112], v[125:126], v[109:110]
	v_add_f64 v[51:52], v[51:52], -v[109:110]
	ds_read2_b64 v[109:112], v106 offset0:42 offset1:43
	s_waitcnt lgkmcnt(0)
	v_mul_f64 v[69:70], v[111:112], v[71:72]
	v_fma_f64 v[69:70], v[109:110], v[125:126], -v[69:70]
	v_mul_f64 v[109:110], v[109:110], v[71:72]
	v_add_f64 v[45:46], v[45:46], -v[69:70]
	v_fma_f64 v[109:110], v[111:112], v[125:126], v[109:110]
	v_add_f64 v[47:48], v[47:48], -v[109:110]
	ds_read2_b64 v[109:112], v106 offset0:44 offset1:45
	s_waitcnt lgkmcnt(0)
	v_mul_f64 v[69:70], v[111:112], v[71:72]
	v_fma_f64 v[69:70], v[109:110], v[125:126], -v[69:70]
	v_mul_f64 v[109:110], v[109:110], v[71:72]
	v_add_f64 v[41:42], v[41:42], -v[69:70]
	v_fma_f64 v[109:110], v[111:112], v[125:126], v[109:110]
	v_add_f64 v[43:44], v[43:44], -v[109:110]
	ds_read2_b64 v[109:112], v106 offset0:46 offset1:47
	s_waitcnt lgkmcnt(0)
	v_mul_f64 v[69:70], v[111:112], v[71:72]
	v_fma_f64 v[69:70], v[109:110], v[125:126], -v[69:70]
	v_mul_f64 v[109:110], v[109:110], v[71:72]
	v_add_f64 v[37:38], v[37:38], -v[69:70]
	v_fma_f64 v[109:110], v[111:112], v[125:126], v[109:110]
	v_add_f64 v[39:40], v[39:40], -v[109:110]
	ds_read2_b64 v[109:112], v106 offset0:48 offset1:49
	s_waitcnt lgkmcnt(0)
	v_mul_f64 v[69:70], v[111:112], v[71:72]
	v_fma_f64 v[69:70], v[109:110], v[125:126], -v[69:70]
	v_mul_f64 v[109:110], v[109:110], v[71:72]
	v_add_f64 v[33:34], v[33:34], -v[69:70]
	v_fma_f64 v[109:110], v[111:112], v[125:126], v[109:110]
	v_add_f64 v[35:36], v[35:36], -v[109:110]
	ds_read2_b64 v[109:112], v106 offset0:50 offset1:51
	s_waitcnt lgkmcnt(0)
	v_mul_f64 v[69:70], v[111:112], v[71:72]
	v_fma_f64 v[69:70], v[109:110], v[125:126], -v[69:70]
	v_mul_f64 v[109:110], v[109:110], v[71:72]
	v_add_f64 v[29:30], v[29:30], -v[69:70]
	v_fma_f64 v[109:110], v[111:112], v[125:126], v[109:110]
	v_add_f64 v[31:32], v[31:32], -v[109:110]
	ds_read2_b64 v[109:112], v106 offset0:52 offset1:53
	s_waitcnt lgkmcnt(0)
	v_mul_f64 v[69:70], v[111:112], v[71:72]
	v_fma_f64 v[69:70], v[109:110], v[125:126], -v[69:70]
	v_mul_f64 v[109:110], v[109:110], v[71:72]
	v_add_f64 v[25:26], v[25:26], -v[69:70]
	v_fma_f64 v[109:110], v[111:112], v[125:126], v[109:110]
	v_add_f64 v[27:28], v[27:28], -v[109:110]
	ds_read2_b64 v[109:112], v106 offset0:54 offset1:55
	s_waitcnt lgkmcnt(0)
	v_mul_f64 v[69:70], v[111:112], v[71:72]
	v_fma_f64 v[69:70], v[109:110], v[125:126], -v[69:70]
	v_mul_f64 v[109:110], v[109:110], v[71:72]
	v_add_f64 v[21:22], v[21:22], -v[69:70]
	v_fma_f64 v[109:110], v[111:112], v[125:126], v[109:110]
	v_add_f64 v[23:24], v[23:24], -v[109:110]
	ds_read2_b64 v[109:112], v106 offset0:56 offset1:57
	s_waitcnt lgkmcnt(0)
	v_mul_f64 v[69:70], v[111:112], v[71:72]
	v_fma_f64 v[69:70], v[109:110], v[125:126], -v[69:70]
	v_mul_f64 v[109:110], v[109:110], v[71:72]
	v_add_f64 v[17:18], v[17:18], -v[69:70]
	v_fma_f64 v[109:110], v[111:112], v[125:126], v[109:110]
	v_add_f64 v[19:20], v[19:20], -v[109:110]
	ds_read2_b64 v[109:112], v106 offset0:58 offset1:59
	s_waitcnt lgkmcnt(0)
	v_mul_f64 v[69:70], v[111:112], v[71:72]
	v_fma_f64 v[69:70], v[109:110], v[125:126], -v[69:70]
	v_mul_f64 v[109:110], v[109:110], v[71:72]
	v_add_f64 v[13:14], v[13:14], -v[69:70]
	v_fma_f64 v[109:110], v[111:112], v[125:126], v[109:110]
	v_add_f64 v[15:16], v[15:16], -v[109:110]
	ds_read2_b64 v[109:112], v106 offset0:60 offset1:61
	s_waitcnt lgkmcnt(0)
	v_mul_f64 v[69:70], v[111:112], v[71:72]
	v_fma_f64 v[69:70], v[109:110], v[125:126], -v[69:70]
	v_mul_f64 v[109:110], v[109:110], v[71:72]
	v_add_f64 v[9:10], v[9:10], -v[69:70]
	v_fma_f64 v[109:110], v[111:112], v[125:126], v[109:110]
	v_add_f64 v[11:12], v[11:12], -v[109:110]
	ds_read2_b64 v[109:112], v106 offset0:62 offset1:63
	s_waitcnt lgkmcnt(0)
	v_mul_f64 v[69:70], v[111:112], v[71:72]
	v_fma_f64 v[69:70], v[109:110], v[125:126], -v[69:70]
	v_mul_f64 v[109:110], v[109:110], v[71:72]
	v_add_f64 v[5:6], v[5:6], -v[69:70]
	v_fma_f64 v[109:110], v[111:112], v[125:126], v[109:110]
	v_add_f64 v[7:8], v[7:8], -v[109:110]
	ds_read2_b64 v[109:112], v106 offset0:64 offset1:65
	s_waitcnt lgkmcnt(0)
	v_mul_f64 v[69:70], v[111:112], v[71:72]
	v_fma_f64 v[69:70], v[109:110], v[125:126], -v[69:70]
	v_mul_f64 v[109:110], v[109:110], v[71:72]
	v_add_f64 v[1:2], v[1:2], -v[69:70]
	v_fma_f64 v[109:110], v[111:112], v[125:126], v[109:110]
	v_add_f64 v[3:4], v[3:4], -v[109:110]
	ds_read2_b64 v[109:112], v106 offset0:66 offset1:67
	s_waitcnt lgkmcnt(0)
	v_mul_f64 v[69:70], v[111:112], v[71:72]
	v_fma_f64 v[69:70], v[109:110], v[125:126], -v[69:70]
	v_mul_f64 v[109:110], v[109:110], v[71:72]
	v_add_f64 v[93:94], v[93:94], -v[69:70]
	v_fma_f64 v[109:110], v[111:112], v[125:126], v[109:110]
	v_mov_b32_e32 v69, v125
	v_mov_b32_e32 v70, v126
	v_add_f64 v[95:96], v[95:96], -v[109:110]
.LBB66_335:
	s_or_b64 exec, exec, s[0:1]
	v_lshl_add_u32 v109, v108, 4, v106
	s_barrier
	ds_write2_b64 v109, v[65:66], v[67:68] offset1:1
	s_waitcnt lgkmcnt(0)
	s_barrier
	ds_read2_b64 v[121:124], v106 offset0:32 offset1:33
	s_cmp_lt_i32 s3, 18
	v_mov_b32_e32 v109, 16
	s_cbranch_scc1 .LBB66_338
; %bb.336:
	v_add_u32_e32 v110, 0x110, v106
	s_mov_b32 s0, 17
	v_mov_b32_e32 v109, 16
.LBB66_337:                             ; =>This Inner Loop Header: Depth=1
	s_waitcnt lgkmcnt(0)
	v_cmp_gt_f64_e32 vcc, 0, v[121:122]
	v_xor_b32_e32 v115, 0x80000000, v122
	ds_read2_b64 v[111:114], v110 offset1:1
	v_xor_b32_e32 v117, 0x80000000, v124
	v_add_u32_e32 v110, 16, v110
	s_waitcnt lgkmcnt(0)
	v_xor_b32_e32 v119, 0x80000000, v114
	v_cndmask_b32_e32 v116, v122, v115, vcc
	v_cmp_gt_f64_e32 vcc, 0, v[123:124]
	v_mov_b32_e32 v115, v121
	v_cndmask_b32_e32 v118, v124, v117, vcc
	v_cmp_gt_f64_e32 vcc, 0, v[111:112]
	v_mov_b32_e32 v117, v123
	v_add_f64 v[115:116], v[115:116], v[117:118]
	v_xor_b32_e32 v117, 0x80000000, v112
	v_cndmask_b32_e32 v118, v112, v117, vcc
	v_cmp_gt_f64_e32 vcc, 0, v[113:114]
	v_mov_b32_e32 v117, v111
	v_cndmask_b32_e32 v120, v114, v119, vcc
	v_mov_b32_e32 v119, v113
	v_add_f64 v[117:118], v[117:118], v[119:120]
	v_cmp_lt_f64_e32 vcc, v[115:116], v[117:118]
	v_cndmask_b32_e32 v121, v121, v111, vcc
	v_mov_b32_e32 v111, s0
	s_add_i32 s0, s0, 1
	v_cndmask_b32_e32 v122, v122, v112, vcc
	v_cndmask_b32_e32 v124, v124, v114, vcc
	;; [unrolled: 1-line block ×4, first 2 shown]
	s_cmp_lg_u32 s3, s0
	s_cbranch_scc1 .LBB66_337
.LBB66_338:
	s_waitcnt lgkmcnt(0)
	v_cmp_eq_f64_e32 vcc, 0, v[121:122]
	v_cmp_eq_f64_e64 s[0:1], 0, v[123:124]
	s_and_b64 s[0:1], vcc, s[0:1]
	s_and_saveexec_b64 s[18:19], s[0:1]
	s_xor_b64 s[0:1], exec, s[18:19]
; %bb.339:
	v_cmp_ne_u32_e32 vcc, 0, v107
	v_cndmask_b32_e32 v107, 17, v107, vcc
; %bb.340:
	s_andn2_saveexec_b64 s[0:1], s[0:1]
	s_cbranch_execz .LBB66_346
; %bb.341:
	v_cmp_ngt_f64_e64 s[18:19], |v[121:122]|, |v[123:124]|
	s_and_saveexec_b64 s[20:21], s[18:19]
	s_xor_b64 s[18:19], exec, s[20:21]
	s_cbranch_execz .LBB66_343
; %bb.342:
	v_div_scale_f64 v[110:111], s[20:21], v[123:124], v[123:124], v[121:122]
	v_rcp_f64_e32 v[112:113], v[110:111]
	v_fma_f64 v[114:115], -v[110:111], v[112:113], 1.0
	v_fma_f64 v[112:113], v[112:113], v[114:115], v[112:113]
	v_div_scale_f64 v[114:115], vcc, v[121:122], v[123:124], v[121:122]
	v_fma_f64 v[116:117], -v[110:111], v[112:113], 1.0
	v_fma_f64 v[112:113], v[112:113], v[116:117], v[112:113]
	v_mul_f64 v[116:117], v[114:115], v[112:113]
	v_fma_f64 v[110:111], -v[110:111], v[116:117], v[114:115]
	v_div_fmas_f64 v[110:111], v[110:111], v[112:113], v[116:117]
	v_div_fixup_f64 v[110:111], v[110:111], v[123:124], v[121:122]
	v_fma_f64 v[112:113], v[121:122], v[110:111], v[123:124]
	v_div_scale_f64 v[114:115], s[20:21], v[112:113], v[112:113], 1.0
	v_div_scale_f64 v[120:121], vcc, 1.0, v[112:113], 1.0
	v_rcp_f64_e32 v[116:117], v[114:115]
	v_fma_f64 v[118:119], -v[114:115], v[116:117], 1.0
	v_fma_f64 v[116:117], v[116:117], v[118:119], v[116:117]
	v_fma_f64 v[118:119], -v[114:115], v[116:117], 1.0
	v_fma_f64 v[116:117], v[116:117], v[118:119], v[116:117]
	v_mul_f64 v[118:119], v[120:121], v[116:117]
	v_fma_f64 v[114:115], -v[114:115], v[118:119], v[120:121]
	v_div_fmas_f64 v[114:115], v[114:115], v[116:117], v[118:119]
	v_div_fixup_f64 v[123:124], v[114:115], v[112:113], 1.0
	v_mul_f64 v[121:122], v[110:111], v[123:124]
	v_xor_b32_e32 v124, 0x80000000, v124
.LBB66_343:
	s_andn2_saveexec_b64 s[18:19], s[18:19]
	s_cbranch_execz .LBB66_345
; %bb.344:
	v_div_scale_f64 v[110:111], s[20:21], v[121:122], v[121:122], v[123:124]
	v_rcp_f64_e32 v[112:113], v[110:111]
	v_fma_f64 v[114:115], -v[110:111], v[112:113], 1.0
	v_fma_f64 v[112:113], v[112:113], v[114:115], v[112:113]
	v_div_scale_f64 v[114:115], vcc, v[123:124], v[121:122], v[123:124]
	v_fma_f64 v[116:117], -v[110:111], v[112:113], 1.0
	v_fma_f64 v[112:113], v[112:113], v[116:117], v[112:113]
	v_mul_f64 v[116:117], v[114:115], v[112:113]
	v_fma_f64 v[110:111], -v[110:111], v[116:117], v[114:115]
	v_div_fmas_f64 v[110:111], v[110:111], v[112:113], v[116:117]
	v_div_fixup_f64 v[110:111], v[110:111], v[121:122], v[123:124]
	v_fma_f64 v[112:113], v[123:124], v[110:111], v[121:122]
	v_div_scale_f64 v[114:115], s[20:21], v[112:113], v[112:113], 1.0
	v_div_scale_f64 v[120:121], vcc, 1.0, v[112:113], 1.0
	v_rcp_f64_e32 v[116:117], v[114:115]
	v_fma_f64 v[118:119], -v[114:115], v[116:117], 1.0
	v_fma_f64 v[116:117], v[116:117], v[118:119], v[116:117]
	v_fma_f64 v[118:119], -v[114:115], v[116:117], 1.0
	v_fma_f64 v[116:117], v[116:117], v[118:119], v[116:117]
	v_mul_f64 v[118:119], v[120:121], v[116:117]
	v_fma_f64 v[114:115], -v[114:115], v[118:119], v[120:121]
	v_div_fmas_f64 v[114:115], v[114:115], v[116:117], v[118:119]
	v_div_fixup_f64 v[121:122], v[114:115], v[112:113], 1.0
	v_mul_f64 v[123:124], v[110:111], -v[121:122]
.LBB66_345:
	s_or_b64 exec, exec, s[18:19]
.LBB66_346:
	s_or_b64 exec, exec, s[0:1]
	v_cmp_ne_u32_e32 vcc, v108, v109
	s_and_saveexec_b64 s[0:1], vcc
	s_xor_b64 s[0:1], exec, s[0:1]
	s_cbranch_execz .LBB66_352
; %bb.347:
	v_cmp_eq_u32_e32 vcc, 16, v108
	s_and_saveexec_b64 s[18:19], vcc
	s_cbranch_execz .LBB66_351
; %bb.348:
	v_cmp_ne_u32_e32 vcc, 16, v109
	s_xor_b64 s[20:21], s[6:7], -1
	s_and_b64 s[22:23], s[20:21], vcc
	s_and_saveexec_b64 s[20:21], s[22:23]
	s_cbranch_execz .LBB66_350
; %bb.349:
	buffer_load_dword v112, off, s[24:27], 0 offset:96 ; 4-byte Folded Reload
	buffer_load_dword v113, off, s[24:27], 0 offset:100 ; 4-byte Folded Reload
	v_ashrrev_i32_e32 v110, 31, v109
	v_lshlrev_b64 v[110:111], 2, v[109:110]
	s_waitcnt vmcnt(1)
	v_add_co_u32_e32 v110, vcc, v112, v110
	s_waitcnt vmcnt(0)
	v_addc_co_u32_e32 v111, vcc, v113, v111, vcc
	global_load_dword v0, v[110:111], off
	global_load_dword v108, v[112:113], off offset:64
	s_waitcnt vmcnt(1)
	global_store_dword v[112:113], v0, off offset:64
	s_waitcnt vmcnt(1)
	global_store_dword v[110:111], v108, off
.LBB66_350:
	s_or_b64 exec, exec, s[20:21]
	v_mov_b32_e32 v108, v109
	v_mov_b32_e32 v0, v109
.LBB66_351:
	s_or_b64 exec, exec, s[18:19]
.LBB66_352:
	s_andn2_saveexec_b64 s[0:1], s[0:1]
	s_cbranch_execz .LBB66_354
; %bb.353:
	v_mov_b32_e32 v108, 16
	ds_write2_b64 v106, v[61:62], v[63:64] offset0:34 offset1:35
	ds_write2_b64 v106, v[57:58], v[59:60] offset0:36 offset1:37
	ds_write2_b64 v106, v[53:54], v[55:56] offset0:38 offset1:39
	ds_write2_b64 v106, v[49:50], v[51:52] offset0:40 offset1:41
	ds_write2_b64 v106, v[45:46], v[47:48] offset0:42 offset1:43
	ds_write2_b64 v106, v[41:42], v[43:44] offset0:44 offset1:45
	ds_write2_b64 v106, v[37:38], v[39:40] offset0:46 offset1:47
	ds_write2_b64 v106, v[33:34], v[35:36] offset0:48 offset1:49
	ds_write2_b64 v106, v[29:30], v[31:32] offset0:50 offset1:51
	ds_write2_b64 v106, v[25:26], v[27:28] offset0:52 offset1:53
	ds_write2_b64 v106, v[21:22], v[23:24] offset0:54 offset1:55
	ds_write2_b64 v106, v[17:18], v[19:20] offset0:56 offset1:57
	ds_write2_b64 v106, v[13:14], v[15:16] offset0:58 offset1:59
	ds_write2_b64 v106, v[9:10], v[11:12] offset0:60 offset1:61
	ds_write2_b64 v106, v[5:6], v[7:8] offset0:62 offset1:63
	ds_write2_b64 v106, v[1:2], v[3:4] offset0:64 offset1:65
	ds_write2_b64 v106, v[93:94], v[95:96] offset0:66 offset1:67
.LBB66_354:
	s_or_b64 exec, exec, s[0:1]
	v_cmp_lt_i32_e32 vcc, 16, v108
	s_waitcnt vmcnt(0) lgkmcnt(0)
	s_barrier
	s_and_saveexec_b64 s[0:1], vcc
	s_cbranch_execz .LBB66_356
; %bb.355:
	v_mul_f64 v[109:110], v[123:124], v[67:68]
	v_mul_f64 v[67:68], v[121:122], v[67:68]
	v_fma_f64 v[125:126], v[121:122], v[65:66], -v[109:110]
	v_fma_f64 v[67:68], v[123:124], v[65:66], v[67:68]
	ds_read2_b64 v[109:112], v106 offset0:34 offset1:35
	s_waitcnt lgkmcnt(0)
	v_mul_f64 v[65:66], v[111:112], v[67:68]
	v_fma_f64 v[65:66], v[109:110], v[125:126], -v[65:66]
	v_mul_f64 v[109:110], v[109:110], v[67:68]
	v_add_f64 v[61:62], v[61:62], -v[65:66]
	v_fma_f64 v[109:110], v[111:112], v[125:126], v[109:110]
	v_add_f64 v[63:64], v[63:64], -v[109:110]
	ds_read2_b64 v[109:112], v106 offset0:36 offset1:37
	s_waitcnt lgkmcnt(0)
	v_mul_f64 v[65:66], v[111:112], v[67:68]
	v_fma_f64 v[65:66], v[109:110], v[125:126], -v[65:66]
	v_mul_f64 v[109:110], v[109:110], v[67:68]
	v_add_f64 v[57:58], v[57:58], -v[65:66]
	v_fma_f64 v[109:110], v[111:112], v[125:126], v[109:110]
	v_add_f64 v[59:60], v[59:60], -v[109:110]
	;; [unrolled: 8-line block ×16, first 2 shown]
	ds_read2_b64 v[109:112], v106 offset0:66 offset1:67
	s_waitcnt lgkmcnt(0)
	v_mul_f64 v[65:66], v[111:112], v[67:68]
	v_fma_f64 v[65:66], v[109:110], v[125:126], -v[65:66]
	v_mul_f64 v[109:110], v[109:110], v[67:68]
	v_add_f64 v[93:94], v[93:94], -v[65:66]
	v_fma_f64 v[109:110], v[111:112], v[125:126], v[109:110]
	v_mov_b32_e32 v65, v125
	v_mov_b32_e32 v66, v126
	v_add_f64 v[95:96], v[95:96], -v[109:110]
.LBB66_356:
	s_or_b64 exec, exec, s[0:1]
	v_lshl_add_u32 v109, v108, 4, v106
	s_barrier
	ds_write2_b64 v109, v[61:62], v[63:64] offset1:1
	s_waitcnt lgkmcnt(0)
	s_barrier
	ds_read2_b64 v[121:124], v106 offset0:34 offset1:35
	s_cmp_lt_i32 s3, 19
	v_mov_b32_e32 v109, 17
	s_cbranch_scc1 .LBB66_359
; %bb.357:
	v_add_u32_e32 v110, 0x120, v106
	s_mov_b32 s0, 18
	v_mov_b32_e32 v109, 17
.LBB66_358:                             ; =>This Inner Loop Header: Depth=1
	s_waitcnt lgkmcnt(0)
	v_cmp_gt_f64_e32 vcc, 0, v[121:122]
	v_xor_b32_e32 v115, 0x80000000, v122
	ds_read2_b64 v[111:114], v110 offset1:1
	v_xor_b32_e32 v117, 0x80000000, v124
	v_add_u32_e32 v110, 16, v110
	s_waitcnt lgkmcnt(0)
	v_xor_b32_e32 v119, 0x80000000, v114
	v_cndmask_b32_e32 v116, v122, v115, vcc
	v_cmp_gt_f64_e32 vcc, 0, v[123:124]
	v_mov_b32_e32 v115, v121
	v_cndmask_b32_e32 v118, v124, v117, vcc
	v_cmp_gt_f64_e32 vcc, 0, v[111:112]
	v_mov_b32_e32 v117, v123
	v_add_f64 v[115:116], v[115:116], v[117:118]
	v_xor_b32_e32 v117, 0x80000000, v112
	v_cndmask_b32_e32 v118, v112, v117, vcc
	v_cmp_gt_f64_e32 vcc, 0, v[113:114]
	v_mov_b32_e32 v117, v111
	v_cndmask_b32_e32 v120, v114, v119, vcc
	v_mov_b32_e32 v119, v113
	v_add_f64 v[117:118], v[117:118], v[119:120]
	v_cmp_lt_f64_e32 vcc, v[115:116], v[117:118]
	v_cndmask_b32_e32 v121, v121, v111, vcc
	v_mov_b32_e32 v111, s0
	s_add_i32 s0, s0, 1
	v_cndmask_b32_e32 v122, v122, v112, vcc
	v_cndmask_b32_e32 v124, v124, v114, vcc
	;; [unrolled: 1-line block ×4, first 2 shown]
	s_cmp_lg_u32 s3, s0
	s_cbranch_scc1 .LBB66_358
.LBB66_359:
	s_waitcnt lgkmcnt(0)
	v_cmp_eq_f64_e32 vcc, 0, v[121:122]
	v_cmp_eq_f64_e64 s[0:1], 0, v[123:124]
	s_and_b64 s[0:1], vcc, s[0:1]
	s_and_saveexec_b64 s[18:19], s[0:1]
	s_xor_b64 s[0:1], exec, s[18:19]
; %bb.360:
	v_cmp_ne_u32_e32 vcc, 0, v107
	v_cndmask_b32_e32 v107, 18, v107, vcc
; %bb.361:
	s_andn2_saveexec_b64 s[0:1], s[0:1]
	s_cbranch_execz .LBB66_367
; %bb.362:
	v_cmp_ngt_f64_e64 s[18:19], |v[121:122]|, |v[123:124]|
	s_and_saveexec_b64 s[20:21], s[18:19]
	s_xor_b64 s[18:19], exec, s[20:21]
	s_cbranch_execz .LBB66_364
; %bb.363:
	v_div_scale_f64 v[110:111], s[20:21], v[123:124], v[123:124], v[121:122]
	v_rcp_f64_e32 v[112:113], v[110:111]
	v_fma_f64 v[114:115], -v[110:111], v[112:113], 1.0
	v_fma_f64 v[112:113], v[112:113], v[114:115], v[112:113]
	v_div_scale_f64 v[114:115], vcc, v[121:122], v[123:124], v[121:122]
	v_fma_f64 v[116:117], -v[110:111], v[112:113], 1.0
	v_fma_f64 v[112:113], v[112:113], v[116:117], v[112:113]
	v_mul_f64 v[116:117], v[114:115], v[112:113]
	v_fma_f64 v[110:111], -v[110:111], v[116:117], v[114:115]
	v_div_fmas_f64 v[110:111], v[110:111], v[112:113], v[116:117]
	v_div_fixup_f64 v[110:111], v[110:111], v[123:124], v[121:122]
	v_fma_f64 v[112:113], v[121:122], v[110:111], v[123:124]
	v_div_scale_f64 v[114:115], s[20:21], v[112:113], v[112:113], 1.0
	v_div_scale_f64 v[120:121], vcc, 1.0, v[112:113], 1.0
	v_rcp_f64_e32 v[116:117], v[114:115]
	v_fma_f64 v[118:119], -v[114:115], v[116:117], 1.0
	v_fma_f64 v[116:117], v[116:117], v[118:119], v[116:117]
	v_fma_f64 v[118:119], -v[114:115], v[116:117], 1.0
	v_fma_f64 v[116:117], v[116:117], v[118:119], v[116:117]
	v_mul_f64 v[118:119], v[120:121], v[116:117]
	v_fma_f64 v[114:115], -v[114:115], v[118:119], v[120:121]
	v_div_fmas_f64 v[114:115], v[114:115], v[116:117], v[118:119]
	v_div_fixup_f64 v[123:124], v[114:115], v[112:113], 1.0
	v_mul_f64 v[121:122], v[110:111], v[123:124]
	v_xor_b32_e32 v124, 0x80000000, v124
.LBB66_364:
	s_andn2_saveexec_b64 s[18:19], s[18:19]
	s_cbranch_execz .LBB66_366
; %bb.365:
	v_div_scale_f64 v[110:111], s[20:21], v[121:122], v[121:122], v[123:124]
	v_rcp_f64_e32 v[112:113], v[110:111]
	v_fma_f64 v[114:115], -v[110:111], v[112:113], 1.0
	v_fma_f64 v[112:113], v[112:113], v[114:115], v[112:113]
	v_div_scale_f64 v[114:115], vcc, v[123:124], v[121:122], v[123:124]
	v_fma_f64 v[116:117], -v[110:111], v[112:113], 1.0
	v_fma_f64 v[112:113], v[112:113], v[116:117], v[112:113]
	v_mul_f64 v[116:117], v[114:115], v[112:113]
	v_fma_f64 v[110:111], -v[110:111], v[116:117], v[114:115]
	v_div_fmas_f64 v[110:111], v[110:111], v[112:113], v[116:117]
	v_div_fixup_f64 v[110:111], v[110:111], v[121:122], v[123:124]
	v_fma_f64 v[112:113], v[123:124], v[110:111], v[121:122]
	v_div_scale_f64 v[114:115], s[20:21], v[112:113], v[112:113], 1.0
	v_div_scale_f64 v[120:121], vcc, 1.0, v[112:113], 1.0
	v_rcp_f64_e32 v[116:117], v[114:115]
	v_fma_f64 v[118:119], -v[114:115], v[116:117], 1.0
	v_fma_f64 v[116:117], v[116:117], v[118:119], v[116:117]
	v_fma_f64 v[118:119], -v[114:115], v[116:117], 1.0
	v_fma_f64 v[116:117], v[116:117], v[118:119], v[116:117]
	v_mul_f64 v[118:119], v[120:121], v[116:117]
	v_fma_f64 v[114:115], -v[114:115], v[118:119], v[120:121]
	v_div_fmas_f64 v[114:115], v[114:115], v[116:117], v[118:119]
	v_div_fixup_f64 v[121:122], v[114:115], v[112:113], 1.0
	v_mul_f64 v[123:124], v[110:111], -v[121:122]
.LBB66_366:
	s_or_b64 exec, exec, s[18:19]
.LBB66_367:
	s_or_b64 exec, exec, s[0:1]
	v_cmp_ne_u32_e32 vcc, v108, v109
	s_and_saveexec_b64 s[0:1], vcc
	s_xor_b64 s[0:1], exec, s[0:1]
	s_cbranch_execz .LBB66_373
; %bb.368:
	v_cmp_eq_u32_e32 vcc, 17, v108
	s_and_saveexec_b64 s[18:19], vcc
	s_cbranch_execz .LBB66_372
; %bb.369:
	v_cmp_ne_u32_e32 vcc, 17, v109
	s_xor_b64 s[20:21], s[6:7], -1
	s_and_b64 s[22:23], s[20:21], vcc
	s_and_saveexec_b64 s[20:21], s[22:23]
	s_cbranch_execz .LBB66_371
; %bb.370:
	buffer_load_dword v112, off, s[24:27], 0 offset:96 ; 4-byte Folded Reload
	buffer_load_dword v113, off, s[24:27], 0 offset:100 ; 4-byte Folded Reload
	v_ashrrev_i32_e32 v110, 31, v109
	v_lshlrev_b64 v[110:111], 2, v[109:110]
	s_waitcnt vmcnt(1)
	v_add_co_u32_e32 v110, vcc, v112, v110
	s_waitcnt vmcnt(0)
	v_addc_co_u32_e32 v111, vcc, v113, v111, vcc
	global_load_dword v0, v[110:111], off
	global_load_dword v108, v[112:113], off offset:68
	s_waitcnt vmcnt(1)
	global_store_dword v[112:113], v0, off offset:68
	s_waitcnt vmcnt(1)
	global_store_dword v[110:111], v108, off
.LBB66_371:
	s_or_b64 exec, exec, s[20:21]
	v_mov_b32_e32 v108, v109
	v_mov_b32_e32 v0, v109
.LBB66_372:
	s_or_b64 exec, exec, s[18:19]
.LBB66_373:
	s_andn2_saveexec_b64 s[0:1], s[0:1]
	s_cbranch_execz .LBB66_375
; %bb.374:
	v_mov_b32_e32 v108, 17
	ds_write2_b64 v106, v[57:58], v[59:60] offset0:36 offset1:37
	ds_write2_b64 v106, v[53:54], v[55:56] offset0:38 offset1:39
	;; [unrolled: 1-line block ×16, first 2 shown]
.LBB66_375:
	s_or_b64 exec, exec, s[0:1]
	v_cmp_lt_i32_e32 vcc, 17, v108
	s_waitcnt vmcnt(0) lgkmcnt(0)
	s_barrier
	s_and_saveexec_b64 s[0:1], vcc
	s_cbranch_execz .LBB66_377
; %bb.376:
	v_mul_f64 v[109:110], v[121:122], v[63:64]
	v_mul_f64 v[63:64], v[123:124], v[63:64]
	v_fma_f64 v[117:118], v[123:124], v[61:62], v[109:110]
	ds_read2_b64 v[109:112], v106 offset0:36 offset1:37
	v_fma_f64 v[61:62], v[121:122], v[61:62], -v[63:64]
	s_waitcnt lgkmcnt(0)
	v_mul_f64 v[63:64], v[111:112], v[117:118]
	v_fma_f64 v[63:64], v[109:110], v[61:62], -v[63:64]
	v_mul_f64 v[109:110], v[109:110], v[117:118]
	v_add_f64 v[57:58], v[57:58], -v[63:64]
	v_fma_f64 v[109:110], v[111:112], v[61:62], v[109:110]
	v_add_f64 v[59:60], v[59:60], -v[109:110]
	ds_read2_b64 v[109:112], v106 offset0:38 offset1:39
	s_waitcnt lgkmcnt(0)
	v_mul_f64 v[63:64], v[111:112], v[117:118]
	v_fma_f64 v[63:64], v[109:110], v[61:62], -v[63:64]
	v_mul_f64 v[109:110], v[109:110], v[117:118]
	v_add_f64 v[53:54], v[53:54], -v[63:64]
	v_fma_f64 v[109:110], v[111:112], v[61:62], v[109:110]
	v_add_f64 v[55:56], v[55:56], -v[109:110]
	ds_read2_b64 v[109:112], v106 offset0:40 offset1:41
	;; [unrolled: 8-line block ×15, first 2 shown]
	s_waitcnt lgkmcnt(0)
	v_mul_f64 v[63:64], v[111:112], v[117:118]
	v_fma_f64 v[63:64], v[109:110], v[61:62], -v[63:64]
	v_mul_f64 v[109:110], v[109:110], v[117:118]
	v_add_f64 v[93:94], v[93:94], -v[63:64]
	v_fma_f64 v[109:110], v[111:112], v[61:62], v[109:110]
	v_mov_b32_e32 v63, v117
	v_mov_b32_e32 v64, v118
	v_add_f64 v[95:96], v[95:96], -v[109:110]
.LBB66_377:
	s_or_b64 exec, exec, s[0:1]
	v_lshl_add_u32 v109, v108, 4, v106
	s_barrier
	ds_write2_b64 v109, v[57:58], v[59:60] offset1:1
	s_waitcnt lgkmcnt(0)
	s_barrier
	ds_read2_b64 v[121:124], v106 offset0:36 offset1:37
	s_cmp_lt_i32 s3, 20
	v_mov_b32_e32 v109, 18
	s_cbranch_scc1 .LBB66_380
; %bb.378:
	v_add_u32_e32 v110, 0x130, v106
	s_mov_b32 s0, 19
	v_mov_b32_e32 v109, 18
.LBB66_379:                             ; =>This Inner Loop Header: Depth=1
	s_waitcnt lgkmcnt(0)
	v_cmp_gt_f64_e32 vcc, 0, v[121:122]
	v_xor_b32_e32 v115, 0x80000000, v122
	ds_read2_b64 v[111:114], v110 offset1:1
	v_xor_b32_e32 v117, 0x80000000, v124
	v_add_u32_e32 v110, 16, v110
	s_waitcnt lgkmcnt(0)
	v_xor_b32_e32 v119, 0x80000000, v114
	v_cndmask_b32_e32 v116, v122, v115, vcc
	v_cmp_gt_f64_e32 vcc, 0, v[123:124]
	v_mov_b32_e32 v115, v121
	v_cndmask_b32_e32 v118, v124, v117, vcc
	v_cmp_gt_f64_e32 vcc, 0, v[111:112]
	v_mov_b32_e32 v117, v123
	v_add_f64 v[115:116], v[115:116], v[117:118]
	v_xor_b32_e32 v117, 0x80000000, v112
	v_cndmask_b32_e32 v118, v112, v117, vcc
	v_cmp_gt_f64_e32 vcc, 0, v[113:114]
	v_mov_b32_e32 v117, v111
	v_cndmask_b32_e32 v120, v114, v119, vcc
	v_mov_b32_e32 v119, v113
	v_add_f64 v[117:118], v[117:118], v[119:120]
	v_cmp_lt_f64_e32 vcc, v[115:116], v[117:118]
	v_cndmask_b32_e32 v121, v121, v111, vcc
	v_mov_b32_e32 v111, s0
	s_add_i32 s0, s0, 1
	v_cndmask_b32_e32 v122, v122, v112, vcc
	v_cndmask_b32_e32 v124, v124, v114, vcc
	;; [unrolled: 1-line block ×4, first 2 shown]
	s_cmp_lg_u32 s3, s0
	s_cbranch_scc1 .LBB66_379
.LBB66_380:
	s_waitcnt lgkmcnt(0)
	v_cmp_eq_f64_e32 vcc, 0, v[121:122]
	v_cmp_eq_f64_e64 s[0:1], 0, v[123:124]
	s_and_b64 s[0:1], vcc, s[0:1]
	s_and_saveexec_b64 s[18:19], s[0:1]
	s_xor_b64 s[0:1], exec, s[18:19]
; %bb.381:
	v_cmp_ne_u32_e32 vcc, 0, v107
	v_cndmask_b32_e32 v107, 19, v107, vcc
; %bb.382:
	s_andn2_saveexec_b64 s[0:1], s[0:1]
	s_cbranch_execz .LBB66_388
; %bb.383:
	v_cmp_ngt_f64_e64 s[18:19], |v[121:122]|, |v[123:124]|
	s_and_saveexec_b64 s[20:21], s[18:19]
	s_xor_b64 s[18:19], exec, s[20:21]
	s_cbranch_execz .LBB66_385
; %bb.384:
	v_div_scale_f64 v[110:111], s[20:21], v[123:124], v[123:124], v[121:122]
	v_rcp_f64_e32 v[112:113], v[110:111]
	v_fma_f64 v[114:115], -v[110:111], v[112:113], 1.0
	v_fma_f64 v[112:113], v[112:113], v[114:115], v[112:113]
	v_div_scale_f64 v[114:115], vcc, v[121:122], v[123:124], v[121:122]
	v_fma_f64 v[116:117], -v[110:111], v[112:113], 1.0
	v_fma_f64 v[112:113], v[112:113], v[116:117], v[112:113]
	v_mul_f64 v[116:117], v[114:115], v[112:113]
	v_fma_f64 v[110:111], -v[110:111], v[116:117], v[114:115]
	v_div_fmas_f64 v[110:111], v[110:111], v[112:113], v[116:117]
	v_div_fixup_f64 v[110:111], v[110:111], v[123:124], v[121:122]
	v_fma_f64 v[112:113], v[121:122], v[110:111], v[123:124]
	v_div_scale_f64 v[114:115], s[20:21], v[112:113], v[112:113], 1.0
	v_div_scale_f64 v[120:121], vcc, 1.0, v[112:113], 1.0
	v_rcp_f64_e32 v[116:117], v[114:115]
	v_fma_f64 v[118:119], -v[114:115], v[116:117], 1.0
	v_fma_f64 v[116:117], v[116:117], v[118:119], v[116:117]
	v_fma_f64 v[118:119], -v[114:115], v[116:117], 1.0
	v_fma_f64 v[116:117], v[116:117], v[118:119], v[116:117]
	v_mul_f64 v[118:119], v[120:121], v[116:117]
	v_fma_f64 v[114:115], -v[114:115], v[118:119], v[120:121]
	v_div_fmas_f64 v[114:115], v[114:115], v[116:117], v[118:119]
	v_div_fixup_f64 v[123:124], v[114:115], v[112:113], 1.0
	v_mul_f64 v[121:122], v[110:111], v[123:124]
	v_xor_b32_e32 v124, 0x80000000, v124
.LBB66_385:
	s_andn2_saveexec_b64 s[18:19], s[18:19]
	s_cbranch_execz .LBB66_387
; %bb.386:
	v_div_scale_f64 v[110:111], s[20:21], v[121:122], v[121:122], v[123:124]
	v_rcp_f64_e32 v[112:113], v[110:111]
	v_fma_f64 v[114:115], -v[110:111], v[112:113], 1.0
	v_fma_f64 v[112:113], v[112:113], v[114:115], v[112:113]
	v_div_scale_f64 v[114:115], vcc, v[123:124], v[121:122], v[123:124]
	v_fma_f64 v[116:117], -v[110:111], v[112:113], 1.0
	v_fma_f64 v[112:113], v[112:113], v[116:117], v[112:113]
	v_mul_f64 v[116:117], v[114:115], v[112:113]
	v_fma_f64 v[110:111], -v[110:111], v[116:117], v[114:115]
	v_div_fmas_f64 v[110:111], v[110:111], v[112:113], v[116:117]
	v_div_fixup_f64 v[110:111], v[110:111], v[121:122], v[123:124]
	v_fma_f64 v[112:113], v[123:124], v[110:111], v[121:122]
	v_div_scale_f64 v[114:115], s[20:21], v[112:113], v[112:113], 1.0
	v_div_scale_f64 v[120:121], vcc, 1.0, v[112:113], 1.0
	v_rcp_f64_e32 v[116:117], v[114:115]
	v_fma_f64 v[118:119], -v[114:115], v[116:117], 1.0
	v_fma_f64 v[116:117], v[116:117], v[118:119], v[116:117]
	v_fma_f64 v[118:119], -v[114:115], v[116:117], 1.0
	v_fma_f64 v[116:117], v[116:117], v[118:119], v[116:117]
	v_mul_f64 v[118:119], v[120:121], v[116:117]
	v_fma_f64 v[114:115], -v[114:115], v[118:119], v[120:121]
	v_div_fmas_f64 v[114:115], v[114:115], v[116:117], v[118:119]
	v_div_fixup_f64 v[121:122], v[114:115], v[112:113], 1.0
	v_mul_f64 v[123:124], v[110:111], -v[121:122]
.LBB66_387:
	s_or_b64 exec, exec, s[18:19]
.LBB66_388:
	s_or_b64 exec, exec, s[0:1]
	v_cmp_ne_u32_e32 vcc, v108, v109
	s_and_saveexec_b64 s[0:1], vcc
	s_xor_b64 s[0:1], exec, s[0:1]
	s_cbranch_execz .LBB66_394
; %bb.389:
	v_cmp_eq_u32_e32 vcc, 18, v108
	s_and_saveexec_b64 s[18:19], vcc
	s_cbranch_execz .LBB66_393
; %bb.390:
	v_cmp_ne_u32_e32 vcc, 18, v109
	s_xor_b64 s[20:21], s[6:7], -1
	s_and_b64 s[22:23], s[20:21], vcc
	s_and_saveexec_b64 s[20:21], s[22:23]
	s_cbranch_execz .LBB66_392
; %bb.391:
	buffer_load_dword v112, off, s[24:27], 0 offset:96 ; 4-byte Folded Reload
	buffer_load_dword v113, off, s[24:27], 0 offset:100 ; 4-byte Folded Reload
	v_ashrrev_i32_e32 v110, 31, v109
	v_lshlrev_b64 v[110:111], 2, v[109:110]
	s_waitcnt vmcnt(1)
	v_add_co_u32_e32 v110, vcc, v112, v110
	s_waitcnt vmcnt(0)
	v_addc_co_u32_e32 v111, vcc, v113, v111, vcc
	global_load_dword v0, v[110:111], off
	global_load_dword v108, v[112:113], off offset:72
	s_waitcnt vmcnt(1)
	global_store_dword v[112:113], v0, off offset:72
	s_waitcnt vmcnt(1)
	global_store_dword v[110:111], v108, off
.LBB66_392:
	s_or_b64 exec, exec, s[20:21]
	v_mov_b32_e32 v108, v109
	v_mov_b32_e32 v0, v109
.LBB66_393:
	s_or_b64 exec, exec, s[18:19]
.LBB66_394:
	s_andn2_saveexec_b64 s[0:1], s[0:1]
	s_cbranch_execz .LBB66_396
; %bb.395:
	v_mov_b32_e32 v108, 18
	ds_write2_b64 v106, v[53:54], v[55:56] offset0:38 offset1:39
	ds_write2_b64 v106, v[49:50], v[51:52] offset0:40 offset1:41
	;; [unrolled: 1-line block ×15, first 2 shown]
.LBB66_396:
	s_or_b64 exec, exec, s[0:1]
	v_cmp_lt_i32_e32 vcc, 18, v108
	s_waitcnt vmcnt(0) lgkmcnt(0)
	s_barrier
	s_and_saveexec_b64 s[0:1], vcc
	s_cbranch_execz .LBB66_398
; %bb.397:
	v_mul_f64 v[109:110], v[121:122], v[59:60]
	v_mul_f64 v[59:60], v[123:124], v[59:60]
	ds_read2_b64 v[111:114], v106 offset0:38 offset1:39
	v_fma_f64 v[109:110], v[123:124], v[57:58], v[109:110]
	v_fma_f64 v[57:58], v[121:122], v[57:58], -v[59:60]
	s_waitcnt lgkmcnt(0)
	v_mul_f64 v[59:60], v[113:114], v[109:110]
	v_fma_f64 v[59:60], v[111:112], v[57:58], -v[59:60]
	v_mul_f64 v[111:112], v[111:112], v[109:110]
	v_add_f64 v[53:54], v[53:54], -v[59:60]
	v_fma_f64 v[111:112], v[113:114], v[57:58], v[111:112]
	v_add_f64 v[55:56], v[55:56], -v[111:112]
	ds_read2_b64 v[111:114], v106 offset0:40 offset1:41
	s_waitcnt lgkmcnt(0)
	v_mul_f64 v[59:60], v[113:114], v[109:110]
	v_fma_f64 v[59:60], v[111:112], v[57:58], -v[59:60]
	v_mul_f64 v[111:112], v[111:112], v[109:110]
	v_add_f64 v[49:50], v[49:50], -v[59:60]
	v_fma_f64 v[111:112], v[113:114], v[57:58], v[111:112]
	v_add_f64 v[51:52], v[51:52], -v[111:112]
	ds_read2_b64 v[111:114], v106 offset0:42 offset1:43
	;; [unrolled: 8-line block ×14, first 2 shown]
	s_waitcnt lgkmcnt(0)
	v_mul_f64 v[59:60], v[113:114], v[109:110]
	v_fma_f64 v[59:60], v[111:112], v[57:58], -v[59:60]
	v_mul_f64 v[111:112], v[111:112], v[109:110]
	v_add_f64 v[93:94], v[93:94], -v[59:60]
	v_fma_f64 v[111:112], v[113:114], v[57:58], v[111:112]
	v_mov_b32_e32 v59, v109
	v_mov_b32_e32 v60, v110
	v_add_f64 v[95:96], v[95:96], -v[111:112]
.LBB66_398:
	s_or_b64 exec, exec, s[0:1]
	v_lshl_add_u32 v109, v108, 4, v106
	s_barrier
	ds_write2_b64 v109, v[53:54], v[55:56] offset1:1
	s_waitcnt lgkmcnt(0)
	s_barrier
	ds_read2_b64 v[121:124], v106 offset0:38 offset1:39
	s_cmp_lt_i32 s3, 21
	v_mov_b32_e32 v109, 19
	s_cbranch_scc1 .LBB66_401
; %bb.399:
	v_add_u32_e32 v110, 0x140, v106
	s_mov_b32 s0, 20
	v_mov_b32_e32 v109, 19
.LBB66_400:                             ; =>This Inner Loop Header: Depth=1
	s_waitcnt lgkmcnt(0)
	v_cmp_gt_f64_e32 vcc, 0, v[121:122]
	v_xor_b32_e32 v115, 0x80000000, v122
	ds_read2_b64 v[111:114], v110 offset1:1
	v_xor_b32_e32 v117, 0x80000000, v124
	v_add_u32_e32 v110, 16, v110
	s_waitcnt lgkmcnt(0)
	v_xor_b32_e32 v119, 0x80000000, v114
	v_cndmask_b32_e32 v116, v122, v115, vcc
	v_cmp_gt_f64_e32 vcc, 0, v[123:124]
	v_mov_b32_e32 v115, v121
	v_cndmask_b32_e32 v118, v124, v117, vcc
	v_cmp_gt_f64_e32 vcc, 0, v[111:112]
	v_mov_b32_e32 v117, v123
	v_add_f64 v[115:116], v[115:116], v[117:118]
	v_xor_b32_e32 v117, 0x80000000, v112
	v_cndmask_b32_e32 v118, v112, v117, vcc
	v_cmp_gt_f64_e32 vcc, 0, v[113:114]
	v_mov_b32_e32 v117, v111
	v_cndmask_b32_e32 v120, v114, v119, vcc
	v_mov_b32_e32 v119, v113
	v_add_f64 v[117:118], v[117:118], v[119:120]
	v_cmp_lt_f64_e32 vcc, v[115:116], v[117:118]
	v_cndmask_b32_e32 v121, v121, v111, vcc
	v_mov_b32_e32 v111, s0
	s_add_i32 s0, s0, 1
	v_cndmask_b32_e32 v122, v122, v112, vcc
	v_cndmask_b32_e32 v124, v124, v114, vcc
	;; [unrolled: 1-line block ×4, first 2 shown]
	s_cmp_lg_u32 s3, s0
	s_cbranch_scc1 .LBB66_400
.LBB66_401:
	s_waitcnt lgkmcnt(0)
	v_cmp_eq_f64_e32 vcc, 0, v[121:122]
	v_cmp_eq_f64_e64 s[0:1], 0, v[123:124]
	s_and_b64 s[0:1], vcc, s[0:1]
	s_and_saveexec_b64 s[18:19], s[0:1]
	s_xor_b64 s[0:1], exec, s[18:19]
; %bb.402:
	v_cmp_ne_u32_e32 vcc, 0, v107
	v_cndmask_b32_e32 v107, 20, v107, vcc
; %bb.403:
	s_andn2_saveexec_b64 s[0:1], s[0:1]
	s_cbranch_execz .LBB66_409
; %bb.404:
	v_cmp_ngt_f64_e64 s[18:19], |v[121:122]|, |v[123:124]|
	s_and_saveexec_b64 s[20:21], s[18:19]
	s_xor_b64 s[18:19], exec, s[20:21]
	s_cbranch_execz .LBB66_406
; %bb.405:
	v_div_scale_f64 v[110:111], s[20:21], v[123:124], v[123:124], v[121:122]
	v_rcp_f64_e32 v[112:113], v[110:111]
	v_fma_f64 v[114:115], -v[110:111], v[112:113], 1.0
	v_fma_f64 v[112:113], v[112:113], v[114:115], v[112:113]
	v_div_scale_f64 v[114:115], vcc, v[121:122], v[123:124], v[121:122]
	v_fma_f64 v[116:117], -v[110:111], v[112:113], 1.0
	v_fma_f64 v[112:113], v[112:113], v[116:117], v[112:113]
	v_mul_f64 v[116:117], v[114:115], v[112:113]
	v_fma_f64 v[110:111], -v[110:111], v[116:117], v[114:115]
	v_div_fmas_f64 v[110:111], v[110:111], v[112:113], v[116:117]
	v_div_fixup_f64 v[110:111], v[110:111], v[123:124], v[121:122]
	v_fma_f64 v[112:113], v[121:122], v[110:111], v[123:124]
	v_div_scale_f64 v[114:115], s[20:21], v[112:113], v[112:113], 1.0
	v_div_scale_f64 v[120:121], vcc, 1.0, v[112:113], 1.0
	v_rcp_f64_e32 v[116:117], v[114:115]
	v_fma_f64 v[118:119], -v[114:115], v[116:117], 1.0
	v_fma_f64 v[116:117], v[116:117], v[118:119], v[116:117]
	v_fma_f64 v[118:119], -v[114:115], v[116:117], 1.0
	v_fma_f64 v[116:117], v[116:117], v[118:119], v[116:117]
	v_mul_f64 v[118:119], v[120:121], v[116:117]
	v_fma_f64 v[114:115], -v[114:115], v[118:119], v[120:121]
	v_div_fmas_f64 v[114:115], v[114:115], v[116:117], v[118:119]
	v_div_fixup_f64 v[123:124], v[114:115], v[112:113], 1.0
	v_mul_f64 v[121:122], v[110:111], v[123:124]
	v_xor_b32_e32 v124, 0x80000000, v124
.LBB66_406:
	s_andn2_saveexec_b64 s[18:19], s[18:19]
	s_cbranch_execz .LBB66_408
; %bb.407:
	v_div_scale_f64 v[110:111], s[20:21], v[121:122], v[121:122], v[123:124]
	v_rcp_f64_e32 v[112:113], v[110:111]
	v_fma_f64 v[114:115], -v[110:111], v[112:113], 1.0
	v_fma_f64 v[112:113], v[112:113], v[114:115], v[112:113]
	v_div_scale_f64 v[114:115], vcc, v[123:124], v[121:122], v[123:124]
	v_fma_f64 v[116:117], -v[110:111], v[112:113], 1.0
	v_fma_f64 v[112:113], v[112:113], v[116:117], v[112:113]
	v_mul_f64 v[116:117], v[114:115], v[112:113]
	v_fma_f64 v[110:111], -v[110:111], v[116:117], v[114:115]
	v_div_fmas_f64 v[110:111], v[110:111], v[112:113], v[116:117]
	v_div_fixup_f64 v[110:111], v[110:111], v[121:122], v[123:124]
	v_fma_f64 v[112:113], v[123:124], v[110:111], v[121:122]
	v_div_scale_f64 v[114:115], s[20:21], v[112:113], v[112:113], 1.0
	v_div_scale_f64 v[120:121], vcc, 1.0, v[112:113], 1.0
	v_rcp_f64_e32 v[116:117], v[114:115]
	v_fma_f64 v[118:119], -v[114:115], v[116:117], 1.0
	v_fma_f64 v[116:117], v[116:117], v[118:119], v[116:117]
	v_fma_f64 v[118:119], -v[114:115], v[116:117], 1.0
	v_fma_f64 v[116:117], v[116:117], v[118:119], v[116:117]
	v_mul_f64 v[118:119], v[120:121], v[116:117]
	v_fma_f64 v[114:115], -v[114:115], v[118:119], v[120:121]
	v_div_fmas_f64 v[114:115], v[114:115], v[116:117], v[118:119]
	v_div_fixup_f64 v[121:122], v[114:115], v[112:113], 1.0
	v_mul_f64 v[123:124], v[110:111], -v[121:122]
.LBB66_408:
	s_or_b64 exec, exec, s[18:19]
.LBB66_409:
	s_or_b64 exec, exec, s[0:1]
	v_cmp_ne_u32_e32 vcc, v108, v109
	s_and_saveexec_b64 s[0:1], vcc
	s_xor_b64 s[0:1], exec, s[0:1]
	s_cbranch_execz .LBB66_415
; %bb.410:
	v_cmp_eq_u32_e32 vcc, 19, v108
	s_and_saveexec_b64 s[18:19], vcc
	s_cbranch_execz .LBB66_414
; %bb.411:
	v_cmp_ne_u32_e32 vcc, 19, v109
	s_xor_b64 s[20:21], s[6:7], -1
	s_and_b64 s[22:23], s[20:21], vcc
	s_and_saveexec_b64 s[20:21], s[22:23]
	s_cbranch_execz .LBB66_413
; %bb.412:
	buffer_load_dword v112, off, s[24:27], 0 offset:96 ; 4-byte Folded Reload
	buffer_load_dword v113, off, s[24:27], 0 offset:100 ; 4-byte Folded Reload
	v_ashrrev_i32_e32 v110, 31, v109
	v_lshlrev_b64 v[110:111], 2, v[109:110]
	s_waitcnt vmcnt(1)
	v_add_co_u32_e32 v110, vcc, v112, v110
	s_waitcnt vmcnt(0)
	v_addc_co_u32_e32 v111, vcc, v113, v111, vcc
	global_load_dword v0, v[110:111], off
	global_load_dword v108, v[112:113], off offset:76
	s_waitcnt vmcnt(1)
	global_store_dword v[112:113], v0, off offset:76
	s_waitcnt vmcnt(1)
	global_store_dword v[110:111], v108, off
.LBB66_413:
	s_or_b64 exec, exec, s[20:21]
	v_mov_b32_e32 v108, v109
	v_mov_b32_e32 v0, v109
.LBB66_414:
	s_or_b64 exec, exec, s[18:19]
.LBB66_415:
	s_andn2_saveexec_b64 s[0:1], s[0:1]
	s_cbranch_execz .LBB66_417
; %bb.416:
	v_mov_b32_e32 v108, 19
	ds_write2_b64 v106, v[49:50], v[51:52] offset0:40 offset1:41
	ds_write2_b64 v106, v[45:46], v[47:48] offset0:42 offset1:43
	;; [unrolled: 1-line block ×14, first 2 shown]
.LBB66_417:
	s_or_b64 exec, exec, s[0:1]
	v_cmp_lt_i32_e32 vcc, 19, v108
	s_waitcnt vmcnt(0) lgkmcnt(0)
	s_barrier
	s_and_saveexec_b64 s[0:1], vcc
	s_cbranch_execz .LBB66_419
; %bb.418:
	v_mul_f64 v[109:110], v[121:122], v[55:56]
	v_mul_f64 v[55:56], v[123:124], v[55:56]
	ds_read2_b64 v[111:114], v106 offset0:40 offset1:41
	v_fma_f64 v[109:110], v[123:124], v[53:54], v[109:110]
	v_fma_f64 v[53:54], v[121:122], v[53:54], -v[55:56]
	s_waitcnt lgkmcnt(0)
	v_mul_f64 v[55:56], v[113:114], v[109:110]
	v_fma_f64 v[55:56], v[111:112], v[53:54], -v[55:56]
	v_mul_f64 v[111:112], v[111:112], v[109:110]
	v_add_f64 v[49:50], v[49:50], -v[55:56]
	v_fma_f64 v[111:112], v[113:114], v[53:54], v[111:112]
	v_add_f64 v[51:52], v[51:52], -v[111:112]
	ds_read2_b64 v[111:114], v106 offset0:42 offset1:43
	s_waitcnt lgkmcnt(0)
	v_mul_f64 v[55:56], v[113:114], v[109:110]
	v_fma_f64 v[55:56], v[111:112], v[53:54], -v[55:56]
	v_mul_f64 v[111:112], v[111:112], v[109:110]
	v_add_f64 v[45:46], v[45:46], -v[55:56]
	v_fma_f64 v[111:112], v[113:114], v[53:54], v[111:112]
	v_add_f64 v[47:48], v[47:48], -v[111:112]
	ds_read2_b64 v[111:114], v106 offset0:44 offset1:45
	;; [unrolled: 8-line block ×13, first 2 shown]
	s_waitcnt lgkmcnt(0)
	v_mul_f64 v[55:56], v[113:114], v[109:110]
	v_fma_f64 v[55:56], v[111:112], v[53:54], -v[55:56]
	v_mul_f64 v[111:112], v[111:112], v[109:110]
	v_add_f64 v[93:94], v[93:94], -v[55:56]
	v_fma_f64 v[111:112], v[113:114], v[53:54], v[111:112]
	v_mov_b32_e32 v55, v109
	v_mov_b32_e32 v56, v110
	v_add_f64 v[95:96], v[95:96], -v[111:112]
.LBB66_419:
	s_or_b64 exec, exec, s[0:1]
	v_lshl_add_u32 v109, v108, 4, v106
	s_barrier
	ds_write2_b64 v109, v[49:50], v[51:52] offset1:1
	s_waitcnt lgkmcnt(0)
	s_barrier
	ds_read2_b64 v[121:124], v106 offset0:40 offset1:41
	s_cmp_lt_i32 s3, 22
	v_mov_b32_e32 v109, 20
	s_cbranch_scc1 .LBB66_422
; %bb.420:
	v_add_u32_e32 v110, 0x150, v106
	s_mov_b32 s0, 21
	v_mov_b32_e32 v109, 20
.LBB66_421:                             ; =>This Inner Loop Header: Depth=1
	s_waitcnt lgkmcnt(0)
	v_cmp_gt_f64_e32 vcc, 0, v[121:122]
	v_xor_b32_e32 v115, 0x80000000, v122
	ds_read2_b64 v[111:114], v110 offset1:1
	v_xor_b32_e32 v117, 0x80000000, v124
	v_add_u32_e32 v110, 16, v110
	s_waitcnt lgkmcnt(0)
	v_xor_b32_e32 v119, 0x80000000, v114
	v_cndmask_b32_e32 v116, v122, v115, vcc
	v_cmp_gt_f64_e32 vcc, 0, v[123:124]
	v_mov_b32_e32 v115, v121
	v_cndmask_b32_e32 v118, v124, v117, vcc
	v_cmp_gt_f64_e32 vcc, 0, v[111:112]
	v_mov_b32_e32 v117, v123
	v_add_f64 v[115:116], v[115:116], v[117:118]
	v_xor_b32_e32 v117, 0x80000000, v112
	v_cndmask_b32_e32 v118, v112, v117, vcc
	v_cmp_gt_f64_e32 vcc, 0, v[113:114]
	v_mov_b32_e32 v117, v111
	v_cndmask_b32_e32 v120, v114, v119, vcc
	v_mov_b32_e32 v119, v113
	v_add_f64 v[117:118], v[117:118], v[119:120]
	v_cmp_lt_f64_e32 vcc, v[115:116], v[117:118]
	v_cndmask_b32_e32 v121, v121, v111, vcc
	v_mov_b32_e32 v111, s0
	s_add_i32 s0, s0, 1
	v_cndmask_b32_e32 v122, v122, v112, vcc
	v_cndmask_b32_e32 v124, v124, v114, vcc
	v_cndmask_b32_e32 v123, v123, v113, vcc
	v_cndmask_b32_e32 v109, v109, v111, vcc
	s_cmp_lg_u32 s3, s0
	s_cbranch_scc1 .LBB66_421
.LBB66_422:
	s_waitcnt lgkmcnt(0)
	v_cmp_eq_f64_e32 vcc, 0, v[121:122]
	v_cmp_eq_f64_e64 s[0:1], 0, v[123:124]
	s_and_b64 s[0:1], vcc, s[0:1]
	s_and_saveexec_b64 s[18:19], s[0:1]
	s_xor_b64 s[0:1], exec, s[18:19]
; %bb.423:
	v_cmp_ne_u32_e32 vcc, 0, v107
	v_cndmask_b32_e32 v107, 21, v107, vcc
; %bb.424:
	s_andn2_saveexec_b64 s[0:1], s[0:1]
	s_cbranch_execz .LBB66_430
; %bb.425:
	v_cmp_ngt_f64_e64 s[18:19], |v[121:122]|, |v[123:124]|
	s_and_saveexec_b64 s[20:21], s[18:19]
	s_xor_b64 s[18:19], exec, s[20:21]
	s_cbranch_execz .LBB66_427
; %bb.426:
	v_div_scale_f64 v[110:111], s[20:21], v[123:124], v[123:124], v[121:122]
	v_rcp_f64_e32 v[112:113], v[110:111]
	v_fma_f64 v[114:115], -v[110:111], v[112:113], 1.0
	v_fma_f64 v[112:113], v[112:113], v[114:115], v[112:113]
	v_div_scale_f64 v[114:115], vcc, v[121:122], v[123:124], v[121:122]
	v_fma_f64 v[116:117], -v[110:111], v[112:113], 1.0
	v_fma_f64 v[112:113], v[112:113], v[116:117], v[112:113]
	v_mul_f64 v[116:117], v[114:115], v[112:113]
	v_fma_f64 v[110:111], -v[110:111], v[116:117], v[114:115]
	v_div_fmas_f64 v[110:111], v[110:111], v[112:113], v[116:117]
	v_div_fixup_f64 v[110:111], v[110:111], v[123:124], v[121:122]
	v_fma_f64 v[112:113], v[121:122], v[110:111], v[123:124]
	v_div_scale_f64 v[114:115], s[20:21], v[112:113], v[112:113], 1.0
	v_div_scale_f64 v[120:121], vcc, 1.0, v[112:113], 1.0
	v_rcp_f64_e32 v[116:117], v[114:115]
	v_fma_f64 v[118:119], -v[114:115], v[116:117], 1.0
	v_fma_f64 v[116:117], v[116:117], v[118:119], v[116:117]
	v_fma_f64 v[118:119], -v[114:115], v[116:117], 1.0
	v_fma_f64 v[116:117], v[116:117], v[118:119], v[116:117]
	v_mul_f64 v[118:119], v[120:121], v[116:117]
	v_fma_f64 v[114:115], -v[114:115], v[118:119], v[120:121]
	v_div_fmas_f64 v[114:115], v[114:115], v[116:117], v[118:119]
	v_div_fixup_f64 v[123:124], v[114:115], v[112:113], 1.0
	v_mul_f64 v[121:122], v[110:111], v[123:124]
	v_xor_b32_e32 v124, 0x80000000, v124
.LBB66_427:
	s_andn2_saveexec_b64 s[18:19], s[18:19]
	s_cbranch_execz .LBB66_429
; %bb.428:
	v_div_scale_f64 v[110:111], s[20:21], v[121:122], v[121:122], v[123:124]
	v_rcp_f64_e32 v[112:113], v[110:111]
	v_fma_f64 v[114:115], -v[110:111], v[112:113], 1.0
	v_fma_f64 v[112:113], v[112:113], v[114:115], v[112:113]
	v_div_scale_f64 v[114:115], vcc, v[123:124], v[121:122], v[123:124]
	v_fma_f64 v[116:117], -v[110:111], v[112:113], 1.0
	v_fma_f64 v[112:113], v[112:113], v[116:117], v[112:113]
	v_mul_f64 v[116:117], v[114:115], v[112:113]
	v_fma_f64 v[110:111], -v[110:111], v[116:117], v[114:115]
	v_div_fmas_f64 v[110:111], v[110:111], v[112:113], v[116:117]
	v_div_fixup_f64 v[110:111], v[110:111], v[121:122], v[123:124]
	v_fma_f64 v[112:113], v[123:124], v[110:111], v[121:122]
	v_div_scale_f64 v[114:115], s[20:21], v[112:113], v[112:113], 1.0
	v_div_scale_f64 v[120:121], vcc, 1.0, v[112:113], 1.0
	v_rcp_f64_e32 v[116:117], v[114:115]
	v_fma_f64 v[118:119], -v[114:115], v[116:117], 1.0
	v_fma_f64 v[116:117], v[116:117], v[118:119], v[116:117]
	v_fma_f64 v[118:119], -v[114:115], v[116:117], 1.0
	v_fma_f64 v[116:117], v[116:117], v[118:119], v[116:117]
	v_mul_f64 v[118:119], v[120:121], v[116:117]
	v_fma_f64 v[114:115], -v[114:115], v[118:119], v[120:121]
	v_div_fmas_f64 v[114:115], v[114:115], v[116:117], v[118:119]
	v_div_fixup_f64 v[121:122], v[114:115], v[112:113], 1.0
	v_mul_f64 v[123:124], v[110:111], -v[121:122]
.LBB66_429:
	s_or_b64 exec, exec, s[18:19]
.LBB66_430:
	s_or_b64 exec, exec, s[0:1]
	v_cmp_ne_u32_e32 vcc, v108, v109
	s_and_saveexec_b64 s[0:1], vcc
	s_xor_b64 s[0:1], exec, s[0:1]
	s_cbranch_execz .LBB66_436
; %bb.431:
	v_cmp_eq_u32_e32 vcc, 20, v108
	s_and_saveexec_b64 s[18:19], vcc
	s_cbranch_execz .LBB66_435
; %bb.432:
	v_cmp_ne_u32_e32 vcc, 20, v109
	s_xor_b64 s[20:21], s[6:7], -1
	s_and_b64 s[22:23], s[20:21], vcc
	s_and_saveexec_b64 s[20:21], s[22:23]
	s_cbranch_execz .LBB66_434
; %bb.433:
	buffer_load_dword v112, off, s[24:27], 0 offset:96 ; 4-byte Folded Reload
	buffer_load_dword v113, off, s[24:27], 0 offset:100 ; 4-byte Folded Reload
	v_ashrrev_i32_e32 v110, 31, v109
	v_lshlrev_b64 v[110:111], 2, v[109:110]
	s_waitcnt vmcnt(1)
	v_add_co_u32_e32 v110, vcc, v112, v110
	s_waitcnt vmcnt(0)
	v_addc_co_u32_e32 v111, vcc, v113, v111, vcc
	global_load_dword v0, v[110:111], off
	global_load_dword v108, v[112:113], off offset:80
	s_waitcnt vmcnt(1)
	global_store_dword v[112:113], v0, off offset:80
	s_waitcnt vmcnt(1)
	global_store_dword v[110:111], v108, off
.LBB66_434:
	s_or_b64 exec, exec, s[20:21]
	v_mov_b32_e32 v108, v109
	v_mov_b32_e32 v0, v109
.LBB66_435:
	s_or_b64 exec, exec, s[18:19]
.LBB66_436:
	s_andn2_saveexec_b64 s[0:1], s[0:1]
	s_cbranch_execz .LBB66_438
; %bb.437:
	v_mov_b32_e32 v108, 20
	ds_write2_b64 v106, v[45:46], v[47:48] offset0:42 offset1:43
	ds_write2_b64 v106, v[41:42], v[43:44] offset0:44 offset1:45
	;; [unrolled: 1-line block ×13, first 2 shown]
.LBB66_438:
	s_or_b64 exec, exec, s[0:1]
	v_cmp_lt_i32_e32 vcc, 20, v108
	s_waitcnt vmcnt(0) lgkmcnt(0)
	s_barrier
	s_and_saveexec_b64 s[0:1], vcc
	s_cbranch_execz .LBB66_440
; %bb.439:
	v_mul_f64 v[109:110], v[121:122], v[51:52]
	v_mul_f64 v[51:52], v[123:124], v[51:52]
	ds_read2_b64 v[111:114], v106 offset0:42 offset1:43
	v_fma_f64 v[109:110], v[123:124], v[49:50], v[109:110]
	v_fma_f64 v[49:50], v[121:122], v[49:50], -v[51:52]
	s_waitcnt lgkmcnt(0)
	v_mul_f64 v[51:52], v[113:114], v[109:110]
	v_fma_f64 v[51:52], v[111:112], v[49:50], -v[51:52]
	v_mul_f64 v[111:112], v[111:112], v[109:110]
	v_add_f64 v[45:46], v[45:46], -v[51:52]
	v_fma_f64 v[111:112], v[113:114], v[49:50], v[111:112]
	v_add_f64 v[47:48], v[47:48], -v[111:112]
	ds_read2_b64 v[111:114], v106 offset0:44 offset1:45
	s_waitcnt lgkmcnt(0)
	v_mul_f64 v[51:52], v[113:114], v[109:110]
	v_fma_f64 v[51:52], v[111:112], v[49:50], -v[51:52]
	v_mul_f64 v[111:112], v[111:112], v[109:110]
	v_add_f64 v[41:42], v[41:42], -v[51:52]
	v_fma_f64 v[111:112], v[113:114], v[49:50], v[111:112]
	v_add_f64 v[43:44], v[43:44], -v[111:112]
	ds_read2_b64 v[111:114], v106 offset0:46 offset1:47
	;; [unrolled: 8-line block ×12, first 2 shown]
	s_waitcnt lgkmcnt(0)
	v_mul_f64 v[51:52], v[113:114], v[109:110]
	v_fma_f64 v[51:52], v[111:112], v[49:50], -v[51:52]
	v_mul_f64 v[111:112], v[111:112], v[109:110]
	v_add_f64 v[93:94], v[93:94], -v[51:52]
	v_fma_f64 v[111:112], v[113:114], v[49:50], v[111:112]
	v_mov_b32_e32 v51, v109
	v_mov_b32_e32 v52, v110
	v_add_f64 v[95:96], v[95:96], -v[111:112]
.LBB66_440:
	s_or_b64 exec, exec, s[0:1]
	v_lshl_add_u32 v109, v108, 4, v106
	s_barrier
	ds_write2_b64 v109, v[45:46], v[47:48] offset1:1
	s_waitcnt lgkmcnt(0)
	s_barrier
	ds_read2_b64 v[121:124], v106 offset0:42 offset1:43
	s_cmp_lt_i32 s3, 23
	v_mov_b32_e32 v109, 21
	s_cbranch_scc1 .LBB66_443
; %bb.441:
	v_add_u32_e32 v110, 0x160, v106
	s_mov_b32 s0, 22
	v_mov_b32_e32 v109, 21
.LBB66_442:                             ; =>This Inner Loop Header: Depth=1
	s_waitcnt lgkmcnt(0)
	v_cmp_gt_f64_e32 vcc, 0, v[121:122]
	v_xor_b32_e32 v115, 0x80000000, v122
	ds_read2_b64 v[111:114], v110 offset1:1
	v_xor_b32_e32 v117, 0x80000000, v124
	v_add_u32_e32 v110, 16, v110
	s_waitcnt lgkmcnt(0)
	v_xor_b32_e32 v119, 0x80000000, v114
	v_cndmask_b32_e32 v116, v122, v115, vcc
	v_cmp_gt_f64_e32 vcc, 0, v[123:124]
	v_mov_b32_e32 v115, v121
	v_cndmask_b32_e32 v118, v124, v117, vcc
	v_cmp_gt_f64_e32 vcc, 0, v[111:112]
	v_mov_b32_e32 v117, v123
	v_add_f64 v[115:116], v[115:116], v[117:118]
	v_xor_b32_e32 v117, 0x80000000, v112
	v_cndmask_b32_e32 v118, v112, v117, vcc
	v_cmp_gt_f64_e32 vcc, 0, v[113:114]
	v_mov_b32_e32 v117, v111
	v_cndmask_b32_e32 v120, v114, v119, vcc
	v_mov_b32_e32 v119, v113
	v_add_f64 v[117:118], v[117:118], v[119:120]
	v_cmp_lt_f64_e32 vcc, v[115:116], v[117:118]
	v_cndmask_b32_e32 v121, v121, v111, vcc
	v_mov_b32_e32 v111, s0
	s_add_i32 s0, s0, 1
	v_cndmask_b32_e32 v122, v122, v112, vcc
	v_cndmask_b32_e32 v124, v124, v114, vcc
	;; [unrolled: 1-line block ×4, first 2 shown]
	s_cmp_lg_u32 s3, s0
	s_cbranch_scc1 .LBB66_442
.LBB66_443:
	s_waitcnt lgkmcnt(0)
	v_cmp_eq_f64_e32 vcc, 0, v[121:122]
	v_cmp_eq_f64_e64 s[0:1], 0, v[123:124]
	s_and_b64 s[0:1], vcc, s[0:1]
	s_and_saveexec_b64 s[18:19], s[0:1]
	s_xor_b64 s[0:1], exec, s[18:19]
; %bb.444:
	v_cmp_ne_u32_e32 vcc, 0, v107
	v_cndmask_b32_e32 v107, 22, v107, vcc
; %bb.445:
	s_andn2_saveexec_b64 s[0:1], s[0:1]
	s_cbranch_execz .LBB66_451
; %bb.446:
	v_cmp_ngt_f64_e64 s[18:19], |v[121:122]|, |v[123:124]|
	s_and_saveexec_b64 s[20:21], s[18:19]
	s_xor_b64 s[18:19], exec, s[20:21]
	s_cbranch_execz .LBB66_448
; %bb.447:
	v_div_scale_f64 v[110:111], s[20:21], v[123:124], v[123:124], v[121:122]
	v_rcp_f64_e32 v[112:113], v[110:111]
	v_fma_f64 v[114:115], -v[110:111], v[112:113], 1.0
	v_fma_f64 v[112:113], v[112:113], v[114:115], v[112:113]
	v_div_scale_f64 v[114:115], vcc, v[121:122], v[123:124], v[121:122]
	v_fma_f64 v[116:117], -v[110:111], v[112:113], 1.0
	v_fma_f64 v[112:113], v[112:113], v[116:117], v[112:113]
	v_mul_f64 v[116:117], v[114:115], v[112:113]
	v_fma_f64 v[110:111], -v[110:111], v[116:117], v[114:115]
	v_div_fmas_f64 v[110:111], v[110:111], v[112:113], v[116:117]
	v_div_fixup_f64 v[110:111], v[110:111], v[123:124], v[121:122]
	v_fma_f64 v[112:113], v[121:122], v[110:111], v[123:124]
	v_div_scale_f64 v[114:115], s[20:21], v[112:113], v[112:113], 1.0
	v_div_scale_f64 v[120:121], vcc, 1.0, v[112:113], 1.0
	v_rcp_f64_e32 v[116:117], v[114:115]
	v_fma_f64 v[118:119], -v[114:115], v[116:117], 1.0
	v_fma_f64 v[116:117], v[116:117], v[118:119], v[116:117]
	v_fma_f64 v[118:119], -v[114:115], v[116:117], 1.0
	v_fma_f64 v[116:117], v[116:117], v[118:119], v[116:117]
	v_mul_f64 v[118:119], v[120:121], v[116:117]
	v_fma_f64 v[114:115], -v[114:115], v[118:119], v[120:121]
	v_div_fmas_f64 v[114:115], v[114:115], v[116:117], v[118:119]
	v_div_fixup_f64 v[123:124], v[114:115], v[112:113], 1.0
	v_mul_f64 v[121:122], v[110:111], v[123:124]
	v_xor_b32_e32 v124, 0x80000000, v124
.LBB66_448:
	s_andn2_saveexec_b64 s[18:19], s[18:19]
	s_cbranch_execz .LBB66_450
; %bb.449:
	v_div_scale_f64 v[110:111], s[20:21], v[121:122], v[121:122], v[123:124]
	v_rcp_f64_e32 v[112:113], v[110:111]
	v_fma_f64 v[114:115], -v[110:111], v[112:113], 1.0
	v_fma_f64 v[112:113], v[112:113], v[114:115], v[112:113]
	v_div_scale_f64 v[114:115], vcc, v[123:124], v[121:122], v[123:124]
	v_fma_f64 v[116:117], -v[110:111], v[112:113], 1.0
	v_fma_f64 v[112:113], v[112:113], v[116:117], v[112:113]
	v_mul_f64 v[116:117], v[114:115], v[112:113]
	v_fma_f64 v[110:111], -v[110:111], v[116:117], v[114:115]
	v_div_fmas_f64 v[110:111], v[110:111], v[112:113], v[116:117]
	v_div_fixup_f64 v[110:111], v[110:111], v[121:122], v[123:124]
	v_fma_f64 v[112:113], v[123:124], v[110:111], v[121:122]
	v_div_scale_f64 v[114:115], s[20:21], v[112:113], v[112:113], 1.0
	v_div_scale_f64 v[120:121], vcc, 1.0, v[112:113], 1.0
	v_rcp_f64_e32 v[116:117], v[114:115]
	v_fma_f64 v[118:119], -v[114:115], v[116:117], 1.0
	v_fma_f64 v[116:117], v[116:117], v[118:119], v[116:117]
	v_fma_f64 v[118:119], -v[114:115], v[116:117], 1.0
	v_fma_f64 v[116:117], v[116:117], v[118:119], v[116:117]
	v_mul_f64 v[118:119], v[120:121], v[116:117]
	v_fma_f64 v[114:115], -v[114:115], v[118:119], v[120:121]
	v_div_fmas_f64 v[114:115], v[114:115], v[116:117], v[118:119]
	v_div_fixup_f64 v[121:122], v[114:115], v[112:113], 1.0
	v_mul_f64 v[123:124], v[110:111], -v[121:122]
.LBB66_450:
	s_or_b64 exec, exec, s[18:19]
.LBB66_451:
	s_or_b64 exec, exec, s[0:1]
	v_cmp_ne_u32_e32 vcc, v108, v109
	s_and_saveexec_b64 s[0:1], vcc
	s_xor_b64 s[0:1], exec, s[0:1]
	s_cbranch_execz .LBB66_457
; %bb.452:
	v_cmp_eq_u32_e32 vcc, 21, v108
	s_and_saveexec_b64 s[18:19], vcc
	s_cbranch_execz .LBB66_456
; %bb.453:
	v_cmp_ne_u32_e32 vcc, 21, v109
	s_xor_b64 s[20:21], s[6:7], -1
	s_and_b64 s[22:23], s[20:21], vcc
	s_and_saveexec_b64 s[20:21], s[22:23]
	s_cbranch_execz .LBB66_455
; %bb.454:
	buffer_load_dword v112, off, s[24:27], 0 offset:96 ; 4-byte Folded Reload
	buffer_load_dword v113, off, s[24:27], 0 offset:100 ; 4-byte Folded Reload
	v_ashrrev_i32_e32 v110, 31, v109
	v_lshlrev_b64 v[110:111], 2, v[109:110]
	s_waitcnt vmcnt(1)
	v_add_co_u32_e32 v110, vcc, v112, v110
	s_waitcnt vmcnt(0)
	v_addc_co_u32_e32 v111, vcc, v113, v111, vcc
	global_load_dword v0, v[110:111], off
	global_load_dword v108, v[112:113], off offset:84
	s_waitcnt vmcnt(1)
	global_store_dword v[112:113], v0, off offset:84
	s_waitcnt vmcnt(1)
	global_store_dword v[110:111], v108, off
.LBB66_455:
	s_or_b64 exec, exec, s[20:21]
	v_mov_b32_e32 v108, v109
	v_mov_b32_e32 v0, v109
.LBB66_456:
	s_or_b64 exec, exec, s[18:19]
.LBB66_457:
	s_andn2_saveexec_b64 s[0:1], s[0:1]
	s_cbranch_execz .LBB66_459
; %bb.458:
	v_mov_b32_e32 v108, 21
	ds_write2_b64 v106, v[41:42], v[43:44] offset0:44 offset1:45
	ds_write2_b64 v106, v[37:38], v[39:40] offset0:46 offset1:47
	;; [unrolled: 1-line block ×12, first 2 shown]
.LBB66_459:
	s_or_b64 exec, exec, s[0:1]
	v_cmp_lt_i32_e32 vcc, 21, v108
	s_waitcnt vmcnt(0) lgkmcnt(0)
	s_barrier
	s_and_saveexec_b64 s[0:1], vcc
	s_cbranch_execz .LBB66_461
; %bb.460:
	v_mul_f64 v[109:110], v[121:122], v[47:48]
	v_mul_f64 v[47:48], v[123:124], v[47:48]
	ds_read2_b64 v[111:114], v106 offset0:44 offset1:45
	v_fma_f64 v[109:110], v[123:124], v[45:46], v[109:110]
	v_fma_f64 v[45:46], v[121:122], v[45:46], -v[47:48]
	s_waitcnt lgkmcnt(0)
	v_mul_f64 v[47:48], v[113:114], v[109:110]
	v_fma_f64 v[47:48], v[111:112], v[45:46], -v[47:48]
	v_mul_f64 v[111:112], v[111:112], v[109:110]
	v_add_f64 v[41:42], v[41:42], -v[47:48]
	v_fma_f64 v[111:112], v[113:114], v[45:46], v[111:112]
	v_add_f64 v[43:44], v[43:44], -v[111:112]
	ds_read2_b64 v[111:114], v106 offset0:46 offset1:47
	s_waitcnt lgkmcnt(0)
	v_mul_f64 v[47:48], v[113:114], v[109:110]
	v_fma_f64 v[47:48], v[111:112], v[45:46], -v[47:48]
	v_mul_f64 v[111:112], v[111:112], v[109:110]
	v_add_f64 v[37:38], v[37:38], -v[47:48]
	v_fma_f64 v[111:112], v[113:114], v[45:46], v[111:112]
	v_add_f64 v[39:40], v[39:40], -v[111:112]
	ds_read2_b64 v[111:114], v106 offset0:48 offset1:49
	;; [unrolled: 8-line block ×11, first 2 shown]
	s_waitcnt lgkmcnt(0)
	v_mul_f64 v[47:48], v[113:114], v[109:110]
	v_fma_f64 v[47:48], v[111:112], v[45:46], -v[47:48]
	v_mul_f64 v[111:112], v[111:112], v[109:110]
	v_add_f64 v[93:94], v[93:94], -v[47:48]
	v_fma_f64 v[111:112], v[113:114], v[45:46], v[111:112]
	v_mov_b32_e32 v47, v109
	v_mov_b32_e32 v48, v110
	v_add_f64 v[95:96], v[95:96], -v[111:112]
.LBB66_461:
	s_or_b64 exec, exec, s[0:1]
	v_lshl_add_u32 v109, v108, 4, v106
	s_barrier
	ds_write2_b64 v109, v[41:42], v[43:44] offset1:1
	s_waitcnt lgkmcnt(0)
	s_barrier
	ds_read2_b64 v[121:124], v106 offset0:44 offset1:45
	s_cmp_lt_i32 s3, 24
	v_mov_b32_e32 v109, 22
	s_cbranch_scc1 .LBB66_464
; %bb.462:
	v_add_u32_e32 v110, 0x170, v106
	s_mov_b32 s0, 23
	v_mov_b32_e32 v109, 22
.LBB66_463:                             ; =>This Inner Loop Header: Depth=1
	s_waitcnt lgkmcnt(0)
	v_cmp_gt_f64_e32 vcc, 0, v[121:122]
	v_xor_b32_e32 v115, 0x80000000, v122
	ds_read2_b64 v[111:114], v110 offset1:1
	v_xor_b32_e32 v117, 0x80000000, v124
	v_add_u32_e32 v110, 16, v110
	s_waitcnt lgkmcnt(0)
	v_xor_b32_e32 v119, 0x80000000, v114
	v_cndmask_b32_e32 v116, v122, v115, vcc
	v_cmp_gt_f64_e32 vcc, 0, v[123:124]
	v_mov_b32_e32 v115, v121
	v_cndmask_b32_e32 v118, v124, v117, vcc
	v_cmp_gt_f64_e32 vcc, 0, v[111:112]
	v_mov_b32_e32 v117, v123
	v_add_f64 v[115:116], v[115:116], v[117:118]
	v_xor_b32_e32 v117, 0x80000000, v112
	v_cndmask_b32_e32 v118, v112, v117, vcc
	v_cmp_gt_f64_e32 vcc, 0, v[113:114]
	v_mov_b32_e32 v117, v111
	v_cndmask_b32_e32 v120, v114, v119, vcc
	v_mov_b32_e32 v119, v113
	v_add_f64 v[117:118], v[117:118], v[119:120]
	v_cmp_lt_f64_e32 vcc, v[115:116], v[117:118]
	v_cndmask_b32_e32 v121, v121, v111, vcc
	v_mov_b32_e32 v111, s0
	s_add_i32 s0, s0, 1
	v_cndmask_b32_e32 v122, v122, v112, vcc
	v_cndmask_b32_e32 v124, v124, v114, vcc
	;; [unrolled: 1-line block ×4, first 2 shown]
	s_cmp_lg_u32 s3, s0
	s_cbranch_scc1 .LBB66_463
.LBB66_464:
	s_waitcnt lgkmcnt(0)
	v_cmp_eq_f64_e32 vcc, 0, v[121:122]
	v_cmp_eq_f64_e64 s[0:1], 0, v[123:124]
	s_and_b64 s[0:1], vcc, s[0:1]
	s_and_saveexec_b64 s[18:19], s[0:1]
	s_xor_b64 s[0:1], exec, s[18:19]
; %bb.465:
	v_cmp_ne_u32_e32 vcc, 0, v107
	v_cndmask_b32_e32 v107, 23, v107, vcc
; %bb.466:
	s_andn2_saveexec_b64 s[0:1], s[0:1]
	s_cbranch_execz .LBB66_472
; %bb.467:
	v_cmp_ngt_f64_e64 s[18:19], |v[121:122]|, |v[123:124]|
	s_and_saveexec_b64 s[20:21], s[18:19]
	s_xor_b64 s[18:19], exec, s[20:21]
	s_cbranch_execz .LBB66_469
; %bb.468:
	v_div_scale_f64 v[110:111], s[20:21], v[123:124], v[123:124], v[121:122]
	v_rcp_f64_e32 v[112:113], v[110:111]
	v_fma_f64 v[114:115], -v[110:111], v[112:113], 1.0
	v_fma_f64 v[112:113], v[112:113], v[114:115], v[112:113]
	v_div_scale_f64 v[114:115], vcc, v[121:122], v[123:124], v[121:122]
	v_fma_f64 v[116:117], -v[110:111], v[112:113], 1.0
	v_fma_f64 v[112:113], v[112:113], v[116:117], v[112:113]
	v_mul_f64 v[116:117], v[114:115], v[112:113]
	v_fma_f64 v[110:111], -v[110:111], v[116:117], v[114:115]
	v_div_fmas_f64 v[110:111], v[110:111], v[112:113], v[116:117]
	v_div_fixup_f64 v[110:111], v[110:111], v[123:124], v[121:122]
	v_fma_f64 v[112:113], v[121:122], v[110:111], v[123:124]
	v_div_scale_f64 v[114:115], s[20:21], v[112:113], v[112:113], 1.0
	v_div_scale_f64 v[120:121], vcc, 1.0, v[112:113], 1.0
	v_rcp_f64_e32 v[116:117], v[114:115]
	v_fma_f64 v[118:119], -v[114:115], v[116:117], 1.0
	v_fma_f64 v[116:117], v[116:117], v[118:119], v[116:117]
	v_fma_f64 v[118:119], -v[114:115], v[116:117], 1.0
	v_fma_f64 v[116:117], v[116:117], v[118:119], v[116:117]
	v_mul_f64 v[118:119], v[120:121], v[116:117]
	v_fma_f64 v[114:115], -v[114:115], v[118:119], v[120:121]
	v_div_fmas_f64 v[114:115], v[114:115], v[116:117], v[118:119]
	v_div_fixup_f64 v[123:124], v[114:115], v[112:113], 1.0
	v_mul_f64 v[121:122], v[110:111], v[123:124]
	v_xor_b32_e32 v124, 0x80000000, v124
.LBB66_469:
	s_andn2_saveexec_b64 s[18:19], s[18:19]
	s_cbranch_execz .LBB66_471
; %bb.470:
	v_div_scale_f64 v[110:111], s[20:21], v[121:122], v[121:122], v[123:124]
	v_rcp_f64_e32 v[112:113], v[110:111]
	v_fma_f64 v[114:115], -v[110:111], v[112:113], 1.0
	v_fma_f64 v[112:113], v[112:113], v[114:115], v[112:113]
	v_div_scale_f64 v[114:115], vcc, v[123:124], v[121:122], v[123:124]
	v_fma_f64 v[116:117], -v[110:111], v[112:113], 1.0
	v_fma_f64 v[112:113], v[112:113], v[116:117], v[112:113]
	v_mul_f64 v[116:117], v[114:115], v[112:113]
	v_fma_f64 v[110:111], -v[110:111], v[116:117], v[114:115]
	v_div_fmas_f64 v[110:111], v[110:111], v[112:113], v[116:117]
	v_div_fixup_f64 v[110:111], v[110:111], v[121:122], v[123:124]
	v_fma_f64 v[112:113], v[123:124], v[110:111], v[121:122]
	v_div_scale_f64 v[114:115], s[20:21], v[112:113], v[112:113], 1.0
	v_div_scale_f64 v[120:121], vcc, 1.0, v[112:113], 1.0
	v_rcp_f64_e32 v[116:117], v[114:115]
	v_fma_f64 v[118:119], -v[114:115], v[116:117], 1.0
	v_fma_f64 v[116:117], v[116:117], v[118:119], v[116:117]
	v_fma_f64 v[118:119], -v[114:115], v[116:117], 1.0
	v_fma_f64 v[116:117], v[116:117], v[118:119], v[116:117]
	v_mul_f64 v[118:119], v[120:121], v[116:117]
	v_fma_f64 v[114:115], -v[114:115], v[118:119], v[120:121]
	v_div_fmas_f64 v[114:115], v[114:115], v[116:117], v[118:119]
	v_div_fixup_f64 v[121:122], v[114:115], v[112:113], 1.0
	v_mul_f64 v[123:124], v[110:111], -v[121:122]
.LBB66_471:
	s_or_b64 exec, exec, s[18:19]
.LBB66_472:
	s_or_b64 exec, exec, s[0:1]
	v_cmp_ne_u32_e32 vcc, v108, v109
	s_and_saveexec_b64 s[0:1], vcc
	s_xor_b64 s[0:1], exec, s[0:1]
	s_cbranch_execz .LBB66_478
; %bb.473:
	v_cmp_eq_u32_e32 vcc, 22, v108
	s_and_saveexec_b64 s[18:19], vcc
	s_cbranch_execz .LBB66_477
; %bb.474:
	v_cmp_ne_u32_e32 vcc, 22, v109
	s_xor_b64 s[20:21], s[6:7], -1
	s_and_b64 s[22:23], s[20:21], vcc
	s_and_saveexec_b64 s[20:21], s[22:23]
	s_cbranch_execz .LBB66_476
; %bb.475:
	buffer_load_dword v112, off, s[24:27], 0 offset:96 ; 4-byte Folded Reload
	buffer_load_dword v113, off, s[24:27], 0 offset:100 ; 4-byte Folded Reload
	v_ashrrev_i32_e32 v110, 31, v109
	v_lshlrev_b64 v[110:111], 2, v[109:110]
	s_waitcnt vmcnt(1)
	v_add_co_u32_e32 v110, vcc, v112, v110
	s_waitcnt vmcnt(0)
	v_addc_co_u32_e32 v111, vcc, v113, v111, vcc
	global_load_dword v0, v[110:111], off
	global_load_dword v108, v[112:113], off offset:88
	s_waitcnt vmcnt(1)
	global_store_dword v[112:113], v0, off offset:88
	s_waitcnt vmcnt(1)
	global_store_dword v[110:111], v108, off
.LBB66_476:
	s_or_b64 exec, exec, s[20:21]
	v_mov_b32_e32 v108, v109
	v_mov_b32_e32 v0, v109
.LBB66_477:
	s_or_b64 exec, exec, s[18:19]
.LBB66_478:
	s_andn2_saveexec_b64 s[0:1], s[0:1]
	s_cbranch_execz .LBB66_480
; %bb.479:
	v_mov_b32_e32 v108, 22
	ds_write2_b64 v106, v[37:38], v[39:40] offset0:46 offset1:47
	ds_write2_b64 v106, v[33:34], v[35:36] offset0:48 offset1:49
	;; [unrolled: 1-line block ×11, first 2 shown]
.LBB66_480:
	s_or_b64 exec, exec, s[0:1]
	v_cmp_lt_i32_e32 vcc, 22, v108
	s_waitcnt vmcnt(0) lgkmcnt(0)
	s_barrier
	s_and_saveexec_b64 s[0:1], vcc
	s_cbranch_execz .LBB66_482
; %bb.481:
	v_mul_f64 v[109:110], v[121:122], v[43:44]
	v_mul_f64 v[43:44], v[123:124], v[43:44]
	ds_read2_b64 v[111:114], v106 offset0:46 offset1:47
	v_fma_f64 v[109:110], v[123:124], v[41:42], v[109:110]
	v_fma_f64 v[41:42], v[121:122], v[41:42], -v[43:44]
	s_waitcnt lgkmcnt(0)
	v_mul_f64 v[43:44], v[113:114], v[109:110]
	v_fma_f64 v[43:44], v[111:112], v[41:42], -v[43:44]
	v_mul_f64 v[111:112], v[111:112], v[109:110]
	v_add_f64 v[37:38], v[37:38], -v[43:44]
	v_fma_f64 v[111:112], v[113:114], v[41:42], v[111:112]
	v_add_f64 v[39:40], v[39:40], -v[111:112]
	ds_read2_b64 v[111:114], v106 offset0:48 offset1:49
	s_waitcnt lgkmcnt(0)
	v_mul_f64 v[43:44], v[113:114], v[109:110]
	v_fma_f64 v[43:44], v[111:112], v[41:42], -v[43:44]
	v_mul_f64 v[111:112], v[111:112], v[109:110]
	v_add_f64 v[33:34], v[33:34], -v[43:44]
	v_fma_f64 v[111:112], v[113:114], v[41:42], v[111:112]
	v_add_f64 v[35:36], v[35:36], -v[111:112]
	ds_read2_b64 v[111:114], v106 offset0:50 offset1:51
	;; [unrolled: 8-line block ×10, first 2 shown]
	s_waitcnt lgkmcnt(0)
	v_mul_f64 v[43:44], v[113:114], v[109:110]
	v_fma_f64 v[43:44], v[111:112], v[41:42], -v[43:44]
	v_mul_f64 v[111:112], v[111:112], v[109:110]
	v_add_f64 v[93:94], v[93:94], -v[43:44]
	v_fma_f64 v[111:112], v[113:114], v[41:42], v[111:112]
	v_mov_b32_e32 v43, v109
	v_mov_b32_e32 v44, v110
	v_add_f64 v[95:96], v[95:96], -v[111:112]
.LBB66_482:
	s_or_b64 exec, exec, s[0:1]
	v_lshl_add_u32 v109, v108, 4, v106
	s_barrier
	ds_write2_b64 v109, v[37:38], v[39:40] offset1:1
	s_waitcnt lgkmcnt(0)
	s_barrier
	ds_read2_b64 v[121:124], v106 offset0:46 offset1:47
	s_cmp_lt_i32 s3, 25
	v_mov_b32_e32 v109, 23
	s_cbranch_scc1 .LBB66_485
; %bb.483:
	v_add_u32_e32 v110, 0x180, v106
	s_mov_b32 s0, 24
	v_mov_b32_e32 v109, 23
.LBB66_484:                             ; =>This Inner Loop Header: Depth=1
	s_waitcnt lgkmcnt(0)
	v_cmp_gt_f64_e32 vcc, 0, v[121:122]
	v_xor_b32_e32 v115, 0x80000000, v122
	ds_read2_b64 v[111:114], v110 offset1:1
	v_xor_b32_e32 v117, 0x80000000, v124
	v_add_u32_e32 v110, 16, v110
	s_waitcnt lgkmcnt(0)
	v_xor_b32_e32 v119, 0x80000000, v114
	v_cndmask_b32_e32 v116, v122, v115, vcc
	v_cmp_gt_f64_e32 vcc, 0, v[123:124]
	v_mov_b32_e32 v115, v121
	v_cndmask_b32_e32 v118, v124, v117, vcc
	v_cmp_gt_f64_e32 vcc, 0, v[111:112]
	v_mov_b32_e32 v117, v123
	v_add_f64 v[115:116], v[115:116], v[117:118]
	v_xor_b32_e32 v117, 0x80000000, v112
	v_cndmask_b32_e32 v118, v112, v117, vcc
	v_cmp_gt_f64_e32 vcc, 0, v[113:114]
	v_mov_b32_e32 v117, v111
	v_cndmask_b32_e32 v120, v114, v119, vcc
	v_mov_b32_e32 v119, v113
	v_add_f64 v[117:118], v[117:118], v[119:120]
	v_cmp_lt_f64_e32 vcc, v[115:116], v[117:118]
	v_cndmask_b32_e32 v121, v121, v111, vcc
	v_mov_b32_e32 v111, s0
	s_add_i32 s0, s0, 1
	v_cndmask_b32_e32 v122, v122, v112, vcc
	v_cndmask_b32_e32 v124, v124, v114, vcc
	;; [unrolled: 1-line block ×4, first 2 shown]
	s_cmp_lg_u32 s3, s0
	s_cbranch_scc1 .LBB66_484
.LBB66_485:
	s_waitcnt lgkmcnt(0)
	v_cmp_eq_f64_e32 vcc, 0, v[121:122]
	v_cmp_eq_f64_e64 s[0:1], 0, v[123:124]
	s_and_b64 s[0:1], vcc, s[0:1]
	s_and_saveexec_b64 s[18:19], s[0:1]
	s_xor_b64 s[0:1], exec, s[18:19]
; %bb.486:
	v_cmp_ne_u32_e32 vcc, 0, v107
	v_cndmask_b32_e32 v107, 24, v107, vcc
; %bb.487:
	s_andn2_saveexec_b64 s[0:1], s[0:1]
	s_cbranch_execz .LBB66_493
; %bb.488:
	v_cmp_ngt_f64_e64 s[18:19], |v[121:122]|, |v[123:124]|
	s_and_saveexec_b64 s[20:21], s[18:19]
	s_xor_b64 s[18:19], exec, s[20:21]
	s_cbranch_execz .LBB66_490
; %bb.489:
	v_div_scale_f64 v[110:111], s[20:21], v[123:124], v[123:124], v[121:122]
	v_rcp_f64_e32 v[112:113], v[110:111]
	v_fma_f64 v[114:115], -v[110:111], v[112:113], 1.0
	v_fma_f64 v[112:113], v[112:113], v[114:115], v[112:113]
	v_div_scale_f64 v[114:115], vcc, v[121:122], v[123:124], v[121:122]
	v_fma_f64 v[116:117], -v[110:111], v[112:113], 1.0
	v_fma_f64 v[112:113], v[112:113], v[116:117], v[112:113]
	v_mul_f64 v[116:117], v[114:115], v[112:113]
	v_fma_f64 v[110:111], -v[110:111], v[116:117], v[114:115]
	v_div_fmas_f64 v[110:111], v[110:111], v[112:113], v[116:117]
	v_div_fixup_f64 v[110:111], v[110:111], v[123:124], v[121:122]
	v_fma_f64 v[112:113], v[121:122], v[110:111], v[123:124]
	v_div_scale_f64 v[114:115], s[20:21], v[112:113], v[112:113], 1.0
	v_div_scale_f64 v[120:121], vcc, 1.0, v[112:113], 1.0
	v_rcp_f64_e32 v[116:117], v[114:115]
	v_fma_f64 v[118:119], -v[114:115], v[116:117], 1.0
	v_fma_f64 v[116:117], v[116:117], v[118:119], v[116:117]
	v_fma_f64 v[118:119], -v[114:115], v[116:117], 1.0
	v_fma_f64 v[116:117], v[116:117], v[118:119], v[116:117]
	v_mul_f64 v[118:119], v[120:121], v[116:117]
	v_fma_f64 v[114:115], -v[114:115], v[118:119], v[120:121]
	v_div_fmas_f64 v[114:115], v[114:115], v[116:117], v[118:119]
	v_div_fixup_f64 v[123:124], v[114:115], v[112:113], 1.0
	v_mul_f64 v[121:122], v[110:111], v[123:124]
	v_xor_b32_e32 v124, 0x80000000, v124
.LBB66_490:
	s_andn2_saveexec_b64 s[18:19], s[18:19]
	s_cbranch_execz .LBB66_492
; %bb.491:
	v_div_scale_f64 v[110:111], s[20:21], v[121:122], v[121:122], v[123:124]
	v_rcp_f64_e32 v[112:113], v[110:111]
	v_fma_f64 v[114:115], -v[110:111], v[112:113], 1.0
	v_fma_f64 v[112:113], v[112:113], v[114:115], v[112:113]
	v_div_scale_f64 v[114:115], vcc, v[123:124], v[121:122], v[123:124]
	v_fma_f64 v[116:117], -v[110:111], v[112:113], 1.0
	v_fma_f64 v[112:113], v[112:113], v[116:117], v[112:113]
	v_mul_f64 v[116:117], v[114:115], v[112:113]
	v_fma_f64 v[110:111], -v[110:111], v[116:117], v[114:115]
	v_div_fmas_f64 v[110:111], v[110:111], v[112:113], v[116:117]
	v_div_fixup_f64 v[110:111], v[110:111], v[121:122], v[123:124]
	v_fma_f64 v[112:113], v[123:124], v[110:111], v[121:122]
	v_div_scale_f64 v[114:115], s[20:21], v[112:113], v[112:113], 1.0
	v_div_scale_f64 v[120:121], vcc, 1.0, v[112:113], 1.0
	v_rcp_f64_e32 v[116:117], v[114:115]
	v_fma_f64 v[118:119], -v[114:115], v[116:117], 1.0
	v_fma_f64 v[116:117], v[116:117], v[118:119], v[116:117]
	v_fma_f64 v[118:119], -v[114:115], v[116:117], 1.0
	v_fma_f64 v[116:117], v[116:117], v[118:119], v[116:117]
	v_mul_f64 v[118:119], v[120:121], v[116:117]
	v_fma_f64 v[114:115], -v[114:115], v[118:119], v[120:121]
	v_div_fmas_f64 v[114:115], v[114:115], v[116:117], v[118:119]
	v_div_fixup_f64 v[121:122], v[114:115], v[112:113], 1.0
	v_mul_f64 v[123:124], v[110:111], -v[121:122]
.LBB66_492:
	s_or_b64 exec, exec, s[18:19]
.LBB66_493:
	s_or_b64 exec, exec, s[0:1]
	v_cmp_ne_u32_e32 vcc, v108, v109
	s_and_saveexec_b64 s[0:1], vcc
	s_xor_b64 s[0:1], exec, s[0:1]
	s_cbranch_execz .LBB66_499
; %bb.494:
	v_cmp_eq_u32_e32 vcc, 23, v108
	s_and_saveexec_b64 s[18:19], vcc
	s_cbranch_execz .LBB66_498
; %bb.495:
	v_cmp_ne_u32_e32 vcc, 23, v109
	s_xor_b64 s[20:21], s[6:7], -1
	s_and_b64 s[22:23], s[20:21], vcc
	s_and_saveexec_b64 s[20:21], s[22:23]
	s_cbranch_execz .LBB66_497
; %bb.496:
	buffer_load_dword v112, off, s[24:27], 0 offset:96 ; 4-byte Folded Reload
	buffer_load_dword v113, off, s[24:27], 0 offset:100 ; 4-byte Folded Reload
	v_ashrrev_i32_e32 v110, 31, v109
	v_lshlrev_b64 v[110:111], 2, v[109:110]
	s_waitcnt vmcnt(1)
	v_add_co_u32_e32 v110, vcc, v112, v110
	s_waitcnt vmcnt(0)
	v_addc_co_u32_e32 v111, vcc, v113, v111, vcc
	global_load_dword v0, v[110:111], off
	global_load_dword v108, v[112:113], off offset:92
	s_waitcnt vmcnt(1)
	global_store_dword v[112:113], v0, off offset:92
	s_waitcnt vmcnt(1)
	global_store_dword v[110:111], v108, off
.LBB66_497:
	s_or_b64 exec, exec, s[20:21]
	v_mov_b32_e32 v108, v109
	v_mov_b32_e32 v0, v109
.LBB66_498:
	s_or_b64 exec, exec, s[18:19]
.LBB66_499:
	s_andn2_saveexec_b64 s[0:1], s[0:1]
	s_cbranch_execz .LBB66_501
; %bb.500:
	v_mov_b32_e32 v108, 23
	ds_write2_b64 v106, v[33:34], v[35:36] offset0:48 offset1:49
	ds_write2_b64 v106, v[29:30], v[31:32] offset0:50 offset1:51
	;; [unrolled: 1-line block ×10, first 2 shown]
.LBB66_501:
	s_or_b64 exec, exec, s[0:1]
	v_cmp_lt_i32_e32 vcc, 23, v108
	s_waitcnt vmcnt(0) lgkmcnt(0)
	s_barrier
	s_and_saveexec_b64 s[0:1], vcc
	s_cbranch_execz .LBB66_503
; %bb.502:
	v_mul_f64 v[109:110], v[121:122], v[39:40]
	v_mul_f64 v[39:40], v[123:124], v[39:40]
	ds_read2_b64 v[111:114], v106 offset0:48 offset1:49
	v_fma_f64 v[109:110], v[123:124], v[37:38], v[109:110]
	v_fma_f64 v[37:38], v[121:122], v[37:38], -v[39:40]
	s_waitcnt lgkmcnt(0)
	v_mul_f64 v[39:40], v[113:114], v[109:110]
	v_fma_f64 v[39:40], v[111:112], v[37:38], -v[39:40]
	v_mul_f64 v[111:112], v[111:112], v[109:110]
	v_add_f64 v[33:34], v[33:34], -v[39:40]
	v_fma_f64 v[111:112], v[113:114], v[37:38], v[111:112]
	v_add_f64 v[35:36], v[35:36], -v[111:112]
	ds_read2_b64 v[111:114], v106 offset0:50 offset1:51
	s_waitcnt lgkmcnt(0)
	v_mul_f64 v[39:40], v[113:114], v[109:110]
	v_fma_f64 v[39:40], v[111:112], v[37:38], -v[39:40]
	v_mul_f64 v[111:112], v[111:112], v[109:110]
	v_add_f64 v[29:30], v[29:30], -v[39:40]
	v_fma_f64 v[111:112], v[113:114], v[37:38], v[111:112]
	v_add_f64 v[31:32], v[31:32], -v[111:112]
	ds_read2_b64 v[111:114], v106 offset0:52 offset1:53
	;; [unrolled: 8-line block ×9, first 2 shown]
	s_waitcnt lgkmcnt(0)
	v_mul_f64 v[39:40], v[113:114], v[109:110]
	v_fma_f64 v[39:40], v[111:112], v[37:38], -v[39:40]
	v_mul_f64 v[111:112], v[111:112], v[109:110]
	v_add_f64 v[93:94], v[93:94], -v[39:40]
	v_fma_f64 v[111:112], v[113:114], v[37:38], v[111:112]
	v_mov_b32_e32 v39, v109
	v_mov_b32_e32 v40, v110
	v_add_f64 v[95:96], v[95:96], -v[111:112]
.LBB66_503:
	s_or_b64 exec, exec, s[0:1]
	v_lshl_add_u32 v109, v108, 4, v106
	s_barrier
	ds_write2_b64 v109, v[33:34], v[35:36] offset1:1
	s_waitcnt lgkmcnt(0)
	s_barrier
	ds_read2_b64 v[121:124], v106 offset0:48 offset1:49
	s_cmp_lt_i32 s3, 26
	v_mov_b32_e32 v109, 24
	s_cbranch_scc1 .LBB66_506
; %bb.504:
	v_add_u32_e32 v110, 0x190, v106
	s_mov_b32 s0, 25
	v_mov_b32_e32 v109, 24
.LBB66_505:                             ; =>This Inner Loop Header: Depth=1
	s_waitcnt lgkmcnt(0)
	v_cmp_gt_f64_e32 vcc, 0, v[121:122]
	v_xor_b32_e32 v115, 0x80000000, v122
	ds_read2_b64 v[111:114], v110 offset1:1
	v_xor_b32_e32 v117, 0x80000000, v124
	v_add_u32_e32 v110, 16, v110
	s_waitcnt lgkmcnt(0)
	v_xor_b32_e32 v119, 0x80000000, v114
	v_cndmask_b32_e32 v116, v122, v115, vcc
	v_cmp_gt_f64_e32 vcc, 0, v[123:124]
	v_mov_b32_e32 v115, v121
	v_cndmask_b32_e32 v118, v124, v117, vcc
	v_cmp_gt_f64_e32 vcc, 0, v[111:112]
	v_mov_b32_e32 v117, v123
	v_add_f64 v[115:116], v[115:116], v[117:118]
	v_xor_b32_e32 v117, 0x80000000, v112
	v_cndmask_b32_e32 v118, v112, v117, vcc
	v_cmp_gt_f64_e32 vcc, 0, v[113:114]
	v_mov_b32_e32 v117, v111
	v_cndmask_b32_e32 v120, v114, v119, vcc
	v_mov_b32_e32 v119, v113
	v_add_f64 v[117:118], v[117:118], v[119:120]
	v_cmp_lt_f64_e32 vcc, v[115:116], v[117:118]
	v_cndmask_b32_e32 v121, v121, v111, vcc
	v_mov_b32_e32 v111, s0
	s_add_i32 s0, s0, 1
	v_cndmask_b32_e32 v122, v122, v112, vcc
	v_cndmask_b32_e32 v124, v124, v114, vcc
	;; [unrolled: 1-line block ×4, first 2 shown]
	s_cmp_lg_u32 s3, s0
	s_cbranch_scc1 .LBB66_505
.LBB66_506:
	s_waitcnt lgkmcnt(0)
	v_cmp_eq_f64_e32 vcc, 0, v[121:122]
	v_cmp_eq_f64_e64 s[0:1], 0, v[123:124]
	s_and_b64 s[0:1], vcc, s[0:1]
	s_and_saveexec_b64 s[18:19], s[0:1]
	s_xor_b64 s[0:1], exec, s[18:19]
; %bb.507:
	v_cmp_ne_u32_e32 vcc, 0, v107
	v_cndmask_b32_e32 v107, 25, v107, vcc
; %bb.508:
	s_andn2_saveexec_b64 s[0:1], s[0:1]
	s_cbranch_execz .LBB66_514
; %bb.509:
	v_cmp_ngt_f64_e64 s[18:19], |v[121:122]|, |v[123:124]|
	s_and_saveexec_b64 s[20:21], s[18:19]
	s_xor_b64 s[18:19], exec, s[20:21]
	s_cbranch_execz .LBB66_511
; %bb.510:
	v_div_scale_f64 v[110:111], s[20:21], v[123:124], v[123:124], v[121:122]
	v_rcp_f64_e32 v[112:113], v[110:111]
	v_fma_f64 v[114:115], -v[110:111], v[112:113], 1.0
	v_fma_f64 v[112:113], v[112:113], v[114:115], v[112:113]
	v_div_scale_f64 v[114:115], vcc, v[121:122], v[123:124], v[121:122]
	v_fma_f64 v[116:117], -v[110:111], v[112:113], 1.0
	v_fma_f64 v[112:113], v[112:113], v[116:117], v[112:113]
	v_mul_f64 v[116:117], v[114:115], v[112:113]
	v_fma_f64 v[110:111], -v[110:111], v[116:117], v[114:115]
	v_div_fmas_f64 v[110:111], v[110:111], v[112:113], v[116:117]
	v_div_fixup_f64 v[110:111], v[110:111], v[123:124], v[121:122]
	v_fma_f64 v[112:113], v[121:122], v[110:111], v[123:124]
	v_div_scale_f64 v[114:115], s[20:21], v[112:113], v[112:113], 1.0
	v_div_scale_f64 v[120:121], vcc, 1.0, v[112:113], 1.0
	v_rcp_f64_e32 v[116:117], v[114:115]
	v_fma_f64 v[118:119], -v[114:115], v[116:117], 1.0
	v_fma_f64 v[116:117], v[116:117], v[118:119], v[116:117]
	v_fma_f64 v[118:119], -v[114:115], v[116:117], 1.0
	v_fma_f64 v[116:117], v[116:117], v[118:119], v[116:117]
	v_mul_f64 v[118:119], v[120:121], v[116:117]
	v_fma_f64 v[114:115], -v[114:115], v[118:119], v[120:121]
	v_div_fmas_f64 v[114:115], v[114:115], v[116:117], v[118:119]
	v_div_fixup_f64 v[123:124], v[114:115], v[112:113], 1.0
	v_mul_f64 v[121:122], v[110:111], v[123:124]
	v_xor_b32_e32 v124, 0x80000000, v124
.LBB66_511:
	s_andn2_saveexec_b64 s[18:19], s[18:19]
	s_cbranch_execz .LBB66_513
; %bb.512:
	v_div_scale_f64 v[110:111], s[20:21], v[121:122], v[121:122], v[123:124]
	v_rcp_f64_e32 v[112:113], v[110:111]
	v_fma_f64 v[114:115], -v[110:111], v[112:113], 1.0
	v_fma_f64 v[112:113], v[112:113], v[114:115], v[112:113]
	v_div_scale_f64 v[114:115], vcc, v[123:124], v[121:122], v[123:124]
	v_fma_f64 v[116:117], -v[110:111], v[112:113], 1.0
	v_fma_f64 v[112:113], v[112:113], v[116:117], v[112:113]
	v_mul_f64 v[116:117], v[114:115], v[112:113]
	v_fma_f64 v[110:111], -v[110:111], v[116:117], v[114:115]
	v_div_fmas_f64 v[110:111], v[110:111], v[112:113], v[116:117]
	v_div_fixup_f64 v[110:111], v[110:111], v[121:122], v[123:124]
	v_fma_f64 v[112:113], v[123:124], v[110:111], v[121:122]
	v_div_scale_f64 v[114:115], s[20:21], v[112:113], v[112:113], 1.0
	v_div_scale_f64 v[120:121], vcc, 1.0, v[112:113], 1.0
	v_rcp_f64_e32 v[116:117], v[114:115]
	v_fma_f64 v[118:119], -v[114:115], v[116:117], 1.0
	v_fma_f64 v[116:117], v[116:117], v[118:119], v[116:117]
	v_fma_f64 v[118:119], -v[114:115], v[116:117], 1.0
	v_fma_f64 v[116:117], v[116:117], v[118:119], v[116:117]
	v_mul_f64 v[118:119], v[120:121], v[116:117]
	v_fma_f64 v[114:115], -v[114:115], v[118:119], v[120:121]
	v_div_fmas_f64 v[114:115], v[114:115], v[116:117], v[118:119]
	v_div_fixup_f64 v[121:122], v[114:115], v[112:113], 1.0
	v_mul_f64 v[123:124], v[110:111], -v[121:122]
.LBB66_513:
	s_or_b64 exec, exec, s[18:19]
.LBB66_514:
	s_or_b64 exec, exec, s[0:1]
	v_cmp_ne_u32_e32 vcc, v108, v109
	s_and_saveexec_b64 s[0:1], vcc
	s_xor_b64 s[0:1], exec, s[0:1]
	s_cbranch_execz .LBB66_520
; %bb.515:
	v_cmp_eq_u32_e32 vcc, 24, v108
	s_and_saveexec_b64 s[18:19], vcc
	s_cbranch_execz .LBB66_519
; %bb.516:
	v_cmp_ne_u32_e32 vcc, 24, v109
	s_xor_b64 s[20:21], s[6:7], -1
	s_and_b64 s[22:23], s[20:21], vcc
	s_and_saveexec_b64 s[20:21], s[22:23]
	s_cbranch_execz .LBB66_518
; %bb.517:
	buffer_load_dword v112, off, s[24:27], 0 offset:96 ; 4-byte Folded Reload
	buffer_load_dword v113, off, s[24:27], 0 offset:100 ; 4-byte Folded Reload
	v_ashrrev_i32_e32 v110, 31, v109
	v_lshlrev_b64 v[110:111], 2, v[109:110]
	s_waitcnt vmcnt(1)
	v_add_co_u32_e32 v110, vcc, v112, v110
	s_waitcnt vmcnt(0)
	v_addc_co_u32_e32 v111, vcc, v113, v111, vcc
	global_load_dword v0, v[110:111], off
	global_load_dword v108, v[112:113], off offset:96
	s_waitcnt vmcnt(1)
	global_store_dword v[112:113], v0, off offset:96
	s_waitcnt vmcnt(1)
	global_store_dword v[110:111], v108, off
.LBB66_518:
	s_or_b64 exec, exec, s[20:21]
	v_mov_b32_e32 v108, v109
	v_mov_b32_e32 v0, v109
.LBB66_519:
	s_or_b64 exec, exec, s[18:19]
.LBB66_520:
	s_andn2_saveexec_b64 s[0:1], s[0:1]
	s_cbranch_execz .LBB66_522
; %bb.521:
	v_mov_b32_e32 v108, 24
	ds_write2_b64 v106, v[29:30], v[31:32] offset0:50 offset1:51
	ds_write2_b64 v106, v[25:26], v[27:28] offset0:52 offset1:53
	;; [unrolled: 1-line block ×9, first 2 shown]
.LBB66_522:
	s_or_b64 exec, exec, s[0:1]
	v_cmp_lt_i32_e32 vcc, 24, v108
	s_waitcnt vmcnt(0) lgkmcnt(0)
	s_barrier
	s_and_saveexec_b64 s[0:1], vcc
	s_cbranch_execz .LBB66_524
; %bb.523:
	v_mul_f64 v[109:110], v[121:122], v[35:36]
	v_mul_f64 v[35:36], v[123:124], v[35:36]
	ds_read2_b64 v[111:114], v106 offset0:50 offset1:51
	v_fma_f64 v[109:110], v[123:124], v[33:34], v[109:110]
	v_fma_f64 v[33:34], v[121:122], v[33:34], -v[35:36]
	s_waitcnt lgkmcnt(0)
	v_mul_f64 v[35:36], v[113:114], v[109:110]
	v_fma_f64 v[35:36], v[111:112], v[33:34], -v[35:36]
	v_mul_f64 v[111:112], v[111:112], v[109:110]
	v_add_f64 v[29:30], v[29:30], -v[35:36]
	v_fma_f64 v[111:112], v[113:114], v[33:34], v[111:112]
	v_add_f64 v[31:32], v[31:32], -v[111:112]
	ds_read2_b64 v[111:114], v106 offset0:52 offset1:53
	s_waitcnt lgkmcnt(0)
	v_mul_f64 v[35:36], v[113:114], v[109:110]
	v_fma_f64 v[35:36], v[111:112], v[33:34], -v[35:36]
	v_mul_f64 v[111:112], v[111:112], v[109:110]
	v_add_f64 v[25:26], v[25:26], -v[35:36]
	v_fma_f64 v[111:112], v[113:114], v[33:34], v[111:112]
	v_add_f64 v[27:28], v[27:28], -v[111:112]
	ds_read2_b64 v[111:114], v106 offset0:54 offset1:55
	;; [unrolled: 8-line block ×8, first 2 shown]
	s_waitcnt lgkmcnt(0)
	v_mul_f64 v[35:36], v[113:114], v[109:110]
	v_fma_f64 v[35:36], v[111:112], v[33:34], -v[35:36]
	v_mul_f64 v[111:112], v[111:112], v[109:110]
	v_add_f64 v[93:94], v[93:94], -v[35:36]
	v_fma_f64 v[111:112], v[113:114], v[33:34], v[111:112]
	v_mov_b32_e32 v35, v109
	v_mov_b32_e32 v36, v110
	v_add_f64 v[95:96], v[95:96], -v[111:112]
.LBB66_524:
	s_or_b64 exec, exec, s[0:1]
	v_lshl_add_u32 v109, v108, 4, v106
	s_barrier
	ds_write2_b64 v109, v[29:30], v[31:32] offset1:1
	s_waitcnt lgkmcnt(0)
	s_barrier
	ds_read2_b64 v[121:124], v106 offset0:50 offset1:51
	s_cmp_lt_i32 s3, 27
	v_mov_b32_e32 v109, 25
	s_cbranch_scc1 .LBB66_527
; %bb.525:
	v_add_u32_e32 v110, 0x1a0, v106
	s_mov_b32 s0, 26
	v_mov_b32_e32 v109, 25
.LBB66_526:                             ; =>This Inner Loop Header: Depth=1
	s_waitcnt lgkmcnt(0)
	v_cmp_gt_f64_e32 vcc, 0, v[121:122]
	v_xor_b32_e32 v115, 0x80000000, v122
	ds_read2_b64 v[111:114], v110 offset1:1
	v_xor_b32_e32 v117, 0x80000000, v124
	v_add_u32_e32 v110, 16, v110
	s_waitcnt lgkmcnt(0)
	v_xor_b32_e32 v119, 0x80000000, v114
	v_cndmask_b32_e32 v116, v122, v115, vcc
	v_cmp_gt_f64_e32 vcc, 0, v[123:124]
	v_mov_b32_e32 v115, v121
	v_cndmask_b32_e32 v118, v124, v117, vcc
	v_cmp_gt_f64_e32 vcc, 0, v[111:112]
	v_mov_b32_e32 v117, v123
	v_add_f64 v[115:116], v[115:116], v[117:118]
	v_xor_b32_e32 v117, 0x80000000, v112
	v_cndmask_b32_e32 v118, v112, v117, vcc
	v_cmp_gt_f64_e32 vcc, 0, v[113:114]
	v_mov_b32_e32 v117, v111
	v_cndmask_b32_e32 v120, v114, v119, vcc
	v_mov_b32_e32 v119, v113
	v_add_f64 v[117:118], v[117:118], v[119:120]
	v_cmp_lt_f64_e32 vcc, v[115:116], v[117:118]
	v_cndmask_b32_e32 v121, v121, v111, vcc
	v_mov_b32_e32 v111, s0
	s_add_i32 s0, s0, 1
	v_cndmask_b32_e32 v122, v122, v112, vcc
	v_cndmask_b32_e32 v124, v124, v114, vcc
	;; [unrolled: 1-line block ×4, first 2 shown]
	s_cmp_lg_u32 s3, s0
	s_cbranch_scc1 .LBB66_526
.LBB66_527:
	s_waitcnt lgkmcnt(0)
	v_cmp_eq_f64_e32 vcc, 0, v[121:122]
	v_cmp_eq_f64_e64 s[0:1], 0, v[123:124]
	s_and_b64 s[0:1], vcc, s[0:1]
	s_and_saveexec_b64 s[18:19], s[0:1]
	s_xor_b64 s[0:1], exec, s[18:19]
; %bb.528:
	v_cmp_ne_u32_e32 vcc, 0, v107
	v_cndmask_b32_e32 v107, 26, v107, vcc
; %bb.529:
	s_andn2_saveexec_b64 s[0:1], s[0:1]
	s_cbranch_execz .LBB66_535
; %bb.530:
	v_cmp_ngt_f64_e64 s[18:19], |v[121:122]|, |v[123:124]|
	s_and_saveexec_b64 s[20:21], s[18:19]
	s_xor_b64 s[18:19], exec, s[20:21]
	s_cbranch_execz .LBB66_532
; %bb.531:
	v_div_scale_f64 v[110:111], s[20:21], v[123:124], v[123:124], v[121:122]
	v_rcp_f64_e32 v[112:113], v[110:111]
	v_fma_f64 v[114:115], -v[110:111], v[112:113], 1.0
	v_fma_f64 v[112:113], v[112:113], v[114:115], v[112:113]
	v_div_scale_f64 v[114:115], vcc, v[121:122], v[123:124], v[121:122]
	v_fma_f64 v[116:117], -v[110:111], v[112:113], 1.0
	v_fma_f64 v[112:113], v[112:113], v[116:117], v[112:113]
	v_mul_f64 v[116:117], v[114:115], v[112:113]
	v_fma_f64 v[110:111], -v[110:111], v[116:117], v[114:115]
	v_div_fmas_f64 v[110:111], v[110:111], v[112:113], v[116:117]
	v_div_fixup_f64 v[110:111], v[110:111], v[123:124], v[121:122]
	v_fma_f64 v[112:113], v[121:122], v[110:111], v[123:124]
	v_div_scale_f64 v[114:115], s[20:21], v[112:113], v[112:113], 1.0
	v_div_scale_f64 v[120:121], vcc, 1.0, v[112:113], 1.0
	v_rcp_f64_e32 v[116:117], v[114:115]
	v_fma_f64 v[118:119], -v[114:115], v[116:117], 1.0
	v_fma_f64 v[116:117], v[116:117], v[118:119], v[116:117]
	v_fma_f64 v[118:119], -v[114:115], v[116:117], 1.0
	v_fma_f64 v[116:117], v[116:117], v[118:119], v[116:117]
	v_mul_f64 v[118:119], v[120:121], v[116:117]
	v_fma_f64 v[114:115], -v[114:115], v[118:119], v[120:121]
	v_div_fmas_f64 v[114:115], v[114:115], v[116:117], v[118:119]
	v_div_fixup_f64 v[123:124], v[114:115], v[112:113], 1.0
	v_mul_f64 v[121:122], v[110:111], v[123:124]
	v_xor_b32_e32 v124, 0x80000000, v124
.LBB66_532:
	s_andn2_saveexec_b64 s[18:19], s[18:19]
	s_cbranch_execz .LBB66_534
; %bb.533:
	v_div_scale_f64 v[110:111], s[20:21], v[121:122], v[121:122], v[123:124]
	v_rcp_f64_e32 v[112:113], v[110:111]
	v_fma_f64 v[114:115], -v[110:111], v[112:113], 1.0
	v_fma_f64 v[112:113], v[112:113], v[114:115], v[112:113]
	v_div_scale_f64 v[114:115], vcc, v[123:124], v[121:122], v[123:124]
	v_fma_f64 v[116:117], -v[110:111], v[112:113], 1.0
	v_fma_f64 v[112:113], v[112:113], v[116:117], v[112:113]
	v_mul_f64 v[116:117], v[114:115], v[112:113]
	v_fma_f64 v[110:111], -v[110:111], v[116:117], v[114:115]
	v_div_fmas_f64 v[110:111], v[110:111], v[112:113], v[116:117]
	v_div_fixup_f64 v[110:111], v[110:111], v[121:122], v[123:124]
	v_fma_f64 v[112:113], v[123:124], v[110:111], v[121:122]
	v_div_scale_f64 v[114:115], s[20:21], v[112:113], v[112:113], 1.0
	v_div_scale_f64 v[120:121], vcc, 1.0, v[112:113], 1.0
	v_rcp_f64_e32 v[116:117], v[114:115]
	v_fma_f64 v[118:119], -v[114:115], v[116:117], 1.0
	v_fma_f64 v[116:117], v[116:117], v[118:119], v[116:117]
	v_fma_f64 v[118:119], -v[114:115], v[116:117], 1.0
	v_fma_f64 v[116:117], v[116:117], v[118:119], v[116:117]
	v_mul_f64 v[118:119], v[120:121], v[116:117]
	v_fma_f64 v[114:115], -v[114:115], v[118:119], v[120:121]
	v_div_fmas_f64 v[114:115], v[114:115], v[116:117], v[118:119]
	v_div_fixup_f64 v[121:122], v[114:115], v[112:113], 1.0
	v_mul_f64 v[123:124], v[110:111], -v[121:122]
.LBB66_534:
	s_or_b64 exec, exec, s[18:19]
.LBB66_535:
	s_or_b64 exec, exec, s[0:1]
	v_cmp_ne_u32_e32 vcc, v108, v109
	s_and_saveexec_b64 s[0:1], vcc
	s_xor_b64 s[0:1], exec, s[0:1]
	s_cbranch_execz .LBB66_541
; %bb.536:
	v_cmp_eq_u32_e32 vcc, 25, v108
	s_and_saveexec_b64 s[18:19], vcc
	s_cbranch_execz .LBB66_540
; %bb.537:
	v_cmp_ne_u32_e32 vcc, 25, v109
	s_xor_b64 s[20:21], s[6:7], -1
	s_and_b64 s[22:23], s[20:21], vcc
	s_and_saveexec_b64 s[20:21], s[22:23]
	s_cbranch_execz .LBB66_539
; %bb.538:
	buffer_load_dword v112, off, s[24:27], 0 offset:96 ; 4-byte Folded Reload
	buffer_load_dword v113, off, s[24:27], 0 offset:100 ; 4-byte Folded Reload
	v_ashrrev_i32_e32 v110, 31, v109
	v_lshlrev_b64 v[110:111], 2, v[109:110]
	s_waitcnt vmcnt(1)
	v_add_co_u32_e32 v110, vcc, v112, v110
	s_waitcnt vmcnt(0)
	v_addc_co_u32_e32 v111, vcc, v113, v111, vcc
	global_load_dword v0, v[110:111], off
	global_load_dword v108, v[112:113], off offset:100
	s_waitcnt vmcnt(1)
	global_store_dword v[112:113], v0, off offset:100
	s_waitcnt vmcnt(1)
	global_store_dword v[110:111], v108, off
.LBB66_539:
	s_or_b64 exec, exec, s[20:21]
	v_mov_b32_e32 v108, v109
	v_mov_b32_e32 v0, v109
.LBB66_540:
	s_or_b64 exec, exec, s[18:19]
.LBB66_541:
	s_andn2_saveexec_b64 s[0:1], s[0:1]
	s_cbranch_execz .LBB66_543
; %bb.542:
	v_mov_b32_e32 v108, 25
	ds_write2_b64 v106, v[25:26], v[27:28] offset0:52 offset1:53
	ds_write2_b64 v106, v[21:22], v[23:24] offset0:54 offset1:55
	ds_write2_b64 v106, v[17:18], v[19:20] offset0:56 offset1:57
	ds_write2_b64 v106, v[13:14], v[15:16] offset0:58 offset1:59
	ds_write2_b64 v106, v[9:10], v[11:12] offset0:60 offset1:61
	ds_write2_b64 v106, v[5:6], v[7:8] offset0:62 offset1:63
	ds_write2_b64 v106, v[1:2], v[3:4] offset0:64 offset1:65
	ds_write2_b64 v106, v[93:94], v[95:96] offset0:66 offset1:67
.LBB66_543:
	s_or_b64 exec, exec, s[0:1]
	v_cmp_lt_i32_e32 vcc, 25, v108
	s_waitcnt vmcnt(0) lgkmcnt(0)
	s_barrier
	s_and_saveexec_b64 s[0:1], vcc
	s_cbranch_execz .LBB66_545
; %bb.544:
	v_mul_f64 v[109:110], v[121:122], v[31:32]
	v_mul_f64 v[31:32], v[123:124], v[31:32]
	ds_read2_b64 v[111:114], v106 offset0:52 offset1:53
	v_fma_f64 v[109:110], v[123:124], v[29:30], v[109:110]
	v_fma_f64 v[29:30], v[121:122], v[29:30], -v[31:32]
	s_waitcnt lgkmcnt(0)
	v_mul_f64 v[31:32], v[113:114], v[109:110]
	v_fma_f64 v[31:32], v[111:112], v[29:30], -v[31:32]
	v_mul_f64 v[111:112], v[111:112], v[109:110]
	v_add_f64 v[25:26], v[25:26], -v[31:32]
	v_fma_f64 v[111:112], v[113:114], v[29:30], v[111:112]
	v_add_f64 v[27:28], v[27:28], -v[111:112]
	ds_read2_b64 v[111:114], v106 offset0:54 offset1:55
	s_waitcnt lgkmcnt(0)
	v_mul_f64 v[31:32], v[113:114], v[109:110]
	v_fma_f64 v[31:32], v[111:112], v[29:30], -v[31:32]
	v_mul_f64 v[111:112], v[111:112], v[109:110]
	v_add_f64 v[21:22], v[21:22], -v[31:32]
	v_fma_f64 v[111:112], v[113:114], v[29:30], v[111:112]
	v_add_f64 v[23:24], v[23:24], -v[111:112]
	ds_read2_b64 v[111:114], v106 offset0:56 offset1:57
	;; [unrolled: 8-line block ×7, first 2 shown]
	s_waitcnt lgkmcnt(0)
	v_mul_f64 v[31:32], v[113:114], v[109:110]
	v_fma_f64 v[31:32], v[111:112], v[29:30], -v[31:32]
	v_mul_f64 v[111:112], v[111:112], v[109:110]
	v_add_f64 v[93:94], v[93:94], -v[31:32]
	v_fma_f64 v[111:112], v[113:114], v[29:30], v[111:112]
	v_mov_b32_e32 v31, v109
	v_mov_b32_e32 v32, v110
	v_add_f64 v[95:96], v[95:96], -v[111:112]
.LBB66_545:
	s_or_b64 exec, exec, s[0:1]
	v_lshl_add_u32 v109, v108, 4, v106
	s_barrier
	ds_write2_b64 v109, v[25:26], v[27:28] offset1:1
	s_waitcnt lgkmcnt(0)
	s_barrier
	ds_read2_b64 v[121:124], v106 offset0:52 offset1:53
	s_cmp_lt_i32 s3, 28
	v_mov_b32_e32 v109, 26
	s_cbranch_scc1 .LBB66_548
; %bb.546:
	v_add_u32_e32 v110, 0x1b0, v106
	s_mov_b32 s0, 27
	v_mov_b32_e32 v109, 26
.LBB66_547:                             ; =>This Inner Loop Header: Depth=1
	s_waitcnt lgkmcnt(0)
	v_cmp_gt_f64_e32 vcc, 0, v[121:122]
	v_xor_b32_e32 v115, 0x80000000, v122
	ds_read2_b64 v[111:114], v110 offset1:1
	v_xor_b32_e32 v117, 0x80000000, v124
	v_add_u32_e32 v110, 16, v110
	s_waitcnt lgkmcnt(0)
	v_xor_b32_e32 v119, 0x80000000, v114
	v_cndmask_b32_e32 v116, v122, v115, vcc
	v_cmp_gt_f64_e32 vcc, 0, v[123:124]
	v_mov_b32_e32 v115, v121
	v_cndmask_b32_e32 v118, v124, v117, vcc
	v_cmp_gt_f64_e32 vcc, 0, v[111:112]
	v_mov_b32_e32 v117, v123
	v_add_f64 v[115:116], v[115:116], v[117:118]
	v_xor_b32_e32 v117, 0x80000000, v112
	v_cndmask_b32_e32 v118, v112, v117, vcc
	v_cmp_gt_f64_e32 vcc, 0, v[113:114]
	v_mov_b32_e32 v117, v111
	v_cndmask_b32_e32 v120, v114, v119, vcc
	v_mov_b32_e32 v119, v113
	v_add_f64 v[117:118], v[117:118], v[119:120]
	v_cmp_lt_f64_e32 vcc, v[115:116], v[117:118]
	v_cndmask_b32_e32 v121, v121, v111, vcc
	v_mov_b32_e32 v111, s0
	s_add_i32 s0, s0, 1
	v_cndmask_b32_e32 v122, v122, v112, vcc
	v_cndmask_b32_e32 v124, v124, v114, vcc
	;; [unrolled: 1-line block ×4, first 2 shown]
	s_cmp_lg_u32 s3, s0
	s_cbranch_scc1 .LBB66_547
.LBB66_548:
	s_waitcnt lgkmcnt(0)
	v_cmp_eq_f64_e32 vcc, 0, v[121:122]
	v_cmp_eq_f64_e64 s[0:1], 0, v[123:124]
	s_and_b64 s[0:1], vcc, s[0:1]
	s_and_saveexec_b64 s[18:19], s[0:1]
	s_xor_b64 s[0:1], exec, s[18:19]
; %bb.549:
	v_cmp_ne_u32_e32 vcc, 0, v107
	v_cndmask_b32_e32 v107, 27, v107, vcc
; %bb.550:
	s_andn2_saveexec_b64 s[0:1], s[0:1]
	s_cbranch_execz .LBB66_556
; %bb.551:
	v_cmp_ngt_f64_e64 s[18:19], |v[121:122]|, |v[123:124]|
	s_and_saveexec_b64 s[20:21], s[18:19]
	s_xor_b64 s[18:19], exec, s[20:21]
	s_cbranch_execz .LBB66_553
; %bb.552:
	v_div_scale_f64 v[110:111], s[20:21], v[123:124], v[123:124], v[121:122]
	v_rcp_f64_e32 v[112:113], v[110:111]
	v_fma_f64 v[114:115], -v[110:111], v[112:113], 1.0
	v_fma_f64 v[112:113], v[112:113], v[114:115], v[112:113]
	v_div_scale_f64 v[114:115], vcc, v[121:122], v[123:124], v[121:122]
	v_fma_f64 v[116:117], -v[110:111], v[112:113], 1.0
	v_fma_f64 v[112:113], v[112:113], v[116:117], v[112:113]
	v_mul_f64 v[116:117], v[114:115], v[112:113]
	v_fma_f64 v[110:111], -v[110:111], v[116:117], v[114:115]
	v_div_fmas_f64 v[110:111], v[110:111], v[112:113], v[116:117]
	v_div_fixup_f64 v[110:111], v[110:111], v[123:124], v[121:122]
	v_fma_f64 v[112:113], v[121:122], v[110:111], v[123:124]
	v_div_scale_f64 v[114:115], s[20:21], v[112:113], v[112:113], 1.0
	v_div_scale_f64 v[120:121], vcc, 1.0, v[112:113], 1.0
	v_rcp_f64_e32 v[116:117], v[114:115]
	v_fma_f64 v[118:119], -v[114:115], v[116:117], 1.0
	v_fma_f64 v[116:117], v[116:117], v[118:119], v[116:117]
	v_fma_f64 v[118:119], -v[114:115], v[116:117], 1.0
	v_fma_f64 v[116:117], v[116:117], v[118:119], v[116:117]
	v_mul_f64 v[118:119], v[120:121], v[116:117]
	v_fma_f64 v[114:115], -v[114:115], v[118:119], v[120:121]
	v_div_fmas_f64 v[114:115], v[114:115], v[116:117], v[118:119]
	v_div_fixup_f64 v[123:124], v[114:115], v[112:113], 1.0
	v_mul_f64 v[121:122], v[110:111], v[123:124]
	v_xor_b32_e32 v124, 0x80000000, v124
.LBB66_553:
	s_andn2_saveexec_b64 s[18:19], s[18:19]
	s_cbranch_execz .LBB66_555
; %bb.554:
	v_div_scale_f64 v[110:111], s[20:21], v[121:122], v[121:122], v[123:124]
	v_rcp_f64_e32 v[112:113], v[110:111]
	v_fma_f64 v[114:115], -v[110:111], v[112:113], 1.0
	v_fma_f64 v[112:113], v[112:113], v[114:115], v[112:113]
	v_div_scale_f64 v[114:115], vcc, v[123:124], v[121:122], v[123:124]
	v_fma_f64 v[116:117], -v[110:111], v[112:113], 1.0
	v_fma_f64 v[112:113], v[112:113], v[116:117], v[112:113]
	v_mul_f64 v[116:117], v[114:115], v[112:113]
	v_fma_f64 v[110:111], -v[110:111], v[116:117], v[114:115]
	v_div_fmas_f64 v[110:111], v[110:111], v[112:113], v[116:117]
	v_div_fixup_f64 v[110:111], v[110:111], v[121:122], v[123:124]
	v_fma_f64 v[112:113], v[123:124], v[110:111], v[121:122]
	v_div_scale_f64 v[114:115], s[20:21], v[112:113], v[112:113], 1.0
	v_div_scale_f64 v[120:121], vcc, 1.0, v[112:113], 1.0
	v_rcp_f64_e32 v[116:117], v[114:115]
	v_fma_f64 v[118:119], -v[114:115], v[116:117], 1.0
	v_fma_f64 v[116:117], v[116:117], v[118:119], v[116:117]
	v_fma_f64 v[118:119], -v[114:115], v[116:117], 1.0
	v_fma_f64 v[116:117], v[116:117], v[118:119], v[116:117]
	v_mul_f64 v[118:119], v[120:121], v[116:117]
	v_fma_f64 v[114:115], -v[114:115], v[118:119], v[120:121]
	v_div_fmas_f64 v[114:115], v[114:115], v[116:117], v[118:119]
	v_div_fixup_f64 v[121:122], v[114:115], v[112:113], 1.0
	v_mul_f64 v[123:124], v[110:111], -v[121:122]
.LBB66_555:
	s_or_b64 exec, exec, s[18:19]
.LBB66_556:
	s_or_b64 exec, exec, s[0:1]
	v_cmp_ne_u32_e32 vcc, v108, v109
	s_and_saveexec_b64 s[0:1], vcc
	s_xor_b64 s[0:1], exec, s[0:1]
	s_cbranch_execz .LBB66_562
; %bb.557:
	v_cmp_eq_u32_e32 vcc, 26, v108
	s_and_saveexec_b64 s[18:19], vcc
	s_cbranch_execz .LBB66_561
; %bb.558:
	v_cmp_ne_u32_e32 vcc, 26, v109
	s_xor_b64 s[20:21], s[6:7], -1
	s_and_b64 s[22:23], s[20:21], vcc
	s_and_saveexec_b64 s[20:21], s[22:23]
	s_cbranch_execz .LBB66_560
; %bb.559:
	buffer_load_dword v112, off, s[24:27], 0 offset:96 ; 4-byte Folded Reload
	buffer_load_dword v113, off, s[24:27], 0 offset:100 ; 4-byte Folded Reload
	v_ashrrev_i32_e32 v110, 31, v109
	v_lshlrev_b64 v[110:111], 2, v[109:110]
	s_waitcnt vmcnt(1)
	v_add_co_u32_e32 v110, vcc, v112, v110
	s_waitcnt vmcnt(0)
	v_addc_co_u32_e32 v111, vcc, v113, v111, vcc
	global_load_dword v0, v[110:111], off
	global_load_dword v108, v[112:113], off offset:104
	s_waitcnt vmcnt(1)
	global_store_dword v[112:113], v0, off offset:104
	s_waitcnt vmcnt(1)
	global_store_dword v[110:111], v108, off
.LBB66_560:
	s_or_b64 exec, exec, s[20:21]
	v_mov_b32_e32 v108, v109
	v_mov_b32_e32 v0, v109
.LBB66_561:
	s_or_b64 exec, exec, s[18:19]
.LBB66_562:
	s_andn2_saveexec_b64 s[0:1], s[0:1]
	s_cbranch_execz .LBB66_564
; %bb.563:
	v_mov_b32_e32 v108, 26
	ds_write2_b64 v106, v[21:22], v[23:24] offset0:54 offset1:55
	ds_write2_b64 v106, v[17:18], v[19:20] offset0:56 offset1:57
	;; [unrolled: 1-line block ×7, first 2 shown]
.LBB66_564:
	s_or_b64 exec, exec, s[0:1]
	v_cmp_lt_i32_e32 vcc, 26, v108
	s_waitcnt vmcnt(0) lgkmcnt(0)
	s_barrier
	s_and_saveexec_b64 s[0:1], vcc
	s_cbranch_execz .LBB66_566
; %bb.565:
	v_mul_f64 v[109:110], v[121:122], v[27:28]
	v_mul_f64 v[27:28], v[123:124], v[27:28]
	ds_read2_b64 v[111:114], v106 offset0:54 offset1:55
	v_fma_f64 v[109:110], v[123:124], v[25:26], v[109:110]
	v_fma_f64 v[25:26], v[121:122], v[25:26], -v[27:28]
	s_waitcnt lgkmcnt(0)
	v_mul_f64 v[27:28], v[113:114], v[109:110]
	v_fma_f64 v[27:28], v[111:112], v[25:26], -v[27:28]
	v_mul_f64 v[111:112], v[111:112], v[109:110]
	v_add_f64 v[21:22], v[21:22], -v[27:28]
	v_fma_f64 v[111:112], v[113:114], v[25:26], v[111:112]
	v_add_f64 v[23:24], v[23:24], -v[111:112]
	ds_read2_b64 v[111:114], v106 offset0:56 offset1:57
	s_waitcnt lgkmcnt(0)
	v_mul_f64 v[27:28], v[113:114], v[109:110]
	v_fma_f64 v[27:28], v[111:112], v[25:26], -v[27:28]
	v_mul_f64 v[111:112], v[111:112], v[109:110]
	v_add_f64 v[17:18], v[17:18], -v[27:28]
	v_fma_f64 v[111:112], v[113:114], v[25:26], v[111:112]
	v_add_f64 v[19:20], v[19:20], -v[111:112]
	ds_read2_b64 v[111:114], v106 offset0:58 offset1:59
	;; [unrolled: 8-line block ×6, first 2 shown]
	s_waitcnt lgkmcnt(0)
	v_mul_f64 v[27:28], v[113:114], v[109:110]
	v_fma_f64 v[27:28], v[111:112], v[25:26], -v[27:28]
	v_mul_f64 v[111:112], v[111:112], v[109:110]
	v_add_f64 v[93:94], v[93:94], -v[27:28]
	v_fma_f64 v[111:112], v[113:114], v[25:26], v[111:112]
	v_mov_b32_e32 v27, v109
	v_mov_b32_e32 v28, v110
	v_add_f64 v[95:96], v[95:96], -v[111:112]
.LBB66_566:
	s_or_b64 exec, exec, s[0:1]
	v_lshl_add_u32 v109, v108, 4, v106
	s_barrier
	ds_write2_b64 v109, v[21:22], v[23:24] offset1:1
	s_waitcnt lgkmcnt(0)
	s_barrier
	ds_read2_b64 v[121:124], v106 offset0:54 offset1:55
	s_cmp_lt_i32 s3, 29
	v_mov_b32_e32 v109, 27
	s_cbranch_scc1 .LBB66_569
; %bb.567:
	v_add_u32_e32 v110, 0x1c0, v106
	s_mov_b32 s0, 28
	v_mov_b32_e32 v109, 27
.LBB66_568:                             ; =>This Inner Loop Header: Depth=1
	s_waitcnt lgkmcnt(0)
	v_cmp_gt_f64_e32 vcc, 0, v[121:122]
	v_xor_b32_e32 v115, 0x80000000, v122
	ds_read2_b64 v[111:114], v110 offset1:1
	v_xor_b32_e32 v117, 0x80000000, v124
	v_add_u32_e32 v110, 16, v110
	s_waitcnt lgkmcnt(0)
	v_xor_b32_e32 v119, 0x80000000, v114
	v_cndmask_b32_e32 v116, v122, v115, vcc
	v_cmp_gt_f64_e32 vcc, 0, v[123:124]
	v_mov_b32_e32 v115, v121
	v_cndmask_b32_e32 v118, v124, v117, vcc
	v_cmp_gt_f64_e32 vcc, 0, v[111:112]
	v_mov_b32_e32 v117, v123
	v_add_f64 v[115:116], v[115:116], v[117:118]
	v_xor_b32_e32 v117, 0x80000000, v112
	v_cndmask_b32_e32 v118, v112, v117, vcc
	v_cmp_gt_f64_e32 vcc, 0, v[113:114]
	v_mov_b32_e32 v117, v111
	v_cndmask_b32_e32 v120, v114, v119, vcc
	v_mov_b32_e32 v119, v113
	v_add_f64 v[117:118], v[117:118], v[119:120]
	v_cmp_lt_f64_e32 vcc, v[115:116], v[117:118]
	v_cndmask_b32_e32 v121, v121, v111, vcc
	v_mov_b32_e32 v111, s0
	s_add_i32 s0, s0, 1
	v_cndmask_b32_e32 v122, v122, v112, vcc
	v_cndmask_b32_e32 v124, v124, v114, vcc
	;; [unrolled: 1-line block ×4, first 2 shown]
	s_cmp_lg_u32 s3, s0
	s_cbranch_scc1 .LBB66_568
.LBB66_569:
	s_waitcnt lgkmcnt(0)
	v_cmp_eq_f64_e32 vcc, 0, v[121:122]
	v_cmp_eq_f64_e64 s[0:1], 0, v[123:124]
	s_and_b64 s[0:1], vcc, s[0:1]
	s_and_saveexec_b64 s[18:19], s[0:1]
	s_xor_b64 s[0:1], exec, s[18:19]
; %bb.570:
	v_cmp_ne_u32_e32 vcc, 0, v107
	v_cndmask_b32_e32 v107, 28, v107, vcc
; %bb.571:
	s_andn2_saveexec_b64 s[0:1], s[0:1]
	s_cbranch_execz .LBB66_577
; %bb.572:
	v_cmp_ngt_f64_e64 s[18:19], |v[121:122]|, |v[123:124]|
	s_and_saveexec_b64 s[20:21], s[18:19]
	s_xor_b64 s[18:19], exec, s[20:21]
	s_cbranch_execz .LBB66_574
; %bb.573:
	v_div_scale_f64 v[110:111], s[20:21], v[123:124], v[123:124], v[121:122]
	v_rcp_f64_e32 v[112:113], v[110:111]
	v_fma_f64 v[114:115], -v[110:111], v[112:113], 1.0
	v_fma_f64 v[112:113], v[112:113], v[114:115], v[112:113]
	v_div_scale_f64 v[114:115], vcc, v[121:122], v[123:124], v[121:122]
	v_fma_f64 v[116:117], -v[110:111], v[112:113], 1.0
	v_fma_f64 v[112:113], v[112:113], v[116:117], v[112:113]
	v_mul_f64 v[116:117], v[114:115], v[112:113]
	v_fma_f64 v[110:111], -v[110:111], v[116:117], v[114:115]
	v_div_fmas_f64 v[110:111], v[110:111], v[112:113], v[116:117]
	v_div_fixup_f64 v[110:111], v[110:111], v[123:124], v[121:122]
	v_fma_f64 v[112:113], v[121:122], v[110:111], v[123:124]
	v_div_scale_f64 v[114:115], s[20:21], v[112:113], v[112:113], 1.0
	v_div_scale_f64 v[120:121], vcc, 1.0, v[112:113], 1.0
	v_rcp_f64_e32 v[116:117], v[114:115]
	v_fma_f64 v[118:119], -v[114:115], v[116:117], 1.0
	v_fma_f64 v[116:117], v[116:117], v[118:119], v[116:117]
	v_fma_f64 v[118:119], -v[114:115], v[116:117], 1.0
	v_fma_f64 v[116:117], v[116:117], v[118:119], v[116:117]
	v_mul_f64 v[118:119], v[120:121], v[116:117]
	v_fma_f64 v[114:115], -v[114:115], v[118:119], v[120:121]
	v_div_fmas_f64 v[114:115], v[114:115], v[116:117], v[118:119]
	v_div_fixup_f64 v[123:124], v[114:115], v[112:113], 1.0
	v_mul_f64 v[121:122], v[110:111], v[123:124]
	v_xor_b32_e32 v124, 0x80000000, v124
.LBB66_574:
	s_andn2_saveexec_b64 s[18:19], s[18:19]
	s_cbranch_execz .LBB66_576
; %bb.575:
	v_div_scale_f64 v[110:111], s[20:21], v[121:122], v[121:122], v[123:124]
	v_rcp_f64_e32 v[112:113], v[110:111]
	v_fma_f64 v[114:115], -v[110:111], v[112:113], 1.0
	v_fma_f64 v[112:113], v[112:113], v[114:115], v[112:113]
	v_div_scale_f64 v[114:115], vcc, v[123:124], v[121:122], v[123:124]
	v_fma_f64 v[116:117], -v[110:111], v[112:113], 1.0
	v_fma_f64 v[112:113], v[112:113], v[116:117], v[112:113]
	v_mul_f64 v[116:117], v[114:115], v[112:113]
	v_fma_f64 v[110:111], -v[110:111], v[116:117], v[114:115]
	v_div_fmas_f64 v[110:111], v[110:111], v[112:113], v[116:117]
	v_div_fixup_f64 v[110:111], v[110:111], v[121:122], v[123:124]
	v_fma_f64 v[112:113], v[123:124], v[110:111], v[121:122]
	v_div_scale_f64 v[114:115], s[20:21], v[112:113], v[112:113], 1.0
	v_div_scale_f64 v[120:121], vcc, 1.0, v[112:113], 1.0
	v_rcp_f64_e32 v[116:117], v[114:115]
	v_fma_f64 v[118:119], -v[114:115], v[116:117], 1.0
	v_fma_f64 v[116:117], v[116:117], v[118:119], v[116:117]
	v_fma_f64 v[118:119], -v[114:115], v[116:117], 1.0
	v_fma_f64 v[116:117], v[116:117], v[118:119], v[116:117]
	v_mul_f64 v[118:119], v[120:121], v[116:117]
	v_fma_f64 v[114:115], -v[114:115], v[118:119], v[120:121]
	v_div_fmas_f64 v[114:115], v[114:115], v[116:117], v[118:119]
	v_div_fixup_f64 v[121:122], v[114:115], v[112:113], 1.0
	v_mul_f64 v[123:124], v[110:111], -v[121:122]
.LBB66_576:
	s_or_b64 exec, exec, s[18:19]
.LBB66_577:
	s_or_b64 exec, exec, s[0:1]
	v_cmp_ne_u32_e32 vcc, v108, v109
	s_and_saveexec_b64 s[0:1], vcc
	s_xor_b64 s[0:1], exec, s[0:1]
	s_cbranch_execz .LBB66_583
; %bb.578:
	v_cmp_eq_u32_e32 vcc, 27, v108
	s_and_saveexec_b64 s[18:19], vcc
	s_cbranch_execz .LBB66_582
; %bb.579:
	v_cmp_ne_u32_e32 vcc, 27, v109
	s_xor_b64 s[20:21], s[6:7], -1
	s_and_b64 s[22:23], s[20:21], vcc
	s_and_saveexec_b64 s[20:21], s[22:23]
	s_cbranch_execz .LBB66_581
; %bb.580:
	buffer_load_dword v112, off, s[24:27], 0 offset:96 ; 4-byte Folded Reload
	buffer_load_dword v113, off, s[24:27], 0 offset:100 ; 4-byte Folded Reload
	v_ashrrev_i32_e32 v110, 31, v109
	v_lshlrev_b64 v[110:111], 2, v[109:110]
	s_waitcnt vmcnt(1)
	v_add_co_u32_e32 v110, vcc, v112, v110
	s_waitcnt vmcnt(0)
	v_addc_co_u32_e32 v111, vcc, v113, v111, vcc
	global_load_dword v0, v[110:111], off
	global_load_dword v108, v[112:113], off offset:108
	s_waitcnt vmcnt(1)
	global_store_dword v[112:113], v0, off offset:108
	s_waitcnt vmcnt(1)
	global_store_dword v[110:111], v108, off
.LBB66_581:
	s_or_b64 exec, exec, s[20:21]
	v_mov_b32_e32 v108, v109
	v_mov_b32_e32 v0, v109
.LBB66_582:
	s_or_b64 exec, exec, s[18:19]
.LBB66_583:
	s_andn2_saveexec_b64 s[0:1], s[0:1]
	s_cbranch_execz .LBB66_585
; %bb.584:
	v_mov_b32_e32 v108, 27
	ds_write2_b64 v106, v[17:18], v[19:20] offset0:56 offset1:57
	ds_write2_b64 v106, v[13:14], v[15:16] offset0:58 offset1:59
	;; [unrolled: 1-line block ×6, first 2 shown]
.LBB66_585:
	s_or_b64 exec, exec, s[0:1]
	v_cmp_lt_i32_e32 vcc, 27, v108
	s_waitcnt vmcnt(0) lgkmcnt(0)
	s_barrier
	s_and_saveexec_b64 s[0:1], vcc
	s_cbranch_execz .LBB66_587
; %bb.586:
	v_mul_f64 v[109:110], v[121:122], v[23:24]
	v_mul_f64 v[23:24], v[123:124], v[23:24]
	ds_read2_b64 v[111:114], v106 offset0:56 offset1:57
	v_fma_f64 v[109:110], v[123:124], v[21:22], v[109:110]
	v_fma_f64 v[21:22], v[121:122], v[21:22], -v[23:24]
	s_waitcnt lgkmcnt(0)
	v_mul_f64 v[23:24], v[113:114], v[109:110]
	v_fma_f64 v[23:24], v[111:112], v[21:22], -v[23:24]
	v_mul_f64 v[111:112], v[111:112], v[109:110]
	v_add_f64 v[17:18], v[17:18], -v[23:24]
	v_fma_f64 v[111:112], v[113:114], v[21:22], v[111:112]
	v_add_f64 v[19:20], v[19:20], -v[111:112]
	ds_read2_b64 v[111:114], v106 offset0:58 offset1:59
	s_waitcnt lgkmcnt(0)
	v_mul_f64 v[23:24], v[113:114], v[109:110]
	v_fma_f64 v[23:24], v[111:112], v[21:22], -v[23:24]
	v_mul_f64 v[111:112], v[111:112], v[109:110]
	v_add_f64 v[13:14], v[13:14], -v[23:24]
	v_fma_f64 v[111:112], v[113:114], v[21:22], v[111:112]
	v_add_f64 v[15:16], v[15:16], -v[111:112]
	ds_read2_b64 v[111:114], v106 offset0:60 offset1:61
	;; [unrolled: 8-line block ×5, first 2 shown]
	s_waitcnt lgkmcnt(0)
	v_mul_f64 v[23:24], v[113:114], v[109:110]
	v_fma_f64 v[23:24], v[111:112], v[21:22], -v[23:24]
	v_mul_f64 v[111:112], v[111:112], v[109:110]
	v_add_f64 v[93:94], v[93:94], -v[23:24]
	v_fma_f64 v[111:112], v[113:114], v[21:22], v[111:112]
	v_mov_b32_e32 v23, v109
	v_mov_b32_e32 v24, v110
	v_add_f64 v[95:96], v[95:96], -v[111:112]
.LBB66_587:
	s_or_b64 exec, exec, s[0:1]
	v_lshl_add_u32 v109, v108, 4, v106
	s_barrier
	ds_write2_b64 v109, v[17:18], v[19:20] offset1:1
	s_waitcnt lgkmcnt(0)
	s_barrier
	ds_read2_b64 v[121:124], v106 offset0:56 offset1:57
	s_cmp_lt_i32 s3, 30
	v_mov_b32_e32 v109, 28
	s_cbranch_scc1 .LBB66_590
; %bb.588:
	v_add_u32_e32 v110, 0x1d0, v106
	s_mov_b32 s0, 29
	v_mov_b32_e32 v109, 28
.LBB66_589:                             ; =>This Inner Loop Header: Depth=1
	s_waitcnt lgkmcnt(0)
	v_cmp_gt_f64_e32 vcc, 0, v[121:122]
	v_xor_b32_e32 v115, 0x80000000, v122
	ds_read2_b64 v[111:114], v110 offset1:1
	v_xor_b32_e32 v117, 0x80000000, v124
	v_add_u32_e32 v110, 16, v110
	s_waitcnt lgkmcnt(0)
	v_xor_b32_e32 v119, 0x80000000, v114
	v_cndmask_b32_e32 v116, v122, v115, vcc
	v_cmp_gt_f64_e32 vcc, 0, v[123:124]
	v_mov_b32_e32 v115, v121
	v_cndmask_b32_e32 v118, v124, v117, vcc
	v_cmp_gt_f64_e32 vcc, 0, v[111:112]
	v_mov_b32_e32 v117, v123
	v_add_f64 v[115:116], v[115:116], v[117:118]
	v_xor_b32_e32 v117, 0x80000000, v112
	v_cndmask_b32_e32 v118, v112, v117, vcc
	v_cmp_gt_f64_e32 vcc, 0, v[113:114]
	v_mov_b32_e32 v117, v111
	v_cndmask_b32_e32 v120, v114, v119, vcc
	v_mov_b32_e32 v119, v113
	v_add_f64 v[117:118], v[117:118], v[119:120]
	v_cmp_lt_f64_e32 vcc, v[115:116], v[117:118]
	v_cndmask_b32_e32 v121, v121, v111, vcc
	v_mov_b32_e32 v111, s0
	s_add_i32 s0, s0, 1
	v_cndmask_b32_e32 v122, v122, v112, vcc
	v_cndmask_b32_e32 v124, v124, v114, vcc
	;; [unrolled: 1-line block ×4, first 2 shown]
	s_cmp_lg_u32 s3, s0
	s_cbranch_scc1 .LBB66_589
.LBB66_590:
	s_waitcnt lgkmcnt(0)
	v_cmp_eq_f64_e32 vcc, 0, v[121:122]
	v_cmp_eq_f64_e64 s[0:1], 0, v[123:124]
	s_and_b64 s[0:1], vcc, s[0:1]
	s_and_saveexec_b64 s[18:19], s[0:1]
	s_xor_b64 s[0:1], exec, s[18:19]
; %bb.591:
	v_cmp_ne_u32_e32 vcc, 0, v107
	v_cndmask_b32_e32 v107, 29, v107, vcc
; %bb.592:
	s_andn2_saveexec_b64 s[0:1], s[0:1]
	s_cbranch_execz .LBB66_598
; %bb.593:
	v_cmp_ngt_f64_e64 s[18:19], |v[121:122]|, |v[123:124]|
	s_and_saveexec_b64 s[20:21], s[18:19]
	s_xor_b64 s[18:19], exec, s[20:21]
	s_cbranch_execz .LBB66_595
; %bb.594:
	v_div_scale_f64 v[110:111], s[20:21], v[123:124], v[123:124], v[121:122]
	v_rcp_f64_e32 v[112:113], v[110:111]
	v_fma_f64 v[114:115], -v[110:111], v[112:113], 1.0
	v_fma_f64 v[112:113], v[112:113], v[114:115], v[112:113]
	v_div_scale_f64 v[114:115], vcc, v[121:122], v[123:124], v[121:122]
	v_fma_f64 v[116:117], -v[110:111], v[112:113], 1.0
	v_fma_f64 v[112:113], v[112:113], v[116:117], v[112:113]
	v_mul_f64 v[116:117], v[114:115], v[112:113]
	v_fma_f64 v[110:111], -v[110:111], v[116:117], v[114:115]
	v_div_fmas_f64 v[110:111], v[110:111], v[112:113], v[116:117]
	v_div_fixup_f64 v[110:111], v[110:111], v[123:124], v[121:122]
	v_fma_f64 v[112:113], v[121:122], v[110:111], v[123:124]
	v_div_scale_f64 v[114:115], s[20:21], v[112:113], v[112:113], 1.0
	v_div_scale_f64 v[120:121], vcc, 1.0, v[112:113], 1.0
	v_rcp_f64_e32 v[116:117], v[114:115]
	v_fma_f64 v[118:119], -v[114:115], v[116:117], 1.0
	v_fma_f64 v[116:117], v[116:117], v[118:119], v[116:117]
	v_fma_f64 v[118:119], -v[114:115], v[116:117], 1.0
	v_fma_f64 v[116:117], v[116:117], v[118:119], v[116:117]
	v_mul_f64 v[118:119], v[120:121], v[116:117]
	v_fma_f64 v[114:115], -v[114:115], v[118:119], v[120:121]
	v_div_fmas_f64 v[114:115], v[114:115], v[116:117], v[118:119]
	v_div_fixup_f64 v[123:124], v[114:115], v[112:113], 1.0
	v_mul_f64 v[121:122], v[110:111], v[123:124]
	v_xor_b32_e32 v124, 0x80000000, v124
.LBB66_595:
	s_andn2_saveexec_b64 s[18:19], s[18:19]
	s_cbranch_execz .LBB66_597
; %bb.596:
	v_div_scale_f64 v[110:111], s[20:21], v[121:122], v[121:122], v[123:124]
	v_rcp_f64_e32 v[112:113], v[110:111]
	v_fma_f64 v[114:115], -v[110:111], v[112:113], 1.0
	v_fma_f64 v[112:113], v[112:113], v[114:115], v[112:113]
	v_div_scale_f64 v[114:115], vcc, v[123:124], v[121:122], v[123:124]
	v_fma_f64 v[116:117], -v[110:111], v[112:113], 1.0
	v_fma_f64 v[112:113], v[112:113], v[116:117], v[112:113]
	v_mul_f64 v[116:117], v[114:115], v[112:113]
	v_fma_f64 v[110:111], -v[110:111], v[116:117], v[114:115]
	v_div_fmas_f64 v[110:111], v[110:111], v[112:113], v[116:117]
	v_div_fixup_f64 v[110:111], v[110:111], v[121:122], v[123:124]
	v_fma_f64 v[112:113], v[123:124], v[110:111], v[121:122]
	v_div_scale_f64 v[114:115], s[20:21], v[112:113], v[112:113], 1.0
	v_div_scale_f64 v[120:121], vcc, 1.0, v[112:113], 1.0
	v_rcp_f64_e32 v[116:117], v[114:115]
	v_fma_f64 v[118:119], -v[114:115], v[116:117], 1.0
	v_fma_f64 v[116:117], v[116:117], v[118:119], v[116:117]
	v_fma_f64 v[118:119], -v[114:115], v[116:117], 1.0
	v_fma_f64 v[116:117], v[116:117], v[118:119], v[116:117]
	v_mul_f64 v[118:119], v[120:121], v[116:117]
	v_fma_f64 v[114:115], -v[114:115], v[118:119], v[120:121]
	v_div_fmas_f64 v[114:115], v[114:115], v[116:117], v[118:119]
	v_div_fixup_f64 v[121:122], v[114:115], v[112:113], 1.0
	v_mul_f64 v[123:124], v[110:111], -v[121:122]
.LBB66_597:
	s_or_b64 exec, exec, s[18:19]
.LBB66_598:
	s_or_b64 exec, exec, s[0:1]
	v_cmp_ne_u32_e32 vcc, v108, v109
	s_and_saveexec_b64 s[0:1], vcc
	s_xor_b64 s[0:1], exec, s[0:1]
	s_cbranch_execz .LBB66_604
; %bb.599:
	v_cmp_eq_u32_e32 vcc, 28, v108
	s_and_saveexec_b64 s[18:19], vcc
	s_cbranch_execz .LBB66_603
; %bb.600:
	v_cmp_ne_u32_e32 vcc, 28, v109
	s_xor_b64 s[20:21], s[6:7], -1
	s_and_b64 s[22:23], s[20:21], vcc
	s_and_saveexec_b64 s[20:21], s[22:23]
	s_cbranch_execz .LBB66_602
; %bb.601:
	buffer_load_dword v112, off, s[24:27], 0 offset:96 ; 4-byte Folded Reload
	buffer_load_dword v113, off, s[24:27], 0 offset:100 ; 4-byte Folded Reload
	v_ashrrev_i32_e32 v110, 31, v109
	v_lshlrev_b64 v[110:111], 2, v[109:110]
	s_waitcnt vmcnt(1)
	v_add_co_u32_e32 v110, vcc, v112, v110
	s_waitcnt vmcnt(0)
	v_addc_co_u32_e32 v111, vcc, v113, v111, vcc
	global_load_dword v0, v[110:111], off
	global_load_dword v108, v[112:113], off offset:112
	s_waitcnt vmcnt(1)
	global_store_dword v[112:113], v0, off offset:112
	s_waitcnt vmcnt(1)
	global_store_dword v[110:111], v108, off
.LBB66_602:
	s_or_b64 exec, exec, s[20:21]
	v_mov_b32_e32 v108, v109
	v_mov_b32_e32 v0, v109
.LBB66_603:
	s_or_b64 exec, exec, s[18:19]
.LBB66_604:
	s_andn2_saveexec_b64 s[0:1], s[0:1]
	s_cbranch_execz .LBB66_606
; %bb.605:
	v_mov_b32_e32 v108, 28
	ds_write2_b64 v106, v[13:14], v[15:16] offset0:58 offset1:59
	ds_write2_b64 v106, v[9:10], v[11:12] offset0:60 offset1:61
	;; [unrolled: 1-line block ×5, first 2 shown]
.LBB66_606:
	s_or_b64 exec, exec, s[0:1]
	v_cmp_lt_i32_e32 vcc, 28, v108
	s_waitcnt vmcnt(0) lgkmcnt(0)
	s_barrier
	s_and_saveexec_b64 s[0:1], vcc
	s_cbranch_execz .LBB66_608
; %bb.607:
	v_mul_f64 v[109:110], v[121:122], v[19:20]
	v_mul_f64 v[19:20], v[123:124], v[19:20]
	v_fma_f64 v[113:114], v[123:124], v[17:18], v[109:110]
	ds_read2_b64 v[109:112], v106 offset0:58 offset1:59
	v_fma_f64 v[17:18], v[121:122], v[17:18], -v[19:20]
	s_waitcnt lgkmcnt(0)
	v_mul_f64 v[19:20], v[111:112], v[113:114]
	v_fma_f64 v[19:20], v[109:110], v[17:18], -v[19:20]
	v_mul_f64 v[109:110], v[109:110], v[113:114]
	v_add_f64 v[13:14], v[13:14], -v[19:20]
	v_fma_f64 v[109:110], v[111:112], v[17:18], v[109:110]
	v_add_f64 v[15:16], v[15:16], -v[109:110]
	ds_read2_b64 v[109:112], v106 offset0:60 offset1:61
	s_waitcnt lgkmcnt(0)
	v_mul_f64 v[19:20], v[111:112], v[113:114]
	v_fma_f64 v[19:20], v[109:110], v[17:18], -v[19:20]
	v_mul_f64 v[109:110], v[109:110], v[113:114]
	v_add_f64 v[9:10], v[9:10], -v[19:20]
	v_fma_f64 v[109:110], v[111:112], v[17:18], v[109:110]
	v_add_f64 v[11:12], v[11:12], -v[109:110]
	ds_read2_b64 v[109:112], v106 offset0:62 offset1:63
	;; [unrolled: 8-line block ×4, first 2 shown]
	s_waitcnt lgkmcnt(0)
	v_mul_f64 v[19:20], v[111:112], v[113:114]
	v_fma_f64 v[19:20], v[109:110], v[17:18], -v[19:20]
	v_mul_f64 v[109:110], v[109:110], v[113:114]
	v_add_f64 v[93:94], v[93:94], -v[19:20]
	v_fma_f64 v[109:110], v[111:112], v[17:18], v[109:110]
	v_mov_b32_e32 v19, v113
	v_mov_b32_e32 v20, v114
	v_add_f64 v[95:96], v[95:96], -v[109:110]
.LBB66_608:
	s_or_b64 exec, exec, s[0:1]
	v_lshl_add_u32 v109, v108, 4, v106
	s_barrier
	ds_write2_b64 v109, v[13:14], v[15:16] offset1:1
	s_waitcnt lgkmcnt(0)
	s_barrier
	ds_read2_b64 v[121:124], v106 offset0:58 offset1:59
	s_cmp_lt_i32 s3, 31
	v_mov_b32_e32 v109, 29
	s_cbranch_scc1 .LBB66_611
; %bb.609:
	v_add_u32_e32 v110, 0x1e0, v106
	s_mov_b32 s0, 30
	v_mov_b32_e32 v109, 29
.LBB66_610:                             ; =>This Inner Loop Header: Depth=1
	s_waitcnt lgkmcnt(0)
	v_cmp_gt_f64_e32 vcc, 0, v[121:122]
	v_xor_b32_e32 v115, 0x80000000, v122
	ds_read2_b64 v[111:114], v110 offset1:1
	v_xor_b32_e32 v117, 0x80000000, v124
	v_add_u32_e32 v110, 16, v110
	s_waitcnt lgkmcnt(0)
	v_xor_b32_e32 v119, 0x80000000, v114
	v_cndmask_b32_e32 v116, v122, v115, vcc
	v_cmp_gt_f64_e32 vcc, 0, v[123:124]
	v_mov_b32_e32 v115, v121
	v_cndmask_b32_e32 v118, v124, v117, vcc
	v_cmp_gt_f64_e32 vcc, 0, v[111:112]
	v_mov_b32_e32 v117, v123
	v_add_f64 v[115:116], v[115:116], v[117:118]
	v_xor_b32_e32 v117, 0x80000000, v112
	v_cndmask_b32_e32 v118, v112, v117, vcc
	v_cmp_gt_f64_e32 vcc, 0, v[113:114]
	v_mov_b32_e32 v117, v111
	v_cndmask_b32_e32 v120, v114, v119, vcc
	v_mov_b32_e32 v119, v113
	v_add_f64 v[117:118], v[117:118], v[119:120]
	v_cmp_lt_f64_e32 vcc, v[115:116], v[117:118]
	v_cndmask_b32_e32 v121, v121, v111, vcc
	v_mov_b32_e32 v111, s0
	s_add_i32 s0, s0, 1
	v_cndmask_b32_e32 v122, v122, v112, vcc
	v_cndmask_b32_e32 v124, v124, v114, vcc
	;; [unrolled: 1-line block ×4, first 2 shown]
	s_cmp_lg_u32 s3, s0
	s_cbranch_scc1 .LBB66_610
.LBB66_611:
	s_waitcnt lgkmcnt(0)
	v_cmp_eq_f64_e32 vcc, 0, v[121:122]
	v_cmp_eq_f64_e64 s[0:1], 0, v[123:124]
	s_and_b64 s[0:1], vcc, s[0:1]
	s_and_saveexec_b64 s[18:19], s[0:1]
	s_xor_b64 s[0:1], exec, s[18:19]
; %bb.612:
	v_cmp_ne_u32_e32 vcc, 0, v107
	v_cndmask_b32_e32 v107, 30, v107, vcc
; %bb.613:
	s_andn2_saveexec_b64 s[0:1], s[0:1]
	s_cbranch_execz .LBB66_619
; %bb.614:
	v_cmp_ngt_f64_e64 s[18:19], |v[121:122]|, |v[123:124]|
	s_and_saveexec_b64 s[20:21], s[18:19]
	s_xor_b64 s[18:19], exec, s[20:21]
	s_cbranch_execz .LBB66_616
; %bb.615:
	v_div_scale_f64 v[110:111], s[20:21], v[123:124], v[123:124], v[121:122]
	v_rcp_f64_e32 v[112:113], v[110:111]
	v_fma_f64 v[114:115], -v[110:111], v[112:113], 1.0
	v_fma_f64 v[112:113], v[112:113], v[114:115], v[112:113]
	v_div_scale_f64 v[114:115], vcc, v[121:122], v[123:124], v[121:122]
	v_fma_f64 v[116:117], -v[110:111], v[112:113], 1.0
	v_fma_f64 v[112:113], v[112:113], v[116:117], v[112:113]
	v_mul_f64 v[116:117], v[114:115], v[112:113]
	v_fma_f64 v[110:111], -v[110:111], v[116:117], v[114:115]
	v_div_fmas_f64 v[110:111], v[110:111], v[112:113], v[116:117]
	v_div_fixup_f64 v[110:111], v[110:111], v[123:124], v[121:122]
	v_fma_f64 v[112:113], v[121:122], v[110:111], v[123:124]
	v_div_scale_f64 v[114:115], s[20:21], v[112:113], v[112:113], 1.0
	v_div_scale_f64 v[120:121], vcc, 1.0, v[112:113], 1.0
	v_rcp_f64_e32 v[116:117], v[114:115]
	v_fma_f64 v[118:119], -v[114:115], v[116:117], 1.0
	v_fma_f64 v[116:117], v[116:117], v[118:119], v[116:117]
	v_fma_f64 v[118:119], -v[114:115], v[116:117], 1.0
	v_fma_f64 v[116:117], v[116:117], v[118:119], v[116:117]
	v_mul_f64 v[118:119], v[120:121], v[116:117]
	v_fma_f64 v[114:115], -v[114:115], v[118:119], v[120:121]
	v_div_fmas_f64 v[114:115], v[114:115], v[116:117], v[118:119]
	v_div_fixup_f64 v[123:124], v[114:115], v[112:113], 1.0
	v_mul_f64 v[121:122], v[110:111], v[123:124]
	v_xor_b32_e32 v124, 0x80000000, v124
.LBB66_616:
	s_andn2_saveexec_b64 s[18:19], s[18:19]
	s_cbranch_execz .LBB66_618
; %bb.617:
	v_div_scale_f64 v[110:111], s[20:21], v[121:122], v[121:122], v[123:124]
	v_rcp_f64_e32 v[112:113], v[110:111]
	v_fma_f64 v[114:115], -v[110:111], v[112:113], 1.0
	v_fma_f64 v[112:113], v[112:113], v[114:115], v[112:113]
	v_div_scale_f64 v[114:115], vcc, v[123:124], v[121:122], v[123:124]
	v_fma_f64 v[116:117], -v[110:111], v[112:113], 1.0
	v_fma_f64 v[112:113], v[112:113], v[116:117], v[112:113]
	v_mul_f64 v[116:117], v[114:115], v[112:113]
	v_fma_f64 v[110:111], -v[110:111], v[116:117], v[114:115]
	v_div_fmas_f64 v[110:111], v[110:111], v[112:113], v[116:117]
	v_div_fixup_f64 v[110:111], v[110:111], v[121:122], v[123:124]
	v_fma_f64 v[112:113], v[123:124], v[110:111], v[121:122]
	v_div_scale_f64 v[114:115], s[20:21], v[112:113], v[112:113], 1.0
	v_div_scale_f64 v[120:121], vcc, 1.0, v[112:113], 1.0
	v_rcp_f64_e32 v[116:117], v[114:115]
	v_fma_f64 v[118:119], -v[114:115], v[116:117], 1.0
	v_fma_f64 v[116:117], v[116:117], v[118:119], v[116:117]
	v_fma_f64 v[118:119], -v[114:115], v[116:117], 1.0
	v_fma_f64 v[116:117], v[116:117], v[118:119], v[116:117]
	v_mul_f64 v[118:119], v[120:121], v[116:117]
	v_fma_f64 v[114:115], -v[114:115], v[118:119], v[120:121]
	v_div_fmas_f64 v[114:115], v[114:115], v[116:117], v[118:119]
	v_div_fixup_f64 v[121:122], v[114:115], v[112:113], 1.0
	v_mul_f64 v[123:124], v[110:111], -v[121:122]
.LBB66_618:
	s_or_b64 exec, exec, s[18:19]
.LBB66_619:
	s_or_b64 exec, exec, s[0:1]
	v_cmp_ne_u32_e32 vcc, v108, v109
	s_and_saveexec_b64 s[0:1], vcc
	s_xor_b64 s[0:1], exec, s[0:1]
	s_cbranch_execz .LBB66_625
; %bb.620:
	v_cmp_eq_u32_e32 vcc, 29, v108
	s_and_saveexec_b64 s[18:19], vcc
	s_cbranch_execz .LBB66_624
; %bb.621:
	v_cmp_ne_u32_e32 vcc, 29, v109
	s_xor_b64 s[20:21], s[6:7], -1
	s_and_b64 s[22:23], s[20:21], vcc
	s_and_saveexec_b64 s[20:21], s[22:23]
	s_cbranch_execz .LBB66_623
; %bb.622:
	buffer_load_dword v112, off, s[24:27], 0 offset:96 ; 4-byte Folded Reload
	buffer_load_dword v113, off, s[24:27], 0 offset:100 ; 4-byte Folded Reload
	v_ashrrev_i32_e32 v110, 31, v109
	v_lshlrev_b64 v[110:111], 2, v[109:110]
	s_waitcnt vmcnt(1)
	v_add_co_u32_e32 v110, vcc, v112, v110
	s_waitcnt vmcnt(0)
	v_addc_co_u32_e32 v111, vcc, v113, v111, vcc
	global_load_dword v0, v[110:111], off
	global_load_dword v108, v[112:113], off offset:116
	s_waitcnt vmcnt(1)
	global_store_dword v[112:113], v0, off offset:116
	s_waitcnt vmcnt(1)
	global_store_dword v[110:111], v108, off
.LBB66_623:
	s_or_b64 exec, exec, s[20:21]
	v_mov_b32_e32 v108, v109
	v_mov_b32_e32 v0, v109
.LBB66_624:
	s_or_b64 exec, exec, s[18:19]
.LBB66_625:
	s_andn2_saveexec_b64 s[0:1], s[0:1]
	s_cbranch_execz .LBB66_627
; %bb.626:
	v_mov_b32_e32 v108, 29
	ds_write2_b64 v106, v[9:10], v[11:12] offset0:60 offset1:61
	ds_write2_b64 v106, v[5:6], v[7:8] offset0:62 offset1:63
	;; [unrolled: 1-line block ×4, first 2 shown]
.LBB66_627:
	s_or_b64 exec, exec, s[0:1]
	v_cmp_lt_i32_e32 vcc, 29, v108
	s_waitcnt vmcnt(0) lgkmcnt(0)
	s_barrier
	s_and_saveexec_b64 s[0:1], vcc
	s_cbranch_execz .LBB66_629
; %bb.628:
	v_mul_f64 v[109:110], v[121:122], v[15:16]
	v_mul_f64 v[15:16], v[123:124], v[15:16]
	v_fma_f64 v[113:114], v[123:124], v[13:14], v[109:110]
	ds_read2_b64 v[109:112], v106 offset0:60 offset1:61
	v_fma_f64 v[13:14], v[121:122], v[13:14], -v[15:16]
	s_waitcnt lgkmcnt(0)
	v_mul_f64 v[15:16], v[111:112], v[113:114]
	v_fma_f64 v[15:16], v[109:110], v[13:14], -v[15:16]
	v_mul_f64 v[109:110], v[109:110], v[113:114]
	v_add_f64 v[9:10], v[9:10], -v[15:16]
	v_fma_f64 v[109:110], v[111:112], v[13:14], v[109:110]
	v_add_f64 v[11:12], v[11:12], -v[109:110]
	ds_read2_b64 v[109:112], v106 offset0:62 offset1:63
	s_waitcnt lgkmcnt(0)
	v_mul_f64 v[15:16], v[111:112], v[113:114]
	v_fma_f64 v[15:16], v[109:110], v[13:14], -v[15:16]
	v_mul_f64 v[109:110], v[109:110], v[113:114]
	v_add_f64 v[5:6], v[5:6], -v[15:16]
	v_fma_f64 v[109:110], v[111:112], v[13:14], v[109:110]
	v_add_f64 v[7:8], v[7:8], -v[109:110]
	ds_read2_b64 v[109:112], v106 offset0:64 offset1:65
	;; [unrolled: 8-line block ×3, first 2 shown]
	s_waitcnt lgkmcnt(0)
	v_mul_f64 v[15:16], v[111:112], v[113:114]
	v_fma_f64 v[15:16], v[109:110], v[13:14], -v[15:16]
	v_mul_f64 v[109:110], v[109:110], v[113:114]
	v_add_f64 v[93:94], v[93:94], -v[15:16]
	v_fma_f64 v[109:110], v[111:112], v[13:14], v[109:110]
	v_mov_b32_e32 v15, v113
	v_mov_b32_e32 v16, v114
	v_add_f64 v[95:96], v[95:96], -v[109:110]
.LBB66_629:
	s_or_b64 exec, exec, s[0:1]
	v_lshl_add_u32 v109, v108, 4, v106
	s_barrier
	ds_write2_b64 v109, v[9:10], v[11:12] offset1:1
	s_waitcnt lgkmcnt(0)
	s_barrier
	ds_read2_b64 v[121:124], v106 offset0:60 offset1:61
	s_cmp_lt_i32 s3, 32
	v_mov_b32_e32 v109, 30
	s_cbranch_scc1 .LBB66_632
; %bb.630:
	v_add_u32_e32 v110, 0x1f0, v106
	s_mov_b32 s0, 31
	v_mov_b32_e32 v109, 30
.LBB66_631:                             ; =>This Inner Loop Header: Depth=1
	s_waitcnt lgkmcnt(0)
	v_cmp_gt_f64_e32 vcc, 0, v[121:122]
	v_xor_b32_e32 v115, 0x80000000, v122
	ds_read2_b64 v[111:114], v110 offset1:1
	v_xor_b32_e32 v117, 0x80000000, v124
	v_add_u32_e32 v110, 16, v110
	s_waitcnt lgkmcnt(0)
	v_xor_b32_e32 v119, 0x80000000, v114
	v_cndmask_b32_e32 v116, v122, v115, vcc
	v_cmp_gt_f64_e32 vcc, 0, v[123:124]
	v_mov_b32_e32 v115, v121
	v_cndmask_b32_e32 v118, v124, v117, vcc
	v_cmp_gt_f64_e32 vcc, 0, v[111:112]
	v_mov_b32_e32 v117, v123
	v_add_f64 v[115:116], v[115:116], v[117:118]
	v_xor_b32_e32 v117, 0x80000000, v112
	v_cndmask_b32_e32 v118, v112, v117, vcc
	v_cmp_gt_f64_e32 vcc, 0, v[113:114]
	v_mov_b32_e32 v117, v111
	v_cndmask_b32_e32 v120, v114, v119, vcc
	v_mov_b32_e32 v119, v113
	v_add_f64 v[117:118], v[117:118], v[119:120]
	v_cmp_lt_f64_e32 vcc, v[115:116], v[117:118]
	v_cndmask_b32_e32 v121, v121, v111, vcc
	v_mov_b32_e32 v111, s0
	s_add_i32 s0, s0, 1
	v_cndmask_b32_e32 v122, v122, v112, vcc
	v_cndmask_b32_e32 v124, v124, v114, vcc
	;; [unrolled: 1-line block ×4, first 2 shown]
	s_cmp_lg_u32 s3, s0
	s_cbranch_scc1 .LBB66_631
.LBB66_632:
	s_waitcnt lgkmcnt(0)
	v_cmp_eq_f64_e32 vcc, 0, v[121:122]
	v_cmp_eq_f64_e64 s[0:1], 0, v[123:124]
	s_and_b64 s[0:1], vcc, s[0:1]
	s_and_saveexec_b64 s[18:19], s[0:1]
	s_xor_b64 s[0:1], exec, s[18:19]
; %bb.633:
	v_cmp_ne_u32_e32 vcc, 0, v107
	v_cndmask_b32_e32 v107, 31, v107, vcc
; %bb.634:
	s_andn2_saveexec_b64 s[0:1], s[0:1]
	s_cbranch_execz .LBB66_640
; %bb.635:
	v_cmp_ngt_f64_e64 s[18:19], |v[121:122]|, |v[123:124]|
	s_and_saveexec_b64 s[20:21], s[18:19]
	s_xor_b64 s[18:19], exec, s[20:21]
	s_cbranch_execz .LBB66_637
; %bb.636:
	v_div_scale_f64 v[110:111], s[20:21], v[123:124], v[123:124], v[121:122]
	v_rcp_f64_e32 v[112:113], v[110:111]
	v_fma_f64 v[114:115], -v[110:111], v[112:113], 1.0
	v_fma_f64 v[112:113], v[112:113], v[114:115], v[112:113]
	v_div_scale_f64 v[114:115], vcc, v[121:122], v[123:124], v[121:122]
	v_fma_f64 v[116:117], -v[110:111], v[112:113], 1.0
	v_fma_f64 v[112:113], v[112:113], v[116:117], v[112:113]
	v_mul_f64 v[116:117], v[114:115], v[112:113]
	v_fma_f64 v[110:111], -v[110:111], v[116:117], v[114:115]
	v_div_fmas_f64 v[110:111], v[110:111], v[112:113], v[116:117]
	v_div_fixup_f64 v[110:111], v[110:111], v[123:124], v[121:122]
	v_fma_f64 v[112:113], v[121:122], v[110:111], v[123:124]
	v_div_scale_f64 v[114:115], s[20:21], v[112:113], v[112:113], 1.0
	v_div_scale_f64 v[120:121], vcc, 1.0, v[112:113], 1.0
	v_rcp_f64_e32 v[116:117], v[114:115]
	v_fma_f64 v[118:119], -v[114:115], v[116:117], 1.0
	v_fma_f64 v[116:117], v[116:117], v[118:119], v[116:117]
	v_fma_f64 v[118:119], -v[114:115], v[116:117], 1.0
	v_fma_f64 v[116:117], v[116:117], v[118:119], v[116:117]
	v_mul_f64 v[118:119], v[120:121], v[116:117]
	v_fma_f64 v[114:115], -v[114:115], v[118:119], v[120:121]
	v_div_fmas_f64 v[114:115], v[114:115], v[116:117], v[118:119]
	v_div_fixup_f64 v[123:124], v[114:115], v[112:113], 1.0
	v_mul_f64 v[121:122], v[110:111], v[123:124]
	v_xor_b32_e32 v124, 0x80000000, v124
.LBB66_637:
	s_andn2_saveexec_b64 s[18:19], s[18:19]
	s_cbranch_execz .LBB66_639
; %bb.638:
	v_div_scale_f64 v[110:111], s[20:21], v[121:122], v[121:122], v[123:124]
	v_rcp_f64_e32 v[112:113], v[110:111]
	v_fma_f64 v[114:115], -v[110:111], v[112:113], 1.0
	v_fma_f64 v[112:113], v[112:113], v[114:115], v[112:113]
	v_div_scale_f64 v[114:115], vcc, v[123:124], v[121:122], v[123:124]
	v_fma_f64 v[116:117], -v[110:111], v[112:113], 1.0
	v_fma_f64 v[112:113], v[112:113], v[116:117], v[112:113]
	v_mul_f64 v[116:117], v[114:115], v[112:113]
	v_fma_f64 v[110:111], -v[110:111], v[116:117], v[114:115]
	v_div_fmas_f64 v[110:111], v[110:111], v[112:113], v[116:117]
	v_div_fixup_f64 v[110:111], v[110:111], v[121:122], v[123:124]
	v_fma_f64 v[112:113], v[123:124], v[110:111], v[121:122]
	v_div_scale_f64 v[114:115], s[20:21], v[112:113], v[112:113], 1.0
	v_div_scale_f64 v[120:121], vcc, 1.0, v[112:113], 1.0
	v_rcp_f64_e32 v[116:117], v[114:115]
	v_fma_f64 v[118:119], -v[114:115], v[116:117], 1.0
	v_fma_f64 v[116:117], v[116:117], v[118:119], v[116:117]
	v_fma_f64 v[118:119], -v[114:115], v[116:117], 1.0
	v_fma_f64 v[116:117], v[116:117], v[118:119], v[116:117]
	v_mul_f64 v[118:119], v[120:121], v[116:117]
	v_fma_f64 v[114:115], -v[114:115], v[118:119], v[120:121]
	v_div_fmas_f64 v[114:115], v[114:115], v[116:117], v[118:119]
	v_div_fixup_f64 v[121:122], v[114:115], v[112:113], 1.0
	v_mul_f64 v[123:124], v[110:111], -v[121:122]
.LBB66_639:
	s_or_b64 exec, exec, s[18:19]
.LBB66_640:
	s_or_b64 exec, exec, s[0:1]
	v_cmp_ne_u32_e32 vcc, v108, v109
	s_and_saveexec_b64 s[0:1], vcc
	s_xor_b64 s[0:1], exec, s[0:1]
	s_cbranch_execz .LBB66_646
; %bb.641:
	v_cmp_eq_u32_e32 vcc, 30, v108
	s_and_saveexec_b64 s[18:19], vcc
	s_cbranch_execz .LBB66_645
; %bb.642:
	v_cmp_ne_u32_e32 vcc, 30, v109
	s_xor_b64 s[20:21], s[6:7], -1
	s_and_b64 s[22:23], s[20:21], vcc
	s_and_saveexec_b64 s[20:21], s[22:23]
	s_cbranch_execz .LBB66_644
; %bb.643:
	buffer_load_dword v112, off, s[24:27], 0 offset:96 ; 4-byte Folded Reload
	buffer_load_dword v113, off, s[24:27], 0 offset:100 ; 4-byte Folded Reload
	v_ashrrev_i32_e32 v110, 31, v109
	v_lshlrev_b64 v[110:111], 2, v[109:110]
	s_waitcnt vmcnt(1)
	v_add_co_u32_e32 v110, vcc, v112, v110
	s_waitcnt vmcnt(0)
	v_addc_co_u32_e32 v111, vcc, v113, v111, vcc
	global_load_dword v0, v[110:111], off
	global_load_dword v108, v[112:113], off offset:120
	s_waitcnt vmcnt(1)
	global_store_dword v[112:113], v0, off offset:120
	s_waitcnt vmcnt(1)
	global_store_dword v[110:111], v108, off
.LBB66_644:
	s_or_b64 exec, exec, s[20:21]
	v_mov_b32_e32 v108, v109
	v_mov_b32_e32 v0, v109
.LBB66_645:
	s_or_b64 exec, exec, s[18:19]
.LBB66_646:
	s_andn2_saveexec_b64 s[0:1], s[0:1]
	s_cbranch_execz .LBB66_648
; %bb.647:
	v_mov_b32_e32 v108, 30
	ds_write2_b64 v106, v[5:6], v[7:8] offset0:62 offset1:63
	ds_write2_b64 v106, v[1:2], v[3:4] offset0:64 offset1:65
	;; [unrolled: 1-line block ×3, first 2 shown]
.LBB66_648:
	s_or_b64 exec, exec, s[0:1]
	v_cmp_lt_i32_e32 vcc, 30, v108
	s_waitcnt vmcnt(0) lgkmcnt(0)
	s_barrier
	s_and_saveexec_b64 s[0:1], vcc
	s_cbranch_execz .LBB66_650
; %bb.649:
	v_mul_f64 v[109:110], v[121:122], v[11:12]
	v_mul_f64 v[11:12], v[123:124], v[11:12]
	v_fma_f64 v[113:114], v[123:124], v[9:10], v[109:110]
	ds_read2_b64 v[109:112], v106 offset0:62 offset1:63
	v_fma_f64 v[9:10], v[121:122], v[9:10], -v[11:12]
	s_waitcnt lgkmcnt(0)
	v_mul_f64 v[11:12], v[111:112], v[113:114]
	v_fma_f64 v[11:12], v[109:110], v[9:10], -v[11:12]
	v_mul_f64 v[109:110], v[109:110], v[113:114]
	v_add_f64 v[5:6], v[5:6], -v[11:12]
	v_fma_f64 v[109:110], v[111:112], v[9:10], v[109:110]
	v_add_f64 v[7:8], v[7:8], -v[109:110]
	ds_read2_b64 v[109:112], v106 offset0:64 offset1:65
	s_waitcnt lgkmcnt(0)
	v_mul_f64 v[11:12], v[111:112], v[113:114]
	v_fma_f64 v[11:12], v[109:110], v[9:10], -v[11:12]
	v_mul_f64 v[109:110], v[109:110], v[113:114]
	v_add_f64 v[1:2], v[1:2], -v[11:12]
	v_fma_f64 v[109:110], v[111:112], v[9:10], v[109:110]
	v_add_f64 v[3:4], v[3:4], -v[109:110]
	ds_read2_b64 v[109:112], v106 offset0:66 offset1:67
	s_waitcnt lgkmcnt(0)
	v_mul_f64 v[11:12], v[111:112], v[113:114]
	v_fma_f64 v[11:12], v[109:110], v[9:10], -v[11:12]
	v_mul_f64 v[109:110], v[109:110], v[113:114]
	v_add_f64 v[93:94], v[93:94], -v[11:12]
	v_fma_f64 v[109:110], v[111:112], v[9:10], v[109:110]
	v_mov_b32_e32 v11, v113
	v_mov_b32_e32 v12, v114
	v_add_f64 v[95:96], v[95:96], -v[109:110]
.LBB66_650:
	s_or_b64 exec, exec, s[0:1]
	v_lshl_add_u32 v109, v108, 4, v106
	s_barrier
	ds_write2_b64 v109, v[5:6], v[7:8] offset1:1
	s_waitcnt lgkmcnt(0)
	s_barrier
	ds_read2_b64 v[121:124], v106 offset0:62 offset1:63
	s_cmp_lt_i32 s3, 33
	v_mov_b32_e32 v109, 31
	s_cbranch_scc1 .LBB66_653
; %bb.651:
	v_add_u32_e32 v110, 0x200, v106
	s_mov_b32 s0, 32
	v_mov_b32_e32 v109, 31
.LBB66_652:                             ; =>This Inner Loop Header: Depth=1
	s_waitcnt lgkmcnt(0)
	v_cmp_gt_f64_e32 vcc, 0, v[121:122]
	v_xor_b32_e32 v115, 0x80000000, v122
	ds_read2_b64 v[111:114], v110 offset1:1
	v_xor_b32_e32 v117, 0x80000000, v124
	v_add_u32_e32 v110, 16, v110
	s_waitcnt lgkmcnt(0)
	v_xor_b32_e32 v119, 0x80000000, v114
	v_cndmask_b32_e32 v116, v122, v115, vcc
	v_cmp_gt_f64_e32 vcc, 0, v[123:124]
	v_mov_b32_e32 v115, v121
	v_cndmask_b32_e32 v118, v124, v117, vcc
	v_cmp_gt_f64_e32 vcc, 0, v[111:112]
	v_mov_b32_e32 v117, v123
	v_add_f64 v[115:116], v[115:116], v[117:118]
	v_xor_b32_e32 v117, 0x80000000, v112
	v_cndmask_b32_e32 v118, v112, v117, vcc
	v_cmp_gt_f64_e32 vcc, 0, v[113:114]
	v_mov_b32_e32 v117, v111
	v_cndmask_b32_e32 v120, v114, v119, vcc
	v_mov_b32_e32 v119, v113
	v_add_f64 v[117:118], v[117:118], v[119:120]
	v_cmp_lt_f64_e32 vcc, v[115:116], v[117:118]
	v_cndmask_b32_e32 v121, v121, v111, vcc
	v_mov_b32_e32 v111, s0
	s_add_i32 s0, s0, 1
	v_cndmask_b32_e32 v122, v122, v112, vcc
	v_cndmask_b32_e32 v124, v124, v114, vcc
	;; [unrolled: 1-line block ×4, first 2 shown]
	s_cmp_lg_u32 s3, s0
	s_cbranch_scc1 .LBB66_652
.LBB66_653:
	s_waitcnt lgkmcnt(0)
	v_cmp_eq_f64_e32 vcc, 0, v[121:122]
	v_cmp_eq_f64_e64 s[0:1], 0, v[123:124]
	s_and_b64 s[0:1], vcc, s[0:1]
	s_and_saveexec_b64 s[18:19], s[0:1]
	s_xor_b64 s[0:1], exec, s[18:19]
; %bb.654:
	v_cmp_ne_u32_e32 vcc, 0, v107
	v_cndmask_b32_e32 v107, 32, v107, vcc
; %bb.655:
	s_andn2_saveexec_b64 s[0:1], s[0:1]
	s_cbranch_execz .LBB66_661
; %bb.656:
	v_cmp_ngt_f64_e64 s[18:19], |v[121:122]|, |v[123:124]|
	s_and_saveexec_b64 s[20:21], s[18:19]
	s_xor_b64 s[18:19], exec, s[20:21]
	s_cbranch_execz .LBB66_658
; %bb.657:
	v_div_scale_f64 v[110:111], s[20:21], v[123:124], v[123:124], v[121:122]
	v_rcp_f64_e32 v[112:113], v[110:111]
	v_fma_f64 v[114:115], -v[110:111], v[112:113], 1.0
	v_fma_f64 v[112:113], v[112:113], v[114:115], v[112:113]
	v_div_scale_f64 v[114:115], vcc, v[121:122], v[123:124], v[121:122]
	v_fma_f64 v[116:117], -v[110:111], v[112:113], 1.0
	v_fma_f64 v[112:113], v[112:113], v[116:117], v[112:113]
	v_mul_f64 v[116:117], v[114:115], v[112:113]
	v_fma_f64 v[110:111], -v[110:111], v[116:117], v[114:115]
	v_div_fmas_f64 v[110:111], v[110:111], v[112:113], v[116:117]
	v_div_fixup_f64 v[110:111], v[110:111], v[123:124], v[121:122]
	v_fma_f64 v[112:113], v[121:122], v[110:111], v[123:124]
	v_div_scale_f64 v[114:115], s[20:21], v[112:113], v[112:113], 1.0
	v_div_scale_f64 v[120:121], vcc, 1.0, v[112:113], 1.0
	v_rcp_f64_e32 v[116:117], v[114:115]
	v_fma_f64 v[118:119], -v[114:115], v[116:117], 1.0
	v_fma_f64 v[116:117], v[116:117], v[118:119], v[116:117]
	v_fma_f64 v[118:119], -v[114:115], v[116:117], 1.0
	v_fma_f64 v[116:117], v[116:117], v[118:119], v[116:117]
	v_mul_f64 v[118:119], v[120:121], v[116:117]
	v_fma_f64 v[114:115], -v[114:115], v[118:119], v[120:121]
	v_div_fmas_f64 v[114:115], v[114:115], v[116:117], v[118:119]
	v_div_fixup_f64 v[123:124], v[114:115], v[112:113], 1.0
	v_mul_f64 v[121:122], v[110:111], v[123:124]
	v_xor_b32_e32 v124, 0x80000000, v124
.LBB66_658:
	s_andn2_saveexec_b64 s[18:19], s[18:19]
	s_cbranch_execz .LBB66_660
; %bb.659:
	v_div_scale_f64 v[110:111], s[20:21], v[121:122], v[121:122], v[123:124]
	v_rcp_f64_e32 v[112:113], v[110:111]
	v_fma_f64 v[114:115], -v[110:111], v[112:113], 1.0
	v_fma_f64 v[112:113], v[112:113], v[114:115], v[112:113]
	v_div_scale_f64 v[114:115], vcc, v[123:124], v[121:122], v[123:124]
	v_fma_f64 v[116:117], -v[110:111], v[112:113], 1.0
	v_fma_f64 v[112:113], v[112:113], v[116:117], v[112:113]
	v_mul_f64 v[116:117], v[114:115], v[112:113]
	v_fma_f64 v[110:111], -v[110:111], v[116:117], v[114:115]
	v_div_fmas_f64 v[110:111], v[110:111], v[112:113], v[116:117]
	v_div_fixup_f64 v[110:111], v[110:111], v[121:122], v[123:124]
	v_fma_f64 v[112:113], v[123:124], v[110:111], v[121:122]
	v_div_scale_f64 v[114:115], s[20:21], v[112:113], v[112:113], 1.0
	v_div_scale_f64 v[120:121], vcc, 1.0, v[112:113], 1.0
	v_rcp_f64_e32 v[116:117], v[114:115]
	v_fma_f64 v[118:119], -v[114:115], v[116:117], 1.0
	v_fma_f64 v[116:117], v[116:117], v[118:119], v[116:117]
	v_fma_f64 v[118:119], -v[114:115], v[116:117], 1.0
	v_fma_f64 v[116:117], v[116:117], v[118:119], v[116:117]
	v_mul_f64 v[118:119], v[120:121], v[116:117]
	v_fma_f64 v[114:115], -v[114:115], v[118:119], v[120:121]
	v_div_fmas_f64 v[114:115], v[114:115], v[116:117], v[118:119]
	v_div_fixup_f64 v[121:122], v[114:115], v[112:113], 1.0
	v_mul_f64 v[123:124], v[110:111], -v[121:122]
.LBB66_660:
	s_or_b64 exec, exec, s[18:19]
.LBB66_661:
	s_or_b64 exec, exec, s[0:1]
	v_cmp_ne_u32_e32 vcc, v108, v109
	s_and_saveexec_b64 s[0:1], vcc
	s_xor_b64 s[0:1], exec, s[0:1]
	s_cbranch_execz .LBB66_667
; %bb.662:
	v_cmp_eq_u32_e32 vcc, 31, v108
	s_and_saveexec_b64 s[18:19], vcc
	s_cbranch_execz .LBB66_666
; %bb.663:
	v_cmp_ne_u32_e32 vcc, 31, v109
	s_xor_b64 s[20:21], s[6:7], -1
	s_and_b64 s[22:23], s[20:21], vcc
	s_and_saveexec_b64 s[20:21], s[22:23]
	s_cbranch_execz .LBB66_665
; %bb.664:
	buffer_load_dword v112, off, s[24:27], 0 offset:96 ; 4-byte Folded Reload
	buffer_load_dword v113, off, s[24:27], 0 offset:100 ; 4-byte Folded Reload
	v_ashrrev_i32_e32 v110, 31, v109
	v_lshlrev_b64 v[110:111], 2, v[109:110]
	s_waitcnt vmcnt(1)
	v_add_co_u32_e32 v110, vcc, v112, v110
	s_waitcnt vmcnt(0)
	v_addc_co_u32_e32 v111, vcc, v113, v111, vcc
	global_load_dword v0, v[110:111], off
	global_load_dword v108, v[112:113], off offset:124
	s_waitcnt vmcnt(1)
	global_store_dword v[112:113], v0, off offset:124
	s_waitcnt vmcnt(1)
	global_store_dword v[110:111], v108, off
.LBB66_665:
	s_or_b64 exec, exec, s[20:21]
	v_mov_b32_e32 v108, v109
	v_mov_b32_e32 v0, v109
.LBB66_666:
	s_or_b64 exec, exec, s[18:19]
.LBB66_667:
	s_andn2_saveexec_b64 s[0:1], s[0:1]
	s_cbranch_execz .LBB66_669
; %bb.668:
	v_mov_b32_e32 v108, 31
	ds_write2_b64 v106, v[1:2], v[3:4] offset0:64 offset1:65
	ds_write2_b64 v106, v[93:94], v[95:96] offset0:66 offset1:67
.LBB66_669:
	s_or_b64 exec, exec, s[0:1]
	v_cmp_lt_i32_e32 vcc, 31, v108
	s_waitcnt vmcnt(0) lgkmcnt(0)
	s_barrier
	s_and_saveexec_b64 s[0:1], vcc
	s_cbranch_execz .LBB66_671
; %bb.670:
	v_mul_f64 v[109:110], v[121:122], v[7:8]
	v_mul_f64 v[7:8], v[123:124], v[7:8]
	v_fma_f64 v[113:114], v[123:124], v[5:6], v[109:110]
	ds_read2_b64 v[109:112], v106 offset0:64 offset1:65
	v_fma_f64 v[5:6], v[121:122], v[5:6], -v[7:8]
	s_waitcnt lgkmcnt(0)
	v_mul_f64 v[7:8], v[111:112], v[113:114]
	v_fma_f64 v[7:8], v[109:110], v[5:6], -v[7:8]
	v_mul_f64 v[109:110], v[109:110], v[113:114]
	v_add_f64 v[1:2], v[1:2], -v[7:8]
	v_fma_f64 v[109:110], v[111:112], v[5:6], v[109:110]
	v_add_f64 v[3:4], v[3:4], -v[109:110]
	ds_read2_b64 v[109:112], v106 offset0:66 offset1:67
	s_waitcnt lgkmcnt(0)
	v_mul_f64 v[7:8], v[111:112], v[113:114]
	v_fma_f64 v[7:8], v[109:110], v[5:6], -v[7:8]
	v_mul_f64 v[109:110], v[109:110], v[113:114]
	v_add_f64 v[93:94], v[93:94], -v[7:8]
	v_fma_f64 v[109:110], v[111:112], v[5:6], v[109:110]
	v_mov_b32_e32 v7, v113
	v_mov_b32_e32 v8, v114
	v_add_f64 v[95:96], v[95:96], -v[109:110]
.LBB66_671:
	s_or_b64 exec, exec, s[0:1]
	v_lshl_add_u32 v109, v108, 4, v106
	s_barrier
	ds_write2_b64 v109, v[1:2], v[3:4] offset1:1
	s_waitcnt lgkmcnt(0)
	s_barrier
	ds_read2_b64 v[121:124], v106 offset0:64 offset1:65
	s_cmp_lt_i32 s3, 34
	v_mov_b32_e32 v109, 32
	s_cbranch_scc1 .LBB66_674
; %bb.672:
	v_add_u32_e32 v110, 0x210, v106
	s_mov_b32 s0, 33
	v_mov_b32_e32 v109, 32
.LBB66_673:                             ; =>This Inner Loop Header: Depth=1
	s_waitcnt lgkmcnt(0)
	v_cmp_gt_f64_e32 vcc, 0, v[121:122]
	v_xor_b32_e32 v115, 0x80000000, v122
	ds_read2_b64 v[111:114], v110 offset1:1
	v_xor_b32_e32 v117, 0x80000000, v124
	v_add_u32_e32 v110, 16, v110
	s_waitcnt lgkmcnt(0)
	v_xor_b32_e32 v119, 0x80000000, v114
	v_cndmask_b32_e32 v116, v122, v115, vcc
	v_cmp_gt_f64_e32 vcc, 0, v[123:124]
	v_mov_b32_e32 v115, v121
	v_cndmask_b32_e32 v118, v124, v117, vcc
	v_cmp_gt_f64_e32 vcc, 0, v[111:112]
	v_mov_b32_e32 v117, v123
	v_add_f64 v[115:116], v[115:116], v[117:118]
	v_xor_b32_e32 v117, 0x80000000, v112
	v_cndmask_b32_e32 v118, v112, v117, vcc
	v_cmp_gt_f64_e32 vcc, 0, v[113:114]
	v_mov_b32_e32 v117, v111
	v_cndmask_b32_e32 v120, v114, v119, vcc
	v_mov_b32_e32 v119, v113
	v_add_f64 v[117:118], v[117:118], v[119:120]
	v_cmp_lt_f64_e32 vcc, v[115:116], v[117:118]
	v_cndmask_b32_e32 v121, v121, v111, vcc
	v_mov_b32_e32 v111, s0
	s_add_i32 s0, s0, 1
	v_cndmask_b32_e32 v122, v122, v112, vcc
	v_cndmask_b32_e32 v124, v124, v114, vcc
	;; [unrolled: 1-line block ×4, first 2 shown]
	s_cmp_lg_u32 s3, s0
	s_cbranch_scc1 .LBB66_673
.LBB66_674:
	s_waitcnt lgkmcnt(0)
	v_cmp_eq_f64_e32 vcc, 0, v[121:122]
	v_cmp_eq_f64_e64 s[0:1], 0, v[123:124]
	s_and_b64 s[0:1], vcc, s[0:1]
	s_and_saveexec_b64 s[18:19], s[0:1]
	s_xor_b64 s[0:1], exec, s[18:19]
; %bb.675:
	v_cmp_ne_u32_e32 vcc, 0, v107
	v_cndmask_b32_e32 v107, 33, v107, vcc
; %bb.676:
	s_andn2_saveexec_b64 s[0:1], s[0:1]
	s_cbranch_execz .LBB66_682
; %bb.677:
	v_cmp_ngt_f64_e64 s[18:19], |v[121:122]|, |v[123:124]|
	s_and_saveexec_b64 s[20:21], s[18:19]
	s_xor_b64 s[18:19], exec, s[20:21]
	s_cbranch_execz .LBB66_679
; %bb.678:
	v_div_scale_f64 v[110:111], s[20:21], v[123:124], v[123:124], v[121:122]
	v_rcp_f64_e32 v[112:113], v[110:111]
	v_fma_f64 v[114:115], -v[110:111], v[112:113], 1.0
	v_fma_f64 v[112:113], v[112:113], v[114:115], v[112:113]
	v_div_scale_f64 v[114:115], vcc, v[121:122], v[123:124], v[121:122]
	v_fma_f64 v[116:117], -v[110:111], v[112:113], 1.0
	v_fma_f64 v[112:113], v[112:113], v[116:117], v[112:113]
	v_mul_f64 v[116:117], v[114:115], v[112:113]
	v_fma_f64 v[110:111], -v[110:111], v[116:117], v[114:115]
	v_div_fmas_f64 v[110:111], v[110:111], v[112:113], v[116:117]
	v_div_fixup_f64 v[110:111], v[110:111], v[123:124], v[121:122]
	v_fma_f64 v[112:113], v[121:122], v[110:111], v[123:124]
	v_div_scale_f64 v[114:115], s[20:21], v[112:113], v[112:113], 1.0
	v_div_scale_f64 v[120:121], vcc, 1.0, v[112:113], 1.0
	v_rcp_f64_e32 v[116:117], v[114:115]
	v_fma_f64 v[118:119], -v[114:115], v[116:117], 1.0
	v_fma_f64 v[116:117], v[116:117], v[118:119], v[116:117]
	v_fma_f64 v[118:119], -v[114:115], v[116:117], 1.0
	v_fma_f64 v[116:117], v[116:117], v[118:119], v[116:117]
	v_mul_f64 v[118:119], v[120:121], v[116:117]
	v_fma_f64 v[114:115], -v[114:115], v[118:119], v[120:121]
	v_div_fmas_f64 v[114:115], v[114:115], v[116:117], v[118:119]
	v_div_fixup_f64 v[123:124], v[114:115], v[112:113], 1.0
	v_mul_f64 v[121:122], v[110:111], v[123:124]
	v_xor_b32_e32 v124, 0x80000000, v124
.LBB66_679:
	s_andn2_saveexec_b64 s[18:19], s[18:19]
	s_cbranch_execz .LBB66_681
; %bb.680:
	v_div_scale_f64 v[110:111], s[20:21], v[121:122], v[121:122], v[123:124]
	v_rcp_f64_e32 v[112:113], v[110:111]
	v_fma_f64 v[114:115], -v[110:111], v[112:113], 1.0
	v_fma_f64 v[112:113], v[112:113], v[114:115], v[112:113]
	v_div_scale_f64 v[114:115], vcc, v[123:124], v[121:122], v[123:124]
	v_fma_f64 v[116:117], -v[110:111], v[112:113], 1.0
	v_fma_f64 v[112:113], v[112:113], v[116:117], v[112:113]
	v_mul_f64 v[116:117], v[114:115], v[112:113]
	v_fma_f64 v[110:111], -v[110:111], v[116:117], v[114:115]
	v_div_fmas_f64 v[110:111], v[110:111], v[112:113], v[116:117]
	v_div_fixup_f64 v[110:111], v[110:111], v[121:122], v[123:124]
	v_fma_f64 v[112:113], v[123:124], v[110:111], v[121:122]
	v_div_scale_f64 v[114:115], s[20:21], v[112:113], v[112:113], 1.0
	v_div_scale_f64 v[120:121], vcc, 1.0, v[112:113], 1.0
	v_rcp_f64_e32 v[116:117], v[114:115]
	v_fma_f64 v[118:119], -v[114:115], v[116:117], 1.0
	v_fma_f64 v[116:117], v[116:117], v[118:119], v[116:117]
	v_fma_f64 v[118:119], -v[114:115], v[116:117], 1.0
	v_fma_f64 v[116:117], v[116:117], v[118:119], v[116:117]
	v_mul_f64 v[118:119], v[120:121], v[116:117]
	v_fma_f64 v[114:115], -v[114:115], v[118:119], v[120:121]
	v_div_fmas_f64 v[114:115], v[114:115], v[116:117], v[118:119]
	v_div_fixup_f64 v[121:122], v[114:115], v[112:113], 1.0
	v_mul_f64 v[123:124], v[110:111], -v[121:122]
.LBB66_681:
	s_or_b64 exec, exec, s[18:19]
.LBB66_682:
	s_or_b64 exec, exec, s[0:1]
	v_cmp_ne_u32_e32 vcc, v108, v109
	s_and_saveexec_b64 s[0:1], vcc
	s_xor_b64 s[0:1], exec, s[0:1]
	s_cbranch_execz .LBB66_688
; %bb.683:
	v_cmp_eq_u32_e32 vcc, 32, v108
	s_and_saveexec_b64 s[18:19], vcc
	s_cbranch_execz .LBB66_687
; %bb.684:
	v_cmp_ne_u32_e32 vcc, 32, v109
	s_xor_b64 s[20:21], s[6:7], -1
	s_and_b64 s[22:23], s[20:21], vcc
	s_and_saveexec_b64 s[20:21], s[22:23]
	s_cbranch_execz .LBB66_686
; %bb.685:
	buffer_load_dword v112, off, s[24:27], 0 offset:96 ; 4-byte Folded Reload
	buffer_load_dword v113, off, s[24:27], 0 offset:100 ; 4-byte Folded Reload
	v_ashrrev_i32_e32 v110, 31, v109
	v_lshlrev_b64 v[110:111], 2, v[109:110]
	s_waitcnt vmcnt(1)
	v_add_co_u32_e32 v110, vcc, v112, v110
	s_waitcnt vmcnt(0)
	v_addc_co_u32_e32 v111, vcc, v113, v111, vcc
	global_load_dword v0, v[110:111], off
	global_load_dword v108, v[112:113], off offset:128
	s_waitcnt vmcnt(1)
	global_store_dword v[112:113], v0, off offset:128
	s_waitcnt vmcnt(1)
	global_store_dword v[110:111], v108, off
.LBB66_686:
	s_or_b64 exec, exec, s[20:21]
	v_mov_b32_e32 v108, v109
	v_mov_b32_e32 v0, v109
.LBB66_687:
	s_or_b64 exec, exec, s[18:19]
.LBB66_688:
	s_andn2_saveexec_b64 s[0:1], s[0:1]
; %bb.689:
	v_mov_b32_e32 v108, 32
	ds_write2_b64 v106, v[93:94], v[95:96] offset0:66 offset1:67
; %bb.690:
	s_or_b64 exec, exec, s[0:1]
	v_cmp_lt_i32_e32 vcc, 32, v108
	s_waitcnt vmcnt(0) lgkmcnt(0)
	s_barrier
	s_and_saveexec_b64 s[0:1], vcc
	s_cbranch_execz .LBB66_692
; %bb.691:
	v_mul_f64 v[109:110], v[121:122], v[3:4]
	v_mul_f64 v[3:4], v[123:124], v[3:4]
	v_fma_f64 v[113:114], v[123:124], v[1:2], v[109:110]
	ds_read2_b64 v[109:112], v106 offset0:66 offset1:67
	v_fma_f64 v[1:2], v[121:122], v[1:2], -v[3:4]
	s_waitcnt lgkmcnt(0)
	v_mul_f64 v[3:4], v[111:112], v[113:114]
	v_fma_f64 v[3:4], v[109:110], v[1:2], -v[3:4]
	v_mul_f64 v[109:110], v[109:110], v[113:114]
	v_add_f64 v[93:94], v[93:94], -v[3:4]
	v_fma_f64 v[109:110], v[111:112], v[1:2], v[109:110]
	v_mov_b32_e32 v3, v113
	v_mov_b32_e32 v4, v114
	v_add_f64 v[95:96], v[95:96], -v[109:110]
.LBB66_692:
	s_or_b64 exec, exec, s[0:1]
	v_lshl_add_u32 v109, v108, 4, v106
	s_barrier
	ds_write2_b64 v109, v[93:94], v[95:96] offset1:1
	s_waitcnt lgkmcnt(0)
	s_barrier
	ds_read2_b64 v[121:124], v106 offset0:66 offset1:67
	s_cmp_lt_i32 s3, 35
	v_mov_b32_e32 v109, 33
	s_cbranch_scc1 .LBB66_695
; %bb.693:
	v_add_u32_e32 v106, 0x220, v106
	s_mov_b32 s0, 34
	v_mov_b32_e32 v109, 33
.LBB66_694:                             ; =>This Inner Loop Header: Depth=1
	s_waitcnt lgkmcnt(0)
	v_cmp_gt_f64_e32 vcc, 0, v[121:122]
	v_xor_b32_e32 v114, 0x80000000, v122
	ds_read2_b64 v[110:113], v106 offset1:1
	v_xor_b32_e32 v116, 0x80000000, v124
	v_add_u32_e32 v106, 16, v106
	s_waitcnt lgkmcnt(0)
	v_xor_b32_e32 v118, 0x80000000, v113
	v_cndmask_b32_e32 v115, v122, v114, vcc
	v_cmp_gt_f64_e32 vcc, 0, v[123:124]
	v_mov_b32_e32 v114, v121
	v_cndmask_b32_e32 v117, v124, v116, vcc
	v_cmp_gt_f64_e32 vcc, 0, v[110:111]
	v_mov_b32_e32 v116, v123
	v_add_f64 v[114:115], v[114:115], v[116:117]
	v_xor_b32_e32 v116, 0x80000000, v111
	v_cndmask_b32_e32 v117, v111, v116, vcc
	v_cmp_gt_f64_e32 vcc, 0, v[112:113]
	v_mov_b32_e32 v116, v110
	v_cndmask_b32_e32 v119, v113, v118, vcc
	v_mov_b32_e32 v118, v112
	v_add_f64 v[116:117], v[116:117], v[118:119]
	v_cmp_lt_f64_e32 vcc, v[114:115], v[116:117]
	v_cndmask_b32_e32 v121, v121, v110, vcc
	v_mov_b32_e32 v110, s0
	s_add_i32 s0, s0, 1
	v_cndmask_b32_e32 v122, v122, v111, vcc
	v_cndmask_b32_e32 v124, v124, v113, vcc
	;; [unrolled: 1-line block ×4, first 2 shown]
	s_cmp_lg_u32 s3, s0
	s_cbranch_scc1 .LBB66_694
.LBB66_695:
	s_waitcnt lgkmcnt(0)
	v_cmp_eq_f64_e32 vcc, 0, v[121:122]
	v_cmp_eq_f64_e64 s[0:1], 0, v[123:124]
	s_and_b64 s[0:1], vcc, s[0:1]
	s_and_saveexec_b64 s[18:19], s[0:1]
	s_xor_b64 s[0:1], exec, s[18:19]
; %bb.696:
	v_cmp_ne_u32_e32 vcc, 0, v107
	v_cndmask_b32_e32 v107, 34, v107, vcc
; %bb.697:
	s_andn2_saveexec_b64 s[0:1], s[0:1]
	s_cbranch_execz .LBB66_703
; %bb.698:
	v_cmp_ngt_f64_e64 s[18:19], |v[121:122]|, |v[123:124]|
	s_and_saveexec_b64 s[20:21], s[18:19]
	s_xor_b64 s[18:19], exec, s[20:21]
	s_cbranch_execz .LBB66_700
; %bb.699:
	v_div_scale_f64 v[110:111], s[20:21], v[123:124], v[123:124], v[121:122]
	v_rcp_f64_e32 v[112:113], v[110:111]
	v_fma_f64 v[114:115], -v[110:111], v[112:113], 1.0
	v_fma_f64 v[112:113], v[112:113], v[114:115], v[112:113]
	v_div_scale_f64 v[114:115], vcc, v[121:122], v[123:124], v[121:122]
	v_fma_f64 v[116:117], -v[110:111], v[112:113], 1.0
	v_fma_f64 v[112:113], v[112:113], v[116:117], v[112:113]
	v_mul_f64 v[116:117], v[114:115], v[112:113]
	v_fma_f64 v[110:111], -v[110:111], v[116:117], v[114:115]
	v_div_fmas_f64 v[110:111], v[110:111], v[112:113], v[116:117]
	v_div_fixup_f64 v[110:111], v[110:111], v[123:124], v[121:122]
	v_fma_f64 v[112:113], v[121:122], v[110:111], v[123:124]
	v_div_scale_f64 v[114:115], s[20:21], v[112:113], v[112:113], 1.0
	v_div_scale_f64 v[120:121], vcc, 1.0, v[112:113], 1.0
	v_rcp_f64_e32 v[116:117], v[114:115]
	v_fma_f64 v[118:119], -v[114:115], v[116:117], 1.0
	v_fma_f64 v[116:117], v[116:117], v[118:119], v[116:117]
	v_fma_f64 v[118:119], -v[114:115], v[116:117], 1.0
	v_fma_f64 v[116:117], v[116:117], v[118:119], v[116:117]
	v_mul_f64 v[118:119], v[120:121], v[116:117]
	v_fma_f64 v[114:115], -v[114:115], v[118:119], v[120:121]
	v_div_fmas_f64 v[114:115], v[114:115], v[116:117], v[118:119]
	v_div_fixup_f64 v[123:124], v[114:115], v[112:113], 1.0
	v_mul_f64 v[121:122], v[110:111], v[123:124]
	v_xor_b32_e32 v124, 0x80000000, v124
.LBB66_700:
	s_andn2_saveexec_b64 s[18:19], s[18:19]
	s_cbranch_execz .LBB66_702
; %bb.701:
	v_div_scale_f64 v[110:111], s[20:21], v[121:122], v[121:122], v[123:124]
	v_rcp_f64_e32 v[112:113], v[110:111]
	v_fma_f64 v[114:115], -v[110:111], v[112:113], 1.0
	v_fma_f64 v[112:113], v[112:113], v[114:115], v[112:113]
	v_div_scale_f64 v[114:115], vcc, v[123:124], v[121:122], v[123:124]
	v_fma_f64 v[116:117], -v[110:111], v[112:113], 1.0
	v_fma_f64 v[112:113], v[112:113], v[116:117], v[112:113]
	v_mul_f64 v[116:117], v[114:115], v[112:113]
	v_fma_f64 v[110:111], -v[110:111], v[116:117], v[114:115]
	v_div_fmas_f64 v[110:111], v[110:111], v[112:113], v[116:117]
	v_div_fixup_f64 v[110:111], v[110:111], v[121:122], v[123:124]
	v_fma_f64 v[112:113], v[123:124], v[110:111], v[121:122]
	v_div_scale_f64 v[114:115], s[20:21], v[112:113], v[112:113], 1.0
	v_div_scale_f64 v[120:121], vcc, 1.0, v[112:113], 1.0
	v_rcp_f64_e32 v[116:117], v[114:115]
	v_fma_f64 v[118:119], -v[114:115], v[116:117], 1.0
	v_fma_f64 v[116:117], v[116:117], v[118:119], v[116:117]
	v_fma_f64 v[118:119], -v[114:115], v[116:117], 1.0
	v_fma_f64 v[116:117], v[116:117], v[118:119], v[116:117]
	v_mul_f64 v[118:119], v[120:121], v[116:117]
	v_fma_f64 v[114:115], -v[114:115], v[118:119], v[120:121]
	v_div_fmas_f64 v[114:115], v[114:115], v[116:117], v[118:119]
	v_div_fixup_f64 v[121:122], v[114:115], v[112:113], 1.0
	v_mul_f64 v[123:124], v[110:111], -v[121:122]
.LBB66_702:
	s_or_b64 exec, exec, s[18:19]
.LBB66_703:
	s_or_b64 exec, exec, s[0:1]
	v_cmp_ne_u32_e32 vcc, v108, v109
	v_mov_b32_e32 v110, 33
	s_and_saveexec_b64 s[0:1], vcc
	s_cbranch_execz .LBB66_709
; %bb.704:
	v_cmp_eq_u32_e32 vcc, 33, v108
	s_and_saveexec_b64 s[18:19], vcc
	s_cbranch_execz .LBB66_708
; %bb.705:
	v_cmp_ne_u32_e32 vcc, 33, v109
	s_xor_b64 s[6:7], s[6:7], -1
	s_and_b64 s[20:21], s[6:7], vcc
	s_and_saveexec_b64 s[6:7], s[20:21]
	s_cbranch_execz .LBB66_707
; %bb.706:
	buffer_load_dword v112, off, s[24:27], 0 offset:96 ; 4-byte Folded Reload
	buffer_load_dword v113, off, s[24:27], 0 offset:100 ; 4-byte Folded Reload
	v_ashrrev_i32_e32 v110, 31, v109
	v_lshlrev_b64 v[110:111], 2, v[109:110]
	s_waitcnt vmcnt(1)
	v_add_co_u32_e32 v110, vcc, v112, v110
	s_waitcnt vmcnt(0)
	v_addc_co_u32_e32 v111, vcc, v113, v111, vcc
	global_load_dword v0, v[110:111], off
	global_load_dword v106, v[112:113], off offset:132
	s_waitcnt vmcnt(1)
	global_store_dword v[112:113], v0, off offset:132
	s_waitcnt vmcnt(1)
	global_store_dword v[110:111], v106, off
.LBB66_707:
	s_or_b64 exec, exec, s[6:7]
	v_mov_b32_e32 v108, v109
	v_mov_b32_e32 v0, v109
.LBB66_708:
	s_or_b64 exec, exec, s[18:19]
	v_mov_b32_e32 v110, v108
.LBB66_709:
	s_or_b64 exec, exec, s[0:1]
	v_cmp_gt_i32_e32 vcc, 34, v110
	v_ashrrev_i32_e32 v111, 31, v110
	s_waitcnt vmcnt(0)
	s_barrier
	s_barrier
	s_and_saveexec_b64 s[0:1], vcc
	s_cbranch_execz .LBB66_711
; %bb.710:
	buffer_load_dword v108, off, s[24:27], 0 offset:136 ; 4-byte Folded Reload
	buffer_load_dword v109, off, s[24:27], 0 offset:140 ; 4-byte Folded Reload
	v_add3_u32 v0, v0, s17, 1
	s_waitcnt vmcnt(1)
	v_mul_lo_u32 v106, s15, v108
	s_waitcnt vmcnt(0)
	v_mul_lo_u32 v112, s14, v109
	v_mad_u64_u32 v[108:109], s[6:7], s14, v108, 0
	s_lshl_b64 s[6:7], s[12:13], 2
	v_add3_u32 v109, v109, v112, v106
	v_lshlrev_b64 v[108:109], 2, v[108:109]
	v_mov_b32_e32 v106, s11
	v_add_co_u32_e32 v108, vcc, s10, v108
	v_addc_co_u32_e32 v106, vcc, v106, v109, vcc
	v_mov_b32_e32 v109, s7
	v_add_co_u32_e32 v112, vcc, s6, v108
	v_addc_co_u32_e32 v106, vcc, v106, v109, vcc
	v_lshlrev_b64 v[108:109], 2, v[110:111]
	v_add_co_u32_e32 v108, vcc, v112, v108
	v_addc_co_u32_e32 v109, vcc, v106, v109, vcc
	global_store_dword v[108:109], v0, off
.LBB66_711:
	s_or_b64 exec, exec, s[0:1]
	v_cmp_eq_u32_e32 vcc, 0, v110
	s_and_saveexec_b64 s[6:7], vcc
	s_cbranch_execz .LBB66_714
; %bb.712:
	buffer_load_dword v108, off, s[24:27], 0 offset:136 ; 4-byte Folded Reload
	buffer_load_dword v109, off, s[24:27], 0 offset:140 ; 4-byte Folded Reload
	v_mov_b32_e32 v0, s5
	v_cmp_ne_u32_e64 s[0:1], 0, v107
	s_waitcnt vmcnt(0)
	v_lshlrev_b64 v[108:109], 2, v[108:109]
	v_add_co_u32_e32 v112, vcc, s4, v108
	v_addc_co_u32_e32 v113, vcc, v0, v109, vcc
	global_load_dword v0, v[112:113], off
	s_waitcnt vmcnt(0)
	v_cmp_eq_u32_e32 vcc, 0, v0
	s_and_b64 s[0:1], vcc, s[0:1]
	s_and_b64 exec, exec, s[0:1]
	s_cbranch_execz .LBB66_714
; %bb.713:
	v_add_u32_e32 v0, s17, v107
	global_store_dword v[112:113], v0, off
.LBB66_714:
	s_or_b64 exec, exec, s[6:7]
	v_mul_f64 v[106:107], v[121:122], v[95:96]
	v_cmp_lt_i32_e32 vcc, 33, v110
	v_mul_f64 v[108:109], v[123:124], v[95:96]
	v_mov_b32_e32 v0, s9
	v_fma_f64 v[106:107], v[123:124], v[93:94], v[106:107]
	v_fma_f64 v[108:109], v[121:122], v[93:94], -v[108:109]
	v_cndmask_b32_e32 v96, v96, v107, vcc
	v_cndmask_b32_e32 v95, v95, v106, vcc
	v_lshlrev_b64 v[106:107], 4, v[110:111]
	buffer_load_dword v111, off, s[24:27], 0 offset:120 ; 4-byte Folded Reload
	buffer_load_dword v112, off, s[24:27], 0 offset:124 ; 4-byte Folded Reload
	;; [unrolled: 1-line block ×4, first 2 shown]
	v_cndmask_b32_e32 v94, v94, v109, vcc
	v_cndmask_b32_e32 v93, v93, v108, vcc
	v_add_co_u32_e32 v106, vcc, v127, v106
	v_addc_co_u32_e32 v107, vcc, v105, v107, vcc
	s_waitcnt vmcnt(0)
	global_store_dwordx4 v[106:107], v[111:114], off
	buffer_load_dword v111, off, s[24:27], 0 offset:104 ; 4-byte Folded Reload
	s_nop 0
	buffer_load_dword v112, off, s[24:27], 0 offset:108 ; 4-byte Folded Reload
	buffer_load_dword v113, off, s[24:27], 0 offset:112 ; 4-byte Folded Reload
	;; [unrolled: 1-line block ×3, first 2 shown]
	v_add_co_u32_e32 v106, vcc, s8, v106
	v_addc_co_u32_e32 v107, vcc, v107, v0, vcc
	s_waitcnt vmcnt(0)
	global_store_dwordx4 v[106:107], v[111:114], off
	v_add_u32_e32 v106, s16, v110
	buffer_load_dword v109, off, s[24:27], 0 offset:80 ; 4-byte Folded Reload
	buffer_load_dword v110, off, s[24:27], 0 offset:84 ; 4-byte Folded Reload
	;; [unrolled: 1-line block ×4, first 2 shown]
	v_ashrrev_i32_e32 v107, 31, v106
	v_lshlrev_b64 v[107:108], 4, v[106:107]
	v_add_u32_e32 v106, s2, v106
	v_add_co_u32_e32 v107, vcc, v127, v107
	v_addc_co_u32_e32 v108, vcc, v105, v108, vcc
	s_waitcnt vmcnt(0)
	global_store_dwordx4 v[107:108], v[109:112], off
	buffer_load_dword v109, off, s[24:27], 0 offset:64 ; 4-byte Folded Reload
	s_nop 0
	buffer_load_dword v110, off, s[24:27], 0 offset:68 ; 4-byte Folded Reload
	buffer_load_dword v111, off, s[24:27], 0 offset:72 ; 4-byte Folded Reload
	buffer_load_dword v112, off, s[24:27], 0 offset:76 ; 4-byte Folded Reload
	v_ashrrev_i32_e32 v107, 31, v106
	v_lshlrev_b64 v[107:108], 4, v[106:107]
	v_add_u32_e32 v106, s2, v106
	v_add_co_u32_e32 v107, vcc, v127, v107
	v_addc_co_u32_e32 v108, vcc, v105, v108, vcc
	s_waitcnt vmcnt(0)
	global_store_dwordx4 v[107:108], v[109:112], off
	buffer_load_dword v109, off, s[24:27], 0 offset:48 ; 4-byte Folded Reload
	s_nop 0
	buffer_load_dword v110, off, s[24:27], 0 offset:52 ; 4-byte Folded Reload
	buffer_load_dword v111, off, s[24:27], 0 offset:56 ; 4-byte Folded Reload
	buffer_load_dword v112, off, s[24:27], 0 offset:60 ; 4-byte Folded Reload
	;; [unrolled: 12-line block ×4, first 2 shown]
	v_ashrrev_i32_e32 v107, 31, v106
	v_lshlrev_b64 v[107:108], 4, v[106:107]
	v_add_u32_e32 v106, s2, v106
	v_add_co_u32_e32 v107, vcc, v127, v107
	v_addc_co_u32_e32 v108, vcc, v105, v108, vcc
	s_waitcnt vmcnt(0)
	global_store_dwordx4 v[107:108], v[109:112], off
	buffer_load_dword v109, off, s[24:27], 0 ; 4-byte Folded Reload
	s_nop 0
	buffer_load_dword v110, off, s[24:27], 0 offset:4 ; 4-byte Folded Reload
	buffer_load_dword v111, off, s[24:27], 0 offset:8 ; 4-byte Folded Reload
	;; [unrolled: 1-line block ×3, first 2 shown]
	v_ashrrev_i32_e32 v107, 31, v106
	v_lshlrev_b64 v[107:108], 4, v[106:107]
	v_add_u32_e32 v106, s2, v106
	v_add_co_u32_e32 v107, vcc, v127, v107
	v_addc_co_u32_e32 v108, vcc, v105, v108, vcc
	s_waitcnt vmcnt(0)
	global_store_dwordx4 v[107:108], v[109:112], off
	v_ashrrev_i32_e32 v107, 31, v106
	v_lshlrev_b64 v[107:108], 4, v[106:107]
	v_add_co_u32_e32 v107, vcc, v127, v107
	v_addc_co_u32_e32 v108, vcc, v105, v108, vcc
	global_store_dwordx4 v[107:108], v[101:104], off
	s_nop 0
	v_add_u32_e32 v101, s2, v106
	v_ashrrev_i32_e32 v102, 31, v101
	v_lshlrev_b64 v[102:103], 4, v[101:102]
	v_add_co_u32_e32 v102, vcc, v127, v102
	v_addc_co_u32_e32 v103, vcc, v105, v103, vcc
	global_store_dwordx4 v[102:103], v[97:100], off
	s_nop 0
	v_add_u32_e32 v97, s2, v101
	;; [unrolled: 7-line block ×24, first 2 shown]
	v_ashrrev_i32_e32 v6, 31, v5
	v_lshlrev_b64 v[6:7], 4, v[5:6]
	v_add_u32_e32 v0, s2, v5
	v_add_co_u32_e32 v6, vcc, v127, v6
	v_addc_co_u32_e32 v7, vcc, v105, v7, vcc
	global_store_dwordx4 v[6:7], v[1:4], off
	s_nop 0
	v_ashrrev_i32_e32 v1, 31, v0
	v_lshlrev_b64 v[0:1], 4, v[0:1]
	v_add_co_u32_e32 v0, vcc, v127, v0
	v_addc_co_u32_e32 v1, vcc, v105, v1, vcc
	global_store_dwordx4 v[0:1], v[93:96], off
.LBB66_715:
	s_endpgm
	.section	.rodata,"a",@progbits
	.p2align	6, 0x0
	.amdhsa_kernel _ZN9rocsolver6v33100L18getf2_small_kernelILi34E19rocblas_complex_numIdEiiPS3_EEvT1_T3_lS5_lPS5_llPT2_S5_S5_S7_l
		.amdhsa_group_segment_fixed_size 0
		.amdhsa_private_segment_fixed_size 148
		.amdhsa_kernarg_size 352
		.amdhsa_user_sgpr_count 6
		.amdhsa_user_sgpr_private_segment_buffer 1
		.amdhsa_user_sgpr_dispatch_ptr 0
		.amdhsa_user_sgpr_queue_ptr 0
		.amdhsa_user_sgpr_kernarg_segment_ptr 1
		.amdhsa_user_sgpr_dispatch_id 0
		.amdhsa_user_sgpr_flat_scratch_init 0
		.amdhsa_user_sgpr_private_segment_size 0
		.amdhsa_uses_dynamic_stack 0
		.amdhsa_system_sgpr_private_segment_wavefront_offset 1
		.amdhsa_system_sgpr_workgroup_id_x 1
		.amdhsa_system_sgpr_workgroup_id_y 1
		.amdhsa_system_sgpr_workgroup_id_z 0
		.amdhsa_system_sgpr_workgroup_info 0
		.amdhsa_system_vgpr_workitem_id 1
		.amdhsa_next_free_vgpr 128
		.amdhsa_next_free_sgpr 28
		.amdhsa_reserve_vcc 1
		.amdhsa_reserve_flat_scratch 0
		.amdhsa_float_round_mode_32 0
		.amdhsa_float_round_mode_16_64 0
		.amdhsa_float_denorm_mode_32 3
		.amdhsa_float_denorm_mode_16_64 3
		.amdhsa_dx10_clamp 1
		.amdhsa_ieee_mode 1
		.amdhsa_fp16_overflow 0
		.amdhsa_exception_fp_ieee_invalid_op 0
		.amdhsa_exception_fp_denorm_src 0
		.amdhsa_exception_fp_ieee_div_zero 0
		.amdhsa_exception_fp_ieee_overflow 0
		.amdhsa_exception_fp_ieee_underflow 0
		.amdhsa_exception_fp_ieee_inexact 0
		.amdhsa_exception_int_div_zero 0
	.end_amdhsa_kernel
	.section	.text._ZN9rocsolver6v33100L18getf2_small_kernelILi34E19rocblas_complex_numIdEiiPS3_EEvT1_T3_lS5_lPS5_llPT2_S5_S5_S7_l,"axG",@progbits,_ZN9rocsolver6v33100L18getf2_small_kernelILi34E19rocblas_complex_numIdEiiPS3_EEvT1_T3_lS5_lPS5_llPT2_S5_S5_S7_l,comdat
.Lfunc_end66:
	.size	_ZN9rocsolver6v33100L18getf2_small_kernelILi34E19rocblas_complex_numIdEiiPS3_EEvT1_T3_lS5_lPS5_llPT2_S5_S5_S7_l, .Lfunc_end66-_ZN9rocsolver6v33100L18getf2_small_kernelILi34E19rocblas_complex_numIdEiiPS3_EEvT1_T3_lS5_lPS5_llPT2_S5_S5_S7_l
                                        ; -- End function
	.set _ZN9rocsolver6v33100L18getf2_small_kernelILi34E19rocblas_complex_numIdEiiPS3_EEvT1_T3_lS5_lPS5_llPT2_S5_S5_S7_l.num_vgpr, 128
	.set _ZN9rocsolver6v33100L18getf2_small_kernelILi34E19rocblas_complex_numIdEiiPS3_EEvT1_T3_lS5_lPS5_llPT2_S5_S5_S7_l.num_agpr, 0
	.set _ZN9rocsolver6v33100L18getf2_small_kernelILi34E19rocblas_complex_numIdEiiPS3_EEvT1_T3_lS5_lPS5_llPT2_S5_S5_S7_l.numbered_sgpr, 28
	.set _ZN9rocsolver6v33100L18getf2_small_kernelILi34E19rocblas_complex_numIdEiiPS3_EEvT1_T3_lS5_lPS5_llPT2_S5_S5_S7_l.num_named_barrier, 0
	.set _ZN9rocsolver6v33100L18getf2_small_kernelILi34E19rocblas_complex_numIdEiiPS3_EEvT1_T3_lS5_lPS5_llPT2_S5_S5_S7_l.private_seg_size, 148
	.set _ZN9rocsolver6v33100L18getf2_small_kernelILi34E19rocblas_complex_numIdEiiPS3_EEvT1_T3_lS5_lPS5_llPT2_S5_S5_S7_l.uses_vcc, 1
	.set _ZN9rocsolver6v33100L18getf2_small_kernelILi34E19rocblas_complex_numIdEiiPS3_EEvT1_T3_lS5_lPS5_llPT2_S5_S5_S7_l.uses_flat_scratch, 0
	.set _ZN9rocsolver6v33100L18getf2_small_kernelILi34E19rocblas_complex_numIdEiiPS3_EEvT1_T3_lS5_lPS5_llPT2_S5_S5_S7_l.has_dyn_sized_stack, 0
	.set _ZN9rocsolver6v33100L18getf2_small_kernelILi34E19rocblas_complex_numIdEiiPS3_EEvT1_T3_lS5_lPS5_llPT2_S5_S5_S7_l.has_recursion, 0
	.set _ZN9rocsolver6v33100L18getf2_small_kernelILi34E19rocblas_complex_numIdEiiPS3_EEvT1_T3_lS5_lPS5_llPT2_S5_S5_S7_l.has_indirect_call, 0
	.section	.AMDGPU.csdata,"",@progbits
; Kernel info:
; codeLenInByte = 76340
; TotalNumSgprs: 32
; NumVgprs: 128
; ScratchSize: 148
; MemoryBound: 0
; FloatMode: 240
; IeeeMode: 1
; LDSByteSize: 0 bytes/workgroup (compile time only)
; SGPRBlocks: 3
; VGPRBlocks: 31
; NumSGPRsForWavesPerEU: 32
; NumVGPRsForWavesPerEU: 128
; Occupancy: 2
; WaveLimiterHint : 0
; COMPUTE_PGM_RSRC2:SCRATCH_EN: 1
; COMPUTE_PGM_RSRC2:USER_SGPR: 6
; COMPUTE_PGM_RSRC2:TRAP_HANDLER: 0
; COMPUTE_PGM_RSRC2:TGID_X_EN: 1
; COMPUTE_PGM_RSRC2:TGID_Y_EN: 1
; COMPUTE_PGM_RSRC2:TGID_Z_EN: 0
; COMPUTE_PGM_RSRC2:TIDIG_COMP_CNT: 1
	.section	.text._ZN9rocsolver6v33100L23getf2_npvt_small_kernelILi34E19rocblas_complex_numIdEiiPS3_EEvT1_T3_lS5_lPT2_S5_S5_,"axG",@progbits,_ZN9rocsolver6v33100L23getf2_npvt_small_kernelILi34E19rocblas_complex_numIdEiiPS3_EEvT1_T3_lS5_lPT2_S5_S5_,comdat
	.globl	_ZN9rocsolver6v33100L23getf2_npvt_small_kernelILi34E19rocblas_complex_numIdEiiPS3_EEvT1_T3_lS5_lPT2_S5_S5_ ; -- Begin function _ZN9rocsolver6v33100L23getf2_npvt_small_kernelILi34E19rocblas_complex_numIdEiiPS3_EEvT1_T3_lS5_lPT2_S5_S5_
	.p2align	8
	.type	_ZN9rocsolver6v33100L23getf2_npvt_small_kernelILi34E19rocblas_complex_numIdEiiPS3_EEvT1_T3_lS5_lPT2_S5_S5_,@function
_ZN9rocsolver6v33100L23getf2_npvt_small_kernelILi34E19rocblas_complex_numIdEiiPS3_EEvT1_T3_lS5_lPT2_S5_S5_: ; @_ZN9rocsolver6v33100L23getf2_npvt_small_kernelILi34E19rocblas_complex_numIdEiiPS3_EEvT1_T3_lS5_lPT2_S5_S5_
; %bb.0:
	s_mov_b64 s[22:23], s[2:3]
	s_mov_b64 s[20:21], s[0:1]
	s_load_dword s0, s[4:5], 0x44
	s_load_dwordx2 s[12:13], s[4:5], 0x30
	s_add_u32 s20, s20, s8
	s_addc_u32 s21, s21, 0
	v_mov_b32_e32 v126, v0
	s_waitcnt lgkmcnt(0)
	s_lshr_b32 s2, s0, 16
	s_mul_i32 s7, s7, s2
	v_add_u32_e32 v3, s7, v1
	v_mov_b32_e32 v2, v3
	v_cmp_gt_i32_e32 vcc, s12, v3
	s_and_saveexec_b64 s[0:1], vcc
	s_cbranch_execz .LBB67_309
; %bb.1:
	s_load_dwordx4 s[8:11], s[4:5], 0x20
	s_load_dwordx4 s[16:19], s[4:5], 0x8
	v_ashrrev_i32_e32 v3, 31, v2
	s_mulk_i32 s2, 0x220
	s_waitcnt lgkmcnt(0)
	v_mul_lo_u32 v4, s9, v2
	v_mul_lo_u32 v5, s8, v3
	buffer_store_dword v2, off, s[20:23], 0 offset:904 ; 4-byte Folded Spill
	s_nop 0
	buffer_store_dword v3, off, s[20:23], 0 offset:908 ; 4-byte Folded Spill
	v_mov_b32_e32 v6, s17
	v_mad_u64_u32 v[2:3], s[0:1], s8, v2, 0
	s_load_dword s0, s[4:5], 0x18
	s_lshl_b64 s[4:5], s[18:19], 4
	v_add3_u32 v3, v3, v5, v4
	v_lshlrev_b64 v[2:3], 4, v[2:3]
	v_mov_b32_e32 v4, s5
	v_add_co_u32_e32 v2, vcc, s16, v2
	v_addc_co_u32_e32 v3, vcc, v6, v3, vcc
	v_add_co_u32_e32 v2, vcc, s4, v2
	s_waitcnt lgkmcnt(0)
	s_add_i32 s1, s0, s0
	v_addc_co_u32_e32 v3, vcc, v3, v4, vcc
	v_add_u32_e32 v4, s1, v126
	v_ashrrev_i32_e32 v5, 31, v4
	v_lshlrev_b64 v[5:6], 4, v[4:5]
	v_add_u32_e32 v4, s0, v4
	v_add_co_u32_e32 v91, vcc, v2, v5
	v_ashrrev_i32_e32 v5, 31, v4
	v_addc_co_u32_e32 v92, vcc, v3, v6, vcc
	v_lshlrev_b64 v[5:6], 4, v[4:5]
	v_add_u32_e32 v4, s0, v4
	v_add_co_u32_e32 v7, vcc, v2, v5
	v_ashrrev_i32_e32 v5, 31, v4
	v_addc_co_u32_e32 v8, vcc, v3, v6, vcc
	;; [unrolled: 5-line block ×30, first 2 shown]
	v_lshlrev_b64 v[5:6], 4, v[4:5]
	v_add_u32_e32 v4, s0, v4
	v_add_co_u32_e32 v105, vcc, v2, v5
	v_ashrrev_i32_e32 v5, 31, v4
	v_lshlrev_b64 v[4:5], 4, v[4:5]
	v_addc_co_u32_e32 v106, vcc, v3, v6, vcc
	v_add_co_u32_e32 v107, vcc, v2, v4
	v_addc_co_u32_e32 v108, vcc, v3, v5, vcc
	v_lshlrev_b32_e32 v4, 4, v126
	v_add_co_u32_e32 v4, vcc, v2, v4
	s_ashr_i32 s1, s0, 31
	v_addc_co_u32_e32 v5, vcc, 0, v3, vcc
	s_lshl_b64 s[0:1], s[0:1], 4
	v_mov_b32_e32 v2, s1
	v_add_co_u32_e32 v45, vcc, s0, v4
	v_addc_co_u32_e32 v46, vcc, v5, v2, vcc
	buffer_store_dword v4, off, s[20:23], 0 offset:416 ; 4-byte Folded Spill
	s_nop 0
	buffer_store_dword v5, off, s[20:23], 0 offset:420 ; 4-byte Folded Spill
	s_movk_i32 s0, 0x220
	s_add_i32 s1, s2, 0
	v_mad_u32_u24 v125, v1, s0, 0
	v_lshl_add_u32 v127, v1, 4, s1
	v_cmp_ne_u32_e64 s[2:3], 0, v126
	v_cmp_eq_u32_e64 s[0:1], 0, v126
	global_load_dwordx4 v[1:4], v[4:5], off
	s_waitcnt vmcnt(0)
	buffer_store_dword v1, off, s[20:23], 0 offset:160 ; 4-byte Folded Spill
	s_nop 0
	buffer_store_dword v2, off, s[20:23], 0 offset:164 ; 4-byte Folded Spill
	buffer_store_dword v3, off, s[20:23], 0 offset:168 ; 4-byte Folded Spill
	buffer_store_dword v4, off, s[20:23], 0 offset:172 ; 4-byte Folded Spill
	buffer_store_dword v45, off, s[20:23], 0 offset:424 ; 4-byte Folded Spill
	s_nop 0
	buffer_store_dword v46, off, s[20:23], 0 offset:428 ; 4-byte Folded Spill
	global_load_dwordx4 v[1:4], v[45:46], off
	s_waitcnt vmcnt(0)
	buffer_store_dword v1, off, s[20:23], 0 offset:144 ; 4-byte Folded Spill
	s_nop 0
	buffer_store_dword v2, off, s[20:23], 0 offset:148 ; 4-byte Folded Spill
	buffer_store_dword v3, off, s[20:23], 0 offset:152 ; 4-byte Folded Spill
	buffer_store_dword v4, off, s[20:23], 0 offset:156 ; 4-byte Folded Spill
	global_load_dwordx4 v[1:4], v[91:92], off
	s_waitcnt vmcnt(0)
	buffer_store_dword v1, off, s[20:23], 0 offset:128 ; 4-byte Folded Spill
	s_nop 0
	buffer_store_dword v2, off, s[20:23], 0 offset:132 ; 4-byte Folded Spill
	buffer_store_dword v3, off, s[20:23], 0 offset:136 ; 4-byte Folded Spill
	buffer_store_dword v4, off, s[20:23], 0 offset:140 ; 4-byte Folded Spill
	buffer_store_dword v7, off, s[20:23], 0 offset:176 ; 4-byte Folded Spill
	s_nop 0
	buffer_store_dword v8, off, s[20:23], 0 offset:180 ; 4-byte Folded Spill
	global_load_dwordx4 v[1:4], v[7:8], off
	s_waitcnt vmcnt(0)
	buffer_store_dword v1, off, s[20:23], 0 offset:112 ; 4-byte Folded Spill
	s_nop 0
	buffer_store_dword v2, off, s[20:23], 0 offset:116 ; 4-byte Folded Spill
	buffer_store_dword v3, off, s[20:23], 0 offset:120 ; 4-byte Folded Spill
	buffer_store_dword v4, off, s[20:23], 0 offset:124 ; 4-byte Folded Spill
	buffer_store_dword v47, off, s[20:23], 0 offset:896 ; 4-byte Folded Spill
	s_nop 0
	buffer_store_dword v48, off, s[20:23], 0 offset:900 ; 4-byte Folded Spill
	;; [unrolled: 10-line block ×8, first 2 shown]
	global_load_dwordx4 v[0:3], v[19:20], off
	s_waitcnt vmcnt(0)
	buffer_store_dword v0, off, s[20:23], 0 ; 4-byte Folded Spill
	s_nop 0
	buffer_store_dword v1, off, s[20:23], 0 offset:4 ; 4-byte Folded Spill
	buffer_store_dword v2, off, s[20:23], 0 offset:8 ; 4-byte Folded Spill
	;; [unrolled: 1-line block ×4, first 2 shown]
	s_nop 0
	buffer_store_dword v22, off, s[20:23], 0 offset:236 ; 4-byte Folded Spill
	global_load_dwordx4 v[113:116], v[21:22], off
	s_nop 0
	buffer_store_dword v23, off, s[20:23], 0 offset:240 ; 4-byte Folded Spill
	s_nop 0
	buffer_store_dword v24, off, s[20:23], 0 offset:244 ; 4-byte Folded Spill
	global_load_dwordx4 v[1:4], v[23:24], off
	s_nop 0
	buffer_store_dword v25, off, s[20:23], 0 offset:248 ; 4-byte Folded Spill
	;; [unrolled: 5-line block ×13, first 2 shown]
	s_nop 0
	buffer_store_dword v82, off, s[20:23], 0 offset:332 ; 4-byte Folded Spill
	s_waitcnt vmcnt(32)
	v_mov_b32_e32 v80, v8
	v_mov_b32_e32 v79, v7
	;; [unrolled: 1-line block ×4, first 2 shown]
	global_load_dwordx4 v[33:36], v[81:82], off
	s_nop 0
	buffer_store_dword v89, off, s[20:23], 0 offset:336 ; 4-byte Folded Spill
	s_nop 0
	buffer_store_dword v90, off, s[20:23], 0 offset:340 ; 4-byte Folded Spill
	global_load_dwordx4 v[29:32], v[89:90], off
	s_nop 0
	buffer_store_dword v93, off, s[20:23], 0 offset:344 ; 4-byte Folded Spill
	s_nop 0
	buffer_store_dword v94, off, s[20:23], 0 offset:348 ; 4-byte Folded Spill
	;; [unrolled: 5-line block ×4, first 2 shown]
	v_mov_b32_e32 v96, v4
	v_mov_b32_e32 v95, v3
	;; [unrolled: 1-line block ×4, first 2 shown]
	global_load_dwordx4 v[17:20], v[97:98], off
	s_nop 0
	buffer_store_dword v99, off, s[20:23], 0 offset:368 ; 4-byte Folded Spill
	s_nop 0
	buffer_store_dword v100, off, s[20:23], 0 offset:372 ; 4-byte Folded Spill
	global_load_dwordx4 v[13:16], v[99:100], off
	s_nop 0
	buffer_store_dword v101, off, s[20:23], 0 offset:376 ; 4-byte Folded Spill
	s_nop 0
	buffer_store_dword v102, off, s[20:23], 0 offset:380 ; 4-byte Folded Spill
	;; [unrolled: 5-line block ×5, first 2 shown]
	global_load_dwordx4 v[121:124], v[107:108], off
	s_and_saveexec_b64 s[6:7], s[0:1]
	s_cbranch_execz .LBB67_8
; %bb.2:
	buffer_load_dword v97, off, s[20:23], 0 offset:160 ; 4-byte Folded Reload
	buffer_load_dword v98, off, s[20:23], 0 offset:164 ; 4-byte Folded Reload
	;; [unrolled: 1-line block ×4, first 2 shown]
	s_waitcnt vmcnt(0)
	ds_write2_b64 v127, v[97:98], v[99:100] offset1:1
	buffer_load_dword v97, off, s[20:23], 0 offset:144 ; 4-byte Folded Reload
	buffer_load_dword v98, off, s[20:23], 0 offset:148 ; 4-byte Folded Reload
	buffer_load_dword v99, off, s[20:23], 0 offset:152 ; 4-byte Folded Reload
	buffer_load_dword v100, off, s[20:23], 0 offset:156 ; 4-byte Folded Reload
	s_waitcnt vmcnt(0)
	ds_write2_b64 v125, v[97:98], v[99:100] offset0:2 offset1:3
	buffer_load_dword v97, off, s[20:23], 0 offset:128 ; 4-byte Folded Reload
	buffer_load_dword v98, off, s[20:23], 0 offset:132 ; 4-byte Folded Reload
	buffer_load_dword v99, off, s[20:23], 0 offset:136 ; 4-byte Folded Reload
	buffer_load_dword v100, off, s[20:23], 0 offset:140 ; 4-byte Folded Reload
	s_waitcnt vmcnt(0)
	ds_write2_b64 v125, v[97:98], v[99:100] offset0:4 offset1:5
	;; [unrolled: 6-line block ×9, first 2 shown]
	buffer_load_dword v81, off, s[20:23], 0 ; 4-byte Folded Reload
	buffer_load_dword v82, off, s[20:23], 0 offset:4 ; 4-byte Folded Reload
	buffer_load_dword v83, off, s[20:23], 0 offset:8 ; 4-byte Folded Reload
	;; [unrolled: 1-line block ×3, first 2 shown]
	s_waitcnt vmcnt(0)
	ds_write2_b64 v125, v[81:82], v[83:84] offset0:20 offset1:21
	ds_write2_b64 v125, v[113:114], v[115:116] offset0:22 offset1:23
	;; [unrolled: 1-line block ×24, first 2 shown]
	ds_read2_b64 v[97:100], v127 offset1:1
	s_waitcnt lgkmcnt(0)
	v_cmp_neq_f64_e32 vcc, 0, v[97:98]
	v_cmp_neq_f64_e64 s[4:5], 0, v[99:100]
	s_or_b64 s[4:5], vcc, s[4:5]
	s_and_b64 exec, exec, s[4:5]
	s_cbranch_execz .LBB67_8
; %bb.3:
	v_cmp_ngt_f64_e64 s[4:5], |v[97:98]|, |v[99:100]|
                                        ; implicit-def: $vgpr101_vgpr102
	s_and_saveexec_b64 s[8:9], s[4:5]
	s_xor_b64 s[4:5], exec, s[8:9]
                                        ; implicit-def: $vgpr103_vgpr104
	s_cbranch_execz .LBB67_5
; %bb.4:
	v_div_scale_f64 v[101:102], s[8:9], v[99:100], v[99:100], v[97:98]
	v_rcp_f64_e32 v[103:104], v[101:102]
	v_fma_f64 v[105:106], -v[101:102], v[103:104], 1.0
	v_fma_f64 v[103:104], v[103:104], v[105:106], v[103:104]
	v_div_scale_f64 v[105:106], vcc, v[97:98], v[99:100], v[97:98]
	v_fma_f64 v[107:108], -v[101:102], v[103:104], 1.0
	v_fma_f64 v[103:104], v[103:104], v[107:108], v[103:104]
	v_mul_f64 v[107:108], v[105:106], v[103:104]
	v_fma_f64 v[101:102], -v[101:102], v[107:108], v[105:106]
	v_div_fmas_f64 v[101:102], v[101:102], v[103:104], v[107:108]
	v_div_fixup_f64 v[101:102], v[101:102], v[99:100], v[97:98]
	v_fma_f64 v[97:98], v[97:98], v[101:102], v[99:100]
	v_div_scale_f64 v[99:100], s[8:9], v[97:98], v[97:98], 1.0
	v_div_scale_f64 v[107:108], vcc, 1.0, v[97:98], 1.0
	v_rcp_f64_e32 v[103:104], v[99:100]
	v_fma_f64 v[105:106], -v[99:100], v[103:104], 1.0
	v_fma_f64 v[103:104], v[103:104], v[105:106], v[103:104]
	v_fma_f64 v[105:106], -v[99:100], v[103:104], 1.0
	v_fma_f64 v[103:104], v[103:104], v[105:106], v[103:104]
	v_mul_f64 v[105:106], v[107:108], v[103:104]
	v_fma_f64 v[99:100], -v[99:100], v[105:106], v[107:108]
	v_div_fmas_f64 v[99:100], v[99:100], v[103:104], v[105:106]
	v_div_fixup_f64 v[103:104], v[99:100], v[97:98], 1.0
                                        ; implicit-def: $vgpr97_vgpr98
	v_mul_f64 v[101:102], v[101:102], v[103:104]
	v_xor_b32_e32 v104, 0x80000000, v104
.LBB67_5:
	s_andn2_saveexec_b64 s[4:5], s[4:5]
	s_cbranch_execz .LBB67_7
; %bb.6:
	v_div_scale_f64 v[101:102], s[8:9], v[97:98], v[97:98], v[99:100]
	v_rcp_f64_e32 v[103:104], v[101:102]
	v_fma_f64 v[105:106], -v[101:102], v[103:104], 1.0
	v_fma_f64 v[103:104], v[103:104], v[105:106], v[103:104]
	v_div_scale_f64 v[105:106], vcc, v[99:100], v[97:98], v[99:100]
	v_fma_f64 v[107:108], -v[101:102], v[103:104], 1.0
	v_fma_f64 v[103:104], v[103:104], v[107:108], v[103:104]
	v_mul_f64 v[107:108], v[105:106], v[103:104]
	v_fma_f64 v[101:102], -v[101:102], v[107:108], v[105:106]
	v_div_fmas_f64 v[101:102], v[101:102], v[103:104], v[107:108]
	v_div_fixup_f64 v[103:104], v[101:102], v[97:98], v[99:100]
	v_fma_f64 v[97:98], v[99:100], v[103:104], v[97:98]
	v_div_scale_f64 v[99:100], s[8:9], v[97:98], v[97:98], 1.0
	v_div_scale_f64 v[107:108], vcc, 1.0, v[97:98], 1.0
	v_rcp_f64_e32 v[101:102], v[99:100]
	v_fma_f64 v[105:106], -v[99:100], v[101:102], 1.0
	v_fma_f64 v[101:102], v[101:102], v[105:106], v[101:102]
	v_fma_f64 v[105:106], -v[99:100], v[101:102], 1.0
	v_fma_f64 v[101:102], v[101:102], v[105:106], v[101:102]
	v_mul_f64 v[105:106], v[107:108], v[101:102]
	v_fma_f64 v[99:100], -v[99:100], v[105:106], v[107:108]
	v_div_fmas_f64 v[99:100], v[99:100], v[101:102], v[105:106]
	v_div_fixup_f64 v[101:102], v[99:100], v[97:98], 1.0
	v_mul_f64 v[103:104], v[103:104], -v[101:102]
.LBB67_7:
	s_or_b64 exec, exec, s[4:5]
	ds_write2_b64 v127, v[101:102], v[103:104] offset1:1
.LBB67_8:
	s_or_b64 exec, exec, s[6:7]
	s_waitcnt vmcnt(0) lgkmcnt(0)
	s_barrier
	ds_read2_b64 v[97:100], v127 offset1:1
	s_waitcnt lgkmcnt(0)
	buffer_store_dword v97, off, s[20:23], 0 offset:432 ; 4-byte Folded Spill
	s_nop 0
	buffer_store_dword v98, off, s[20:23], 0 offset:436 ; 4-byte Folded Spill
	buffer_store_dword v99, off, s[20:23], 0 offset:440 ; 4-byte Folded Spill
	;; [unrolled: 1-line block ×3, first 2 shown]
	s_and_saveexec_b64 s[4:5], s[2:3]
	s_cbranch_execz .LBB67_10
; %bb.9:
	buffer_load_dword v117, off, s[20:23], 0 offset:160 ; 4-byte Folded Reload
	buffer_load_dword v118, off, s[20:23], 0 offset:164 ; 4-byte Folded Reload
	;; [unrolled: 1-line block ×8, first 2 shown]
	s_waitcnt vmcnt(0)
	v_mul_f64 v[97:98], v[101:102], v[119:120]
	v_fma_f64 v[97:98], v[99:100], v[117:118], -v[97:98]
	v_mul_f64 v[99:100], v[99:100], v[119:120]
	v_fma_f64 v[119:120], v[101:102], v[117:118], v[99:100]
	ds_read2_b64 v[99:102], v125 offset0:2 offset1:3
	buffer_load_dword v105, off, s[20:23], 0 offset:144 ; 4-byte Folded Reload
	buffer_load_dword v106, off, s[20:23], 0 offset:148 ; 4-byte Folded Reload
	;; [unrolled: 1-line block ×4, first 2 shown]
	v_mov_b32_e32 v118, v98
	v_mov_b32_e32 v117, v97
	s_waitcnt lgkmcnt(0)
	v_mul_f64 v[103:104], v[101:102], v[119:120]
	v_fma_f64 v[103:104], v[99:100], v[97:98], -v[103:104]
	v_mul_f64 v[99:100], v[99:100], v[119:120]
	v_fma_f64 v[99:100], v[101:102], v[97:98], v[99:100]
	s_waitcnt vmcnt(2)
	v_add_f64 v[105:106], v[105:106], -v[103:104]
	s_waitcnt vmcnt(0)
	v_add_f64 v[107:108], v[107:108], -v[99:100]
	buffer_store_dword v105, off, s[20:23], 0 offset:144 ; 4-byte Folded Spill
	s_nop 0
	buffer_store_dword v106, off, s[20:23], 0 offset:148 ; 4-byte Folded Spill
	buffer_store_dword v107, off, s[20:23], 0 offset:152 ; 4-byte Folded Spill
	buffer_store_dword v108, off, s[20:23], 0 offset:156 ; 4-byte Folded Spill
	ds_read2_b64 v[99:102], v125 offset0:4 offset1:5
	buffer_load_dword v105, off, s[20:23], 0 offset:128 ; 4-byte Folded Reload
	buffer_load_dword v106, off, s[20:23], 0 offset:132 ; 4-byte Folded Reload
	buffer_load_dword v107, off, s[20:23], 0 offset:136 ; 4-byte Folded Reload
	buffer_load_dword v108, off, s[20:23], 0 offset:140 ; 4-byte Folded Reload
	s_waitcnt lgkmcnt(0)
	v_mul_f64 v[103:104], v[101:102], v[119:120]
	v_fma_f64 v[103:104], v[99:100], v[97:98], -v[103:104]
	v_mul_f64 v[99:100], v[99:100], v[119:120]
	v_fma_f64 v[99:100], v[101:102], v[97:98], v[99:100]
	s_waitcnt vmcnt(2)
	v_add_f64 v[105:106], v[105:106], -v[103:104]
	s_waitcnt vmcnt(0)
	v_add_f64 v[107:108], v[107:108], -v[99:100]
	buffer_store_dword v105, off, s[20:23], 0 offset:128 ; 4-byte Folded Spill
	s_nop 0
	buffer_store_dword v106, off, s[20:23], 0 offset:132 ; 4-byte Folded Spill
	buffer_store_dword v107, off, s[20:23], 0 offset:136 ; 4-byte Folded Spill
	buffer_store_dword v108, off, s[20:23], 0 offset:140 ; 4-byte Folded Spill
	ds_read2_b64 v[99:102], v125 offset0:6 offset1:7
	buffer_load_dword v105, off, s[20:23], 0 offset:112 ; 4-byte Folded Reload
	buffer_load_dword v106, off, s[20:23], 0 offset:116 ; 4-byte Folded Reload
	buffer_load_dword v107, off, s[20:23], 0 offset:120 ; 4-byte Folded Reload
	buffer_load_dword v108, off, s[20:23], 0 offset:124 ; 4-byte Folded Reload
	;; [unrolled: 19-line block ×8, first 2 shown]
	s_waitcnt lgkmcnt(0)
	v_mul_f64 v[103:104], v[101:102], v[119:120]
	v_fma_f64 v[103:104], v[99:100], v[97:98], -v[103:104]
	v_mul_f64 v[99:100], v[99:100], v[119:120]
	v_fma_f64 v[99:100], v[101:102], v[97:98], v[99:100]
	s_waitcnt vmcnt(2)
	v_add_f64 v[81:82], v[81:82], -v[103:104]
	s_waitcnt vmcnt(0)
	v_add_f64 v[83:84], v[83:84], -v[99:100]
	buffer_store_dword v81, off, s[20:23], 0 offset:16 ; 4-byte Folded Spill
	s_nop 0
	buffer_store_dword v82, off, s[20:23], 0 offset:20 ; 4-byte Folded Spill
	buffer_store_dword v83, off, s[20:23], 0 offset:24 ; 4-byte Folded Spill
	;; [unrolled: 1-line block ×3, first 2 shown]
	ds_read2_b64 v[99:102], v125 offset0:20 offset1:21
	buffer_load_dword v81, off, s[20:23], 0 ; 4-byte Folded Reload
	buffer_load_dword v82, off, s[20:23], 0 offset:4 ; 4-byte Folded Reload
	buffer_load_dword v83, off, s[20:23], 0 offset:8 ; 4-byte Folded Reload
	;; [unrolled: 1-line block ×3, first 2 shown]
	s_waitcnt lgkmcnt(0)
	v_mul_f64 v[103:104], v[101:102], v[119:120]
	v_fma_f64 v[103:104], v[99:100], v[97:98], -v[103:104]
	v_mul_f64 v[99:100], v[99:100], v[119:120]
	v_fma_f64 v[99:100], v[101:102], v[97:98], v[99:100]
	s_waitcnt vmcnt(2)
	v_add_f64 v[81:82], v[81:82], -v[103:104]
	s_waitcnt vmcnt(0)
	v_add_f64 v[83:84], v[83:84], -v[99:100]
	buffer_store_dword v81, off, s[20:23], 0 ; 4-byte Folded Spill
	s_nop 0
	buffer_store_dword v82, off, s[20:23], 0 offset:4 ; 4-byte Folded Spill
	buffer_store_dword v83, off, s[20:23], 0 offset:8 ; 4-byte Folded Spill
	;; [unrolled: 1-line block ×3, first 2 shown]
	ds_read2_b64 v[99:102], v125 offset0:22 offset1:23
	s_waitcnt lgkmcnt(0)
	v_mul_f64 v[103:104], v[101:102], v[119:120]
	v_fma_f64 v[103:104], v[99:100], v[97:98], -v[103:104]
	v_mul_f64 v[99:100], v[99:100], v[119:120]
	v_add_f64 v[113:114], v[113:114], -v[103:104]
	v_fma_f64 v[99:100], v[101:102], v[97:98], v[99:100]
	v_add_f64 v[115:116], v[115:116], -v[99:100]
	ds_read2_b64 v[99:102], v125 offset0:24 offset1:25
	s_waitcnt lgkmcnt(0)
	v_mul_f64 v[103:104], v[101:102], v[119:120]
	v_fma_f64 v[103:104], v[99:100], v[97:98], -v[103:104]
	v_mul_f64 v[99:100], v[99:100], v[119:120]
	v_add_f64 v[93:94], v[93:94], -v[103:104]
	v_fma_f64 v[99:100], v[101:102], v[97:98], v[99:100]
	v_add_f64 v[95:96], v[95:96], -v[99:100]
	;; [unrolled: 8-line block ×22, first 2 shown]
	ds_read2_b64 v[99:102], v125 offset0:66 offset1:67
	s_waitcnt lgkmcnt(0)
	v_mul_f64 v[103:104], v[101:102], v[119:120]
	v_fma_f64 v[103:104], v[99:100], v[97:98], -v[103:104]
	v_mul_f64 v[99:100], v[99:100], v[119:120]
	buffer_store_dword v117, off, s[20:23], 0 offset:160 ; 4-byte Folded Spill
	s_nop 0
	buffer_store_dword v118, off, s[20:23], 0 offset:164 ; 4-byte Folded Spill
	buffer_store_dword v119, off, s[20:23], 0 offset:168 ; 4-byte Folded Spill
	;; [unrolled: 1-line block ×3, first 2 shown]
	v_add_f64 v[121:122], v[121:122], -v[103:104]
	v_fma_f64 v[99:100], v[101:102], v[97:98], v[99:100]
	v_add_f64 v[123:124], v[123:124], -v[99:100]
.LBB67_10:
	s_or_b64 exec, exec, s[4:5]
	v_cmp_eq_u32_e32 vcc, 1, v126
	s_waitcnt vmcnt(0)
	s_barrier
	s_and_saveexec_b64 s[4:5], vcc
	s_cbranch_execz .LBB67_17
; %bb.11:
	buffer_load_dword v97, off, s[20:23], 0 offset:144 ; 4-byte Folded Reload
	buffer_load_dword v98, off, s[20:23], 0 offset:148 ; 4-byte Folded Reload
	;; [unrolled: 1-line block ×4, first 2 shown]
	s_waitcnt vmcnt(0)
	ds_write2_b64 v127, v[97:98], v[99:100] offset1:1
	buffer_load_dword v97, off, s[20:23], 0 offset:128 ; 4-byte Folded Reload
	buffer_load_dword v98, off, s[20:23], 0 offset:132 ; 4-byte Folded Reload
	buffer_load_dword v99, off, s[20:23], 0 offset:136 ; 4-byte Folded Reload
	buffer_load_dword v100, off, s[20:23], 0 offset:140 ; 4-byte Folded Reload
	s_waitcnt vmcnt(0)
	ds_write2_b64 v125, v[97:98], v[99:100] offset0:4 offset1:5
	buffer_load_dword v97, off, s[20:23], 0 offset:112 ; 4-byte Folded Reload
	buffer_load_dword v98, off, s[20:23], 0 offset:116 ; 4-byte Folded Reload
	buffer_load_dword v99, off, s[20:23], 0 offset:120 ; 4-byte Folded Reload
	buffer_load_dword v100, off, s[20:23], 0 offset:124 ; 4-byte Folded Reload
	s_waitcnt vmcnt(0)
	ds_write2_b64 v125, v[97:98], v[99:100] offset0:6 offset1:7
	;; [unrolled: 6-line block ×8, first 2 shown]
	buffer_load_dword v81, off, s[20:23], 0 ; 4-byte Folded Reload
	buffer_load_dword v82, off, s[20:23], 0 offset:4 ; 4-byte Folded Reload
	buffer_load_dword v83, off, s[20:23], 0 offset:8 ; 4-byte Folded Reload
	;; [unrolled: 1-line block ×3, first 2 shown]
	s_waitcnt vmcnt(0)
	ds_write2_b64 v125, v[81:82], v[83:84] offset0:20 offset1:21
	ds_write2_b64 v125, v[113:114], v[115:116] offset0:22 offset1:23
	;; [unrolled: 1-line block ×24, first 2 shown]
	ds_read2_b64 v[97:100], v127 offset1:1
	s_waitcnt lgkmcnt(0)
	v_cmp_neq_f64_e32 vcc, 0, v[97:98]
	v_cmp_neq_f64_e64 s[2:3], 0, v[99:100]
	s_or_b64 s[2:3], vcc, s[2:3]
	s_and_b64 exec, exec, s[2:3]
	s_cbranch_execz .LBB67_17
; %bb.12:
	v_cmp_ngt_f64_e64 s[2:3], |v[97:98]|, |v[99:100]|
                                        ; implicit-def: $vgpr101_vgpr102
	s_and_saveexec_b64 s[6:7], s[2:3]
	s_xor_b64 s[2:3], exec, s[6:7]
                                        ; implicit-def: $vgpr103_vgpr104
	s_cbranch_execz .LBB67_14
; %bb.13:
	v_div_scale_f64 v[101:102], s[6:7], v[99:100], v[99:100], v[97:98]
	v_rcp_f64_e32 v[103:104], v[101:102]
	v_fma_f64 v[105:106], -v[101:102], v[103:104], 1.0
	v_fma_f64 v[103:104], v[103:104], v[105:106], v[103:104]
	v_div_scale_f64 v[105:106], vcc, v[97:98], v[99:100], v[97:98]
	v_fma_f64 v[107:108], -v[101:102], v[103:104], 1.0
	v_fma_f64 v[103:104], v[103:104], v[107:108], v[103:104]
	v_mul_f64 v[107:108], v[105:106], v[103:104]
	v_fma_f64 v[101:102], -v[101:102], v[107:108], v[105:106]
	v_div_fmas_f64 v[101:102], v[101:102], v[103:104], v[107:108]
	v_div_fixup_f64 v[101:102], v[101:102], v[99:100], v[97:98]
	v_fma_f64 v[97:98], v[97:98], v[101:102], v[99:100]
	v_div_scale_f64 v[99:100], s[6:7], v[97:98], v[97:98], 1.0
	v_div_scale_f64 v[107:108], vcc, 1.0, v[97:98], 1.0
	v_rcp_f64_e32 v[103:104], v[99:100]
	v_fma_f64 v[105:106], -v[99:100], v[103:104], 1.0
	v_fma_f64 v[103:104], v[103:104], v[105:106], v[103:104]
	v_fma_f64 v[105:106], -v[99:100], v[103:104], 1.0
	v_fma_f64 v[103:104], v[103:104], v[105:106], v[103:104]
	v_mul_f64 v[105:106], v[107:108], v[103:104]
	v_fma_f64 v[99:100], -v[99:100], v[105:106], v[107:108]
	v_div_fmas_f64 v[99:100], v[99:100], v[103:104], v[105:106]
	v_div_fixup_f64 v[103:104], v[99:100], v[97:98], 1.0
                                        ; implicit-def: $vgpr97_vgpr98
	v_mul_f64 v[101:102], v[101:102], v[103:104]
	v_xor_b32_e32 v104, 0x80000000, v104
.LBB67_14:
	s_andn2_saveexec_b64 s[2:3], s[2:3]
	s_cbranch_execz .LBB67_16
; %bb.15:
	v_div_scale_f64 v[101:102], s[6:7], v[97:98], v[97:98], v[99:100]
	v_rcp_f64_e32 v[103:104], v[101:102]
	v_fma_f64 v[105:106], -v[101:102], v[103:104], 1.0
	v_fma_f64 v[103:104], v[103:104], v[105:106], v[103:104]
	v_div_scale_f64 v[105:106], vcc, v[99:100], v[97:98], v[99:100]
	v_fma_f64 v[107:108], -v[101:102], v[103:104], 1.0
	v_fma_f64 v[103:104], v[103:104], v[107:108], v[103:104]
	v_mul_f64 v[107:108], v[105:106], v[103:104]
	v_fma_f64 v[101:102], -v[101:102], v[107:108], v[105:106]
	v_div_fmas_f64 v[101:102], v[101:102], v[103:104], v[107:108]
	v_div_fixup_f64 v[103:104], v[101:102], v[97:98], v[99:100]
	v_fma_f64 v[97:98], v[99:100], v[103:104], v[97:98]
	v_div_scale_f64 v[99:100], s[6:7], v[97:98], v[97:98], 1.0
	v_div_scale_f64 v[107:108], vcc, 1.0, v[97:98], 1.0
	v_rcp_f64_e32 v[101:102], v[99:100]
	v_fma_f64 v[105:106], -v[99:100], v[101:102], 1.0
	v_fma_f64 v[101:102], v[101:102], v[105:106], v[101:102]
	v_fma_f64 v[105:106], -v[99:100], v[101:102], 1.0
	v_fma_f64 v[101:102], v[101:102], v[105:106], v[101:102]
	v_mul_f64 v[105:106], v[107:108], v[101:102]
	v_fma_f64 v[99:100], -v[99:100], v[105:106], v[107:108]
	v_div_fmas_f64 v[99:100], v[99:100], v[101:102], v[105:106]
	v_div_fixup_f64 v[101:102], v[99:100], v[97:98], 1.0
	v_mul_f64 v[103:104], v[103:104], -v[101:102]
.LBB67_16:
	s_or_b64 exec, exec, s[2:3]
	ds_write2_b64 v127, v[101:102], v[103:104] offset1:1
.LBB67_17:
	s_or_b64 exec, exec, s[4:5]
	s_waitcnt lgkmcnt(0)
	s_barrier
	ds_read2_b64 v[97:100], v127 offset1:1
	v_cmp_lt_u32_e32 vcc, 1, v126
	s_waitcnt lgkmcnt(0)
	buffer_store_dword v97, off, s[20:23], 0 offset:448 ; 4-byte Folded Spill
	s_nop 0
	buffer_store_dword v98, off, s[20:23], 0 offset:452 ; 4-byte Folded Spill
	buffer_store_dword v99, off, s[20:23], 0 offset:456 ; 4-byte Folded Spill
	buffer_store_dword v100, off, s[20:23], 0 offset:460 ; 4-byte Folded Spill
	s_and_saveexec_b64 s[2:3], vcc
	s_cbranch_execz .LBB67_19
; %bb.18:
	buffer_load_dword v117, off, s[20:23], 0 offset:144 ; 4-byte Folded Reload
	buffer_load_dword v118, off, s[20:23], 0 offset:148 ; 4-byte Folded Reload
	;; [unrolled: 1-line block ×8, first 2 shown]
	s_waitcnt vmcnt(0)
	v_mul_f64 v[97:98], v[101:102], v[119:120]
	v_fma_f64 v[97:98], v[99:100], v[117:118], -v[97:98]
	v_mul_f64 v[99:100], v[99:100], v[119:120]
	v_fma_f64 v[119:120], v[101:102], v[117:118], v[99:100]
	ds_read2_b64 v[99:102], v125 offset0:4 offset1:5
	buffer_load_dword v105, off, s[20:23], 0 offset:128 ; 4-byte Folded Reload
	buffer_load_dword v106, off, s[20:23], 0 offset:132 ; 4-byte Folded Reload
	;; [unrolled: 1-line block ×4, first 2 shown]
	v_mov_b32_e32 v118, v98
	v_mov_b32_e32 v117, v97
	s_waitcnt lgkmcnt(0)
	v_mul_f64 v[103:104], v[101:102], v[119:120]
	v_fma_f64 v[103:104], v[99:100], v[97:98], -v[103:104]
	v_mul_f64 v[99:100], v[99:100], v[119:120]
	v_fma_f64 v[99:100], v[101:102], v[97:98], v[99:100]
	s_waitcnt vmcnt(2)
	v_add_f64 v[105:106], v[105:106], -v[103:104]
	s_waitcnt vmcnt(0)
	v_add_f64 v[107:108], v[107:108], -v[99:100]
	buffer_store_dword v105, off, s[20:23], 0 offset:128 ; 4-byte Folded Spill
	s_nop 0
	buffer_store_dword v106, off, s[20:23], 0 offset:132 ; 4-byte Folded Spill
	buffer_store_dword v107, off, s[20:23], 0 offset:136 ; 4-byte Folded Spill
	buffer_store_dword v108, off, s[20:23], 0 offset:140 ; 4-byte Folded Spill
	ds_read2_b64 v[99:102], v125 offset0:6 offset1:7
	buffer_load_dword v105, off, s[20:23], 0 offset:112 ; 4-byte Folded Reload
	buffer_load_dword v106, off, s[20:23], 0 offset:116 ; 4-byte Folded Reload
	buffer_load_dword v107, off, s[20:23], 0 offset:120 ; 4-byte Folded Reload
	buffer_load_dword v108, off, s[20:23], 0 offset:124 ; 4-byte Folded Reload
	s_waitcnt lgkmcnt(0)
	v_mul_f64 v[103:104], v[101:102], v[119:120]
	v_fma_f64 v[103:104], v[99:100], v[97:98], -v[103:104]
	v_mul_f64 v[99:100], v[99:100], v[119:120]
	v_fma_f64 v[99:100], v[101:102], v[97:98], v[99:100]
	s_waitcnt vmcnt(2)
	v_add_f64 v[105:106], v[105:106], -v[103:104]
	s_waitcnt vmcnt(0)
	v_add_f64 v[107:108], v[107:108], -v[99:100]
	buffer_store_dword v105, off, s[20:23], 0 offset:112 ; 4-byte Folded Spill
	s_nop 0
	buffer_store_dword v106, off, s[20:23], 0 offset:116 ; 4-byte Folded Spill
	buffer_store_dword v107, off, s[20:23], 0 offset:120 ; 4-byte Folded Spill
	buffer_store_dword v108, off, s[20:23], 0 offset:124 ; 4-byte Folded Spill
	ds_read2_b64 v[99:102], v125 offset0:8 offset1:9
	buffer_load_dword v105, off, s[20:23], 0 offset:96 ; 4-byte Folded Reload
	buffer_load_dword v106, off, s[20:23], 0 offset:100 ; 4-byte Folded Reload
	buffer_load_dword v107, off, s[20:23], 0 offset:104 ; 4-byte Folded Reload
	buffer_load_dword v108, off, s[20:23], 0 offset:108 ; 4-byte Folded Reload
	s_waitcnt lgkmcnt(0)
	v_mul_f64 v[103:104], v[101:102], v[119:120]
	v_fma_f64 v[103:104], v[99:100], v[97:98], -v[103:104]
	v_mul_f64 v[99:100], v[99:100], v[119:120]
	v_fma_f64 v[99:100], v[101:102], v[97:98], v[99:100]
	s_waitcnt vmcnt(2)
	v_add_f64 v[105:106], v[105:106], -v[103:104]
	s_waitcnt vmcnt(0)
	v_add_f64 v[107:108], v[107:108], -v[99:100]
	buffer_store_dword v105, off, s[20:23], 0 offset:96 ; 4-byte Folded Spill
	s_nop 0
	buffer_store_dword v106, off, s[20:23], 0 offset:100 ; 4-byte Folded Spill
	buffer_store_dword v107, off, s[20:23], 0 offset:104 ; 4-byte Folded Spill
	buffer_store_dword v108, off, s[20:23], 0 offset:108 ; 4-byte Folded Spill
	ds_read2_b64 v[99:102], v125 offset0:10 offset1:11
	buffer_load_dword v105, off, s[20:23], 0 offset:80 ; 4-byte Folded Reload
	buffer_load_dword v106, off, s[20:23], 0 offset:84 ; 4-byte Folded Reload
	buffer_load_dword v107, off, s[20:23], 0 offset:88 ; 4-byte Folded Reload
	buffer_load_dword v108, off, s[20:23], 0 offset:92 ; 4-byte Folded Reload
	s_waitcnt lgkmcnt(0)
	v_mul_f64 v[103:104], v[101:102], v[119:120]
	v_fma_f64 v[103:104], v[99:100], v[97:98], -v[103:104]
	v_mul_f64 v[99:100], v[99:100], v[119:120]
	v_fma_f64 v[99:100], v[101:102], v[97:98], v[99:100]
	s_waitcnt vmcnt(2)
	v_add_f64 v[105:106], v[105:106], -v[103:104]
	s_waitcnt vmcnt(0)
	v_add_f64 v[107:108], v[107:108], -v[99:100]
	buffer_store_dword v105, off, s[20:23], 0 offset:80 ; 4-byte Folded Spill
	s_nop 0
	buffer_store_dword v106, off, s[20:23], 0 offset:84 ; 4-byte Folded Spill
	buffer_store_dword v107, off, s[20:23], 0 offset:88 ; 4-byte Folded Spill
	buffer_store_dword v108, off, s[20:23], 0 offset:92 ; 4-byte Folded Spill
	ds_read2_b64 v[99:102], v125 offset0:12 offset1:13
	buffer_load_dword v105, off, s[20:23], 0 offset:64 ; 4-byte Folded Reload
	buffer_load_dword v106, off, s[20:23], 0 offset:68 ; 4-byte Folded Reload
	buffer_load_dword v107, off, s[20:23], 0 offset:72 ; 4-byte Folded Reload
	buffer_load_dword v108, off, s[20:23], 0 offset:76 ; 4-byte Folded Reload
	s_waitcnt lgkmcnt(0)
	v_mul_f64 v[103:104], v[101:102], v[119:120]
	v_fma_f64 v[103:104], v[99:100], v[97:98], -v[103:104]
	v_mul_f64 v[99:100], v[99:100], v[119:120]
	v_fma_f64 v[99:100], v[101:102], v[97:98], v[99:100]
	s_waitcnt vmcnt(2)
	v_add_f64 v[105:106], v[105:106], -v[103:104]
	s_waitcnt vmcnt(0)
	v_add_f64 v[107:108], v[107:108], -v[99:100]
	buffer_store_dword v105, off, s[20:23], 0 offset:64 ; 4-byte Folded Spill
	s_nop 0
	buffer_store_dword v106, off, s[20:23], 0 offset:68 ; 4-byte Folded Spill
	buffer_store_dword v107, off, s[20:23], 0 offset:72 ; 4-byte Folded Spill
	buffer_store_dword v108, off, s[20:23], 0 offset:76 ; 4-byte Folded Spill
	ds_read2_b64 v[99:102], v125 offset0:14 offset1:15
	buffer_load_dword v105, off, s[20:23], 0 offset:48 ; 4-byte Folded Reload
	buffer_load_dword v106, off, s[20:23], 0 offset:52 ; 4-byte Folded Reload
	buffer_load_dword v107, off, s[20:23], 0 offset:56 ; 4-byte Folded Reload
	buffer_load_dword v108, off, s[20:23], 0 offset:60 ; 4-byte Folded Reload
	s_waitcnt lgkmcnt(0)
	v_mul_f64 v[103:104], v[101:102], v[119:120]
	v_fma_f64 v[103:104], v[99:100], v[97:98], -v[103:104]
	v_mul_f64 v[99:100], v[99:100], v[119:120]
	v_fma_f64 v[99:100], v[101:102], v[97:98], v[99:100]
	s_waitcnt vmcnt(2)
	v_add_f64 v[105:106], v[105:106], -v[103:104]
	s_waitcnt vmcnt(0)
	v_add_f64 v[107:108], v[107:108], -v[99:100]
	buffer_store_dword v105, off, s[20:23], 0 offset:48 ; 4-byte Folded Spill
	s_nop 0
	buffer_store_dword v106, off, s[20:23], 0 offset:52 ; 4-byte Folded Spill
	buffer_store_dword v107, off, s[20:23], 0 offset:56 ; 4-byte Folded Spill
	buffer_store_dword v108, off, s[20:23], 0 offset:60 ; 4-byte Folded Spill
	ds_read2_b64 v[99:102], v125 offset0:16 offset1:17
	buffer_load_dword v105, off, s[20:23], 0 offset:32 ; 4-byte Folded Reload
	buffer_load_dword v106, off, s[20:23], 0 offset:36 ; 4-byte Folded Reload
	buffer_load_dword v107, off, s[20:23], 0 offset:40 ; 4-byte Folded Reload
	buffer_load_dword v108, off, s[20:23], 0 offset:44 ; 4-byte Folded Reload
	s_waitcnt lgkmcnt(0)
	v_mul_f64 v[103:104], v[101:102], v[119:120]
	v_fma_f64 v[103:104], v[99:100], v[97:98], -v[103:104]
	v_mul_f64 v[99:100], v[99:100], v[119:120]
	v_fma_f64 v[99:100], v[101:102], v[97:98], v[99:100]
	s_waitcnt vmcnt(2)
	v_add_f64 v[105:106], v[105:106], -v[103:104]
	s_waitcnt vmcnt(0)
	v_add_f64 v[107:108], v[107:108], -v[99:100]
	buffer_store_dword v105, off, s[20:23], 0 offset:32 ; 4-byte Folded Spill
	s_nop 0
	buffer_store_dword v106, off, s[20:23], 0 offset:36 ; 4-byte Folded Spill
	buffer_store_dword v107, off, s[20:23], 0 offset:40 ; 4-byte Folded Spill
	buffer_store_dword v108, off, s[20:23], 0 offset:44 ; 4-byte Folded Spill
	ds_read2_b64 v[99:102], v125 offset0:18 offset1:19
	buffer_load_dword v81, off, s[20:23], 0 offset:16 ; 4-byte Folded Reload
	buffer_load_dword v82, off, s[20:23], 0 offset:20 ; 4-byte Folded Reload
	buffer_load_dword v83, off, s[20:23], 0 offset:24 ; 4-byte Folded Reload
	buffer_load_dword v84, off, s[20:23], 0 offset:28 ; 4-byte Folded Reload
	s_waitcnt lgkmcnt(0)
	v_mul_f64 v[103:104], v[101:102], v[119:120]
	v_fma_f64 v[103:104], v[99:100], v[97:98], -v[103:104]
	v_mul_f64 v[99:100], v[99:100], v[119:120]
	v_fma_f64 v[99:100], v[101:102], v[97:98], v[99:100]
	s_waitcnt vmcnt(2)
	v_add_f64 v[81:82], v[81:82], -v[103:104]
	s_waitcnt vmcnt(0)
	v_add_f64 v[83:84], v[83:84], -v[99:100]
	buffer_store_dword v81, off, s[20:23], 0 offset:16 ; 4-byte Folded Spill
	s_nop 0
	buffer_store_dword v82, off, s[20:23], 0 offset:20 ; 4-byte Folded Spill
	buffer_store_dword v83, off, s[20:23], 0 offset:24 ; 4-byte Folded Spill
	;; [unrolled: 1-line block ×3, first 2 shown]
	ds_read2_b64 v[99:102], v125 offset0:20 offset1:21
	buffer_load_dword v81, off, s[20:23], 0 ; 4-byte Folded Reload
	buffer_load_dword v82, off, s[20:23], 0 offset:4 ; 4-byte Folded Reload
	buffer_load_dword v83, off, s[20:23], 0 offset:8 ; 4-byte Folded Reload
	;; [unrolled: 1-line block ×3, first 2 shown]
	s_waitcnt lgkmcnt(0)
	v_mul_f64 v[103:104], v[101:102], v[119:120]
	v_fma_f64 v[103:104], v[99:100], v[97:98], -v[103:104]
	v_mul_f64 v[99:100], v[99:100], v[119:120]
	v_fma_f64 v[99:100], v[101:102], v[97:98], v[99:100]
	s_waitcnt vmcnt(2)
	v_add_f64 v[81:82], v[81:82], -v[103:104]
	s_waitcnt vmcnt(0)
	v_add_f64 v[83:84], v[83:84], -v[99:100]
	buffer_store_dword v81, off, s[20:23], 0 ; 4-byte Folded Spill
	s_nop 0
	buffer_store_dword v82, off, s[20:23], 0 offset:4 ; 4-byte Folded Spill
	buffer_store_dword v83, off, s[20:23], 0 offset:8 ; 4-byte Folded Spill
	;; [unrolled: 1-line block ×3, first 2 shown]
	ds_read2_b64 v[99:102], v125 offset0:22 offset1:23
	s_waitcnt lgkmcnt(0)
	v_mul_f64 v[103:104], v[101:102], v[119:120]
	v_fma_f64 v[103:104], v[99:100], v[97:98], -v[103:104]
	v_mul_f64 v[99:100], v[99:100], v[119:120]
	v_add_f64 v[113:114], v[113:114], -v[103:104]
	v_fma_f64 v[99:100], v[101:102], v[97:98], v[99:100]
	v_add_f64 v[115:116], v[115:116], -v[99:100]
	ds_read2_b64 v[99:102], v125 offset0:24 offset1:25
	s_waitcnt lgkmcnt(0)
	v_mul_f64 v[103:104], v[101:102], v[119:120]
	v_fma_f64 v[103:104], v[99:100], v[97:98], -v[103:104]
	v_mul_f64 v[99:100], v[99:100], v[119:120]
	v_add_f64 v[93:94], v[93:94], -v[103:104]
	v_fma_f64 v[99:100], v[101:102], v[97:98], v[99:100]
	v_add_f64 v[95:96], v[95:96], -v[99:100]
	;; [unrolled: 8-line block ×22, first 2 shown]
	ds_read2_b64 v[99:102], v125 offset0:66 offset1:67
	s_waitcnt lgkmcnt(0)
	v_mul_f64 v[103:104], v[101:102], v[119:120]
	v_fma_f64 v[103:104], v[99:100], v[97:98], -v[103:104]
	v_mul_f64 v[99:100], v[99:100], v[119:120]
	buffer_store_dword v117, off, s[20:23], 0 offset:144 ; 4-byte Folded Spill
	s_nop 0
	buffer_store_dword v118, off, s[20:23], 0 offset:148 ; 4-byte Folded Spill
	buffer_store_dword v119, off, s[20:23], 0 offset:152 ; 4-byte Folded Spill
	;; [unrolled: 1-line block ×3, first 2 shown]
	v_add_f64 v[121:122], v[121:122], -v[103:104]
	v_fma_f64 v[99:100], v[101:102], v[97:98], v[99:100]
	v_add_f64 v[123:124], v[123:124], -v[99:100]
.LBB67_19:
	s_or_b64 exec, exec, s[2:3]
	v_cmp_eq_u32_e32 vcc, 2, v126
	s_waitcnt vmcnt(0)
	s_barrier
	s_and_saveexec_b64 s[4:5], vcc
	s_cbranch_execz .LBB67_26
; %bb.20:
	buffer_load_dword v97, off, s[20:23], 0 offset:128 ; 4-byte Folded Reload
	buffer_load_dword v98, off, s[20:23], 0 offset:132 ; 4-byte Folded Reload
	;; [unrolled: 1-line block ×4, first 2 shown]
	s_waitcnt vmcnt(0)
	ds_write2_b64 v127, v[97:98], v[99:100] offset1:1
	buffer_load_dword v97, off, s[20:23], 0 offset:112 ; 4-byte Folded Reload
	buffer_load_dword v98, off, s[20:23], 0 offset:116 ; 4-byte Folded Reload
	buffer_load_dword v99, off, s[20:23], 0 offset:120 ; 4-byte Folded Reload
	buffer_load_dword v100, off, s[20:23], 0 offset:124 ; 4-byte Folded Reload
	s_waitcnt vmcnt(0)
	ds_write2_b64 v125, v[97:98], v[99:100] offset0:6 offset1:7
	buffer_load_dword v97, off, s[20:23], 0 offset:96 ; 4-byte Folded Reload
	buffer_load_dword v98, off, s[20:23], 0 offset:100 ; 4-byte Folded Reload
	buffer_load_dword v99, off, s[20:23], 0 offset:104 ; 4-byte Folded Reload
	buffer_load_dword v100, off, s[20:23], 0 offset:108 ; 4-byte Folded Reload
	s_waitcnt vmcnt(0)
	ds_write2_b64 v125, v[97:98], v[99:100] offset0:8 offset1:9
	;; [unrolled: 6-line block ×7, first 2 shown]
	buffer_load_dword v81, off, s[20:23], 0 ; 4-byte Folded Reload
	buffer_load_dword v82, off, s[20:23], 0 offset:4 ; 4-byte Folded Reload
	buffer_load_dword v83, off, s[20:23], 0 offset:8 ; 4-byte Folded Reload
	buffer_load_dword v84, off, s[20:23], 0 offset:12 ; 4-byte Folded Reload
	s_waitcnt vmcnt(0)
	ds_write2_b64 v125, v[81:82], v[83:84] offset0:20 offset1:21
	ds_write2_b64 v125, v[113:114], v[115:116] offset0:22 offset1:23
	;; [unrolled: 1-line block ×24, first 2 shown]
	ds_read2_b64 v[97:100], v127 offset1:1
	s_waitcnt lgkmcnt(0)
	v_cmp_neq_f64_e32 vcc, 0, v[97:98]
	v_cmp_neq_f64_e64 s[2:3], 0, v[99:100]
	s_or_b64 s[2:3], vcc, s[2:3]
	s_and_b64 exec, exec, s[2:3]
	s_cbranch_execz .LBB67_26
; %bb.21:
	v_cmp_ngt_f64_e64 s[2:3], |v[97:98]|, |v[99:100]|
                                        ; implicit-def: $vgpr101_vgpr102
	s_and_saveexec_b64 s[6:7], s[2:3]
	s_xor_b64 s[2:3], exec, s[6:7]
                                        ; implicit-def: $vgpr103_vgpr104
	s_cbranch_execz .LBB67_23
; %bb.22:
	v_div_scale_f64 v[101:102], s[6:7], v[99:100], v[99:100], v[97:98]
	v_rcp_f64_e32 v[103:104], v[101:102]
	v_fma_f64 v[105:106], -v[101:102], v[103:104], 1.0
	v_fma_f64 v[103:104], v[103:104], v[105:106], v[103:104]
	v_div_scale_f64 v[105:106], vcc, v[97:98], v[99:100], v[97:98]
	v_fma_f64 v[107:108], -v[101:102], v[103:104], 1.0
	v_fma_f64 v[103:104], v[103:104], v[107:108], v[103:104]
	v_mul_f64 v[107:108], v[105:106], v[103:104]
	v_fma_f64 v[101:102], -v[101:102], v[107:108], v[105:106]
	v_div_fmas_f64 v[101:102], v[101:102], v[103:104], v[107:108]
	v_div_fixup_f64 v[101:102], v[101:102], v[99:100], v[97:98]
	v_fma_f64 v[97:98], v[97:98], v[101:102], v[99:100]
	v_div_scale_f64 v[99:100], s[6:7], v[97:98], v[97:98], 1.0
	v_div_scale_f64 v[107:108], vcc, 1.0, v[97:98], 1.0
	v_rcp_f64_e32 v[103:104], v[99:100]
	v_fma_f64 v[105:106], -v[99:100], v[103:104], 1.0
	v_fma_f64 v[103:104], v[103:104], v[105:106], v[103:104]
	v_fma_f64 v[105:106], -v[99:100], v[103:104], 1.0
	v_fma_f64 v[103:104], v[103:104], v[105:106], v[103:104]
	v_mul_f64 v[105:106], v[107:108], v[103:104]
	v_fma_f64 v[99:100], -v[99:100], v[105:106], v[107:108]
	v_div_fmas_f64 v[99:100], v[99:100], v[103:104], v[105:106]
	v_div_fixup_f64 v[103:104], v[99:100], v[97:98], 1.0
                                        ; implicit-def: $vgpr97_vgpr98
	v_mul_f64 v[101:102], v[101:102], v[103:104]
	v_xor_b32_e32 v104, 0x80000000, v104
.LBB67_23:
	s_andn2_saveexec_b64 s[2:3], s[2:3]
	s_cbranch_execz .LBB67_25
; %bb.24:
	v_div_scale_f64 v[101:102], s[6:7], v[97:98], v[97:98], v[99:100]
	v_rcp_f64_e32 v[103:104], v[101:102]
	v_fma_f64 v[105:106], -v[101:102], v[103:104], 1.0
	v_fma_f64 v[103:104], v[103:104], v[105:106], v[103:104]
	v_div_scale_f64 v[105:106], vcc, v[99:100], v[97:98], v[99:100]
	v_fma_f64 v[107:108], -v[101:102], v[103:104], 1.0
	v_fma_f64 v[103:104], v[103:104], v[107:108], v[103:104]
	v_mul_f64 v[107:108], v[105:106], v[103:104]
	v_fma_f64 v[101:102], -v[101:102], v[107:108], v[105:106]
	v_div_fmas_f64 v[101:102], v[101:102], v[103:104], v[107:108]
	v_div_fixup_f64 v[103:104], v[101:102], v[97:98], v[99:100]
	v_fma_f64 v[97:98], v[99:100], v[103:104], v[97:98]
	v_div_scale_f64 v[99:100], s[6:7], v[97:98], v[97:98], 1.0
	v_div_scale_f64 v[107:108], vcc, 1.0, v[97:98], 1.0
	v_rcp_f64_e32 v[101:102], v[99:100]
	v_fma_f64 v[105:106], -v[99:100], v[101:102], 1.0
	v_fma_f64 v[101:102], v[101:102], v[105:106], v[101:102]
	v_fma_f64 v[105:106], -v[99:100], v[101:102], 1.0
	v_fma_f64 v[101:102], v[101:102], v[105:106], v[101:102]
	v_mul_f64 v[105:106], v[107:108], v[101:102]
	v_fma_f64 v[99:100], -v[99:100], v[105:106], v[107:108]
	v_div_fmas_f64 v[99:100], v[99:100], v[101:102], v[105:106]
	v_div_fixup_f64 v[101:102], v[99:100], v[97:98], 1.0
	v_mul_f64 v[103:104], v[103:104], -v[101:102]
.LBB67_25:
	s_or_b64 exec, exec, s[2:3]
	ds_write2_b64 v127, v[101:102], v[103:104] offset1:1
.LBB67_26:
	s_or_b64 exec, exec, s[4:5]
	s_waitcnt lgkmcnt(0)
	s_barrier
	ds_read2_b64 v[97:100], v127 offset1:1
	v_cmp_lt_u32_e32 vcc, 2, v126
	s_waitcnt lgkmcnt(0)
	buffer_store_dword v97, off, s[20:23], 0 offset:464 ; 4-byte Folded Spill
	s_nop 0
	buffer_store_dword v98, off, s[20:23], 0 offset:468 ; 4-byte Folded Spill
	buffer_store_dword v99, off, s[20:23], 0 offset:472 ; 4-byte Folded Spill
	;; [unrolled: 1-line block ×3, first 2 shown]
	s_and_saveexec_b64 s[2:3], vcc
	s_cbranch_execz .LBB67_28
; %bb.27:
	buffer_load_dword v117, off, s[20:23], 0 offset:128 ; 4-byte Folded Reload
	buffer_load_dword v118, off, s[20:23], 0 offset:132 ; 4-byte Folded Reload
	;; [unrolled: 1-line block ×8, first 2 shown]
	s_waitcnt vmcnt(0)
	v_mul_f64 v[97:98], v[101:102], v[119:120]
	v_fma_f64 v[97:98], v[99:100], v[117:118], -v[97:98]
	v_mul_f64 v[99:100], v[99:100], v[119:120]
	v_fma_f64 v[119:120], v[101:102], v[117:118], v[99:100]
	ds_read2_b64 v[99:102], v125 offset0:6 offset1:7
	buffer_load_dword v105, off, s[20:23], 0 offset:112 ; 4-byte Folded Reload
	buffer_load_dword v106, off, s[20:23], 0 offset:116 ; 4-byte Folded Reload
	;; [unrolled: 1-line block ×4, first 2 shown]
	v_mov_b32_e32 v118, v98
	v_mov_b32_e32 v117, v97
	s_waitcnt lgkmcnt(0)
	v_mul_f64 v[103:104], v[101:102], v[119:120]
	v_fma_f64 v[103:104], v[99:100], v[97:98], -v[103:104]
	v_mul_f64 v[99:100], v[99:100], v[119:120]
	v_fma_f64 v[99:100], v[101:102], v[97:98], v[99:100]
	s_waitcnt vmcnt(2)
	v_add_f64 v[105:106], v[105:106], -v[103:104]
	s_waitcnt vmcnt(0)
	v_add_f64 v[107:108], v[107:108], -v[99:100]
	buffer_store_dword v105, off, s[20:23], 0 offset:112 ; 4-byte Folded Spill
	s_nop 0
	buffer_store_dword v106, off, s[20:23], 0 offset:116 ; 4-byte Folded Spill
	buffer_store_dword v107, off, s[20:23], 0 offset:120 ; 4-byte Folded Spill
	buffer_store_dword v108, off, s[20:23], 0 offset:124 ; 4-byte Folded Spill
	ds_read2_b64 v[99:102], v125 offset0:8 offset1:9
	buffer_load_dword v105, off, s[20:23], 0 offset:96 ; 4-byte Folded Reload
	buffer_load_dword v106, off, s[20:23], 0 offset:100 ; 4-byte Folded Reload
	buffer_load_dword v107, off, s[20:23], 0 offset:104 ; 4-byte Folded Reload
	buffer_load_dword v108, off, s[20:23], 0 offset:108 ; 4-byte Folded Reload
	s_waitcnt lgkmcnt(0)
	v_mul_f64 v[103:104], v[101:102], v[119:120]
	v_fma_f64 v[103:104], v[99:100], v[97:98], -v[103:104]
	v_mul_f64 v[99:100], v[99:100], v[119:120]
	v_fma_f64 v[99:100], v[101:102], v[97:98], v[99:100]
	s_waitcnt vmcnt(2)
	v_add_f64 v[105:106], v[105:106], -v[103:104]
	s_waitcnt vmcnt(0)
	v_add_f64 v[107:108], v[107:108], -v[99:100]
	buffer_store_dword v105, off, s[20:23], 0 offset:96 ; 4-byte Folded Spill
	s_nop 0
	buffer_store_dword v106, off, s[20:23], 0 offset:100 ; 4-byte Folded Spill
	buffer_store_dword v107, off, s[20:23], 0 offset:104 ; 4-byte Folded Spill
	buffer_store_dword v108, off, s[20:23], 0 offset:108 ; 4-byte Folded Spill
	ds_read2_b64 v[99:102], v125 offset0:10 offset1:11
	buffer_load_dword v105, off, s[20:23], 0 offset:80 ; 4-byte Folded Reload
	buffer_load_dword v106, off, s[20:23], 0 offset:84 ; 4-byte Folded Reload
	buffer_load_dword v107, off, s[20:23], 0 offset:88 ; 4-byte Folded Reload
	buffer_load_dword v108, off, s[20:23], 0 offset:92 ; 4-byte Folded Reload
	;; [unrolled: 19-line block ×6, first 2 shown]
	s_waitcnt lgkmcnt(0)
	v_mul_f64 v[103:104], v[101:102], v[119:120]
	v_fma_f64 v[103:104], v[99:100], v[97:98], -v[103:104]
	v_mul_f64 v[99:100], v[99:100], v[119:120]
	v_fma_f64 v[99:100], v[101:102], v[97:98], v[99:100]
	s_waitcnt vmcnt(2)
	v_add_f64 v[81:82], v[81:82], -v[103:104]
	s_waitcnt vmcnt(0)
	v_add_f64 v[83:84], v[83:84], -v[99:100]
	buffer_store_dword v81, off, s[20:23], 0 offset:16 ; 4-byte Folded Spill
	s_nop 0
	buffer_store_dword v82, off, s[20:23], 0 offset:20 ; 4-byte Folded Spill
	buffer_store_dword v83, off, s[20:23], 0 offset:24 ; 4-byte Folded Spill
	;; [unrolled: 1-line block ×3, first 2 shown]
	ds_read2_b64 v[99:102], v125 offset0:20 offset1:21
	buffer_load_dword v81, off, s[20:23], 0 ; 4-byte Folded Reload
	buffer_load_dword v82, off, s[20:23], 0 offset:4 ; 4-byte Folded Reload
	buffer_load_dword v83, off, s[20:23], 0 offset:8 ; 4-byte Folded Reload
	;; [unrolled: 1-line block ×3, first 2 shown]
	s_waitcnt lgkmcnt(0)
	v_mul_f64 v[103:104], v[101:102], v[119:120]
	v_fma_f64 v[103:104], v[99:100], v[97:98], -v[103:104]
	v_mul_f64 v[99:100], v[99:100], v[119:120]
	v_fma_f64 v[99:100], v[101:102], v[97:98], v[99:100]
	s_waitcnt vmcnt(2)
	v_add_f64 v[81:82], v[81:82], -v[103:104]
	s_waitcnt vmcnt(0)
	v_add_f64 v[83:84], v[83:84], -v[99:100]
	buffer_store_dword v81, off, s[20:23], 0 ; 4-byte Folded Spill
	s_nop 0
	buffer_store_dword v82, off, s[20:23], 0 offset:4 ; 4-byte Folded Spill
	buffer_store_dword v83, off, s[20:23], 0 offset:8 ; 4-byte Folded Spill
	;; [unrolled: 1-line block ×3, first 2 shown]
	ds_read2_b64 v[99:102], v125 offset0:22 offset1:23
	s_waitcnt lgkmcnt(0)
	v_mul_f64 v[103:104], v[101:102], v[119:120]
	v_fma_f64 v[103:104], v[99:100], v[97:98], -v[103:104]
	v_mul_f64 v[99:100], v[99:100], v[119:120]
	v_add_f64 v[113:114], v[113:114], -v[103:104]
	v_fma_f64 v[99:100], v[101:102], v[97:98], v[99:100]
	v_add_f64 v[115:116], v[115:116], -v[99:100]
	ds_read2_b64 v[99:102], v125 offset0:24 offset1:25
	s_waitcnt lgkmcnt(0)
	v_mul_f64 v[103:104], v[101:102], v[119:120]
	v_fma_f64 v[103:104], v[99:100], v[97:98], -v[103:104]
	v_mul_f64 v[99:100], v[99:100], v[119:120]
	v_add_f64 v[93:94], v[93:94], -v[103:104]
	v_fma_f64 v[99:100], v[101:102], v[97:98], v[99:100]
	v_add_f64 v[95:96], v[95:96], -v[99:100]
	;; [unrolled: 8-line block ×22, first 2 shown]
	ds_read2_b64 v[99:102], v125 offset0:66 offset1:67
	s_waitcnt lgkmcnt(0)
	v_mul_f64 v[103:104], v[101:102], v[119:120]
	v_fma_f64 v[103:104], v[99:100], v[97:98], -v[103:104]
	v_mul_f64 v[99:100], v[99:100], v[119:120]
	buffer_store_dword v117, off, s[20:23], 0 offset:128 ; 4-byte Folded Spill
	s_nop 0
	buffer_store_dword v118, off, s[20:23], 0 offset:132 ; 4-byte Folded Spill
	buffer_store_dword v119, off, s[20:23], 0 offset:136 ; 4-byte Folded Spill
	;; [unrolled: 1-line block ×3, first 2 shown]
	v_add_f64 v[121:122], v[121:122], -v[103:104]
	v_fma_f64 v[99:100], v[101:102], v[97:98], v[99:100]
	v_add_f64 v[123:124], v[123:124], -v[99:100]
.LBB67_28:
	s_or_b64 exec, exec, s[2:3]
	v_cmp_eq_u32_e32 vcc, 3, v126
	s_waitcnt vmcnt(0)
	s_barrier
	s_and_saveexec_b64 s[4:5], vcc
	s_cbranch_execz .LBB67_35
; %bb.29:
	buffer_load_dword v97, off, s[20:23], 0 offset:112 ; 4-byte Folded Reload
	buffer_load_dword v98, off, s[20:23], 0 offset:116 ; 4-byte Folded Reload
	;; [unrolled: 1-line block ×4, first 2 shown]
	s_waitcnt vmcnt(0)
	ds_write2_b64 v127, v[97:98], v[99:100] offset1:1
	buffer_load_dword v97, off, s[20:23], 0 offset:96 ; 4-byte Folded Reload
	buffer_load_dword v98, off, s[20:23], 0 offset:100 ; 4-byte Folded Reload
	buffer_load_dword v99, off, s[20:23], 0 offset:104 ; 4-byte Folded Reload
	buffer_load_dword v100, off, s[20:23], 0 offset:108 ; 4-byte Folded Reload
	s_waitcnt vmcnt(0)
	ds_write2_b64 v125, v[97:98], v[99:100] offset0:8 offset1:9
	buffer_load_dword v97, off, s[20:23], 0 offset:80 ; 4-byte Folded Reload
	buffer_load_dword v98, off, s[20:23], 0 offset:84 ; 4-byte Folded Reload
	buffer_load_dword v99, off, s[20:23], 0 offset:88 ; 4-byte Folded Reload
	buffer_load_dword v100, off, s[20:23], 0 offset:92 ; 4-byte Folded Reload
	s_waitcnt vmcnt(0)
	ds_write2_b64 v125, v[97:98], v[99:100] offset0:10 offset1:11
	;; [unrolled: 6-line block ×6, first 2 shown]
	buffer_load_dword v81, off, s[20:23], 0 ; 4-byte Folded Reload
	buffer_load_dword v82, off, s[20:23], 0 offset:4 ; 4-byte Folded Reload
	buffer_load_dword v83, off, s[20:23], 0 offset:8 ; 4-byte Folded Reload
	;; [unrolled: 1-line block ×3, first 2 shown]
	s_waitcnt vmcnt(0)
	ds_write2_b64 v125, v[81:82], v[83:84] offset0:20 offset1:21
	ds_write2_b64 v125, v[113:114], v[115:116] offset0:22 offset1:23
	;; [unrolled: 1-line block ×24, first 2 shown]
	ds_read2_b64 v[97:100], v127 offset1:1
	s_waitcnt lgkmcnt(0)
	v_cmp_neq_f64_e32 vcc, 0, v[97:98]
	v_cmp_neq_f64_e64 s[2:3], 0, v[99:100]
	s_or_b64 s[2:3], vcc, s[2:3]
	s_and_b64 exec, exec, s[2:3]
	s_cbranch_execz .LBB67_35
; %bb.30:
	v_cmp_ngt_f64_e64 s[2:3], |v[97:98]|, |v[99:100]|
                                        ; implicit-def: $vgpr101_vgpr102
	s_and_saveexec_b64 s[6:7], s[2:3]
	s_xor_b64 s[2:3], exec, s[6:7]
                                        ; implicit-def: $vgpr103_vgpr104
	s_cbranch_execz .LBB67_32
; %bb.31:
	v_div_scale_f64 v[101:102], s[6:7], v[99:100], v[99:100], v[97:98]
	v_rcp_f64_e32 v[103:104], v[101:102]
	v_fma_f64 v[105:106], -v[101:102], v[103:104], 1.0
	v_fma_f64 v[103:104], v[103:104], v[105:106], v[103:104]
	v_div_scale_f64 v[105:106], vcc, v[97:98], v[99:100], v[97:98]
	v_fma_f64 v[107:108], -v[101:102], v[103:104], 1.0
	v_fma_f64 v[103:104], v[103:104], v[107:108], v[103:104]
	v_mul_f64 v[107:108], v[105:106], v[103:104]
	v_fma_f64 v[101:102], -v[101:102], v[107:108], v[105:106]
	v_div_fmas_f64 v[101:102], v[101:102], v[103:104], v[107:108]
	v_div_fixup_f64 v[101:102], v[101:102], v[99:100], v[97:98]
	v_fma_f64 v[97:98], v[97:98], v[101:102], v[99:100]
	v_div_scale_f64 v[99:100], s[6:7], v[97:98], v[97:98], 1.0
	v_div_scale_f64 v[107:108], vcc, 1.0, v[97:98], 1.0
	v_rcp_f64_e32 v[103:104], v[99:100]
	v_fma_f64 v[105:106], -v[99:100], v[103:104], 1.0
	v_fma_f64 v[103:104], v[103:104], v[105:106], v[103:104]
	v_fma_f64 v[105:106], -v[99:100], v[103:104], 1.0
	v_fma_f64 v[103:104], v[103:104], v[105:106], v[103:104]
	v_mul_f64 v[105:106], v[107:108], v[103:104]
	v_fma_f64 v[99:100], -v[99:100], v[105:106], v[107:108]
	v_div_fmas_f64 v[99:100], v[99:100], v[103:104], v[105:106]
	v_div_fixup_f64 v[103:104], v[99:100], v[97:98], 1.0
                                        ; implicit-def: $vgpr97_vgpr98
	v_mul_f64 v[101:102], v[101:102], v[103:104]
	v_xor_b32_e32 v104, 0x80000000, v104
.LBB67_32:
	s_andn2_saveexec_b64 s[2:3], s[2:3]
	s_cbranch_execz .LBB67_34
; %bb.33:
	v_div_scale_f64 v[101:102], s[6:7], v[97:98], v[97:98], v[99:100]
	v_rcp_f64_e32 v[103:104], v[101:102]
	v_fma_f64 v[105:106], -v[101:102], v[103:104], 1.0
	v_fma_f64 v[103:104], v[103:104], v[105:106], v[103:104]
	v_div_scale_f64 v[105:106], vcc, v[99:100], v[97:98], v[99:100]
	v_fma_f64 v[107:108], -v[101:102], v[103:104], 1.0
	v_fma_f64 v[103:104], v[103:104], v[107:108], v[103:104]
	v_mul_f64 v[107:108], v[105:106], v[103:104]
	v_fma_f64 v[101:102], -v[101:102], v[107:108], v[105:106]
	v_div_fmas_f64 v[101:102], v[101:102], v[103:104], v[107:108]
	v_div_fixup_f64 v[103:104], v[101:102], v[97:98], v[99:100]
	v_fma_f64 v[97:98], v[99:100], v[103:104], v[97:98]
	v_div_scale_f64 v[99:100], s[6:7], v[97:98], v[97:98], 1.0
	v_div_scale_f64 v[107:108], vcc, 1.0, v[97:98], 1.0
	v_rcp_f64_e32 v[101:102], v[99:100]
	v_fma_f64 v[105:106], -v[99:100], v[101:102], 1.0
	v_fma_f64 v[101:102], v[101:102], v[105:106], v[101:102]
	v_fma_f64 v[105:106], -v[99:100], v[101:102], 1.0
	v_fma_f64 v[101:102], v[101:102], v[105:106], v[101:102]
	v_mul_f64 v[105:106], v[107:108], v[101:102]
	v_fma_f64 v[99:100], -v[99:100], v[105:106], v[107:108]
	v_div_fmas_f64 v[99:100], v[99:100], v[101:102], v[105:106]
	v_div_fixup_f64 v[101:102], v[99:100], v[97:98], 1.0
	v_mul_f64 v[103:104], v[103:104], -v[101:102]
.LBB67_34:
	s_or_b64 exec, exec, s[2:3]
	ds_write2_b64 v127, v[101:102], v[103:104] offset1:1
.LBB67_35:
	s_or_b64 exec, exec, s[4:5]
	s_waitcnt lgkmcnt(0)
	s_barrier
	ds_read2_b64 v[97:100], v127 offset1:1
	v_cmp_lt_u32_e32 vcc, 3, v126
	s_waitcnt lgkmcnt(0)
	buffer_store_dword v97, off, s[20:23], 0 offset:480 ; 4-byte Folded Spill
	s_nop 0
	buffer_store_dword v98, off, s[20:23], 0 offset:484 ; 4-byte Folded Spill
	buffer_store_dword v99, off, s[20:23], 0 offset:488 ; 4-byte Folded Spill
	;; [unrolled: 1-line block ×3, first 2 shown]
	s_and_saveexec_b64 s[2:3], vcc
	s_cbranch_execz .LBB67_37
; %bb.36:
	buffer_load_dword v117, off, s[20:23], 0 offset:112 ; 4-byte Folded Reload
	buffer_load_dword v118, off, s[20:23], 0 offset:116 ; 4-byte Folded Reload
	;; [unrolled: 1-line block ×8, first 2 shown]
	s_waitcnt vmcnt(0)
	v_mul_f64 v[97:98], v[101:102], v[119:120]
	v_fma_f64 v[97:98], v[99:100], v[117:118], -v[97:98]
	v_mul_f64 v[99:100], v[99:100], v[119:120]
	v_fma_f64 v[119:120], v[101:102], v[117:118], v[99:100]
	ds_read2_b64 v[99:102], v125 offset0:8 offset1:9
	buffer_load_dword v105, off, s[20:23], 0 offset:96 ; 4-byte Folded Reload
	buffer_load_dword v106, off, s[20:23], 0 offset:100 ; 4-byte Folded Reload
	;; [unrolled: 1-line block ×4, first 2 shown]
	v_mov_b32_e32 v118, v98
	v_mov_b32_e32 v117, v97
	s_waitcnt lgkmcnt(0)
	v_mul_f64 v[103:104], v[101:102], v[119:120]
	v_fma_f64 v[103:104], v[99:100], v[97:98], -v[103:104]
	v_mul_f64 v[99:100], v[99:100], v[119:120]
	v_fma_f64 v[99:100], v[101:102], v[97:98], v[99:100]
	s_waitcnt vmcnt(2)
	v_add_f64 v[105:106], v[105:106], -v[103:104]
	s_waitcnt vmcnt(0)
	v_add_f64 v[107:108], v[107:108], -v[99:100]
	buffer_store_dword v105, off, s[20:23], 0 offset:96 ; 4-byte Folded Spill
	s_nop 0
	buffer_store_dword v106, off, s[20:23], 0 offset:100 ; 4-byte Folded Spill
	buffer_store_dword v107, off, s[20:23], 0 offset:104 ; 4-byte Folded Spill
	buffer_store_dword v108, off, s[20:23], 0 offset:108 ; 4-byte Folded Spill
	ds_read2_b64 v[99:102], v125 offset0:10 offset1:11
	buffer_load_dword v105, off, s[20:23], 0 offset:80 ; 4-byte Folded Reload
	buffer_load_dword v106, off, s[20:23], 0 offset:84 ; 4-byte Folded Reload
	buffer_load_dword v107, off, s[20:23], 0 offset:88 ; 4-byte Folded Reload
	buffer_load_dword v108, off, s[20:23], 0 offset:92 ; 4-byte Folded Reload
	s_waitcnt lgkmcnt(0)
	v_mul_f64 v[103:104], v[101:102], v[119:120]
	v_fma_f64 v[103:104], v[99:100], v[97:98], -v[103:104]
	v_mul_f64 v[99:100], v[99:100], v[119:120]
	v_fma_f64 v[99:100], v[101:102], v[97:98], v[99:100]
	s_waitcnt vmcnt(2)
	v_add_f64 v[105:106], v[105:106], -v[103:104]
	s_waitcnt vmcnt(0)
	v_add_f64 v[107:108], v[107:108], -v[99:100]
	buffer_store_dword v105, off, s[20:23], 0 offset:80 ; 4-byte Folded Spill
	s_nop 0
	buffer_store_dword v106, off, s[20:23], 0 offset:84 ; 4-byte Folded Spill
	buffer_store_dword v107, off, s[20:23], 0 offset:88 ; 4-byte Folded Spill
	buffer_store_dword v108, off, s[20:23], 0 offset:92 ; 4-byte Folded Spill
	ds_read2_b64 v[99:102], v125 offset0:12 offset1:13
	buffer_load_dword v105, off, s[20:23], 0 offset:64 ; 4-byte Folded Reload
	buffer_load_dword v106, off, s[20:23], 0 offset:68 ; 4-byte Folded Reload
	buffer_load_dword v107, off, s[20:23], 0 offset:72 ; 4-byte Folded Reload
	buffer_load_dword v108, off, s[20:23], 0 offset:76 ; 4-byte Folded Reload
	;; [unrolled: 19-line block ×5, first 2 shown]
	s_waitcnt lgkmcnt(0)
	v_mul_f64 v[103:104], v[101:102], v[119:120]
	v_fma_f64 v[103:104], v[99:100], v[97:98], -v[103:104]
	v_mul_f64 v[99:100], v[99:100], v[119:120]
	v_fma_f64 v[99:100], v[101:102], v[97:98], v[99:100]
	s_waitcnt vmcnt(2)
	v_add_f64 v[81:82], v[81:82], -v[103:104]
	s_waitcnt vmcnt(0)
	v_add_f64 v[83:84], v[83:84], -v[99:100]
	buffer_store_dword v81, off, s[20:23], 0 offset:16 ; 4-byte Folded Spill
	s_nop 0
	buffer_store_dword v82, off, s[20:23], 0 offset:20 ; 4-byte Folded Spill
	buffer_store_dword v83, off, s[20:23], 0 offset:24 ; 4-byte Folded Spill
	;; [unrolled: 1-line block ×3, first 2 shown]
	ds_read2_b64 v[99:102], v125 offset0:20 offset1:21
	buffer_load_dword v81, off, s[20:23], 0 ; 4-byte Folded Reload
	buffer_load_dword v82, off, s[20:23], 0 offset:4 ; 4-byte Folded Reload
	buffer_load_dword v83, off, s[20:23], 0 offset:8 ; 4-byte Folded Reload
	;; [unrolled: 1-line block ×3, first 2 shown]
	s_waitcnt lgkmcnt(0)
	v_mul_f64 v[103:104], v[101:102], v[119:120]
	v_fma_f64 v[103:104], v[99:100], v[97:98], -v[103:104]
	v_mul_f64 v[99:100], v[99:100], v[119:120]
	v_fma_f64 v[99:100], v[101:102], v[97:98], v[99:100]
	s_waitcnt vmcnt(2)
	v_add_f64 v[81:82], v[81:82], -v[103:104]
	s_waitcnt vmcnt(0)
	v_add_f64 v[83:84], v[83:84], -v[99:100]
	buffer_store_dword v81, off, s[20:23], 0 ; 4-byte Folded Spill
	s_nop 0
	buffer_store_dword v82, off, s[20:23], 0 offset:4 ; 4-byte Folded Spill
	buffer_store_dword v83, off, s[20:23], 0 offset:8 ; 4-byte Folded Spill
	buffer_store_dword v84, off, s[20:23], 0 offset:12 ; 4-byte Folded Spill
	ds_read2_b64 v[99:102], v125 offset0:22 offset1:23
	s_waitcnt lgkmcnt(0)
	v_mul_f64 v[103:104], v[101:102], v[119:120]
	v_fma_f64 v[103:104], v[99:100], v[97:98], -v[103:104]
	v_mul_f64 v[99:100], v[99:100], v[119:120]
	v_add_f64 v[113:114], v[113:114], -v[103:104]
	v_fma_f64 v[99:100], v[101:102], v[97:98], v[99:100]
	v_add_f64 v[115:116], v[115:116], -v[99:100]
	ds_read2_b64 v[99:102], v125 offset0:24 offset1:25
	s_waitcnt lgkmcnt(0)
	v_mul_f64 v[103:104], v[101:102], v[119:120]
	v_fma_f64 v[103:104], v[99:100], v[97:98], -v[103:104]
	v_mul_f64 v[99:100], v[99:100], v[119:120]
	v_add_f64 v[93:94], v[93:94], -v[103:104]
	v_fma_f64 v[99:100], v[101:102], v[97:98], v[99:100]
	v_add_f64 v[95:96], v[95:96], -v[99:100]
	;; [unrolled: 8-line block ×22, first 2 shown]
	ds_read2_b64 v[99:102], v125 offset0:66 offset1:67
	s_waitcnt lgkmcnt(0)
	v_mul_f64 v[103:104], v[101:102], v[119:120]
	v_fma_f64 v[103:104], v[99:100], v[97:98], -v[103:104]
	v_mul_f64 v[99:100], v[99:100], v[119:120]
	buffer_store_dword v117, off, s[20:23], 0 offset:112 ; 4-byte Folded Spill
	s_nop 0
	buffer_store_dword v118, off, s[20:23], 0 offset:116 ; 4-byte Folded Spill
	buffer_store_dword v119, off, s[20:23], 0 offset:120 ; 4-byte Folded Spill
	;; [unrolled: 1-line block ×3, first 2 shown]
	v_add_f64 v[121:122], v[121:122], -v[103:104]
	v_fma_f64 v[99:100], v[101:102], v[97:98], v[99:100]
	v_add_f64 v[123:124], v[123:124], -v[99:100]
.LBB67_37:
	s_or_b64 exec, exec, s[2:3]
	v_cmp_eq_u32_e32 vcc, 4, v126
	s_waitcnt vmcnt(0)
	s_barrier
	s_and_saveexec_b64 s[4:5], vcc
	s_cbranch_execz .LBB67_44
; %bb.38:
	buffer_load_dword v97, off, s[20:23], 0 offset:96 ; 4-byte Folded Reload
	buffer_load_dword v98, off, s[20:23], 0 offset:100 ; 4-byte Folded Reload
	buffer_load_dword v99, off, s[20:23], 0 offset:104 ; 4-byte Folded Reload
	buffer_load_dword v100, off, s[20:23], 0 offset:108 ; 4-byte Folded Reload
	s_waitcnt vmcnt(0)
	ds_write2_b64 v127, v[97:98], v[99:100] offset1:1
	buffer_load_dword v97, off, s[20:23], 0 offset:80 ; 4-byte Folded Reload
	buffer_load_dword v98, off, s[20:23], 0 offset:84 ; 4-byte Folded Reload
	buffer_load_dword v99, off, s[20:23], 0 offset:88 ; 4-byte Folded Reload
	buffer_load_dword v100, off, s[20:23], 0 offset:92 ; 4-byte Folded Reload
	s_waitcnt vmcnt(0)
	ds_write2_b64 v125, v[97:98], v[99:100] offset0:10 offset1:11
	buffer_load_dword v97, off, s[20:23], 0 offset:64 ; 4-byte Folded Reload
	buffer_load_dword v98, off, s[20:23], 0 offset:68 ; 4-byte Folded Reload
	buffer_load_dword v99, off, s[20:23], 0 offset:72 ; 4-byte Folded Reload
	buffer_load_dword v100, off, s[20:23], 0 offset:76 ; 4-byte Folded Reload
	s_waitcnt vmcnt(0)
	ds_write2_b64 v125, v[97:98], v[99:100] offset0:12 offset1:13
	;; [unrolled: 6-line block ×5, first 2 shown]
	buffer_load_dword v81, off, s[20:23], 0 ; 4-byte Folded Reload
	buffer_load_dword v82, off, s[20:23], 0 offset:4 ; 4-byte Folded Reload
	buffer_load_dword v83, off, s[20:23], 0 offset:8 ; 4-byte Folded Reload
	;; [unrolled: 1-line block ×3, first 2 shown]
	s_waitcnt vmcnt(0)
	ds_write2_b64 v125, v[81:82], v[83:84] offset0:20 offset1:21
	ds_write2_b64 v125, v[113:114], v[115:116] offset0:22 offset1:23
	;; [unrolled: 1-line block ×24, first 2 shown]
	ds_read2_b64 v[97:100], v127 offset1:1
	s_waitcnt lgkmcnt(0)
	v_cmp_neq_f64_e32 vcc, 0, v[97:98]
	v_cmp_neq_f64_e64 s[2:3], 0, v[99:100]
	s_or_b64 s[2:3], vcc, s[2:3]
	s_and_b64 exec, exec, s[2:3]
	s_cbranch_execz .LBB67_44
; %bb.39:
	v_cmp_ngt_f64_e64 s[2:3], |v[97:98]|, |v[99:100]|
                                        ; implicit-def: $vgpr101_vgpr102
	s_and_saveexec_b64 s[6:7], s[2:3]
	s_xor_b64 s[2:3], exec, s[6:7]
                                        ; implicit-def: $vgpr103_vgpr104
	s_cbranch_execz .LBB67_41
; %bb.40:
	v_div_scale_f64 v[101:102], s[6:7], v[99:100], v[99:100], v[97:98]
	v_rcp_f64_e32 v[103:104], v[101:102]
	v_fma_f64 v[105:106], -v[101:102], v[103:104], 1.0
	v_fma_f64 v[103:104], v[103:104], v[105:106], v[103:104]
	v_div_scale_f64 v[105:106], vcc, v[97:98], v[99:100], v[97:98]
	v_fma_f64 v[107:108], -v[101:102], v[103:104], 1.0
	v_fma_f64 v[103:104], v[103:104], v[107:108], v[103:104]
	v_mul_f64 v[107:108], v[105:106], v[103:104]
	v_fma_f64 v[101:102], -v[101:102], v[107:108], v[105:106]
	v_div_fmas_f64 v[101:102], v[101:102], v[103:104], v[107:108]
	v_div_fixup_f64 v[101:102], v[101:102], v[99:100], v[97:98]
	v_fma_f64 v[97:98], v[97:98], v[101:102], v[99:100]
	v_div_scale_f64 v[99:100], s[6:7], v[97:98], v[97:98], 1.0
	v_div_scale_f64 v[107:108], vcc, 1.0, v[97:98], 1.0
	v_rcp_f64_e32 v[103:104], v[99:100]
	v_fma_f64 v[105:106], -v[99:100], v[103:104], 1.0
	v_fma_f64 v[103:104], v[103:104], v[105:106], v[103:104]
	v_fma_f64 v[105:106], -v[99:100], v[103:104], 1.0
	v_fma_f64 v[103:104], v[103:104], v[105:106], v[103:104]
	v_mul_f64 v[105:106], v[107:108], v[103:104]
	v_fma_f64 v[99:100], -v[99:100], v[105:106], v[107:108]
	v_div_fmas_f64 v[99:100], v[99:100], v[103:104], v[105:106]
	v_div_fixup_f64 v[103:104], v[99:100], v[97:98], 1.0
                                        ; implicit-def: $vgpr97_vgpr98
	v_mul_f64 v[101:102], v[101:102], v[103:104]
	v_xor_b32_e32 v104, 0x80000000, v104
.LBB67_41:
	s_andn2_saveexec_b64 s[2:3], s[2:3]
	s_cbranch_execz .LBB67_43
; %bb.42:
	v_div_scale_f64 v[101:102], s[6:7], v[97:98], v[97:98], v[99:100]
	v_rcp_f64_e32 v[103:104], v[101:102]
	v_fma_f64 v[105:106], -v[101:102], v[103:104], 1.0
	v_fma_f64 v[103:104], v[103:104], v[105:106], v[103:104]
	v_div_scale_f64 v[105:106], vcc, v[99:100], v[97:98], v[99:100]
	v_fma_f64 v[107:108], -v[101:102], v[103:104], 1.0
	v_fma_f64 v[103:104], v[103:104], v[107:108], v[103:104]
	v_mul_f64 v[107:108], v[105:106], v[103:104]
	v_fma_f64 v[101:102], -v[101:102], v[107:108], v[105:106]
	v_div_fmas_f64 v[101:102], v[101:102], v[103:104], v[107:108]
	v_div_fixup_f64 v[103:104], v[101:102], v[97:98], v[99:100]
	v_fma_f64 v[97:98], v[99:100], v[103:104], v[97:98]
	v_div_scale_f64 v[99:100], s[6:7], v[97:98], v[97:98], 1.0
	v_div_scale_f64 v[107:108], vcc, 1.0, v[97:98], 1.0
	v_rcp_f64_e32 v[101:102], v[99:100]
	v_fma_f64 v[105:106], -v[99:100], v[101:102], 1.0
	v_fma_f64 v[101:102], v[101:102], v[105:106], v[101:102]
	v_fma_f64 v[105:106], -v[99:100], v[101:102], 1.0
	v_fma_f64 v[101:102], v[101:102], v[105:106], v[101:102]
	v_mul_f64 v[105:106], v[107:108], v[101:102]
	v_fma_f64 v[99:100], -v[99:100], v[105:106], v[107:108]
	v_div_fmas_f64 v[99:100], v[99:100], v[101:102], v[105:106]
	v_div_fixup_f64 v[101:102], v[99:100], v[97:98], 1.0
	v_mul_f64 v[103:104], v[103:104], -v[101:102]
.LBB67_43:
	s_or_b64 exec, exec, s[2:3]
	ds_write2_b64 v127, v[101:102], v[103:104] offset1:1
.LBB67_44:
	s_or_b64 exec, exec, s[4:5]
	s_waitcnt lgkmcnt(0)
	s_barrier
	ds_read2_b64 v[97:100], v127 offset1:1
	v_cmp_lt_u32_e32 vcc, 4, v126
	s_waitcnt lgkmcnt(0)
	buffer_store_dword v97, off, s[20:23], 0 offset:496 ; 4-byte Folded Spill
	s_nop 0
	buffer_store_dword v98, off, s[20:23], 0 offset:500 ; 4-byte Folded Spill
	buffer_store_dword v99, off, s[20:23], 0 offset:504 ; 4-byte Folded Spill
	;; [unrolled: 1-line block ×3, first 2 shown]
	s_and_saveexec_b64 s[2:3], vcc
	s_cbranch_execz .LBB67_46
; %bb.45:
	buffer_load_dword v117, off, s[20:23], 0 offset:96 ; 4-byte Folded Reload
	buffer_load_dword v118, off, s[20:23], 0 offset:100 ; 4-byte Folded Reload
	buffer_load_dword v119, off, s[20:23], 0 offset:104 ; 4-byte Folded Reload
	buffer_load_dword v120, off, s[20:23], 0 offset:108 ; 4-byte Folded Reload
	buffer_load_dword v99, off, s[20:23], 0 offset:496 ; 4-byte Folded Reload
	buffer_load_dword v100, off, s[20:23], 0 offset:500 ; 4-byte Folded Reload
	buffer_load_dword v101, off, s[20:23], 0 offset:504 ; 4-byte Folded Reload
	buffer_load_dword v102, off, s[20:23], 0 offset:508 ; 4-byte Folded Reload
	s_waitcnt vmcnt(0)
	v_mul_f64 v[97:98], v[101:102], v[119:120]
	v_fma_f64 v[97:98], v[99:100], v[117:118], -v[97:98]
	v_mul_f64 v[99:100], v[99:100], v[119:120]
	v_fma_f64 v[119:120], v[101:102], v[117:118], v[99:100]
	ds_read2_b64 v[99:102], v125 offset0:10 offset1:11
	buffer_load_dword v105, off, s[20:23], 0 offset:80 ; 4-byte Folded Reload
	buffer_load_dword v106, off, s[20:23], 0 offset:84 ; 4-byte Folded Reload
	;; [unrolled: 1-line block ×4, first 2 shown]
	v_mov_b32_e32 v118, v98
	v_mov_b32_e32 v117, v97
	s_waitcnt lgkmcnt(0)
	v_mul_f64 v[103:104], v[101:102], v[119:120]
	v_fma_f64 v[103:104], v[99:100], v[97:98], -v[103:104]
	v_mul_f64 v[99:100], v[99:100], v[119:120]
	v_fma_f64 v[99:100], v[101:102], v[97:98], v[99:100]
	s_waitcnt vmcnt(2)
	v_add_f64 v[105:106], v[105:106], -v[103:104]
	s_waitcnt vmcnt(0)
	v_add_f64 v[107:108], v[107:108], -v[99:100]
	buffer_store_dword v105, off, s[20:23], 0 offset:80 ; 4-byte Folded Spill
	s_nop 0
	buffer_store_dword v106, off, s[20:23], 0 offset:84 ; 4-byte Folded Spill
	buffer_store_dword v107, off, s[20:23], 0 offset:88 ; 4-byte Folded Spill
	buffer_store_dword v108, off, s[20:23], 0 offset:92 ; 4-byte Folded Spill
	ds_read2_b64 v[99:102], v125 offset0:12 offset1:13
	buffer_load_dword v105, off, s[20:23], 0 offset:64 ; 4-byte Folded Reload
	buffer_load_dword v106, off, s[20:23], 0 offset:68 ; 4-byte Folded Reload
	buffer_load_dword v107, off, s[20:23], 0 offset:72 ; 4-byte Folded Reload
	buffer_load_dword v108, off, s[20:23], 0 offset:76 ; 4-byte Folded Reload
	s_waitcnt lgkmcnt(0)
	v_mul_f64 v[103:104], v[101:102], v[119:120]
	v_fma_f64 v[103:104], v[99:100], v[97:98], -v[103:104]
	v_mul_f64 v[99:100], v[99:100], v[119:120]
	v_fma_f64 v[99:100], v[101:102], v[97:98], v[99:100]
	s_waitcnt vmcnt(2)
	v_add_f64 v[105:106], v[105:106], -v[103:104]
	s_waitcnt vmcnt(0)
	v_add_f64 v[107:108], v[107:108], -v[99:100]
	buffer_store_dword v105, off, s[20:23], 0 offset:64 ; 4-byte Folded Spill
	s_nop 0
	buffer_store_dword v106, off, s[20:23], 0 offset:68 ; 4-byte Folded Spill
	buffer_store_dword v107, off, s[20:23], 0 offset:72 ; 4-byte Folded Spill
	buffer_store_dword v108, off, s[20:23], 0 offset:76 ; 4-byte Folded Spill
	ds_read2_b64 v[99:102], v125 offset0:14 offset1:15
	buffer_load_dword v105, off, s[20:23], 0 offset:48 ; 4-byte Folded Reload
	buffer_load_dword v106, off, s[20:23], 0 offset:52 ; 4-byte Folded Reload
	buffer_load_dword v107, off, s[20:23], 0 offset:56 ; 4-byte Folded Reload
	buffer_load_dword v108, off, s[20:23], 0 offset:60 ; 4-byte Folded Reload
	;; [unrolled: 19-line block ×4, first 2 shown]
	s_waitcnt lgkmcnt(0)
	v_mul_f64 v[103:104], v[101:102], v[119:120]
	v_fma_f64 v[103:104], v[99:100], v[97:98], -v[103:104]
	v_mul_f64 v[99:100], v[99:100], v[119:120]
	v_fma_f64 v[99:100], v[101:102], v[97:98], v[99:100]
	s_waitcnt vmcnt(2)
	v_add_f64 v[81:82], v[81:82], -v[103:104]
	s_waitcnt vmcnt(0)
	v_add_f64 v[83:84], v[83:84], -v[99:100]
	buffer_store_dword v81, off, s[20:23], 0 offset:16 ; 4-byte Folded Spill
	s_nop 0
	buffer_store_dword v82, off, s[20:23], 0 offset:20 ; 4-byte Folded Spill
	buffer_store_dword v83, off, s[20:23], 0 offset:24 ; 4-byte Folded Spill
	;; [unrolled: 1-line block ×3, first 2 shown]
	ds_read2_b64 v[99:102], v125 offset0:20 offset1:21
	buffer_load_dword v81, off, s[20:23], 0 ; 4-byte Folded Reload
	buffer_load_dword v82, off, s[20:23], 0 offset:4 ; 4-byte Folded Reload
	buffer_load_dword v83, off, s[20:23], 0 offset:8 ; 4-byte Folded Reload
	;; [unrolled: 1-line block ×3, first 2 shown]
	s_waitcnt lgkmcnt(0)
	v_mul_f64 v[103:104], v[101:102], v[119:120]
	v_fma_f64 v[103:104], v[99:100], v[97:98], -v[103:104]
	v_mul_f64 v[99:100], v[99:100], v[119:120]
	v_fma_f64 v[99:100], v[101:102], v[97:98], v[99:100]
	s_waitcnt vmcnt(2)
	v_add_f64 v[81:82], v[81:82], -v[103:104]
	s_waitcnt vmcnt(0)
	v_add_f64 v[83:84], v[83:84], -v[99:100]
	buffer_store_dword v81, off, s[20:23], 0 ; 4-byte Folded Spill
	s_nop 0
	buffer_store_dword v82, off, s[20:23], 0 offset:4 ; 4-byte Folded Spill
	buffer_store_dword v83, off, s[20:23], 0 offset:8 ; 4-byte Folded Spill
	buffer_store_dword v84, off, s[20:23], 0 offset:12 ; 4-byte Folded Spill
	ds_read2_b64 v[99:102], v125 offset0:22 offset1:23
	s_waitcnt lgkmcnt(0)
	v_mul_f64 v[103:104], v[101:102], v[119:120]
	v_fma_f64 v[103:104], v[99:100], v[97:98], -v[103:104]
	v_mul_f64 v[99:100], v[99:100], v[119:120]
	v_add_f64 v[113:114], v[113:114], -v[103:104]
	v_fma_f64 v[99:100], v[101:102], v[97:98], v[99:100]
	v_add_f64 v[115:116], v[115:116], -v[99:100]
	ds_read2_b64 v[99:102], v125 offset0:24 offset1:25
	s_waitcnt lgkmcnt(0)
	v_mul_f64 v[103:104], v[101:102], v[119:120]
	v_fma_f64 v[103:104], v[99:100], v[97:98], -v[103:104]
	v_mul_f64 v[99:100], v[99:100], v[119:120]
	v_add_f64 v[93:94], v[93:94], -v[103:104]
	v_fma_f64 v[99:100], v[101:102], v[97:98], v[99:100]
	v_add_f64 v[95:96], v[95:96], -v[99:100]
	;; [unrolled: 8-line block ×22, first 2 shown]
	ds_read2_b64 v[99:102], v125 offset0:66 offset1:67
	s_waitcnt lgkmcnt(0)
	v_mul_f64 v[103:104], v[101:102], v[119:120]
	v_fma_f64 v[103:104], v[99:100], v[97:98], -v[103:104]
	v_mul_f64 v[99:100], v[99:100], v[119:120]
	buffer_store_dword v117, off, s[20:23], 0 offset:96 ; 4-byte Folded Spill
	s_nop 0
	buffer_store_dword v118, off, s[20:23], 0 offset:100 ; 4-byte Folded Spill
	buffer_store_dword v119, off, s[20:23], 0 offset:104 ; 4-byte Folded Spill
	;; [unrolled: 1-line block ×3, first 2 shown]
	v_add_f64 v[121:122], v[121:122], -v[103:104]
	v_fma_f64 v[99:100], v[101:102], v[97:98], v[99:100]
	v_add_f64 v[123:124], v[123:124], -v[99:100]
.LBB67_46:
	s_or_b64 exec, exec, s[2:3]
	v_cmp_eq_u32_e32 vcc, 5, v126
	s_waitcnt vmcnt(0)
	s_barrier
	s_and_saveexec_b64 s[4:5], vcc
	s_cbranch_execz .LBB67_53
; %bb.47:
	buffer_load_dword v97, off, s[20:23], 0 offset:80 ; 4-byte Folded Reload
	buffer_load_dword v98, off, s[20:23], 0 offset:84 ; 4-byte Folded Reload
	;; [unrolled: 1-line block ×4, first 2 shown]
	s_waitcnt vmcnt(0)
	ds_write2_b64 v127, v[97:98], v[99:100] offset1:1
	buffer_load_dword v97, off, s[20:23], 0 offset:64 ; 4-byte Folded Reload
	buffer_load_dword v98, off, s[20:23], 0 offset:68 ; 4-byte Folded Reload
	buffer_load_dword v99, off, s[20:23], 0 offset:72 ; 4-byte Folded Reload
	buffer_load_dword v100, off, s[20:23], 0 offset:76 ; 4-byte Folded Reload
	s_waitcnt vmcnt(0)
	ds_write2_b64 v125, v[97:98], v[99:100] offset0:12 offset1:13
	buffer_load_dword v97, off, s[20:23], 0 offset:48 ; 4-byte Folded Reload
	buffer_load_dword v98, off, s[20:23], 0 offset:52 ; 4-byte Folded Reload
	buffer_load_dword v99, off, s[20:23], 0 offset:56 ; 4-byte Folded Reload
	buffer_load_dword v100, off, s[20:23], 0 offset:60 ; 4-byte Folded Reload
	s_waitcnt vmcnt(0)
	ds_write2_b64 v125, v[97:98], v[99:100] offset0:14 offset1:15
	;; [unrolled: 6-line block ×4, first 2 shown]
	buffer_load_dword v81, off, s[20:23], 0 ; 4-byte Folded Reload
	buffer_load_dword v82, off, s[20:23], 0 offset:4 ; 4-byte Folded Reload
	buffer_load_dword v83, off, s[20:23], 0 offset:8 ; 4-byte Folded Reload
	;; [unrolled: 1-line block ×3, first 2 shown]
	s_waitcnt vmcnt(0)
	ds_write2_b64 v125, v[81:82], v[83:84] offset0:20 offset1:21
	ds_write2_b64 v125, v[113:114], v[115:116] offset0:22 offset1:23
	;; [unrolled: 1-line block ×24, first 2 shown]
	ds_read2_b64 v[97:100], v127 offset1:1
	s_waitcnt lgkmcnt(0)
	v_cmp_neq_f64_e32 vcc, 0, v[97:98]
	v_cmp_neq_f64_e64 s[2:3], 0, v[99:100]
	s_or_b64 s[2:3], vcc, s[2:3]
	s_and_b64 exec, exec, s[2:3]
	s_cbranch_execz .LBB67_53
; %bb.48:
	v_cmp_ngt_f64_e64 s[2:3], |v[97:98]|, |v[99:100]|
                                        ; implicit-def: $vgpr101_vgpr102
	s_and_saveexec_b64 s[6:7], s[2:3]
	s_xor_b64 s[2:3], exec, s[6:7]
                                        ; implicit-def: $vgpr103_vgpr104
	s_cbranch_execz .LBB67_50
; %bb.49:
	v_div_scale_f64 v[101:102], s[6:7], v[99:100], v[99:100], v[97:98]
	v_rcp_f64_e32 v[103:104], v[101:102]
	v_fma_f64 v[105:106], -v[101:102], v[103:104], 1.0
	v_fma_f64 v[103:104], v[103:104], v[105:106], v[103:104]
	v_div_scale_f64 v[105:106], vcc, v[97:98], v[99:100], v[97:98]
	v_fma_f64 v[107:108], -v[101:102], v[103:104], 1.0
	v_fma_f64 v[103:104], v[103:104], v[107:108], v[103:104]
	v_mul_f64 v[107:108], v[105:106], v[103:104]
	v_fma_f64 v[101:102], -v[101:102], v[107:108], v[105:106]
	v_div_fmas_f64 v[101:102], v[101:102], v[103:104], v[107:108]
	v_div_fixup_f64 v[101:102], v[101:102], v[99:100], v[97:98]
	v_fma_f64 v[97:98], v[97:98], v[101:102], v[99:100]
	v_div_scale_f64 v[99:100], s[6:7], v[97:98], v[97:98], 1.0
	v_div_scale_f64 v[107:108], vcc, 1.0, v[97:98], 1.0
	v_rcp_f64_e32 v[103:104], v[99:100]
	v_fma_f64 v[105:106], -v[99:100], v[103:104], 1.0
	v_fma_f64 v[103:104], v[103:104], v[105:106], v[103:104]
	v_fma_f64 v[105:106], -v[99:100], v[103:104], 1.0
	v_fma_f64 v[103:104], v[103:104], v[105:106], v[103:104]
	v_mul_f64 v[105:106], v[107:108], v[103:104]
	v_fma_f64 v[99:100], -v[99:100], v[105:106], v[107:108]
	v_div_fmas_f64 v[99:100], v[99:100], v[103:104], v[105:106]
	v_div_fixup_f64 v[103:104], v[99:100], v[97:98], 1.0
                                        ; implicit-def: $vgpr97_vgpr98
	v_mul_f64 v[101:102], v[101:102], v[103:104]
	v_xor_b32_e32 v104, 0x80000000, v104
.LBB67_50:
	s_andn2_saveexec_b64 s[2:3], s[2:3]
	s_cbranch_execz .LBB67_52
; %bb.51:
	v_div_scale_f64 v[101:102], s[6:7], v[97:98], v[97:98], v[99:100]
	v_rcp_f64_e32 v[103:104], v[101:102]
	v_fma_f64 v[105:106], -v[101:102], v[103:104], 1.0
	v_fma_f64 v[103:104], v[103:104], v[105:106], v[103:104]
	v_div_scale_f64 v[105:106], vcc, v[99:100], v[97:98], v[99:100]
	v_fma_f64 v[107:108], -v[101:102], v[103:104], 1.0
	v_fma_f64 v[103:104], v[103:104], v[107:108], v[103:104]
	v_mul_f64 v[107:108], v[105:106], v[103:104]
	v_fma_f64 v[101:102], -v[101:102], v[107:108], v[105:106]
	v_div_fmas_f64 v[101:102], v[101:102], v[103:104], v[107:108]
	v_div_fixup_f64 v[103:104], v[101:102], v[97:98], v[99:100]
	v_fma_f64 v[97:98], v[99:100], v[103:104], v[97:98]
	v_div_scale_f64 v[99:100], s[6:7], v[97:98], v[97:98], 1.0
	v_div_scale_f64 v[107:108], vcc, 1.0, v[97:98], 1.0
	v_rcp_f64_e32 v[101:102], v[99:100]
	v_fma_f64 v[105:106], -v[99:100], v[101:102], 1.0
	v_fma_f64 v[101:102], v[101:102], v[105:106], v[101:102]
	v_fma_f64 v[105:106], -v[99:100], v[101:102], 1.0
	v_fma_f64 v[101:102], v[101:102], v[105:106], v[101:102]
	v_mul_f64 v[105:106], v[107:108], v[101:102]
	v_fma_f64 v[99:100], -v[99:100], v[105:106], v[107:108]
	v_div_fmas_f64 v[99:100], v[99:100], v[101:102], v[105:106]
	v_div_fixup_f64 v[101:102], v[99:100], v[97:98], 1.0
	v_mul_f64 v[103:104], v[103:104], -v[101:102]
.LBB67_52:
	s_or_b64 exec, exec, s[2:3]
	ds_write2_b64 v127, v[101:102], v[103:104] offset1:1
.LBB67_53:
	s_or_b64 exec, exec, s[4:5]
	s_waitcnt lgkmcnt(0)
	s_barrier
	ds_read2_b64 v[97:100], v127 offset1:1
	v_cmp_lt_u32_e32 vcc, 5, v126
	s_waitcnt lgkmcnt(0)
	buffer_store_dword v97, off, s[20:23], 0 offset:512 ; 4-byte Folded Spill
	s_nop 0
	buffer_store_dword v98, off, s[20:23], 0 offset:516 ; 4-byte Folded Spill
	buffer_store_dword v99, off, s[20:23], 0 offset:520 ; 4-byte Folded Spill
	;; [unrolled: 1-line block ×3, first 2 shown]
	s_and_saveexec_b64 s[2:3], vcc
	s_cbranch_execz .LBB67_55
; %bb.54:
	buffer_load_dword v117, off, s[20:23], 0 offset:80 ; 4-byte Folded Reload
	buffer_load_dword v118, off, s[20:23], 0 offset:84 ; 4-byte Folded Reload
	;; [unrolled: 1-line block ×8, first 2 shown]
	s_waitcnt vmcnt(0)
	v_mul_f64 v[97:98], v[101:102], v[119:120]
	v_fma_f64 v[97:98], v[99:100], v[117:118], -v[97:98]
	v_mul_f64 v[99:100], v[99:100], v[119:120]
	v_fma_f64 v[119:120], v[101:102], v[117:118], v[99:100]
	ds_read2_b64 v[99:102], v125 offset0:12 offset1:13
	buffer_load_dword v105, off, s[20:23], 0 offset:64 ; 4-byte Folded Reload
	buffer_load_dword v106, off, s[20:23], 0 offset:68 ; 4-byte Folded Reload
	;; [unrolled: 1-line block ×4, first 2 shown]
	v_mov_b32_e32 v118, v98
	v_mov_b32_e32 v117, v97
	s_waitcnt lgkmcnt(0)
	v_mul_f64 v[103:104], v[101:102], v[119:120]
	v_fma_f64 v[103:104], v[99:100], v[97:98], -v[103:104]
	v_mul_f64 v[99:100], v[99:100], v[119:120]
	v_fma_f64 v[99:100], v[101:102], v[97:98], v[99:100]
	s_waitcnt vmcnt(2)
	v_add_f64 v[105:106], v[105:106], -v[103:104]
	s_waitcnt vmcnt(0)
	v_add_f64 v[107:108], v[107:108], -v[99:100]
	buffer_store_dword v105, off, s[20:23], 0 offset:64 ; 4-byte Folded Spill
	s_nop 0
	buffer_store_dword v106, off, s[20:23], 0 offset:68 ; 4-byte Folded Spill
	buffer_store_dword v107, off, s[20:23], 0 offset:72 ; 4-byte Folded Spill
	buffer_store_dword v108, off, s[20:23], 0 offset:76 ; 4-byte Folded Spill
	ds_read2_b64 v[99:102], v125 offset0:14 offset1:15
	buffer_load_dword v105, off, s[20:23], 0 offset:48 ; 4-byte Folded Reload
	buffer_load_dword v106, off, s[20:23], 0 offset:52 ; 4-byte Folded Reload
	buffer_load_dword v107, off, s[20:23], 0 offset:56 ; 4-byte Folded Reload
	buffer_load_dword v108, off, s[20:23], 0 offset:60 ; 4-byte Folded Reload
	s_waitcnt lgkmcnt(0)
	v_mul_f64 v[103:104], v[101:102], v[119:120]
	v_fma_f64 v[103:104], v[99:100], v[97:98], -v[103:104]
	v_mul_f64 v[99:100], v[99:100], v[119:120]
	v_fma_f64 v[99:100], v[101:102], v[97:98], v[99:100]
	s_waitcnt vmcnt(2)
	v_add_f64 v[105:106], v[105:106], -v[103:104]
	s_waitcnt vmcnt(0)
	v_add_f64 v[107:108], v[107:108], -v[99:100]
	buffer_store_dword v105, off, s[20:23], 0 offset:48 ; 4-byte Folded Spill
	s_nop 0
	buffer_store_dword v106, off, s[20:23], 0 offset:52 ; 4-byte Folded Spill
	buffer_store_dword v107, off, s[20:23], 0 offset:56 ; 4-byte Folded Spill
	buffer_store_dword v108, off, s[20:23], 0 offset:60 ; 4-byte Folded Spill
	ds_read2_b64 v[99:102], v125 offset0:16 offset1:17
	buffer_load_dword v105, off, s[20:23], 0 offset:32 ; 4-byte Folded Reload
	buffer_load_dword v106, off, s[20:23], 0 offset:36 ; 4-byte Folded Reload
	buffer_load_dword v107, off, s[20:23], 0 offset:40 ; 4-byte Folded Reload
	buffer_load_dword v108, off, s[20:23], 0 offset:44 ; 4-byte Folded Reload
	;; [unrolled: 19-line block ×3, first 2 shown]
	s_waitcnt lgkmcnt(0)
	v_mul_f64 v[103:104], v[101:102], v[119:120]
	v_fma_f64 v[103:104], v[99:100], v[97:98], -v[103:104]
	v_mul_f64 v[99:100], v[99:100], v[119:120]
	v_fma_f64 v[99:100], v[101:102], v[97:98], v[99:100]
	s_waitcnt vmcnt(2)
	v_add_f64 v[81:82], v[81:82], -v[103:104]
	s_waitcnt vmcnt(0)
	v_add_f64 v[83:84], v[83:84], -v[99:100]
	buffer_store_dword v81, off, s[20:23], 0 offset:16 ; 4-byte Folded Spill
	s_nop 0
	buffer_store_dword v82, off, s[20:23], 0 offset:20 ; 4-byte Folded Spill
	buffer_store_dword v83, off, s[20:23], 0 offset:24 ; 4-byte Folded Spill
	;; [unrolled: 1-line block ×3, first 2 shown]
	ds_read2_b64 v[99:102], v125 offset0:20 offset1:21
	buffer_load_dword v81, off, s[20:23], 0 ; 4-byte Folded Reload
	buffer_load_dword v82, off, s[20:23], 0 offset:4 ; 4-byte Folded Reload
	buffer_load_dword v83, off, s[20:23], 0 offset:8 ; 4-byte Folded Reload
	;; [unrolled: 1-line block ×3, first 2 shown]
	s_waitcnt lgkmcnt(0)
	v_mul_f64 v[103:104], v[101:102], v[119:120]
	v_fma_f64 v[103:104], v[99:100], v[97:98], -v[103:104]
	v_mul_f64 v[99:100], v[99:100], v[119:120]
	v_fma_f64 v[99:100], v[101:102], v[97:98], v[99:100]
	s_waitcnt vmcnt(2)
	v_add_f64 v[81:82], v[81:82], -v[103:104]
	s_waitcnt vmcnt(0)
	v_add_f64 v[83:84], v[83:84], -v[99:100]
	buffer_store_dword v81, off, s[20:23], 0 ; 4-byte Folded Spill
	s_nop 0
	buffer_store_dword v82, off, s[20:23], 0 offset:4 ; 4-byte Folded Spill
	buffer_store_dword v83, off, s[20:23], 0 offset:8 ; 4-byte Folded Spill
	;; [unrolled: 1-line block ×3, first 2 shown]
	ds_read2_b64 v[99:102], v125 offset0:22 offset1:23
	s_waitcnt lgkmcnt(0)
	v_mul_f64 v[103:104], v[101:102], v[119:120]
	v_fma_f64 v[103:104], v[99:100], v[97:98], -v[103:104]
	v_mul_f64 v[99:100], v[99:100], v[119:120]
	v_add_f64 v[113:114], v[113:114], -v[103:104]
	v_fma_f64 v[99:100], v[101:102], v[97:98], v[99:100]
	v_add_f64 v[115:116], v[115:116], -v[99:100]
	ds_read2_b64 v[99:102], v125 offset0:24 offset1:25
	s_waitcnt lgkmcnt(0)
	v_mul_f64 v[103:104], v[101:102], v[119:120]
	v_fma_f64 v[103:104], v[99:100], v[97:98], -v[103:104]
	v_mul_f64 v[99:100], v[99:100], v[119:120]
	v_add_f64 v[93:94], v[93:94], -v[103:104]
	v_fma_f64 v[99:100], v[101:102], v[97:98], v[99:100]
	v_add_f64 v[95:96], v[95:96], -v[99:100]
	;; [unrolled: 8-line block ×22, first 2 shown]
	ds_read2_b64 v[99:102], v125 offset0:66 offset1:67
	s_waitcnt lgkmcnt(0)
	v_mul_f64 v[103:104], v[101:102], v[119:120]
	v_fma_f64 v[103:104], v[99:100], v[97:98], -v[103:104]
	v_mul_f64 v[99:100], v[99:100], v[119:120]
	buffer_store_dword v117, off, s[20:23], 0 offset:80 ; 4-byte Folded Spill
	s_nop 0
	buffer_store_dword v118, off, s[20:23], 0 offset:84 ; 4-byte Folded Spill
	buffer_store_dword v119, off, s[20:23], 0 offset:88 ; 4-byte Folded Spill
	;; [unrolled: 1-line block ×3, first 2 shown]
	v_add_f64 v[121:122], v[121:122], -v[103:104]
	v_fma_f64 v[99:100], v[101:102], v[97:98], v[99:100]
	v_add_f64 v[123:124], v[123:124], -v[99:100]
.LBB67_55:
	s_or_b64 exec, exec, s[2:3]
	v_cmp_eq_u32_e32 vcc, 6, v126
	s_waitcnt vmcnt(0)
	s_barrier
	s_and_saveexec_b64 s[4:5], vcc
	s_cbranch_execz .LBB67_62
; %bb.56:
	buffer_load_dword v97, off, s[20:23], 0 offset:64 ; 4-byte Folded Reload
	buffer_load_dword v98, off, s[20:23], 0 offset:68 ; 4-byte Folded Reload
	;; [unrolled: 1-line block ×4, first 2 shown]
	s_waitcnt vmcnt(0)
	ds_write2_b64 v127, v[97:98], v[99:100] offset1:1
	buffer_load_dword v97, off, s[20:23], 0 offset:48 ; 4-byte Folded Reload
	buffer_load_dword v98, off, s[20:23], 0 offset:52 ; 4-byte Folded Reload
	buffer_load_dword v99, off, s[20:23], 0 offset:56 ; 4-byte Folded Reload
	buffer_load_dword v100, off, s[20:23], 0 offset:60 ; 4-byte Folded Reload
	s_waitcnt vmcnt(0)
	ds_write2_b64 v125, v[97:98], v[99:100] offset0:14 offset1:15
	buffer_load_dword v97, off, s[20:23], 0 offset:32 ; 4-byte Folded Reload
	buffer_load_dword v98, off, s[20:23], 0 offset:36 ; 4-byte Folded Reload
	buffer_load_dword v99, off, s[20:23], 0 offset:40 ; 4-byte Folded Reload
	buffer_load_dword v100, off, s[20:23], 0 offset:44 ; 4-byte Folded Reload
	s_waitcnt vmcnt(0)
	ds_write2_b64 v125, v[97:98], v[99:100] offset0:16 offset1:17
	;; [unrolled: 6-line block ×3, first 2 shown]
	buffer_load_dword v81, off, s[20:23], 0 ; 4-byte Folded Reload
	buffer_load_dword v82, off, s[20:23], 0 offset:4 ; 4-byte Folded Reload
	buffer_load_dword v83, off, s[20:23], 0 offset:8 ; 4-byte Folded Reload
	;; [unrolled: 1-line block ×3, first 2 shown]
	s_waitcnt vmcnt(0)
	ds_write2_b64 v125, v[81:82], v[83:84] offset0:20 offset1:21
	ds_write2_b64 v125, v[113:114], v[115:116] offset0:22 offset1:23
	;; [unrolled: 1-line block ×24, first 2 shown]
	ds_read2_b64 v[97:100], v127 offset1:1
	s_waitcnt lgkmcnt(0)
	v_cmp_neq_f64_e32 vcc, 0, v[97:98]
	v_cmp_neq_f64_e64 s[2:3], 0, v[99:100]
	s_or_b64 s[2:3], vcc, s[2:3]
	s_and_b64 exec, exec, s[2:3]
	s_cbranch_execz .LBB67_62
; %bb.57:
	v_cmp_ngt_f64_e64 s[2:3], |v[97:98]|, |v[99:100]|
                                        ; implicit-def: $vgpr101_vgpr102
	s_and_saveexec_b64 s[6:7], s[2:3]
	s_xor_b64 s[2:3], exec, s[6:7]
                                        ; implicit-def: $vgpr103_vgpr104
	s_cbranch_execz .LBB67_59
; %bb.58:
	v_div_scale_f64 v[101:102], s[6:7], v[99:100], v[99:100], v[97:98]
	v_rcp_f64_e32 v[103:104], v[101:102]
	v_fma_f64 v[105:106], -v[101:102], v[103:104], 1.0
	v_fma_f64 v[103:104], v[103:104], v[105:106], v[103:104]
	v_div_scale_f64 v[105:106], vcc, v[97:98], v[99:100], v[97:98]
	v_fma_f64 v[107:108], -v[101:102], v[103:104], 1.0
	v_fma_f64 v[103:104], v[103:104], v[107:108], v[103:104]
	v_mul_f64 v[107:108], v[105:106], v[103:104]
	v_fma_f64 v[101:102], -v[101:102], v[107:108], v[105:106]
	v_div_fmas_f64 v[101:102], v[101:102], v[103:104], v[107:108]
	v_div_fixup_f64 v[101:102], v[101:102], v[99:100], v[97:98]
	v_fma_f64 v[97:98], v[97:98], v[101:102], v[99:100]
	v_div_scale_f64 v[99:100], s[6:7], v[97:98], v[97:98], 1.0
	v_div_scale_f64 v[107:108], vcc, 1.0, v[97:98], 1.0
	v_rcp_f64_e32 v[103:104], v[99:100]
	v_fma_f64 v[105:106], -v[99:100], v[103:104], 1.0
	v_fma_f64 v[103:104], v[103:104], v[105:106], v[103:104]
	v_fma_f64 v[105:106], -v[99:100], v[103:104], 1.0
	v_fma_f64 v[103:104], v[103:104], v[105:106], v[103:104]
	v_mul_f64 v[105:106], v[107:108], v[103:104]
	v_fma_f64 v[99:100], -v[99:100], v[105:106], v[107:108]
	v_div_fmas_f64 v[99:100], v[99:100], v[103:104], v[105:106]
	v_div_fixup_f64 v[103:104], v[99:100], v[97:98], 1.0
                                        ; implicit-def: $vgpr97_vgpr98
	v_mul_f64 v[101:102], v[101:102], v[103:104]
	v_xor_b32_e32 v104, 0x80000000, v104
.LBB67_59:
	s_andn2_saveexec_b64 s[2:3], s[2:3]
	s_cbranch_execz .LBB67_61
; %bb.60:
	v_div_scale_f64 v[101:102], s[6:7], v[97:98], v[97:98], v[99:100]
	v_rcp_f64_e32 v[103:104], v[101:102]
	v_fma_f64 v[105:106], -v[101:102], v[103:104], 1.0
	v_fma_f64 v[103:104], v[103:104], v[105:106], v[103:104]
	v_div_scale_f64 v[105:106], vcc, v[99:100], v[97:98], v[99:100]
	v_fma_f64 v[107:108], -v[101:102], v[103:104], 1.0
	v_fma_f64 v[103:104], v[103:104], v[107:108], v[103:104]
	v_mul_f64 v[107:108], v[105:106], v[103:104]
	v_fma_f64 v[101:102], -v[101:102], v[107:108], v[105:106]
	v_div_fmas_f64 v[101:102], v[101:102], v[103:104], v[107:108]
	v_div_fixup_f64 v[103:104], v[101:102], v[97:98], v[99:100]
	v_fma_f64 v[97:98], v[99:100], v[103:104], v[97:98]
	v_div_scale_f64 v[99:100], s[6:7], v[97:98], v[97:98], 1.0
	v_div_scale_f64 v[107:108], vcc, 1.0, v[97:98], 1.0
	v_rcp_f64_e32 v[101:102], v[99:100]
	v_fma_f64 v[105:106], -v[99:100], v[101:102], 1.0
	v_fma_f64 v[101:102], v[101:102], v[105:106], v[101:102]
	v_fma_f64 v[105:106], -v[99:100], v[101:102], 1.0
	v_fma_f64 v[101:102], v[101:102], v[105:106], v[101:102]
	v_mul_f64 v[105:106], v[107:108], v[101:102]
	v_fma_f64 v[99:100], -v[99:100], v[105:106], v[107:108]
	v_div_fmas_f64 v[99:100], v[99:100], v[101:102], v[105:106]
	v_div_fixup_f64 v[101:102], v[99:100], v[97:98], 1.0
	v_mul_f64 v[103:104], v[103:104], -v[101:102]
.LBB67_61:
	s_or_b64 exec, exec, s[2:3]
	ds_write2_b64 v127, v[101:102], v[103:104] offset1:1
.LBB67_62:
	s_or_b64 exec, exec, s[4:5]
	s_waitcnt lgkmcnt(0)
	s_barrier
	ds_read2_b64 v[97:100], v127 offset1:1
	v_cmp_lt_u32_e32 vcc, 6, v126
	s_waitcnt lgkmcnt(0)
	buffer_store_dword v97, off, s[20:23], 0 offset:528 ; 4-byte Folded Spill
	s_nop 0
	buffer_store_dword v98, off, s[20:23], 0 offset:532 ; 4-byte Folded Spill
	buffer_store_dword v99, off, s[20:23], 0 offset:536 ; 4-byte Folded Spill
	buffer_store_dword v100, off, s[20:23], 0 offset:540 ; 4-byte Folded Spill
	s_and_saveexec_b64 s[2:3], vcc
	s_cbranch_execz .LBB67_64
; %bb.63:
	buffer_load_dword v117, off, s[20:23], 0 offset:64 ; 4-byte Folded Reload
	buffer_load_dword v118, off, s[20:23], 0 offset:68 ; 4-byte Folded Reload
	;; [unrolled: 1-line block ×8, first 2 shown]
	s_waitcnt vmcnt(0)
	v_mul_f64 v[97:98], v[101:102], v[119:120]
	v_fma_f64 v[97:98], v[99:100], v[117:118], -v[97:98]
	v_mul_f64 v[99:100], v[99:100], v[119:120]
	v_fma_f64 v[119:120], v[101:102], v[117:118], v[99:100]
	ds_read2_b64 v[99:102], v125 offset0:14 offset1:15
	buffer_load_dword v105, off, s[20:23], 0 offset:48 ; 4-byte Folded Reload
	buffer_load_dword v106, off, s[20:23], 0 offset:52 ; 4-byte Folded Reload
	;; [unrolled: 1-line block ×4, first 2 shown]
	v_mov_b32_e32 v118, v98
	v_mov_b32_e32 v117, v97
	s_waitcnt lgkmcnt(0)
	v_mul_f64 v[103:104], v[101:102], v[119:120]
	v_fma_f64 v[103:104], v[99:100], v[97:98], -v[103:104]
	v_mul_f64 v[99:100], v[99:100], v[119:120]
	v_fma_f64 v[99:100], v[101:102], v[97:98], v[99:100]
	s_waitcnt vmcnt(2)
	v_add_f64 v[105:106], v[105:106], -v[103:104]
	s_waitcnt vmcnt(0)
	v_add_f64 v[107:108], v[107:108], -v[99:100]
	buffer_store_dword v105, off, s[20:23], 0 offset:48 ; 4-byte Folded Spill
	s_nop 0
	buffer_store_dword v106, off, s[20:23], 0 offset:52 ; 4-byte Folded Spill
	buffer_store_dword v107, off, s[20:23], 0 offset:56 ; 4-byte Folded Spill
	;; [unrolled: 1-line block ×3, first 2 shown]
	ds_read2_b64 v[99:102], v125 offset0:16 offset1:17
	buffer_load_dword v105, off, s[20:23], 0 offset:32 ; 4-byte Folded Reload
	buffer_load_dword v106, off, s[20:23], 0 offset:36 ; 4-byte Folded Reload
	;; [unrolled: 1-line block ×4, first 2 shown]
	s_waitcnt lgkmcnt(0)
	v_mul_f64 v[103:104], v[101:102], v[119:120]
	v_fma_f64 v[103:104], v[99:100], v[97:98], -v[103:104]
	v_mul_f64 v[99:100], v[99:100], v[119:120]
	v_fma_f64 v[99:100], v[101:102], v[97:98], v[99:100]
	s_waitcnt vmcnt(2)
	v_add_f64 v[105:106], v[105:106], -v[103:104]
	s_waitcnt vmcnt(0)
	v_add_f64 v[107:108], v[107:108], -v[99:100]
	buffer_store_dword v105, off, s[20:23], 0 offset:32 ; 4-byte Folded Spill
	s_nop 0
	buffer_store_dword v106, off, s[20:23], 0 offset:36 ; 4-byte Folded Spill
	buffer_store_dword v107, off, s[20:23], 0 offset:40 ; 4-byte Folded Spill
	;; [unrolled: 1-line block ×3, first 2 shown]
	ds_read2_b64 v[99:102], v125 offset0:18 offset1:19
	buffer_load_dword v81, off, s[20:23], 0 offset:16 ; 4-byte Folded Reload
	buffer_load_dword v82, off, s[20:23], 0 offset:20 ; 4-byte Folded Reload
	;; [unrolled: 1-line block ×4, first 2 shown]
	s_waitcnt lgkmcnt(0)
	v_mul_f64 v[103:104], v[101:102], v[119:120]
	v_fma_f64 v[103:104], v[99:100], v[97:98], -v[103:104]
	v_mul_f64 v[99:100], v[99:100], v[119:120]
	v_fma_f64 v[99:100], v[101:102], v[97:98], v[99:100]
	s_waitcnt vmcnt(2)
	v_add_f64 v[81:82], v[81:82], -v[103:104]
	s_waitcnt vmcnt(0)
	v_add_f64 v[83:84], v[83:84], -v[99:100]
	buffer_store_dword v81, off, s[20:23], 0 offset:16 ; 4-byte Folded Spill
	s_nop 0
	buffer_store_dword v82, off, s[20:23], 0 offset:20 ; 4-byte Folded Spill
	buffer_store_dword v83, off, s[20:23], 0 offset:24 ; 4-byte Folded Spill
	;; [unrolled: 1-line block ×3, first 2 shown]
	ds_read2_b64 v[99:102], v125 offset0:20 offset1:21
	buffer_load_dword v81, off, s[20:23], 0 ; 4-byte Folded Reload
	buffer_load_dword v82, off, s[20:23], 0 offset:4 ; 4-byte Folded Reload
	buffer_load_dword v83, off, s[20:23], 0 offset:8 ; 4-byte Folded Reload
	;; [unrolled: 1-line block ×3, first 2 shown]
	s_waitcnt lgkmcnt(0)
	v_mul_f64 v[103:104], v[101:102], v[119:120]
	v_fma_f64 v[103:104], v[99:100], v[97:98], -v[103:104]
	v_mul_f64 v[99:100], v[99:100], v[119:120]
	v_fma_f64 v[99:100], v[101:102], v[97:98], v[99:100]
	s_waitcnt vmcnt(2)
	v_add_f64 v[81:82], v[81:82], -v[103:104]
	s_waitcnt vmcnt(0)
	v_add_f64 v[83:84], v[83:84], -v[99:100]
	buffer_store_dword v81, off, s[20:23], 0 ; 4-byte Folded Spill
	s_nop 0
	buffer_store_dword v82, off, s[20:23], 0 offset:4 ; 4-byte Folded Spill
	buffer_store_dword v83, off, s[20:23], 0 offset:8 ; 4-byte Folded Spill
	buffer_store_dword v84, off, s[20:23], 0 offset:12 ; 4-byte Folded Spill
	ds_read2_b64 v[99:102], v125 offset0:22 offset1:23
	s_waitcnt lgkmcnt(0)
	v_mul_f64 v[103:104], v[101:102], v[119:120]
	v_fma_f64 v[103:104], v[99:100], v[97:98], -v[103:104]
	v_mul_f64 v[99:100], v[99:100], v[119:120]
	v_add_f64 v[113:114], v[113:114], -v[103:104]
	v_fma_f64 v[99:100], v[101:102], v[97:98], v[99:100]
	v_add_f64 v[115:116], v[115:116], -v[99:100]
	ds_read2_b64 v[99:102], v125 offset0:24 offset1:25
	s_waitcnt lgkmcnt(0)
	v_mul_f64 v[103:104], v[101:102], v[119:120]
	v_fma_f64 v[103:104], v[99:100], v[97:98], -v[103:104]
	v_mul_f64 v[99:100], v[99:100], v[119:120]
	v_add_f64 v[93:94], v[93:94], -v[103:104]
	v_fma_f64 v[99:100], v[101:102], v[97:98], v[99:100]
	v_add_f64 v[95:96], v[95:96], -v[99:100]
	;; [unrolled: 8-line block ×22, first 2 shown]
	ds_read2_b64 v[99:102], v125 offset0:66 offset1:67
	s_waitcnt lgkmcnt(0)
	v_mul_f64 v[103:104], v[101:102], v[119:120]
	v_fma_f64 v[103:104], v[99:100], v[97:98], -v[103:104]
	v_mul_f64 v[99:100], v[99:100], v[119:120]
	buffer_store_dword v117, off, s[20:23], 0 offset:64 ; 4-byte Folded Spill
	s_nop 0
	buffer_store_dword v118, off, s[20:23], 0 offset:68 ; 4-byte Folded Spill
	buffer_store_dword v119, off, s[20:23], 0 offset:72 ; 4-byte Folded Spill
	;; [unrolled: 1-line block ×3, first 2 shown]
	v_add_f64 v[121:122], v[121:122], -v[103:104]
	v_fma_f64 v[99:100], v[101:102], v[97:98], v[99:100]
	v_add_f64 v[123:124], v[123:124], -v[99:100]
.LBB67_64:
	s_or_b64 exec, exec, s[2:3]
	v_cmp_eq_u32_e32 vcc, 7, v126
	s_waitcnt vmcnt(0)
	s_barrier
	s_and_saveexec_b64 s[4:5], vcc
	s_cbranch_execz .LBB67_71
; %bb.65:
	buffer_load_dword v97, off, s[20:23], 0 offset:48 ; 4-byte Folded Reload
	buffer_load_dword v98, off, s[20:23], 0 offset:52 ; 4-byte Folded Reload
	;; [unrolled: 1-line block ×4, first 2 shown]
	s_waitcnt vmcnt(0)
	ds_write2_b64 v127, v[97:98], v[99:100] offset1:1
	buffer_load_dword v97, off, s[20:23], 0 offset:32 ; 4-byte Folded Reload
	buffer_load_dword v98, off, s[20:23], 0 offset:36 ; 4-byte Folded Reload
	;; [unrolled: 1-line block ×4, first 2 shown]
	s_waitcnt vmcnt(0)
	ds_write2_b64 v125, v[97:98], v[99:100] offset0:16 offset1:17
	buffer_load_dword v81, off, s[20:23], 0 offset:16 ; 4-byte Folded Reload
	buffer_load_dword v82, off, s[20:23], 0 offset:20 ; 4-byte Folded Reload
	;; [unrolled: 1-line block ×4, first 2 shown]
	s_waitcnt vmcnt(0)
	ds_write2_b64 v125, v[81:82], v[83:84] offset0:18 offset1:19
	buffer_load_dword v81, off, s[20:23], 0 ; 4-byte Folded Reload
	buffer_load_dword v82, off, s[20:23], 0 offset:4 ; 4-byte Folded Reload
	buffer_load_dword v83, off, s[20:23], 0 offset:8 ; 4-byte Folded Reload
	;; [unrolled: 1-line block ×3, first 2 shown]
	s_waitcnt vmcnt(0)
	ds_write2_b64 v125, v[81:82], v[83:84] offset0:20 offset1:21
	ds_write2_b64 v125, v[113:114], v[115:116] offset0:22 offset1:23
	;; [unrolled: 1-line block ×24, first 2 shown]
	ds_read2_b64 v[97:100], v127 offset1:1
	s_waitcnt lgkmcnt(0)
	v_cmp_neq_f64_e32 vcc, 0, v[97:98]
	v_cmp_neq_f64_e64 s[2:3], 0, v[99:100]
	s_or_b64 s[2:3], vcc, s[2:3]
	s_and_b64 exec, exec, s[2:3]
	s_cbranch_execz .LBB67_71
; %bb.66:
	v_cmp_ngt_f64_e64 s[2:3], |v[97:98]|, |v[99:100]|
                                        ; implicit-def: $vgpr101_vgpr102
	s_and_saveexec_b64 s[6:7], s[2:3]
	s_xor_b64 s[2:3], exec, s[6:7]
                                        ; implicit-def: $vgpr103_vgpr104
	s_cbranch_execz .LBB67_68
; %bb.67:
	v_div_scale_f64 v[101:102], s[6:7], v[99:100], v[99:100], v[97:98]
	v_rcp_f64_e32 v[103:104], v[101:102]
	v_fma_f64 v[105:106], -v[101:102], v[103:104], 1.0
	v_fma_f64 v[103:104], v[103:104], v[105:106], v[103:104]
	v_div_scale_f64 v[105:106], vcc, v[97:98], v[99:100], v[97:98]
	v_fma_f64 v[107:108], -v[101:102], v[103:104], 1.0
	v_fma_f64 v[103:104], v[103:104], v[107:108], v[103:104]
	v_mul_f64 v[107:108], v[105:106], v[103:104]
	v_fma_f64 v[101:102], -v[101:102], v[107:108], v[105:106]
	v_div_fmas_f64 v[101:102], v[101:102], v[103:104], v[107:108]
	v_div_fixup_f64 v[101:102], v[101:102], v[99:100], v[97:98]
	v_fma_f64 v[97:98], v[97:98], v[101:102], v[99:100]
	v_div_scale_f64 v[99:100], s[6:7], v[97:98], v[97:98], 1.0
	v_div_scale_f64 v[107:108], vcc, 1.0, v[97:98], 1.0
	v_rcp_f64_e32 v[103:104], v[99:100]
	v_fma_f64 v[105:106], -v[99:100], v[103:104], 1.0
	v_fma_f64 v[103:104], v[103:104], v[105:106], v[103:104]
	v_fma_f64 v[105:106], -v[99:100], v[103:104], 1.0
	v_fma_f64 v[103:104], v[103:104], v[105:106], v[103:104]
	v_mul_f64 v[105:106], v[107:108], v[103:104]
	v_fma_f64 v[99:100], -v[99:100], v[105:106], v[107:108]
	v_div_fmas_f64 v[99:100], v[99:100], v[103:104], v[105:106]
	v_div_fixup_f64 v[103:104], v[99:100], v[97:98], 1.0
                                        ; implicit-def: $vgpr97_vgpr98
	v_mul_f64 v[101:102], v[101:102], v[103:104]
	v_xor_b32_e32 v104, 0x80000000, v104
.LBB67_68:
	s_andn2_saveexec_b64 s[2:3], s[2:3]
	s_cbranch_execz .LBB67_70
; %bb.69:
	v_div_scale_f64 v[101:102], s[6:7], v[97:98], v[97:98], v[99:100]
	v_rcp_f64_e32 v[103:104], v[101:102]
	v_fma_f64 v[105:106], -v[101:102], v[103:104], 1.0
	v_fma_f64 v[103:104], v[103:104], v[105:106], v[103:104]
	v_div_scale_f64 v[105:106], vcc, v[99:100], v[97:98], v[99:100]
	v_fma_f64 v[107:108], -v[101:102], v[103:104], 1.0
	v_fma_f64 v[103:104], v[103:104], v[107:108], v[103:104]
	v_mul_f64 v[107:108], v[105:106], v[103:104]
	v_fma_f64 v[101:102], -v[101:102], v[107:108], v[105:106]
	v_div_fmas_f64 v[101:102], v[101:102], v[103:104], v[107:108]
	v_div_fixup_f64 v[103:104], v[101:102], v[97:98], v[99:100]
	v_fma_f64 v[97:98], v[99:100], v[103:104], v[97:98]
	v_div_scale_f64 v[99:100], s[6:7], v[97:98], v[97:98], 1.0
	v_div_scale_f64 v[107:108], vcc, 1.0, v[97:98], 1.0
	v_rcp_f64_e32 v[101:102], v[99:100]
	v_fma_f64 v[105:106], -v[99:100], v[101:102], 1.0
	v_fma_f64 v[101:102], v[101:102], v[105:106], v[101:102]
	v_fma_f64 v[105:106], -v[99:100], v[101:102], 1.0
	v_fma_f64 v[101:102], v[101:102], v[105:106], v[101:102]
	v_mul_f64 v[105:106], v[107:108], v[101:102]
	v_fma_f64 v[99:100], -v[99:100], v[105:106], v[107:108]
	v_div_fmas_f64 v[99:100], v[99:100], v[101:102], v[105:106]
	v_div_fixup_f64 v[101:102], v[99:100], v[97:98], 1.0
	v_mul_f64 v[103:104], v[103:104], -v[101:102]
.LBB67_70:
	s_or_b64 exec, exec, s[2:3]
	ds_write2_b64 v127, v[101:102], v[103:104] offset1:1
.LBB67_71:
	s_or_b64 exec, exec, s[4:5]
	s_waitcnt lgkmcnt(0)
	s_barrier
	ds_read2_b64 v[97:100], v127 offset1:1
	v_cmp_lt_u32_e32 vcc, 7, v126
	s_waitcnt lgkmcnt(0)
	buffer_store_dword v97, off, s[20:23], 0 offset:544 ; 4-byte Folded Spill
	s_nop 0
	buffer_store_dword v98, off, s[20:23], 0 offset:548 ; 4-byte Folded Spill
	buffer_store_dword v99, off, s[20:23], 0 offset:552 ; 4-byte Folded Spill
	buffer_store_dword v100, off, s[20:23], 0 offset:556 ; 4-byte Folded Spill
	s_and_saveexec_b64 s[2:3], vcc
	s_cbranch_execz .LBB67_73
; %bb.72:
	buffer_load_dword v117, off, s[20:23], 0 offset:48 ; 4-byte Folded Reload
	buffer_load_dword v118, off, s[20:23], 0 offset:52 ; 4-byte Folded Reload
	;; [unrolled: 1-line block ×8, first 2 shown]
	s_waitcnt vmcnt(0)
	v_mul_f64 v[97:98], v[101:102], v[119:120]
	v_fma_f64 v[97:98], v[99:100], v[117:118], -v[97:98]
	v_mul_f64 v[99:100], v[99:100], v[119:120]
	v_fma_f64 v[119:120], v[101:102], v[117:118], v[99:100]
	ds_read2_b64 v[99:102], v125 offset0:16 offset1:17
	buffer_load_dword v105, off, s[20:23], 0 offset:32 ; 4-byte Folded Reload
	buffer_load_dword v106, off, s[20:23], 0 offset:36 ; 4-byte Folded Reload
	;; [unrolled: 1-line block ×4, first 2 shown]
	v_mov_b32_e32 v118, v98
	v_mov_b32_e32 v117, v97
	s_waitcnt lgkmcnt(0)
	v_mul_f64 v[103:104], v[101:102], v[119:120]
	v_fma_f64 v[103:104], v[99:100], v[97:98], -v[103:104]
	v_mul_f64 v[99:100], v[99:100], v[119:120]
	v_fma_f64 v[99:100], v[101:102], v[97:98], v[99:100]
	s_waitcnt vmcnt(2)
	v_add_f64 v[105:106], v[105:106], -v[103:104]
	s_waitcnt vmcnt(0)
	v_add_f64 v[107:108], v[107:108], -v[99:100]
	buffer_store_dword v105, off, s[20:23], 0 offset:32 ; 4-byte Folded Spill
	s_nop 0
	buffer_store_dword v106, off, s[20:23], 0 offset:36 ; 4-byte Folded Spill
	buffer_store_dword v107, off, s[20:23], 0 offset:40 ; 4-byte Folded Spill
	;; [unrolled: 1-line block ×3, first 2 shown]
	ds_read2_b64 v[99:102], v125 offset0:18 offset1:19
	buffer_load_dword v81, off, s[20:23], 0 offset:16 ; 4-byte Folded Reload
	buffer_load_dword v82, off, s[20:23], 0 offset:20 ; 4-byte Folded Reload
	;; [unrolled: 1-line block ×4, first 2 shown]
	s_waitcnt lgkmcnt(0)
	v_mul_f64 v[103:104], v[101:102], v[119:120]
	v_fma_f64 v[103:104], v[99:100], v[97:98], -v[103:104]
	v_mul_f64 v[99:100], v[99:100], v[119:120]
	v_fma_f64 v[99:100], v[101:102], v[97:98], v[99:100]
	s_waitcnt vmcnt(2)
	v_add_f64 v[81:82], v[81:82], -v[103:104]
	s_waitcnt vmcnt(0)
	v_add_f64 v[83:84], v[83:84], -v[99:100]
	buffer_store_dword v81, off, s[20:23], 0 offset:16 ; 4-byte Folded Spill
	s_nop 0
	buffer_store_dword v82, off, s[20:23], 0 offset:20 ; 4-byte Folded Spill
	buffer_store_dword v83, off, s[20:23], 0 offset:24 ; 4-byte Folded Spill
	;; [unrolled: 1-line block ×3, first 2 shown]
	ds_read2_b64 v[99:102], v125 offset0:20 offset1:21
	buffer_load_dword v81, off, s[20:23], 0 ; 4-byte Folded Reload
	buffer_load_dword v82, off, s[20:23], 0 offset:4 ; 4-byte Folded Reload
	buffer_load_dword v83, off, s[20:23], 0 offset:8 ; 4-byte Folded Reload
	buffer_load_dword v84, off, s[20:23], 0 offset:12 ; 4-byte Folded Reload
	s_waitcnt lgkmcnt(0)
	v_mul_f64 v[103:104], v[101:102], v[119:120]
	v_fma_f64 v[103:104], v[99:100], v[97:98], -v[103:104]
	v_mul_f64 v[99:100], v[99:100], v[119:120]
	v_fma_f64 v[99:100], v[101:102], v[97:98], v[99:100]
	s_waitcnt vmcnt(2)
	v_add_f64 v[81:82], v[81:82], -v[103:104]
	s_waitcnt vmcnt(0)
	v_add_f64 v[83:84], v[83:84], -v[99:100]
	buffer_store_dword v81, off, s[20:23], 0 ; 4-byte Folded Spill
	s_nop 0
	buffer_store_dword v82, off, s[20:23], 0 offset:4 ; 4-byte Folded Spill
	buffer_store_dword v83, off, s[20:23], 0 offset:8 ; 4-byte Folded Spill
	;; [unrolled: 1-line block ×3, first 2 shown]
	ds_read2_b64 v[99:102], v125 offset0:22 offset1:23
	s_waitcnt lgkmcnt(0)
	v_mul_f64 v[103:104], v[101:102], v[119:120]
	v_fma_f64 v[103:104], v[99:100], v[97:98], -v[103:104]
	v_mul_f64 v[99:100], v[99:100], v[119:120]
	v_add_f64 v[113:114], v[113:114], -v[103:104]
	v_fma_f64 v[99:100], v[101:102], v[97:98], v[99:100]
	v_add_f64 v[115:116], v[115:116], -v[99:100]
	ds_read2_b64 v[99:102], v125 offset0:24 offset1:25
	s_waitcnt lgkmcnt(0)
	v_mul_f64 v[103:104], v[101:102], v[119:120]
	v_fma_f64 v[103:104], v[99:100], v[97:98], -v[103:104]
	v_mul_f64 v[99:100], v[99:100], v[119:120]
	v_add_f64 v[93:94], v[93:94], -v[103:104]
	v_fma_f64 v[99:100], v[101:102], v[97:98], v[99:100]
	v_add_f64 v[95:96], v[95:96], -v[99:100]
	;; [unrolled: 8-line block ×22, first 2 shown]
	ds_read2_b64 v[99:102], v125 offset0:66 offset1:67
	s_waitcnt lgkmcnt(0)
	v_mul_f64 v[103:104], v[101:102], v[119:120]
	v_fma_f64 v[103:104], v[99:100], v[97:98], -v[103:104]
	v_mul_f64 v[99:100], v[99:100], v[119:120]
	buffer_store_dword v117, off, s[20:23], 0 offset:48 ; 4-byte Folded Spill
	s_nop 0
	buffer_store_dword v118, off, s[20:23], 0 offset:52 ; 4-byte Folded Spill
	buffer_store_dword v119, off, s[20:23], 0 offset:56 ; 4-byte Folded Spill
	;; [unrolled: 1-line block ×3, first 2 shown]
	v_add_f64 v[121:122], v[121:122], -v[103:104]
	v_fma_f64 v[99:100], v[101:102], v[97:98], v[99:100]
	v_add_f64 v[123:124], v[123:124], -v[99:100]
.LBB67_73:
	s_or_b64 exec, exec, s[2:3]
	v_cmp_eq_u32_e32 vcc, 8, v126
	s_waitcnt vmcnt(0)
	s_barrier
	s_and_saveexec_b64 s[4:5], vcc
	s_cbranch_execz .LBB67_80
; %bb.74:
	buffer_load_dword v97, off, s[20:23], 0 offset:32 ; 4-byte Folded Reload
	buffer_load_dword v98, off, s[20:23], 0 offset:36 ; 4-byte Folded Reload
	;; [unrolled: 1-line block ×4, first 2 shown]
	s_waitcnt vmcnt(0)
	ds_write2_b64 v127, v[97:98], v[99:100] offset1:1
	buffer_load_dword v81, off, s[20:23], 0 offset:16 ; 4-byte Folded Reload
	buffer_load_dword v82, off, s[20:23], 0 offset:20 ; 4-byte Folded Reload
	;; [unrolled: 1-line block ×4, first 2 shown]
	s_waitcnt vmcnt(0)
	ds_write2_b64 v125, v[81:82], v[83:84] offset0:18 offset1:19
	buffer_load_dword v81, off, s[20:23], 0 ; 4-byte Folded Reload
	buffer_load_dword v82, off, s[20:23], 0 offset:4 ; 4-byte Folded Reload
	buffer_load_dword v83, off, s[20:23], 0 offset:8 ; 4-byte Folded Reload
	;; [unrolled: 1-line block ×3, first 2 shown]
	s_waitcnt vmcnt(0)
	ds_write2_b64 v125, v[81:82], v[83:84] offset0:20 offset1:21
	ds_write2_b64 v125, v[113:114], v[115:116] offset0:22 offset1:23
	;; [unrolled: 1-line block ×24, first 2 shown]
	ds_read2_b64 v[97:100], v127 offset1:1
	s_waitcnt lgkmcnt(0)
	v_cmp_neq_f64_e32 vcc, 0, v[97:98]
	v_cmp_neq_f64_e64 s[2:3], 0, v[99:100]
	s_or_b64 s[2:3], vcc, s[2:3]
	s_and_b64 exec, exec, s[2:3]
	s_cbranch_execz .LBB67_80
; %bb.75:
	v_cmp_ngt_f64_e64 s[2:3], |v[97:98]|, |v[99:100]|
                                        ; implicit-def: $vgpr101_vgpr102
	s_and_saveexec_b64 s[6:7], s[2:3]
	s_xor_b64 s[2:3], exec, s[6:7]
                                        ; implicit-def: $vgpr103_vgpr104
	s_cbranch_execz .LBB67_77
; %bb.76:
	v_div_scale_f64 v[101:102], s[6:7], v[99:100], v[99:100], v[97:98]
	v_rcp_f64_e32 v[103:104], v[101:102]
	v_fma_f64 v[105:106], -v[101:102], v[103:104], 1.0
	v_fma_f64 v[103:104], v[103:104], v[105:106], v[103:104]
	v_div_scale_f64 v[105:106], vcc, v[97:98], v[99:100], v[97:98]
	v_fma_f64 v[107:108], -v[101:102], v[103:104], 1.0
	v_fma_f64 v[103:104], v[103:104], v[107:108], v[103:104]
	v_mul_f64 v[107:108], v[105:106], v[103:104]
	v_fma_f64 v[101:102], -v[101:102], v[107:108], v[105:106]
	v_div_fmas_f64 v[101:102], v[101:102], v[103:104], v[107:108]
	v_div_fixup_f64 v[101:102], v[101:102], v[99:100], v[97:98]
	v_fma_f64 v[97:98], v[97:98], v[101:102], v[99:100]
	v_div_scale_f64 v[99:100], s[6:7], v[97:98], v[97:98], 1.0
	v_div_scale_f64 v[107:108], vcc, 1.0, v[97:98], 1.0
	v_rcp_f64_e32 v[103:104], v[99:100]
	v_fma_f64 v[105:106], -v[99:100], v[103:104], 1.0
	v_fma_f64 v[103:104], v[103:104], v[105:106], v[103:104]
	v_fma_f64 v[105:106], -v[99:100], v[103:104], 1.0
	v_fma_f64 v[103:104], v[103:104], v[105:106], v[103:104]
	v_mul_f64 v[105:106], v[107:108], v[103:104]
	v_fma_f64 v[99:100], -v[99:100], v[105:106], v[107:108]
	v_div_fmas_f64 v[99:100], v[99:100], v[103:104], v[105:106]
	v_div_fixup_f64 v[103:104], v[99:100], v[97:98], 1.0
                                        ; implicit-def: $vgpr97_vgpr98
	v_mul_f64 v[101:102], v[101:102], v[103:104]
	v_xor_b32_e32 v104, 0x80000000, v104
.LBB67_77:
	s_andn2_saveexec_b64 s[2:3], s[2:3]
	s_cbranch_execz .LBB67_79
; %bb.78:
	v_div_scale_f64 v[101:102], s[6:7], v[97:98], v[97:98], v[99:100]
	v_rcp_f64_e32 v[103:104], v[101:102]
	v_fma_f64 v[105:106], -v[101:102], v[103:104], 1.0
	v_fma_f64 v[103:104], v[103:104], v[105:106], v[103:104]
	v_div_scale_f64 v[105:106], vcc, v[99:100], v[97:98], v[99:100]
	v_fma_f64 v[107:108], -v[101:102], v[103:104], 1.0
	v_fma_f64 v[103:104], v[103:104], v[107:108], v[103:104]
	v_mul_f64 v[107:108], v[105:106], v[103:104]
	v_fma_f64 v[101:102], -v[101:102], v[107:108], v[105:106]
	v_div_fmas_f64 v[101:102], v[101:102], v[103:104], v[107:108]
	v_div_fixup_f64 v[103:104], v[101:102], v[97:98], v[99:100]
	v_fma_f64 v[97:98], v[99:100], v[103:104], v[97:98]
	v_div_scale_f64 v[99:100], s[6:7], v[97:98], v[97:98], 1.0
	v_div_scale_f64 v[107:108], vcc, 1.0, v[97:98], 1.0
	v_rcp_f64_e32 v[101:102], v[99:100]
	v_fma_f64 v[105:106], -v[99:100], v[101:102], 1.0
	v_fma_f64 v[101:102], v[101:102], v[105:106], v[101:102]
	v_fma_f64 v[105:106], -v[99:100], v[101:102], 1.0
	v_fma_f64 v[101:102], v[101:102], v[105:106], v[101:102]
	v_mul_f64 v[105:106], v[107:108], v[101:102]
	v_fma_f64 v[99:100], -v[99:100], v[105:106], v[107:108]
	v_div_fmas_f64 v[99:100], v[99:100], v[101:102], v[105:106]
	v_div_fixup_f64 v[101:102], v[99:100], v[97:98], 1.0
	v_mul_f64 v[103:104], v[103:104], -v[101:102]
.LBB67_79:
	s_or_b64 exec, exec, s[2:3]
	ds_write2_b64 v127, v[101:102], v[103:104] offset1:1
.LBB67_80:
	s_or_b64 exec, exec, s[4:5]
	s_waitcnt lgkmcnt(0)
	s_barrier
	ds_read2_b64 v[97:100], v127 offset1:1
	v_cmp_lt_u32_e32 vcc, 8, v126
	s_waitcnt lgkmcnt(0)
	buffer_store_dword v97, off, s[20:23], 0 offset:560 ; 4-byte Folded Spill
	s_nop 0
	buffer_store_dword v98, off, s[20:23], 0 offset:564 ; 4-byte Folded Spill
	buffer_store_dword v99, off, s[20:23], 0 offset:568 ; 4-byte Folded Spill
	;; [unrolled: 1-line block ×3, first 2 shown]
	s_and_saveexec_b64 s[2:3], vcc
	s_cbranch_execz .LBB67_82
; %bb.81:
	buffer_load_dword v103, off, s[20:23], 0 offset:32 ; 4-byte Folded Reload
	buffer_load_dword v104, off, s[20:23], 0 offset:36 ; 4-byte Folded Reload
	;; [unrolled: 1-line block ×8, first 2 shown]
	s_waitcnt vmcnt(0)
	v_mul_f64 v[97:98], v[101:102], v[105:106]
	v_fma_f64 v[97:98], v[99:100], v[103:104], -v[97:98]
	v_mul_f64 v[99:100], v[99:100], v[105:106]
	v_fma_f64 v[105:106], v[101:102], v[103:104], v[99:100]
	ds_read2_b64 v[99:102], v125 offset0:18 offset1:19
	buffer_load_dword v81, off, s[20:23], 0 offset:16 ; 4-byte Folded Reload
	buffer_load_dword v82, off, s[20:23], 0 offset:20 ; 4-byte Folded Reload
	;; [unrolled: 1-line block ×4, first 2 shown]
	s_waitcnt lgkmcnt(0)
	v_mul_f64 v[103:104], v[101:102], v[105:106]
	v_fma_f64 v[103:104], v[99:100], v[97:98], -v[103:104]
	v_mul_f64 v[99:100], v[99:100], v[105:106]
	v_fma_f64 v[99:100], v[101:102], v[97:98], v[99:100]
	s_waitcnt vmcnt(2)
	v_add_f64 v[81:82], v[81:82], -v[103:104]
	s_waitcnt vmcnt(0)
	v_add_f64 v[83:84], v[83:84], -v[99:100]
	buffer_store_dword v81, off, s[20:23], 0 offset:16 ; 4-byte Folded Spill
	s_nop 0
	buffer_store_dword v82, off, s[20:23], 0 offset:20 ; 4-byte Folded Spill
	buffer_store_dword v83, off, s[20:23], 0 offset:24 ; 4-byte Folded Spill
	;; [unrolled: 1-line block ×3, first 2 shown]
	ds_read2_b64 v[99:102], v125 offset0:20 offset1:21
	buffer_load_dword v81, off, s[20:23], 0 ; 4-byte Folded Reload
	buffer_load_dword v82, off, s[20:23], 0 offset:4 ; 4-byte Folded Reload
	buffer_load_dword v83, off, s[20:23], 0 offset:8 ; 4-byte Folded Reload
	;; [unrolled: 1-line block ×3, first 2 shown]
	s_waitcnt lgkmcnt(0)
	v_mul_f64 v[103:104], v[101:102], v[105:106]
	v_fma_f64 v[103:104], v[99:100], v[97:98], -v[103:104]
	v_mul_f64 v[99:100], v[99:100], v[105:106]
	v_fma_f64 v[99:100], v[101:102], v[97:98], v[99:100]
	s_waitcnt vmcnt(2)
	v_add_f64 v[81:82], v[81:82], -v[103:104]
	s_waitcnt vmcnt(0)
	v_add_f64 v[83:84], v[83:84], -v[99:100]
	buffer_store_dword v81, off, s[20:23], 0 ; 4-byte Folded Spill
	s_nop 0
	buffer_store_dword v82, off, s[20:23], 0 offset:4 ; 4-byte Folded Spill
	buffer_store_dword v83, off, s[20:23], 0 offset:8 ; 4-byte Folded Spill
	;; [unrolled: 1-line block ×3, first 2 shown]
	ds_read2_b64 v[99:102], v125 offset0:22 offset1:23
	s_waitcnt lgkmcnt(0)
	v_mul_f64 v[103:104], v[101:102], v[105:106]
	v_fma_f64 v[103:104], v[99:100], v[97:98], -v[103:104]
	v_mul_f64 v[99:100], v[99:100], v[105:106]
	v_add_f64 v[113:114], v[113:114], -v[103:104]
	v_fma_f64 v[99:100], v[101:102], v[97:98], v[99:100]
	v_add_f64 v[115:116], v[115:116], -v[99:100]
	ds_read2_b64 v[99:102], v125 offset0:24 offset1:25
	s_waitcnt lgkmcnt(0)
	v_mul_f64 v[103:104], v[101:102], v[105:106]
	v_fma_f64 v[103:104], v[99:100], v[97:98], -v[103:104]
	v_mul_f64 v[99:100], v[99:100], v[105:106]
	v_add_f64 v[93:94], v[93:94], -v[103:104]
	v_fma_f64 v[99:100], v[101:102], v[97:98], v[99:100]
	v_add_f64 v[95:96], v[95:96], -v[99:100]
	;; [unrolled: 8-line block ×22, first 2 shown]
	ds_read2_b64 v[99:102], v125 offset0:66 offset1:67
	s_waitcnt lgkmcnt(0)
	v_mul_f64 v[103:104], v[101:102], v[105:106]
	v_fma_f64 v[103:104], v[99:100], v[97:98], -v[103:104]
	v_mul_f64 v[99:100], v[99:100], v[105:106]
	v_add_f64 v[121:122], v[121:122], -v[103:104]
	v_fma_f64 v[99:100], v[101:102], v[97:98], v[99:100]
	v_mov_b32_e32 v104, v98
	v_mov_b32_e32 v103, v97
	buffer_store_dword v103, off, s[20:23], 0 offset:32 ; 4-byte Folded Spill
	s_nop 0
	buffer_store_dword v104, off, s[20:23], 0 offset:36 ; 4-byte Folded Spill
	buffer_store_dword v105, off, s[20:23], 0 offset:40 ; 4-byte Folded Spill
	;; [unrolled: 1-line block ×3, first 2 shown]
	v_add_f64 v[123:124], v[123:124], -v[99:100]
.LBB67_82:
	s_or_b64 exec, exec, s[2:3]
	v_cmp_eq_u32_e32 vcc, 9, v126
	s_waitcnt vmcnt(0)
	s_barrier
	s_and_saveexec_b64 s[4:5], vcc
	s_cbranch_execz .LBB67_89
; %bb.83:
	buffer_load_dword v81, off, s[20:23], 0 offset:16 ; 4-byte Folded Reload
	buffer_load_dword v82, off, s[20:23], 0 offset:20 ; 4-byte Folded Reload
	;; [unrolled: 1-line block ×4, first 2 shown]
	s_waitcnt vmcnt(0)
	ds_write2_b64 v127, v[81:82], v[83:84] offset1:1
	buffer_load_dword v81, off, s[20:23], 0 ; 4-byte Folded Reload
	buffer_load_dword v82, off, s[20:23], 0 offset:4 ; 4-byte Folded Reload
	buffer_load_dword v83, off, s[20:23], 0 offset:8 ; 4-byte Folded Reload
	;; [unrolled: 1-line block ×3, first 2 shown]
	s_waitcnt vmcnt(0)
	ds_write2_b64 v125, v[81:82], v[83:84] offset0:20 offset1:21
	ds_write2_b64 v125, v[113:114], v[115:116] offset0:22 offset1:23
	;; [unrolled: 1-line block ×24, first 2 shown]
	ds_read2_b64 v[97:100], v127 offset1:1
	s_waitcnt lgkmcnt(0)
	v_cmp_neq_f64_e32 vcc, 0, v[97:98]
	v_cmp_neq_f64_e64 s[2:3], 0, v[99:100]
	s_or_b64 s[2:3], vcc, s[2:3]
	s_and_b64 exec, exec, s[2:3]
	s_cbranch_execz .LBB67_89
; %bb.84:
	v_cmp_ngt_f64_e64 s[2:3], |v[97:98]|, |v[99:100]|
                                        ; implicit-def: $vgpr101_vgpr102
	s_and_saveexec_b64 s[6:7], s[2:3]
	s_xor_b64 s[2:3], exec, s[6:7]
                                        ; implicit-def: $vgpr103_vgpr104
	s_cbranch_execz .LBB67_86
; %bb.85:
	v_div_scale_f64 v[101:102], s[6:7], v[99:100], v[99:100], v[97:98]
	v_rcp_f64_e32 v[103:104], v[101:102]
	v_fma_f64 v[105:106], -v[101:102], v[103:104], 1.0
	v_fma_f64 v[103:104], v[103:104], v[105:106], v[103:104]
	v_div_scale_f64 v[105:106], vcc, v[97:98], v[99:100], v[97:98]
	v_fma_f64 v[107:108], -v[101:102], v[103:104], 1.0
	v_fma_f64 v[103:104], v[103:104], v[107:108], v[103:104]
	v_mul_f64 v[107:108], v[105:106], v[103:104]
	v_fma_f64 v[101:102], -v[101:102], v[107:108], v[105:106]
	v_div_fmas_f64 v[101:102], v[101:102], v[103:104], v[107:108]
	v_div_fixup_f64 v[101:102], v[101:102], v[99:100], v[97:98]
	v_fma_f64 v[97:98], v[97:98], v[101:102], v[99:100]
	v_div_scale_f64 v[99:100], s[6:7], v[97:98], v[97:98], 1.0
	v_div_scale_f64 v[107:108], vcc, 1.0, v[97:98], 1.0
	v_rcp_f64_e32 v[103:104], v[99:100]
	v_fma_f64 v[105:106], -v[99:100], v[103:104], 1.0
	v_fma_f64 v[103:104], v[103:104], v[105:106], v[103:104]
	v_fma_f64 v[105:106], -v[99:100], v[103:104], 1.0
	v_fma_f64 v[103:104], v[103:104], v[105:106], v[103:104]
	v_mul_f64 v[105:106], v[107:108], v[103:104]
	v_fma_f64 v[99:100], -v[99:100], v[105:106], v[107:108]
	v_div_fmas_f64 v[99:100], v[99:100], v[103:104], v[105:106]
	v_div_fixup_f64 v[103:104], v[99:100], v[97:98], 1.0
                                        ; implicit-def: $vgpr97_vgpr98
	v_mul_f64 v[101:102], v[101:102], v[103:104]
	v_xor_b32_e32 v104, 0x80000000, v104
.LBB67_86:
	s_andn2_saveexec_b64 s[2:3], s[2:3]
	s_cbranch_execz .LBB67_88
; %bb.87:
	v_div_scale_f64 v[101:102], s[6:7], v[97:98], v[97:98], v[99:100]
	v_rcp_f64_e32 v[103:104], v[101:102]
	v_fma_f64 v[105:106], -v[101:102], v[103:104], 1.0
	v_fma_f64 v[103:104], v[103:104], v[105:106], v[103:104]
	v_div_scale_f64 v[105:106], vcc, v[99:100], v[97:98], v[99:100]
	v_fma_f64 v[107:108], -v[101:102], v[103:104], 1.0
	v_fma_f64 v[103:104], v[103:104], v[107:108], v[103:104]
	v_mul_f64 v[107:108], v[105:106], v[103:104]
	v_fma_f64 v[101:102], -v[101:102], v[107:108], v[105:106]
	v_div_fmas_f64 v[101:102], v[101:102], v[103:104], v[107:108]
	v_div_fixup_f64 v[103:104], v[101:102], v[97:98], v[99:100]
	v_fma_f64 v[97:98], v[99:100], v[103:104], v[97:98]
	v_div_scale_f64 v[99:100], s[6:7], v[97:98], v[97:98], 1.0
	v_div_scale_f64 v[107:108], vcc, 1.0, v[97:98], 1.0
	v_rcp_f64_e32 v[101:102], v[99:100]
	v_fma_f64 v[105:106], -v[99:100], v[101:102], 1.0
	v_fma_f64 v[101:102], v[101:102], v[105:106], v[101:102]
	v_fma_f64 v[105:106], -v[99:100], v[101:102], 1.0
	v_fma_f64 v[101:102], v[101:102], v[105:106], v[101:102]
	v_mul_f64 v[105:106], v[107:108], v[101:102]
	v_fma_f64 v[99:100], -v[99:100], v[105:106], v[107:108]
	v_div_fmas_f64 v[99:100], v[99:100], v[101:102], v[105:106]
	v_div_fixup_f64 v[101:102], v[99:100], v[97:98], 1.0
	v_mul_f64 v[103:104], v[103:104], -v[101:102]
.LBB67_88:
	s_or_b64 exec, exec, s[2:3]
	ds_write2_b64 v127, v[101:102], v[103:104] offset1:1
.LBB67_89:
	s_or_b64 exec, exec, s[4:5]
	s_waitcnt lgkmcnt(0)
	s_barrier
	ds_read2_b64 v[97:100], v127 offset1:1
	v_cmp_lt_u32_e32 vcc, 9, v126
	s_waitcnt lgkmcnt(0)
	buffer_store_dword v97, off, s[20:23], 0 offset:576 ; 4-byte Folded Spill
	s_nop 0
	buffer_store_dword v98, off, s[20:23], 0 offset:580 ; 4-byte Folded Spill
	buffer_store_dword v99, off, s[20:23], 0 offset:584 ; 4-byte Folded Spill
	;; [unrolled: 1-line block ×3, first 2 shown]
	s_and_saveexec_b64 s[2:3], vcc
	s_cbranch_execz .LBB67_91
; %bb.90:
	buffer_load_dword v99, off, s[20:23], 0 offset:576 ; 4-byte Folded Reload
	buffer_load_dword v100, off, s[20:23], 0 offset:580 ; 4-byte Folded Reload
	;; [unrolled: 1-line block ×8, first 2 shown]
	v_mov_b32_e32 v106, v96
	v_mov_b32_e32 v105, v95
	;; [unrolled: 1-line block ×4, first 2 shown]
	s_waitcnt vmcnt(0)
	v_mul_f64 v[97:98], v[101:102], v[83:84]
	v_mul_f64 v[95:96], v[99:100], v[83:84]
	v_fma_f64 v[97:98], v[99:100], v[81:82], -v[97:98]
	v_fma_f64 v[83:84], v[101:102], v[81:82], v[95:96]
	ds_read2_b64 v[99:102], v125 offset0:20 offset1:21
	buffer_load_dword v85, off, s[20:23], 0 ; 4-byte Folded Reload
	buffer_load_dword v86, off, s[20:23], 0 offset:4 ; 4-byte Folded Reload
	buffer_load_dword v87, off, s[20:23], 0 offset:8 ; 4-byte Folded Reload
	;; [unrolled: 1-line block ×3, first 2 shown]
	v_mov_b32_e32 v81, v97
	s_waitcnt lgkmcnt(0)
	v_mul_f64 v[93:94], v[101:102], v[83:84]
	v_mov_b32_e32 v82, v98
	v_fma_f64 v[93:94], v[99:100], v[97:98], -v[93:94]
	v_mul_f64 v[99:100], v[99:100], v[83:84]
	v_fma_f64 v[99:100], v[101:102], v[97:98], v[99:100]
	s_waitcnt vmcnt(2)
	v_add_f64 v[85:86], v[85:86], -v[93:94]
	s_waitcnt vmcnt(0)
	v_add_f64 v[87:88], v[87:88], -v[99:100]
	buffer_store_dword v85, off, s[20:23], 0 ; 4-byte Folded Spill
	s_nop 0
	buffer_store_dword v86, off, s[20:23], 0 offset:4 ; 4-byte Folded Spill
	buffer_store_dword v87, off, s[20:23], 0 offset:8 ; 4-byte Folded Spill
	;; [unrolled: 1-line block ×3, first 2 shown]
	ds_read2_b64 v[99:102], v125 offset0:22 offset1:23
	s_waitcnt lgkmcnt(0)
	v_mul_f64 v[93:94], v[101:102], v[83:84]
	v_fma_f64 v[93:94], v[99:100], v[97:98], -v[93:94]
	v_mul_f64 v[99:100], v[99:100], v[83:84]
	v_add_f64 v[113:114], v[113:114], -v[93:94]
	v_fma_f64 v[99:100], v[101:102], v[97:98], v[99:100]
	v_add_f64 v[115:116], v[115:116], -v[99:100]
	ds_read2_b64 v[99:102], v125 offset0:24 offset1:25
	s_waitcnt lgkmcnt(0)
	v_mul_f64 v[93:94], v[101:102], v[83:84]
	v_fma_f64 v[93:94], v[99:100], v[97:98], -v[93:94]
	v_mul_f64 v[99:100], v[99:100], v[83:84]
	v_add_f64 v[103:104], v[103:104], -v[93:94]
	v_fma_f64 v[99:100], v[101:102], v[97:98], v[99:100]
	v_add_f64 v[105:106], v[105:106], -v[99:100]
	;; [unrolled: 8-line block ×22, first 2 shown]
	ds_read2_b64 v[99:102], v125 offset0:66 offset1:67
	s_waitcnt lgkmcnt(0)
	v_mul_f64 v[93:94], v[101:102], v[83:84]
	v_fma_f64 v[93:94], v[99:100], v[97:98], -v[93:94]
	v_mul_f64 v[99:100], v[99:100], v[83:84]
	buffer_store_dword v81, off, s[20:23], 0 offset:16 ; 4-byte Folded Spill
	s_nop 0
	buffer_store_dword v82, off, s[20:23], 0 offset:20 ; 4-byte Folded Spill
	buffer_store_dword v83, off, s[20:23], 0 offset:24 ; 4-byte Folded Spill
	;; [unrolled: 1-line block ×3, first 2 shown]
	v_add_f64 v[121:122], v[121:122], -v[93:94]
	v_fma_f64 v[99:100], v[101:102], v[97:98], v[99:100]
	v_mov_b32_e32 v93, v103
	v_mov_b32_e32 v94, v104
	;; [unrolled: 1-line block ×4, first 2 shown]
	v_add_f64 v[123:124], v[123:124], -v[99:100]
.LBB67_91:
	s_or_b64 exec, exec, s[2:3]
	v_cmp_eq_u32_e32 vcc, 10, v126
	s_waitcnt vmcnt(0)
	s_barrier
	s_and_saveexec_b64 s[4:5], vcc
	s_cbranch_execz .LBB67_98
; %bb.92:
	buffer_load_dword v81, off, s[20:23], 0 ; 4-byte Folded Reload
	buffer_load_dword v82, off, s[20:23], 0 offset:4 ; 4-byte Folded Reload
	buffer_load_dword v83, off, s[20:23], 0 offset:8 ; 4-byte Folded Reload
	;; [unrolled: 1-line block ×3, first 2 shown]
	s_waitcnt vmcnt(0)
	ds_write2_b64 v127, v[81:82], v[83:84] offset1:1
	ds_write2_b64 v125, v[113:114], v[115:116] offset0:22 offset1:23
	ds_write2_b64 v125, v[93:94], v[95:96] offset0:24 offset1:25
	;; [unrolled: 1-line block ×23, first 2 shown]
	ds_read2_b64 v[97:100], v127 offset1:1
	s_waitcnt lgkmcnt(0)
	v_cmp_neq_f64_e32 vcc, 0, v[97:98]
	v_cmp_neq_f64_e64 s[2:3], 0, v[99:100]
	s_or_b64 s[2:3], vcc, s[2:3]
	s_and_b64 exec, exec, s[2:3]
	s_cbranch_execz .LBB67_98
; %bb.93:
	v_cmp_ngt_f64_e64 s[2:3], |v[97:98]|, |v[99:100]|
                                        ; implicit-def: $vgpr101_vgpr102
	s_and_saveexec_b64 s[6:7], s[2:3]
	s_xor_b64 s[2:3], exec, s[6:7]
                                        ; implicit-def: $vgpr103_vgpr104
	s_cbranch_execz .LBB67_95
; %bb.94:
	v_div_scale_f64 v[101:102], s[6:7], v[99:100], v[99:100], v[97:98]
	v_rcp_f64_e32 v[103:104], v[101:102]
	v_fma_f64 v[105:106], -v[101:102], v[103:104], 1.0
	v_fma_f64 v[103:104], v[103:104], v[105:106], v[103:104]
	v_div_scale_f64 v[105:106], vcc, v[97:98], v[99:100], v[97:98]
	v_fma_f64 v[107:108], -v[101:102], v[103:104], 1.0
	v_fma_f64 v[103:104], v[103:104], v[107:108], v[103:104]
	v_mul_f64 v[107:108], v[105:106], v[103:104]
	v_fma_f64 v[101:102], -v[101:102], v[107:108], v[105:106]
	v_div_fmas_f64 v[101:102], v[101:102], v[103:104], v[107:108]
	v_div_fixup_f64 v[101:102], v[101:102], v[99:100], v[97:98]
	v_fma_f64 v[97:98], v[97:98], v[101:102], v[99:100]
	v_div_scale_f64 v[99:100], s[6:7], v[97:98], v[97:98], 1.0
	v_div_scale_f64 v[107:108], vcc, 1.0, v[97:98], 1.0
	v_rcp_f64_e32 v[103:104], v[99:100]
	v_fma_f64 v[105:106], -v[99:100], v[103:104], 1.0
	v_fma_f64 v[103:104], v[103:104], v[105:106], v[103:104]
	v_fma_f64 v[105:106], -v[99:100], v[103:104], 1.0
	v_fma_f64 v[103:104], v[103:104], v[105:106], v[103:104]
	v_mul_f64 v[105:106], v[107:108], v[103:104]
	v_fma_f64 v[99:100], -v[99:100], v[105:106], v[107:108]
	v_div_fmas_f64 v[99:100], v[99:100], v[103:104], v[105:106]
	v_div_fixup_f64 v[103:104], v[99:100], v[97:98], 1.0
                                        ; implicit-def: $vgpr97_vgpr98
	v_mul_f64 v[101:102], v[101:102], v[103:104]
	v_xor_b32_e32 v104, 0x80000000, v104
.LBB67_95:
	s_andn2_saveexec_b64 s[2:3], s[2:3]
	s_cbranch_execz .LBB67_97
; %bb.96:
	v_div_scale_f64 v[101:102], s[6:7], v[97:98], v[97:98], v[99:100]
	v_rcp_f64_e32 v[103:104], v[101:102]
	v_fma_f64 v[105:106], -v[101:102], v[103:104], 1.0
	v_fma_f64 v[103:104], v[103:104], v[105:106], v[103:104]
	v_div_scale_f64 v[105:106], vcc, v[99:100], v[97:98], v[99:100]
	v_fma_f64 v[107:108], -v[101:102], v[103:104], 1.0
	v_fma_f64 v[103:104], v[103:104], v[107:108], v[103:104]
	v_mul_f64 v[107:108], v[105:106], v[103:104]
	v_fma_f64 v[101:102], -v[101:102], v[107:108], v[105:106]
	v_div_fmas_f64 v[101:102], v[101:102], v[103:104], v[107:108]
	v_div_fixup_f64 v[103:104], v[101:102], v[97:98], v[99:100]
	v_fma_f64 v[97:98], v[99:100], v[103:104], v[97:98]
	v_div_scale_f64 v[99:100], s[6:7], v[97:98], v[97:98], 1.0
	v_div_scale_f64 v[107:108], vcc, 1.0, v[97:98], 1.0
	v_rcp_f64_e32 v[101:102], v[99:100]
	v_fma_f64 v[105:106], -v[99:100], v[101:102], 1.0
	v_fma_f64 v[101:102], v[101:102], v[105:106], v[101:102]
	v_fma_f64 v[105:106], -v[99:100], v[101:102], 1.0
	v_fma_f64 v[101:102], v[101:102], v[105:106], v[101:102]
	v_mul_f64 v[105:106], v[107:108], v[101:102]
	v_fma_f64 v[99:100], -v[99:100], v[105:106], v[107:108]
	v_div_fmas_f64 v[99:100], v[99:100], v[101:102], v[105:106]
	v_div_fixup_f64 v[101:102], v[99:100], v[97:98], 1.0
	v_mul_f64 v[103:104], v[103:104], -v[101:102]
.LBB67_97:
	s_or_b64 exec, exec, s[2:3]
	ds_write2_b64 v127, v[101:102], v[103:104] offset1:1
.LBB67_98:
	s_or_b64 exec, exec, s[4:5]
	s_waitcnt lgkmcnt(0)
	s_barrier
	ds_read2_b64 v[97:100], v127 offset1:1
	v_cmp_lt_u32_e32 vcc, 10, v126
	s_waitcnt lgkmcnt(0)
	buffer_store_dword v97, off, s[20:23], 0 offset:592 ; 4-byte Folded Spill
	s_nop 0
	buffer_store_dword v98, off, s[20:23], 0 offset:596 ; 4-byte Folded Spill
	buffer_store_dword v99, off, s[20:23], 0 offset:600 ; 4-byte Folded Spill
	;; [unrolled: 1-line block ×3, first 2 shown]
	s_and_saveexec_b64 s[2:3], vcc
	s_cbranch_execz .LBB67_100
; %bb.99:
	buffer_load_dword v99, off, s[20:23], 0 offset:592 ; 4-byte Folded Reload
	buffer_load_dword v100, off, s[20:23], 0 offset:596 ; 4-byte Folded Reload
	;; [unrolled: 1-line block ×4, first 2 shown]
	buffer_load_dword v81, off, s[20:23], 0 ; 4-byte Folded Reload
	buffer_load_dword v82, off, s[20:23], 0 offset:4 ; 4-byte Folded Reload
	buffer_load_dword v83, off, s[20:23], 0 offset:8 ; 4-byte Folded Reload
	buffer_load_dword v84, off, s[20:23], 0 offset:12 ; 4-byte Folded Reload
	v_mov_b32_e32 v89, v91
	v_mov_b32_e32 v90, v92
	s_waitcnt vmcnt(0)
	v_mul_f64 v[91:92], v[99:100], v[83:84]
	v_mul_f64 v[97:98], v[101:102], v[83:84]
	v_fma_f64 v[83:84], v[101:102], v[81:82], v[91:92]
	v_fma_f64 v[97:98], v[99:100], v[81:82], -v[97:98]
	ds_read2_b64 v[99:102], v125 offset0:22 offset1:23
	v_mov_b32_e32 v92, v90
	v_mov_b32_e32 v91, v89
	s_waitcnt lgkmcnt(0)
	v_mul_f64 v[89:90], v[101:102], v[83:84]
	v_mov_b32_e32 v81, v97
	v_mov_b32_e32 v82, v98
	v_fma_f64 v[89:90], v[99:100], v[97:98], -v[89:90]
	v_mul_f64 v[99:100], v[99:100], v[83:84]
	v_add_f64 v[113:114], v[113:114], -v[89:90]
	v_fma_f64 v[99:100], v[101:102], v[97:98], v[99:100]
	v_add_f64 v[115:116], v[115:116], -v[99:100]
	ds_read2_b64 v[99:102], v125 offset0:24 offset1:25
	s_waitcnt lgkmcnt(0)
	v_mul_f64 v[89:90], v[101:102], v[83:84]
	v_fma_f64 v[89:90], v[99:100], v[97:98], -v[89:90]
	v_mul_f64 v[99:100], v[99:100], v[83:84]
	v_add_f64 v[93:94], v[93:94], -v[89:90]
	v_fma_f64 v[99:100], v[101:102], v[97:98], v[99:100]
	v_add_f64 v[95:96], v[95:96], -v[99:100]
	ds_read2_b64 v[99:102], v125 offset0:26 offset1:27
	s_waitcnt lgkmcnt(0)
	v_mul_f64 v[89:90], v[101:102], v[83:84]
	;; [unrolled: 8-line block ×22, first 2 shown]
	v_fma_f64 v[89:90], v[99:100], v[97:98], -v[89:90]
	v_mul_f64 v[99:100], v[99:100], v[83:84]
	buffer_store_dword v81, off, s[20:23], 0 ; 4-byte Folded Spill
	s_nop 0
	buffer_store_dword v82, off, s[20:23], 0 offset:4 ; 4-byte Folded Spill
	buffer_store_dword v83, off, s[20:23], 0 offset:8 ; 4-byte Folded Spill
	;; [unrolled: 1-line block ×3, first 2 shown]
	v_add_f64 v[121:122], v[121:122], -v[89:90]
	v_fma_f64 v[99:100], v[101:102], v[97:98], v[99:100]
	v_add_f64 v[123:124], v[123:124], -v[99:100]
.LBB67_100:
	s_or_b64 exec, exec, s[2:3]
	v_cmp_eq_u32_e32 vcc, 11, v126
	s_waitcnt vmcnt(0)
	s_barrier
	s_and_saveexec_b64 s[4:5], vcc
	s_cbranch_execz .LBB67_107
; %bb.101:
	ds_write2_b64 v127, v[113:114], v[115:116] offset1:1
	ds_write2_b64 v125, v[93:94], v[95:96] offset0:24 offset1:25
	ds_write2_b64 v125, v[77:78], v[79:80] offset0:26 offset1:27
	;; [unrolled: 1-line block ×22, first 2 shown]
	ds_read2_b64 v[97:100], v127 offset1:1
	s_waitcnt lgkmcnt(0)
	v_cmp_neq_f64_e32 vcc, 0, v[97:98]
	v_cmp_neq_f64_e64 s[2:3], 0, v[99:100]
	s_or_b64 s[2:3], vcc, s[2:3]
	s_and_b64 exec, exec, s[2:3]
	s_cbranch_execz .LBB67_107
; %bb.102:
	v_cmp_ngt_f64_e64 s[2:3], |v[97:98]|, |v[99:100]|
                                        ; implicit-def: $vgpr101_vgpr102
	s_and_saveexec_b64 s[6:7], s[2:3]
	s_xor_b64 s[2:3], exec, s[6:7]
                                        ; implicit-def: $vgpr103_vgpr104
	s_cbranch_execz .LBB67_104
; %bb.103:
	v_div_scale_f64 v[101:102], s[6:7], v[99:100], v[99:100], v[97:98]
	v_rcp_f64_e32 v[103:104], v[101:102]
	v_fma_f64 v[105:106], -v[101:102], v[103:104], 1.0
	v_fma_f64 v[103:104], v[103:104], v[105:106], v[103:104]
	v_div_scale_f64 v[105:106], vcc, v[97:98], v[99:100], v[97:98]
	v_fma_f64 v[107:108], -v[101:102], v[103:104], 1.0
	v_fma_f64 v[103:104], v[103:104], v[107:108], v[103:104]
	v_mul_f64 v[107:108], v[105:106], v[103:104]
	v_fma_f64 v[101:102], -v[101:102], v[107:108], v[105:106]
	v_div_fmas_f64 v[101:102], v[101:102], v[103:104], v[107:108]
	v_div_fixup_f64 v[101:102], v[101:102], v[99:100], v[97:98]
	v_fma_f64 v[97:98], v[97:98], v[101:102], v[99:100]
	v_div_scale_f64 v[99:100], s[6:7], v[97:98], v[97:98], 1.0
	v_div_scale_f64 v[107:108], vcc, 1.0, v[97:98], 1.0
	v_rcp_f64_e32 v[103:104], v[99:100]
	v_fma_f64 v[105:106], -v[99:100], v[103:104], 1.0
	v_fma_f64 v[103:104], v[103:104], v[105:106], v[103:104]
	v_fma_f64 v[105:106], -v[99:100], v[103:104], 1.0
	v_fma_f64 v[103:104], v[103:104], v[105:106], v[103:104]
	v_mul_f64 v[105:106], v[107:108], v[103:104]
	v_fma_f64 v[99:100], -v[99:100], v[105:106], v[107:108]
	v_div_fmas_f64 v[99:100], v[99:100], v[103:104], v[105:106]
	v_div_fixup_f64 v[103:104], v[99:100], v[97:98], 1.0
                                        ; implicit-def: $vgpr97_vgpr98
	v_mul_f64 v[101:102], v[101:102], v[103:104]
	v_xor_b32_e32 v104, 0x80000000, v104
.LBB67_104:
	s_andn2_saveexec_b64 s[2:3], s[2:3]
	s_cbranch_execz .LBB67_106
; %bb.105:
	v_div_scale_f64 v[101:102], s[6:7], v[97:98], v[97:98], v[99:100]
	v_rcp_f64_e32 v[103:104], v[101:102]
	v_fma_f64 v[105:106], -v[101:102], v[103:104], 1.0
	v_fma_f64 v[103:104], v[103:104], v[105:106], v[103:104]
	v_div_scale_f64 v[105:106], vcc, v[99:100], v[97:98], v[99:100]
	v_fma_f64 v[107:108], -v[101:102], v[103:104], 1.0
	v_fma_f64 v[103:104], v[103:104], v[107:108], v[103:104]
	v_mul_f64 v[107:108], v[105:106], v[103:104]
	v_fma_f64 v[101:102], -v[101:102], v[107:108], v[105:106]
	v_div_fmas_f64 v[101:102], v[101:102], v[103:104], v[107:108]
	v_div_fixup_f64 v[103:104], v[101:102], v[97:98], v[99:100]
	v_fma_f64 v[97:98], v[99:100], v[103:104], v[97:98]
	v_div_scale_f64 v[99:100], s[6:7], v[97:98], v[97:98], 1.0
	v_div_scale_f64 v[107:108], vcc, 1.0, v[97:98], 1.0
	v_rcp_f64_e32 v[101:102], v[99:100]
	v_fma_f64 v[105:106], -v[99:100], v[101:102], 1.0
	v_fma_f64 v[101:102], v[101:102], v[105:106], v[101:102]
	v_fma_f64 v[105:106], -v[99:100], v[101:102], 1.0
	v_fma_f64 v[101:102], v[101:102], v[105:106], v[101:102]
	v_mul_f64 v[105:106], v[107:108], v[101:102]
	v_fma_f64 v[99:100], -v[99:100], v[105:106], v[107:108]
	v_div_fmas_f64 v[99:100], v[99:100], v[101:102], v[105:106]
	v_div_fixup_f64 v[101:102], v[99:100], v[97:98], 1.0
	v_mul_f64 v[103:104], v[103:104], -v[101:102]
.LBB67_106:
	s_or_b64 exec, exec, s[2:3]
	ds_write2_b64 v127, v[101:102], v[103:104] offset1:1
.LBB67_107:
	s_or_b64 exec, exec, s[4:5]
	s_waitcnt lgkmcnt(0)
	s_barrier
	ds_read2_b64 v[97:100], v127 offset1:1
	v_cmp_lt_u32_e32 vcc, 11, v126
	s_waitcnt lgkmcnt(0)
	buffer_store_dword v97, off, s[20:23], 0 offset:608 ; 4-byte Folded Spill
	s_nop 0
	buffer_store_dword v98, off, s[20:23], 0 offset:612 ; 4-byte Folded Spill
	buffer_store_dword v99, off, s[20:23], 0 offset:616 ; 4-byte Folded Spill
	;; [unrolled: 1-line block ×3, first 2 shown]
	s_and_saveexec_b64 s[2:3], vcc
	s_cbranch_execz .LBB67_109
; %bb.108:
	buffer_load_dword v99, off, s[20:23], 0 offset:608 ; 4-byte Folded Reload
	buffer_load_dword v100, off, s[20:23], 0 offset:612 ; 4-byte Folded Reload
	;; [unrolled: 1-line block ×4, first 2 shown]
	s_waitcnt vmcnt(2)
	v_mul_f64 v[87:88], v[99:100], v[115:116]
	s_waitcnt vmcnt(0)
	v_mul_f64 v[97:98], v[101:102], v[115:116]
	v_fma_f64 v[115:116], v[101:102], v[113:114], v[87:88]
	v_fma_f64 v[97:98], v[99:100], v[113:114], -v[97:98]
	ds_read2_b64 v[99:102], v125 offset0:24 offset1:25
	s_waitcnt lgkmcnt(0)
	v_mul_f64 v[85:86], v[101:102], v[115:116]
	v_mov_b32_e32 v114, v98
	v_mov_b32_e32 v113, v97
	v_fma_f64 v[85:86], v[99:100], v[97:98], -v[85:86]
	v_mul_f64 v[99:100], v[99:100], v[115:116]
	v_add_f64 v[93:94], v[93:94], -v[85:86]
	v_fma_f64 v[99:100], v[101:102], v[97:98], v[99:100]
	v_add_f64 v[95:96], v[95:96], -v[99:100]
	ds_read2_b64 v[99:102], v125 offset0:26 offset1:27
	s_waitcnt lgkmcnt(0)
	v_mul_f64 v[85:86], v[101:102], v[115:116]
	v_fma_f64 v[85:86], v[99:100], v[97:98], -v[85:86]
	v_mul_f64 v[99:100], v[99:100], v[115:116]
	v_add_f64 v[77:78], v[77:78], -v[85:86]
	v_fma_f64 v[99:100], v[101:102], v[97:98], v[99:100]
	v_add_f64 v[79:80], v[79:80], -v[99:100]
	ds_read2_b64 v[99:102], v125 offset0:28 offset1:29
	s_waitcnt lgkmcnt(0)
	v_mul_f64 v[85:86], v[101:102], v[115:116]
	v_fma_f64 v[85:86], v[99:100], v[97:98], -v[85:86]
	v_mul_f64 v[99:100], v[99:100], v[115:116]
	v_add_f64 v[73:74], v[73:74], -v[85:86]
	v_fma_f64 v[99:100], v[101:102], v[97:98], v[99:100]
	v_add_f64 v[75:76], v[75:76], -v[99:100]
	ds_read2_b64 v[99:102], v125 offset0:30 offset1:31
	s_waitcnt lgkmcnt(0)
	v_mul_f64 v[85:86], v[101:102], v[115:116]
	v_fma_f64 v[85:86], v[99:100], v[97:98], -v[85:86]
	v_mul_f64 v[99:100], v[99:100], v[115:116]
	v_add_f64 v[69:70], v[69:70], -v[85:86]
	v_fma_f64 v[99:100], v[101:102], v[97:98], v[99:100]
	v_add_f64 v[71:72], v[71:72], -v[99:100]
	ds_read2_b64 v[99:102], v125 offset0:32 offset1:33
	s_waitcnt lgkmcnt(0)
	v_mul_f64 v[85:86], v[101:102], v[115:116]
	v_fma_f64 v[85:86], v[99:100], v[97:98], -v[85:86]
	v_mul_f64 v[99:100], v[99:100], v[115:116]
	v_add_f64 v[65:66], v[65:66], -v[85:86]
	v_fma_f64 v[99:100], v[101:102], v[97:98], v[99:100]
	v_add_f64 v[67:68], v[67:68], -v[99:100]
	ds_read2_b64 v[99:102], v125 offset0:34 offset1:35
	s_waitcnt lgkmcnt(0)
	v_mul_f64 v[85:86], v[101:102], v[115:116]
	v_fma_f64 v[85:86], v[99:100], v[97:98], -v[85:86]
	v_mul_f64 v[99:100], v[99:100], v[115:116]
	v_add_f64 v[61:62], v[61:62], -v[85:86]
	v_fma_f64 v[99:100], v[101:102], v[97:98], v[99:100]
	v_add_f64 v[63:64], v[63:64], -v[99:100]
	ds_read2_b64 v[99:102], v125 offset0:36 offset1:37
	s_waitcnt lgkmcnt(0)
	v_mul_f64 v[85:86], v[101:102], v[115:116]
	v_fma_f64 v[85:86], v[99:100], v[97:98], -v[85:86]
	v_mul_f64 v[99:100], v[99:100], v[115:116]
	v_add_f64 v[57:58], v[57:58], -v[85:86]
	v_fma_f64 v[99:100], v[101:102], v[97:98], v[99:100]
	v_add_f64 v[59:60], v[59:60], -v[99:100]
	ds_read2_b64 v[99:102], v125 offset0:38 offset1:39
	s_waitcnt lgkmcnt(0)
	v_mul_f64 v[85:86], v[101:102], v[115:116]
	v_fma_f64 v[85:86], v[99:100], v[97:98], -v[85:86]
	v_mul_f64 v[99:100], v[99:100], v[115:116]
	v_add_f64 v[53:54], v[53:54], -v[85:86]
	v_fma_f64 v[99:100], v[101:102], v[97:98], v[99:100]
	v_add_f64 v[55:56], v[55:56], -v[99:100]
	ds_read2_b64 v[99:102], v125 offset0:40 offset1:41
	s_waitcnt lgkmcnt(0)
	v_mul_f64 v[85:86], v[101:102], v[115:116]
	v_fma_f64 v[85:86], v[99:100], v[97:98], -v[85:86]
	v_mul_f64 v[99:100], v[99:100], v[115:116]
	v_add_f64 v[49:50], v[49:50], -v[85:86]
	v_fma_f64 v[99:100], v[101:102], v[97:98], v[99:100]
	v_add_f64 v[51:52], v[51:52], -v[99:100]
	ds_read2_b64 v[99:102], v125 offset0:42 offset1:43
	s_waitcnt lgkmcnt(0)
	v_mul_f64 v[85:86], v[101:102], v[115:116]
	v_fma_f64 v[85:86], v[99:100], v[97:98], -v[85:86]
	v_mul_f64 v[99:100], v[99:100], v[115:116]
	v_add_f64 v[45:46], v[45:46], -v[85:86]
	v_fma_f64 v[99:100], v[101:102], v[97:98], v[99:100]
	v_add_f64 v[47:48], v[47:48], -v[99:100]
	ds_read2_b64 v[99:102], v125 offset0:44 offset1:45
	s_waitcnt lgkmcnt(0)
	v_mul_f64 v[85:86], v[101:102], v[115:116]
	v_fma_f64 v[85:86], v[99:100], v[97:98], -v[85:86]
	v_mul_f64 v[99:100], v[99:100], v[115:116]
	v_add_f64 v[41:42], v[41:42], -v[85:86]
	v_fma_f64 v[99:100], v[101:102], v[97:98], v[99:100]
	v_add_f64 v[43:44], v[43:44], -v[99:100]
	ds_read2_b64 v[99:102], v125 offset0:46 offset1:47
	s_waitcnt lgkmcnt(0)
	v_mul_f64 v[85:86], v[101:102], v[115:116]
	v_fma_f64 v[85:86], v[99:100], v[97:98], -v[85:86]
	v_mul_f64 v[99:100], v[99:100], v[115:116]
	v_add_f64 v[37:38], v[37:38], -v[85:86]
	v_fma_f64 v[99:100], v[101:102], v[97:98], v[99:100]
	v_add_f64 v[39:40], v[39:40], -v[99:100]
	ds_read2_b64 v[99:102], v125 offset0:48 offset1:49
	s_waitcnt lgkmcnt(0)
	v_mul_f64 v[85:86], v[101:102], v[115:116]
	v_fma_f64 v[85:86], v[99:100], v[97:98], -v[85:86]
	v_mul_f64 v[99:100], v[99:100], v[115:116]
	v_add_f64 v[33:34], v[33:34], -v[85:86]
	v_fma_f64 v[99:100], v[101:102], v[97:98], v[99:100]
	v_add_f64 v[35:36], v[35:36], -v[99:100]
	ds_read2_b64 v[99:102], v125 offset0:50 offset1:51
	s_waitcnt lgkmcnt(0)
	v_mul_f64 v[85:86], v[101:102], v[115:116]
	v_fma_f64 v[85:86], v[99:100], v[97:98], -v[85:86]
	v_mul_f64 v[99:100], v[99:100], v[115:116]
	v_add_f64 v[29:30], v[29:30], -v[85:86]
	v_fma_f64 v[99:100], v[101:102], v[97:98], v[99:100]
	v_add_f64 v[31:32], v[31:32], -v[99:100]
	ds_read2_b64 v[99:102], v125 offset0:52 offset1:53
	s_waitcnt lgkmcnt(0)
	v_mul_f64 v[85:86], v[101:102], v[115:116]
	v_fma_f64 v[85:86], v[99:100], v[97:98], -v[85:86]
	v_mul_f64 v[99:100], v[99:100], v[115:116]
	v_add_f64 v[25:26], v[25:26], -v[85:86]
	v_fma_f64 v[99:100], v[101:102], v[97:98], v[99:100]
	v_add_f64 v[27:28], v[27:28], -v[99:100]
	ds_read2_b64 v[99:102], v125 offset0:54 offset1:55
	s_waitcnt lgkmcnt(0)
	v_mul_f64 v[85:86], v[101:102], v[115:116]
	v_fma_f64 v[85:86], v[99:100], v[97:98], -v[85:86]
	v_mul_f64 v[99:100], v[99:100], v[115:116]
	v_add_f64 v[21:22], v[21:22], -v[85:86]
	v_fma_f64 v[99:100], v[101:102], v[97:98], v[99:100]
	v_add_f64 v[23:24], v[23:24], -v[99:100]
	ds_read2_b64 v[99:102], v125 offset0:56 offset1:57
	s_waitcnt lgkmcnt(0)
	v_mul_f64 v[85:86], v[101:102], v[115:116]
	v_fma_f64 v[85:86], v[99:100], v[97:98], -v[85:86]
	v_mul_f64 v[99:100], v[99:100], v[115:116]
	v_add_f64 v[17:18], v[17:18], -v[85:86]
	v_fma_f64 v[99:100], v[101:102], v[97:98], v[99:100]
	v_add_f64 v[19:20], v[19:20], -v[99:100]
	ds_read2_b64 v[99:102], v125 offset0:58 offset1:59
	s_waitcnt lgkmcnt(0)
	v_mul_f64 v[85:86], v[101:102], v[115:116]
	v_fma_f64 v[85:86], v[99:100], v[97:98], -v[85:86]
	v_mul_f64 v[99:100], v[99:100], v[115:116]
	v_add_f64 v[13:14], v[13:14], -v[85:86]
	v_fma_f64 v[99:100], v[101:102], v[97:98], v[99:100]
	v_add_f64 v[15:16], v[15:16], -v[99:100]
	ds_read2_b64 v[99:102], v125 offset0:60 offset1:61
	s_waitcnt lgkmcnt(0)
	v_mul_f64 v[85:86], v[101:102], v[115:116]
	v_fma_f64 v[85:86], v[99:100], v[97:98], -v[85:86]
	v_mul_f64 v[99:100], v[99:100], v[115:116]
	v_add_f64 v[9:10], v[9:10], -v[85:86]
	v_fma_f64 v[99:100], v[101:102], v[97:98], v[99:100]
	v_add_f64 v[11:12], v[11:12], -v[99:100]
	ds_read2_b64 v[99:102], v125 offset0:62 offset1:63
	s_waitcnt lgkmcnt(0)
	v_mul_f64 v[85:86], v[101:102], v[115:116]
	v_fma_f64 v[85:86], v[99:100], v[97:98], -v[85:86]
	v_mul_f64 v[99:100], v[99:100], v[115:116]
	v_add_f64 v[5:6], v[5:6], -v[85:86]
	v_fma_f64 v[99:100], v[101:102], v[97:98], v[99:100]
	v_add_f64 v[7:8], v[7:8], -v[99:100]
	ds_read2_b64 v[99:102], v125 offset0:64 offset1:65
	s_waitcnt lgkmcnt(0)
	v_mul_f64 v[85:86], v[101:102], v[115:116]
	v_fma_f64 v[85:86], v[99:100], v[97:98], -v[85:86]
	v_mul_f64 v[99:100], v[99:100], v[115:116]
	v_add_f64 v[1:2], v[1:2], -v[85:86]
	v_fma_f64 v[99:100], v[101:102], v[97:98], v[99:100]
	v_add_f64 v[3:4], v[3:4], -v[99:100]
	ds_read2_b64 v[99:102], v125 offset0:66 offset1:67
	s_waitcnt lgkmcnt(0)
	v_mul_f64 v[85:86], v[101:102], v[115:116]
	v_fma_f64 v[85:86], v[99:100], v[97:98], -v[85:86]
	v_mul_f64 v[99:100], v[99:100], v[115:116]
	v_add_f64 v[121:122], v[121:122], -v[85:86]
	v_fma_f64 v[99:100], v[101:102], v[97:98], v[99:100]
	v_add_f64 v[123:124], v[123:124], -v[99:100]
.LBB67_109:
	s_or_b64 exec, exec, s[2:3]
	v_cmp_eq_u32_e32 vcc, 12, v126
	s_waitcnt vmcnt(0)
	s_barrier
	s_and_saveexec_b64 s[4:5], vcc
	s_cbranch_execz .LBB67_116
; %bb.110:
	ds_write2_b64 v127, v[93:94], v[95:96] offset1:1
	ds_write2_b64 v125, v[77:78], v[79:80] offset0:26 offset1:27
	ds_write2_b64 v125, v[73:74], v[75:76] offset0:28 offset1:29
	;; [unrolled: 1-line block ×21, first 2 shown]
	ds_read2_b64 v[97:100], v127 offset1:1
	s_waitcnt lgkmcnt(0)
	v_cmp_neq_f64_e32 vcc, 0, v[97:98]
	v_cmp_neq_f64_e64 s[2:3], 0, v[99:100]
	s_or_b64 s[2:3], vcc, s[2:3]
	s_and_b64 exec, exec, s[2:3]
	s_cbranch_execz .LBB67_116
; %bb.111:
	v_cmp_ngt_f64_e64 s[2:3], |v[97:98]|, |v[99:100]|
                                        ; implicit-def: $vgpr101_vgpr102
	s_and_saveexec_b64 s[6:7], s[2:3]
	s_xor_b64 s[2:3], exec, s[6:7]
                                        ; implicit-def: $vgpr103_vgpr104
	s_cbranch_execz .LBB67_113
; %bb.112:
	v_div_scale_f64 v[101:102], s[6:7], v[99:100], v[99:100], v[97:98]
	v_rcp_f64_e32 v[103:104], v[101:102]
	v_fma_f64 v[105:106], -v[101:102], v[103:104], 1.0
	v_fma_f64 v[103:104], v[103:104], v[105:106], v[103:104]
	v_div_scale_f64 v[105:106], vcc, v[97:98], v[99:100], v[97:98]
	v_fma_f64 v[107:108], -v[101:102], v[103:104], 1.0
	v_fma_f64 v[103:104], v[103:104], v[107:108], v[103:104]
	v_mul_f64 v[107:108], v[105:106], v[103:104]
	v_fma_f64 v[101:102], -v[101:102], v[107:108], v[105:106]
	v_div_fmas_f64 v[101:102], v[101:102], v[103:104], v[107:108]
	v_div_fixup_f64 v[101:102], v[101:102], v[99:100], v[97:98]
	v_fma_f64 v[97:98], v[97:98], v[101:102], v[99:100]
	v_div_scale_f64 v[99:100], s[6:7], v[97:98], v[97:98], 1.0
	v_div_scale_f64 v[107:108], vcc, 1.0, v[97:98], 1.0
	v_rcp_f64_e32 v[103:104], v[99:100]
	v_fma_f64 v[105:106], -v[99:100], v[103:104], 1.0
	v_fma_f64 v[103:104], v[103:104], v[105:106], v[103:104]
	v_fma_f64 v[105:106], -v[99:100], v[103:104], 1.0
	v_fma_f64 v[103:104], v[103:104], v[105:106], v[103:104]
	v_mul_f64 v[105:106], v[107:108], v[103:104]
	v_fma_f64 v[99:100], -v[99:100], v[105:106], v[107:108]
	v_div_fmas_f64 v[99:100], v[99:100], v[103:104], v[105:106]
	v_div_fixup_f64 v[103:104], v[99:100], v[97:98], 1.0
                                        ; implicit-def: $vgpr97_vgpr98
	v_mul_f64 v[101:102], v[101:102], v[103:104]
	v_xor_b32_e32 v104, 0x80000000, v104
.LBB67_113:
	s_andn2_saveexec_b64 s[2:3], s[2:3]
	s_cbranch_execz .LBB67_115
; %bb.114:
	v_div_scale_f64 v[101:102], s[6:7], v[97:98], v[97:98], v[99:100]
	v_rcp_f64_e32 v[103:104], v[101:102]
	v_fma_f64 v[105:106], -v[101:102], v[103:104], 1.0
	v_fma_f64 v[103:104], v[103:104], v[105:106], v[103:104]
	v_div_scale_f64 v[105:106], vcc, v[99:100], v[97:98], v[99:100]
	v_fma_f64 v[107:108], -v[101:102], v[103:104], 1.0
	v_fma_f64 v[103:104], v[103:104], v[107:108], v[103:104]
	v_mul_f64 v[107:108], v[105:106], v[103:104]
	v_fma_f64 v[101:102], -v[101:102], v[107:108], v[105:106]
	v_div_fmas_f64 v[101:102], v[101:102], v[103:104], v[107:108]
	v_div_fixup_f64 v[103:104], v[101:102], v[97:98], v[99:100]
	v_fma_f64 v[97:98], v[99:100], v[103:104], v[97:98]
	v_div_scale_f64 v[99:100], s[6:7], v[97:98], v[97:98], 1.0
	v_div_scale_f64 v[107:108], vcc, 1.0, v[97:98], 1.0
	v_rcp_f64_e32 v[101:102], v[99:100]
	v_fma_f64 v[105:106], -v[99:100], v[101:102], 1.0
	v_fma_f64 v[101:102], v[101:102], v[105:106], v[101:102]
	v_fma_f64 v[105:106], -v[99:100], v[101:102], 1.0
	v_fma_f64 v[101:102], v[101:102], v[105:106], v[101:102]
	v_mul_f64 v[105:106], v[107:108], v[101:102]
	v_fma_f64 v[99:100], -v[99:100], v[105:106], v[107:108]
	v_div_fmas_f64 v[99:100], v[99:100], v[101:102], v[105:106]
	v_div_fixup_f64 v[101:102], v[99:100], v[97:98], 1.0
	v_mul_f64 v[103:104], v[103:104], -v[101:102]
.LBB67_115:
	s_or_b64 exec, exec, s[2:3]
	ds_write2_b64 v127, v[101:102], v[103:104] offset1:1
.LBB67_116:
	s_or_b64 exec, exec, s[4:5]
	s_waitcnt lgkmcnt(0)
	s_barrier
	ds_read2_b64 v[97:100], v127 offset1:1
	v_cmp_lt_u32_e32 vcc, 12, v126
	s_waitcnt lgkmcnt(0)
	buffer_store_dword v97, off, s[20:23], 0 offset:624 ; 4-byte Folded Spill
	s_nop 0
	buffer_store_dword v98, off, s[20:23], 0 offset:628 ; 4-byte Folded Spill
	buffer_store_dword v99, off, s[20:23], 0 offset:632 ; 4-byte Folded Spill
	;; [unrolled: 1-line block ×3, first 2 shown]
	s_and_saveexec_b64 s[2:3], vcc
	s_cbranch_execz .LBB67_118
; %bb.117:
	buffer_load_dword v99, off, s[20:23], 0 offset:624 ; 4-byte Folded Reload
	buffer_load_dword v100, off, s[20:23], 0 offset:628 ; 4-byte Folded Reload
	;; [unrolled: 1-line block ×4, first 2 shown]
	s_waitcnt vmcnt(2)
	v_mul_f64 v[83:84], v[99:100], v[95:96]
	s_waitcnt vmcnt(0)
	v_mul_f64 v[97:98], v[101:102], v[95:96]
	v_fma_f64 v[95:96], v[101:102], v[93:94], v[83:84]
	v_fma_f64 v[97:98], v[99:100], v[93:94], -v[97:98]
	ds_read2_b64 v[99:102], v125 offset0:26 offset1:27
	s_waitcnt lgkmcnt(0)
	v_mul_f64 v[81:82], v[101:102], v[95:96]
	v_mov_b32_e32 v93, v97
	v_mov_b32_e32 v94, v98
	v_fma_f64 v[81:82], v[99:100], v[97:98], -v[81:82]
	v_mul_f64 v[99:100], v[99:100], v[95:96]
	v_add_f64 v[77:78], v[77:78], -v[81:82]
	v_fma_f64 v[99:100], v[101:102], v[97:98], v[99:100]
	v_add_f64 v[79:80], v[79:80], -v[99:100]
	ds_read2_b64 v[99:102], v125 offset0:28 offset1:29
	s_waitcnt lgkmcnt(0)
	v_mul_f64 v[81:82], v[101:102], v[95:96]
	v_fma_f64 v[81:82], v[99:100], v[97:98], -v[81:82]
	v_mul_f64 v[99:100], v[99:100], v[95:96]
	v_add_f64 v[73:74], v[73:74], -v[81:82]
	v_fma_f64 v[99:100], v[101:102], v[97:98], v[99:100]
	v_add_f64 v[75:76], v[75:76], -v[99:100]
	ds_read2_b64 v[99:102], v125 offset0:30 offset1:31
	s_waitcnt lgkmcnt(0)
	v_mul_f64 v[81:82], v[101:102], v[95:96]
	;; [unrolled: 8-line block ×20, first 2 shown]
	v_fma_f64 v[81:82], v[99:100], v[97:98], -v[81:82]
	v_mul_f64 v[99:100], v[99:100], v[95:96]
	v_add_f64 v[121:122], v[121:122], -v[81:82]
	v_fma_f64 v[99:100], v[101:102], v[97:98], v[99:100]
	v_add_f64 v[123:124], v[123:124], -v[99:100]
.LBB67_118:
	s_or_b64 exec, exec, s[2:3]
	v_cmp_eq_u32_e32 vcc, 13, v126
	s_waitcnt vmcnt(0)
	s_barrier
	s_and_saveexec_b64 s[4:5], vcc
	s_cbranch_execz .LBB67_125
; %bb.119:
	ds_write2_b64 v127, v[77:78], v[79:80] offset1:1
	ds_write2_b64 v125, v[73:74], v[75:76] offset0:28 offset1:29
	ds_write2_b64 v125, v[69:70], v[71:72] offset0:30 offset1:31
	;; [unrolled: 1-line block ×20, first 2 shown]
	ds_read2_b64 v[97:100], v127 offset1:1
	s_waitcnt lgkmcnt(0)
	v_cmp_neq_f64_e32 vcc, 0, v[97:98]
	v_cmp_neq_f64_e64 s[2:3], 0, v[99:100]
	s_or_b64 s[2:3], vcc, s[2:3]
	s_and_b64 exec, exec, s[2:3]
	s_cbranch_execz .LBB67_125
; %bb.120:
	v_cmp_ngt_f64_e64 s[2:3], |v[97:98]|, |v[99:100]|
                                        ; implicit-def: $vgpr101_vgpr102
	s_and_saveexec_b64 s[6:7], s[2:3]
	s_xor_b64 s[2:3], exec, s[6:7]
                                        ; implicit-def: $vgpr103_vgpr104
	s_cbranch_execz .LBB67_122
; %bb.121:
	v_div_scale_f64 v[101:102], s[6:7], v[99:100], v[99:100], v[97:98]
	v_rcp_f64_e32 v[103:104], v[101:102]
	v_fma_f64 v[105:106], -v[101:102], v[103:104], 1.0
	v_fma_f64 v[103:104], v[103:104], v[105:106], v[103:104]
	v_div_scale_f64 v[105:106], vcc, v[97:98], v[99:100], v[97:98]
	v_fma_f64 v[107:108], -v[101:102], v[103:104], 1.0
	v_fma_f64 v[103:104], v[103:104], v[107:108], v[103:104]
	v_mul_f64 v[107:108], v[105:106], v[103:104]
	v_fma_f64 v[101:102], -v[101:102], v[107:108], v[105:106]
	v_div_fmas_f64 v[101:102], v[101:102], v[103:104], v[107:108]
	v_div_fixup_f64 v[101:102], v[101:102], v[99:100], v[97:98]
	v_fma_f64 v[97:98], v[97:98], v[101:102], v[99:100]
	v_div_scale_f64 v[99:100], s[6:7], v[97:98], v[97:98], 1.0
	v_div_scale_f64 v[107:108], vcc, 1.0, v[97:98], 1.0
	v_rcp_f64_e32 v[103:104], v[99:100]
	v_fma_f64 v[105:106], -v[99:100], v[103:104], 1.0
	v_fma_f64 v[103:104], v[103:104], v[105:106], v[103:104]
	v_fma_f64 v[105:106], -v[99:100], v[103:104], 1.0
	v_fma_f64 v[103:104], v[103:104], v[105:106], v[103:104]
	v_mul_f64 v[105:106], v[107:108], v[103:104]
	v_fma_f64 v[99:100], -v[99:100], v[105:106], v[107:108]
	v_div_fmas_f64 v[99:100], v[99:100], v[103:104], v[105:106]
	v_div_fixup_f64 v[103:104], v[99:100], v[97:98], 1.0
                                        ; implicit-def: $vgpr97_vgpr98
	v_mul_f64 v[101:102], v[101:102], v[103:104]
	v_xor_b32_e32 v104, 0x80000000, v104
.LBB67_122:
	s_andn2_saveexec_b64 s[2:3], s[2:3]
	s_cbranch_execz .LBB67_124
; %bb.123:
	v_div_scale_f64 v[101:102], s[6:7], v[97:98], v[97:98], v[99:100]
	v_rcp_f64_e32 v[103:104], v[101:102]
	v_fma_f64 v[105:106], -v[101:102], v[103:104], 1.0
	v_fma_f64 v[103:104], v[103:104], v[105:106], v[103:104]
	v_div_scale_f64 v[105:106], vcc, v[99:100], v[97:98], v[99:100]
	v_fma_f64 v[107:108], -v[101:102], v[103:104], 1.0
	v_fma_f64 v[103:104], v[103:104], v[107:108], v[103:104]
	v_mul_f64 v[107:108], v[105:106], v[103:104]
	v_fma_f64 v[101:102], -v[101:102], v[107:108], v[105:106]
	v_div_fmas_f64 v[101:102], v[101:102], v[103:104], v[107:108]
	v_div_fixup_f64 v[103:104], v[101:102], v[97:98], v[99:100]
	v_fma_f64 v[97:98], v[99:100], v[103:104], v[97:98]
	v_div_scale_f64 v[99:100], s[6:7], v[97:98], v[97:98], 1.0
	v_div_scale_f64 v[107:108], vcc, 1.0, v[97:98], 1.0
	v_rcp_f64_e32 v[101:102], v[99:100]
	v_fma_f64 v[105:106], -v[99:100], v[101:102], 1.0
	v_fma_f64 v[101:102], v[101:102], v[105:106], v[101:102]
	v_fma_f64 v[105:106], -v[99:100], v[101:102], 1.0
	v_fma_f64 v[101:102], v[101:102], v[105:106], v[101:102]
	v_mul_f64 v[105:106], v[107:108], v[101:102]
	v_fma_f64 v[99:100], -v[99:100], v[105:106], v[107:108]
	v_div_fmas_f64 v[99:100], v[99:100], v[101:102], v[105:106]
	v_div_fixup_f64 v[101:102], v[99:100], v[97:98], 1.0
	v_mul_f64 v[103:104], v[103:104], -v[101:102]
.LBB67_124:
	s_or_b64 exec, exec, s[2:3]
	ds_write2_b64 v127, v[101:102], v[103:104] offset1:1
.LBB67_125:
	s_or_b64 exec, exec, s[4:5]
	s_waitcnt lgkmcnt(0)
	s_barrier
	ds_read2_b64 v[97:100], v127 offset1:1
	v_cmp_lt_u32_e32 vcc, 13, v126
	s_waitcnt lgkmcnt(0)
	buffer_store_dword v97, off, s[20:23], 0 offset:640 ; 4-byte Folded Spill
	s_nop 0
	buffer_store_dword v98, off, s[20:23], 0 offset:644 ; 4-byte Folded Spill
	buffer_store_dword v99, off, s[20:23], 0 offset:648 ; 4-byte Folded Spill
	;; [unrolled: 1-line block ×3, first 2 shown]
	s_and_saveexec_b64 s[2:3], vcc
	s_cbranch_execz .LBB67_127
; %bb.126:
	buffer_load_dword v99, off, s[20:23], 0 offset:640 ; 4-byte Folded Reload
	buffer_load_dword v100, off, s[20:23], 0 offset:644 ; 4-byte Folded Reload
	;; [unrolled: 1-line block ×4, first 2 shown]
	s_waitcnt vmcnt(0)
	v_mul_f64 v[97:98], v[101:102], v[79:80]
	v_mul_f64 v[79:80], v[99:100], v[79:80]
	v_fma_f64 v[97:98], v[99:100], v[77:78], -v[97:98]
	v_fma_f64 v[79:80], v[101:102], v[77:78], v[79:80]
	ds_read2_b64 v[99:102], v125 offset0:28 offset1:29
	s_waitcnt lgkmcnt(0)
	v_mul_f64 v[77:78], v[101:102], v[79:80]
	v_fma_f64 v[77:78], v[99:100], v[97:98], -v[77:78]
	v_mul_f64 v[99:100], v[99:100], v[79:80]
	v_add_f64 v[73:74], v[73:74], -v[77:78]
	v_fma_f64 v[99:100], v[101:102], v[97:98], v[99:100]
	v_add_f64 v[75:76], v[75:76], -v[99:100]
	ds_read2_b64 v[99:102], v125 offset0:30 offset1:31
	s_waitcnt lgkmcnt(0)
	v_mul_f64 v[77:78], v[101:102], v[79:80]
	v_fma_f64 v[77:78], v[99:100], v[97:98], -v[77:78]
	v_mul_f64 v[99:100], v[99:100], v[79:80]
	v_add_f64 v[69:70], v[69:70], -v[77:78]
	v_fma_f64 v[99:100], v[101:102], v[97:98], v[99:100]
	v_add_f64 v[71:72], v[71:72], -v[99:100]
	;; [unrolled: 8-line block ×19, first 2 shown]
	ds_read2_b64 v[99:102], v125 offset0:66 offset1:67
	s_waitcnt lgkmcnt(0)
	v_mul_f64 v[77:78], v[101:102], v[79:80]
	v_fma_f64 v[77:78], v[99:100], v[97:98], -v[77:78]
	v_mul_f64 v[99:100], v[99:100], v[79:80]
	v_add_f64 v[121:122], v[121:122], -v[77:78]
	v_fma_f64 v[99:100], v[101:102], v[97:98], v[99:100]
	v_mov_b32_e32 v77, v97
	v_mov_b32_e32 v78, v98
	v_add_f64 v[123:124], v[123:124], -v[99:100]
.LBB67_127:
	s_or_b64 exec, exec, s[2:3]
	v_cmp_eq_u32_e32 vcc, 14, v126
	s_waitcnt vmcnt(0)
	s_barrier
	s_and_saveexec_b64 s[4:5], vcc
	s_cbranch_execz .LBB67_134
; %bb.128:
	ds_write2_b64 v127, v[73:74], v[75:76] offset1:1
	ds_write2_b64 v125, v[69:70], v[71:72] offset0:30 offset1:31
	ds_write2_b64 v125, v[65:66], v[67:68] offset0:32 offset1:33
	;; [unrolled: 1-line block ×19, first 2 shown]
	ds_read2_b64 v[97:100], v127 offset1:1
	s_waitcnt lgkmcnt(0)
	v_cmp_neq_f64_e32 vcc, 0, v[97:98]
	v_cmp_neq_f64_e64 s[2:3], 0, v[99:100]
	s_or_b64 s[2:3], vcc, s[2:3]
	s_and_b64 exec, exec, s[2:3]
	s_cbranch_execz .LBB67_134
; %bb.129:
	v_cmp_ngt_f64_e64 s[2:3], |v[97:98]|, |v[99:100]|
                                        ; implicit-def: $vgpr101_vgpr102
	s_and_saveexec_b64 s[6:7], s[2:3]
	s_xor_b64 s[2:3], exec, s[6:7]
                                        ; implicit-def: $vgpr103_vgpr104
	s_cbranch_execz .LBB67_131
; %bb.130:
	v_div_scale_f64 v[101:102], s[6:7], v[99:100], v[99:100], v[97:98]
	v_rcp_f64_e32 v[103:104], v[101:102]
	v_fma_f64 v[105:106], -v[101:102], v[103:104], 1.0
	v_fma_f64 v[103:104], v[103:104], v[105:106], v[103:104]
	v_div_scale_f64 v[105:106], vcc, v[97:98], v[99:100], v[97:98]
	v_fma_f64 v[107:108], -v[101:102], v[103:104], 1.0
	v_fma_f64 v[103:104], v[103:104], v[107:108], v[103:104]
	v_mul_f64 v[107:108], v[105:106], v[103:104]
	v_fma_f64 v[101:102], -v[101:102], v[107:108], v[105:106]
	v_div_fmas_f64 v[101:102], v[101:102], v[103:104], v[107:108]
	v_div_fixup_f64 v[101:102], v[101:102], v[99:100], v[97:98]
	v_fma_f64 v[97:98], v[97:98], v[101:102], v[99:100]
	v_div_scale_f64 v[99:100], s[6:7], v[97:98], v[97:98], 1.0
	v_div_scale_f64 v[107:108], vcc, 1.0, v[97:98], 1.0
	v_rcp_f64_e32 v[103:104], v[99:100]
	v_fma_f64 v[105:106], -v[99:100], v[103:104], 1.0
	v_fma_f64 v[103:104], v[103:104], v[105:106], v[103:104]
	v_fma_f64 v[105:106], -v[99:100], v[103:104], 1.0
	v_fma_f64 v[103:104], v[103:104], v[105:106], v[103:104]
	v_mul_f64 v[105:106], v[107:108], v[103:104]
	v_fma_f64 v[99:100], -v[99:100], v[105:106], v[107:108]
	v_div_fmas_f64 v[99:100], v[99:100], v[103:104], v[105:106]
	v_div_fixup_f64 v[103:104], v[99:100], v[97:98], 1.0
                                        ; implicit-def: $vgpr97_vgpr98
	v_mul_f64 v[101:102], v[101:102], v[103:104]
	v_xor_b32_e32 v104, 0x80000000, v104
.LBB67_131:
	s_andn2_saveexec_b64 s[2:3], s[2:3]
	s_cbranch_execz .LBB67_133
; %bb.132:
	v_div_scale_f64 v[101:102], s[6:7], v[97:98], v[97:98], v[99:100]
	v_rcp_f64_e32 v[103:104], v[101:102]
	v_fma_f64 v[105:106], -v[101:102], v[103:104], 1.0
	v_fma_f64 v[103:104], v[103:104], v[105:106], v[103:104]
	v_div_scale_f64 v[105:106], vcc, v[99:100], v[97:98], v[99:100]
	v_fma_f64 v[107:108], -v[101:102], v[103:104], 1.0
	v_fma_f64 v[103:104], v[103:104], v[107:108], v[103:104]
	v_mul_f64 v[107:108], v[105:106], v[103:104]
	v_fma_f64 v[101:102], -v[101:102], v[107:108], v[105:106]
	v_div_fmas_f64 v[101:102], v[101:102], v[103:104], v[107:108]
	v_div_fixup_f64 v[103:104], v[101:102], v[97:98], v[99:100]
	v_fma_f64 v[97:98], v[99:100], v[103:104], v[97:98]
	v_div_scale_f64 v[99:100], s[6:7], v[97:98], v[97:98], 1.0
	v_div_scale_f64 v[107:108], vcc, 1.0, v[97:98], 1.0
	v_rcp_f64_e32 v[101:102], v[99:100]
	v_fma_f64 v[105:106], -v[99:100], v[101:102], 1.0
	v_fma_f64 v[101:102], v[101:102], v[105:106], v[101:102]
	v_fma_f64 v[105:106], -v[99:100], v[101:102], 1.0
	v_fma_f64 v[101:102], v[101:102], v[105:106], v[101:102]
	v_mul_f64 v[105:106], v[107:108], v[101:102]
	v_fma_f64 v[99:100], -v[99:100], v[105:106], v[107:108]
	v_div_fmas_f64 v[99:100], v[99:100], v[101:102], v[105:106]
	v_div_fixup_f64 v[101:102], v[99:100], v[97:98], 1.0
	v_mul_f64 v[103:104], v[103:104], -v[101:102]
.LBB67_133:
	s_or_b64 exec, exec, s[2:3]
	ds_write2_b64 v127, v[101:102], v[103:104] offset1:1
.LBB67_134:
	s_or_b64 exec, exec, s[4:5]
	s_waitcnt lgkmcnt(0)
	s_barrier
	ds_read2_b64 v[97:100], v127 offset1:1
	v_cmp_lt_u32_e32 vcc, 14, v126
	s_waitcnt lgkmcnt(0)
	buffer_store_dword v97, off, s[20:23], 0 offset:656 ; 4-byte Folded Spill
	s_nop 0
	buffer_store_dword v98, off, s[20:23], 0 offset:660 ; 4-byte Folded Spill
	buffer_store_dword v99, off, s[20:23], 0 offset:664 ; 4-byte Folded Spill
	;; [unrolled: 1-line block ×3, first 2 shown]
	s_and_saveexec_b64 s[2:3], vcc
	s_cbranch_execz .LBB67_136
; %bb.135:
	buffer_load_dword v99, off, s[20:23], 0 offset:656 ; 4-byte Folded Reload
	buffer_load_dword v100, off, s[20:23], 0 offset:660 ; 4-byte Folded Reload
	buffer_load_dword v101, off, s[20:23], 0 offset:664 ; 4-byte Folded Reload
	buffer_load_dword v102, off, s[20:23], 0 offset:668 ; 4-byte Folded Reload
	s_waitcnt vmcnt(0)
	v_mul_f64 v[97:98], v[101:102], v[75:76]
	v_mul_f64 v[75:76], v[99:100], v[75:76]
	v_fma_f64 v[97:98], v[99:100], v[73:74], -v[97:98]
	v_fma_f64 v[75:76], v[101:102], v[73:74], v[75:76]
	ds_read2_b64 v[99:102], v125 offset0:30 offset1:31
	s_waitcnt lgkmcnt(0)
	v_mul_f64 v[73:74], v[101:102], v[75:76]
	v_fma_f64 v[73:74], v[99:100], v[97:98], -v[73:74]
	v_mul_f64 v[99:100], v[99:100], v[75:76]
	v_add_f64 v[69:70], v[69:70], -v[73:74]
	v_fma_f64 v[99:100], v[101:102], v[97:98], v[99:100]
	v_add_f64 v[71:72], v[71:72], -v[99:100]
	ds_read2_b64 v[99:102], v125 offset0:32 offset1:33
	s_waitcnt lgkmcnt(0)
	v_mul_f64 v[73:74], v[101:102], v[75:76]
	v_fma_f64 v[73:74], v[99:100], v[97:98], -v[73:74]
	v_mul_f64 v[99:100], v[99:100], v[75:76]
	v_add_f64 v[65:66], v[65:66], -v[73:74]
	v_fma_f64 v[99:100], v[101:102], v[97:98], v[99:100]
	v_add_f64 v[67:68], v[67:68], -v[99:100]
	;; [unrolled: 8-line block ×18, first 2 shown]
	ds_read2_b64 v[99:102], v125 offset0:66 offset1:67
	s_waitcnt lgkmcnt(0)
	v_mul_f64 v[73:74], v[101:102], v[75:76]
	v_fma_f64 v[73:74], v[99:100], v[97:98], -v[73:74]
	v_mul_f64 v[99:100], v[99:100], v[75:76]
	v_add_f64 v[121:122], v[121:122], -v[73:74]
	v_fma_f64 v[99:100], v[101:102], v[97:98], v[99:100]
	v_mov_b32_e32 v73, v97
	v_mov_b32_e32 v74, v98
	v_add_f64 v[123:124], v[123:124], -v[99:100]
.LBB67_136:
	s_or_b64 exec, exec, s[2:3]
	v_cmp_eq_u32_e32 vcc, 15, v126
	s_waitcnt vmcnt(0)
	s_barrier
	s_and_saveexec_b64 s[4:5], vcc
	s_cbranch_execz .LBB67_143
; %bb.137:
	ds_write2_b64 v127, v[69:70], v[71:72] offset1:1
	ds_write2_b64 v125, v[65:66], v[67:68] offset0:32 offset1:33
	ds_write2_b64 v125, v[61:62], v[63:64] offset0:34 offset1:35
	;; [unrolled: 1-line block ×18, first 2 shown]
	ds_read2_b64 v[97:100], v127 offset1:1
	s_waitcnt lgkmcnt(0)
	v_cmp_neq_f64_e32 vcc, 0, v[97:98]
	v_cmp_neq_f64_e64 s[2:3], 0, v[99:100]
	s_or_b64 s[2:3], vcc, s[2:3]
	s_and_b64 exec, exec, s[2:3]
	s_cbranch_execz .LBB67_143
; %bb.138:
	v_cmp_ngt_f64_e64 s[2:3], |v[97:98]|, |v[99:100]|
                                        ; implicit-def: $vgpr101_vgpr102
	s_and_saveexec_b64 s[6:7], s[2:3]
	s_xor_b64 s[2:3], exec, s[6:7]
                                        ; implicit-def: $vgpr103_vgpr104
	s_cbranch_execz .LBB67_140
; %bb.139:
	v_div_scale_f64 v[101:102], s[6:7], v[99:100], v[99:100], v[97:98]
	v_rcp_f64_e32 v[103:104], v[101:102]
	v_fma_f64 v[105:106], -v[101:102], v[103:104], 1.0
	v_fma_f64 v[103:104], v[103:104], v[105:106], v[103:104]
	v_div_scale_f64 v[105:106], vcc, v[97:98], v[99:100], v[97:98]
	v_fma_f64 v[107:108], -v[101:102], v[103:104], 1.0
	v_fma_f64 v[103:104], v[103:104], v[107:108], v[103:104]
	v_mul_f64 v[107:108], v[105:106], v[103:104]
	v_fma_f64 v[101:102], -v[101:102], v[107:108], v[105:106]
	v_div_fmas_f64 v[101:102], v[101:102], v[103:104], v[107:108]
	v_div_fixup_f64 v[101:102], v[101:102], v[99:100], v[97:98]
	v_fma_f64 v[97:98], v[97:98], v[101:102], v[99:100]
	v_div_scale_f64 v[99:100], s[6:7], v[97:98], v[97:98], 1.0
	v_div_scale_f64 v[107:108], vcc, 1.0, v[97:98], 1.0
	v_rcp_f64_e32 v[103:104], v[99:100]
	v_fma_f64 v[105:106], -v[99:100], v[103:104], 1.0
	v_fma_f64 v[103:104], v[103:104], v[105:106], v[103:104]
	v_fma_f64 v[105:106], -v[99:100], v[103:104], 1.0
	v_fma_f64 v[103:104], v[103:104], v[105:106], v[103:104]
	v_mul_f64 v[105:106], v[107:108], v[103:104]
	v_fma_f64 v[99:100], -v[99:100], v[105:106], v[107:108]
	v_div_fmas_f64 v[99:100], v[99:100], v[103:104], v[105:106]
	v_div_fixup_f64 v[103:104], v[99:100], v[97:98], 1.0
                                        ; implicit-def: $vgpr97_vgpr98
	v_mul_f64 v[101:102], v[101:102], v[103:104]
	v_xor_b32_e32 v104, 0x80000000, v104
.LBB67_140:
	s_andn2_saveexec_b64 s[2:3], s[2:3]
	s_cbranch_execz .LBB67_142
; %bb.141:
	v_div_scale_f64 v[101:102], s[6:7], v[97:98], v[97:98], v[99:100]
	v_rcp_f64_e32 v[103:104], v[101:102]
	v_fma_f64 v[105:106], -v[101:102], v[103:104], 1.0
	v_fma_f64 v[103:104], v[103:104], v[105:106], v[103:104]
	v_div_scale_f64 v[105:106], vcc, v[99:100], v[97:98], v[99:100]
	v_fma_f64 v[107:108], -v[101:102], v[103:104], 1.0
	v_fma_f64 v[103:104], v[103:104], v[107:108], v[103:104]
	v_mul_f64 v[107:108], v[105:106], v[103:104]
	v_fma_f64 v[101:102], -v[101:102], v[107:108], v[105:106]
	v_div_fmas_f64 v[101:102], v[101:102], v[103:104], v[107:108]
	v_div_fixup_f64 v[103:104], v[101:102], v[97:98], v[99:100]
	v_fma_f64 v[97:98], v[99:100], v[103:104], v[97:98]
	v_div_scale_f64 v[99:100], s[6:7], v[97:98], v[97:98], 1.0
	v_div_scale_f64 v[107:108], vcc, 1.0, v[97:98], 1.0
	v_rcp_f64_e32 v[101:102], v[99:100]
	v_fma_f64 v[105:106], -v[99:100], v[101:102], 1.0
	v_fma_f64 v[101:102], v[101:102], v[105:106], v[101:102]
	v_fma_f64 v[105:106], -v[99:100], v[101:102], 1.0
	v_fma_f64 v[101:102], v[101:102], v[105:106], v[101:102]
	v_mul_f64 v[105:106], v[107:108], v[101:102]
	v_fma_f64 v[99:100], -v[99:100], v[105:106], v[107:108]
	v_div_fmas_f64 v[99:100], v[99:100], v[101:102], v[105:106]
	v_div_fixup_f64 v[101:102], v[99:100], v[97:98], 1.0
	v_mul_f64 v[103:104], v[103:104], -v[101:102]
.LBB67_142:
	s_or_b64 exec, exec, s[2:3]
	ds_write2_b64 v127, v[101:102], v[103:104] offset1:1
.LBB67_143:
	s_or_b64 exec, exec, s[4:5]
	s_waitcnt lgkmcnt(0)
	s_barrier
	ds_read2_b64 v[97:100], v127 offset1:1
	v_cmp_lt_u32_e32 vcc, 15, v126
	s_waitcnt lgkmcnt(0)
	buffer_store_dword v97, off, s[20:23], 0 offset:672 ; 4-byte Folded Spill
	s_nop 0
	buffer_store_dword v98, off, s[20:23], 0 offset:676 ; 4-byte Folded Spill
	buffer_store_dword v99, off, s[20:23], 0 offset:680 ; 4-byte Folded Spill
	;; [unrolled: 1-line block ×3, first 2 shown]
	s_and_saveexec_b64 s[2:3], vcc
	s_cbranch_execz .LBB67_145
; %bb.144:
	buffer_load_dword v99, off, s[20:23], 0 offset:672 ; 4-byte Folded Reload
	buffer_load_dword v100, off, s[20:23], 0 offset:676 ; 4-byte Folded Reload
	;; [unrolled: 1-line block ×4, first 2 shown]
	s_waitcnt vmcnt(0)
	v_mul_f64 v[97:98], v[101:102], v[71:72]
	v_mul_f64 v[71:72], v[99:100], v[71:72]
	v_fma_f64 v[97:98], v[99:100], v[69:70], -v[97:98]
	v_fma_f64 v[71:72], v[101:102], v[69:70], v[71:72]
	ds_read2_b64 v[99:102], v125 offset0:32 offset1:33
	s_waitcnt lgkmcnt(0)
	v_mul_f64 v[69:70], v[101:102], v[71:72]
	v_fma_f64 v[69:70], v[99:100], v[97:98], -v[69:70]
	v_mul_f64 v[99:100], v[99:100], v[71:72]
	v_add_f64 v[65:66], v[65:66], -v[69:70]
	v_fma_f64 v[99:100], v[101:102], v[97:98], v[99:100]
	v_add_f64 v[67:68], v[67:68], -v[99:100]
	ds_read2_b64 v[99:102], v125 offset0:34 offset1:35
	s_waitcnt lgkmcnt(0)
	v_mul_f64 v[69:70], v[101:102], v[71:72]
	v_fma_f64 v[69:70], v[99:100], v[97:98], -v[69:70]
	v_mul_f64 v[99:100], v[99:100], v[71:72]
	v_add_f64 v[61:62], v[61:62], -v[69:70]
	v_fma_f64 v[99:100], v[101:102], v[97:98], v[99:100]
	v_add_f64 v[63:64], v[63:64], -v[99:100]
	;; [unrolled: 8-line block ×17, first 2 shown]
	ds_read2_b64 v[99:102], v125 offset0:66 offset1:67
	s_waitcnt lgkmcnt(0)
	v_mul_f64 v[69:70], v[101:102], v[71:72]
	v_fma_f64 v[69:70], v[99:100], v[97:98], -v[69:70]
	v_mul_f64 v[99:100], v[99:100], v[71:72]
	v_add_f64 v[121:122], v[121:122], -v[69:70]
	v_fma_f64 v[99:100], v[101:102], v[97:98], v[99:100]
	v_mov_b32_e32 v69, v97
	v_mov_b32_e32 v70, v98
	v_add_f64 v[123:124], v[123:124], -v[99:100]
.LBB67_145:
	s_or_b64 exec, exec, s[2:3]
	v_cmp_eq_u32_e32 vcc, 16, v126
	s_waitcnt vmcnt(0)
	s_barrier
	s_and_saveexec_b64 s[4:5], vcc
	s_cbranch_execz .LBB67_152
; %bb.146:
	ds_write2_b64 v127, v[65:66], v[67:68] offset1:1
	ds_write2_b64 v125, v[61:62], v[63:64] offset0:34 offset1:35
	ds_write2_b64 v125, v[57:58], v[59:60] offset0:36 offset1:37
	;; [unrolled: 1-line block ×17, first 2 shown]
	ds_read2_b64 v[97:100], v127 offset1:1
	s_waitcnt lgkmcnt(0)
	v_cmp_neq_f64_e32 vcc, 0, v[97:98]
	v_cmp_neq_f64_e64 s[2:3], 0, v[99:100]
	s_or_b64 s[2:3], vcc, s[2:3]
	s_and_b64 exec, exec, s[2:3]
	s_cbranch_execz .LBB67_152
; %bb.147:
	v_cmp_ngt_f64_e64 s[2:3], |v[97:98]|, |v[99:100]|
                                        ; implicit-def: $vgpr101_vgpr102
	s_and_saveexec_b64 s[6:7], s[2:3]
	s_xor_b64 s[2:3], exec, s[6:7]
                                        ; implicit-def: $vgpr103_vgpr104
	s_cbranch_execz .LBB67_149
; %bb.148:
	v_div_scale_f64 v[101:102], s[6:7], v[99:100], v[99:100], v[97:98]
	v_rcp_f64_e32 v[103:104], v[101:102]
	v_fma_f64 v[105:106], -v[101:102], v[103:104], 1.0
	v_fma_f64 v[103:104], v[103:104], v[105:106], v[103:104]
	v_div_scale_f64 v[105:106], vcc, v[97:98], v[99:100], v[97:98]
	v_fma_f64 v[107:108], -v[101:102], v[103:104], 1.0
	v_fma_f64 v[103:104], v[103:104], v[107:108], v[103:104]
	v_mul_f64 v[107:108], v[105:106], v[103:104]
	v_fma_f64 v[101:102], -v[101:102], v[107:108], v[105:106]
	v_div_fmas_f64 v[101:102], v[101:102], v[103:104], v[107:108]
	v_div_fixup_f64 v[101:102], v[101:102], v[99:100], v[97:98]
	v_fma_f64 v[97:98], v[97:98], v[101:102], v[99:100]
	v_div_scale_f64 v[99:100], s[6:7], v[97:98], v[97:98], 1.0
	v_div_scale_f64 v[107:108], vcc, 1.0, v[97:98], 1.0
	v_rcp_f64_e32 v[103:104], v[99:100]
	v_fma_f64 v[105:106], -v[99:100], v[103:104], 1.0
	v_fma_f64 v[103:104], v[103:104], v[105:106], v[103:104]
	v_fma_f64 v[105:106], -v[99:100], v[103:104], 1.0
	v_fma_f64 v[103:104], v[103:104], v[105:106], v[103:104]
	v_mul_f64 v[105:106], v[107:108], v[103:104]
	v_fma_f64 v[99:100], -v[99:100], v[105:106], v[107:108]
	v_div_fmas_f64 v[99:100], v[99:100], v[103:104], v[105:106]
	v_div_fixup_f64 v[103:104], v[99:100], v[97:98], 1.0
                                        ; implicit-def: $vgpr97_vgpr98
	v_mul_f64 v[101:102], v[101:102], v[103:104]
	v_xor_b32_e32 v104, 0x80000000, v104
.LBB67_149:
	s_andn2_saveexec_b64 s[2:3], s[2:3]
	s_cbranch_execz .LBB67_151
; %bb.150:
	v_div_scale_f64 v[101:102], s[6:7], v[97:98], v[97:98], v[99:100]
	v_rcp_f64_e32 v[103:104], v[101:102]
	v_fma_f64 v[105:106], -v[101:102], v[103:104], 1.0
	v_fma_f64 v[103:104], v[103:104], v[105:106], v[103:104]
	v_div_scale_f64 v[105:106], vcc, v[99:100], v[97:98], v[99:100]
	v_fma_f64 v[107:108], -v[101:102], v[103:104], 1.0
	v_fma_f64 v[103:104], v[103:104], v[107:108], v[103:104]
	v_mul_f64 v[107:108], v[105:106], v[103:104]
	v_fma_f64 v[101:102], -v[101:102], v[107:108], v[105:106]
	v_div_fmas_f64 v[101:102], v[101:102], v[103:104], v[107:108]
	v_div_fixup_f64 v[103:104], v[101:102], v[97:98], v[99:100]
	v_fma_f64 v[97:98], v[99:100], v[103:104], v[97:98]
	v_div_scale_f64 v[99:100], s[6:7], v[97:98], v[97:98], 1.0
	v_div_scale_f64 v[107:108], vcc, 1.0, v[97:98], 1.0
	v_rcp_f64_e32 v[101:102], v[99:100]
	v_fma_f64 v[105:106], -v[99:100], v[101:102], 1.0
	v_fma_f64 v[101:102], v[101:102], v[105:106], v[101:102]
	v_fma_f64 v[105:106], -v[99:100], v[101:102], 1.0
	v_fma_f64 v[101:102], v[101:102], v[105:106], v[101:102]
	v_mul_f64 v[105:106], v[107:108], v[101:102]
	v_fma_f64 v[99:100], -v[99:100], v[105:106], v[107:108]
	v_div_fmas_f64 v[99:100], v[99:100], v[101:102], v[105:106]
	v_div_fixup_f64 v[101:102], v[99:100], v[97:98], 1.0
	v_mul_f64 v[103:104], v[103:104], -v[101:102]
.LBB67_151:
	s_or_b64 exec, exec, s[2:3]
	ds_write2_b64 v127, v[101:102], v[103:104] offset1:1
.LBB67_152:
	s_or_b64 exec, exec, s[4:5]
	s_waitcnt lgkmcnt(0)
	s_barrier
	ds_read2_b64 v[97:100], v127 offset1:1
	v_cmp_lt_u32_e32 vcc, 16, v126
	s_waitcnt lgkmcnt(0)
	buffer_store_dword v97, off, s[20:23], 0 offset:688 ; 4-byte Folded Spill
	s_nop 0
	buffer_store_dword v98, off, s[20:23], 0 offset:692 ; 4-byte Folded Spill
	buffer_store_dword v99, off, s[20:23], 0 offset:696 ; 4-byte Folded Spill
	;; [unrolled: 1-line block ×3, first 2 shown]
	s_and_saveexec_b64 s[2:3], vcc
	s_cbranch_execz .LBB67_154
; %bb.153:
	buffer_load_dword v99, off, s[20:23], 0 offset:688 ; 4-byte Folded Reload
	buffer_load_dword v100, off, s[20:23], 0 offset:692 ; 4-byte Folded Reload
	;; [unrolled: 1-line block ×4, first 2 shown]
	s_waitcnt vmcnt(0)
	v_mul_f64 v[97:98], v[101:102], v[67:68]
	v_mul_f64 v[67:68], v[99:100], v[67:68]
	v_fma_f64 v[97:98], v[99:100], v[65:66], -v[97:98]
	v_fma_f64 v[67:68], v[101:102], v[65:66], v[67:68]
	ds_read2_b64 v[99:102], v125 offset0:34 offset1:35
	s_waitcnt lgkmcnt(0)
	v_mul_f64 v[65:66], v[101:102], v[67:68]
	v_fma_f64 v[65:66], v[99:100], v[97:98], -v[65:66]
	v_mul_f64 v[99:100], v[99:100], v[67:68]
	v_add_f64 v[61:62], v[61:62], -v[65:66]
	v_fma_f64 v[99:100], v[101:102], v[97:98], v[99:100]
	v_add_f64 v[63:64], v[63:64], -v[99:100]
	ds_read2_b64 v[99:102], v125 offset0:36 offset1:37
	s_waitcnt lgkmcnt(0)
	v_mul_f64 v[65:66], v[101:102], v[67:68]
	v_fma_f64 v[65:66], v[99:100], v[97:98], -v[65:66]
	v_mul_f64 v[99:100], v[99:100], v[67:68]
	v_add_f64 v[57:58], v[57:58], -v[65:66]
	v_fma_f64 v[99:100], v[101:102], v[97:98], v[99:100]
	v_add_f64 v[59:60], v[59:60], -v[99:100]
	;; [unrolled: 8-line block ×16, first 2 shown]
	ds_read2_b64 v[99:102], v125 offset0:66 offset1:67
	s_waitcnt lgkmcnt(0)
	v_mul_f64 v[65:66], v[101:102], v[67:68]
	v_fma_f64 v[65:66], v[99:100], v[97:98], -v[65:66]
	v_mul_f64 v[99:100], v[99:100], v[67:68]
	v_add_f64 v[121:122], v[121:122], -v[65:66]
	v_fma_f64 v[99:100], v[101:102], v[97:98], v[99:100]
	v_mov_b32_e32 v65, v97
	v_mov_b32_e32 v66, v98
	v_add_f64 v[123:124], v[123:124], -v[99:100]
.LBB67_154:
	s_or_b64 exec, exec, s[2:3]
	v_cmp_eq_u32_e32 vcc, 17, v126
	s_waitcnt vmcnt(0)
	s_barrier
	s_and_saveexec_b64 s[4:5], vcc
	s_cbranch_execz .LBB67_161
; %bb.155:
	ds_write2_b64 v127, v[61:62], v[63:64] offset1:1
	ds_write2_b64 v125, v[57:58], v[59:60] offset0:36 offset1:37
	ds_write2_b64 v125, v[53:54], v[55:56] offset0:38 offset1:39
	;; [unrolled: 1-line block ×16, first 2 shown]
	ds_read2_b64 v[97:100], v127 offset1:1
	s_waitcnt lgkmcnt(0)
	v_cmp_neq_f64_e32 vcc, 0, v[97:98]
	v_cmp_neq_f64_e64 s[2:3], 0, v[99:100]
	s_or_b64 s[2:3], vcc, s[2:3]
	s_and_b64 exec, exec, s[2:3]
	s_cbranch_execz .LBB67_161
; %bb.156:
	v_cmp_ngt_f64_e64 s[2:3], |v[97:98]|, |v[99:100]|
                                        ; implicit-def: $vgpr101_vgpr102
	s_and_saveexec_b64 s[6:7], s[2:3]
	s_xor_b64 s[2:3], exec, s[6:7]
                                        ; implicit-def: $vgpr103_vgpr104
	s_cbranch_execz .LBB67_158
; %bb.157:
	v_div_scale_f64 v[101:102], s[6:7], v[99:100], v[99:100], v[97:98]
	v_rcp_f64_e32 v[103:104], v[101:102]
	v_fma_f64 v[105:106], -v[101:102], v[103:104], 1.0
	v_fma_f64 v[103:104], v[103:104], v[105:106], v[103:104]
	v_div_scale_f64 v[105:106], vcc, v[97:98], v[99:100], v[97:98]
	v_fma_f64 v[107:108], -v[101:102], v[103:104], 1.0
	v_fma_f64 v[103:104], v[103:104], v[107:108], v[103:104]
	v_mul_f64 v[107:108], v[105:106], v[103:104]
	v_fma_f64 v[101:102], -v[101:102], v[107:108], v[105:106]
	v_div_fmas_f64 v[101:102], v[101:102], v[103:104], v[107:108]
	v_div_fixup_f64 v[101:102], v[101:102], v[99:100], v[97:98]
	v_fma_f64 v[97:98], v[97:98], v[101:102], v[99:100]
	v_div_scale_f64 v[99:100], s[6:7], v[97:98], v[97:98], 1.0
	v_div_scale_f64 v[107:108], vcc, 1.0, v[97:98], 1.0
	v_rcp_f64_e32 v[103:104], v[99:100]
	v_fma_f64 v[105:106], -v[99:100], v[103:104], 1.0
	v_fma_f64 v[103:104], v[103:104], v[105:106], v[103:104]
	v_fma_f64 v[105:106], -v[99:100], v[103:104], 1.0
	v_fma_f64 v[103:104], v[103:104], v[105:106], v[103:104]
	v_mul_f64 v[105:106], v[107:108], v[103:104]
	v_fma_f64 v[99:100], -v[99:100], v[105:106], v[107:108]
	v_div_fmas_f64 v[99:100], v[99:100], v[103:104], v[105:106]
	v_div_fixup_f64 v[103:104], v[99:100], v[97:98], 1.0
                                        ; implicit-def: $vgpr97_vgpr98
	v_mul_f64 v[101:102], v[101:102], v[103:104]
	v_xor_b32_e32 v104, 0x80000000, v104
.LBB67_158:
	s_andn2_saveexec_b64 s[2:3], s[2:3]
	s_cbranch_execz .LBB67_160
; %bb.159:
	v_div_scale_f64 v[101:102], s[6:7], v[97:98], v[97:98], v[99:100]
	v_rcp_f64_e32 v[103:104], v[101:102]
	v_fma_f64 v[105:106], -v[101:102], v[103:104], 1.0
	v_fma_f64 v[103:104], v[103:104], v[105:106], v[103:104]
	v_div_scale_f64 v[105:106], vcc, v[99:100], v[97:98], v[99:100]
	v_fma_f64 v[107:108], -v[101:102], v[103:104], 1.0
	v_fma_f64 v[103:104], v[103:104], v[107:108], v[103:104]
	v_mul_f64 v[107:108], v[105:106], v[103:104]
	v_fma_f64 v[101:102], -v[101:102], v[107:108], v[105:106]
	v_div_fmas_f64 v[101:102], v[101:102], v[103:104], v[107:108]
	v_div_fixup_f64 v[103:104], v[101:102], v[97:98], v[99:100]
	v_fma_f64 v[97:98], v[99:100], v[103:104], v[97:98]
	v_div_scale_f64 v[99:100], s[6:7], v[97:98], v[97:98], 1.0
	v_div_scale_f64 v[107:108], vcc, 1.0, v[97:98], 1.0
	v_rcp_f64_e32 v[101:102], v[99:100]
	v_fma_f64 v[105:106], -v[99:100], v[101:102], 1.0
	v_fma_f64 v[101:102], v[101:102], v[105:106], v[101:102]
	v_fma_f64 v[105:106], -v[99:100], v[101:102], 1.0
	v_fma_f64 v[101:102], v[101:102], v[105:106], v[101:102]
	v_mul_f64 v[105:106], v[107:108], v[101:102]
	v_fma_f64 v[99:100], -v[99:100], v[105:106], v[107:108]
	v_div_fmas_f64 v[99:100], v[99:100], v[101:102], v[105:106]
	v_div_fixup_f64 v[101:102], v[99:100], v[97:98], 1.0
	v_mul_f64 v[103:104], v[103:104], -v[101:102]
.LBB67_160:
	s_or_b64 exec, exec, s[2:3]
	ds_write2_b64 v127, v[101:102], v[103:104] offset1:1
.LBB67_161:
	s_or_b64 exec, exec, s[4:5]
	s_waitcnt lgkmcnt(0)
	s_barrier
	ds_read2_b64 v[97:100], v127 offset1:1
	v_cmp_lt_u32_e32 vcc, 17, v126
	s_waitcnt lgkmcnt(0)
	buffer_store_dword v97, off, s[20:23], 0 offset:704 ; 4-byte Folded Spill
	s_nop 0
	buffer_store_dword v98, off, s[20:23], 0 offset:708 ; 4-byte Folded Spill
	buffer_store_dword v99, off, s[20:23], 0 offset:712 ; 4-byte Folded Spill
	;; [unrolled: 1-line block ×3, first 2 shown]
	s_and_saveexec_b64 s[2:3], vcc
	s_cbranch_execz .LBB67_163
; %bb.162:
	buffer_load_dword v99, off, s[20:23], 0 offset:704 ; 4-byte Folded Reload
	buffer_load_dword v100, off, s[20:23], 0 offset:708 ; 4-byte Folded Reload
	;; [unrolled: 1-line block ×4, first 2 shown]
	s_waitcnt vmcnt(2)
	v_mul_f64 v[97:98], v[99:100], v[63:64]
	s_waitcnt vmcnt(0)
	v_mul_f64 v[63:64], v[101:102], v[63:64]
	v_fma_f64 v[97:98], v[101:102], v[61:62], v[97:98]
	v_fma_f64 v[61:62], v[99:100], v[61:62], -v[63:64]
	ds_read2_b64 v[99:102], v125 offset0:36 offset1:37
	s_waitcnt lgkmcnt(0)
	v_mul_f64 v[63:64], v[101:102], v[97:98]
	v_fma_f64 v[63:64], v[99:100], v[61:62], -v[63:64]
	v_mul_f64 v[99:100], v[99:100], v[97:98]
	v_add_f64 v[57:58], v[57:58], -v[63:64]
	v_fma_f64 v[99:100], v[101:102], v[61:62], v[99:100]
	v_add_f64 v[59:60], v[59:60], -v[99:100]
	ds_read2_b64 v[99:102], v125 offset0:38 offset1:39
	s_waitcnt lgkmcnt(0)
	v_mul_f64 v[63:64], v[101:102], v[97:98]
	v_fma_f64 v[63:64], v[99:100], v[61:62], -v[63:64]
	v_mul_f64 v[99:100], v[99:100], v[97:98]
	v_add_f64 v[53:54], v[53:54], -v[63:64]
	v_fma_f64 v[99:100], v[101:102], v[61:62], v[99:100]
	v_add_f64 v[55:56], v[55:56], -v[99:100]
	;; [unrolled: 8-line block ×15, first 2 shown]
	ds_read2_b64 v[99:102], v125 offset0:66 offset1:67
	s_waitcnt lgkmcnt(0)
	v_mul_f64 v[63:64], v[101:102], v[97:98]
	v_fma_f64 v[63:64], v[99:100], v[61:62], -v[63:64]
	v_mul_f64 v[99:100], v[99:100], v[97:98]
	v_add_f64 v[121:122], v[121:122], -v[63:64]
	v_fma_f64 v[99:100], v[101:102], v[61:62], v[99:100]
	v_mov_b32_e32 v63, v97
	v_mov_b32_e32 v64, v98
	v_add_f64 v[123:124], v[123:124], -v[99:100]
.LBB67_163:
	s_or_b64 exec, exec, s[2:3]
	v_cmp_eq_u32_e32 vcc, 18, v126
	s_waitcnt vmcnt(0)
	s_barrier
	s_and_saveexec_b64 s[4:5], vcc
	s_cbranch_execz .LBB67_170
; %bb.164:
	ds_write2_b64 v127, v[57:58], v[59:60] offset1:1
	ds_write2_b64 v125, v[53:54], v[55:56] offset0:38 offset1:39
	ds_write2_b64 v125, v[49:50], v[51:52] offset0:40 offset1:41
	;; [unrolled: 1-line block ×15, first 2 shown]
	ds_read2_b64 v[97:100], v127 offset1:1
	s_waitcnt lgkmcnt(0)
	v_cmp_neq_f64_e32 vcc, 0, v[97:98]
	v_cmp_neq_f64_e64 s[2:3], 0, v[99:100]
	s_or_b64 s[2:3], vcc, s[2:3]
	s_and_b64 exec, exec, s[2:3]
	s_cbranch_execz .LBB67_170
; %bb.165:
	v_cmp_ngt_f64_e64 s[2:3], |v[97:98]|, |v[99:100]|
                                        ; implicit-def: $vgpr101_vgpr102
	s_and_saveexec_b64 s[6:7], s[2:3]
	s_xor_b64 s[2:3], exec, s[6:7]
                                        ; implicit-def: $vgpr103_vgpr104
	s_cbranch_execz .LBB67_167
; %bb.166:
	v_div_scale_f64 v[101:102], s[6:7], v[99:100], v[99:100], v[97:98]
	v_rcp_f64_e32 v[103:104], v[101:102]
	v_fma_f64 v[105:106], -v[101:102], v[103:104], 1.0
	v_fma_f64 v[103:104], v[103:104], v[105:106], v[103:104]
	v_div_scale_f64 v[105:106], vcc, v[97:98], v[99:100], v[97:98]
	v_fma_f64 v[107:108], -v[101:102], v[103:104], 1.0
	v_fma_f64 v[103:104], v[103:104], v[107:108], v[103:104]
	v_mul_f64 v[107:108], v[105:106], v[103:104]
	v_fma_f64 v[101:102], -v[101:102], v[107:108], v[105:106]
	v_div_fmas_f64 v[101:102], v[101:102], v[103:104], v[107:108]
	v_div_fixup_f64 v[101:102], v[101:102], v[99:100], v[97:98]
	v_fma_f64 v[97:98], v[97:98], v[101:102], v[99:100]
	v_div_scale_f64 v[99:100], s[6:7], v[97:98], v[97:98], 1.0
	v_div_scale_f64 v[107:108], vcc, 1.0, v[97:98], 1.0
	v_rcp_f64_e32 v[103:104], v[99:100]
	v_fma_f64 v[105:106], -v[99:100], v[103:104], 1.0
	v_fma_f64 v[103:104], v[103:104], v[105:106], v[103:104]
	v_fma_f64 v[105:106], -v[99:100], v[103:104], 1.0
	v_fma_f64 v[103:104], v[103:104], v[105:106], v[103:104]
	v_mul_f64 v[105:106], v[107:108], v[103:104]
	v_fma_f64 v[99:100], -v[99:100], v[105:106], v[107:108]
	v_div_fmas_f64 v[99:100], v[99:100], v[103:104], v[105:106]
	v_div_fixup_f64 v[103:104], v[99:100], v[97:98], 1.0
                                        ; implicit-def: $vgpr97_vgpr98
	v_mul_f64 v[101:102], v[101:102], v[103:104]
	v_xor_b32_e32 v104, 0x80000000, v104
.LBB67_167:
	s_andn2_saveexec_b64 s[2:3], s[2:3]
	s_cbranch_execz .LBB67_169
; %bb.168:
	v_div_scale_f64 v[101:102], s[6:7], v[97:98], v[97:98], v[99:100]
	v_rcp_f64_e32 v[103:104], v[101:102]
	v_fma_f64 v[105:106], -v[101:102], v[103:104], 1.0
	v_fma_f64 v[103:104], v[103:104], v[105:106], v[103:104]
	v_div_scale_f64 v[105:106], vcc, v[99:100], v[97:98], v[99:100]
	v_fma_f64 v[107:108], -v[101:102], v[103:104], 1.0
	v_fma_f64 v[103:104], v[103:104], v[107:108], v[103:104]
	v_mul_f64 v[107:108], v[105:106], v[103:104]
	v_fma_f64 v[101:102], -v[101:102], v[107:108], v[105:106]
	v_div_fmas_f64 v[101:102], v[101:102], v[103:104], v[107:108]
	v_div_fixup_f64 v[103:104], v[101:102], v[97:98], v[99:100]
	v_fma_f64 v[97:98], v[99:100], v[103:104], v[97:98]
	v_div_scale_f64 v[99:100], s[6:7], v[97:98], v[97:98], 1.0
	v_div_scale_f64 v[107:108], vcc, 1.0, v[97:98], 1.0
	v_rcp_f64_e32 v[101:102], v[99:100]
	v_fma_f64 v[105:106], -v[99:100], v[101:102], 1.0
	v_fma_f64 v[101:102], v[101:102], v[105:106], v[101:102]
	v_fma_f64 v[105:106], -v[99:100], v[101:102], 1.0
	v_fma_f64 v[101:102], v[101:102], v[105:106], v[101:102]
	v_mul_f64 v[105:106], v[107:108], v[101:102]
	v_fma_f64 v[99:100], -v[99:100], v[105:106], v[107:108]
	v_div_fmas_f64 v[99:100], v[99:100], v[101:102], v[105:106]
	v_div_fixup_f64 v[101:102], v[99:100], v[97:98], 1.0
	v_mul_f64 v[103:104], v[103:104], -v[101:102]
.LBB67_169:
	s_or_b64 exec, exec, s[2:3]
	ds_write2_b64 v127, v[101:102], v[103:104] offset1:1
.LBB67_170:
	s_or_b64 exec, exec, s[4:5]
	s_waitcnt lgkmcnt(0)
	s_barrier
	ds_read2_b64 v[97:100], v127 offset1:1
	v_cmp_lt_u32_e32 vcc, 18, v126
	s_waitcnt lgkmcnt(0)
	buffer_store_dword v97, off, s[20:23], 0 offset:720 ; 4-byte Folded Spill
	s_nop 0
	buffer_store_dword v98, off, s[20:23], 0 offset:724 ; 4-byte Folded Spill
	buffer_store_dword v99, off, s[20:23], 0 offset:728 ; 4-byte Folded Spill
	;; [unrolled: 1-line block ×3, first 2 shown]
	s_and_saveexec_b64 s[2:3], vcc
	s_cbranch_execz .LBB67_172
; %bb.171:
	buffer_load_dword v99, off, s[20:23], 0 offset:720 ; 4-byte Folded Reload
	buffer_load_dword v100, off, s[20:23], 0 offset:724 ; 4-byte Folded Reload
	;; [unrolled: 1-line block ×4, first 2 shown]
	s_waitcnt vmcnt(2)
	v_mul_f64 v[97:98], v[99:100], v[59:60]
	s_waitcnt vmcnt(0)
	v_mul_f64 v[59:60], v[101:102], v[59:60]
	v_fma_f64 v[97:98], v[101:102], v[57:58], v[97:98]
	v_fma_f64 v[57:58], v[99:100], v[57:58], -v[59:60]
	ds_read2_b64 v[99:102], v125 offset0:38 offset1:39
	s_waitcnt lgkmcnt(0)
	v_mul_f64 v[59:60], v[101:102], v[97:98]
	v_fma_f64 v[59:60], v[99:100], v[57:58], -v[59:60]
	v_mul_f64 v[99:100], v[99:100], v[97:98]
	v_add_f64 v[53:54], v[53:54], -v[59:60]
	v_fma_f64 v[99:100], v[101:102], v[57:58], v[99:100]
	v_add_f64 v[55:56], v[55:56], -v[99:100]
	ds_read2_b64 v[99:102], v125 offset0:40 offset1:41
	s_waitcnt lgkmcnt(0)
	v_mul_f64 v[59:60], v[101:102], v[97:98]
	v_fma_f64 v[59:60], v[99:100], v[57:58], -v[59:60]
	v_mul_f64 v[99:100], v[99:100], v[97:98]
	v_add_f64 v[49:50], v[49:50], -v[59:60]
	v_fma_f64 v[99:100], v[101:102], v[57:58], v[99:100]
	v_add_f64 v[51:52], v[51:52], -v[99:100]
	ds_read2_b64 v[99:102], v125 offset0:42 offset1:43
	s_waitcnt lgkmcnt(0)
	v_mul_f64 v[59:60], v[101:102], v[97:98]
	v_fma_f64 v[59:60], v[99:100], v[57:58], -v[59:60]
	v_mul_f64 v[99:100], v[99:100], v[97:98]
	v_add_f64 v[45:46], v[45:46], -v[59:60]
	v_fma_f64 v[99:100], v[101:102], v[57:58], v[99:100]
	v_add_f64 v[47:48], v[47:48], -v[99:100]
	ds_read2_b64 v[99:102], v125 offset0:44 offset1:45
	s_waitcnt lgkmcnt(0)
	v_mul_f64 v[59:60], v[101:102], v[97:98]
	v_fma_f64 v[59:60], v[99:100], v[57:58], -v[59:60]
	v_mul_f64 v[99:100], v[99:100], v[97:98]
	v_add_f64 v[41:42], v[41:42], -v[59:60]
	v_fma_f64 v[99:100], v[101:102], v[57:58], v[99:100]
	v_add_f64 v[43:44], v[43:44], -v[99:100]
	ds_read2_b64 v[99:102], v125 offset0:46 offset1:47
	s_waitcnt lgkmcnt(0)
	v_mul_f64 v[59:60], v[101:102], v[97:98]
	v_fma_f64 v[59:60], v[99:100], v[57:58], -v[59:60]
	v_mul_f64 v[99:100], v[99:100], v[97:98]
	v_add_f64 v[37:38], v[37:38], -v[59:60]
	v_fma_f64 v[99:100], v[101:102], v[57:58], v[99:100]
	v_add_f64 v[39:40], v[39:40], -v[99:100]
	ds_read2_b64 v[99:102], v125 offset0:48 offset1:49
	s_waitcnt lgkmcnt(0)
	v_mul_f64 v[59:60], v[101:102], v[97:98]
	v_fma_f64 v[59:60], v[99:100], v[57:58], -v[59:60]
	v_mul_f64 v[99:100], v[99:100], v[97:98]
	v_add_f64 v[33:34], v[33:34], -v[59:60]
	v_fma_f64 v[99:100], v[101:102], v[57:58], v[99:100]
	v_add_f64 v[35:36], v[35:36], -v[99:100]
	ds_read2_b64 v[99:102], v125 offset0:50 offset1:51
	s_waitcnt lgkmcnt(0)
	v_mul_f64 v[59:60], v[101:102], v[97:98]
	v_fma_f64 v[59:60], v[99:100], v[57:58], -v[59:60]
	v_mul_f64 v[99:100], v[99:100], v[97:98]
	v_add_f64 v[29:30], v[29:30], -v[59:60]
	v_fma_f64 v[99:100], v[101:102], v[57:58], v[99:100]
	v_add_f64 v[31:32], v[31:32], -v[99:100]
	ds_read2_b64 v[99:102], v125 offset0:52 offset1:53
	s_waitcnt lgkmcnt(0)
	v_mul_f64 v[59:60], v[101:102], v[97:98]
	v_fma_f64 v[59:60], v[99:100], v[57:58], -v[59:60]
	v_mul_f64 v[99:100], v[99:100], v[97:98]
	v_add_f64 v[25:26], v[25:26], -v[59:60]
	v_fma_f64 v[99:100], v[101:102], v[57:58], v[99:100]
	v_add_f64 v[27:28], v[27:28], -v[99:100]
	ds_read2_b64 v[99:102], v125 offset0:54 offset1:55
	s_waitcnt lgkmcnt(0)
	v_mul_f64 v[59:60], v[101:102], v[97:98]
	v_fma_f64 v[59:60], v[99:100], v[57:58], -v[59:60]
	v_mul_f64 v[99:100], v[99:100], v[97:98]
	v_add_f64 v[21:22], v[21:22], -v[59:60]
	v_fma_f64 v[99:100], v[101:102], v[57:58], v[99:100]
	v_add_f64 v[23:24], v[23:24], -v[99:100]
	ds_read2_b64 v[99:102], v125 offset0:56 offset1:57
	s_waitcnt lgkmcnt(0)
	v_mul_f64 v[59:60], v[101:102], v[97:98]
	v_fma_f64 v[59:60], v[99:100], v[57:58], -v[59:60]
	v_mul_f64 v[99:100], v[99:100], v[97:98]
	v_add_f64 v[17:18], v[17:18], -v[59:60]
	v_fma_f64 v[99:100], v[101:102], v[57:58], v[99:100]
	v_add_f64 v[19:20], v[19:20], -v[99:100]
	ds_read2_b64 v[99:102], v125 offset0:58 offset1:59
	s_waitcnt lgkmcnt(0)
	v_mul_f64 v[59:60], v[101:102], v[97:98]
	v_fma_f64 v[59:60], v[99:100], v[57:58], -v[59:60]
	v_mul_f64 v[99:100], v[99:100], v[97:98]
	v_add_f64 v[13:14], v[13:14], -v[59:60]
	v_fma_f64 v[99:100], v[101:102], v[57:58], v[99:100]
	v_add_f64 v[15:16], v[15:16], -v[99:100]
	ds_read2_b64 v[99:102], v125 offset0:60 offset1:61
	s_waitcnt lgkmcnt(0)
	v_mul_f64 v[59:60], v[101:102], v[97:98]
	v_fma_f64 v[59:60], v[99:100], v[57:58], -v[59:60]
	v_mul_f64 v[99:100], v[99:100], v[97:98]
	v_add_f64 v[9:10], v[9:10], -v[59:60]
	v_fma_f64 v[99:100], v[101:102], v[57:58], v[99:100]
	v_add_f64 v[11:12], v[11:12], -v[99:100]
	ds_read2_b64 v[99:102], v125 offset0:62 offset1:63
	s_waitcnt lgkmcnt(0)
	v_mul_f64 v[59:60], v[101:102], v[97:98]
	v_fma_f64 v[59:60], v[99:100], v[57:58], -v[59:60]
	v_mul_f64 v[99:100], v[99:100], v[97:98]
	v_add_f64 v[5:6], v[5:6], -v[59:60]
	v_fma_f64 v[99:100], v[101:102], v[57:58], v[99:100]
	v_add_f64 v[7:8], v[7:8], -v[99:100]
	ds_read2_b64 v[99:102], v125 offset0:64 offset1:65
	s_waitcnt lgkmcnt(0)
	v_mul_f64 v[59:60], v[101:102], v[97:98]
	v_fma_f64 v[59:60], v[99:100], v[57:58], -v[59:60]
	v_mul_f64 v[99:100], v[99:100], v[97:98]
	v_add_f64 v[1:2], v[1:2], -v[59:60]
	v_fma_f64 v[99:100], v[101:102], v[57:58], v[99:100]
	v_add_f64 v[3:4], v[3:4], -v[99:100]
	ds_read2_b64 v[99:102], v125 offset0:66 offset1:67
	s_waitcnt lgkmcnt(0)
	v_mul_f64 v[59:60], v[101:102], v[97:98]
	v_fma_f64 v[59:60], v[99:100], v[57:58], -v[59:60]
	v_mul_f64 v[99:100], v[99:100], v[97:98]
	v_add_f64 v[121:122], v[121:122], -v[59:60]
	v_fma_f64 v[99:100], v[101:102], v[57:58], v[99:100]
	v_mov_b32_e32 v59, v97
	v_mov_b32_e32 v60, v98
	v_add_f64 v[123:124], v[123:124], -v[99:100]
.LBB67_172:
	s_or_b64 exec, exec, s[2:3]
	v_cmp_eq_u32_e32 vcc, 19, v126
	s_waitcnt vmcnt(0)
	s_barrier
	s_and_saveexec_b64 s[4:5], vcc
	s_cbranch_execz .LBB67_179
; %bb.173:
	ds_write2_b64 v127, v[53:54], v[55:56] offset1:1
	ds_write2_b64 v125, v[49:50], v[51:52] offset0:40 offset1:41
	ds_write2_b64 v125, v[45:46], v[47:48] offset0:42 offset1:43
	;; [unrolled: 1-line block ×14, first 2 shown]
	ds_read2_b64 v[97:100], v127 offset1:1
	s_waitcnt lgkmcnt(0)
	v_cmp_neq_f64_e32 vcc, 0, v[97:98]
	v_cmp_neq_f64_e64 s[2:3], 0, v[99:100]
	s_or_b64 s[2:3], vcc, s[2:3]
	s_and_b64 exec, exec, s[2:3]
	s_cbranch_execz .LBB67_179
; %bb.174:
	v_cmp_ngt_f64_e64 s[2:3], |v[97:98]|, |v[99:100]|
                                        ; implicit-def: $vgpr101_vgpr102
	s_and_saveexec_b64 s[6:7], s[2:3]
	s_xor_b64 s[2:3], exec, s[6:7]
                                        ; implicit-def: $vgpr103_vgpr104
	s_cbranch_execz .LBB67_176
; %bb.175:
	v_div_scale_f64 v[101:102], s[6:7], v[99:100], v[99:100], v[97:98]
	v_rcp_f64_e32 v[103:104], v[101:102]
	v_fma_f64 v[105:106], -v[101:102], v[103:104], 1.0
	v_fma_f64 v[103:104], v[103:104], v[105:106], v[103:104]
	v_div_scale_f64 v[105:106], vcc, v[97:98], v[99:100], v[97:98]
	v_fma_f64 v[107:108], -v[101:102], v[103:104], 1.0
	v_fma_f64 v[103:104], v[103:104], v[107:108], v[103:104]
	v_mul_f64 v[107:108], v[105:106], v[103:104]
	v_fma_f64 v[101:102], -v[101:102], v[107:108], v[105:106]
	v_div_fmas_f64 v[101:102], v[101:102], v[103:104], v[107:108]
	v_div_fixup_f64 v[101:102], v[101:102], v[99:100], v[97:98]
	v_fma_f64 v[97:98], v[97:98], v[101:102], v[99:100]
	v_div_scale_f64 v[99:100], s[6:7], v[97:98], v[97:98], 1.0
	v_div_scale_f64 v[107:108], vcc, 1.0, v[97:98], 1.0
	v_rcp_f64_e32 v[103:104], v[99:100]
	v_fma_f64 v[105:106], -v[99:100], v[103:104], 1.0
	v_fma_f64 v[103:104], v[103:104], v[105:106], v[103:104]
	v_fma_f64 v[105:106], -v[99:100], v[103:104], 1.0
	v_fma_f64 v[103:104], v[103:104], v[105:106], v[103:104]
	v_mul_f64 v[105:106], v[107:108], v[103:104]
	v_fma_f64 v[99:100], -v[99:100], v[105:106], v[107:108]
	v_div_fmas_f64 v[99:100], v[99:100], v[103:104], v[105:106]
	v_div_fixup_f64 v[103:104], v[99:100], v[97:98], 1.0
                                        ; implicit-def: $vgpr97_vgpr98
	v_mul_f64 v[101:102], v[101:102], v[103:104]
	v_xor_b32_e32 v104, 0x80000000, v104
.LBB67_176:
	s_andn2_saveexec_b64 s[2:3], s[2:3]
	s_cbranch_execz .LBB67_178
; %bb.177:
	v_div_scale_f64 v[101:102], s[6:7], v[97:98], v[97:98], v[99:100]
	v_rcp_f64_e32 v[103:104], v[101:102]
	v_fma_f64 v[105:106], -v[101:102], v[103:104], 1.0
	v_fma_f64 v[103:104], v[103:104], v[105:106], v[103:104]
	v_div_scale_f64 v[105:106], vcc, v[99:100], v[97:98], v[99:100]
	v_fma_f64 v[107:108], -v[101:102], v[103:104], 1.0
	v_fma_f64 v[103:104], v[103:104], v[107:108], v[103:104]
	v_mul_f64 v[107:108], v[105:106], v[103:104]
	v_fma_f64 v[101:102], -v[101:102], v[107:108], v[105:106]
	v_div_fmas_f64 v[101:102], v[101:102], v[103:104], v[107:108]
	v_div_fixup_f64 v[103:104], v[101:102], v[97:98], v[99:100]
	v_fma_f64 v[97:98], v[99:100], v[103:104], v[97:98]
	v_div_scale_f64 v[99:100], s[6:7], v[97:98], v[97:98], 1.0
	v_div_scale_f64 v[107:108], vcc, 1.0, v[97:98], 1.0
	v_rcp_f64_e32 v[101:102], v[99:100]
	v_fma_f64 v[105:106], -v[99:100], v[101:102], 1.0
	v_fma_f64 v[101:102], v[101:102], v[105:106], v[101:102]
	v_fma_f64 v[105:106], -v[99:100], v[101:102], 1.0
	v_fma_f64 v[101:102], v[101:102], v[105:106], v[101:102]
	v_mul_f64 v[105:106], v[107:108], v[101:102]
	v_fma_f64 v[99:100], -v[99:100], v[105:106], v[107:108]
	v_div_fmas_f64 v[99:100], v[99:100], v[101:102], v[105:106]
	v_div_fixup_f64 v[101:102], v[99:100], v[97:98], 1.0
	v_mul_f64 v[103:104], v[103:104], -v[101:102]
.LBB67_178:
	s_or_b64 exec, exec, s[2:3]
	ds_write2_b64 v127, v[101:102], v[103:104] offset1:1
.LBB67_179:
	s_or_b64 exec, exec, s[4:5]
	s_waitcnt lgkmcnt(0)
	s_barrier
	ds_read2_b64 v[97:100], v127 offset1:1
	v_cmp_lt_u32_e32 vcc, 19, v126
	s_waitcnt lgkmcnt(0)
	buffer_store_dword v97, off, s[20:23], 0 offset:736 ; 4-byte Folded Spill
	s_nop 0
	buffer_store_dword v98, off, s[20:23], 0 offset:740 ; 4-byte Folded Spill
	buffer_store_dword v99, off, s[20:23], 0 offset:744 ; 4-byte Folded Spill
	;; [unrolled: 1-line block ×3, first 2 shown]
	s_and_saveexec_b64 s[2:3], vcc
	s_cbranch_execz .LBB67_181
; %bb.180:
	buffer_load_dword v99, off, s[20:23], 0 offset:736 ; 4-byte Folded Reload
	buffer_load_dword v100, off, s[20:23], 0 offset:740 ; 4-byte Folded Reload
	;; [unrolled: 1-line block ×4, first 2 shown]
	s_waitcnt vmcnt(2)
	v_mul_f64 v[97:98], v[99:100], v[55:56]
	s_waitcnt vmcnt(0)
	v_mul_f64 v[55:56], v[101:102], v[55:56]
	v_fma_f64 v[97:98], v[101:102], v[53:54], v[97:98]
	v_fma_f64 v[53:54], v[99:100], v[53:54], -v[55:56]
	ds_read2_b64 v[99:102], v125 offset0:40 offset1:41
	s_waitcnt lgkmcnt(0)
	v_mul_f64 v[55:56], v[101:102], v[97:98]
	v_fma_f64 v[55:56], v[99:100], v[53:54], -v[55:56]
	v_mul_f64 v[99:100], v[99:100], v[97:98]
	v_add_f64 v[49:50], v[49:50], -v[55:56]
	v_fma_f64 v[99:100], v[101:102], v[53:54], v[99:100]
	v_add_f64 v[51:52], v[51:52], -v[99:100]
	ds_read2_b64 v[99:102], v125 offset0:42 offset1:43
	s_waitcnt lgkmcnt(0)
	v_mul_f64 v[55:56], v[101:102], v[97:98]
	v_fma_f64 v[55:56], v[99:100], v[53:54], -v[55:56]
	v_mul_f64 v[99:100], v[99:100], v[97:98]
	v_add_f64 v[45:46], v[45:46], -v[55:56]
	v_fma_f64 v[99:100], v[101:102], v[53:54], v[99:100]
	v_add_f64 v[47:48], v[47:48], -v[99:100]
	;; [unrolled: 8-line block ×13, first 2 shown]
	ds_read2_b64 v[99:102], v125 offset0:66 offset1:67
	s_waitcnt lgkmcnt(0)
	v_mul_f64 v[55:56], v[101:102], v[97:98]
	v_fma_f64 v[55:56], v[99:100], v[53:54], -v[55:56]
	v_mul_f64 v[99:100], v[99:100], v[97:98]
	v_add_f64 v[121:122], v[121:122], -v[55:56]
	v_fma_f64 v[99:100], v[101:102], v[53:54], v[99:100]
	v_mov_b32_e32 v55, v97
	v_mov_b32_e32 v56, v98
	v_add_f64 v[123:124], v[123:124], -v[99:100]
.LBB67_181:
	s_or_b64 exec, exec, s[2:3]
	v_cmp_eq_u32_e32 vcc, 20, v126
	s_waitcnt vmcnt(0)
	s_barrier
	s_and_saveexec_b64 s[4:5], vcc
	s_cbranch_execz .LBB67_188
; %bb.182:
	ds_write2_b64 v127, v[49:50], v[51:52] offset1:1
	ds_write2_b64 v125, v[45:46], v[47:48] offset0:42 offset1:43
	ds_write2_b64 v125, v[41:42], v[43:44] offset0:44 offset1:45
	;; [unrolled: 1-line block ×13, first 2 shown]
	ds_read2_b64 v[97:100], v127 offset1:1
	s_waitcnt lgkmcnt(0)
	v_cmp_neq_f64_e32 vcc, 0, v[97:98]
	v_cmp_neq_f64_e64 s[2:3], 0, v[99:100]
	s_or_b64 s[2:3], vcc, s[2:3]
	s_and_b64 exec, exec, s[2:3]
	s_cbranch_execz .LBB67_188
; %bb.183:
	v_cmp_ngt_f64_e64 s[2:3], |v[97:98]|, |v[99:100]|
                                        ; implicit-def: $vgpr101_vgpr102
	s_and_saveexec_b64 s[6:7], s[2:3]
	s_xor_b64 s[2:3], exec, s[6:7]
                                        ; implicit-def: $vgpr103_vgpr104
	s_cbranch_execz .LBB67_185
; %bb.184:
	v_div_scale_f64 v[101:102], s[6:7], v[99:100], v[99:100], v[97:98]
	v_rcp_f64_e32 v[103:104], v[101:102]
	v_fma_f64 v[105:106], -v[101:102], v[103:104], 1.0
	v_fma_f64 v[103:104], v[103:104], v[105:106], v[103:104]
	v_div_scale_f64 v[105:106], vcc, v[97:98], v[99:100], v[97:98]
	v_fma_f64 v[107:108], -v[101:102], v[103:104], 1.0
	v_fma_f64 v[103:104], v[103:104], v[107:108], v[103:104]
	v_mul_f64 v[107:108], v[105:106], v[103:104]
	v_fma_f64 v[101:102], -v[101:102], v[107:108], v[105:106]
	v_div_fmas_f64 v[101:102], v[101:102], v[103:104], v[107:108]
	v_div_fixup_f64 v[101:102], v[101:102], v[99:100], v[97:98]
	v_fma_f64 v[97:98], v[97:98], v[101:102], v[99:100]
	v_div_scale_f64 v[99:100], s[6:7], v[97:98], v[97:98], 1.0
	v_div_scale_f64 v[107:108], vcc, 1.0, v[97:98], 1.0
	v_rcp_f64_e32 v[103:104], v[99:100]
	v_fma_f64 v[105:106], -v[99:100], v[103:104], 1.0
	v_fma_f64 v[103:104], v[103:104], v[105:106], v[103:104]
	v_fma_f64 v[105:106], -v[99:100], v[103:104], 1.0
	v_fma_f64 v[103:104], v[103:104], v[105:106], v[103:104]
	v_mul_f64 v[105:106], v[107:108], v[103:104]
	v_fma_f64 v[99:100], -v[99:100], v[105:106], v[107:108]
	v_div_fmas_f64 v[99:100], v[99:100], v[103:104], v[105:106]
	v_div_fixup_f64 v[103:104], v[99:100], v[97:98], 1.0
                                        ; implicit-def: $vgpr97_vgpr98
	v_mul_f64 v[101:102], v[101:102], v[103:104]
	v_xor_b32_e32 v104, 0x80000000, v104
.LBB67_185:
	s_andn2_saveexec_b64 s[2:3], s[2:3]
	s_cbranch_execz .LBB67_187
; %bb.186:
	v_div_scale_f64 v[101:102], s[6:7], v[97:98], v[97:98], v[99:100]
	v_rcp_f64_e32 v[103:104], v[101:102]
	v_fma_f64 v[105:106], -v[101:102], v[103:104], 1.0
	v_fma_f64 v[103:104], v[103:104], v[105:106], v[103:104]
	v_div_scale_f64 v[105:106], vcc, v[99:100], v[97:98], v[99:100]
	v_fma_f64 v[107:108], -v[101:102], v[103:104], 1.0
	v_fma_f64 v[103:104], v[103:104], v[107:108], v[103:104]
	v_mul_f64 v[107:108], v[105:106], v[103:104]
	v_fma_f64 v[101:102], -v[101:102], v[107:108], v[105:106]
	v_div_fmas_f64 v[101:102], v[101:102], v[103:104], v[107:108]
	v_div_fixup_f64 v[103:104], v[101:102], v[97:98], v[99:100]
	v_fma_f64 v[97:98], v[99:100], v[103:104], v[97:98]
	v_div_scale_f64 v[99:100], s[6:7], v[97:98], v[97:98], 1.0
	v_div_scale_f64 v[107:108], vcc, 1.0, v[97:98], 1.0
	v_rcp_f64_e32 v[101:102], v[99:100]
	v_fma_f64 v[105:106], -v[99:100], v[101:102], 1.0
	v_fma_f64 v[101:102], v[101:102], v[105:106], v[101:102]
	v_fma_f64 v[105:106], -v[99:100], v[101:102], 1.0
	v_fma_f64 v[101:102], v[101:102], v[105:106], v[101:102]
	v_mul_f64 v[105:106], v[107:108], v[101:102]
	v_fma_f64 v[99:100], -v[99:100], v[105:106], v[107:108]
	v_div_fmas_f64 v[99:100], v[99:100], v[101:102], v[105:106]
	v_div_fixup_f64 v[101:102], v[99:100], v[97:98], 1.0
	v_mul_f64 v[103:104], v[103:104], -v[101:102]
.LBB67_187:
	s_or_b64 exec, exec, s[2:3]
	ds_write2_b64 v127, v[101:102], v[103:104] offset1:1
.LBB67_188:
	s_or_b64 exec, exec, s[4:5]
	s_waitcnt lgkmcnt(0)
	s_barrier
	ds_read2_b64 v[97:100], v127 offset1:1
	v_cmp_lt_u32_e32 vcc, 20, v126
	s_waitcnt lgkmcnt(0)
	buffer_store_dword v97, off, s[20:23], 0 offset:752 ; 4-byte Folded Spill
	s_nop 0
	buffer_store_dword v98, off, s[20:23], 0 offset:756 ; 4-byte Folded Spill
	buffer_store_dword v99, off, s[20:23], 0 offset:760 ; 4-byte Folded Spill
	;; [unrolled: 1-line block ×3, first 2 shown]
	s_and_saveexec_b64 s[2:3], vcc
	s_cbranch_execz .LBB67_190
; %bb.189:
	buffer_load_dword v99, off, s[20:23], 0 offset:752 ; 4-byte Folded Reload
	buffer_load_dword v100, off, s[20:23], 0 offset:756 ; 4-byte Folded Reload
	;; [unrolled: 1-line block ×4, first 2 shown]
	s_waitcnt vmcnt(2)
	v_mul_f64 v[97:98], v[99:100], v[51:52]
	s_waitcnt vmcnt(0)
	v_mul_f64 v[51:52], v[101:102], v[51:52]
	v_fma_f64 v[97:98], v[101:102], v[49:50], v[97:98]
	v_fma_f64 v[49:50], v[99:100], v[49:50], -v[51:52]
	ds_read2_b64 v[99:102], v125 offset0:42 offset1:43
	s_waitcnt lgkmcnt(0)
	v_mul_f64 v[51:52], v[101:102], v[97:98]
	v_fma_f64 v[51:52], v[99:100], v[49:50], -v[51:52]
	v_mul_f64 v[99:100], v[99:100], v[97:98]
	v_add_f64 v[45:46], v[45:46], -v[51:52]
	v_fma_f64 v[99:100], v[101:102], v[49:50], v[99:100]
	v_add_f64 v[47:48], v[47:48], -v[99:100]
	ds_read2_b64 v[99:102], v125 offset0:44 offset1:45
	s_waitcnt lgkmcnt(0)
	v_mul_f64 v[51:52], v[101:102], v[97:98]
	v_fma_f64 v[51:52], v[99:100], v[49:50], -v[51:52]
	v_mul_f64 v[99:100], v[99:100], v[97:98]
	v_add_f64 v[41:42], v[41:42], -v[51:52]
	v_fma_f64 v[99:100], v[101:102], v[49:50], v[99:100]
	v_add_f64 v[43:44], v[43:44], -v[99:100]
	;; [unrolled: 8-line block ×12, first 2 shown]
	ds_read2_b64 v[99:102], v125 offset0:66 offset1:67
	s_waitcnt lgkmcnt(0)
	v_mul_f64 v[51:52], v[101:102], v[97:98]
	v_fma_f64 v[51:52], v[99:100], v[49:50], -v[51:52]
	v_mul_f64 v[99:100], v[99:100], v[97:98]
	v_add_f64 v[121:122], v[121:122], -v[51:52]
	v_fma_f64 v[99:100], v[101:102], v[49:50], v[99:100]
	v_mov_b32_e32 v51, v97
	v_mov_b32_e32 v52, v98
	v_add_f64 v[123:124], v[123:124], -v[99:100]
.LBB67_190:
	s_or_b64 exec, exec, s[2:3]
	v_cmp_eq_u32_e32 vcc, 21, v126
	s_waitcnt vmcnt(0)
	s_barrier
	s_and_saveexec_b64 s[4:5], vcc
	s_cbranch_execz .LBB67_197
; %bb.191:
	ds_write2_b64 v127, v[45:46], v[47:48] offset1:1
	ds_write2_b64 v125, v[41:42], v[43:44] offset0:44 offset1:45
	ds_write2_b64 v125, v[37:38], v[39:40] offset0:46 offset1:47
	;; [unrolled: 1-line block ×12, first 2 shown]
	ds_read2_b64 v[97:100], v127 offset1:1
	s_waitcnt lgkmcnt(0)
	v_cmp_neq_f64_e32 vcc, 0, v[97:98]
	v_cmp_neq_f64_e64 s[2:3], 0, v[99:100]
	s_or_b64 s[2:3], vcc, s[2:3]
	s_and_b64 exec, exec, s[2:3]
	s_cbranch_execz .LBB67_197
; %bb.192:
	v_cmp_ngt_f64_e64 s[2:3], |v[97:98]|, |v[99:100]|
                                        ; implicit-def: $vgpr101_vgpr102
	s_and_saveexec_b64 s[6:7], s[2:3]
	s_xor_b64 s[2:3], exec, s[6:7]
                                        ; implicit-def: $vgpr103_vgpr104
	s_cbranch_execz .LBB67_194
; %bb.193:
	v_div_scale_f64 v[101:102], s[6:7], v[99:100], v[99:100], v[97:98]
	v_rcp_f64_e32 v[103:104], v[101:102]
	v_fma_f64 v[105:106], -v[101:102], v[103:104], 1.0
	v_fma_f64 v[103:104], v[103:104], v[105:106], v[103:104]
	v_div_scale_f64 v[105:106], vcc, v[97:98], v[99:100], v[97:98]
	v_fma_f64 v[107:108], -v[101:102], v[103:104], 1.0
	v_fma_f64 v[103:104], v[103:104], v[107:108], v[103:104]
	v_mul_f64 v[107:108], v[105:106], v[103:104]
	v_fma_f64 v[101:102], -v[101:102], v[107:108], v[105:106]
	v_div_fmas_f64 v[101:102], v[101:102], v[103:104], v[107:108]
	v_div_fixup_f64 v[101:102], v[101:102], v[99:100], v[97:98]
	v_fma_f64 v[97:98], v[97:98], v[101:102], v[99:100]
	v_div_scale_f64 v[99:100], s[6:7], v[97:98], v[97:98], 1.0
	v_div_scale_f64 v[107:108], vcc, 1.0, v[97:98], 1.0
	v_rcp_f64_e32 v[103:104], v[99:100]
	v_fma_f64 v[105:106], -v[99:100], v[103:104], 1.0
	v_fma_f64 v[103:104], v[103:104], v[105:106], v[103:104]
	v_fma_f64 v[105:106], -v[99:100], v[103:104], 1.0
	v_fma_f64 v[103:104], v[103:104], v[105:106], v[103:104]
	v_mul_f64 v[105:106], v[107:108], v[103:104]
	v_fma_f64 v[99:100], -v[99:100], v[105:106], v[107:108]
	v_div_fmas_f64 v[99:100], v[99:100], v[103:104], v[105:106]
	v_div_fixup_f64 v[103:104], v[99:100], v[97:98], 1.0
                                        ; implicit-def: $vgpr97_vgpr98
	v_mul_f64 v[101:102], v[101:102], v[103:104]
	v_xor_b32_e32 v104, 0x80000000, v104
.LBB67_194:
	s_andn2_saveexec_b64 s[2:3], s[2:3]
	s_cbranch_execz .LBB67_196
; %bb.195:
	v_div_scale_f64 v[101:102], s[6:7], v[97:98], v[97:98], v[99:100]
	v_rcp_f64_e32 v[103:104], v[101:102]
	v_fma_f64 v[105:106], -v[101:102], v[103:104], 1.0
	v_fma_f64 v[103:104], v[103:104], v[105:106], v[103:104]
	v_div_scale_f64 v[105:106], vcc, v[99:100], v[97:98], v[99:100]
	v_fma_f64 v[107:108], -v[101:102], v[103:104], 1.0
	v_fma_f64 v[103:104], v[103:104], v[107:108], v[103:104]
	v_mul_f64 v[107:108], v[105:106], v[103:104]
	v_fma_f64 v[101:102], -v[101:102], v[107:108], v[105:106]
	v_div_fmas_f64 v[101:102], v[101:102], v[103:104], v[107:108]
	v_div_fixup_f64 v[103:104], v[101:102], v[97:98], v[99:100]
	v_fma_f64 v[97:98], v[99:100], v[103:104], v[97:98]
	v_div_scale_f64 v[99:100], s[6:7], v[97:98], v[97:98], 1.0
	v_div_scale_f64 v[107:108], vcc, 1.0, v[97:98], 1.0
	v_rcp_f64_e32 v[101:102], v[99:100]
	v_fma_f64 v[105:106], -v[99:100], v[101:102], 1.0
	v_fma_f64 v[101:102], v[101:102], v[105:106], v[101:102]
	v_fma_f64 v[105:106], -v[99:100], v[101:102], 1.0
	v_fma_f64 v[101:102], v[101:102], v[105:106], v[101:102]
	v_mul_f64 v[105:106], v[107:108], v[101:102]
	v_fma_f64 v[99:100], -v[99:100], v[105:106], v[107:108]
	v_div_fmas_f64 v[99:100], v[99:100], v[101:102], v[105:106]
	v_div_fixup_f64 v[101:102], v[99:100], v[97:98], 1.0
	v_mul_f64 v[103:104], v[103:104], -v[101:102]
.LBB67_196:
	s_or_b64 exec, exec, s[2:3]
	ds_write2_b64 v127, v[101:102], v[103:104] offset1:1
.LBB67_197:
	s_or_b64 exec, exec, s[4:5]
	s_waitcnt lgkmcnt(0)
	s_barrier
	ds_read2_b64 v[97:100], v127 offset1:1
	v_cmp_lt_u32_e32 vcc, 21, v126
	s_waitcnt lgkmcnt(0)
	buffer_store_dword v97, off, s[20:23], 0 offset:768 ; 4-byte Folded Spill
	s_nop 0
	buffer_store_dword v98, off, s[20:23], 0 offset:772 ; 4-byte Folded Spill
	buffer_store_dword v99, off, s[20:23], 0 offset:776 ; 4-byte Folded Spill
	;; [unrolled: 1-line block ×3, first 2 shown]
	s_and_saveexec_b64 s[2:3], vcc
	s_cbranch_execz .LBB67_199
; %bb.198:
	buffer_load_dword v99, off, s[20:23], 0 offset:768 ; 4-byte Folded Reload
	buffer_load_dword v100, off, s[20:23], 0 offset:772 ; 4-byte Folded Reload
	;; [unrolled: 1-line block ×4, first 2 shown]
	s_waitcnt vmcnt(2)
	v_mul_f64 v[97:98], v[99:100], v[47:48]
	s_waitcnt vmcnt(0)
	v_mul_f64 v[47:48], v[101:102], v[47:48]
	v_fma_f64 v[97:98], v[101:102], v[45:46], v[97:98]
	v_fma_f64 v[45:46], v[99:100], v[45:46], -v[47:48]
	ds_read2_b64 v[99:102], v125 offset0:44 offset1:45
	s_waitcnt lgkmcnt(0)
	v_mul_f64 v[47:48], v[101:102], v[97:98]
	v_fma_f64 v[47:48], v[99:100], v[45:46], -v[47:48]
	v_mul_f64 v[99:100], v[99:100], v[97:98]
	v_add_f64 v[41:42], v[41:42], -v[47:48]
	v_fma_f64 v[99:100], v[101:102], v[45:46], v[99:100]
	v_add_f64 v[43:44], v[43:44], -v[99:100]
	ds_read2_b64 v[99:102], v125 offset0:46 offset1:47
	s_waitcnt lgkmcnt(0)
	v_mul_f64 v[47:48], v[101:102], v[97:98]
	v_fma_f64 v[47:48], v[99:100], v[45:46], -v[47:48]
	v_mul_f64 v[99:100], v[99:100], v[97:98]
	v_add_f64 v[37:38], v[37:38], -v[47:48]
	v_fma_f64 v[99:100], v[101:102], v[45:46], v[99:100]
	v_add_f64 v[39:40], v[39:40], -v[99:100]
	;; [unrolled: 8-line block ×11, first 2 shown]
	ds_read2_b64 v[99:102], v125 offset0:66 offset1:67
	s_waitcnt lgkmcnt(0)
	v_mul_f64 v[47:48], v[101:102], v[97:98]
	v_fma_f64 v[47:48], v[99:100], v[45:46], -v[47:48]
	v_mul_f64 v[99:100], v[99:100], v[97:98]
	v_add_f64 v[121:122], v[121:122], -v[47:48]
	v_fma_f64 v[99:100], v[101:102], v[45:46], v[99:100]
	v_mov_b32_e32 v47, v97
	v_mov_b32_e32 v48, v98
	v_add_f64 v[123:124], v[123:124], -v[99:100]
.LBB67_199:
	s_or_b64 exec, exec, s[2:3]
	v_cmp_eq_u32_e32 vcc, 22, v126
	s_waitcnt vmcnt(0)
	s_barrier
	s_and_saveexec_b64 s[4:5], vcc
	s_cbranch_execz .LBB67_206
; %bb.200:
	ds_write2_b64 v127, v[41:42], v[43:44] offset1:1
	ds_write2_b64 v125, v[37:38], v[39:40] offset0:46 offset1:47
	ds_write2_b64 v125, v[33:34], v[35:36] offset0:48 offset1:49
	;; [unrolled: 1-line block ×11, first 2 shown]
	ds_read2_b64 v[97:100], v127 offset1:1
	s_waitcnt lgkmcnt(0)
	v_cmp_neq_f64_e32 vcc, 0, v[97:98]
	v_cmp_neq_f64_e64 s[2:3], 0, v[99:100]
	s_or_b64 s[2:3], vcc, s[2:3]
	s_and_b64 exec, exec, s[2:3]
	s_cbranch_execz .LBB67_206
; %bb.201:
	v_cmp_ngt_f64_e64 s[2:3], |v[97:98]|, |v[99:100]|
                                        ; implicit-def: $vgpr101_vgpr102
	s_and_saveexec_b64 s[6:7], s[2:3]
	s_xor_b64 s[2:3], exec, s[6:7]
                                        ; implicit-def: $vgpr103_vgpr104
	s_cbranch_execz .LBB67_203
; %bb.202:
	v_div_scale_f64 v[101:102], s[6:7], v[99:100], v[99:100], v[97:98]
	v_rcp_f64_e32 v[103:104], v[101:102]
	v_fma_f64 v[105:106], -v[101:102], v[103:104], 1.0
	v_fma_f64 v[103:104], v[103:104], v[105:106], v[103:104]
	v_div_scale_f64 v[105:106], vcc, v[97:98], v[99:100], v[97:98]
	v_fma_f64 v[107:108], -v[101:102], v[103:104], 1.0
	v_fma_f64 v[103:104], v[103:104], v[107:108], v[103:104]
	v_mul_f64 v[107:108], v[105:106], v[103:104]
	v_fma_f64 v[101:102], -v[101:102], v[107:108], v[105:106]
	v_div_fmas_f64 v[101:102], v[101:102], v[103:104], v[107:108]
	v_div_fixup_f64 v[101:102], v[101:102], v[99:100], v[97:98]
	v_fma_f64 v[97:98], v[97:98], v[101:102], v[99:100]
	v_div_scale_f64 v[99:100], s[6:7], v[97:98], v[97:98], 1.0
	v_div_scale_f64 v[107:108], vcc, 1.0, v[97:98], 1.0
	v_rcp_f64_e32 v[103:104], v[99:100]
	v_fma_f64 v[105:106], -v[99:100], v[103:104], 1.0
	v_fma_f64 v[103:104], v[103:104], v[105:106], v[103:104]
	v_fma_f64 v[105:106], -v[99:100], v[103:104], 1.0
	v_fma_f64 v[103:104], v[103:104], v[105:106], v[103:104]
	v_mul_f64 v[105:106], v[107:108], v[103:104]
	v_fma_f64 v[99:100], -v[99:100], v[105:106], v[107:108]
	v_div_fmas_f64 v[99:100], v[99:100], v[103:104], v[105:106]
	v_div_fixup_f64 v[103:104], v[99:100], v[97:98], 1.0
                                        ; implicit-def: $vgpr97_vgpr98
	v_mul_f64 v[101:102], v[101:102], v[103:104]
	v_xor_b32_e32 v104, 0x80000000, v104
.LBB67_203:
	s_andn2_saveexec_b64 s[2:3], s[2:3]
	s_cbranch_execz .LBB67_205
; %bb.204:
	v_div_scale_f64 v[101:102], s[6:7], v[97:98], v[97:98], v[99:100]
	v_rcp_f64_e32 v[103:104], v[101:102]
	v_fma_f64 v[105:106], -v[101:102], v[103:104], 1.0
	v_fma_f64 v[103:104], v[103:104], v[105:106], v[103:104]
	v_div_scale_f64 v[105:106], vcc, v[99:100], v[97:98], v[99:100]
	v_fma_f64 v[107:108], -v[101:102], v[103:104], 1.0
	v_fma_f64 v[103:104], v[103:104], v[107:108], v[103:104]
	v_mul_f64 v[107:108], v[105:106], v[103:104]
	v_fma_f64 v[101:102], -v[101:102], v[107:108], v[105:106]
	v_div_fmas_f64 v[101:102], v[101:102], v[103:104], v[107:108]
	v_div_fixup_f64 v[103:104], v[101:102], v[97:98], v[99:100]
	v_fma_f64 v[97:98], v[99:100], v[103:104], v[97:98]
	v_div_scale_f64 v[99:100], s[6:7], v[97:98], v[97:98], 1.0
	v_div_scale_f64 v[107:108], vcc, 1.0, v[97:98], 1.0
	v_rcp_f64_e32 v[101:102], v[99:100]
	v_fma_f64 v[105:106], -v[99:100], v[101:102], 1.0
	v_fma_f64 v[101:102], v[101:102], v[105:106], v[101:102]
	v_fma_f64 v[105:106], -v[99:100], v[101:102], 1.0
	v_fma_f64 v[101:102], v[101:102], v[105:106], v[101:102]
	v_mul_f64 v[105:106], v[107:108], v[101:102]
	v_fma_f64 v[99:100], -v[99:100], v[105:106], v[107:108]
	v_div_fmas_f64 v[99:100], v[99:100], v[101:102], v[105:106]
	v_div_fixup_f64 v[101:102], v[99:100], v[97:98], 1.0
	v_mul_f64 v[103:104], v[103:104], -v[101:102]
.LBB67_205:
	s_or_b64 exec, exec, s[2:3]
	ds_write2_b64 v127, v[101:102], v[103:104] offset1:1
.LBB67_206:
	s_or_b64 exec, exec, s[4:5]
	s_waitcnt lgkmcnt(0)
	s_barrier
	ds_read2_b64 v[97:100], v127 offset1:1
	v_cmp_lt_u32_e32 vcc, 22, v126
	s_waitcnt lgkmcnt(0)
	buffer_store_dword v97, off, s[20:23], 0 offset:784 ; 4-byte Folded Spill
	s_nop 0
	buffer_store_dword v98, off, s[20:23], 0 offset:788 ; 4-byte Folded Spill
	buffer_store_dword v99, off, s[20:23], 0 offset:792 ; 4-byte Folded Spill
	;; [unrolled: 1-line block ×3, first 2 shown]
	s_and_saveexec_b64 s[2:3], vcc
	s_cbranch_execz .LBB67_208
; %bb.207:
	buffer_load_dword v99, off, s[20:23], 0 offset:784 ; 4-byte Folded Reload
	buffer_load_dword v100, off, s[20:23], 0 offset:788 ; 4-byte Folded Reload
	;; [unrolled: 1-line block ×4, first 2 shown]
	s_waitcnt vmcnt(2)
	v_mul_f64 v[97:98], v[99:100], v[43:44]
	s_waitcnt vmcnt(0)
	v_mul_f64 v[43:44], v[101:102], v[43:44]
	v_fma_f64 v[97:98], v[101:102], v[41:42], v[97:98]
	v_fma_f64 v[41:42], v[99:100], v[41:42], -v[43:44]
	ds_read2_b64 v[99:102], v125 offset0:46 offset1:47
	s_waitcnt lgkmcnt(0)
	v_mul_f64 v[43:44], v[101:102], v[97:98]
	v_fma_f64 v[43:44], v[99:100], v[41:42], -v[43:44]
	v_mul_f64 v[99:100], v[99:100], v[97:98]
	v_add_f64 v[37:38], v[37:38], -v[43:44]
	v_fma_f64 v[99:100], v[101:102], v[41:42], v[99:100]
	v_add_f64 v[39:40], v[39:40], -v[99:100]
	ds_read2_b64 v[99:102], v125 offset0:48 offset1:49
	s_waitcnt lgkmcnt(0)
	v_mul_f64 v[43:44], v[101:102], v[97:98]
	v_fma_f64 v[43:44], v[99:100], v[41:42], -v[43:44]
	v_mul_f64 v[99:100], v[99:100], v[97:98]
	v_add_f64 v[33:34], v[33:34], -v[43:44]
	v_fma_f64 v[99:100], v[101:102], v[41:42], v[99:100]
	v_add_f64 v[35:36], v[35:36], -v[99:100]
	;; [unrolled: 8-line block ×10, first 2 shown]
	ds_read2_b64 v[99:102], v125 offset0:66 offset1:67
	s_waitcnt lgkmcnt(0)
	v_mul_f64 v[43:44], v[101:102], v[97:98]
	v_fma_f64 v[43:44], v[99:100], v[41:42], -v[43:44]
	v_mul_f64 v[99:100], v[99:100], v[97:98]
	v_add_f64 v[121:122], v[121:122], -v[43:44]
	v_fma_f64 v[99:100], v[101:102], v[41:42], v[99:100]
	v_mov_b32_e32 v43, v97
	v_mov_b32_e32 v44, v98
	v_add_f64 v[123:124], v[123:124], -v[99:100]
.LBB67_208:
	s_or_b64 exec, exec, s[2:3]
	v_cmp_eq_u32_e32 vcc, 23, v126
	s_waitcnt vmcnt(0)
	s_barrier
	s_and_saveexec_b64 s[4:5], vcc
	s_cbranch_execz .LBB67_215
; %bb.209:
	ds_write2_b64 v127, v[37:38], v[39:40] offset1:1
	ds_write2_b64 v125, v[33:34], v[35:36] offset0:48 offset1:49
	ds_write2_b64 v125, v[29:30], v[31:32] offset0:50 offset1:51
	;; [unrolled: 1-line block ×10, first 2 shown]
	ds_read2_b64 v[97:100], v127 offset1:1
	s_waitcnt lgkmcnt(0)
	v_cmp_neq_f64_e32 vcc, 0, v[97:98]
	v_cmp_neq_f64_e64 s[2:3], 0, v[99:100]
	s_or_b64 s[2:3], vcc, s[2:3]
	s_and_b64 exec, exec, s[2:3]
	s_cbranch_execz .LBB67_215
; %bb.210:
	v_cmp_ngt_f64_e64 s[2:3], |v[97:98]|, |v[99:100]|
                                        ; implicit-def: $vgpr101_vgpr102
	s_and_saveexec_b64 s[6:7], s[2:3]
	s_xor_b64 s[2:3], exec, s[6:7]
                                        ; implicit-def: $vgpr103_vgpr104
	s_cbranch_execz .LBB67_212
; %bb.211:
	v_div_scale_f64 v[101:102], s[6:7], v[99:100], v[99:100], v[97:98]
	v_rcp_f64_e32 v[103:104], v[101:102]
	v_fma_f64 v[105:106], -v[101:102], v[103:104], 1.0
	v_fma_f64 v[103:104], v[103:104], v[105:106], v[103:104]
	v_div_scale_f64 v[105:106], vcc, v[97:98], v[99:100], v[97:98]
	v_fma_f64 v[107:108], -v[101:102], v[103:104], 1.0
	v_fma_f64 v[103:104], v[103:104], v[107:108], v[103:104]
	v_mul_f64 v[107:108], v[105:106], v[103:104]
	v_fma_f64 v[101:102], -v[101:102], v[107:108], v[105:106]
	v_div_fmas_f64 v[101:102], v[101:102], v[103:104], v[107:108]
	v_div_fixup_f64 v[101:102], v[101:102], v[99:100], v[97:98]
	v_fma_f64 v[97:98], v[97:98], v[101:102], v[99:100]
	v_div_scale_f64 v[99:100], s[6:7], v[97:98], v[97:98], 1.0
	v_div_scale_f64 v[107:108], vcc, 1.0, v[97:98], 1.0
	v_rcp_f64_e32 v[103:104], v[99:100]
	v_fma_f64 v[105:106], -v[99:100], v[103:104], 1.0
	v_fma_f64 v[103:104], v[103:104], v[105:106], v[103:104]
	v_fma_f64 v[105:106], -v[99:100], v[103:104], 1.0
	v_fma_f64 v[103:104], v[103:104], v[105:106], v[103:104]
	v_mul_f64 v[105:106], v[107:108], v[103:104]
	v_fma_f64 v[99:100], -v[99:100], v[105:106], v[107:108]
	v_div_fmas_f64 v[99:100], v[99:100], v[103:104], v[105:106]
	v_div_fixup_f64 v[103:104], v[99:100], v[97:98], 1.0
                                        ; implicit-def: $vgpr97_vgpr98
	v_mul_f64 v[101:102], v[101:102], v[103:104]
	v_xor_b32_e32 v104, 0x80000000, v104
.LBB67_212:
	s_andn2_saveexec_b64 s[2:3], s[2:3]
	s_cbranch_execz .LBB67_214
; %bb.213:
	v_div_scale_f64 v[101:102], s[6:7], v[97:98], v[97:98], v[99:100]
	v_rcp_f64_e32 v[103:104], v[101:102]
	v_fma_f64 v[105:106], -v[101:102], v[103:104], 1.0
	v_fma_f64 v[103:104], v[103:104], v[105:106], v[103:104]
	v_div_scale_f64 v[105:106], vcc, v[99:100], v[97:98], v[99:100]
	v_fma_f64 v[107:108], -v[101:102], v[103:104], 1.0
	v_fma_f64 v[103:104], v[103:104], v[107:108], v[103:104]
	v_mul_f64 v[107:108], v[105:106], v[103:104]
	v_fma_f64 v[101:102], -v[101:102], v[107:108], v[105:106]
	v_div_fmas_f64 v[101:102], v[101:102], v[103:104], v[107:108]
	v_div_fixup_f64 v[103:104], v[101:102], v[97:98], v[99:100]
	v_fma_f64 v[97:98], v[99:100], v[103:104], v[97:98]
	v_div_scale_f64 v[99:100], s[6:7], v[97:98], v[97:98], 1.0
	v_div_scale_f64 v[107:108], vcc, 1.0, v[97:98], 1.0
	v_rcp_f64_e32 v[101:102], v[99:100]
	v_fma_f64 v[105:106], -v[99:100], v[101:102], 1.0
	v_fma_f64 v[101:102], v[101:102], v[105:106], v[101:102]
	v_fma_f64 v[105:106], -v[99:100], v[101:102], 1.0
	v_fma_f64 v[101:102], v[101:102], v[105:106], v[101:102]
	v_mul_f64 v[105:106], v[107:108], v[101:102]
	v_fma_f64 v[99:100], -v[99:100], v[105:106], v[107:108]
	v_div_fmas_f64 v[99:100], v[99:100], v[101:102], v[105:106]
	v_div_fixup_f64 v[101:102], v[99:100], v[97:98], 1.0
	v_mul_f64 v[103:104], v[103:104], -v[101:102]
.LBB67_214:
	s_or_b64 exec, exec, s[2:3]
	ds_write2_b64 v127, v[101:102], v[103:104] offset1:1
.LBB67_215:
	s_or_b64 exec, exec, s[4:5]
	s_waitcnt lgkmcnt(0)
	s_barrier
	ds_read2_b64 v[97:100], v127 offset1:1
	v_cmp_lt_u32_e32 vcc, 23, v126
	s_waitcnt lgkmcnt(0)
	buffer_store_dword v97, off, s[20:23], 0 offset:800 ; 4-byte Folded Spill
	s_nop 0
	buffer_store_dword v98, off, s[20:23], 0 offset:804 ; 4-byte Folded Spill
	buffer_store_dword v99, off, s[20:23], 0 offset:808 ; 4-byte Folded Spill
	;; [unrolled: 1-line block ×3, first 2 shown]
	s_and_saveexec_b64 s[2:3], vcc
	s_cbranch_execz .LBB67_217
; %bb.216:
	buffer_load_dword v99, off, s[20:23], 0 offset:800 ; 4-byte Folded Reload
	buffer_load_dword v100, off, s[20:23], 0 offset:804 ; 4-byte Folded Reload
	;; [unrolled: 1-line block ×4, first 2 shown]
	s_waitcnt vmcnt(2)
	v_mul_f64 v[97:98], v[99:100], v[39:40]
	s_waitcnt vmcnt(0)
	v_mul_f64 v[39:40], v[101:102], v[39:40]
	v_fma_f64 v[97:98], v[101:102], v[37:38], v[97:98]
	v_fma_f64 v[37:38], v[99:100], v[37:38], -v[39:40]
	ds_read2_b64 v[99:102], v125 offset0:48 offset1:49
	s_waitcnt lgkmcnt(0)
	v_mul_f64 v[39:40], v[101:102], v[97:98]
	v_fma_f64 v[39:40], v[99:100], v[37:38], -v[39:40]
	v_mul_f64 v[99:100], v[99:100], v[97:98]
	v_add_f64 v[33:34], v[33:34], -v[39:40]
	v_fma_f64 v[99:100], v[101:102], v[37:38], v[99:100]
	v_add_f64 v[35:36], v[35:36], -v[99:100]
	ds_read2_b64 v[99:102], v125 offset0:50 offset1:51
	s_waitcnt lgkmcnt(0)
	v_mul_f64 v[39:40], v[101:102], v[97:98]
	v_fma_f64 v[39:40], v[99:100], v[37:38], -v[39:40]
	v_mul_f64 v[99:100], v[99:100], v[97:98]
	v_add_f64 v[29:30], v[29:30], -v[39:40]
	v_fma_f64 v[99:100], v[101:102], v[37:38], v[99:100]
	v_add_f64 v[31:32], v[31:32], -v[99:100]
	;; [unrolled: 8-line block ×9, first 2 shown]
	ds_read2_b64 v[99:102], v125 offset0:66 offset1:67
	s_waitcnt lgkmcnt(0)
	v_mul_f64 v[39:40], v[101:102], v[97:98]
	v_fma_f64 v[39:40], v[99:100], v[37:38], -v[39:40]
	v_mul_f64 v[99:100], v[99:100], v[97:98]
	v_add_f64 v[121:122], v[121:122], -v[39:40]
	v_fma_f64 v[99:100], v[101:102], v[37:38], v[99:100]
	v_mov_b32_e32 v39, v97
	v_mov_b32_e32 v40, v98
	v_add_f64 v[123:124], v[123:124], -v[99:100]
.LBB67_217:
	s_or_b64 exec, exec, s[2:3]
	v_cmp_eq_u32_e32 vcc, 24, v126
	s_waitcnt vmcnt(0)
	s_barrier
	s_and_saveexec_b64 s[4:5], vcc
	s_cbranch_execz .LBB67_224
; %bb.218:
	ds_write2_b64 v127, v[33:34], v[35:36] offset1:1
	ds_write2_b64 v125, v[29:30], v[31:32] offset0:50 offset1:51
	ds_write2_b64 v125, v[25:26], v[27:28] offset0:52 offset1:53
	;; [unrolled: 1-line block ×9, first 2 shown]
	ds_read2_b64 v[97:100], v127 offset1:1
	s_waitcnt lgkmcnt(0)
	v_cmp_neq_f64_e32 vcc, 0, v[97:98]
	v_cmp_neq_f64_e64 s[2:3], 0, v[99:100]
	s_or_b64 s[2:3], vcc, s[2:3]
	s_and_b64 exec, exec, s[2:3]
	s_cbranch_execz .LBB67_224
; %bb.219:
	v_cmp_ngt_f64_e64 s[2:3], |v[97:98]|, |v[99:100]|
                                        ; implicit-def: $vgpr101_vgpr102
	s_and_saveexec_b64 s[6:7], s[2:3]
	s_xor_b64 s[2:3], exec, s[6:7]
                                        ; implicit-def: $vgpr103_vgpr104
	s_cbranch_execz .LBB67_221
; %bb.220:
	v_div_scale_f64 v[101:102], s[6:7], v[99:100], v[99:100], v[97:98]
	v_rcp_f64_e32 v[103:104], v[101:102]
	v_fma_f64 v[105:106], -v[101:102], v[103:104], 1.0
	v_fma_f64 v[103:104], v[103:104], v[105:106], v[103:104]
	v_div_scale_f64 v[105:106], vcc, v[97:98], v[99:100], v[97:98]
	v_fma_f64 v[107:108], -v[101:102], v[103:104], 1.0
	v_fma_f64 v[103:104], v[103:104], v[107:108], v[103:104]
	v_mul_f64 v[107:108], v[105:106], v[103:104]
	v_fma_f64 v[101:102], -v[101:102], v[107:108], v[105:106]
	v_div_fmas_f64 v[101:102], v[101:102], v[103:104], v[107:108]
	v_div_fixup_f64 v[101:102], v[101:102], v[99:100], v[97:98]
	v_fma_f64 v[97:98], v[97:98], v[101:102], v[99:100]
	v_div_scale_f64 v[99:100], s[6:7], v[97:98], v[97:98], 1.0
	v_div_scale_f64 v[107:108], vcc, 1.0, v[97:98], 1.0
	v_rcp_f64_e32 v[103:104], v[99:100]
	v_fma_f64 v[105:106], -v[99:100], v[103:104], 1.0
	v_fma_f64 v[103:104], v[103:104], v[105:106], v[103:104]
	v_fma_f64 v[105:106], -v[99:100], v[103:104], 1.0
	v_fma_f64 v[103:104], v[103:104], v[105:106], v[103:104]
	v_mul_f64 v[105:106], v[107:108], v[103:104]
	v_fma_f64 v[99:100], -v[99:100], v[105:106], v[107:108]
	v_div_fmas_f64 v[99:100], v[99:100], v[103:104], v[105:106]
	v_div_fixup_f64 v[103:104], v[99:100], v[97:98], 1.0
                                        ; implicit-def: $vgpr97_vgpr98
	v_mul_f64 v[101:102], v[101:102], v[103:104]
	v_xor_b32_e32 v104, 0x80000000, v104
.LBB67_221:
	s_andn2_saveexec_b64 s[2:3], s[2:3]
	s_cbranch_execz .LBB67_223
; %bb.222:
	v_div_scale_f64 v[101:102], s[6:7], v[97:98], v[97:98], v[99:100]
	v_rcp_f64_e32 v[103:104], v[101:102]
	v_fma_f64 v[105:106], -v[101:102], v[103:104], 1.0
	v_fma_f64 v[103:104], v[103:104], v[105:106], v[103:104]
	v_div_scale_f64 v[105:106], vcc, v[99:100], v[97:98], v[99:100]
	v_fma_f64 v[107:108], -v[101:102], v[103:104], 1.0
	v_fma_f64 v[103:104], v[103:104], v[107:108], v[103:104]
	v_mul_f64 v[107:108], v[105:106], v[103:104]
	v_fma_f64 v[101:102], -v[101:102], v[107:108], v[105:106]
	v_div_fmas_f64 v[101:102], v[101:102], v[103:104], v[107:108]
	v_div_fixup_f64 v[103:104], v[101:102], v[97:98], v[99:100]
	v_fma_f64 v[97:98], v[99:100], v[103:104], v[97:98]
	v_div_scale_f64 v[99:100], s[6:7], v[97:98], v[97:98], 1.0
	v_div_scale_f64 v[107:108], vcc, 1.0, v[97:98], 1.0
	v_rcp_f64_e32 v[101:102], v[99:100]
	v_fma_f64 v[105:106], -v[99:100], v[101:102], 1.0
	v_fma_f64 v[101:102], v[101:102], v[105:106], v[101:102]
	v_fma_f64 v[105:106], -v[99:100], v[101:102], 1.0
	v_fma_f64 v[101:102], v[101:102], v[105:106], v[101:102]
	v_mul_f64 v[105:106], v[107:108], v[101:102]
	v_fma_f64 v[99:100], -v[99:100], v[105:106], v[107:108]
	v_div_fmas_f64 v[99:100], v[99:100], v[101:102], v[105:106]
	v_div_fixup_f64 v[101:102], v[99:100], v[97:98], 1.0
	v_mul_f64 v[103:104], v[103:104], -v[101:102]
.LBB67_223:
	s_or_b64 exec, exec, s[2:3]
	ds_write2_b64 v127, v[101:102], v[103:104] offset1:1
.LBB67_224:
	s_or_b64 exec, exec, s[4:5]
	s_waitcnt lgkmcnt(0)
	s_barrier
	ds_read2_b64 v[97:100], v127 offset1:1
	v_cmp_lt_u32_e32 vcc, 24, v126
	s_waitcnt lgkmcnt(0)
	buffer_store_dword v97, off, s[20:23], 0 offset:816 ; 4-byte Folded Spill
	s_nop 0
	buffer_store_dword v98, off, s[20:23], 0 offset:820 ; 4-byte Folded Spill
	buffer_store_dword v99, off, s[20:23], 0 offset:824 ; 4-byte Folded Spill
	buffer_store_dword v100, off, s[20:23], 0 offset:828 ; 4-byte Folded Spill
	s_and_saveexec_b64 s[2:3], vcc
	s_cbranch_execz .LBB67_226
; %bb.225:
	buffer_load_dword v99, off, s[20:23], 0 offset:816 ; 4-byte Folded Reload
	buffer_load_dword v100, off, s[20:23], 0 offset:820 ; 4-byte Folded Reload
	;; [unrolled: 1-line block ×4, first 2 shown]
	s_waitcnt vmcnt(2)
	v_mul_f64 v[97:98], v[99:100], v[35:36]
	s_waitcnt vmcnt(0)
	v_mul_f64 v[35:36], v[101:102], v[35:36]
	v_fma_f64 v[97:98], v[101:102], v[33:34], v[97:98]
	v_fma_f64 v[33:34], v[99:100], v[33:34], -v[35:36]
	ds_read2_b64 v[99:102], v125 offset0:50 offset1:51
	s_waitcnt lgkmcnt(0)
	v_mul_f64 v[35:36], v[101:102], v[97:98]
	v_fma_f64 v[35:36], v[99:100], v[33:34], -v[35:36]
	v_mul_f64 v[99:100], v[99:100], v[97:98]
	v_add_f64 v[29:30], v[29:30], -v[35:36]
	v_fma_f64 v[99:100], v[101:102], v[33:34], v[99:100]
	v_add_f64 v[31:32], v[31:32], -v[99:100]
	ds_read2_b64 v[99:102], v125 offset0:52 offset1:53
	s_waitcnt lgkmcnt(0)
	v_mul_f64 v[35:36], v[101:102], v[97:98]
	v_fma_f64 v[35:36], v[99:100], v[33:34], -v[35:36]
	v_mul_f64 v[99:100], v[99:100], v[97:98]
	v_add_f64 v[25:26], v[25:26], -v[35:36]
	v_fma_f64 v[99:100], v[101:102], v[33:34], v[99:100]
	v_add_f64 v[27:28], v[27:28], -v[99:100]
	;; [unrolled: 8-line block ×8, first 2 shown]
	ds_read2_b64 v[99:102], v125 offset0:66 offset1:67
	s_waitcnt lgkmcnt(0)
	v_mul_f64 v[35:36], v[101:102], v[97:98]
	v_fma_f64 v[35:36], v[99:100], v[33:34], -v[35:36]
	v_mul_f64 v[99:100], v[99:100], v[97:98]
	v_add_f64 v[121:122], v[121:122], -v[35:36]
	v_fma_f64 v[99:100], v[101:102], v[33:34], v[99:100]
	v_mov_b32_e32 v35, v97
	v_mov_b32_e32 v36, v98
	v_add_f64 v[123:124], v[123:124], -v[99:100]
.LBB67_226:
	s_or_b64 exec, exec, s[2:3]
	v_cmp_eq_u32_e32 vcc, 25, v126
	s_waitcnt vmcnt(0)
	s_barrier
	s_and_saveexec_b64 s[4:5], vcc
	s_cbranch_execz .LBB67_233
; %bb.227:
	ds_write2_b64 v127, v[29:30], v[31:32] offset1:1
	ds_write2_b64 v125, v[25:26], v[27:28] offset0:52 offset1:53
	ds_write2_b64 v125, v[21:22], v[23:24] offset0:54 offset1:55
	;; [unrolled: 1-line block ×8, first 2 shown]
	ds_read2_b64 v[97:100], v127 offset1:1
	s_waitcnt lgkmcnt(0)
	v_cmp_neq_f64_e32 vcc, 0, v[97:98]
	v_cmp_neq_f64_e64 s[2:3], 0, v[99:100]
	s_or_b64 s[2:3], vcc, s[2:3]
	s_and_b64 exec, exec, s[2:3]
	s_cbranch_execz .LBB67_233
; %bb.228:
	v_cmp_ngt_f64_e64 s[2:3], |v[97:98]|, |v[99:100]|
                                        ; implicit-def: $vgpr101_vgpr102
	s_and_saveexec_b64 s[6:7], s[2:3]
	s_xor_b64 s[2:3], exec, s[6:7]
                                        ; implicit-def: $vgpr103_vgpr104
	s_cbranch_execz .LBB67_230
; %bb.229:
	v_div_scale_f64 v[101:102], s[6:7], v[99:100], v[99:100], v[97:98]
	v_rcp_f64_e32 v[103:104], v[101:102]
	v_fma_f64 v[105:106], -v[101:102], v[103:104], 1.0
	v_fma_f64 v[103:104], v[103:104], v[105:106], v[103:104]
	v_div_scale_f64 v[105:106], vcc, v[97:98], v[99:100], v[97:98]
	v_fma_f64 v[107:108], -v[101:102], v[103:104], 1.0
	v_fma_f64 v[103:104], v[103:104], v[107:108], v[103:104]
	v_mul_f64 v[107:108], v[105:106], v[103:104]
	v_fma_f64 v[101:102], -v[101:102], v[107:108], v[105:106]
	v_div_fmas_f64 v[101:102], v[101:102], v[103:104], v[107:108]
	v_div_fixup_f64 v[101:102], v[101:102], v[99:100], v[97:98]
	v_fma_f64 v[97:98], v[97:98], v[101:102], v[99:100]
	v_div_scale_f64 v[99:100], s[6:7], v[97:98], v[97:98], 1.0
	v_div_scale_f64 v[107:108], vcc, 1.0, v[97:98], 1.0
	v_rcp_f64_e32 v[103:104], v[99:100]
	v_fma_f64 v[105:106], -v[99:100], v[103:104], 1.0
	v_fma_f64 v[103:104], v[103:104], v[105:106], v[103:104]
	v_fma_f64 v[105:106], -v[99:100], v[103:104], 1.0
	v_fma_f64 v[103:104], v[103:104], v[105:106], v[103:104]
	v_mul_f64 v[105:106], v[107:108], v[103:104]
	v_fma_f64 v[99:100], -v[99:100], v[105:106], v[107:108]
	v_div_fmas_f64 v[99:100], v[99:100], v[103:104], v[105:106]
	v_div_fixup_f64 v[103:104], v[99:100], v[97:98], 1.0
                                        ; implicit-def: $vgpr97_vgpr98
	v_mul_f64 v[101:102], v[101:102], v[103:104]
	v_xor_b32_e32 v104, 0x80000000, v104
.LBB67_230:
	s_andn2_saveexec_b64 s[2:3], s[2:3]
	s_cbranch_execz .LBB67_232
; %bb.231:
	v_div_scale_f64 v[101:102], s[6:7], v[97:98], v[97:98], v[99:100]
	v_rcp_f64_e32 v[103:104], v[101:102]
	v_fma_f64 v[105:106], -v[101:102], v[103:104], 1.0
	v_fma_f64 v[103:104], v[103:104], v[105:106], v[103:104]
	v_div_scale_f64 v[105:106], vcc, v[99:100], v[97:98], v[99:100]
	v_fma_f64 v[107:108], -v[101:102], v[103:104], 1.0
	v_fma_f64 v[103:104], v[103:104], v[107:108], v[103:104]
	v_mul_f64 v[107:108], v[105:106], v[103:104]
	v_fma_f64 v[101:102], -v[101:102], v[107:108], v[105:106]
	v_div_fmas_f64 v[101:102], v[101:102], v[103:104], v[107:108]
	v_div_fixup_f64 v[103:104], v[101:102], v[97:98], v[99:100]
	v_fma_f64 v[97:98], v[99:100], v[103:104], v[97:98]
	v_div_scale_f64 v[99:100], s[6:7], v[97:98], v[97:98], 1.0
	v_div_scale_f64 v[107:108], vcc, 1.0, v[97:98], 1.0
	v_rcp_f64_e32 v[101:102], v[99:100]
	v_fma_f64 v[105:106], -v[99:100], v[101:102], 1.0
	v_fma_f64 v[101:102], v[101:102], v[105:106], v[101:102]
	v_fma_f64 v[105:106], -v[99:100], v[101:102], 1.0
	v_fma_f64 v[101:102], v[101:102], v[105:106], v[101:102]
	v_mul_f64 v[105:106], v[107:108], v[101:102]
	v_fma_f64 v[99:100], -v[99:100], v[105:106], v[107:108]
	v_div_fmas_f64 v[99:100], v[99:100], v[101:102], v[105:106]
	v_div_fixup_f64 v[101:102], v[99:100], v[97:98], 1.0
	v_mul_f64 v[103:104], v[103:104], -v[101:102]
.LBB67_232:
	s_or_b64 exec, exec, s[2:3]
	ds_write2_b64 v127, v[101:102], v[103:104] offset1:1
.LBB67_233:
	s_or_b64 exec, exec, s[4:5]
	s_waitcnt lgkmcnt(0)
	s_barrier
	ds_read2_b64 v[97:100], v127 offset1:1
	v_cmp_lt_u32_e32 vcc, 25, v126
	s_waitcnt lgkmcnt(0)
	buffer_store_dword v97, off, s[20:23], 0 offset:832 ; 4-byte Folded Spill
	s_nop 0
	buffer_store_dword v98, off, s[20:23], 0 offset:836 ; 4-byte Folded Spill
	buffer_store_dword v99, off, s[20:23], 0 offset:840 ; 4-byte Folded Spill
	;; [unrolled: 1-line block ×3, first 2 shown]
	s_and_saveexec_b64 s[2:3], vcc
	s_cbranch_execz .LBB67_235
; %bb.234:
	buffer_load_dword v99, off, s[20:23], 0 offset:832 ; 4-byte Folded Reload
	buffer_load_dword v100, off, s[20:23], 0 offset:836 ; 4-byte Folded Reload
	;; [unrolled: 1-line block ×4, first 2 shown]
	s_waitcnt vmcnt(2)
	v_mul_f64 v[97:98], v[99:100], v[31:32]
	s_waitcnt vmcnt(0)
	v_mul_f64 v[31:32], v[101:102], v[31:32]
	v_fma_f64 v[97:98], v[101:102], v[29:30], v[97:98]
	v_fma_f64 v[29:30], v[99:100], v[29:30], -v[31:32]
	ds_read2_b64 v[99:102], v125 offset0:52 offset1:53
	s_waitcnt lgkmcnt(0)
	v_mul_f64 v[31:32], v[101:102], v[97:98]
	v_fma_f64 v[31:32], v[99:100], v[29:30], -v[31:32]
	v_mul_f64 v[99:100], v[99:100], v[97:98]
	v_add_f64 v[25:26], v[25:26], -v[31:32]
	v_fma_f64 v[99:100], v[101:102], v[29:30], v[99:100]
	v_add_f64 v[27:28], v[27:28], -v[99:100]
	ds_read2_b64 v[99:102], v125 offset0:54 offset1:55
	s_waitcnt lgkmcnt(0)
	v_mul_f64 v[31:32], v[101:102], v[97:98]
	v_fma_f64 v[31:32], v[99:100], v[29:30], -v[31:32]
	v_mul_f64 v[99:100], v[99:100], v[97:98]
	v_add_f64 v[21:22], v[21:22], -v[31:32]
	v_fma_f64 v[99:100], v[101:102], v[29:30], v[99:100]
	v_add_f64 v[23:24], v[23:24], -v[99:100]
	;; [unrolled: 8-line block ×7, first 2 shown]
	ds_read2_b64 v[99:102], v125 offset0:66 offset1:67
	s_waitcnt lgkmcnt(0)
	v_mul_f64 v[31:32], v[101:102], v[97:98]
	v_fma_f64 v[31:32], v[99:100], v[29:30], -v[31:32]
	v_mul_f64 v[99:100], v[99:100], v[97:98]
	v_add_f64 v[121:122], v[121:122], -v[31:32]
	v_fma_f64 v[99:100], v[101:102], v[29:30], v[99:100]
	v_mov_b32_e32 v31, v97
	v_mov_b32_e32 v32, v98
	v_add_f64 v[123:124], v[123:124], -v[99:100]
.LBB67_235:
	s_or_b64 exec, exec, s[2:3]
	v_cmp_eq_u32_e32 vcc, 26, v126
	s_waitcnt vmcnt(0)
	s_barrier
	s_and_saveexec_b64 s[4:5], vcc
	s_cbranch_execz .LBB67_242
; %bb.236:
	ds_write2_b64 v127, v[25:26], v[27:28] offset1:1
	ds_write2_b64 v125, v[21:22], v[23:24] offset0:54 offset1:55
	ds_write2_b64 v125, v[17:18], v[19:20] offset0:56 offset1:57
	;; [unrolled: 1-line block ×7, first 2 shown]
	ds_read2_b64 v[97:100], v127 offset1:1
	s_waitcnt lgkmcnt(0)
	v_cmp_neq_f64_e32 vcc, 0, v[97:98]
	v_cmp_neq_f64_e64 s[2:3], 0, v[99:100]
	s_or_b64 s[2:3], vcc, s[2:3]
	s_and_b64 exec, exec, s[2:3]
	s_cbranch_execz .LBB67_242
; %bb.237:
	v_cmp_ngt_f64_e64 s[2:3], |v[97:98]|, |v[99:100]|
                                        ; implicit-def: $vgpr101_vgpr102
	s_and_saveexec_b64 s[6:7], s[2:3]
	s_xor_b64 s[2:3], exec, s[6:7]
                                        ; implicit-def: $vgpr103_vgpr104
	s_cbranch_execz .LBB67_239
; %bb.238:
	v_div_scale_f64 v[101:102], s[6:7], v[99:100], v[99:100], v[97:98]
	v_rcp_f64_e32 v[103:104], v[101:102]
	v_fma_f64 v[105:106], -v[101:102], v[103:104], 1.0
	v_fma_f64 v[103:104], v[103:104], v[105:106], v[103:104]
	v_div_scale_f64 v[105:106], vcc, v[97:98], v[99:100], v[97:98]
	v_fma_f64 v[107:108], -v[101:102], v[103:104], 1.0
	v_fma_f64 v[103:104], v[103:104], v[107:108], v[103:104]
	v_mul_f64 v[107:108], v[105:106], v[103:104]
	v_fma_f64 v[101:102], -v[101:102], v[107:108], v[105:106]
	v_div_fmas_f64 v[101:102], v[101:102], v[103:104], v[107:108]
	v_div_fixup_f64 v[101:102], v[101:102], v[99:100], v[97:98]
	v_fma_f64 v[97:98], v[97:98], v[101:102], v[99:100]
	v_div_scale_f64 v[99:100], s[6:7], v[97:98], v[97:98], 1.0
	v_div_scale_f64 v[107:108], vcc, 1.0, v[97:98], 1.0
	v_rcp_f64_e32 v[103:104], v[99:100]
	v_fma_f64 v[105:106], -v[99:100], v[103:104], 1.0
	v_fma_f64 v[103:104], v[103:104], v[105:106], v[103:104]
	v_fma_f64 v[105:106], -v[99:100], v[103:104], 1.0
	v_fma_f64 v[103:104], v[103:104], v[105:106], v[103:104]
	v_mul_f64 v[105:106], v[107:108], v[103:104]
	v_fma_f64 v[99:100], -v[99:100], v[105:106], v[107:108]
	v_div_fmas_f64 v[99:100], v[99:100], v[103:104], v[105:106]
	v_div_fixup_f64 v[103:104], v[99:100], v[97:98], 1.0
                                        ; implicit-def: $vgpr97_vgpr98
	v_mul_f64 v[101:102], v[101:102], v[103:104]
	v_xor_b32_e32 v104, 0x80000000, v104
.LBB67_239:
	s_andn2_saveexec_b64 s[2:3], s[2:3]
	s_cbranch_execz .LBB67_241
; %bb.240:
	v_div_scale_f64 v[101:102], s[6:7], v[97:98], v[97:98], v[99:100]
	v_rcp_f64_e32 v[103:104], v[101:102]
	v_fma_f64 v[105:106], -v[101:102], v[103:104], 1.0
	v_fma_f64 v[103:104], v[103:104], v[105:106], v[103:104]
	v_div_scale_f64 v[105:106], vcc, v[99:100], v[97:98], v[99:100]
	v_fma_f64 v[107:108], -v[101:102], v[103:104], 1.0
	v_fma_f64 v[103:104], v[103:104], v[107:108], v[103:104]
	v_mul_f64 v[107:108], v[105:106], v[103:104]
	v_fma_f64 v[101:102], -v[101:102], v[107:108], v[105:106]
	v_div_fmas_f64 v[101:102], v[101:102], v[103:104], v[107:108]
	v_div_fixup_f64 v[103:104], v[101:102], v[97:98], v[99:100]
	v_fma_f64 v[97:98], v[99:100], v[103:104], v[97:98]
	v_div_scale_f64 v[99:100], s[6:7], v[97:98], v[97:98], 1.0
	v_div_scale_f64 v[107:108], vcc, 1.0, v[97:98], 1.0
	v_rcp_f64_e32 v[101:102], v[99:100]
	v_fma_f64 v[105:106], -v[99:100], v[101:102], 1.0
	v_fma_f64 v[101:102], v[101:102], v[105:106], v[101:102]
	v_fma_f64 v[105:106], -v[99:100], v[101:102], 1.0
	v_fma_f64 v[101:102], v[101:102], v[105:106], v[101:102]
	v_mul_f64 v[105:106], v[107:108], v[101:102]
	v_fma_f64 v[99:100], -v[99:100], v[105:106], v[107:108]
	v_div_fmas_f64 v[99:100], v[99:100], v[101:102], v[105:106]
	v_div_fixup_f64 v[101:102], v[99:100], v[97:98], 1.0
	v_mul_f64 v[103:104], v[103:104], -v[101:102]
.LBB67_241:
	s_or_b64 exec, exec, s[2:3]
	ds_write2_b64 v127, v[101:102], v[103:104] offset1:1
.LBB67_242:
	s_or_b64 exec, exec, s[4:5]
	s_waitcnt lgkmcnt(0)
	s_barrier
	ds_read2_b64 v[97:100], v127 offset1:1
	v_cmp_lt_u32_e32 vcc, 26, v126
	s_waitcnt lgkmcnt(0)
	buffer_store_dword v97, off, s[20:23], 0 offset:848 ; 4-byte Folded Spill
	s_nop 0
	buffer_store_dword v98, off, s[20:23], 0 offset:852 ; 4-byte Folded Spill
	buffer_store_dword v99, off, s[20:23], 0 offset:856 ; 4-byte Folded Spill
	;; [unrolled: 1-line block ×3, first 2 shown]
	s_and_saveexec_b64 s[2:3], vcc
	s_cbranch_execz .LBB67_244
; %bb.243:
	buffer_load_dword v99, off, s[20:23], 0 offset:848 ; 4-byte Folded Reload
	buffer_load_dword v100, off, s[20:23], 0 offset:852 ; 4-byte Folded Reload
	;; [unrolled: 1-line block ×4, first 2 shown]
	s_waitcnt vmcnt(2)
	v_mul_f64 v[97:98], v[99:100], v[27:28]
	s_waitcnt vmcnt(0)
	v_mul_f64 v[27:28], v[101:102], v[27:28]
	v_fma_f64 v[97:98], v[101:102], v[25:26], v[97:98]
	v_fma_f64 v[25:26], v[99:100], v[25:26], -v[27:28]
	ds_read2_b64 v[99:102], v125 offset0:54 offset1:55
	s_waitcnt lgkmcnt(0)
	v_mul_f64 v[27:28], v[101:102], v[97:98]
	v_fma_f64 v[27:28], v[99:100], v[25:26], -v[27:28]
	v_mul_f64 v[99:100], v[99:100], v[97:98]
	v_add_f64 v[21:22], v[21:22], -v[27:28]
	v_fma_f64 v[99:100], v[101:102], v[25:26], v[99:100]
	v_add_f64 v[23:24], v[23:24], -v[99:100]
	ds_read2_b64 v[99:102], v125 offset0:56 offset1:57
	s_waitcnt lgkmcnt(0)
	v_mul_f64 v[27:28], v[101:102], v[97:98]
	v_fma_f64 v[27:28], v[99:100], v[25:26], -v[27:28]
	v_mul_f64 v[99:100], v[99:100], v[97:98]
	v_add_f64 v[17:18], v[17:18], -v[27:28]
	v_fma_f64 v[99:100], v[101:102], v[25:26], v[99:100]
	v_add_f64 v[19:20], v[19:20], -v[99:100]
	;; [unrolled: 8-line block ×6, first 2 shown]
	ds_read2_b64 v[99:102], v125 offset0:66 offset1:67
	s_waitcnt lgkmcnt(0)
	v_mul_f64 v[27:28], v[101:102], v[97:98]
	v_fma_f64 v[27:28], v[99:100], v[25:26], -v[27:28]
	v_mul_f64 v[99:100], v[99:100], v[97:98]
	v_add_f64 v[121:122], v[121:122], -v[27:28]
	v_fma_f64 v[99:100], v[101:102], v[25:26], v[99:100]
	v_mov_b32_e32 v27, v97
	v_mov_b32_e32 v28, v98
	v_add_f64 v[123:124], v[123:124], -v[99:100]
.LBB67_244:
	s_or_b64 exec, exec, s[2:3]
	v_cmp_eq_u32_e32 vcc, 27, v126
	s_waitcnt vmcnt(0)
	s_barrier
	s_and_saveexec_b64 s[4:5], vcc
	s_cbranch_execz .LBB67_251
; %bb.245:
	ds_write2_b64 v127, v[21:22], v[23:24] offset1:1
	ds_write2_b64 v125, v[17:18], v[19:20] offset0:56 offset1:57
	ds_write2_b64 v125, v[13:14], v[15:16] offset0:58 offset1:59
	;; [unrolled: 1-line block ×6, first 2 shown]
	ds_read2_b64 v[97:100], v127 offset1:1
	s_waitcnt lgkmcnt(0)
	v_cmp_neq_f64_e32 vcc, 0, v[97:98]
	v_cmp_neq_f64_e64 s[2:3], 0, v[99:100]
	s_or_b64 s[2:3], vcc, s[2:3]
	s_and_b64 exec, exec, s[2:3]
	s_cbranch_execz .LBB67_251
; %bb.246:
	v_cmp_ngt_f64_e64 s[2:3], |v[97:98]|, |v[99:100]|
                                        ; implicit-def: $vgpr101_vgpr102
	s_and_saveexec_b64 s[6:7], s[2:3]
	s_xor_b64 s[2:3], exec, s[6:7]
                                        ; implicit-def: $vgpr103_vgpr104
	s_cbranch_execz .LBB67_248
; %bb.247:
	v_div_scale_f64 v[101:102], s[6:7], v[99:100], v[99:100], v[97:98]
	v_rcp_f64_e32 v[103:104], v[101:102]
	v_fma_f64 v[105:106], -v[101:102], v[103:104], 1.0
	v_fma_f64 v[103:104], v[103:104], v[105:106], v[103:104]
	v_div_scale_f64 v[105:106], vcc, v[97:98], v[99:100], v[97:98]
	v_fma_f64 v[107:108], -v[101:102], v[103:104], 1.0
	v_fma_f64 v[103:104], v[103:104], v[107:108], v[103:104]
	v_mul_f64 v[107:108], v[105:106], v[103:104]
	v_fma_f64 v[101:102], -v[101:102], v[107:108], v[105:106]
	v_div_fmas_f64 v[101:102], v[101:102], v[103:104], v[107:108]
	v_div_fixup_f64 v[101:102], v[101:102], v[99:100], v[97:98]
	v_fma_f64 v[97:98], v[97:98], v[101:102], v[99:100]
	v_div_scale_f64 v[99:100], s[6:7], v[97:98], v[97:98], 1.0
	v_div_scale_f64 v[107:108], vcc, 1.0, v[97:98], 1.0
	v_rcp_f64_e32 v[103:104], v[99:100]
	v_fma_f64 v[105:106], -v[99:100], v[103:104], 1.0
	v_fma_f64 v[103:104], v[103:104], v[105:106], v[103:104]
	v_fma_f64 v[105:106], -v[99:100], v[103:104], 1.0
	v_fma_f64 v[103:104], v[103:104], v[105:106], v[103:104]
	v_mul_f64 v[105:106], v[107:108], v[103:104]
	v_fma_f64 v[99:100], -v[99:100], v[105:106], v[107:108]
	v_div_fmas_f64 v[99:100], v[99:100], v[103:104], v[105:106]
	v_div_fixup_f64 v[103:104], v[99:100], v[97:98], 1.0
                                        ; implicit-def: $vgpr97_vgpr98
	v_mul_f64 v[101:102], v[101:102], v[103:104]
	v_xor_b32_e32 v104, 0x80000000, v104
.LBB67_248:
	s_andn2_saveexec_b64 s[2:3], s[2:3]
	s_cbranch_execz .LBB67_250
; %bb.249:
	v_div_scale_f64 v[101:102], s[6:7], v[97:98], v[97:98], v[99:100]
	v_rcp_f64_e32 v[103:104], v[101:102]
	v_fma_f64 v[105:106], -v[101:102], v[103:104], 1.0
	v_fma_f64 v[103:104], v[103:104], v[105:106], v[103:104]
	v_div_scale_f64 v[105:106], vcc, v[99:100], v[97:98], v[99:100]
	v_fma_f64 v[107:108], -v[101:102], v[103:104], 1.0
	v_fma_f64 v[103:104], v[103:104], v[107:108], v[103:104]
	v_mul_f64 v[107:108], v[105:106], v[103:104]
	v_fma_f64 v[101:102], -v[101:102], v[107:108], v[105:106]
	v_div_fmas_f64 v[101:102], v[101:102], v[103:104], v[107:108]
	v_div_fixup_f64 v[103:104], v[101:102], v[97:98], v[99:100]
	v_fma_f64 v[97:98], v[99:100], v[103:104], v[97:98]
	v_div_scale_f64 v[99:100], s[6:7], v[97:98], v[97:98], 1.0
	v_div_scale_f64 v[107:108], vcc, 1.0, v[97:98], 1.0
	v_rcp_f64_e32 v[101:102], v[99:100]
	v_fma_f64 v[105:106], -v[99:100], v[101:102], 1.0
	v_fma_f64 v[101:102], v[101:102], v[105:106], v[101:102]
	v_fma_f64 v[105:106], -v[99:100], v[101:102], 1.0
	v_fma_f64 v[101:102], v[101:102], v[105:106], v[101:102]
	v_mul_f64 v[105:106], v[107:108], v[101:102]
	v_fma_f64 v[99:100], -v[99:100], v[105:106], v[107:108]
	v_div_fmas_f64 v[99:100], v[99:100], v[101:102], v[105:106]
	v_div_fixup_f64 v[101:102], v[99:100], v[97:98], 1.0
	v_mul_f64 v[103:104], v[103:104], -v[101:102]
.LBB67_250:
	s_or_b64 exec, exec, s[2:3]
	ds_write2_b64 v127, v[101:102], v[103:104] offset1:1
.LBB67_251:
	s_or_b64 exec, exec, s[4:5]
	s_waitcnt lgkmcnt(0)
	s_barrier
	ds_read2_b64 v[97:100], v127 offset1:1
	v_cmp_lt_u32_e32 vcc, 27, v126
	s_waitcnt lgkmcnt(0)
	buffer_store_dword v97, off, s[20:23], 0 offset:864 ; 4-byte Folded Spill
	s_nop 0
	buffer_store_dword v98, off, s[20:23], 0 offset:868 ; 4-byte Folded Spill
	buffer_store_dword v99, off, s[20:23], 0 offset:872 ; 4-byte Folded Spill
	;; [unrolled: 1-line block ×3, first 2 shown]
	s_and_saveexec_b64 s[2:3], vcc
	s_cbranch_execz .LBB67_253
; %bb.252:
	buffer_load_dword v99, off, s[20:23], 0 offset:864 ; 4-byte Folded Reload
	buffer_load_dword v100, off, s[20:23], 0 offset:868 ; 4-byte Folded Reload
	;; [unrolled: 1-line block ×4, first 2 shown]
	s_waitcnt vmcnt(2)
	v_mul_f64 v[97:98], v[99:100], v[23:24]
	s_waitcnt vmcnt(0)
	v_mul_f64 v[23:24], v[101:102], v[23:24]
	v_fma_f64 v[97:98], v[101:102], v[21:22], v[97:98]
	v_fma_f64 v[21:22], v[99:100], v[21:22], -v[23:24]
	ds_read2_b64 v[99:102], v125 offset0:56 offset1:57
	s_waitcnt lgkmcnt(0)
	v_mul_f64 v[23:24], v[101:102], v[97:98]
	v_fma_f64 v[23:24], v[99:100], v[21:22], -v[23:24]
	v_mul_f64 v[99:100], v[99:100], v[97:98]
	v_add_f64 v[17:18], v[17:18], -v[23:24]
	v_fma_f64 v[99:100], v[101:102], v[21:22], v[99:100]
	v_add_f64 v[19:20], v[19:20], -v[99:100]
	ds_read2_b64 v[99:102], v125 offset0:58 offset1:59
	s_waitcnt lgkmcnt(0)
	v_mul_f64 v[23:24], v[101:102], v[97:98]
	v_fma_f64 v[23:24], v[99:100], v[21:22], -v[23:24]
	v_mul_f64 v[99:100], v[99:100], v[97:98]
	v_add_f64 v[13:14], v[13:14], -v[23:24]
	v_fma_f64 v[99:100], v[101:102], v[21:22], v[99:100]
	v_add_f64 v[15:16], v[15:16], -v[99:100]
	;; [unrolled: 8-line block ×5, first 2 shown]
	ds_read2_b64 v[99:102], v125 offset0:66 offset1:67
	s_waitcnt lgkmcnt(0)
	v_mul_f64 v[23:24], v[101:102], v[97:98]
	v_fma_f64 v[23:24], v[99:100], v[21:22], -v[23:24]
	v_mul_f64 v[99:100], v[99:100], v[97:98]
	v_add_f64 v[121:122], v[121:122], -v[23:24]
	v_fma_f64 v[99:100], v[101:102], v[21:22], v[99:100]
	v_mov_b32_e32 v23, v97
	v_mov_b32_e32 v24, v98
	v_add_f64 v[123:124], v[123:124], -v[99:100]
.LBB67_253:
	s_or_b64 exec, exec, s[2:3]
	v_cmp_eq_u32_e32 vcc, 28, v126
	s_waitcnt vmcnt(0)
	s_barrier
	s_and_saveexec_b64 s[4:5], vcc
	s_cbranch_execz .LBB67_260
; %bb.254:
	ds_write2_b64 v127, v[17:18], v[19:20] offset1:1
	ds_write2_b64 v125, v[13:14], v[15:16] offset0:58 offset1:59
	ds_write2_b64 v125, v[9:10], v[11:12] offset0:60 offset1:61
	;; [unrolled: 1-line block ×5, first 2 shown]
	ds_read2_b64 v[97:100], v127 offset1:1
	s_waitcnt lgkmcnt(0)
	v_cmp_neq_f64_e32 vcc, 0, v[97:98]
	v_cmp_neq_f64_e64 s[2:3], 0, v[99:100]
	s_or_b64 s[2:3], vcc, s[2:3]
	s_and_b64 exec, exec, s[2:3]
	s_cbranch_execz .LBB67_260
; %bb.255:
	v_cmp_ngt_f64_e64 s[2:3], |v[97:98]|, |v[99:100]|
                                        ; implicit-def: $vgpr101_vgpr102
	s_and_saveexec_b64 s[6:7], s[2:3]
	s_xor_b64 s[2:3], exec, s[6:7]
                                        ; implicit-def: $vgpr103_vgpr104
	s_cbranch_execz .LBB67_257
; %bb.256:
	v_div_scale_f64 v[101:102], s[6:7], v[99:100], v[99:100], v[97:98]
	v_rcp_f64_e32 v[103:104], v[101:102]
	v_fma_f64 v[105:106], -v[101:102], v[103:104], 1.0
	v_fma_f64 v[103:104], v[103:104], v[105:106], v[103:104]
	v_div_scale_f64 v[105:106], vcc, v[97:98], v[99:100], v[97:98]
	v_fma_f64 v[107:108], -v[101:102], v[103:104], 1.0
	v_fma_f64 v[103:104], v[103:104], v[107:108], v[103:104]
	v_mul_f64 v[107:108], v[105:106], v[103:104]
	v_fma_f64 v[101:102], -v[101:102], v[107:108], v[105:106]
	v_div_fmas_f64 v[101:102], v[101:102], v[103:104], v[107:108]
	v_div_fixup_f64 v[101:102], v[101:102], v[99:100], v[97:98]
	v_fma_f64 v[97:98], v[97:98], v[101:102], v[99:100]
	v_div_scale_f64 v[99:100], s[6:7], v[97:98], v[97:98], 1.0
	v_div_scale_f64 v[107:108], vcc, 1.0, v[97:98], 1.0
	v_rcp_f64_e32 v[103:104], v[99:100]
	v_fma_f64 v[105:106], -v[99:100], v[103:104], 1.0
	v_fma_f64 v[103:104], v[103:104], v[105:106], v[103:104]
	v_fma_f64 v[105:106], -v[99:100], v[103:104], 1.0
	v_fma_f64 v[103:104], v[103:104], v[105:106], v[103:104]
	v_mul_f64 v[105:106], v[107:108], v[103:104]
	v_fma_f64 v[99:100], -v[99:100], v[105:106], v[107:108]
	v_div_fmas_f64 v[99:100], v[99:100], v[103:104], v[105:106]
	v_div_fixup_f64 v[103:104], v[99:100], v[97:98], 1.0
                                        ; implicit-def: $vgpr97_vgpr98
	v_mul_f64 v[101:102], v[101:102], v[103:104]
	v_xor_b32_e32 v104, 0x80000000, v104
.LBB67_257:
	s_andn2_saveexec_b64 s[2:3], s[2:3]
	s_cbranch_execz .LBB67_259
; %bb.258:
	v_div_scale_f64 v[101:102], s[6:7], v[97:98], v[97:98], v[99:100]
	v_rcp_f64_e32 v[103:104], v[101:102]
	v_fma_f64 v[105:106], -v[101:102], v[103:104], 1.0
	v_fma_f64 v[103:104], v[103:104], v[105:106], v[103:104]
	v_div_scale_f64 v[105:106], vcc, v[99:100], v[97:98], v[99:100]
	v_fma_f64 v[107:108], -v[101:102], v[103:104], 1.0
	v_fma_f64 v[103:104], v[103:104], v[107:108], v[103:104]
	v_mul_f64 v[107:108], v[105:106], v[103:104]
	v_fma_f64 v[101:102], -v[101:102], v[107:108], v[105:106]
	v_div_fmas_f64 v[101:102], v[101:102], v[103:104], v[107:108]
	v_div_fixup_f64 v[103:104], v[101:102], v[97:98], v[99:100]
	v_fma_f64 v[97:98], v[99:100], v[103:104], v[97:98]
	v_div_scale_f64 v[99:100], s[6:7], v[97:98], v[97:98], 1.0
	v_div_scale_f64 v[107:108], vcc, 1.0, v[97:98], 1.0
	v_rcp_f64_e32 v[101:102], v[99:100]
	v_fma_f64 v[105:106], -v[99:100], v[101:102], 1.0
	v_fma_f64 v[101:102], v[101:102], v[105:106], v[101:102]
	v_fma_f64 v[105:106], -v[99:100], v[101:102], 1.0
	v_fma_f64 v[101:102], v[101:102], v[105:106], v[101:102]
	v_mul_f64 v[105:106], v[107:108], v[101:102]
	v_fma_f64 v[99:100], -v[99:100], v[105:106], v[107:108]
	v_div_fmas_f64 v[99:100], v[99:100], v[101:102], v[105:106]
	v_div_fixup_f64 v[101:102], v[99:100], v[97:98], 1.0
	v_mul_f64 v[103:104], v[103:104], -v[101:102]
.LBB67_259:
	s_or_b64 exec, exec, s[2:3]
	ds_write2_b64 v127, v[101:102], v[103:104] offset1:1
.LBB67_260:
	s_or_b64 exec, exec, s[4:5]
	s_waitcnt lgkmcnt(0)
	s_barrier
	ds_read2_b64 v[97:100], v127 offset1:1
	v_cmp_lt_u32_e32 vcc, 28, v126
	s_waitcnt lgkmcnt(0)
	buffer_store_dword v97, off, s[20:23], 0 offset:880 ; 4-byte Folded Spill
	s_nop 0
	buffer_store_dword v98, off, s[20:23], 0 offset:884 ; 4-byte Folded Spill
	buffer_store_dword v99, off, s[20:23], 0 offset:888 ; 4-byte Folded Spill
	;; [unrolled: 1-line block ×3, first 2 shown]
	s_and_saveexec_b64 s[2:3], vcc
	s_cbranch_execz .LBB67_262
; %bb.261:
	buffer_load_dword v103, off, s[20:23], 0 offset:880 ; 4-byte Folded Reload
	buffer_load_dword v104, off, s[20:23], 0 offset:884 ; 4-byte Folded Reload
	;; [unrolled: 1-line block ×4, first 2 shown]
	s_waitcnt vmcnt(2)
	v_mul_f64 v[97:98], v[103:104], v[19:20]
	s_waitcnt vmcnt(0)
	v_mul_f64 v[19:20], v[105:106], v[19:20]
	v_fma_f64 v[101:102], v[105:106], v[17:18], v[97:98]
	ds_read2_b64 v[97:100], v125 offset0:58 offset1:59
	v_fma_f64 v[17:18], v[103:104], v[17:18], -v[19:20]
	s_waitcnt lgkmcnt(0)
	v_mul_f64 v[19:20], v[99:100], v[101:102]
	v_fma_f64 v[19:20], v[97:98], v[17:18], -v[19:20]
	v_mul_f64 v[97:98], v[97:98], v[101:102]
	v_add_f64 v[13:14], v[13:14], -v[19:20]
	v_fma_f64 v[97:98], v[99:100], v[17:18], v[97:98]
	v_add_f64 v[15:16], v[15:16], -v[97:98]
	ds_read2_b64 v[97:100], v125 offset0:60 offset1:61
	s_waitcnt lgkmcnt(0)
	v_mul_f64 v[19:20], v[99:100], v[101:102]
	v_fma_f64 v[19:20], v[97:98], v[17:18], -v[19:20]
	v_mul_f64 v[97:98], v[97:98], v[101:102]
	v_add_f64 v[9:10], v[9:10], -v[19:20]
	v_fma_f64 v[97:98], v[99:100], v[17:18], v[97:98]
	v_add_f64 v[11:12], v[11:12], -v[97:98]
	ds_read2_b64 v[97:100], v125 offset0:62 offset1:63
	;; [unrolled: 8-line block ×4, first 2 shown]
	s_waitcnt lgkmcnt(0)
	v_mul_f64 v[19:20], v[99:100], v[101:102]
	v_fma_f64 v[19:20], v[97:98], v[17:18], -v[19:20]
	v_mul_f64 v[97:98], v[97:98], v[101:102]
	v_add_f64 v[121:122], v[121:122], -v[19:20]
	v_fma_f64 v[97:98], v[99:100], v[17:18], v[97:98]
	v_mov_b32_e32 v19, v101
	v_mov_b32_e32 v20, v102
	v_add_f64 v[123:124], v[123:124], -v[97:98]
.LBB67_262:
	s_or_b64 exec, exec, s[2:3]
	v_cmp_eq_u32_e32 vcc, 29, v126
	s_waitcnt vmcnt(0)
	s_barrier
	s_and_saveexec_b64 s[4:5], vcc
	s_cbranch_execz .LBB67_269
; %bb.263:
	ds_write2_b64 v127, v[13:14], v[15:16] offset1:1
	ds_write2_b64 v125, v[9:10], v[11:12] offset0:60 offset1:61
	ds_write2_b64 v125, v[5:6], v[7:8] offset0:62 offset1:63
	;; [unrolled: 1-line block ×4, first 2 shown]
	ds_read2_b64 v[97:100], v127 offset1:1
	s_waitcnt lgkmcnt(0)
	v_cmp_neq_f64_e32 vcc, 0, v[97:98]
	v_cmp_neq_f64_e64 s[2:3], 0, v[99:100]
	s_or_b64 s[2:3], vcc, s[2:3]
	s_and_b64 exec, exec, s[2:3]
	s_cbranch_execz .LBB67_269
; %bb.264:
	v_cmp_ngt_f64_e64 s[2:3], |v[97:98]|, |v[99:100]|
                                        ; implicit-def: $vgpr101_vgpr102
	s_and_saveexec_b64 s[6:7], s[2:3]
	s_xor_b64 s[2:3], exec, s[6:7]
                                        ; implicit-def: $vgpr103_vgpr104
	s_cbranch_execz .LBB67_266
; %bb.265:
	v_div_scale_f64 v[101:102], s[6:7], v[99:100], v[99:100], v[97:98]
	v_rcp_f64_e32 v[103:104], v[101:102]
	v_fma_f64 v[105:106], -v[101:102], v[103:104], 1.0
	v_fma_f64 v[103:104], v[103:104], v[105:106], v[103:104]
	v_div_scale_f64 v[105:106], vcc, v[97:98], v[99:100], v[97:98]
	v_fma_f64 v[107:108], -v[101:102], v[103:104], 1.0
	v_fma_f64 v[103:104], v[103:104], v[107:108], v[103:104]
	v_mul_f64 v[107:108], v[105:106], v[103:104]
	v_fma_f64 v[101:102], -v[101:102], v[107:108], v[105:106]
	v_div_fmas_f64 v[101:102], v[101:102], v[103:104], v[107:108]
	v_div_fixup_f64 v[101:102], v[101:102], v[99:100], v[97:98]
	v_fma_f64 v[97:98], v[97:98], v[101:102], v[99:100]
	v_div_scale_f64 v[99:100], s[6:7], v[97:98], v[97:98], 1.0
	v_div_scale_f64 v[107:108], vcc, 1.0, v[97:98], 1.0
	v_rcp_f64_e32 v[103:104], v[99:100]
	v_fma_f64 v[105:106], -v[99:100], v[103:104], 1.0
	v_fma_f64 v[103:104], v[103:104], v[105:106], v[103:104]
	v_fma_f64 v[105:106], -v[99:100], v[103:104], 1.0
	v_fma_f64 v[103:104], v[103:104], v[105:106], v[103:104]
	v_mul_f64 v[105:106], v[107:108], v[103:104]
	v_fma_f64 v[99:100], -v[99:100], v[105:106], v[107:108]
	v_div_fmas_f64 v[99:100], v[99:100], v[103:104], v[105:106]
	v_div_fixup_f64 v[103:104], v[99:100], v[97:98], 1.0
                                        ; implicit-def: $vgpr97_vgpr98
	v_mul_f64 v[101:102], v[101:102], v[103:104]
	v_xor_b32_e32 v104, 0x80000000, v104
.LBB67_266:
	s_andn2_saveexec_b64 s[2:3], s[2:3]
	s_cbranch_execz .LBB67_268
; %bb.267:
	v_div_scale_f64 v[101:102], s[6:7], v[97:98], v[97:98], v[99:100]
	v_rcp_f64_e32 v[103:104], v[101:102]
	v_fma_f64 v[105:106], -v[101:102], v[103:104], 1.0
	v_fma_f64 v[103:104], v[103:104], v[105:106], v[103:104]
	v_div_scale_f64 v[105:106], vcc, v[99:100], v[97:98], v[99:100]
	v_fma_f64 v[107:108], -v[101:102], v[103:104], 1.0
	v_fma_f64 v[103:104], v[103:104], v[107:108], v[103:104]
	v_mul_f64 v[107:108], v[105:106], v[103:104]
	v_fma_f64 v[101:102], -v[101:102], v[107:108], v[105:106]
	v_div_fmas_f64 v[101:102], v[101:102], v[103:104], v[107:108]
	v_div_fixup_f64 v[103:104], v[101:102], v[97:98], v[99:100]
	v_fma_f64 v[97:98], v[99:100], v[103:104], v[97:98]
	v_div_scale_f64 v[99:100], s[6:7], v[97:98], v[97:98], 1.0
	v_div_scale_f64 v[107:108], vcc, 1.0, v[97:98], 1.0
	v_rcp_f64_e32 v[101:102], v[99:100]
	v_fma_f64 v[105:106], -v[99:100], v[101:102], 1.0
	v_fma_f64 v[101:102], v[101:102], v[105:106], v[101:102]
	v_fma_f64 v[105:106], -v[99:100], v[101:102], 1.0
	v_fma_f64 v[101:102], v[101:102], v[105:106], v[101:102]
	v_mul_f64 v[105:106], v[107:108], v[101:102]
	v_fma_f64 v[99:100], -v[99:100], v[105:106], v[107:108]
	v_div_fmas_f64 v[99:100], v[99:100], v[101:102], v[105:106]
	v_div_fixup_f64 v[101:102], v[99:100], v[97:98], 1.0
	v_mul_f64 v[103:104], v[103:104], -v[101:102]
.LBB67_268:
	s_or_b64 exec, exec, s[2:3]
	ds_write2_b64 v127, v[101:102], v[103:104] offset1:1
.LBB67_269:
	s_or_b64 exec, exec, s[4:5]
	s_waitcnt lgkmcnt(0)
	s_barrier
	ds_read2_b64 v[105:108], v127 offset1:1
	v_cmp_lt_u32_e32 vcc, 29, v126
	s_and_saveexec_b64 s[2:3], vcc
	s_cbranch_execz .LBB67_271
; %bb.270:
	s_waitcnt lgkmcnt(0)
	v_mul_f64 v[97:98], v[105:106], v[15:16]
	v_mul_f64 v[15:16], v[107:108], v[15:16]
	v_fma_f64 v[101:102], v[107:108], v[13:14], v[97:98]
	ds_read2_b64 v[97:100], v125 offset0:60 offset1:61
	v_fma_f64 v[13:14], v[105:106], v[13:14], -v[15:16]
	s_waitcnt lgkmcnt(0)
	v_mul_f64 v[15:16], v[99:100], v[101:102]
	v_fma_f64 v[15:16], v[97:98], v[13:14], -v[15:16]
	v_mul_f64 v[97:98], v[97:98], v[101:102]
	v_add_f64 v[9:10], v[9:10], -v[15:16]
	v_fma_f64 v[97:98], v[99:100], v[13:14], v[97:98]
	v_add_f64 v[11:12], v[11:12], -v[97:98]
	ds_read2_b64 v[97:100], v125 offset0:62 offset1:63
	s_waitcnt lgkmcnt(0)
	v_mul_f64 v[15:16], v[99:100], v[101:102]
	v_fma_f64 v[15:16], v[97:98], v[13:14], -v[15:16]
	v_mul_f64 v[97:98], v[97:98], v[101:102]
	v_add_f64 v[5:6], v[5:6], -v[15:16]
	v_fma_f64 v[97:98], v[99:100], v[13:14], v[97:98]
	v_add_f64 v[7:8], v[7:8], -v[97:98]
	ds_read2_b64 v[97:100], v125 offset0:64 offset1:65
	;; [unrolled: 8-line block ×3, first 2 shown]
	s_waitcnt lgkmcnt(0)
	v_mul_f64 v[15:16], v[99:100], v[101:102]
	v_fma_f64 v[15:16], v[97:98], v[13:14], -v[15:16]
	v_mul_f64 v[97:98], v[97:98], v[101:102]
	v_add_f64 v[121:122], v[121:122], -v[15:16]
	v_fma_f64 v[97:98], v[99:100], v[13:14], v[97:98]
	v_mov_b32_e32 v15, v101
	v_mov_b32_e32 v16, v102
	v_add_f64 v[123:124], v[123:124], -v[97:98]
.LBB67_271:
	s_or_b64 exec, exec, s[2:3]
	v_cmp_eq_u32_e32 vcc, 30, v126
	s_waitcnt lgkmcnt(0)
	s_barrier
	s_and_saveexec_b64 s[4:5], vcc
	s_cbranch_execz .LBB67_278
; %bb.272:
	ds_write2_b64 v127, v[9:10], v[11:12] offset1:1
	ds_write2_b64 v125, v[5:6], v[7:8] offset0:62 offset1:63
	ds_write2_b64 v125, v[1:2], v[3:4] offset0:64 offset1:65
	;; [unrolled: 1-line block ×3, first 2 shown]
	ds_read2_b64 v[97:100], v127 offset1:1
	s_waitcnt lgkmcnt(0)
	v_cmp_neq_f64_e32 vcc, 0, v[97:98]
	v_cmp_neq_f64_e64 s[2:3], 0, v[99:100]
	s_or_b64 s[2:3], vcc, s[2:3]
	s_and_b64 exec, exec, s[2:3]
	s_cbranch_execz .LBB67_278
; %bb.273:
	v_cmp_ngt_f64_e64 s[2:3], |v[97:98]|, |v[99:100]|
                                        ; implicit-def: $vgpr101_vgpr102
	s_and_saveexec_b64 s[6:7], s[2:3]
	s_xor_b64 s[2:3], exec, s[6:7]
                                        ; implicit-def: $vgpr103_vgpr104
	s_cbranch_execz .LBB67_275
; %bb.274:
	v_div_scale_f64 v[101:102], s[6:7], v[99:100], v[99:100], v[97:98]
	v_mov_b32_e32 v81, v105
	v_mov_b32_e32 v82, v106
	;; [unrolled: 1-line block ×4, first 2 shown]
	v_rcp_f64_e32 v[103:104], v[101:102]
	v_fma_f64 v[105:106], -v[101:102], v[103:104], 1.0
	v_fma_f64 v[103:104], v[103:104], v[105:106], v[103:104]
	v_div_scale_f64 v[105:106], vcc, v[97:98], v[99:100], v[97:98]
	v_fma_f64 v[107:108], -v[101:102], v[103:104], 1.0
	v_fma_f64 v[103:104], v[103:104], v[107:108], v[103:104]
	v_mul_f64 v[107:108], v[105:106], v[103:104]
	v_fma_f64 v[101:102], -v[101:102], v[107:108], v[105:106]
	v_div_fmas_f64 v[101:102], v[101:102], v[103:104], v[107:108]
	v_div_fixup_f64 v[101:102], v[101:102], v[99:100], v[97:98]
	v_fma_f64 v[97:98], v[97:98], v[101:102], v[99:100]
	v_div_scale_f64 v[99:100], s[6:7], v[97:98], v[97:98], 1.0
	v_div_scale_f64 v[107:108], vcc, 1.0, v[97:98], 1.0
	v_rcp_f64_e32 v[103:104], v[99:100]
	v_fma_f64 v[105:106], -v[99:100], v[103:104], 1.0
	v_fma_f64 v[103:104], v[103:104], v[105:106], v[103:104]
	v_fma_f64 v[105:106], -v[99:100], v[103:104], 1.0
	v_fma_f64 v[103:104], v[103:104], v[105:106], v[103:104]
	v_mul_f64 v[105:106], v[107:108], v[103:104]
	v_fma_f64 v[99:100], -v[99:100], v[105:106], v[107:108]
	v_div_fmas_f64 v[99:100], v[99:100], v[103:104], v[105:106]
	v_mov_b32_e32 v108, v84
	v_mov_b32_e32 v107, v83
	;; [unrolled: 1-line block ×4, first 2 shown]
	v_div_fixup_f64 v[103:104], v[99:100], v[97:98], 1.0
                                        ; implicit-def: $vgpr97_vgpr98
	v_mul_f64 v[101:102], v[101:102], v[103:104]
	v_xor_b32_e32 v104, 0x80000000, v104
.LBB67_275:
	s_andn2_saveexec_b64 s[2:3], s[2:3]
	s_cbranch_execz .LBB67_277
; %bb.276:
	v_div_scale_f64 v[101:102], s[6:7], v[97:98], v[97:98], v[99:100]
	v_mov_b32_e32 v81, v105
	v_mov_b32_e32 v82, v106
	;; [unrolled: 1-line block ×4, first 2 shown]
	v_rcp_f64_e32 v[103:104], v[101:102]
	v_fma_f64 v[105:106], -v[101:102], v[103:104], 1.0
	v_fma_f64 v[103:104], v[103:104], v[105:106], v[103:104]
	v_div_scale_f64 v[105:106], vcc, v[99:100], v[97:98], v[99:100]
	v_fma_f64 v[107:108], -v[101:102], v[103:104], 1.0
	v_fma_f64 v[103:104], v[103:104], v[107:108], v[103:104]
	v_mul_f64 v[107:108], v[105:106], v[103:104]
	v_fma_f64 v[101:102], -v[101:102], v[107:108], v[105:106]
	v_div_fmas_f64 v[101:102], v[101:102], v[103:104], v[107:108]
	v_div_fixup_f64 v[103:104], v[101:102], v[97:98], v[99:100]
	v_fma_f64 v[97:98], v[99:100], v[103:104], v[97:98]
	v_div_scale_f64 v[99:100], s[6:7], v[97:98], v[97:98], 1.0
	v_div_scale_f64 v[107:108], vcc, 1.0, v[97:98], 1.0
	v_rcp_f64_e32 v[101:102], v[99:100]
	v_fma_f64 v[105:106], -v[99:100], v[101:102], 1.0
	v_fma_f64 v[101:102], v[101:102], v[105:106], v[101:102]
	v_fma_f64 v[105:106], -v[99:100], v[101:102], 1.0
	v_fma_f64 v[101:102], v[101:102], v[105:106], v[101:102]
	v_mul_f64 v[105:106], v[107:108], v[101:102]
	v_fma_f64 v[99:100], -v[99:100], v[105:106], v[107:108]
	v_div_fmas_f64 v[99:100], v[99:100], v[101:102], v[105:106]
	v_mov_b32_e32 v108, v84
	v_mov_b32_e32 v107, v83
	;; [unrolled: 1-line block ×4, first 2 shown]
	v_div_fixup_f64 v[101:102], v[99:100], v[97:98], 1.0
	v_mul_f64 v[103:104], v[103:104], -v[101:102]
.LBB67_277:
	s_or_b64 exec, exec, s[2:3]
	ds_write2_b64 v127, v[101:102], v[103:104] offset1:1
.LBB67_278:
	s_or_b64 exec, exec, s[4:5]
	s_waitcnt lgkmcnt(0)
	s_barrier
	ds_read2_b64 v[85:88], v127 offset1:1
	v_cmp_lt_u32_e32 vcc, 30, v126
	s_and_saveexec_b64 s[2:3], vcc
	s_cbranch_execz .LBB67_280
; %bb.279:
	s_waitcnt lgkmcnt(0)
	v_mul_f64 v[97:98], v[85:86], v[11:12]
	v_mul_f64 v[11:12], v[87:88], v[11:12]
	v_fma_f64 v[101:102], v[87:88], v[9:10], v[97:98]
	ds_read2_b64 v[97:100], v125 offset0:62 offset1:63
	v_fma_f64 v[9:10], v[85:86], v[9:10], -v[11:12]
	s_waitcnt lgkmcnt(0)
	v_mul_f64 v[11:12], v[99:100], v[101:102]
	v_fma_f64 v[11:12], v[97:98], v[9:10], -v[11:12]
	v_mul_f64 v[97:98], v[97:98], v[101:102]
	v_add_f64 v[5:6], v[5:6], -v[11:12]
	v_fma_f64 v[97:98], v[99:100], v[9:10], v[97:98]
	v_add_f64 v[7:8], v[7:8], -v[97:98]
	ds_read2_b64 v[97:100], v125 offset0:64 offset1:65
	s_waitcnt lgkmcnt(0)
	v_mul_f64 v[11:12], v[99:100], v[101:102]
	v_fma_f64 v[11:12], v[97:98], v[9:10], -v[11:12]
	v_mul_f64 v[97:98], v[97:98], v[101:102]
	v_add_f64 v[1:2], v[1:2], -v[11:12]
	v_fma_f64 v[97:98], v[99:100], v[9:10], v[97:98]
	v_add_f64 v[3:4], v[3:4], -v[97:98]
	ds_read2_b64 v[97:100], v125 offset0:66 offset1:67
	s_waitcnt lgkmcnt(0)
	v_mul_f64 v[11:12], v[99:100], v[101:102]
	v_fma_f64 v[11:12], v[97:98], v[9:10], -v[11:12]
	v_mul_f64 v[97:98], v[97:98], v[101:102]
	v_add_f64 v[121:122], v[121:122], -v[11:12]
	v_fma_f64 v[97:98], v[99:100], v[9:10], v[97:98]
	v_mov_b32_e32 v11, v101
	v_mov_b32_e32 v12, v102
	v_add_f64 v[123:124], v[123:124], -v[97:98]
.LBB67_280:
	s_or_b64 exec, exec, s[2:3]
	v_cmp_eq_u32_e32 vcc, 31, v126
	s_waitcnt lgkmcnt(0)
	s_barrier
	s_and_saveexec_b64 s[4:5], vcc
	s_cbranch_execz .LBB67_287
; %bb.281:
	ds_write2_b64 v127, v[5:6], v[7:8] offset1:1
	ds_write2_b64 v125, v[1:2], v[3:4] offset0:64 offset1:65
	ds_write2_b64 v125, v[121:122], v[123:124] offset0:66 offset1:67
	ds_read2_b64 v[97:100], v127 offset1:1
	s_waitcnt lgkmcnt(0)
	v_cmp_neq_f64_e32 vcc, 0, v[97:98]
	v_cmp_neq_f64_e64 s[2:3], 0, v[99:100]
	s_or_b64 s[2:3], vcc, s[2:3]
	s_and_b64 exec, exec, s[2:3]
	s_cbranch_execz .LBB67_287
; %bb.282:
	v_cmp_ngt_f64_e64 s[2:3], |v[97:98]|, |v[99:100]|
                                        ; implicit-def: $vgpr101_vgpr102
	s_and_saveexec_b64 s[6:7], s[2:3]
	s_xor_b64 s[2:3], exec, s[6:7]
                                        ; implicit-def: $vgpr103_vgpr104
	s_cbranch_execz .LBB67_284
; %bb.283:
	v_div_scale_f64 v[101:102], s[6:7], v[99:100], v[99:100], v[97:98]
	v_rcp_f64_e32 v[103:104], v[101:102]
	v_fma_f64 v[117:118], -v[101:102], v[103:104], 1.0
	v_fma_f64 v[103:104], v[103:104], v[117:118], v[103:104]
	v_div_scale_f64 v[117:118], vcc, v[97:98], v[99:100], v[97:98]
	v_fma_f64 v[119:120], -v[101:102], v[103:104], 1.0
	v_fma_f64 v[103:104], v[103:104], v[119:120], v[103:104]
	v_mul_f64 v[119:120], v[117:118], v[103:104]
	v_fma_f64 v[101:102], -v[101:102], v[119:120], v[117:118]
	v_div_fmas_f64 v[101:102], v[101:102], v[103:104], v[119:120]
	v_div_fixup_f64 v[101:102], v[101:102], v[99:100], v[97:98]
	v_fma_f64 v[97:98], v[97:98], v[101:102], v[99:100]
	v_div_scale_f64 v[99:100], s[6:7], v[97:98], v[97:98], 1.0
	v_div_scale_f64 v[119:120], vcc, 1.0, v[97:98], 1.0
	v_rcp_f64_e32 v[103:104], v[99:100]
	v_fma_f64 v[117:118], -v[99:100], v[103:104], 1.0
	v_fma_f64 v[103:104], v[103:104], v[117:118], v[103:104]
	v_fma_f64 v[117:118], -v[99:100], v[103:104], 1.0
	v_fma_f64 v[103:104], v[103:104], v[117:118], v[103:104]
	v_mul_f64 v[117:118], v[119:120], v[103:104]
	v_fma_f64 v[99:100], -v[99:100], v[117:118], v[119:120]
	v_div_fmas_f64 v[99:100], v[99:100], v[103:104], v[117:118]
	v_div_fixup_f64 v[103:104], v[99:100], v[97:98], 1.0
                                        ; implicit-def: $vgpr97_vgpr98
	v_mul_f64 v[101:102], v[101:102], v[103:104]
	v_xor_b32_e32 v104, 0x80000000, v104
.LBB67_284:
	s_andn2_saveexec_b64 s[2:3], s[2:3]
	s_cbranch_execz .LBB67_286
; %bb.285:
	v_div_scale_f64 v[101:102], s[6:7], v[97:98], v[97:98], v[99:100]
	v_rcp_f64_e32 v[103:104], v[101:102]
	v_fma_f64 v[117:118], -v[101:102], v[103:104], 1.0
	v_fma_f64 v[103:104], v[103:104], v[117:118], v[103:104]
	v_div_scale_f64 v[117:118], vcc, v[99:100], v[97:98], v[99:100]
	v_fma_f64 v[119:120], -v[101:102], v[103:104], 1.0
	v_fma_f64 v[103:104], v[103:104], v[119:120], v[103:104]
	v_mul_f64 v[119:120], v[117:118], v[103:104]
	v_fma_f64 v[101:102], -v[101:102], v[119:120], v[117:118]
	v_div_fmas_f64 v[101:102], v[101:102], v[103:104], v[119:120]
	v_div_fixup_f64 v[103:104], v[101:102], v[97:98], v[99:100]
	v_fma_f64 v[97:98], v[99:100], v[103:104], v[97:98]
	v_div_scale_f64 v[99:100], s[6:7], v[97:98], v[97:98], 1.0
	v_div_scale_f64 v[119:120], vcc, 1.0, v[97:98], 1.0
	v_rcp_f64_e32 v[101:102], v[99:100]
	v_fma_f64 v[117:118], -v[99:100], v[101:102], 1.0
	v_fma_f64 v[101:102], v[101:102], v[117:118], v[101:102]
	v_fma_f64 v[117:118], -v[99:100], v[101:102], 1.0
	v_fma_f64 v[101:102], v[101:102], v[117:118], v[101:102]
	v_mul_f64 v[117:118], v[119:120], v[101:102]
	v_fma_f64 v[99:100], -v[99:100], v[117:118], v[119:120]
	v_div_fmas_f64 v[99:100], v[99:100], v[101:102], v[117:118]
	v_div_fixup_f64 v[101:102], v[99:100], v[97:98], 1.0
	v_mul_f64 v[103:104], v[103:104], -v[101:102]
.LBB67_286:
	s_or_b64 exec, exec, s[2:3]
	ds_write2_b64 v127, v[101:102], v[103:104] offset1:1
.LBB67_287:
	s_or_b64 exec, exec, s[4:5]
	s_waitcnt lgkmcnt(0)
	s_barrier
	ds_read2_b64 v[101:104], v127 offset1:1
	v_cmp_lt_u32_e32 vcc, 31, v126
	s_and_saveexec_b64 s[2:3], vcc
	s_cbranch_execz .LBB67_289
; %bb.288:
	s_waitcnt lgkmcnt(0)
	v_mul_f64 v[97:98], v[101:102], v[7:8]
	v_mul_f64 v[7:8], v[103:104], v[7:8]
	v_fma_f64 v[117:118], v[103:104], v[5:6], v[97:98]
	ds_read2_b64 v[97:100], v125 offset0:64 offset1:65
	v_fma_f64 v[5:6], v[101:102], v[5:6], -v[7:8]
	s_waitcnt lgkmcnt(0)
	v_mul_f64 v[7:8], v[99:100], v[117:118]
	v_fma_f64 v[7:8], v[97:98], v[5:6], -v[7:8]
	v_mul_f64 v[97:98], v[97:98], v[117:118]
	v_add_f64 v[1:2], v[1:2], -v[7:8]
	v_fma_f64 v[97:98], v[99:100], v[5:6], v[97:98]
	v_add_f64 v[3:4], v[3:4], -v[97:98]
	ds_read2_b64 v[97:100], v125 offset0:66 offset1:67
	s_waitcnt lgkmcnt(0)
	v_mul_f64 v[7:8], v[99:100], v[117:118]
	v_fma_f64 v[7:8], v[97:98], v[5:6], -v[7:8]
	v_mul_f64 v[97:98], v[97:98], v[117:118]
	v_add_f64 v[121:122], v[121:122], -v[7:8]
	v_fma_f64 v[97:98], v[99:100], v[5:6], v[97:98]
	v_mov_b32_e32 v7, v117
	v_mov_b32_e32 v8, v118
	v_add_f64 v[123:124], v[123:124], -v[97:98]
.LBB67_289:
	s_or_b64 exec, exec, s[2:3]
	v_cmp_eq_u32_e32 vcc, 32, v126
	s_waitcnt lgkmcnt(0)
	s_barrier
	s_and_saveexec_b64 s[4:5], vcc
	s_cbranch_execz .LBB67_296
; %bb.290:
	ds_write2_b64 v127, v[1:2], v[3:4] offset1:1
	ds_write2_b64 v125, v[121:122], v[123:124] offset0:66 offset1:67
	ds_read2_b64 v[97:100], v127 offset1:1
	s_waitcnt lgkmcnt(0)
	v_cmp_neq_f64_e32 vcc, 0, v[97:98]
	v_cmp_neq_f64_e64 s[2:3], 0, v[99:100]
	s_or_b64 s[2:3], vcc, s[2:3]
	s_and_b64 exec, exec, s[2:3]
	s_cbranch_execz .LBB67_296
; %bb.291:
	v_cmp_ngt_f64_e64 s[2:3], |v[97:98]|, |v[99:100]|
                                        ; implicit-def: $vgpr117_vgpr118
	s_and_saveexec_b64 s[6:7], s[2:3]
	s_xor_b64 s[2:3], exec, s[6:7]
                                        ; implicit-def: $vgpr119_vgpr120
	s_cbranch_execz .LBB67_293
; %bb.292:
	v_div_scale_f64 v[117:118], s[6:7], v[99:100], v[99:100], v[97:98]
	v_mov_b32_e32 v84, v80
	v_mov_b32_e32 v83, v79
	;; [unrolled: 1-line block ×8, first 2 shown]
	v_div_scale_f64 v[95:96], vcc, v[97:98], v[99:100], v[97:98]
	v_rcp_f64_e32 v[119:120], v[117:118]
	v_fma_f64 v[93:94], -v[117:118], v[119:120], 1.0
	v_fma_f64 v[93:94], v[119:120], v[93:94], v[119:120]
	v_fma_f64 v[119:120], -v[117:118], v[93:94], 1.0
	v_fma_f64 v[93:94], v[93:94], v[119:120], v[93:94]
	v_mul_f64 v[119:120], v[95:96], v[93:94]
	v_fma_f64 v[95:96], -v[117:118], v[119:120], v[95:96]
	v_div_fmas_f64 v[93:94], v[95:96], v[93:94], v[119:120]
	v_div_fixup_f64 v[93:94], v[93:94], v[99:100], v[97:98]
	v_fma_f64 v[95:96], v[97:98], v[93:94], v[99:100]
	v_div_scale_f64 v[97:98], s[6:7], v[95:96], v[95:96], 1.0
	v_div_scale_f64 v[119:120], vcc, 1.0, v[95:96], 1.0
	v_rcp_f64_e32 v[99:100], v[97:98]
	v_fma_f64 v[117:118], -v[97:98], v[99:100], 1.0
	v_fma_f64 v[99:100], v[99:100], v[117:118], v[99:100]
	v_fma_f64 v[117:118], -v[97:98], v[99:100], 1.0
	v_fma_f64 v[99:100], v[99:100], v[117:118], v[99:100]
	v_mul_f64 v[117:118], v[119:120], v[99:100]
	v_fma_f64 v[97:98], -v[97:98], v[117:118], v[119:120]
	v_div_fmas_f64 v[97:98], v[97:98], v[99:100], v[117:118]
	v_div_fixup_f64 v[119:120], v[97:98], v[95:96], 1.0
                                        ; implicit-def: $vgpr97_vgpr98
	v_mul_f64 v[117:118], v[93:94], v[119:120]
	v_mov_b32_e32 v96, v80
	v_mov_b32_e32 v95, v79
	;; [unrolled: 1-line block ×8, first 2 shown]
	v_xor_b32_e32 v120, 0x80000000, v120
.LBB67_293:
	s_andn2_saveexec_b64 s[2:3], s[2:3]
	s_cbranch_execz .LBB67_295
; %bb.294:
	v_mov_b32_e32 v81, v93
	v_mov_b32_e32 v82, v94
	;; [unrolled: 1-line block ×4, first 2 shown]
	v_div_scale_f64 v[93:94], s[6:7], v[97:98], v[97:98], v[99:100]
	v_rcp_f64_e32 v[95:96], v[93:94]
	v_fma_f64 v[117:118], -v[93:94], v[95:96], 1.0
	v_fma_f64 v[95:96], v[95:96], v[117:118], v[95:96]
	v_div_scale_f64 v[117:118], vcc, v[99:100], v[97:98], v[99:100]
	v_fma_f64 v[119:120], -v[93:94], v[95:96], 1.0
	v_fma_f64 v[95:96], v[95:96], v[119:120], v[95:96]
	v_mul_f64 v[119:120], v[117:118], v[95:96]
	v_fma_f64 v[93:94], -v[93:94], v[119:120], v[117:118]
	v_div_fmas_f64 v[93:94], v[93:94], v[95:96], v[119:120]
	v_div_fixup_f64 v[93:94], v[93:94], v[97:98], v[99:100]
	v_fma_f64 v[95:96], v[99:100], v[93:94], v[97:98]
	v_div_scale_f64 v[97:98], s[6:7], v[95:96], v[95:96], 1.0
	v_div_scale_f64 v[119:120], vcc, 1.0, v[95:96], 1.0
	v_rcp_f64_e32 v[99:100], v[97:98]
	v_fma_f64 v[117:118], -v[97:98], v[99:100], 1.0
	v_fma_f64 v[99:100], v[99:100], v[117:118], v[99:100]
	v_fma_f64 v[117:118], -v[97:98], v[99:100], 1.0
	v_fma_f64 v[99:100], v[99:100], v[117:118], v[99:100]
	v_mul_f64 v[117:118], v[119:120], v[99:100]
	v_fma_f64 v[97:98], -v[97:98], v[117:118], v[119:120]
	v_div_fmas_f64 v[97:98], v[97:98], v[99:100], v[117:118]
	v_div_fixup_f64 v[117:118], v[97:98], v[95:96], 1.0
	v_mul_f64 v[119:120], v[93:94], -v[117:118]
	v_mov_b32_e32 v96, v84
	v_mov_b32_e32 v95, v83
	;; [unrolled: 1-line block ×4, first 2 shown]
.LBB67_295:
	s_or_b64 exec, exec, s[2:3]
	ds_write2_b64 v127, v[117:118], v[119:120] offset1:1
.LBB67_296:
	s_or_b64 exec, exec, s[4:5]
	s_waitcnt lgkmcnt(0)
	s_barrier
	ds_read2_b64 v[109:112], v127 offset1:1
	v_cmp_lt_u32_e32 vcc, 32, v126
	s_and_saveexec_b64 s[2:3], vcc
	s_cbranch_execz .LBB67_298
; %bb.297:
	v_mov_b32_e32 v81, v93
	v_mov_b32_e32 v82, v94
	;; [unrolled: 1-line block ×4, first 2 shown]
	s_waitcnt lgkmcnt(0)
	v_mul_f64 v[93:94], v[109:110], v[3:4]
	v_mul_f64 v[3:4], v[111:112], v[3:4]
	ds_read2_b64 v[117:120], v125 offset0:66 offset1:67
	v_fma_f64 v[93:94], v[111:112], v[1:2], v[93:94]
	v_fma_f64 v[1:2], v[109:110], v[1:2], -v[3:4]
	s_waitcnt lgkmcnt(0)
	v_mul_f64 v[3:4], v[119:120], v[93:94]
	v_mul_f64 v[95:96], v[117:118], v[93:94]
	v_fma_f64 v[3:4], v[117:118], v[1:2], -v[3:4]
	v_fma_f64 v[95:96], v[119:120], v[1:2], v[95:96]
	v_add_f64 v[121:122], v[121:122], -v[3:4]
	v_add_f64 v[123:124], v[123:124], -v[95:96]
	v_mov_b32_e32 v3, v93
	v_mov_b32_e32 v4, v94
	;; [unrolled: 1-line block ×6, first 2 shown]
.LBB67_298:
	s_or_b64 exec, exec, s[2:3]
	v_cmp_eq_u32_e32 vcc, 33, v126
	s_waitcnt lgkmcnt(0)
	s_barrier
	s_and_saveexec_b64 s[4:5], vcc
	s_cbranch_execz .LBB67_305
; %bb.299:
	v_cmp_neq_f64_e32 vcc, 0, v[121:122]
	v_cmp_neq_f64_e64 s[2:3], 0, v[123:124]
	ds_write2_b64 v127, v[121:122], v[123:124] offset1:1
	s_or_b64 s[2:3], vcc, s[2:3]
	s_and_b64 exec, exec, s[2:3]
	s_cbranch_execz .LBB67_305
; %bb.300:
	v_cmp_ngt_f64_e64 s[2:3], |v[121:122]|, |v[123:124]|
                                        ; implicit-def: $vgpr117_vgpr118
	s_and_saveexec_b64 s[6:7], s[2:3]
	s_xor_b64 s[2:3], exec, s[6:7]
                                        ; implicit-def: $vgpr119_vgpr120
	s_cbranch_execz .LBB67_302
; %bb.301:
	buffer_store_dword v105, off, s[20:23], 0 offset:912 ; 4-byte Folded Spill
	s_nop 0
	buffer_store_dword v106, off, s[20:23], 0 offset:916 ; 4-byte Folded Spill
	buffer_store_dword v107, off, s[20:23], 0 offset:920 ; 4-byte Folded Spill
	;; [unrolled: 1-line block ×3, first 2 shown]
	v_mov_b32_e32 v108, v4
	v_mov_b32_e32 v107, v3
	;; [unrolled: 1-line block ×56, first 2 shown]
	v_div_scale_f64 v[93:94], s[6:7], v[123:124], v[123:124], v[121:122]
	v_mov_b32_e32 v4, v126
	v_mov_b32_e32 v97, v101
	;; [unrolled: 1-line block ×14, first 2 shown]
	v_rcp_f64_e32 v[95:96], v[93:94]
	v_mov_b32_e32 v6, v10
	v_mov_b32_e32 v7, v11
	;; [unrolled: 1-line block ×15, first 2 shown]
	v_fma_f64 v[117:118], -v[93:94], v[95:96], 1.0
	v_mov_b32_e32 v21, v25
	v_mov_b32_e32 v24, v28
	;; [unrolled: 1-line block ×7, first 2 shown]
	v_fma_f64 v[95:96], v[95:96], v[117:118], v[95:96]
	v_div_scale_f64 v[117:118], vcc, v[121:122], v[123:124], v[121:122]
	v_mov_b32_e32 v25, v21
	v_mov_b32_e32 v24, v20
	;; [unrolled: 1-line block ×5, first 2 shown]
	v_fma_f64 v[119:120], -v[93:94], v[95:96], 1.0
	v_mov_b32_e32 v20, v16
	v_mov_b32_e32 v19, v15
	;; [unrolled: 1-line block ×7, first 2 shown]
	v_fma_f64 v[95:96], v[95:96], v[119:120], v[95:96]
	v_mov_b32_e32 v13, v9
	v_mov_b32_e32 v12, v8
	;; [unrolled: 1-line block ×7, first 2 shown]
	v_mul_f64 v[119:120], v[117:118], v[95:96]
	v_mov_b32_e32 v7, v83
	v_mov_b32_e32 v8, v84
	v_fma_f64 v[93:94], -v[93:94], v[119:120], v[117:118]
	v_div_fmas_f64 v[93:94], v[93:94], v[95:96], v[119:120]
	v_div_fixup_f64 v[93:94], v[93:94], v[123:124], v[121:122]
	v_fma_f64 v[95:96], v[121:122], v[93:94], v[123:124]
	v_mov_b32_e32 v124, v88
	v_mov_b32_e32 v123, v87
	;; [unrolled: 1-line block ×6, first 2 shown]
	v_div_scale_f64 v[117:118], s[6:7], v[95:96], v[95:96], 1.0
	v_div_scale_f64 v[89:90], vcc, 1.0, v[95:96], 1.0
	v_rcp_f64_e32 v[119:120], v[117:118]
	v_fma_f64 v[125:126], -v[117:118], v[119:120], 1.0
	v_fma_f64 v[119:120], v[119:120], v[125:126], v[119:120]
	v_fma_f64 v[125:126], -v[117:118], v[119:120], 1.0
	v_fma_f64 v[91:92], v[119:120], v[125:126], v[119:120]
	v_mov_b32_e32 v126, v4
	v_mul_f64 v[119:120], v[89:90], v[91:92]
	v_fma_f64 v[89:90], -v[117:118], v[119:120], v[89:90]
	v_div_fmas_f64 v[89:90], v[89:90], v[91:92], v[119:120]
	v_mov_b32_e32 v92, v86
	v_mov_b32_e32 v91, v85
	v_mov_b32_e32 v85, v121
	v_mov_b32_e32 v86, v122
	v_mov_b32_e32 v87, v123
	v_mov_b32_e32 v88, v124
	v_mov_b32_e32 v124, v104
	v_mov_b32_e32 v123, v103
	v_mov_b32_e32 v122, v102
	v_mov_b32_e32 v121, v101
	v_mov_b32_e32 v104, v100
	v_mov_b32_e32 v103, v99
	v_mov_b32_e32 v102, v98
	v_mov_b32_e32 v101, v97
	v_div_fixup_f64 v[119:120], v[89:90], v[95:96], 1.0
	v_mul_f64 v[117:118], v[93:94], v[119:120]
	v_mov_b32_e32 v96, v80
	v_mov_b32_e32 v95, v79
	;; [unrolled: 1-line block ×56, first 2 shown]
	buffer_load_dword v105, off, s[20:23], 0 offset:912 ; 4-byte Folded Reload
	buffer_load_dword v106, off, s[20:23], 0 offset:916 ; 4-byte Folded Reload
	;; [unrolled: 1-line block ×4, first 2 shown]
	v_xor_b32_e32 v120, 0x80000000, v120
.LBB67_302:
	s_andn2_saveexec_b64 s[2:3], s[2:3]
	s_cbranch_execz .LBB67_304
; %bb.303:
	v_div_scale_f64 v[89:90], s[6:7], v[121:122], v[121:122], v[123:124]
	v_mov_b32_e32 v0, v126
	v_mov_b32_e32 v126, v92
	;; [unrolled: 1-line block ×11, first 2 shown]
	v_rcp_f64_e32 v[91:92], v[89:90]
	v_fma_f64 v[93:94], -v[89:90], v[91:92], 1.0
	v_fma_f64 v[91:92], v[91:92], v[93:94], v[91:92]
	v_div_scale_f64 v[93:94], vcc, v[123:124], v[121:122], v[123:124]
	v_fma_f64 v[95:96], -v[89:90], v[91:92], 1.0
	v_fma_f64 v[91:92], v[91:92], v[95:96], v[91:92]
	v_mul_f64 v[95:96], v[93:94], v[91:92]
	v_fma_f64 v[89:90], -v[89:90], v[95:96], v[93:94]
	v_div_fmas_f64 v[89:90], v[89:90], v[91:92], v[95:96]
	v_div_fixup_f64 v[89:90], v[89:90], v[121:122], v[123:124]
	v_fma_f64 v[91:92], v[123:124], v[89:90], v[121:122]
	v_div_scale_f64 v[93:94], s[6:7], v[91:92], v[91:92], 1.0
	v_div_scale_f64 v[119:120], vcc, 1.0, v[91:92], 1.0
	v_rcp_f64_e32 v[95:96], v[93:94]
	v_fma_f64 v[117:118], -v[93:94], v[95:96], 1.0
	v_fma_f64 v[95:96], v[95:96], v[117:118], v[95:96]
	v_fma_f64 v[117:118], -v[93:94], v[95:96], 1.0
	v_fma_f64 v[95:96], v[95:96], v[117:118], v[95:96]
	v_mul_f64 v[117:118], v[119:120], v[95:96]
	v_fma_f64 v[93:94], -v[93:94], v[117:118], v[119:120]
	v_div_fmas_f64 v[93:94], v[93:94], v[95:96], v[117:118]
	v_div_fixup_f64 v[117:118], v[93:94], v[91:92], 1.0
	v_mov_b32_e32 v96, v80
	v_mov_b32_e32 v95, v79
	;; [unrolled: 1-line block ×7, first 2 shown]
	v_mul_f64 v[119:120], v[89:90], -v[117:118]
	v_mov_b32_e32 v79, v83
	v_mov_b32_e32 v80, v84
	;; [unrolled: 1-line block ×4, first 2 shown]
.LBB67_304:
	s_or_b64 exec, exec, s[2:3]
	ds_write2_b64 v127, v[117:118], v[119:120] offset1:1
.LBB67_305:
	s_or_b64 exec, exec, s[4:5]
	s_waitcnt vmcnt(0) lgkmcnt(0)
	s_barrier
	ds_read2_b64 v[117:120], v127 offset1:1
	s_waitcnt lgkmcnt(0)
	s_barrier
	s_and_saveexec_b64 s[2:3], s[0:1]
	s_cbranch_execz .LBB67_308
; %bb.306:
	v_mov_b32_e32 v81, v85
	v_mov_b32_e32 v82, v86
	;; [unrolled: 1-line block ×8, first 2 shown]
	buffer_load_dword v105, off, s[20:23], 0 offset:432 ; 4-byte Folded Reload
	buffer_load_dword v106, off, s[20:23], 0 offset:436 ; 4-byte Folded Reload
	;; [unrolled: 1-line block ×4, first 2 shown]
	s_waitcnt vmcnt(2)
	v_cmp_eq_f64_e32 vcc, 0, v[105:106]
	s_waitcnt vmcnt(0)
	v_cmp_eq_f64_e64 s[0:1], 0, v[107:108]
	buffer_load_dword v105, off, s[20:23], 0 offset:448 ; 4-byte Folded Reload
	buffer_load_dword v106, off, s[20:23], 0 offset:452 ; 4-byte Folded Reload
	;; [unrolled: 1-line block ×4, first 2 shown]
	s_and_b64 s[4:5], vcc, s[0:1]
	v_cndmask_b32_e64 v89, 0, 1, s[4:5]
	s_waitcnt vmcnt(2)
	v_cmp_neq_f64_e32 vcc, 0, v[105:106]
	s_waitcnt vmcnt(0)
	v_cmp_neq_f64_e64 s[0:1], 0, v[107:108]
	buffer_load_dword v105, off, s[20:23], 0 offset:464 ; 4-byte Folded Reload
	buffer_load_dword v106, off, s[20:23], 0 offset:468 ; 4-byte Folded Reload
	buffer_load_dword v107, off, s[20:23], 0 offset:472 ; 4-byte Folded Reload
	buffer_load_dword v108, off, s[20:23], 0 offset:476 ; 4-byte Folded Reload
	s_or_b64 s[0:1], vcc, s[0:1]
	s_or_b64 vcc, s[0:1], s[4:5]
	v_cndmask_b32_e32 v89, 2, v89, vcc
	s_waitcnt vmcnt(2)
	v_cmp_eq_f64_e32 vcc, 0, v[105:106]
	s_waitcnt vmcnt(0)
	v_cmp_eq_f64_e64 s[0:1], 0, v[107:108]
	buffer_load_dword v105, off, s[20:23], 0 offset:480 ; 4-byte Folded Reload
	buffer_load_dword v106, off, s[20:23], 0 offset:484 ; 4-byte Folded Reload
	buffer_load_dword v107, off, s[20:23], 0 offset:488 ; 4-byte Folded Reload
	buffer_load_dword v108, off, s[20:23], 0 offset:492 ; 4-byte Folded Reload
	s_and_b64 s[0:1], vcc, s[0:1]
	v_cmp_eq_u32_e32 vcc, 0, v89
	s_and_b64 s[0:1], s[0:1], vcc
	v_cndmask_b32_e64 v89, v89, 3, s[0:1]
	s_waitcnt vmcnt(2)
	v_cmp_eq_f64_e32 vcc, 0, v[105:106]
	s_waitcnt vmcnt(0)
	v_cmp_eq_f64_e64 s[0:1], 0, v[107:108]
	buffer_load_dword v105, off, s[20:23], 0 offset:496 ; 4-byte Folded Reload
	buffer_load_dword v106, off, s[20:23], 0 offset:500 ; 4-byte Folded Reload
	buffer_load_dword v107, off, s[20:23], 0 offset:504 ; 4-byte Folded Reload
	buffer_load_dword v108, off, s[20:23], 0 offset:508 ; 4-byte Folded Reload
	s_and_b64 s[0:1], vcc, s[0:1]
	v_cmp_eq_u32_e32 vcc, 0, v89
	s_and_b64 s[0:1], s[0:1], vcc
	v_cndmask_b32_e64 v89, v89, 4, s[0:1]
	;; [unrolled: 12-line block ×26, first 2 shown]
	s_waitcnt vmcnt(2)
	v_cmp_eq_f64_e32 vcc, 0, v[105:106]
	s_waitcnt vmcnt(0)
	v_cmp_eq_f64_e64 s[0:1], 0, v[107:108]
	s_and_b64 s[0:1], vcc, s[0:1]
	v_cmp_eq_u32_e32 vcc, 0, v89
	s_and_b64 s[0:1], s[0:1], vcc
	v_cndmask_b32_e64 v89, v89, 29, s[0:1]
	v_cmp_eq_f64_e32 vcc, 0, v[85:86]
	v_cmp_eq_f64_e64 s[0:1], 0, v[87:88]
	s_and_b64 s[0:1], vcc, s[0:1]
	v_cmp_eq_u32_e32 vcc, 0, v89
	s_and_b64 s[0:1], s[0:1], vcc
	v_cmp_eq_f64_e32 vcc, 0, v[81:82]
	buffer_load_dword v81, off, s[20:23], 0 offset:904 ; 4-byte Folded Reload
	buffer_load_dword v82, off, s[20:23], 0 offset:908 ; 4-byte Folded Reload
	v_cndmask_b32_e64 v89, v89, 30, s[0:1]
	v_cmp_eq_f64_e64 s[0:1], 0, v[83:84]
	s_and_b64 s[0:1], vcc, s[0:1]
	v_cmp_eq_u32_e32 vcc, 0, v89
	s_and_b64 s[0:1], s[0:1], vcc
	v_cndmask_b32_e64 v89, v89, 31, s[0:1]
	v_cmp_eq_f64_e32 vcc, 0, v[101:102]
	v_cmp_eq_f64_e64 s[0:1], 0, v[103:104]
	s_and_b64 s[0:1], vcc, s[0:1]
	v_cmp_eq_u32_e32 vcc, 0, v89
	s_and_b64 s[0:1], s[0:1], vcc
	v_cndmask_b32_e64 v89, v89, 32, s[0:1]
	v_cmp_eq_f64_e32 vcc, 0, v[109:110]
	;; [unrolled: 6-line block ×3, first 2 shown]
	v_cmp_eq_f64_e64 s[0:1], 0, v[119:120]
	s_and_b64 s[0:1], vcc, s[0:1]
	v_cmp_eq_u32_e32 vcc, 0, v89
	s_and_b64 s[0:1], s[0:1], vcc
	v_cndmask_b32_e64 v99, v89, 34, s[0:1]
	v_cmp_ne_u32_e64 s[0:1], 0, v99
	s_waitcnt vmcnt(0)
	v_lshlrev_b64 v[89:90], 2, v[81:82]
	v_add_co_u32_e32 v97, vcc, s10, v89
	v_mov_b32_e32 v89, s11
	v_addc_co_u32_e32 v98, vcc, v89, v90, vcc
	global_load_dword v89, v[97:98], off
	s_waitcnt vmcnt(0)
	v_cmp_eq_u32_e32 vcc, 0, v89
	s_and_b64 s[0:1], vcc, s[0:1]
	s_and_b64 exec, exec, s[0:1]
	s_cbranch_execz .LBB67_308
; %bb.307:
	v_add_u32_e32 v89, s13, v99
	global_store_dword v[97:98], v89, off
.LBB67_308:
	s_or_b64 exec, exec, s[2:3]
	buffer_load_dword v87, off, s[20:23], 0 offset:416 ; 4-byte Folded Reload
	buffer_load_dword v88, off, s[20:23], 0 offset:420 ; 4-byte Folded Reload
	;; [unrolled: 1-line block ×6, first 2 shown]
	v_cmp_lt_u32_e32 vcc, 33, v126
	s_waitcnt vmcnt(0)
	global_store_dwordx4 v[87:88], v[97:100], off
	buffer_load_dword v87, off, s[20:23], 0 offset:424 ; 4-byte Folded Reload
	s_nop 0
	buffer_load_dword v88, off, s[20:23], 0 offset:428 ; 4-byte Folded Reload
	buffer_load_dword v97, off, s[20:23], 0 offset:144 ; 4-byte Folded Reload
	;; [unrolled: 1-line block ×5, first 2 shown]
	s_waitcnt vmcnt(0)
	global_store_dwordx4 v[87:88], v[97:100], off
	buffer_load_dword v87, off, s[20:23], 0 offset:128 ; 4-byte Folded Reload
	s_nop 0
	buffer_load_dword v88, off, s[20:23], 0 offset:132 ; 4-byte Folded Reload
	buffer_load_dword v89, off, s[20:23], 0 offset:136 ; 4-byte Folded Reload
	;; [unrolled: 1-line block ×3, first 2 shown]
	s_waitcnt vmcnt(0)
	global_store_dwordx4 v[91:92], v[87:90], off
	buffer_load_dword v87, off, s[20:23], 0 offset:176 ; 4-byte Folded Reload
	s_nop 0
	buffer_load_dword v88, off, s[20:23], 0 offset:180 ; 4-byte Folded Reload
	buffer_load_dword v89, off, s[20:23], 0 offset:112 ; 4-byte Folded Reload
	;; [unrolled: 1-line block ×5, first 2 shown]
	s_waitcnt vmcnt(0)
	global_store_dwordx4 v[87:88], v[89:92], off
	buffer_load_dword v87, off, s[20:23], 0 offset:96 ; 4-byte Folded Reload
	s_nop 0
	buffer_load_dword v88, off, s[20:23], 0 offset:100 ; 4-byte Folded Reload
	buffer_load_dword v89, off, s[20:23], 0 offset:104 ; 4-byte Folded Reload
	;; [unrolled: 1-line block ×5, first 2 shown]
	v_mul_f64 v[91:92], v[119:120], v[123:124]
	v_fma_f64 v[91:92], v[117:118], v[121:122], -v[91:92]
	v_cndmask_b32_e32 v98, v122, v92, vcc
	v_cndmask_b32_e32 v97, v121, v91, vcc
	s_waitcnt vmcnt(0)
	global_store_dwordx4 v[81:82], v[87:90], off
	buffer_load_dword v85, off, s[20:23], 0 offset:184 ; 4-byte Folded Reload
	buffer_load_dword v86, off, s[20:23], 0 offset:188 ; 4-byte Folded Reload
	s_nop 0
	buffer_load_dword v87, off, s[20:23], 0 offset:80 ; 4-byte Folded Reload
	buffer_load_dword v88, off, s[20:23], 0 offset:84 ; 4-byte Folded Reload
	;; [unrolled: 1-line block ×4, first 2 shown]
	s_waitcnt vmcnt(0)
	global_store_dwordx4 v[85:86], v[87:90], off
	buffer_load_dword v85, off, s[20:23], 0 offset:192 ; 4-byte Folded Reload
	s_nop 0
	buffer_load_dword v86, off, s[20:23], 0 offset:196 ; 4-byte Folded Reload
	buffer_load_dword v87, off, s[20:23], 0 offset:64 ; 4-byte Folded Reload
	;; [unrolled: 1-line block ×5, first 2 shown]
	s_waitcnt vmcnt(0)
	global_store_dwordx4 v[85:86], v[87:90], off
	buffer_load_dword v85, off, s[20:23], 0 offset:200 ; 4-byte Folded Reload
	s_nop 0
	buffer_load_dword v86, off, s[20:23], 0 offset:204 ; 4-byte Folded Reload
	buffer_load_dword v87, off, s[20:23], 0 offset:48 ; 4-byte Folded Reload
	;; [unrolled: 1-line block ×5, first 2 shown]
	s_waitcnt vmcnt(0)
	global_store_dwordx4 v[85:86], v[87:90], off
	s_nop 0
	v_mul_f64 v[89:90], v[117:118], v[123:124]
	v_fma_f64 v[89:90], v[119:120], v[121:122], v[89:90]
	v_cndmask_b32_e32 v100, v124, v90, vcc
	v_cndmask_b32_e32 v99, v123, v89, vcc
	buffer_load_dword v85, off, s[20:23], 0 offset:208 ; 4-byte Folded Reload
	buffer_load_dword v86, off, s[20:23], 0 offset:212 ; 4-byte Folded Reload
	;; [unrolled: 1-line block ×6, first 2 shown]
	s_waitcnt vmcnt(0)
	global_store_dwordx4 v[85:86], v[87:90], off
	buffer_load_dword v85, off, s[20:23], 0 offset:216 ; 4-byte Folded Reload
	s_nop 0
	buffer_load_dword v86, off, s[20:23], 0 offset:220 ; 4-byte Folded Reload
	buffer_load_dword v81, off, s[20:23], 0 offset:16 ; 4-byte Folded Reload
	;; [unrolled: 1-line block ×5, first 2 shown]
	s_waitcnt vmcnt(0)
	global_store_dwordx4 v[85:86], v[81:84], off
	buffer_load_dword v85, off, s[20:23], 0 offset:224 ; 4-byte Folded Reload
	s_nop 0
	buffer_load_dword v86, off, s[20:23], 0 offset:228 ; 4-byte Folded Reload
	buffer_load_dword v81, off, s[20:23], 0 ; 4-byte Folded Reload
	buffer_load_dword v82, off, s[20:23], 0 offset:4 ; 4-byte Folded Reload
	buffer_load_dword v83, off, s[20:23], 0 offset:8 ; 4-byte Folded Reload
	;; [unrolled: 1-line block ×3, first 2 shown]
	s_waitcnt vmcnt(0)
	global_store_dwordx4 v[85:86], v[81:84], off
	buffer_load_dword v85, off, s[20:23], 0 offset:232 ; 4-byte Folded Reload
	s_nop 0
	buffer_load_dword v86, off, s[20:23], 0 offset:236 ; 4-byte Folded Reload
	s_waitcnt vmcnt(0)
	global_store_dwordx4 v[85:86], v[113:116], off
	buffer_load_dword v85, off, s[20:23], 0 offset:240 ; 4-byte Folded Reload
	s_nop 0
	buffer_load_dword v86, off, s[20:23], 0 offset:244 ; 4-byte Folded Reload
	s_waitcnt vmcnt(0)
	global_store_dwordx4 v[85:86], v[93:96], off
	buffer_load_dword v81, off, s[20:23], 0 offset:248 ; 4-byte Folded Reload
	buffer_load_dword v82, off, s[20:23], 0 offset:252 ; 4-byte Folded Reload
	s_waitcnt vmcnt(0)
	global_store_dwordx4 v[81:82], v[77:80], off
	buffer_load_dword v77, off, s[20:23], 0 offset:256 ; 4-byte Folded Reload
	s_nop 0
	buffer_load_dword v78, off, s[20:23], 0 offset:260 ; 4-byte Folded Reload
	s_waitcnt vmcnt(0)
	global_store_dwordx4 v[77:78], v[73:76], off
	buffer_load_dword v73, off, s[20:23], 0 offset:264 ; 4-byte Folded Reload
	s_nop 0
	;; [unrolled: 5-line block ×20, first 2 shown]
	buffer_load_dword v1, off, s[20:23], 0 offset:404 ; 4-byte Folded Reload
	s_waitcnt vmcnt(0)
	global_store_dwordx4 v[0:1], v[97:100], off
.LBB67_309:
	s_endpgm
	.section	.rodata,"a",@progbits
	.p2align	6, 0x0
	.amdhsa_kernel _ZN9rocsolver6v33100L23getf2_npvt_small_kernelILi34E19rocblas_complex_numIdEiiPS3_EEvT1_T3_lS5_lPT2_S5_S5_
		.amdhsa_group_segment_fixed_size 0
		.amdhsa_private_segment_fixed_size 932
		.amdhsa_kernarg_size 312
		.amdhsa_user_sgpr_count 6
		.amdhsa_user_sgpr_private_segment_buffer 1
		.amdhsa_user_sgpr_dispatch_ptr 0
		.amdhsa_user_sgpr_queue_ptr 0
		.amdhsa_user_sgpr_kernarg_segment_ptr 1
		.amdhsa_user_sgpr_dispatch_id 0
		.amdhsa_user_sgpr_flat_scratch_init 0
		.amdhsa_user_sgpr_private_segment_size 0
		.amdhsa_uses_dynamic_stack 0
		.amdhsa_system_sgpr_private_segment_wavefront_offset 1
		.amdhsa_system_sgpr_workgroup_id_x 1
		.amdhsa_system_sgpr_workgroup_id_y 1
		.amdhsa_system_sgpr_workgroup_id_z 0
		.amdhsa_system_sgpr_workgroup_info 0
		.amdhsa_system_vgpr_workitem_id 1
		.amdhsa_next_free_vgpr 128
		.amdhsa_next_free_sgpr 24
		.amdhsa_reserve_vcc 1
		.amdhsa_reserve_flat_scratch 0
		.amdhsa_float_round_mode_32 0
		.amdhsa_float_round_mode_16_64 0
		.amdhsa_float_denorm_mode_32 3
		.amdhsa_float_denorm_mode_16_64 3
		.amdhsa_dx10_clamp 1
		.amdhsa_ieee_mode 1
		.amdhsa_fp16_overflow 0
		.amdhsa_exception_fp_ieee_invalid_op 0
		.amdhsa_exception_fp_denorm_src 0
		.amdhsa_exception_fp_ieee_div_zero 0
		.amdhsa_exception_fp_ieee_overflow 0
		.amdhsa_exception_fp_ieee_underflow 0
		.amdhsa_exception_fp_ieee_inexact 0
		.amdhsa_exception_int_div_zero 0
	.end_amdhsa_kernel
	.section	.text._ZN9rocsolver6v33100L23getf2_npvt_small_kernelILi34E19rocblas_complex_numIdEiiPS3_EEvT1_T3_lS5_lPT2_S5_S5_,"axG",@progbits,_ZN9rocsolver6v33100L23getf2_npvt_small_kernelILi34E19rocblas_complex_numIdEiiPS3_EEvT1_T3_lS5_lPT2_S5_S5_,comdat
.Lfunc_end67:
	.size	_ZN9rocsolver6v33100L23getf2_npvt_small_kernelILi34E19rocblas_complex_numIdEiiPS3_EEvT1_T3_lS5_lPT2_S5_S5_, .Lfunc_end67-_ZN9rocsolver6v33100L23getf2_npvt_small_kernelILi34E19rocblas_complex_numIdEiiPS3_EEvT1_T3_lS5_lPT2_S5_S5_
                                        ; -- End function
	.set _ZN9rocsolver6v33100L23getf2_npvt_small_kernelILi34E19rocblas_complex_numIdEiiPS3_EEvT1_T3_lS5_lPT2_S5_S5_.num_vgpr, 128
	.set _ZN9rocsolver6v33100L23getf2_npvt_small_kernelILi34E19rocblas_complex_numIdEiiPS3_EEvT1_T3_lS5_lPT2_S5_S5_.num_agpr, 0
	.set _ZN9rocsolver6v33100L23getf2_npvt_small_kernelILi34E19rocblas_complex_numIdEiiPS3_EEvT1_T3_lS5_lPT2_S5_S5_.numbered_sgpr, 24
	.set _ZN9rocsolver6v33100L23getf2_npvt_small_kernelILi34E19rocblas_complex_numIdEiiPS3_EEvT1_T3_lS5_lPT2_S5_S5_.num_named_barrier, 0
	.set _ZN9rocsolver6v33100L23getf2_npvt_small_kernelILi34E19rocblas_complex_numIdEiiPS3_EEvT1_T3_lS5_lPT2_S5_S5_.private_seg_size, 932
	.set _ZN9rocsolver6v33100L23getf2_npvt_small_kernelILi34E19rocblas_complex_numIdEiiPS3_EEvT1_T3_lS5_lPT2_S5_S5_.uses_vcc, 1
	.set _ZN9rocsolver6v33100L23getf2_npvt_small_kernelILi34E19rocblas_complex_numIdEiiPS3_EEvT1_T3_lS5_lPT2_S5_S5_.uses_flat_scratch, 0
	.set _ZN9rocsolver6v33100L23getf2_npvt_small_kernelILi34E19rocblas_complex_numIdEiiPS3_EEvT1_T3_lS5_lPT2_S5_S5_.has_dyn_sized_stack, 0
	.set _ZN9rocsolver6v33100L23getf2_npvt_small_kernelILi34E19rocblas_complex_numIdEiiPS3_EEvT1_T3_lS5_lPT2_S5_S5_.has_recursion, 0
	.set _ZN9rocsolver6v33100L23getf2_npvt_small_kernelILi34E19rocblas_complex_numIdEiiPS3_EEvT1_T3_lS5_lPT2_S5_S5_.has_indirect_call, 0
	.section	.AMDGPU.csdata,"",@progbits
; Kernel info:
; codeLenInByte = 74084
; TotalNumSgprs: 28
; NumVgprs: 128
; ScratchSize: 932
; MemoryBound: 1
; FloatMode: 240
; IeeeMode: 1
; LDSByteSize: 0 bytes/workgroup (compile time only)
; SGPRBlocks: 3
; VGPRBlocks: 31
; NumSGPRsForWavesPerEU: 28
; NumVGPRsForWavesPerEU: 128
; Occupancy: 2
; WaveLimiterHint : 0
; COMPUTE_PGM_RSRC2:SCRATCH_EN: 1
; COMPUTE_PGM_RSRC2:USER_SGPR: 6
; COMPUTE_PGM_RSRC2:TRAP_HANDLER: 0
; COMPUTE_PGM_RSRC2:TGID_X_EN: 1
; COMPUTE_PGM_RSRC2:TGID_Y_EN: 1
; COMPUTE_PGM_RSRC2:TGID_Z_EN: 0
; COMPUTE_PGM_RSRC2:TIDIG_COMP_CNT: 1
	.section	.text._ZN9rocsolver6v33100L18getf2_small_kernelILi35E19rocblas_complex_numIdEiiPS3_EEvT1_T3_lS5_lPS5_llPT2_S5_S5_S7_l,"axG",@progbits,_ZN9rocsolver6v33100L18getf2_small_kernelILi35E19rocblas_complex_numIdEiiPS3_EEvT1_T3_lS5_lPS5_llPT2_S5_S5_S7_l,comdat
	.globl	_ZN9rocsolver6v33100L18getf2_small_kernelILi35E19rocblas_complex_numIdEiiPS3_EEvT1_T3_lS5_lPS5_llPT2_S5_S5_S7_l ; -- Begin function _ZN9rocsolver6v33100L18getf2_small_kernelILi35E19rocblas_complex_numIdEiiPS3_EEvT1_T3_lS5_lPS5_llPT2_S5_S5_S7_l
	.p2align	8
	.type	_ZN9rocsolver6v33100L18getf2_small_kernelILi35E19rocblas_complex_numIdEiiPS3_EEvT1_T3_lS5_lPS5_llPT2_S5_S5_S7_l,@function
_ZN9rocsolver6v33100L18getf2_small_kernelILi35E19rocblas_complex_numIdEiiPS3_EEvT1_T3_lS5_lPS5_llPT2_S5_S5_S7_l: ; @_ZN9rocsolver6v33100L18getf2_small_kernelILi35E19rocblas_complex_numIdEiiPS3_EEvT1_T3_lS5_lPS5_llPT2_S5_S5_S7_l
; %bb.0:
	s_mov_b64 s[26:27], s[2:3]
	s_mov_b64 s[24:25], s[0:1]
	s_load_dword s0, s[4:5], 0x6c
	s_load_dwordx2 s[16:17], s[4:5], 0x48
	s_add_u32 s24, s24, s8
	s_addc_u32 s25, s25, 0
	s_waitcnt lgkmcnt(0)
	s_lshr_b32 s0, s0, 16
	s_mul_i32 s7, s7, s0
	v_add_u32_e32 v6, s7, v1
	v_cmp_gt_i32_e32 vcc, s16, v6
	s_and_saveexec_b64 s[0:1], vcc
	s_cbranch_execz .LBB68_736
; %bb.1:
	s_load_dwordx4 s[0:3], s[4:5], 0x50
	v_mov_b32_e32 v2, 0
	v_ashrrev_i32_e32 v7, 31, v6
	v_mov_b32_e32 v3, 0
	s_waitcnt lgkmcnt(0)
	s_cmp_eq_u64 s[0:1], 0
	s_cselect_b64 s[6:7], -1, 0
	s_and_b64 vcc, exec, s[6:7]
	s_cbranch_vccnz .LBB68_3
; %bb.2:
	v_mul_lo_u32 v4, s3, v6
	v_mul_lo_u32 v5, s2, v7
	v_mad_u64_u32 v[2:3], s[2:3], s2, v6, 0
	v_add3_u32 v3, v3, v5, v4
	v_lshlrev_b64 v[2:3], 2, v[2:3]
	v_mov_b32_e32 v4, s1
	v_add_co_u32_e32 v2, vcc, s0, v2
	v_addc_co_u32_e32 v3, vcc, v4, v3, vcc
.LBB68_3:
	buffer_store_dword v2, off, s[24:27], 0 offset:144 ; 4-byte Folded Spill
	s_nop 0
	buffer_store_dword v3, off, s[24:27], 0 offset:148 ; 4-byte Folded Spill
	s_load_dwordx8 s[8:15], s[4:5], 0x20
	s_load_dwordx4 s[20:23], s[4:5], 0x8
	s_load_dword s2, s[4:5], 0x18
	v_lshlrev_b32_e32 v48, 4, v0
	s_waitcnt lgkmcnt(0)
	v_mul_lo_u32 v4, s9, v6
	v_mul_lo_u32 v5, s8, v7
	buffer_store_dword v6, off, s[24:27], 0 offset:168 ; 4-byte Folded Spill
	s_nop 0
	buffer_store_dword v7, off, s[24:27], 0 offset:172 ; 4-byte Folded Spill
	s_add_i32 s16, s2, s2
	s_ashr_i32 s3, s2, 31
	v_mad_u64_u32 v[2:3], s[0:1], s8, v6, 0
	v_mov_b32_e32 v6, s21
	s_lshl_b64 s[0:1], s[22:23], 4
	v_add3_u32 v3, v3, v5, v4
	v_lshlrev_b64 v[2:3], 4, v[2:3]
	v_mov_b32_e32 v4, s1
	v_add_co_u32_e32 v2, vcc, s20, v2
	v_addc_co_u32_e32 v3, vcc, v6, v3, vcc
	v_add_co_u32_e32 v127, vcc, s0, v2
	v_addc_co_u32_e32 v101, vcc, v3, v4, vcc
	v_add_u32_e32 v4, s16, v0
	v_ashrrev_i32_e32 v5, 31, v4
	v_lshlrev_b64 v[2:3], 4, v[4:5]
	v_add_u32_e32 v6, s2, v4
	v_ashrrev_i32_e32 v7, 31, v6
	v_add_co_u32_e32 v2, vcc, v127, v2
	v_lshlrev_b64 v[4:5], 4, v[6:7]
	v_add_u32_e32 v8, s2, v6
	v_addc_co_u32_e32 v3, vcc, v101, v3, vcc
	v_ashrrev_i32_e32 v9, 31, v8
	v_add_co_u32_e32 v4, vcc, v127, v4
	v_lshlrev_b64 v[6:7], 4, v[8:9]
	v_add_u32_e32 v10, s2, v8
	v_addc_co_u32_e32 v5, vcc, v101, v5, vcc
	;; [unrolled: 5-line block ×20, first 2 shown]
	v_ashrrev_i32_e32 v45, 31, v44
	v_add_co_u32_e32 v42, vcc, v127, v42
	v_lshlrev_b64 v[45:46], 4, v[44:45]
	v_addc_co_u32_e32 v43, vcc, v101, v43, vcc
	v_add_u32_e32 v44, s2, v44
	v_add_co_u32_e32 v97, vcc, v127, v45
	v_ashrrev_i32_e32 v45, 31, v44
	v_addc_co_u32_e32 v98, vcc, v101, v46, vcc
	v_lshlrev_b64 v[45:46], 4, v[44:45]
	v_add_u32_e32 v44, s2, v44
	v_add_co_u32_e32 v99, vcc, v127, v45
	v_ashrrev_i32_e32 v45, 31, v44
	v_addc_co_u32_e32 v100, vcc, v101, v46, vcc
	v_lshlrev_b64 v[45:46], 4, v[44:45]
	;; [unrolled: 5-line block ×9, first 2 shown]
	v_add_u32_e32 v44, s2, v44
	v_add_co_u32_e32 v109, vcc, v127, v45
	v_ashrrev_i32_e32 v45, 31, v44
	s_lshl_b64 s[8:9], s[2:3], 4
	s_load_dword s3, s[4:5], 0x0
	v_addc_co_u32_e32 v110, vcc, v101, v46, vcc
	v_lshlrev_b64 v[45:46], 4, v[44:45]
	v_add_u32_e32 v44, s2, v44
	v_add_co_u32_e32 v111, vcc, v127, v45
	v_ashrrev_i32_e32 v45, 31, v44
	v_lshlrev_b64 v[44:45], 4, v[44:45]
	v_addc_co_u32_e32 v112, vcc, v101, v46, vcc
	s_waitcnt lgkmcnt(0)
	s_max_i32 s0, s3, 35
	v_add_co_u32_e32 v105, vcc, v127, v44
	v_mul_lo_u32 v103, s0, v1
	v_addc_co_u32_e32 v106, vcc, v101, v45, vcc
	v_add_co_u32_e32 v46, vcc, v127, v48
	v_addc_co_u32_e32 v47, vcc, 0, v101, vcc
	v_mov_b32_e32 v45, s9
	v_add_co_u32_e32 v44, vcc, s8, v46
	v_lshl_add_u32 v102, v103, 4, 0
	v_addc_co_u32_e32 v45, vcc, v47, v45, vcc
	v_add_u32_e32 v1, v102, v48
	global_load_dwordx4 v[46:49], v[46:47], off
	s_nop 0
	global_load_dwordx4 v[50:53], v[44:45], off
	s_waitcnt vmcnt(0)
	buffer_store_dword v50, off, s[24:27], 0 offset:128 ; 4-byte Folded Spill
	s_nop 0
	buffer_store_dword v51, off, s[24:27], 0 offset:132 ; 4-byte Folded Spill
	buffer_store_dword v52, off, s[24:27], 0 offset:136 ; 4-byte Folded Spill
	;; [unrolled: 1-line block ×4, first 2 shown]
	s_nop 0
	buffer_store_dword v47, off, s[24:27], 0 offset:156 ; 4-byte Folded Spill
	buffer_store_dword v48, off, s[24:27], 0 offset:160 ; 4-byte Folded Spill
	;; [unrolled: 1-line block ×3, first 2 shown]
	s_load_dwordx2 s[4:5], s[4:5], 0x40
	s_cmp_lt_i32 s3, 2
	v_lshlrev_b32_e32 v107, 4, v103
	ds_write2_b64 v1, v[46:47], v[48:49] offset1:1
	global_load_dwordx4 v[44:47], v[2:3], off
	s_waitcnt vmcnt(0)
	buffer_store_dword v44, off, s[24:27], 0 offset:112 ; 4-byte Folded Spill
	s_nop 0
	buffer_store_dword v45, off, s[24:27], 0 offset:116 ; 4-byte Folded Spill
	buffer_store_dword v46, off, s[24:27], 0 offset:120 ; 4-byte Folded Spill
	buffer_store_dword v47, off, s[24:27], 0 offset:124 ; 4-byte Folded Spill
	global_load_dwordx4 v[1:4], v[4:5], off
	s_waitcnt vmcnt(0)
	buffer_store_dword v1, off, s[24:27], 0 offset:96 ; 4-byte Folded Spill
	s_nop 0
	buffer_store_dword v2, off, s[24:27], 0 offset:100 ; 4-byte Folded Spill
	buffer_store_dword v3, off, s[24:27], 0 offset:104 ; 4-byte Folded Spill
	buffer_store_dword v4, off, s[24:27], 0 offset:108 ; 4-byte Folded Spill
	;; [unrolled: 7-line block ×7, first 2 shown]
	global_load_dwordx4 v[1:4], v[16:17], off
	s_waitcnt vmcnt(0)
	buffer_store_dword v1, off, s[24:27], 0 ; 4-byte Folded Spill
	s_nop 0
	buffer_store_dword v2, off, s[24:27], 0 offset:4 ; 4-byte Folded Spill
	buffer_store_dword v3, off, s[24:27], 0 offset:8 ; 4-byte Folded Spill
	;; [unrolled: 1-line block ×3, first 2 shown]
	global_load_dwordx4 v[93:96], v[18:19], off
	global_load_dwordx4 v[89:92], v[20:21], off
	;; [unrolled: 1-line block ×13, first 2 shown]
	s_nop 0
	global_load_dwordx4 v[41:44], v[97:98], off
	global_load_dwordx4 v[37:40], v[99:100], off
	;; [unrolled: 1-line block ×12, first 2 shown]
	s_waitcnt vmcnt(0) lgkmcnt(0)
	s_barrier
	ds_read2_b64 v[121:124], v102 offset1:1
	v_mov_b32_e32 v105, 0
	s_cbranch_scc1 .LBB68_6
; %bb.4:
	v_add3_u32 v103, v107, 0, 16
	s_mov_b32 s0, 1
	v_mov_b32_e32 v105, 0
.LBB68_5:                               ; =>This Inner Loop Header: Depth=1
	s_waitcnt lgkmcnt(0)
	v_cmp_gt_f64_e32 vcc, 0, v[121:122]
	v_xor_b32_e32 v104, 0x80000000, v122
	ds_read2_b64 v[108:111], v103 offset1:1
	v_mov_b32_e32 v112, v121
	v_mov_b32_e32 v114, v123
	v_add_u32_e32 v103, 16, v103
	s_waitcnt lgkmcnt(0)
	v_mov_b32_e32 v116, v110
	v_cndmask_b32_e32 v113, v122, v104, vcc
	v_cmp_gt_f64_e32 vcc, 0, v[123:124]
	v_xor_b32_e32 v104, 0x80000000, v124
	v_cndmask_b32_e32 v115, v124, v104, vcc
	v_cmp_gt_f64_e32 vcc, 0, v[108:109]
	v_xor_b32_e32 v104, 0x80000000, v109
	v_add_f64 v[112:113], v[112:113], v[114:115]
	v_mov_b32_e32 v114, v108
	v_cndmask_b32_e32 v115, v109, v104, vcc
	v_cmp_gt_f64_e32 vcc, 0, v[110:111]
	v_xor_b32_e32 v104, 0x80000000, v111
	v_cndmask_b32_e32 v117, v111, v104, vcc
	v_add_f64 v[114:115], v[114:115], v[116:117]
	v_mov_b32_e32 v104, s0
	s_add_i32 s0, s0, 1
	s_cmp_eq_u32 s3, s0
	v_cmp_lt_f64_e32 vcc, v[112:113], v[114:115]
	v_cndmask_b32_e32 v122, v122, v109, vcc
	v_cndmask_b32_e32 v121, v121, v108, vcc
	;; [unrolled: 1-line block ×5, first 2 shown]
	s_cbranch_scc0 .LBB68_5
.LBB68_6:
	buffer_load_dword v119, off, s[24:27], 0 offset:144 ; 4-byte Folded Reload
	buffer_load_dword v120, off, s[24:27], 0 offset:148 ; 4-byte Folded Reload
	s_waitcnt lgkmcnt(0)
	v_cmp_neq_f64_e32 vcc, 0, v[121:122]
	v_cmp_neq_f64_e64 s[0:1], 0, v[123:124]
	v_mov_b32_e32 v103, 1
	v_mov_b32_e32 v108, 1
	s_or_b64 s[18:19], vcc, s[0:1]
	s_and_saveexec_b64 s[0:1], s[18:19]
	s_cbranch_execz .LBB68_12
; %bb.7:
	v_cmp_ngt_f64_e64 s[18:19], |v[121:122]|, |v[123:124]|
	s_and_saveexec_b64 s[20:21], s[18:19]
	s_xor_b64 s[18:19], exec, s[20:21]
	s_cbranch_execz .LBB68_9
; %bb.8:
	v_div_scale_f64 v[103:104], s[20:21], v[123:124], v[123:124], v[121:122]
	v_rcp_f64_e32 v[108:109], v[103:104]
	v_fma_f64 v[110:111], -v[103:104], v[108:109], 1.0
	v_fma_f64 v[108:109], v[108:109], v[110:111], v[108:109]
	v_div_scale_f64 v[110:111], vcc, v[121:122], v[123:124], v[121:122]
	v_fma_f64 v[112:113], -v[103:104], v[108:109], 1.0
	v_fma_f64 v[108:109], v[108:109], v[112:113], v[108:109]
	v_mul_f64 v[112:113], v[110:111], v[108:109]
	v_fma_f64 v[103:104], -v[103:104], v[112:113], v[110:111]
	v_div_fmas_f64 v[103:104], v[103:104], v[108:109], v[112:113]
	v_div_fixup_f64 v[103:104], v[103:104], v[123:124], v[121:122]
	v_fma_f64 v[108:109], v[121:122], v[103:104], v[123:124]
	v_div_scale_f64 v[110:111], s[20:21], v[108:109], v[108:109], 1.0
	v_div_scale_f64 v[116:117], vcc, 1.0, v[108:109], 1.0
	v_rcp_f64_e32 v[112:113], v[110:111]
	v_fma_f64 v[114:115], -v[110:111], v[112:113], 1.0
	v_fma_f64 v[112:113], v[112:113], v[114:115], v[112:113]
	v_fma_f64 v[114:115], -v[110:111], v[112:113], 1.0
	v_fma_f64 v[112:113], v[112:113], v[114:115], v[112:113]
	v_mul_f64 v[114:115], v[116:117], v[112:113]
	v_fma_f64 v[110:111], -v[110:111], v[114:115], v[116:117]
	v_div_fmas_f64 v[110:111], v[110:111], v[112:113], v[114:115]
	v_div_fixup_f64 v[123:124], v[110:111], v[108:109], 1.0
	v_mul_f64 v[121:122], v[103:104], v[123:124]
	v_xor_b32_e32 v124, 0x80000000, v124
.LBB68_9:
	s_andn2_saveexec_b64 s[18:19], s[18:19]
	s_cbranch_execz .LBB68_11
; %bb.10:
	v_div_scale_f64 v[103:104], s[20:21], v[121:122], v[121:122], v[123:124]
	v_rcp_f64_e32 v[108:109], v[103:104]
	v_fma_f64 v[110:111], -v[103:104], v[108:109], 1.0
	v_fma_f64 v[108:109], v[108:109], v[110:111], v[108:109]
	v_div_scale_f64 v[110:111], vcc, v[123:124], v[121:122], v[123:124]
	v_fma_f64 v[112:113], -v[103:104], v[108:109], 1.0
	v_fma_f64 v[108:109], v[108:109], v[112:113], v[108:109]
	v_mul_f64 v[112:113], v[110:111], v[108:109]
	v_fma_f64 v[103:104], -v[103:104], v[112:113], v[110:111]
	v_div_fmas_f64 v[103:104], v[103:104], v[108:109], v[112:113]
	v_div_fixup_f64 v[103:104], v[103:104], v[121:122], v[123:124]
	v_fma_f64 v[108:109], v[123:124], v[103:104], v[121:122]
	v_div_scale_f64 v[110:111], s[20:21], v[108:109], v[108:109], 1.0
	v_div_scale_f64 v[116:117], vcc, 1.0, v[108:109], 1.0
	v_rcp_f64_e32 v[112:113], v[110:111]
	v_fma_f64 v[114:115], -v[110:111], v[112:113], 1.0
	v_fma_f64 v[112:113], v[112:113], v[114:115], v[112:113]
	v_fma_f64 v[114:115], -v[110:111], v[112:113], 1.0
	v_fma_f64 v[112:113], v[112:113], v[114:115], v[112:113]
	v_mul_f64 v[114:115], v[116:117], v[112:113]
	v_fma_f64 v[110:111], -v[110:111], v[114:115], v[116:117]
	v_div_fmas_f64 v[110:111], v[110:111], v[112:113], v[114:115]
	v_div_fixup_f64 v[121:122], v[110:111], v[108:109], 1.0
	v_mul_f64 v[123:124], v[103:104], -v[121:122]
.LBB68_11:
	s_or_b64 exec, exec, s[18:19]
	v_mov_b32_e32 v108, 0
	v_mov_b32_e32 v103, 2
.LBB68_12:
	s_or_b64 exec, exec, s[0:1]
	v_cmp_ne_u32_e32 vcc, v0, v105
	s_and_saveexec_b64 s[0:1], vcc
	s_xor_b64 s[0:1], exec, s[0:1]
	s_cbranch_execz .LBB68_18
; %bb.13:
	v_cmp_eq_u32_e32 vcc, 0, v0
	s_and_saveexec_b64 s[18:19], vcc
	s_cbranch_execz .LBB68_17
; %bb.14:
	v_cmp_ne_u32_e32 vcc, 0, v105
	s_xor_b64 s[20:21], s[6:7], -1
	s_and_b64 s[22:23], s[20:21], vcc
	s_and_saveexec_b64 s[20:21], s[22:23]
	s_cbranch_execz .LBB68_16
; %bb.15:
	v_ashrrev_i32_e32 v106, 31, v105
	v_lshlrev_b64 v[109:110], 2, v[105:106]
	s_waitcnt vmcnt(1)
	v_add_co_u32_e32 v109, vcc, v119, v109
	s_waitcnt vmcnt(0)
	v_addc_co_u32_e32 v110, vcc, v120, v110, vcc
	global_load_dword v0, v[109:110], off
	global_load_dword v104, v[119:120], off
	s_waitcnt vmcnt(1)
	global_store_dword v[119:120], v0, off
	s_waitcnt vmcnt(1)
	global_store_dword v[109:110], v104, off
.LBB68_16:
	s_or_b64 exec, exec, s[20:21]
	v_mov_b32_e32 v0, v105
.LBB68_17:
	s_or_b64 exec, exec, s[18:19]
.LBB68_18:
	s_or_saveexec_b64 s[0:1], s[0:1]
	v_mov_b32_e32 v104, v0
	s_xor_b64 exec, exec, s[0:1]
	s_cbranch_execz .LBB68_20
; %bb.19:
	buffer_load_dword v109, off, s[24:27], 0 offset:128 ; 4-byte Folded Reload
	buffer_load_dword v110, off, s[24:27], 0 offset:132 ; 4-byte Folded Reload
	;; [unrolled: 1-line block ×4, first 2 shown]
	v_mov_b32_e32 v104, 0
	s_waitcnt vmcnt(0)
	ds_write2_b64 v102, v[109:110], v[111:112] offset0:2 offset1:3
	buffer_load_dword v109, off, s[24:27], 0 offset:112 ; 4-byte Folded Reload
	buffer_load_dword v110, off, s[24:27], 0 offset:116 ; 4-byte Folded Reload
	buffer_load_dword v111, off, s[24:27], 0 offset:120 ; 4-byte Folded Reload
	buffer_load_dword v112, off, s[24:27], 0 offset:124 ; 4-byte Folded Reload
	s_waitcnt vmcnt(0)
	ds_write2_b64 v102, v[109:110], v[111:112] offset0:4 offset1:5
	buffer_load_dword v109, off, s[24:27], 0 offset:96 ; 4-byte Folded Reload
	buffer_load_dword v110, off, s[24:27], 0 offset:100 ; 4-byte Folded Reload
	buffer_load_dword v111, off, s[24:27], 0 offset:104 ; 4-byte Folded Reload
	buffer_load_dword v112, off, s[24:27], 0 offset:108 ; 4-byte Folded Reload
	;; [unrolled: 6-line block ×7, first 2 shown]
	s_waitcnt vmcnt(0)
	ds_write2_b64 v102, v[109:110], v[111:112] offset0:16 offset1:17
	buffer_load_dword v109, off, s[24:27], 0 ; 4-byte Folded Reload
	buffer_load_dword v110, off, s[24:27], 0 offset:4 ; 4-byte Folded Reload
	buffer_load_dword v111, off, s[24:27], 0 offset:8 ; 4-byte Folded Reload
	;; [unrolled: 1-line block ×3, first 2 shown]
	s_waitcnt vmcnt(0)
	ds_write2_b64 v102, v[109:110], v[111:112] offset0:18 offset1:19
	ds_write2_b64 v102, v[93:94], v[95:96] offset0:20 offset1:21
	;; [unrolled: 1-line block ×26, first 2 shown]
.LBB68_20:
	s_or_b64 exec, exec, s[0:1]
	v_cmp_lt_i32_e32 vcc, 0, v104
	s_waitcnt vmcnt(0) lgkmcnt(0)
	s_barrier
	s_and_saveexec_b64 s[0:1], vcc
	s_cbranch_execz .LBB68_22
; %bb.21:
	buffer_load_dword v111, off, s[24:27], 0 offset:152 ; 4-byte Folded Reload
	buffer_load_dword v112, off, s[24:27], 0 offset:156 ; 4-byte Folded Reload
	;; [unrolled: 1-line block ×4, first 2 shown]
	s_waitcnt vmcnt(0)
	v_mul_f64 v[105:106], v[123:124], v[113:114]
	v_fma_f64 v[125:126], v[121:122], v[111:112], -v[105:106]
	v_mul_f64 v[105:106], v[121:122], v[113:114]
	v_fma_f64 v[113:114], v[123:124], v[111:112], v[105:106]
	ds_read2_b64 v[109:112], v102 offset0:2 offset1:3
	buffer_load_dword v115, off, s[24:27], 0 offset:128 ; 4-byte Folded Reload
	buffer_load_dword v116, off, s[24:27], 0 offset:132 ; 4-byte Folded Reload
	buffer_load_dword v117, off, s[24:27], 0 offset:136 ; 4-byte Folded Reload
	buffer_load_dword v118, off, s[24:27], 0 offset:140 ; 4-byte Folded Reload
	s_waitcnt lgkmcnt(0)
	v_mul_f64 v[105:106], v[111:112], v[113:114]
	v_fma_f64 v[105:106], v[109:110], v[125:126], -v[105:106]
	v_mul_f64 v[109:110], v[109:110], v[113:114]
	v_fma_f64 v[109:110], v[111:112], v[125:126], v[109:110]
	s_waitcnt vmcnt(2)
	v_add_f64 v[115:116], v[115:116], -v[105:106]
	s_waitcnt vmcnt(0)
	v_add_f64 v[117:118], v[117:118], -v[109:110]
	buffer_store_dword v115, off, s[24:27], 0 offset:128 ; 4-byte Folded Spill
	s_nop 0
	buffer_store_dword v116, off, s[24:27], 0 offset:132 ; 4-byte Folded Spill
	buffer_store_dword v117, off, s[24:27], 0 offset:136 ; 4-byte Folded Spill
	buffer_store_dword v118, off, s[24:27], 0 offset:140 ; 4-byte Folded Spill
	ds_read2_b64 v[109:112], v102 offset0:4 offset1:5
	buffer_load_dword v115, off, s[24:27], 0 offset:112 ; 4-byte Folded Reload
	buffer_load_dword v116, off, s[24:27], 0 offset:116 ; 4-byte Folded Reload
	buffer_load_dword v117, off, s[24:27], 0 offset:120 ; 4-byte Folded Reload
	buffer_load_dword v118, off, s[24:27], 0 offset:124 ; 4-byte Folded Reload
	s_waitcnt lgkmcnt(0)
	v_mul_f64 v[105:106], v[111:112], v[113:114]
	v_fma_f64 v[105:106], v[109:110], v[125:126], -v[105:106]
	v_mul_f64 v[109:110], v[109:110], v[113:114]
	v_fma_f64 v[109:110], v[111:112], v[125:126], v[109:110]
	s_waitcnt vmcnt(2)
	v_add_f64 v[115:116], v[115:116], -v[105:106]
	s_waitcnt vmcnt(0)
	v_add_f64 v[117:118], v[117:118], -v[109:110]
	buffer_store_dword v115, off, s[24:27], 0 offset:112 ; 4-byte Folded Spill
	s_nop 0
	buffer_store_dword v116, off, s[24:27], 0 offset:116 ; 4-byte Folded Spill
	buffer_store_dword v117, off, s[24:27], 0 offset:120 ; 4-byte Folded Spill
	buffer_store_dword v118, off, s[24:27], 0 offset:124 ; 4-byte Folded Spill
	;; [unrolled: 19-line block ×8, first 2 shown]
	ds_read2_b64 v[109:112], v102 offset0:18 offset1:19
	buffer_load_dword v115, off, s[24:27], 0 ; 4-byte Folded Reload
	buffer_load_dword v116, off, s[24:27], 0 offset:4 ; 4-byte Folded Reload
	buffer_load_dword v117, off, s[24:27], 0 offset:8 ; 4-byte Folded Reload
	;; [unrolled: 1-line block ×3, first 2 shown]
	s_waitcnt lgkmcnt(0)
	v_mul_f64 v[105:106], v[111:112], v[113:114]
	v_fma_f64 v[105:106], v[109:110], v[125:126], -v[105:106]
	v_mul_f64 v[109:110], v[109:110], v[113:114]
	v_fma_f64 v[109:110], v[111:112], v[125:126], v[109:110]
	s_waitcnt vmcnt(2)
	v_add_f64 v[115:116], v[115:116], -v[105:106]
	s_waitcnt vmcnt(0)
	v_add_f64 v[117:118], v[117:118], -v[109:110]
	buffer_store_dword v115, off, s[24:27], 0 ; 4-byte Folded Spill
	s_nop 0
	buffer_store_dword v116, off, s[24:27], 0 offset:4 ; 4-byte Folded Spill
	buffer_store_dword v117, off, s[24:27], 0 offset:8 ; 4-byte Folded Spill
	;; [unrolled: 1-line block ×3, first 2 shown]
	ds_read2_b64 v[109:112], v102 offset0:20 offset1:21
	s_waitcnt lgkmcnt(0)
	v_mul_f64 v[105:106], v[111:112], v[113:114]
	v_fma_f64 v[105:106], v[109:110], v[125:126], -v[105:106]
	v_mul_f64 v[109:110], v[109:110], v[113:114]
	v_add_f64 v[93:94], v[93:94], -v[105:106]
	v_fma_f64 v[109:110], v[111:112], v[125:126], v[109:110]
	v_add_f64 v[95:96], v[95:96], -v[109:110]
	ds_read2_b64 v[109:112], v102 offset0:22 offset1:23
	s_waitcnt lgkmcnt(0)
	v_mul_f64 v[105:106], v[111:112], v[113:114]
	v_fma_f64 v[105:106], v[109:110], v[125:126], -v[105:106]
	v_mul_f64 v[109:110], v[109:110], v[113:114]
	v_add_f64 v[89:90], v[89:90], -v[105:106]
	v_fma_f64 v[109:110], v[111:112], v[125:126], v[109:110]
	v_add_f64 v[91:92], v[91:92], -v[109:110]
	;; [unrolled: 8-line block ×24, first 2 shown]
	ds_read2_b64 v[109:112], v102 offset0:68 offset1:69
	s_waitcnt lgkmcnt(0)
	v_mul_f64 v[105:106], v[111:112], v[113:114]
	v_fma_f64 v[105:106], v[109:110], v[125:126], -v[105:106]
	v_mul_f64 v[109:110], v[109:110], v[113:114]
	v_add_f64 v[97:98], v[97:98], -v[105:106]
	v_fma_f64 v[109:110], v[111:112], v[125:126], v[109:110]
	v_mov_b32_e32 v111, v125
	v_mov_b32_e32 v112, v126
	buffer_store_dword v111, off, s[24:27], 0 offset:152 ; 4-byte Folded Spill
	s_nop 0
	buffer_store_dword v112, off, s[24:27], 0 offset:156 ; 4-byte Folded Spill
	buffer_store_dword v113, off, s[24:27], 0 offset:160 ; 4-byte Folded Spill
	buffer_store_dword v114, off, s[24:27], 0 offset:164 ; 4-byte Folded Spill
	v_add_f64 v[99:100], v[99:100], -v[109:110]
.LBB68_22:
	s_or_b64 exec, exec, s[0:1]
	s_waitcnt vmcnt(0)
	s_barrier
	buffer_load_dword v109, off, s[24:27], 0 offset:128 ; 4-byte Folded Reload
	buffer_load_dword v110, off, s[24:27], 0 offset:132 ; 4-byte Folded Reload
	;; [unrolled: 1-line block ×4, first 2 shown]
	v_lshl_add_u32 v105, v104, 4, v102
	s_cmp_lt_i32 s3, 3
	s_waitcnt vmcnt(0)
	ds_write2_b64 v105, v[109:110], v[111:112] offset1:1
	s_waitcnt lgkmcnt(0)
	s_barrier
	ds_read2_b64 v[121:124], v102 offset0:2 offset1:3
	v_mov_b32_e32 v105, 1
	s_cbranch_scc1 .LBB68_25
; %bb.23:
	v_add3_u32 v106, v107, 0, 32
	s_mov_b32 s0, 2
	v_mov_b32_e32 v105, 1
.LBB68_24:                              ; =>This Inner Loop Header: Depth=1
	s_waitcnt lgkmcnt(0)
	v_cmp_gt_f64_e32 vcc, 0, v[121:122]
	v_xor_b32_e32 v113, 0x80000000, v122
	ds_read2_b64 v[109:112], v106 offset1:1
	v_xor_b32_e32 v115, 0x80000000, v124
	v_add_u32_e32 v106, 16, v106
	s_waitcnt lgkmcnt(0)
	v_xor_b32_e32 v117, 0x80000000, v112
	v_cndmask_b32_e32 v114, v122, v113, vcc
	v_cmp_gt_f64_e32 vcc, 0, v[123:124]
	v_mov_b32_e32 v113, v121
	v_cndmask_b32_e32 v116, v124, v115, vcc
	v_cmp_gt_f64_e32 vcc, 0, v[109:110]
	v_mov_b32_e32 v115, v123
	v_add_f64 v[113:114], v[113:114], v[115:116]
	v_xor_b32_e32 v115, 0x80000000, v110
	v_cndmask_b32_e32 v116, v110, v115, vcc
	v_cmp_gt_f64_e32 vcc, 0, v[111:112]
	v_mov_b32_e32 v115, v109
	v_cndmask_b32_e32 v118, v112, v117, vcc
	v_mov_b32_e32 v117, v111
	v_add_f64 v[115:116], v[115:116], v[117:118]
	v_cmp_lt_f64_e32 vcc, v[113:114], v[115:116]
	v_cndmask_b32_e32 v121, v121, v109, vcc
	v_mov_b32_e32 v109, s0
	s_add_i32 s0, s0, 1
	v_cndmask_b32_e32 v122, v122, v110, vcc
	v_cndmask_b32_e32 v124, v124, v112, vcc
	;; [unrolled: 1-line block ×4, first 2 shown]
	s_cmp_lg_u32 s3, s0
	s_cbranch_scc1 .LBB68_24
.LBB68_25:
	s_waitcnt lgkmcnt(0)
	v_cmp_neq_f64_e32 vcc, 0, v[121:122]
	v_cmp_neq_f64_e64 s[0:1], 0, v[123:124]
	s_or_b64 s[18:19], vcc, s[0:1]
	s_and_saveexec_b64 s[0:1], s[18:19]
	s_cbranch_execz .LBB68_31
; %bb.26:
	v_cmp_ngt_f64_e64 s[18:19], |v[121:122]|, |v[123:124]|
	s_and_saveexec_b64 s[20:21], s[18:19]
	s_xor_b64 s[18:19], exec, s[20:21]
	s_cbranch_execz .LBB68_28
; %bb.27:
	v_div_scale_f64 v[109:110], s[20:21], v[123:124], v[123:124], v[121:122]
	v_rcp_f64_e32 v[111:112], v[109:110]
	v_fma_f64 v[113:114], -v[109:110], v[111:112], 1.0
	v_fma_f64 v[111:112], v[111:112], v[113:114], v[111:112]
	v_div_scale_f64 v[113:114], vcc, v[121:122], v[123:124], v[121:122]
	v_fma_f64 v[115:116], -v[109:110], v[111:112], 1.0
	v_fma_f64 v[111:112], v[111:112], v[115:116], v[111:112]
	v_mul_f64 v[115:116], v[113:114], v[111:112]
	v_fma_f64 v[109:110], -v[109:110], v[115:116], v[113:114]
	v_div_fmas_f64 v[109:110], v[109:110], v[111:112], v[115:116]
	v_div_fixup_f64 v[109:110], v[109:110], v[123:124], v[121:122]
	v_fma_f64 v[111:112], v[121:122], v[109:110], v[123:124]
	v_div_scale_f64 v[113:114], s[20:21], v[111:112], v[111:112], 1.0
	v_div_scale_f64 v[119:120], vcc, 1.0, v[111:112], 1.0
	v_rcp_f64_e32 v[115:116], v[113:114]
	v_fma_f64 v[117:118], -v[113:114], v[115:116], 1.0
	v_fma_f64 v[115:116], v[115:116], v[117:118], v[115:116]
	v_fma_f64 v[117:118], -v[113:114], v[115:116], 1.0
	v_fma_f64 v[115:116], v[115:116], v[117:118], v[115:116]
	v_mul_f64 v[117:118], v[119:120], v[115:116]
	v_fma_f64 v[113:114], -v[113:114], v[117:118], v[119:120]
	buffer_load_dword v119, off, s[24:27], 0 offset:144 ; 4-byte Folded Reload
	buffer_load_dword v120, off, s[24:27], 0 offset:148 ; 4-byte Folded Reload
	v_div_fmas_f64 v[113:114], v[113:114], v[115:116], v[117:118]
	v_div_fixup_f64 v[123:124], v[113:114], v[111:112], 1.0
	v_mul_f64 v[121:122], v[109:110], v[123:124]
	v_xor_b32_e32 v124, 0x80000000, v124
.LBB68_28:
	s_andn2_saveexec_b64 s[18:19], s[18:19]
	s_cbranch_execz .LBB68_30
; %bb.29:
	v_div_scale_f64 v[109:110], s[20:21], v[121:122], v[121:122], v[123:124]
	v_rcp_f64_e32 v[111:112], v[109:110]
	v_fma_f64 v[113:114], -v[109:110], v[111:112], 1.0
	v_fma_f64 v[111:112], v[111:112], v[113:114], v[111:112]
	v_div_scale_f64 v[113:114], vcc, v[123:124], v[121:122], v[123:124]
	v_fma_f64 v[115:116], -v[109:110], v[111:112], 1.0
	v_fma_f64 v[111:112], v[111:112], v[115:116], v[111:112]
	v_mul_f64 v[115:116], v[113:114], v[111:112]
	v_fma_f64 v[109:110], -v[109:110], v[115:116], v[113:114]
	v_div_fmas_f64 v[109:110], v[109:110], v[111:112], v[115:116]
	v_div_fixup_f64 v[109:110], v[109:110], v[121:122], v[123:124]
	v_fma_f64 v[111:112], v[123:124], v[109:110], v[121:122]
	v_div_scale_f64 v[113:114], s[20:21], v[111:112], v[111:112], 1.0
	s_waitcnt vmcnt(0)
	v_div_scale_f64 v[119:120], vcc, 1.0, v[111:112], 1.0
	v_rcp_f64_e32 v[115:116], v[113:114]
	v_fma_f64 v[117:118], -v[113:114], v[115:116], 1.0
	v_fma_f64 v[115:116], v[115:116], v[117:118], v[115:116]
	v_fma_f64 v[117:118], -v[113:114], v[115:116], 1.0
	v_fma_f64 v[115:116], v[115:116], v[117:118], v[115:116]
	v_mul_f64 v[117:118], v[119:120], v[115:116]
	v_fma_f64 v[113:114], -v[113:114], v[117:118], v[119:120]
	buffer_load_dword v119, off, s[24:27], 0 offset:144 ; 4-byte Folded Reload
	buffer_load_dword v120, off, s[24:27], 0 offset:148 ; 4-byte Folded Reload
	v_div_fmas_f64 v[113:114], v[113:114], v[115:116], v[117:118]
	v_div_fixup_f64 v[121:122], v[113:114], v[111:112], 1.0
	v_mul_f64 v[123:124], v[109:110], -v[121:122]
.LBB68_30:
	s_or_b64 exec, exec, s[18:19]
	v_mov_b32_e32 v103, v108
.LBB68_31:
	s_or_b64 exec, exec, s[0:1]
	v_cmp_ne_u32_e32 vcc, v104, v105
	s_and_saveexec_b64 s[0:1], vcc
	s_xor_b64 s[0:1], exec, s[0:1]
	s_cbranch_execz .LBB68_37
; %bb.32:
	v_cmp_eq_u32_e32 vcc, 1, v104
	s_and_saveexec_b64 s[18:19], vcc
	s_cbranch_execz .LBB68_36
; %bb.33:
	v_cmp_ne_u32_e32 vcc, 1, v105
	s_xor_b64 s[20:21], s[6:7], -1
	s_and_b64 s[22:23], s[20:21], vcc
	s_and_saveexec_b64 s[20:21], s[22:23]
	s_cbranch_execz .LBB68_35
; %bb.34:
	v_ashrrev_i32_e32 v106, 31, v105
	v_lshlrev_b64 v[108:109], 2, v[105:106]
	s_waitcnt vmcnt(1)
	v_add_co_u32_e32 v108, vcc, v119, v108
	s_waitcnt vmcnt(0)
	v_addc_co_u32_e32 v109, vcc, v120, v109, vcc
	global_load_dword v0, v[108:109], off
	global_load_dword v104, v[119:120], off offset:4
	s_waitcnt vmcnt(1)
	global_store_dword v[119:120], v0, off offset:4
	s_waitcnt vmcnt(1)
	global_store_dword v[108:109], v104, off
.LBB68_35:
	s_or_b64 exec, exec, s[20:21]
	v_mov_b32_e32 v104, v105
	v_mov_b32_e32 v0, v105
.LBB68_36:
	s_or_b64 exec, exec, s[18:19]
.LBB68_37:
	s_andn2_saveexec_b64 s[0:1], s[0:1]
	s_cbranch_execz .LBB68_39
; %bb.38:
	buffer_load_dword v108, off, s[24:27], 0 offset:112 ; 4-byte Folded Reload
	buffer_load_dword v109, off, s[24:27], 0 offset:116 ; 4-byte Folded Reload
	;; [unrolled: 1-line block ×4, first 2 shown]
	v_mov_b32_e32 v104, 1
	s_waitcnt vmcnt(0)
	ds_write2_b64 v102, v[108:109], v[110:111] offset0:4 offset1:5
	buffer_load_dword v108, off, s[24:27], 0 offset:96 ; 4-byte Folded Reload
	buffer_load_dword v109, off, s[24:27], 0 offset:100 ; 4-byte Folded Reload
	buffer_load_dword v110, off, s[24:27], 0 offset:104 ; 4-byte Folded Reload
	buffer_load_dword v111, off, s[24:27], 0 offset:108 ; 4-byte Folded Reload
	s_waitcnt vmcnt(0)
	ds_write2_b64 v102, v[108:109], v[110:111] offset0:6 offset1:7
	buffer_load_dword v108, off, s[24:27], 0 offset:80 ; 4-byte Folded Reload
	buffer_load_dword v109, off, s[24:27], 0 offset:84 ; 4-byte Folded Reload
	buffer_load_dword v110, off, s[24:27], 0 offset:88 ; 4-byte Folded Reload
	buffer_load_dword v111, off, s[24:27], 0 offset:92 ; 4-byte Folded Reload
	;; [unrolled: 6-line block ×6, first 2 shown]
	s_waitcnt vmcnt(0)
	ds_write2_b64 v102, v[108:109], v[110:111] offset0:16 offset1:17
	buffer_load_dword v108, off, s[24:27], 0 ; 4-byte Folded Reload
	buffer_load_dword v109, off, s[24:27], 0 offset:4 ; 4-byte Folded Reload
	buffer_load_dword v110, off, s[24:27], 0 offset:8 ; 4-byte Folded Reload
	;; [unrolled: 1-line block ×3, first 2 shown]
	s_waitcnt vmcnt(0)
	ds_write2_b64 v102, v[108:109], v[110:111] offset0:18 offset1:19
	ds_write2_b64 v102, v[93:94], v[95:96] offset0:20 offset1:21
	;; [unrolled: 1-line block ×26, first 2 shown]
.LBB68_39:
	s_or_b64 exec, exec, s[0:1]
	v_cmp_lt_i32_e32 vcc, 1, v104
	s_waitcnt vmcnt(0) lgkmcnt(0)
	s_barrier
	s_and_saveexec_b64 s[0:1], vcc
	s_cbranch_execz .LBB68_41
; %bb.40:
	buffer_load_dword v112, off, s[24:27], 0 offset:128 ; 4-byte Folded Reload
	buffer_load_dword v113, off, s[24:27], 0 offset:132 ; 4-byte Folded Reload
	;; [unrolled: 1-line block ×4, first 2 shown]
	ds_read2_b64 v[108:111], v102 offset0:4 offset1:5
	s_waitcnt vmcnt(0)
	v_mul_f64 v[105:106], v[123:124], v[114:115]
	v_fma_f64 v[125:126], v[121:122], v[112:113], -v[105:106]
	v_mul_f64 v[105:106], v[121:122], v[114:115]
	v_fma_f64 v[114:115], v[123:124], v[112:113], v[105:106]
	s_waitcnt lgkmcnt(0)
	v_mul_f64 v[105:106], v[110:111], v[114:115]
	v_fma_f64 v[105:106], v[108:109], v[125:126], -v[105:106]
	v_mul_f64 v[108:109], v[108:109], v[114:115]
	v_fma_f64 v[108:109], v[110:111], v[125:126], v[108:109]
	buffer_load_dword v110, off, s[24:27], 0 offset:112 ; 4-byte Folded Reload
	buffer_load_dword v111, off, s[24:27], 0 offset:116 ; 4-byte Folded Reload
	buffer_load_dword v112, off, s[24:27], 0 offset:120 ; 4-byte Folded Reload
	buffer_load_dword v113, off, s[24:27], 0 offset:124 ; 4-byte Folded Reload
	s_waitcnt vmcnt(2)
	v_add_f64 v[110:111], v[110:111], -v[105:106]
	s_waitcnt vmcnt(0)
	v_add_f64 v[112:113], v[112:113], -v[108:109]
	buffer_store_dword v110, off, s[24:27], 0 offset:112 ; 4-byte Folded Spill
	s_nop 0
	buffer_store_dword v111, off, s[24:27], 0 offset:116 ; 4-byte Folded Spill
	buffer_store_dword v112, off, s[24:27], 0 offset:120 ; 4-byte Folded Spill
	buffer_store_dword v113, off, s[24:27], 0 offset:124 ; 4-byte Folded Spill
	ds_read2_b64 v[108:111], v102 offset0:6 offset1:7
	s_waitcnt lgkmcnt(0)
	v_mul_f64 v[105:106], v[110:111], v[114:115]
	v_fma_f64 v[105:106], v[108:109], v[125:126], -v[105:106]
	v_mul_f64 v[108:109], v[108:109], v[114:115]
	v_fma_f64 v[108:109], v[110:111], v[125:126], v[108:109]
	buffer_load_dword v110, off, s[24:27], 0 offset:96 ; 4-byte Folded Reload
	buffer_load_dword v111, off, s[24:27], 0 offset:100 ; 4-byte Folded Reload
	buffer_load_dword v112, off, s[24:27], 0 offset:104 ; 4-byte Folded Reload
	buffer_load_dword v113, off, s[24:27], 0 offset:108 ; 4-byte Folded Reload
	s_waitcnt vmcnt(2)
	v_add_f64 v[110:111], v[110:111], -v[105:106]
	s_waitcnt vmcnt(0)
	v_add_f64 v[112:113], v[112:113], -v[108:109]
	buffer_store_dword v110, off, s[24:27], 0 offset:96 ; 4-byte Folded Spill
	s_nop 0
	buffer_store_dword v111, off, s[24:27], 0 offset:100 ; 4-byte Folded Spill
	buffer_store_dword v112, off, s[24:27], 0 offset:104 ; 4-byte Folded Spill
	buffer_store_dword v113, off, s[24:27], 0 offset:108 ; 4-byte Folded Spill
	ds_read2_b64 v[108:111], v102 offset0:8 offset1:9
	;; [unrolled: 19-line block ×7, first 2 shown]
	s_waitcnt lgkmcnt(0)
	v_mul_f64 v[105:106], v[110:111], v[114:115]
	v_fma_f64 v[105:106], v[108:109], v[125:126], -v[105:106]
	v_mul_f64 v[108:109], v[108:109], v[114:115]
	v_fma_f64 v[108:109], v[110:111], v[125:126], v[108:109]
	buffer_load_dword v110, off, s[24:27], 0 ; 4-byte Folded Reload
	buffer_load_dword v111, off, s[24:27], 0 offset:4 ; 4-byte Folded Reload
	buffer_load_dword v112, off, s[24:27], 0 offset:8 ; 4-byte Folded Reload
	;; [unrolled: 1-line block ×3, first 2 shown]
	s_waitcnt vmcnt(2)
	v_add_f64 v[110:111], v[110:111], -v[105:106]
	s_waitcnt vmcnt(0)
	v_add_f64 v[112:113], v[112:113], -v[108:109]
	buffer_store_dword v110, off, s[24:27], 0 ; 4-byte Folded Spill
	s_nop 0
	buffer_store_dword v111, off, s[24:27], 0 offset:4 ; 4-byte Folded Spill
	buffer_store_dword v112, off, s[24:27], 0 offset:8 ; 4-byte Folded Spill
	buffer_store_dword v113, off, s[24:27], 0 offset:12 ; 4-byte Folded Spill
	ds_read2_b64 v[108:111], v102 offset0:20 offset1:21
	v_mov_b32_e32 v112, v125
	v_mov_b32_e32 v113, v126
	s_waitcnt lgkmcnt(0)
	v_mul_f64 v[105:106], v[110:111], v[114:115]
	v_fma_f64 v[105:106], v[108:109], v[125:126], -v[105:106]
	v_mul_f64 v[108:109], v[108:109], v[114:115]
	v_add_f64 v[93:94], v[93:94], -v[105:106]
	v_fma_f64 v[108:109], v[110:111], v[125:126], v[108:109]
	v_add_f64 v[95:96], v[95:96], -v[108:109]
	ds_read2_b64 v[108:111], v102 offset0:22 offset1:23
	s_waitcnt lgkmcnt(0)
	v_mul_f64 v[105:106], v[110:111], v[114:115]
	v_fma_f64 v[105:106], v[108:109], v[125:126], -v[105:106]
	v_mul_f64 v[108:109], v[108:109], v[114:115]
	v_add_f64 v[89:90], v[89:90], -v[105:106]
	v_fma_f64 v[108:109], v[110:111], v[125:126], v[108:109]
	v_add_f64 v[91:92], v[91:92], -v[108:109]
	ds_read2_b64 v[108:111], v102 offset0:24 offset1:25
	s_waitcnt lgkmcnt(0)
	v_mul_f64 v[105:106], v[110:111], v[114:115]
	v_fma_f64 v[105:106], v[108:109], v[125:126], -v[105:106]
	v_mul_f64 v[108:109], v[108:109], v[114:115]
	v_add_f64 v[85:86], v[85:86], -v[105:106]
	v_fma_f64 v[108:109], v[110:111], v[125:126], v[108:109]
	v_add_f64 v[87:88], v[87:88], -v[108:109]
	ds_read2_b64 v[108:111], v102 offset0:26 offset1:27
	s_waitcnt lgkmcnt(0)
	v_mul_f64 v[105:106], v[110:111], v[114:115]
	v_fma_f64 v[105:106], v[108:109], v[125:126], -v[105:106]
	v_mul_f64 v[108:109], v[108:109], v[114:115]
	v_add_f64 v[81:82], v[81:82], -v[105:106]
	v_fma_f64 v[108:109], v[110:111], v[125:126], v[108:109]
	v_add_f64 v[83:84], v[83:84], -v[108:109]
	ds_read2_b64 v[108:111], v102 offset0:28 offset1:29
	s_waitcnt lgkmcnt(0)
	v_mul_f64 v[105:106], v[110:111], v[114:115]
	v_fma_f64 v[105:106], v[108:109], v[125:126], -v[105:106]
	v_mul_f64 v[108:109], v[108:109], v[114:115]
	v_add_f64 v[77:78], v[77:78], -v[105:106]
	v_fma_f64 v[108:109], v[110:111], v[125:126], v[108:109]
	v_add_f64 v[79:80], v[79:80], -v[108:109]
	ds_read2_b64 v[108:111], v102 offset0:30 offset1:31
	s_waitcnt lgkmcnt(0)
	v_mul_f64 v[105:106], v[110:111], v[114:115]
	v_fma_f64 v[105:106], v[108:109], v[125:126], -v[105:106]
	v_mul_f64 v[108:109], v[108:109], v[114:115]
	v_add_f64 v[73:74], v[73:74], -v[105:106]
	v_fma_f64 v[108:109], v[110:111], v[125:126], v[108:109]
	v_add_f64 v[75:76], v[75:76], -v[108:109]
	ds_read2_b64 v[108:111], v102 offset0:32 offset1:33
	s_waitcnt lgkmcnt(0)
	v_mul_f64 v[105:106], v[110:111], v[114:115]
	v_fma_f64 v[105:106], v[108:109], v[125:126], -v[105:106]
	v_mul_f64 v[108:109], v[108:109], v[114:115]
	v_add_f64 v[69:70], v[69:70], -v[105:106]
	v_fma_f64 v[108:109], v[110:111], v[125:126], v[108:109]
	v_add_f64 v[71:72], v[71:72], -v[108:109]
	ds_read2_b64 v[108:111], v102 offset0:34 offset1:35
	s_waitcnt lgkmcnt(0)
	v_mul_f64 v[105:106], v[110:111], v[114:115]
	v_fma_f64 v[105:106], v[108:109], v[125:126], -v[105:106]
	v_mul_f64 v[108:109], v[108:109], v[114:115]
	v_add_f64 v[65:66], v[65:66], -v[105:106]
	v_fma_f64 v[108:109], v[110:111], v[125:126], v[108:109]
	v_add_f64 v[67:68], v[67:68], -v[108:109]
	ds_read2_b64 v[108:111], v102 offset0:36 offset1:37
	s_waitcnt lgkmcnt(0)
	v_mul_f64 v[105:106], v[110:111], v[114:115]
	v_fma_f64 v[105:106], v[108:109], v[125:126], -v[105:106]
	v_mul_f64 v[108:109], v[108:109], v[114:115]
	v_add_f64 v[61:62], v[61:62], -v[105:106]
	v_fma_f64 v[108:109], v[110:111], v[125:126], v[108:109]
	v_add_f64 v[63:64], v[63:64], -v[108:109]
	ds_read2_b64 v[108:111], v102 offset0:38 offset1:39
	s_waitcnt lgkmcnt(0)
	v_mul_f64 v[105:106], v[110:111], v[114:115]
	v_fma_f64 v[105:106], v[108:109], v[125:126], -v[105:106]
	v_mul_f64 v[108:109], v[108:109], v[114:115]
	v_add_f64 v[57:58], v[57:58], -v[105:106]
	v_fma_f64 v[108:109], v[110:111], v[125:126], v[108:109]
	v_add_f64 v[59:60], v[59:60], -v[108:109]
	ds_read2_b64 v[108:111], v102 offset0:40 offset1:41
	s_waitcnt lgkmcnt(0)
	v_mul_f64 v[105:106], v[110:111], v[114:115]
	v_fma_f64 v[105:106], v[108:109], v[125:126], -v[105:106]
	v_mul_f64 v[108:109], v[108:109], v[114:115]
	v_add_f64 v[53:54], v[53:54], -v[105:106]
	v_fma_f64 v[108:109], v[110:111], v[125:126], v[108:109]
	v_add_f64 v[55:56], v[55:56], -v[108:109]
	ds_read2_b64 v[108:111], v102 offset0:42 offset1:43
	s_waitcnt lgkmcnt(0)
	v_mul_f64 v[105:106], v[110:111], v[114:115]
	v_fma_f64 v[105:106], v[108:109], v[125:126], -v[105:106]
	v_mul_f64 v[108:109], v[108:109], v[114:115]
	v_add_f64 v[49:50], v[49:50], -v[105:106]
	v_fma_f64 v[108:109], v[110:111], v[125:126], v[108:109]
	v_add_f64 v[51:52], v[51:52], -v[108:109]
	ds_read2_b64 v[108:111], v102 offset0:44 offset1:45
	s_waitcnt lgkmcnt(0)
	v_mul_f64 v[105:106], v[110:111], v[114:115]
	v_fma_f64 v[105:106], v[108:109], v[125:126], -v[105:106]
	v_mul_f64 v[108:109], v[108:109], v[114:115]
	v_add_f64 v[45:46], v[45:46], -v[105:106]
	v_fma_f64 v[108:109], v[110:111], v[125:126], v[108:109]
	v_add_f64 v[47:48], v[47:48], -v[108:109]
	ds_read2_b64 v[108:111], v102 offset0:46 offset1:47
	s_waitcnt lgkmcnt(0)
	v_mul_f64 v[105:106], v[110:111], v[114:115]
	v_fma_f64 v[105:106], v[108:109], v[125:126], -v[105:106]
	v_mul_f64 v[108:109], v[108:109], v[114:115]
	v_add_f64 v[41:42], v[41:42], -v[105:106]
	v_fma_f64 v[108:109], v[110:111], v[125:126], v[108:109]
	v_add_f64 v[43:44], v[43:44], -v[108:109]
	ds_read2_b64 v[108:111], v102 offset0:48 offset1:49
	s_waitcnt lgkmcnt(0)
	v_mul_f64 v[105:106], v[110:111], v[114:115]
	v_fma_f64 v[105:106], v[108:109], v[125:126], -v[105:106]
	v_mul_f64 v[108:109], v[108:109], v[114:115]
	v_add_f64 v[37:38], v[37:38], -v[105:106]
	v_fma_f64 v[108:109], v[110:111], v[125:126], v[108:109]
	v_add_f64 v[39:40], v[39:40], -v[108:109]
	ds_read2_b64 v[108:111], v102 offset0:50 offset1:51
	s_waitcnt lgkmcnt(0)
	v_mul_f64 v[105:106], v[110:111], v[114:115]
	v_fma_f64 v[105:106], v[108:109], v[125:126], -v[105:106]
	v_mul_f64 v[108:109], v[108:109], v[114:115]
	v_add_f64 v[33:34], v[33:34], -v[105:106]
	v_fma_f64 v[108:109], v[110:111], v[125:126], v[108:109]
	v_add_f64 v[35:36], v[35:36], -v[108:109]
	ds_read2_b64 v[108:111], v102 offset0:52 offset1:53
	s_waitcnt lgkmcnt(0)
	v_mul_f64 v[105:106], v[110:111], v[114:115]
	v_fma_f64 v[105:106], v[108:109], v[125:126], -v[105:106]
	v_mul_f64 v[108:109], v[108:109], v[114:115]
	v_add_f64 v[29:30], v[29:30], -v[105:106]
	v_fma_f64 v[108:109], v[110:111], v[125:126], v[108:109]
	v_add_f64 v[31:32], v[31:32], -v[108:109]
	ds_read2_b64 v[108:111], v102 offset0:54 offset1:55
	s_waitcnt lgkmcnt(0)
	v_mul_f64 v[105:106], v[110:111], v[114:115]
	v_fma_f64 v[105:106], v[108:109], v[125:126], -v[105:106]
	v_mul_f64 v[108:109], v[108:109], v[114:115]
	v_add_f64 v[25:26], v[25:26], -v[105:106]
	v_fma_f64 v[108:109], v[110:111], v[125:126], v[108:109]
	v_add_f64 v[27:28], v[27:28], -v[108:109]
	ds_read2_b64 v[108:111], v102 offset0:56 offset1:57
	s_waitcnt lgkmcnt(0)
	v_mul_f64 v[105:106], v[110:111], v[114:115]
	v_fma_f64 v[105:106], v[108:109], v[125:126], -v[105:106]
	v_mul_f64 v[108:109], v[108:109], v[114:115]
	v_add_f64 v[21:22], v[21:22], -v[105:106]
	v_fma_f64 v[108:109], v[110:111], v[125:126], v[108:109]
	v_add_f64 v[23:24], v[23:24], -v[108:109]
	ds_read2_b64 v[108:111], v102 offset0:58 offset1:59
	s_waitcnt lgkmcnt(0)
	v_mul_f64 v[105:106], v[110:111], v[114:115]
	v_fma_f64 v[105:106], v[108:109], v[125:126], -v[105:106]
	v_mul_f64 v[108:109], v[108:109], v[114:115]
	v_add_f64 v[17:18], v[17:18], -v[105:106]
	v_fma_f64 v[108:109], v[110:111], v[125:126], v[108:109]
	v_add_f64 v[19:20], v[19:20], -v[108:109]
	ds_read2_b64 v[108:111], v102 offset0:60 offset1:61
	s_waitcnt lgkmcnt(0)
	v_mul_f64 v[105:106], v[110:111], v[114:115]
	v_fma_f64 v[105:106], v[108:109], v[125:126], -v[105:106]
	v_mul_f64 v[108:109], v[108:109], v[114:115]
	v_add_f64 v[13:14], v[13:14], -v[105:106]
	v_fma_f64 v[108:109], v[110:111], v[125:126], v[108:109]
	v_add_f64 v[15:16], v[15:16], -v[108:109]
	ds_read2_b64 v[108:111], v102 offset0:62 offset1:63
	s_waitcnt lgkmcnt(0)
	v_mul_f64 v[105:106], v[110:111], v[114:115]
	v_fma_f64 v[105:106], v[108:109], v[125:126], -v[105:106]
	v_mul_f64 v[108:109], v[108:109], v[114:115]
	v_add_f64 v[9:10], v[9:10], -v[105:106]
	v_fma_f64 v[108:109], v[110:111], v[125:126], v[108:109]
	v_add_f64 v[11:12], v[11:12], -v[108:109]
	ds_read2_b64 v[108:111], v102 offset0:64 offset1:65
	s_waitcnt lgkmcnt(0)
	v_mul_f64 v[105:106], v[110:111], v[114:115]
	v_fma_f64 v[105:106], v[108:109], v[125:126], -v[105:106]
	v_mul_f64 v[108:109], v[108:109], v[114:115]
	v_add_f64 v[5:6], v[5:6], -v[105:106]
	v_fma_f64 v[108:109], v[110:111], v[125:126], v[108:109]
	v_add_f64 v[7:8], v[7:8], -v[108:109]
	ds_read2_b64 v[108:111], v102 offset0:66 offset1:67
	s_waitcnt lgkmcnt(0)
	v_mul_f64 v[105:106], v[110:111], v[114:115]
	v_fma_f64 v[105:106], v[108:109], v[125:126], -v[105:106]
	v_mul_f64 v[108:109], v[108:109], v[114:115]
	v_add_f64 v[1:2], v[1:2], -v[105:106]
	v_fma_f64 v[108:109], v[110:111], v[125:126], v[108:109]
	v_add_f64 v[3:4], v[3:4], -v[108:109]
	ds_read2_b64 v[108:111], v102 offset0:68 offset1:69
	s_waitcnt lgkmcnt(0)
	v_mul_f64 v[105:106], v[110:111], v[114:115]
	v_fma_f64 v[105:106], v[108:109], v[125:126], -v[105:106]
	v_mul_f64 v[108:109], v[108:109], v[114:115]
	buffer_store_dword v112, off, s[24:27], 0 offset:128 ; 4-byte Folded Spill
	s_nop 0
	buffer_store_dword v113, off, s[24:27], 0 offset:132 ; 4-byte Folded Spill
	buffer_store_dword v114, off, s[24:27], 0 offset:136 ; 4-byte Folded Spill
	buffer_store_dword v115, off, s[24:27], 0 offset:140 ; 4-byte Folded Spill
	v_add_f64 v[97:98], v[97:98], -v[105:106]
	v_fma_f64 v[108:109], v[110:111], v[125:126], v[108:109]
	v_add_f64 v[99:100], v[99:100], -v[108:109]
.LBB68_41:
	s_or_b64 exec, exec, s[0:1]
	s_waitcnt vmcnt(0)
	s_barrier
	buffer_load_dword v108, off, s[24:27], 0 offset:112 ; 4-byte Folded Reload
	buffer_load_dword v109, off, s[24:27], 0 offset:116 ; 4-byte Folded Reload
	;; [unrolled: 1-line block ×4, first 2 shown]
	v_lshl_add_u32 v105, v104, 4, v102
	s_cmp_lt_i32 s3, 4
	s_waitcnt vmcnt(0)
	ds_write2_b64 v105, v[108:109], v[110:111] offset1:1
	s_waitcnt lgkmcnt(0)
	s_barrier
	ds_read2_b64 v[121:124], v102 offset0:4 offset1:5
	v_mov_b32_e32 v105, 2
	s_cbranch_scc1 .LBB68_44
; %bb.42:
	v_add3_u32 v106, v107, 0, 48
	s_mov_b32 s0, 3
	v_mov_b32_e32 v105, 2
.LBB68_43:                              ; =>This Inner Loop Header: Depth=1
	s_waitcnt lgkmcnt(0)
	v_cmp_gt_f64_e32 vcc, 0, v[121:122]
	v_xor_b32_e32 v112, 0x80000000, v122
	ds_read2_b64 v[108:111], v106 offset1:1
	v_xor_b32_e32 v114, 0x80000000, v124
	v_add_u32_e32 v106, 16, v106
	s_waitcnt lgkmcnt(0)
	v_xor_b32_e32 v116, 0x80000000, v111
	v_cndmask_b32_e32 v113, v122, v112, vcc
	v_cmp_gt_f64_e32 vcc, 0, v[123:124]
	v_mov_b32_e32 v112, v121
	v_cndmask_b32_e32 v115, v124, v114, vcc
	v_cmp_gt_f64_e32 vcc, 0, v[108:109]
	v_mov_b32_e32 v114, v123
	v_add_f64 v[112:113], v[112:113], v[114:115]
	v_xor_b32_e32 v114, 0x80000000, v109
	v_cndmask_b32_e32 v115, v109, v114, vcc
	v_cmp_gt_f64_e32 vcc, 0, v[110:111]
	v_mov_b32_e32 v114, v108
	v_cndmask_b32_e32 v117, v111, v116, vcc
	v_mov_b32_e32 v116, v110
	v_add_f64 v[114:115], v[114:115], v[116:117]
	v_cmp_lt_f64_e32 vcc, v[112:113], v[114:115]
	v_cndmask_b32_e32 v121, v121, v108, vcc
	v_mov_b32_e32 v108, s0
	s_add_i32 s0, s0, 1
	v_cndmask_b32_e32 v122, v122, v109, vcc
	v_cndmask_b32_e32 v124, v124, v111, vcc
	;; [unrolled: 1-line block ×4, first 2 shown]
	s_cmp_lg_u32 s3, s0
	s_cbranch_scc1 .LBB68_43
.LBB68_44:
	s_waitcnt lgkmcnt(0)
	v_cmp_eq_f64_e32 vcc, 0, v[121:122]
	v_cmp_eq_f64_e64 s[0:1], 0, v[123:124]
	s_and_b64 s[0:1], vcc, s[0:1]
	s_and_saveexec_b64 s[18:19], s[0:1]
	s_xor_b64 s[0:1], exec, s[18:19]
; %bb.45:
	v_cmp_ne_u32_e32 vcc, 0, v103
	v_cndmask_b32_e32 v103, 3, v103, vcc
; %bb.46:
	s_andn2_saveexec_b64 s[0:1], s[0:1]
	s_cbranch_execz .LBB68_52
; %bb.47:
	v_cmp_ngt_f64_e64 s[18:19], |v[121:122]|, |v[123:124]|
	s_and_saveexec_b64 s[20:21], s[18:19]
	s_xor_b64 s[18:19], exec, s[20:21]
	s_cbranch_execz .LBB68_49
; %bb.48:
	v_div_scale_f64 v[108:109], s[20:21], v[123:124], v[123:124], v[121:122]
	v_rcp_f64_e32 v[110:111], v[108:109]
	v_fma_f64 v[112:113], -v[108:109], v[110:111], 1.0
	v_fma_f64 v[110:111], v[110:111], v[112:113], v[110:111]
	v_div_scale_f64 v[112:113], vcc, v[121:122], v[123:124], v[121:122]
	v_fma_f64 v[114:115], -v[108:109], v[110:111], 1.0
	v_fma_f64 v[110:111], v[110:111], v[114:115], v[110:111]
	v_mul_f64 v[114:115], v[112:113], v[110:111]
	v_fma_f64 v[108:109], -v[108:109], v[114:115], v[112:113]
	v_div_fmas_f64 v[108:109], v[108:109], v[110:111], v[114:115]
	v_div_fixup_f64 v[108:109], v[108:109], v[123:124], v[121:122]
	v_fma_f64 v[110:111], v[121:122], v[108:109], v[123:124]
	v_div_scale_f64 v[112:113], s[20:21], v[110:111], v[110:111], 1.0
	v_div_scale_f64 v[118:119], vcc, 1.0, v[110:111], 1.0
	v_rcp_f64_e32 v[114:115], v[112:113]
	v_fma_f64 v[116:117], -v[112:113], v[114:115], 1.0
	v_fma_f64 v[114:115], v[114:115], v[116:117], v[114:115]
	v_fma_f64 v[116:117], -v[112:113], v[114:115], 1.0
	v_fma_f64 v[114:115], v[114:115], v[116:117], v[114:115]
	v_mul_f64 v[116:117], v[118:119], v[114:115]
	v_fma_f64 v[112:113], -v[112:113], v[116:117], v[118:119]
	buffer_load_dword v119, off, s[24:27], 0 offset:144 ; 4-byte Folded Reload
	buffer_load_dword v120, off, s[24:27], 0 offset:148 ; 4-byte Folded Reload
	v_div_fmas_f64 v[112:113], v[112:113], v[114:115], v[116:117]
	v_div_fixup_f64 v[123:124], v[112:113], v[110:111], 1.0
	v_mul_f64 v[121:122], v[108:109], v[123:124]
	v_xor_b32_e32 v124, 0x80000000, v124
.LBB68_49:
	s_andn2_saveexec_b64 s[18:19], s[18:19]
	s_cbranch_execz .LBB68_51
; %bb.50:
	v_div_scale_f64 v[108:109], s[20:21], v[121:122], v[121:122], v[123:124]
	v_rcp_f64_e32 v[110:111], v[108:109]
	v_fma_f64 v[112:113], -v[108:109], v[110:111], 1.0
	v_fma_f64 v[110:111], v[110:111], v[112:113], v[110:111]
	v_div_scale_f64 v[112:113], vcc, v[123:124], v[121:122], v[123:124]
	v_fma_f64 v[114:115], -v[108:109], v[110:111], 1.0
	v_fma_f64 v[110:111], v[110:111], v[114:115], v[110:111]
	v_mul_f64 v[114:115], v[112:113], v[110:111]
	v_fma_f64 v[108:109], -v[108:109], v[114:115], v[112:113]
	v_div_fmas_f64 v[108:109], v[108:109], v[110:111], v[114:115]
	v_div_fixup_f64 v[108:109], v[108:109], v[121:122], v[123:124]
	v_fma_f64 v[110:111], v[123:124], v[108:109], v[121:122]
	v_div_scale_f64 v[112:113], s[20:21], v[110:111], v[110:111], 1.0
	s_waitcnt vmcnt(1)
	v_div_scale_f64 v[118:119], vcc, 1.0, v[110:111], 1.0
	v_rcp_f64_e32 v[114:115], v[112:113]
	v_fma_f64 v[116:117], -v[112:113], v[114:115], 1.0
	v_fma_f64 v[114:115], v[114:115], v[116:117], v[114:115]
	v_fma_f64 v[116:117], -v[112:113], v[114:115], 1.0
	v_fma_f64 v[114:115], v[114:115], v[116:117], v[114:115]
	v_mul_f64 v[116:117], v[118:119], v[114:115]
	v_fma_f64 v[112:113], -v[112:113], v[116:117], v[118:119]
	buffer_load_dword v119, off, s[24:27], 0 offset:144 ; 4-byte Folded Reload
	buffer_load_dword v120, off, s[24:27], 0 offset:148 ; 4-byte Folded Reload
	v_div_fmas_f64 v[112:113], v[112:113], v[114:115], v[116:117]
	v_div_fixup_f64 v[121:122], v[112:113], v[110:111], 1.0
	v_mul_f64 v[123:124], v[108:109], -v[121:122]
.LBB68_51:
	s_or_b64 exec, exec, s[18:19]
.LBB68_52:
	s_or_b64 exec, exec, s[0:1]
	v_cmp_ne_u32_e32 vcc, v104, v105
	s_and_saveexec_b64 s[0:1], vcc
	s_xor_b64 s[0:1], exec, s[0:1]
	s_cbranch_execz .LBB68_58
; %bb.53:
	v_cmp_eq_u32_e32 vcc, 2, v104
	s_and_saveexec_b64 s[18:19], vcc
	s_cbranch_execz .LBB68_57
; %bb.54:
	v_cmp_ne_u32_e32 vcc, 2, v105
	s_xor_b64 s[20:21], s[6:7], -1
	s_and_b64 s[22:23], s[20:21], vcc
	s_and_saveexec_b64 s[20:21], s[22:23]
	s_cbranch_execz .LBB68_56
; %bb.55:
	v_ashrrev_i32_e32 v106, 31, v105
	v_lshlrev_b64 v[108:109], 2, v[105:106]
	s_waitcnt vmcnt(1)
	v_add_co_u32_e32 v108, vcc, v119, v108
	s_waitcnt vmcnt(0)
	v_addc_co_u32_e32 v109, vcc, v120, v109, vcc
	global_load_dword v0, v[108:109], off
	global_load_dword v104, v[119:120], off offset:8
	s_waitcnt vmcnt(1)
	global_store_dword v[119:120], v0, off offset:8
	s_waitcnt vmcnt(1)
	global_store_dword v[108:109], v104, off
.LBB68_56:
	s_or_b64 exec, exec, s[20:21]
	v_mov_b32_e32 v104, v105
	v_mov_b32_e32 v0, v105
.LBB68_57:
	s_or_b64 exec, exec, s[18:19]
.LBB68_58:
	s_andn2_saveexec_b64 s[0:1], s[0:1]
	s_cbranch_execz .LBB68_60
; %bb.59:
	buffer_load_dword v108, off, s[24:27], 0 offset:96 ; 4-byte Folded Reload
	buffer_load_dword v109, off, s[24:27], 0 offset:100 ; 4-byte Folded Reload
	;; [unrolled: 1-line block ×4, first 2 shown]
	v_mov_b32_e32 v104, 2
	s_waitcnt vmcnt(0)
	ds_write2_b64 v102, v[108:109], v[110:111] offset0:6 offset1:7
	buffer_load_dword v108, off, s[24:27], 0 offset:80 ; 4-byte Folded Reload
	buffer_load_dword v109, off, s[24:27], 0 offset:84 ; 4-byte Folded Reload
	buffer_load_dword v110, off, s[24:27], 0 offset:88 ; 4-byte Folded Reload
	buffer_load_dword v111, off, s[24:27], 0 offset:92 ; 4-byte Folded Reload
	s_waitcnt vmcnt(0)
	ds_write2_b64 v102, v[108:109], v[110:111] offset0:8 offset1:9
	buffer_load_dword v108, off, s[24:27], 0 offset:64 ; 4-byte Folded Reload
	buffer_load_dword v109, off, s[24:27], 0 offset:68 ; 4-byte Folded Reload
	buffer_load_dword v110, off, s[24:27], 0 offset:72 ; 4-byte Folded Reload
	buffer_load_dword v111, off, s[24:27], 0 offset:76 ; 4-byte Folded Reload
	;; [unrolled: 6-line block ×5, first 2 shown]
	s_waitcnt vmcnt(0)
	ds_write2_b64 v102, v[108:109], v[110:111] offset0:16 offset1:17
	buffer_load_dword v108, off, s[24:27], 0 ; 4-byte Folded Reload
	buffer_load_dword v109, off, s[24:27], 0 offset:4 ; 4-byte Folded Reload
	buffer_load_dword v110, off, s[24:27], 0 offset:8 ; 4-byte Folded Reload
	;; [unrolled: 1-line block ×3, first 2 shown]
	s_waitcnt vmcnt(0)
	ds_write2_b64 v102, v[108:109], v[110:111] offset0:18 offset1:19
	ds_write2_b64 v102, v[93:94], v[95:96] offset0:20 offset1:21
	;; [unrolled: 1-line block ×26, first 2 shown]
.LBB68_60:
	s_or_b64 exec, exec, s[0:1]
	v_cmp_lt_i32_e32 vcc, 2, v104
	s_waitcnt vmcnt(0) lgkmcnt(0)
	s_barrier
	s_and_saveexec_b64 s[0:1], vcc
	s_cbranch_execz .LBB68_62
; %bb.61:
	buffer_load_dword v112, off, s[24:27], 0 offset:112 ; 4-byte Folded Reload
	buffer_load_dword v113, off, s[24:27], 0 offset:116 ; 4-byte Folded Reload
	;; [unrolled: 1-line block ×4, first 2 shown]
	ds_read2_b64 v[108:111], v102 offset0:6 offset1:7
	s_waitcnt vmcnt(0)
	v_mul_f64 v[105:106], v[123:124], v[114:115]
	v_fma_f64 v[125:126], v[121:122], v[112:113], -v[105:106]
	v_mul_f64 v[105:106], v[121:122], v[114:115]
	v_fma_f64 v[114:115], v[123:124], v[112:113], v[105:106]
	s_waitcnt lgkmcnt(0)
	v_mul_f64 v[105:106], v[110:111], v[114:115]
	v_fma_f64 v[105:106], v[108:109], v[125:126], -v[105:106]
	v_mul_f64 v[108:109], v[108:109], v[114:115]
	v_fma_f64 v[108:109], v[110:111], v[125:126], v[108:109]
	buffer_load_dword v110, off, s[24:27], 0 offset:96 ; 4-byte Folded Reload
	buffer_load_dword v111, off, s[24:27], 0 offset:100 ; 4-byte Folded Reload
	buffer_load_dword v112, off, s[24:27], 0 offset:104 ; 4-byte Folded Reload
	buffer_load_dword v113, off, s[24:27], 0 offset:108 ; 4-byte Folded Reload
	s_waitcnt vmcnt(2)
	v_add_f64 v[110:111], v[110:111], -v[105:106]
	s_waitcnt vmcnt(0)
	v_add_f64 v[112:113], v[112:113], -v[108:109]
	buffer_store_dword v110, off, s[24:27], 0 offset:96 ; 4-byte Folded Spill
	s_nop 0
	buffer_store_dword v111, off, s[24:27], 0 offset:100 ; 4-byte Folded Spill
	buffer_store_dword v112, off, s[24:27], 0 offset:104 ; 4-byte Folded Spill
	buffer_store_dword v113, off, s[24:27], 0 offset:108 ; 4-byte Folded Spill
	ds_read2_b64 v[108:111], v102 offset0:8 offset1:9
	s_waitcnt lgkmcnt(0)
	v_mul_f64 v[105:106], v[110:111], v[114:115]
	v_fma_f64 v[105:106], v[108:109], v[125:126], -v[105:106]
	v_mul_f64 v[108:109], v[108:109], v[114:115]
	v_fma_f64 v[108:109], v[110:111], v[125:126], v[108:109]
	buffer_load_dword v110, off, s[24:27], 0 offset:80 ; 4-byte Folded Reload
	buffer_load_dword v111, off, s[24:27], 0 offset:84 ; 4-byte Folded Reload
	buffer_load_dword v112, off, s[24:27], 0 offset:88 ; 4-byte Folded Reload
	buffer_load_dword v113, off, s[24:27], 0 offset:92 ; 4-byte Folded Reload
	s_waitcnt vmcnt(2)
	v_add_f64 v[110:111], v[110:111], -v[105:106]
	s_waitcnt vmcnt(0)
	v_add_f64 v[112:113], v[112:113], -v[108:109]
	buffer_store_dword v110, off, s[24:27], 0 offset:80 ; 4-byte Folded Spill
	s_nop 0
	buffer_store_dword v111, off, s[24:27], 0 offset:84 ; 4-byte Folded Spill
	buffer_store_dword v112, off, s[24:27], 0 offset:88 ; 4-byte Folded Spill
	buffer_store_dword v113, off, s[24:27], 0 offset:92 ; 4-byte Folded Spill
	ds_read2_b64 v[108:111], v102 offset0:10 offset1:11
	;; [unrolled: 19-line block ×6, first 2 shown]
	s_waitcnt lgkmcnt(0)
	v_mul_f64 v[105:106], v[110:111], v[114:115]
	v_fma_f64 v[105:106], v[108:109], v[125:126], -v[105:106]
	v_mul_f64 v[108:109], v[108:109], v[114:115]
	v_fma_f64 v[108:109], v[110:111], v[125:126], v[108:109]
	buffer_load_dword v110, off, s[24:27], 0 ; 4-byte Folded Reload
	buffer_load_dword v111, off, s[24:27], 0 offset:4 ; 4-byte Folded Reload
	buffer_load_dword v112, off, s[24:27], 0 offset:8 ; 4-byte Folded Reload
	buffer_load_dword v113, off, s[24:27], 0 offset:12 ; 4-byte Folded Reload
	s_waitcnt vmcnt(2)
	v_add_f64 v[110:111], v[110:111], -v[105:106]
	s_waitcnt vmcnt(0)
	v_add_f64 v[112:113], v[112:113], -v[108:109]
	buffer_store_dword v110, off, s[24:27], 0 ; 4-byte Folded Spill
	s_nop 0
	buffer_store_dword v111, off, s[24:27], 0 offset:4 ; 4-byte Folded Spill
	buffer_store_dword v112, off, s[24:27], 0 offset:8 ; 4-byte Folded Spill
	;; [unrolled: 1-line block ×3, first 2 shown]
	ds_read2_b64 v[108:111], v102 offset0:20 offset1:21
	v_mov_b32_e32 v112, v125
	v_mov_b32_e32 v113, v126
	s_waitcnt lgkmcnt(0)
	v_mul_f64 v[105:106], v[110:111], v[114:115]
	v_fma_f64 v[105:106], v[108:109], v[125:126], -v[105:106]
	v_mul_f64 v[108:109], v[108:109], v[114:115]
	v_add_f64 v[93:94], v[93:94], -v[105:106]
	v_fma_f64 v[108:109], v[110:111], v[125:126], v[108:109]
	v_add_f64 v[95:96], v[95:96], -v[108:109]
	ds_read2_b64 v[108:111], v102 offset0:22 offset1:23
	s_waitcnt lgkmcnt(0)
	v_mul_f64 v[105:106], v[110:111], v[114:115]
	v_fma_f64 v[105:106], v[108:109], v[125:126], -v[105:106]
	v_mul_f64 v[108:109], v[108:109], v[114:115]
	v_add_f64 v[89:90], v[89:90], -v[105:106]
	v_fma_f64 v[108:109], v[110:111], v[125:126], v[108:109]
	v_add_f64 v[91:92], v[91:92], -v[108:109]
	ds_read2_b64 v[108:111], v102 offset0:24 offset1:25
	;; [unrolled: 8-line block ×24, first 2 shown]
	s_waitcnt lgkmcnt(0)
	v_mul_f64 v[105:106], v[110:111], v[114:115]
	v_fma_f64 v[105:106], v[108:109], v[125:126], -v[105:106]
	v_mul_f64 v[108:109], v[108:109], v[114:115]
	buffer_store_dword v112, off, s[24:27], 0 offset:112 ; 4-byte Folded Spill
	s_nop 0
	buffer_store_dword v113, off, s[24:27], 0 offset:116 ; 4-byte Folded Spill
	buffer_store_dword v114, off, s[24:27], 0 offset:120 ; 4-byte Folded Spill
	;; [unrolled: 1-line block ×3, first 2 shown]
	v_add_f64 v[97:98], v[97:98], -v[105:106]
	v_fma_f64 v[108:109], v[110:111], v[125:126], v[108:109]
	v_add_f64 v[99:100], v[99:100], -v[108:109]
.LBB68_62:
	s_or_b64 exec, exec, s[0:1]
	s_waitcnt vmcnt(0)
	s_barrier
	buffer_load_dword v108, off, s[24:27], 0 offset:96 ; 4-byte Folded Reload
	buffer_load_dword v109, off, s[24:27], 0 offset:100 ; 4-byte Folded Reload
	buffer_load_dword v110, off, s[24:27], 0 offset:104 ; 4-byte Folded Reload
	buffer_load_dword v111, off, s[24:27], 0 offset:108 ; 4-byte Folded Reload
	v_lshl_add_u32 v105, v104, 4, v102
	s_mov_b32 s0, 4
	s_cmp_lt_i32 s3, 5
	s_waitcnt vmcnt(0)
	ds_write2_b64 v105, v[108:109], v[110:111] offset1:1
	s_waitcnt lgkmcnt(0)
	s_barrier
	ds_read2_b64 v[121:124], v102 offset0:6 offset1:7
	v_mov_b32_e32 v105, 3
	s_cbranch_scc1 .LBB68_65
; %bb.63:
	v_add3_u32 v106, v107, 0, 64
	v_mov_b32_e32 v105, 3
.LBB68_64:                              ; =>This Inner Loop Header: Depth=1
	s_waitcnt lgkmcnt(0)
	v_cmp_gt_f64_e32 vcc, 0, v[121:122]
	v_xor_b32_e32 v111, 0x80000000, v122
	ds_read2_b64 v[107:110], v106 offset1:1
	v_xor_b32_e32 v113, 0x80000000, v124
	v_add_u32_e32 v106, 16, v106
	s_waitcnt lgkmcnt(0)
	v_xor_b32_e32 v115, 0x80000000, v110
	v_cndmask_b32_e32 v112, v122, v111, vcc
	v_cmp_gt_f64_e32 vcc, 0, v[123:124]
	v_mov_b32_e32 v111, v121
	v_cndmask_b32_e32 v114, v124, v113, vcc
	v_cmp_gt_f64_e32 vcc, 0, v[107:108]
	v_mov_b32_e32 v113, v123
	v_add_f64 v[111:112], v[111:112], v[113:114]
	v_xor_b32_e32 v113, 0x80000000, v108
	v_cndmask_b32_e32 v114, v108, v113, vcc
	v_cmp_gt_f64_e32 vcc, 0, v[109:110]
	v_mov_b32_e32 v113, v107
	v_cndmask_b32_e32 v116, v110, v115, vcc
	v_mov_b32_e32 v115, v109
	v_add_f64 v[113:114], v[113:114], v[115:116]
	v_cmp_lt_f64_e32 vcc, v[111:112], v[113:114]
	v_cndmask_b32_e32 v121, v121, v107, vcc
	v_mov_b32_e32 v107, s0
	s_add_i32 s0, s0, 1
	v_cndmask_b32_e32 v122, v122, v108, vcc
	v_cndmask_b32_e32 v124, v124, v110, vcc
	;; [unrolled: 1-line block ×4, first 2 shown]
	s_cmp_lg_u32 s3, s0
	s_cbranch_scc1 .LBB68_64
.LBB68_65:
	s_waitcnt lgkmcnt(0)
	v_cmp_eq_f64_e32 vcc, 0, v[121:122]
	v_cmp_eq_f64_e64 s[0:1], 0, v[123:124]
	s_and_b64 s[0:1], vcc, s[0:1]
	s_and_saveexec_b64 s[18:19], s[0:1]
	s_xor_b64 s[0:1], exec, s[18:19]
; %bb.66:
	v_cmp_ne_u32_e32 vcc, 0, v103
	v_cndmask_b32_e32 v103, 4, v103, vcc
; %bb.67:
	s_andn2_saveexec_b64 s[0:1], s[0:1]
	s_cbranch_execz .LBB68_73
; %bb.68:
	v_cmp_ngt_f64_e64 s[18:19], |v[121:122]|, |v[123:124]|
	s_and_saveexec_b64 s[20:21], s[18:19]
	s_xor_b64 s[18:19], exec, s[20:21]
	s_cbranch_execz .LBB68_70
; %bb.69:
	v_div_scale_f64 v[106:107], s[20:21], v[123:124], v[123:124], v[121:122]
	v_rcp_f64_e32 v[108:109], v[106:107]
	v_fma_f64 v[110:111], -v[106:107], v[108:109], 1.0
	v_fma_f64 v[108:109], v[108:109], v[110:111], v[108:109]
	v_div_scale_f64 v[110:111], vcc, v[121:122], v[123:124], v[121:122]
	v_fma_f64 v[112:113], -v[106:107], v[108:109], 1.0
	v_fma_f64 v[108:109], v[108:109], v[112:113], v[108:109]
	v_mul_f64 v[112:113], v[110:111], v[108:109]
	v_fma_f64 v[106:107], -v[106:107], v[112:113], v[110:111]
	v_div_fmas_f64 v[106:107], v[106:107], v[108:109], v[112:113]
	v_div_fixup_f64 v[106:107], v[106:107], v[123:124], v[121:122]
	v_fma_f64 v[108:109], v[121:122], v[106:107], v[123:124]
	v_div_scale_f64 v[110:111], s[20:21], v[108:109], v[108:109], 1.0
	v_div_scale_f64 v[116:117], vcc, 1.0, v[108:109], 1.0
	v_rcp_f64_e32 v[112:113], v[110:111]
	v_fma_f64 v[114:115], -v[110:111], v[112:113], 1.0
	v_fma_f64 v[112:113], v[112:113], v[114:115], v[112:113]
	v_fma_f64 v[114:115], -v[110:111], v[112:113], 1.0
	v_fma_f64 v[112:113], v[112:113], v[114:115], v[112:113]
	v_mul_f64 v[114:115], v[116:117], v[112:113]
	v_fma_f64 v[110:111], -v[110:111], v[114:115], v[116:117]
	v_div_fmas_f64 v[110:111], v[110:111], v[112:113], v[114:115]
	v_div_fixup_f64 v[123:124], v[110:111], v[108:109], 1.0
	v_mul_f64 v[121:122], v[106:107], v[123:124]
	v_xor_b32_e32 v124, 0x80000000, v124
.LBB68_70:
	s_andn2_saveexec_b64 s[18:19], s[18:19]
	s_cbranch_execz .LBB68_72
; %bb.71:
	v_div_scale_f64 v[106:107], s[20:21], v[121:122], v[121:122], v[123:124]
	v_rcp_f64_e32 v[108:109], v[106:107]
	v_fma_f64 v[110:111], -v[106:107], v[108:109], 1.0
	v_fma_f64 v[108:109], v[108:109], v[110:111], v[108:109]
	v_div_scale_f64 v[110:111], vcc, v[123:124], v[121:122], v[123:124]
	v_fma_f64 v[112:113], -v[106:107], v[108:109], 1.0
	v_fma_f64 v[108:109], v[108:109], v[112:113], v[108:109]
	v_mul_f64 v[112:113], v[110:111], v[108:109]
	v_fma_f64 v[106:107], -v[106:107], v[112:113], v[110:111]
	v_div_fmas_f64 v[106:107], v[106:107], v[108:109], v[112:113]
	v_div_fixup_f64 v[106:107], v[106:107], v[121:122], v[123:124]
	v_fma_f64 v[108:109], v[123:124], v[106:107], v[121:122]
	v_div_scale_f64 v[110:111], s[20:21], v[108:109], v[108:109], 1.0
	v_div_scale_f64 v[116:117], vcc, 1.0, v[108:109], 1.0
	v_rcp_f64_e32 v[112:113], v[110:111]
	v_fma_f64 v[114:115], -v[110:111], v[112:113], 1.0
	v_fma_f64 v[112:113], v[112:113], v[114:115], v[112:113]
	v_fma_f64 v[114:115], -v[110:111], v[112:113], 1.0
	v_fma_f64 v[112:113], v[112:113], v[114:115], v[112:113]
	v_mul_f64 v[114:115], v[116:117], v[112:113]
	v_fma_f64 v[110:111], -v[110:111], v[114:115], v[116:117]
	v_div_fmas_f64 v[110:111], v[110:111], v[112:113], v[114:115]
	v_div_fixup_f64 v[121:122], v[110:111], v[108:109], 1.0
	v_mul_f64 v[123:124], v[106:107], -v[121:122]
.LBB68_72:
	s_or_b64 exec, exec, s[18:19]
.LBB68_73:
	s_or_b64 exec, exec, s[0:1]
	v_cmp_ne_u32_e32 vcc, v104, v105
	s_and_saveexec_b64 s[0:1], vcc
	s_xor_b64 s[0:1], exec, s[0:1]
	s_cbranch_execz .LBB68_79
; %bb.74:
	v_cmp_eq_u32_e32 vcc, 3, v104
	s_and_saveexec_b64 s[18:19], vcc
	s_cbranch_execz .LBB68_78
; %bb.75:
	v_cmp_ne_u32_e32 vcc, 3, v105
	s_xor_b64 s[20:21], s[6:7], -1
	s_and_b64 s[22:23], s[20:21], vcc
	s_and_saveexec_b64 s[20:21], s[22:23]
	s_cbranch_execz .LBB68_77
; %bb.76:
	v_ashrrev_i32_e32 v106, 31, v105
	v_lshlrev_b64 v[106:107], 2, v[105:106]
	v_add_co_u32_e32 v106, vcc, v119, v106
	v_addc_co_u32_e32 v107, vcc, v120, v107, vcc
	global_load_dword v0, v[106:107], off
	global_load_dword v104, v[119:120], off offset:12
	s_waitcnt vmcnt(1)
	global_store_dword v[119:120], v0, off offset:12
	s_waitcnt vmcnt(1)
	global_store_dword v[106:107], v104, off
.LBB68_77:
	s_or_b64 exec, exec, s[20:21]
	v_mov_b32_e32 v104, v105
	v_mov_b32_e32 v0, v105
.LBB68_78:
	s_or_b64 exec, exec, s[18:19]
.LBB68_79:
	s_andn2_saveexec_b64 s[0:1], s[0:1]
	s_cbranch_execz .LBB68_81
; %bb.80:
	buffer_load_dword v104, off, s[24:27], 0 offset:80 ; 4-byte Folded Reload
	buffer_load_dword v105, off, s[24:27], 0 offset:84 ; 4-byte Folded Reload
	buffer_load_dword v106, off, s[24:27], 0 offset:88 ; 4-byte Folded Reload
	buffer_load_dword v107, off, s[24:27], 0 offset:92 ; 4-byte Folded Reload
	s_waitcnt vmcnt(0)
	ds_write2_b64 v102, v[104:105], v[106:107] offset0:8 offset1:9
	buffer_load_dword v104, off, s[24:27], 0 offset:64 ; 4-byte Folded Reload
	buffer_load_dword v105, off, s[24:27], 0 offset:68 ; 4-byte Folded Reload
	buffer_load_dword v106, off, s[24:27], 0 offset:72 ; 4-byte Folded Reload
	buffer_load_dword v107, off, s[24:27], 0 offset:76 ; 4-byte Folded Reload
	s_waitcnt vmcnt(0)
	ds_write2_b64 v102, v[104:105], v[106:107] offset0:10 offset1:11
	;; [unrolled: 6-line block ×5, first 2 shown]
	buffer_load_dword v104, off, s[24:27], 0 ; 4-byte Folded Reload
	buffer_load_dword v105, off, s[24:27], 0 offset:4 ; 4-byte Folded Reload
	buffer_load_dword v106, off, s[24:27], 0 offset:8 ; 4-byte Folded Reload
	;; [unrolled: 1-line block ×3, first 2 shown]
	s_waitcnt vmcnt(0)
	ds_write2_b64 v102, v[104:105], v[106:107] offset0:18 offset1:19
	ds_write2_b64 v102, v[93:94], v[95:96] offset0:20 offset1:21
	;; [unrolled: 1-line block ×26, first 2 shown]
	v_mov_b32_e32 v104, 3
.LBB68_81:
	s_or_b64 exec, exec, s[0:1]
	v_cmp_lt_i32_e32 vcc, 3, v104
	s_waitcnt vmcnt(0) lgkmcnt(0)
	s_barrier
	s_and_saveexec_b64 s[0:1], vcc
	s_cbranch_execz .LBB68_83
; %bb.82:
	buffer_load_dword v113, off, s[24:27], 0 offset:96 ; 4-byte Folded Reload
	buffer_load_dword v114, off, s[24:27], 0 offset:100 ; 4-byte Folded Reload
	;; [unrolled: 1-line block ×4, first 2 shown]
	s_waitcnt vmcnt(0)
	v_mul_f64 v[105:106], v[123:124], v[115:116]
	v_fma_f64 v[125:126], v[121:122], v[113:114], -v[105:106]
	v_mul_f64 v[105:106], v[121:122], v[115:116]
	v_fma_f64 v[115:116], v[123:124], v[113:114], v[105:106]
	ds_read2_b64 v[105:108], v102 offset0:8 offset1:9
	buffer_load_dword v111, off, s[24:27], 0 offset:80 ; 4-byte Folded Reload
	buffer_load_dword v112, off, s[24:27], 0 offset:84 ; 4-byte Folded Reload
	buffer_load_dword v113, off, s[24:27], 0 offset:88 ; 4-byte Folded Reload
	buffer_load_dword v114, off, s[24:27], 0 offset:92 ; 4-byte Folded Reload
	s_waitcnt lgkmcnt(0)
	v_mul_f64 v[109:110], v[107:108], v[115:116]
	v_fma_f64 v[109:110], v[105:106], v[125:126], -v[109:110]
	v_mul_f64 v[105:106], v[105:106], v[115:116]
	v_fma_f64 v[105:106], v[107:108], v[125:126], v[105:106]
	s_waitcnt vmcnt(2)
	v_add_f64 v[111:112], v[111:112], -v[109:110]
	s_waitcnt vmcnt(0)
	v_add_f64 v[113:114], v[113:114], -v[105:106]
	buffer_store_dword v111, off, s[24:27], 0 offset:80 ; 4-byte Folded Spill
	s_nop 0
	buffer_store_dword v112, off, s[24:27], 0 offset:84 ; 4-byte Folded Spill
	buffer_store_dword v113, off, s[24:27], 0 offset:88 ; 4-byte Folded Spill
	buffer_store_dword v114, off, s[24:27], 0 offset:92 ; 4-byte Folded Spill
	ds_read2_b64 v[105:108], v102 offset0:10 offset1:11
	buffer_load_dword v111, off, s[24:27], 0 offset:64 ; 4-byte Folded Reload
	buffer_load_dword v112, off, s[24:27], 0 offset:68 ; 4-byte Folded Reload
	buffer_load_dword v113, off, s[24:27], 0 offset:72 ; 4-byte Folded Reload
	buffer_load_dword v114, off, s[24:27], 0 offset:76 ; 4-byte Folded Reload
	s_waitcnt lgkmcnt(0)
	v_mul_f64 v[109:110], v[107:108], v[115:116]
	v_fma_f64 v[109:110], v[105:106], v[125:126], -v[109:110]
	v_mul_f64 v[105:106], v[105:106], v[115:116]
	v_fma_f64 v[105:106], v[107:108], v[125:126], v[105:106]
	s_waitcnt vmcnt(2)
	v_add_f64 v[111:112], v[111:112], -v[109:110]
	s_waitcnt vmcnt(0)
	v_add_f64 v[113:114], v[113:114], -v[105:106]
	buffer_store_dword v111, off, s[24:27], 0 offset:64 ; 4-byte Folded Spill
	s_nop 0
	buffer_store_dword v112, off, s[24:27], 0 offset:68 ; 4-byte Folded Spill
	buffer_store_dword v113, off, s[24:27], 0 offset:72 ; 4-byte Folded Spill
	buffer_store_dword v114, off, s[24:27], 0 offset:76 ; 4-byte Folded Spill
	;; [unrolled: 19-line block ×5, first 2 shown]
	ds_read2_b64 v[105:108], v102 offset0:18 offset1:19
	buffer_load_dword v111, off, s[24:27], 0 ; 4-byte Folded Reload
	buffer_load_dword v112, off, s[24:27], 0 offset:4 ; 4-byte Folded Reload
	buffer_load_dword v113, off, s[24:27], 0 offset:8 ; 4-byte Folded Reload
	;; [unrolled: 1-line block ×3, first 2 shown]
	s_waitcnt lgkmcnt(0)
	v_mul_f64 v[109:110], v[107:108], v[115:116]
	v_fma_f64 v[109:110], v[105:106], v[125:126], -v[109:110]
	v_mul_f64 v[105:106], v[105:106], v[115:116]
	v_fma_f64 v[105:106], v[107:108], v[125:126], v[105:106]
	s_waitcnt vmcnt(2)
	v_add_f64 v[111:112], v[111:112], -v[109:110]
	s_waitcnt vmcnt(0)
	v_add_f64 v[113:114], v[113:114], -v[105:106]
	buffer_store_dword v111, off, s[24:27], 0 ; 4-byte Folded Spill
	s_nop 0
	buffer_store_dword v112, off, s[24:27], 0 offset:4 ; 4-byte Folded Spill
	buffer_store_dword v113, off, s[24:27], 0 offset:8 ; 4-byte Folded Spill
	;; [unrolled: 1-line block ×3, first 2 shown]
	ds_read2_b64 v[105:108], v102 offset0:20 offset1:21
	v_mov_b32_e32 v113, v125
	v_mov_b32_e32 v114, v126
	s_waitcnt lgkmcnt(0)
	v_mul_f64 v[109:110], v[107:108], v[115:116]
	v_fma_f64 v[109:110], v[105:106], v[125:126], -v[109:110]
	v_mul_f64 v[105:106], v[105:106], v[115:116]
	v_add_f64 v[93:94], v[93:94], -v[109:110]
	v_fma_f64 v[105:106], v[107:108], v[125:126], v[105:106]
	v_add_f64 v[95:96], v[95:96], -v[105:106]
	ds_read2_b64 v[105:108], v102 offset0:22 offset1:23
	s_waitcnt lgkmcnt(0)
	v_mul_f64 v[109:110], v[107:108], v[115:116]
	v_fma_f64 v[109:110], v[105:106], v[125:126], -v[109:110]
	v_mul_f64 v[105:106], v[105:106], v[115:116]
	v_add_f64 v[89:90], v[89:90], -v[109:110]
	v_fma_f64 v[105:106], v[107:108], v[125:126], v[105:106]
	v_add_f64 v[91:92], v[91:92], -v[105:106]
	ds_read2_b64 v[105:108], v102 offset0:24 offset1:25
	;; [unrolled: 8-line block ×24, first 2 shown]
	s_waitcnt lgkmcnt(0)
	v_mul_f64 v[109:110], v[107:108], v[115:116]
	v_fma_f64 v[109:110], v[105:106], v[125:126], -v[109:110]
	v_mul_f64 v[105:106], v[105:106], v[115:116]
	buffer_store_dword v113, off, s[24:27], 0 offset:96 ; 4-byte Folded Spill
	s_nop 0
	buffer_store_dword v114, off, s[24:27], 0 offset:100 ; 4-byte Folded Spill
	buffer_store_dword v115, off, s[24:27], 0 offset:104 ; 4-byte Folded Spill
	;; [unrolled: 1-line block ×3, first 2 shown]
	v_add_f64 v[97:98], v[97:98], -v[109:110]
	v_fma_f64 v[105:106], v[107:108], v[125:126], v[105:106]
	v_add_f64 v[99:100], v[99:100], -v[105:106]
.LBB68_83:
	s_or_b64 exec, exec, s[0:1]
	s_waitcnt vmcnt(0)
	s_barrier
	buffer_load_dword v106, off, s[24:27], 0 offset:80 ; 4-byte Folded Reload
	buffer_load_dword v107, off, s[24:27], 0 offset:84 ; 4-byte Folded Reload
	;; [unrolled: 1-line block ×4, first 2 shown]
	v_lshl_add_u32 v105, v104, 4, v102
	s_cmp_lt_i32 s3, 6
	s_waitcnt vmcnt(0)
	ds_write2_b64 v105, v[106:107], v[108:109] offset1:1
	s_waitcnt lgkmcnt(0)
	s_barrier
	ds_read2_b64 v[121:124], v102 offset0:8 offset1:9
	v_mov_b32_e32 v105, 4
	s_cbranch_scc1 .LBB68_86
; %bb.84:
	v_mov_b32_e32 v105, 4
	v_add_u32_e32 v106, 0x50, v102
	s_mov_b32 s0, 5
.LBB68_85:                              ; =>This Inner Loop Header: Depth=1
	s_waitcnt lgkmcnt(0)
	v_cmp_gt_f64_e32 vcc, 0, v[121:122]
	v_xor_b32_e32 v111, 0x80000000, v122
	ds_read2_b64 v[107:110], v106 offset1:1
	v_xor_b32_e32 v113, 0x80000000, v124
	v_add_u32_e32 v106, 16, v106
	s_waitcnt lgkmcnt(0)
	v_xor_b32_e32 v115, 0x80000000, v110
	v_cndmask_b32_e32 v112, v122, v111, vcc
	v_cmp_gt_f64_e32 vcc, 0, v[123:124]
	v_mov_b32_e32 v111, v121
	v_cndmask_b32_e32 v114, v124, v113, vcc
	v_cmp_gt_f64_e32 vcc, 0, v[107:108]
	v_mov_b32_e32 v113, v123
	v_add_f64 v[111:112], v[111:112], v[113:114]
	v_xor_b32_e32 v113, 0x80000000, v108
	v_cndmask_b32_e32 v114, v108, v113, vcc
	v_cmp_gt_f64_e32 vcc, 0, v[109:110]
	v_mov_b32_e32 v113, v107
	v_cndmask_b32_e32 v116, v110, v115, vcc
	v_mov_b32_e32 v115, v109
	v_add_f64 v[113:114], v[113:114], v[115:116]
	v_cmp_lt_f64_e32 vcc, v[111:112], v[113:114]
	v_cndmask_b32_e32 v121, v121, v107, vcc
	v_mov_b32_e32 v107, s0
	s_add_i32 s0, s0, 1
	v_cndmask_b32_e32 v122, v122, v108, vcc
	v_cndmask_b32_e32 v124, v124, v110, vcc
	;; [unrolled: 1-line block ×4, first 2 shown]
	s_cmp_lg_u32 s3, s0
	s_cbranch_scc1 .LBB68_85
.LBB68_86:
	s_waitcnt lgkmcnt(0)
	v_cmp_eq_f64_e32 vcc, 0, v[121:122]
	v_cmp_eq_f64_e64 s[0:1], 0, v[123:124]
	s_and_b64 s[0:1], vcc, s[0:1]
	s_and_saveexec_b64 s[18:19], s[0:1]
	s_xor_b64 s[0:1], exec, s[18:19]
; %bb.87:
	v_cmp_ne_u32_e32 vcc, 0, v103
	v_cndmask_b32_e32 v103, 5, v103, vcc
; %bb.88:
	s_andn2_saveexec_b64 s[0:1], s[0:1]
	s_cbranch_execz .LBB68_94
; %bb.89:
	v_cmp_ngt_f64_e64 s[18:19], |v[121:122]|, |v[123:124]|
	s_and_saveexec_b64 s[20:21], s[18:19]
	s_xor_b64 s[18:19], exec, s[20:21]
	s_cbranch_execz .LBB68_91
; %bb.90:
	v_div_scale_f64 v[106:107], s[20:21], v[123:124], v[123:124], v[121:122]
	v_rcp_f64_e32 v[108:109], v[106:107]
	v_fma_f64 v[110:111], -v[106:107], v[108:109], 1.0
	v_fma_f64 v[108:109], v[108:109], v[110:111], v[108:109]
	v_div_scale_f64 v[110:111], vcc, v[121:122], v[123:124], v[121:122]
	v_fma_f64 v[112:113], -v[106:107], v[108:109], 1.0
	v_fma_f64 v[108:109], v[108:109], v[112:113], v[108:109]
	v_mul_f64 v[112:113], v[110:111], v[108:109]
	v_fma_f64 v[106:107], -v[106:107], v[112:113], v[110:111]
	v_div_fmas_f64 v[106:107], v[106:107], v[108:109], v[112:113]
	v_div_fixup_f64 v[106:107], v[106:107], v[123:124], v[121:122]
	v_fma_f64 v[108:109], v[121:122], v[106:107], v[123:124]
	v_div_scale_f64 v[110:111], s[20:21], v[108:109], v[108:109], 1.0
	v_div_scale_f64 v[116:117], vcc, 1.0, v[108:109], 1.0
	v_rcp_f64_e32 v[112:113], v[110:111]
	v_fma_f64 v[114:115], -v[110:111], v[112:113], 1.0
	v_fma_f64 v[112:113], v[112:113], v[114:115], v[112:113]
	v_fma_f64 v[114:115], -v[110:111], v[112:113], 1.0
	v_fma_f64 v[112:113], v[112:113], v[114:115], v[112:113]
	v_mul_f64 v[114:115], v[116:117], v[112:113]
	v_fma_f64 v[110:111], -v[110:111], v[114:115], v[116:117]
	v_div_fmas_f64 v[110:111], v[110:111], v[112:113], v[114:115]
	v_div_fixup_f64 v[123:124], v[110:111], v[108:109], 1.0
	v_mul_f64 v[121:122], v[106:107], v[123:124]
	v_xor_b32_e32 v124, 0x80000000, v124
.LBB68_91:
	s_andn2_saveexec_b64 s[18:19], s[18:19]
	s_cbranch_execz .LBB68_93
; %bb.92:
	v_div_scale_f64 v[106:107], s[20:21], v[121:122], v[121:122], v[123:124]
	v_rcp_f64_e32 v[108:109], v[106:107]
	v_fma_f64 v[110:111], -v[106:107], v[108:109], 1.0
	v_fma_f64 v[108:109], v[108:109], v[110:111], v[108:109]
	v_div_scale_f64 v[110:111], vcc, v[123:124], v[121:122], v[123:124]
	v_fma_f64 v[112:113], -v[106:107], v[108:109], 1.0
	v_fma_f64 v[108:109], v[108:109], v[112:113], v[108:109]
	v_mul_f64 v[112:113], v[110:111], v[108:109]
	v_fma_f64 v[106:107], -v[106:107], v[112:113], v[110:111]
	v_div_fmas_f64 v[106:107], v[106:107], v[108:109], v[112:113]
	v_div_fixup_f64 v[106:107], v[106:107], v[121:122], v[123:124]
	v_fma_f64 v[108:109], v[123:124], v[106:107], v[121:122]
	v_div_scale_f64 v[110:111], s[20:21], v[108:109], v[108:109], 1.0
	v_div_scale_f64 v[116:117], vcc, 1.0, v[108:109], 1.0
	v_rcp_f64_e32 v[112:113], v[110:111]
	v_fma_f64 v[114:115], -v[110:111], v[112:113], 1.0
	v_fma_f64 v[112:113], v[112:113], v[114:115], v[112:113]
	v_fma_f64 v[114:115], -v[110:111], v[112:113], 1.0
	v_fma_f64 v[112:113], v[112:113], v[114:115], v[112:113]
	v_mul_f64 v[114:115], v[116:117], v[112:113]
	v_fma_f64 v[110:111], -v[110:111], v[114:115], v[116:117]
	v_div_fmas_f64 v[110:111], v[110:111], v[112:113], v[114:115]
	v_div_fixup_f64 v[121:122], v[110:111], v[108:109], 1.0
	v_mul_f64 v[123:124], v[106:107], -v[121:122]
.LBB68_93:
	s_or_b64 exec, exec, s[18:19]
.LBB68_94:
	s_or_b64 exec, exec, s[0:1]
	v_cmp_ne_u32_e32 vcc, v104, v105
	s_and_saveexec_b64 s[0:1], vcc
	s_xor_b64 s[0:1], exec, s[0:1]
	s_cbranch_execz .LBB68_100
; %bb.95:
	v_cmp_eq_u32_e32 vcc, 4, v104
	s_and_saveexec_b64 s[18:19], vcc
	s_cbranch_execz .LBB68_99
; %bb.96:
	v_cmp_ne_u32_e32 vcc, 4, v105
	s_xor_b64 s[20:21], s[6:7], -1
	s_and_b64 s[22:23], s[20:21], vcc
	s_and_saveexec_b64 s[20:21], s[22:23]
	s_cbranch_execz .LBB68_98
; %bb.97:
	v_ashrrev_i32_e32 v106, 31, v105
	v_lshlrev_b64 v[106:107], 2, v[105:106]
	v_add_co_u32_e32 v106, vcc, v119, v106
	v_addc_co_u32_e32 v107, vcc, v120, v107, vcc
	global_load_dword v0, v[106:107], off
	global_load_dword v104, v[119:120], off offset:16
	s_waitcnt vmcnt(1)
	global_store_dword v[119:120], v0, off offset:16
	s_waitcnt vmcnt(1)
	global_store_dword v[106:107], v104, off
.LBB68_98:
	s_or_b64 exec, exec, s[20:21]
	v_mov_b32_e32 v104, v105
	v_mov_b32_e32 v0, v105
.LBB68_99:
	s_or_b64 exec, exec, s[18:19]
.LBB68_100:
	s_andn2_saveexec_b64 s[0:1], s[0:1]
	s_cbranch_execz .LBB68_102
; %bb.101:
	buffer_load_dword v104, off, s[24:27], 0 offset:64 ; 4-byte Folded Reload
	buffer_load_dword v105, off, s[24:27], 0 offset:68 ; 4-byte Folded Reload
	buffer_load_dword v106, off, s[24:27], 0 offset:72 ; 4-byte Folded Reload
	buffer_load_dword v107, off, s[24:27], 0 offset:76 ; 4-byte Folded Reload
	s_waitcnt vmcnt(0)
	ds_write2_b64 v102, v[104:105], v[106:107] offset0:10 offset1:11
	buffer_load_dword v104, off, s[24:27], 0 offset:48 ; 4-byte Folded Reload
	buffer_load_dword v105, off, s[24:27], 0 offset:52 ; 4-byte Folded Reload
	buffer_load_dword v106, off, s[24:27], 0 offset:56 ; 4-byte Folded Reload
	buffer_load_dword v107, off, s[24:27], 0 offset:60 ; 4-byte Folded Reload
	s_waitcnt vmcnt(0)
	ds_write2_b64 v102, v[104:105], v[106:107] offset0:12 offset1:13
	;; [unrolled: 6-line block ×4, first 2 shown]
	buffer_load_dword v104, off, s[24:27], 0 ; 4-byte Folded Reload
	buffer_load_dword v105, off, s[24:27], 0 offset:4 ; 4-byte Folded Reload
	buffer_load_dword v106, off, s[24:27], 0 offset:8 ; 4-byte Folded Reload
	;; [unrolled: 1-line block ×3, first 2 shown]
	s_waitcnt vmcnt(0)
	ds_write2_b64 v102, v[104:105], v[106:107] offset0:18 offset1:19
	ds_write2_b64 v102, v[93:94], v[95:96] offset0:20 offset1:21
	;; [unrolled: 1-line block ×26, first 2 shown]
	v_mov_b32_e32 v104, 4
.LBB68_102:
	s_or_b64 exec, exec, s[0:1]
	v_cmp_lt_i32_e32 vcc, 4, v104
	s_waitcnt vmcnt(0) lgkmcnt(0)
	s_barrier
	s_and_saveexec_b64 s[0:1], vcc
	s_cbranch_execz .LBB68_104
; %bb.103:
	buffer_load_dword v113, off, s[24:27], 0 offset:80 ; 4-byte Folded Reload
	buffer_load_dword v114, off, s[24:27], 0 offset:84 ; 4-byte Folded Reload
	;; [unrolled: 1-line block ×4, first 2 shown]
	s_waitcnt vmcnt(0)
	v_mul_f64 v[105:106], v[123:124], v[115:116]
	v_fma_f64 v[125:126], v[121:122], v[113:114], -v[105:106]
	v_mul_f64 v[105:106], v[121:122], v[115:116]
	v_fma_f64 v[115:116], v[123:124], v[113:114], v[105:106]
	ds_read2_b64 v[105:108], v102 offset0:10 offset1:11
	buffer_load_dword v111, off, s[24:27], 0 offset:64 ; 4-byte Folded Reload
	buffer_load_dword v112, off, s[24:27], 0 offset:68 ; 4-byte Folded Reload
	buffer_load_dword v113, off, s[24:27], 0 offset:72 ; 4-byte Folded Reload
	buffer_load_dword v114, off, s[24:27], 0 offset:76 ; 4-byte Folded Reload
	s_waitcnt lgkmcnt(0)
	v_mul_f64 v[109:110], v[107:108], v[115:116]
	v_fma_f64 v[109:110], v[105:106], v[125:126], -v[109:110]
	v_mul_f64 v[105:106], v[105:106], v[115:116]
	v_fma_f64 v[105:106], v[107:108], v[125:126], v[105:106]
	s_waitcnt vmcnt(2)
	v_add_f64 v[111:112], v[111:112], -v[109:110]
	s_waitcnt vmcnt(0)
	v_add_f64 v[113:114], v[113:114], -v[105:106]
	buffer_store_dword v111, off, s[24:27], 0 offset:64 ; 4-byte Folded Spill
	s_nop 0
	buffer_store_dword v112, off, s[24:27], 0 offset:68 ; 4-byte Folded Spill
	buffer_store_dword v113, off, s[24:27], 0 offset:72 ; 4-byte Folded Spill
	buffer_store_dword v114, off, s[24:27], 0 offset:76 ; 4-byte Folded Spill
	ds_read2_b64 v[105:108], v102 offset0:12 offset1:13
	buffer_load_dword v111, off, s[24:27], 0 offset:48 ; 4-byte Folded Reload
	buffer_load_dword v112, off, s[24:27], 0 offset:52 ; 4-byte Folded Reload
	buffer_load_dword v113, off, s[24:27], 0 offset:56 ; 4-byte Folded Reload
	buffer_load_dword v114, off, s[24:27], 0 offset:60 ; 4-byte Folded Reload
	s_waitcnt lgkmcnt(0)
	v_mul_f64 v[109:110], v[107:108], v[115:116]
	v_fma_f64 v[109:110], v[105:106], v[125:126], -v[109:110]
	v_mul_f64 v[105:106], v[105:106], v[115:116]
	v_fma_f64 v[105:106], v[107:108], v[125:126], v[105:106]
	s_waitcnt vmcnt(2)
	v_add_f64 v[111:112], v[111:112], -v[109:110]
	s_waitcnt vmcnt(0)
	v_add_f64 v[113:114], v[113:114], -v[105:106]
	buffer_store_dword v111, off, s[24:27], 0 offset:48 ; 4-byte Folded Spill
	s_nop 0
	buffer_store_dword v112, off, s[24:27], 0 offset:52 ; 4-byte Folded Spill
	buffer_store_dword v113, off, s[24:27], 0 offset:56 ; 4-byte Folded Spill
	buffer_store_dword v114, off, s[24:27], 0 offset:60 ; 4-byte Folded Spill
	ds_read2_b64 v[105:108], v102 offset0:14 offset1:15
	buffer_load_dword v111, off, s[24:27], 0 offset:32 ; 4-byte Folded Reload
	buffer_load_dword v112, off, s[24:27], 0 offset:36 ; 4-byte Folded Reload
	buffer_load_dword v113, off, s[24:27], 0 offset:40 ; 4-byte Folded Reload
	buffer_load_dword v114, off, s[24:27], 0 offset:44 ; 4-byte Folded Reload
	s_waitcnt lgkmcnt(0)
	v_mul_f64 v[109:110], v[107:108], v[115:116]
	v_fma_f64 v[109:110], v[105:106], v[125:126], -v[109:110]
	v_mul_f64 v[105:106], v[105:106], v[115:116]
	v_fma_f64 v[105:106], v[107:108], v[125:126], v[105:106]
	s_waitcnt vmcnt(2)
	v_add_f64 v[111:112], v[111:112], -v[109:110]
	s_waitcnt vmcnt(0)
	v_add_f64 v[113:114], v[113:114], -v[105:106]
	buffer_store_dword v111, off, s[24:27], 0 offset:32 ; 4-byte Folded Spill
	s_nop 0
	buffer_store_dword v112, off, s[24:27], 0 offset:36 ; 4-byte Folded Spill
	buffer_store_dword v113, off, s[24:27], 0 offset:40 ; 4-byte Folded Spill
	buffer_store_dword v114, off, s[24:27], 0 offset:44 ; 4-byte Folded Spill
	ds_read2_b64 v[105:108], v102 offset0:16 offset1:17
	buffer_load_dword v111, off, s[24:27], 0 offset:16 ; 4-byte Folded Reload
	buffer_load_dword v112, off, s[24:27], 0 offset:20 ; 4-byte Folded Reload
	buffer_load_dword v113, off, s[24:27], 0 offset:24 ; 4-byte Folded Reload
	buffer_load_dword v114, off, s[24:27], 0 offset:28 ; 4-byte Folded Reload
	s_waitcnt lgkmcnt(0)
	v_mul_f64 v[109:110], v[107:108], v[115:116]
	v_fma_f64 v[109:110], v[105:106], v[125:126], -v[109:110]
	v_mul_f64 v[105:106], v[105:106], v[115:116]
	v_fma_f64 v[105:106], v[107:108], v[125:126], v[105:106]
	s_waitcnt vmcnt(2)
	v_add_f64 v[111:112], v[111:112], -v[109:110]
	s_waitcnt vmcnt(0)
	v_add_f64 v[113:114], v[113:114], -v[105:106]
	buffer_store_dword v111, off, s[24:27], 0 offset:16 ; 4-byte Folded Spill
	s_nop 0
	buffer_store_dword v112, off, s[24:27], 0 offset:20 ; 4-byte Folded Spill
	buffer_store_dword v113, off, s[24:27], 0 offset:24 ; 4-byte Folded Spill
	buffer_store_dword v114, off, s[24:27], 0 offset:28 ; 4-byte Folded Spill
	ds_read2_b64 v[105:108], v102 offset0:18 offset1:19
	buffer_load_dword v111, off, s[24:27], 0 ; 4-byte Folded Reload
	buffer_load_dword v112, off, s[24:27], 0 offset:4 ; 4-byte Folded Reload
	buffer_load_dword v113, off, s[24:27], 0 offset:8 ; 4-byte Folded Reload
	;; [unrolled: 1-line block ×3, first 2 shown]
	s_waitcnt lgkmcnt(0)
	v_mul_f64 v[109:110], v[107:108], v[115:116]
	v_fma_f64 v[109:110], v[105:106], v[125:126], -v[109:110]
	v_mul_f64 v[105:106], v[105:106], v[115:116]
	v_fma_f64 v[105:106], v[107:108], v[125:126], v[105:106]
	s_waitcnt vmcnt(2)
	v_add_f64 v[111:112], v[111:112], -v[109:110]
	s_waitcnt vmcnt(0)
	v_add_f64 v[113:114], v[113:114], -v[105:106]
	buffer_store_dword v111, off, s[24:27], 0 ; 4-byte Folded Spill
	s_nop 0
	buffer_store_dword v112, off, s[24:27], 0 offset:4 ; 4-byte Folded Spill
	buffer_store_dword v113, off, s[24:27], 0 offset:8 ; 4-byte Folded Spill
	;; [unrolled: 1-line block ×3, first 2 shown]
	ds_read2_b64 v[105:108], v102 offset0:20 offset1:21
	v_mov_b32_e32 v113, v125
	v_mov_b32_e32 v114, v126
	s_waitcnt lgkmcnt(0)
	v_mul_f64 v[109:110], v[107:108], v[115:116]
	v_fma_f64 v[109:110], v[105:106], v[125:126], -v[109:110]
	v_mul_f64 v[105:106], v[105:106], v[115:116]
	v_add_f64 v[93:94], v[93:94], -v[109:110]
	v_fma_f64 v[105:106], v[107:108], v[125:126], v[105:106]
	v_add_f64 v[95:96], v[95:96], -v[105:106]
	ds_read2_b64 v[105:108], v102 offset0:22 offset1:23
	s_waitcnt lgkmcnt(0)
	v_mul_f64 v[109:110], v[107:108], v[115:116]
	v_fma_f64 v[109:110], v[105:106], v[125:126], -v[109:110]
	v_mul_f64 v[105:106], v[105:106], v[115:116]
	v_add_f64 v[89:90], v[89:90], -v[109:110]
	v_fma_f64 v[105:106], v[107:108], v[125:126], v[105:106]
	v_add_f64 v[91:92], v[91:92], -v[105:106]
	ds_read2_b64 v[105:108], v102 offset0:24 offset1:25
	;; [unrolled: 8-line block ×24, first 2 shown]
	s_waitcnt lgkmcnt(0)
	v_mul_f64 v[109:110], v[107:108], v[115:116]
	v_fma_f64 v[109:110], v[105:106], v[125:126], -v[109:110]
	v_mul_f64 v[105:106], v[105:106], v[115:116]
	buffer_store_dword v113, off, s[24:27], 0 offset:80 ; 4-byte Folded Spill
	s_nop 0
	buffer_store_dword v114, off, s[24:27], 0 offset:84 ; 4-byte Folded Spill
	buffer_store_dword v115, off, s[24:27], 0 offset:88 ; 4-byte Folded Spill
	;; [unrolled: 1-line block ×3, first 2 shown]
	v_add_f64 v[97:98], v[97:98], -v[109:110]
	v_fma_f64 v[105:106], v[107:108], v[125:126], v[105:106]
	v_add_f64 v[99:100], v[99:100], -v[105:106]
.LBB68_104:
	s_or_b64 exec, exec, s[0:1]
	s_waitcnt vmcnt(0)
	s_barrier
	buffer_load_dword v106, off, s[24:27], 0 offset:64 ; 4-byte Folded Reload
	buffer_load_dword v107, off, s[24:27], 0 offset:68 ; 4-byte Folded Reload
	;; [unrolled: 1-line block ×4, first 2 shown]
	v_lshl_add_u32 v105, v104, 4, v102
	s_cmp_lt_i32 s3, 7
	s_waitcnt vmcnt(0)
	ds_write2_b64 v105, v[106:107], v[108:109] offset1:1
	s_waitcnt lgkmcnt(0)
	s_barrier
	ds_read2_b64 v[121:124], v102 offset0:10 offset1:11
	v_mov_b32_e32 v105, 5
	s_cbranch_scc1 .LBB68_107
; %bb.105:
	v_add_u32_e32 v106, 0x60, v102
	s_mov_b32 s0, 6
	v_mov_b32_e32 v105, 5
.LBB68_106:                             ; =>This Inner Loop Header: Depth=1
	s_waitcnt lgkmcnt(0)
	v_cmp_gt_f64_e32 vcc, 0, v[121:122]
	v_xor_b32_e32 v111, 0x80000000, v122
	ds_read2_b64 v[107:110], v106 offset1:1
	v_xor_b32_e32 v113, 0x80000000, v124
	v_add_u32_e32 v106, 16, v106
	s_waitcnt lgkmcnt(0)
	v_xor_b32_e32 v115, 0x80000000, v110
	v_cndmask_b32_e32 v112, v122, v111, vcc
	v_cmp_gt_f64_e32 vcc, 0, v[123:124]
	v_mov_b32_e32 v111, v121
	v_cndmask_b32_e32 v114, v124, v113, vcc
	v_cmp_gt_f64_e32 vcc, 0, v[107:108]
	v_mov_b32_e32 v113, v123
	v_add_f64 v[111:112], v[111:112], v[113:114]
	v_xor_b32_e32 v113, 0x80000000, v108
	v_cndmask_b32_e32 v114, v108, v113, vcc
	v_cmp_gt_f64_e32 vcc, 0, v[109:110]
	v_mov_b32_e32 v113, v107
	v_cndmask_b32_e32 v116, v110, v115, vcc
	v_mov_b32_e32 v115, v109
	v_add_f64 v[113:114], v[113:114], v[115:116]
	v_cmp_lt_f64_e32 vcc, v[111:112], v[113:114]
	v_cndmask_b32_e32 v121, v121, v107, vcc
	v_mov_b32_e32 v107, s0
	s_add_i32 s0, s0, 1
	v_cndmask_b32_e32 v122, v122, v108, vcc
	v_cndmask_b32_e32 v124, v124, v110, vcc
	;; [unrolled: 1-line block ×4, first 2 shown]
	s_cmp_lg_u32 s3, s0
	s_cbranch_scc1 .LBB68_106
.LBB68_107:
	s_waitcnt lgkmcnt(0)
	v_cmp_eq_f64_e32 vcc, 0, v[121:122]
	v_cmp_eq_f64_e64 s[0:1], 0, v[123:124]
	s_and_b64 s[0:1], vcc, s[0:1]
	s_and_saveexec_b64 s[18:19], s[0:1]
	s_xor_b64 s[0:1], exec, s[18:19]
; %bb.108:
	v_cmp_ne_u32_e32 vcc, 0, v103
	v_cndmask_b32_e32 v103, 6, v103, vcc
; %bb.109:
	s_andn2_saveexec_b64 s[0:1], s[0:1]
	s_cbranch_execz .LBB68_115
; %bb.110:
	v_cmp_ngt_f64_e64 s[18:19], |v[121:122]|, |v[123:124]|
	s_and_saveexec_b64 s[20:21], s[18:19]
	s_xor_b64 s[18:19], exec, s[20:21]
	s_cbranch_execz .LBB68_112
; %bb.111:
	v_div_scale_f64 v[106:107], s[20:21], v[123:124], v[123:124], v[121:122]
	v_rcp_f64_e32 v[108:109], v[106:107]
	v_fma_f64 v[110:111], -v[106:107], v[108:109], 1.0
	v_fma_f64 v[108:109], v[108:109], v[110:111], v[108:109]
	v_div_scale_f64 v[110:111], vcc, v[121:122], v[123:124], v[121:122]
	v_fma_f64 v[112:113], -v[106:107], v[108:109], 1.0
	v_fma_f64 v[108:109], v[108:109], v[112:113], v[108:109]
	v_mul_f64 v[112:113], v[110:111], v[108:109]
	v_fma_f64 v[106:107], -v[106:107], v[112:113], v[110:111]
	v_div_fmas_f64 v[106:107], v[106:107], v[108:109], v[112:113]
	v_div_fixup_f64 v[106:107], v[106:107], v[123:124], v[121:122]
	v_fma_f64 v[108:109], v[121:122], v[106:107], v[123:124]
	v_div_scale_f64 v[110:111], s[20:21], v[108:109], v[108:109], 1.0
	v_div_scale_f64 v[116:117], vcc, 1.0, v[108:109], 1.0
	v_rcp_f64_e32 v[112:113], v[110:111]
	v_fma_f64 v[114:115], -v[110:111], v[112:113], 1.0
	v_fma_f64 v[112:113], v[112:113], v[114:115], v[112:113]
	v_fma_f64 v[114:115], -v[110:111], v[112:113], 1.0
	v_fma_f64 v[112:113], v[112:113], v[114:115], v[112:113]
	v_mul_f64 v[114:115], v[116:117], v[112:113]
	v_fma_f64 v[110:111], -v[110:111], v[114:115], v[116:117]
	v_div_fmas_f64 v[110:111], v[110:111], v[112:113], v[114:115]
	v_div_fixup_f64 v[123:124], v[110:111], v[108:109], 1.0
	v_mul_f64 v[121:122], v[106:107], v[123:124]
	v_xor_b32_e32 v124, 0x80000000, v124
.LBB68_112:
	s_andn2_saveexec_b64 s[18:19], s[18:19]
	s_cbranch_execz .LBB68_114
; %bb.113:
	v_div_scale_f64 v[106:107], s[20:21], v[121:122], v[121:122], v[123:124]
	v_rcp_f64_e32 v[108:109], v[106:107]
	v_fma_f64 v[110:111], -v[106:107], v[108:109], 1.0
	v_fma_f64 v[108:109], v[108:109], v[110:111], v[108:109]
	v_div_scale_f64 v[110:111], vcc, v[123:124], v[121:122], v[123:124]
	v_fma_f64 v[112:113], -v[106:107], v[108:109], 1.0
	v_fma_f64 v[108:109], v[108:109], v[112:113], v[108:109]
	v_mul_f64 v[112:113], v[110:111], v[108:109]
	v_fma_f64 v[106:107], -v[106:107], v[112:113], v[110:111]
	v_div_fmas_f64 v[106:107], v[106:107], v[108:109], v[112:113]
	v_div_fixup_f64 v[106:107], v[106:107], v[121:122], v[123:124]
	v_fma_f64 v[108:109], v[123:124], v[106:107], v[121:122]
	v_div_scale_f64 v[110:111], s[20:21], v[108:109], v[108:109], 1.0
	v_div_scale_f64 v[116:117], vcc, 1.0, v[108:109], 1.0
	v_rcp_f64_e32 v[112:113], v[110:111]
	v_fma_f64 v[114:115], -v[110:111], v[112:113], 1.0
	v_fma_f64 v[112:113], v[112:113], v[114:115], v[112:113]
	v_fma_f64 v[114:115], -v[110:111], v[112:113], 1.0
	v_fma_f64 v[112:113], v[112:113], v[114:115], v[112:113]
	v_mul_f64 v[114:115], v[116:117], v[112:113]
	v_fma_f64 v[110:111], -v[110:111], v[114:115], v[116:117]
	v_div_fmas_f64 v[110:111], v[110:111], v[112:113], v[114:115]
	v_div_fixup_f64 v[121:122], v[110:111], v[108:109], 1.0
	v_mul_f64 v[123:124], v[106:107], -v[121:122]
.LBB68_114:
	s_or_b64 exec, exec, s[18:19]
.LBB68_115:
	s_or_b64 exec, exec, s[0:1]
	v_cmp_ne_u32_e32 vcc, v104, v105
	s_and_saveexec_b64 s[0:1], vcc
	s_xor_b64 s[0:1], exec, s[0:1]
	s_cbranch_execz .LBB68_121
; %bb.116:
	v_cmp_eq_u32_e32 vcc, 5, v104
	s_and_saveexec_b64 s[18:19], vcc
	s_cbranch_execz .LBB68_120
; %bb.117:
	v_cmp_ne_u32_e32 vcc, 5, v105
	s_xor_b64 s[20:21], s[6:7], -1
	s_and_b64 s[22:23], s[20:21], vcc
	s_and_saveexec_b64 s[20:21], s[22:23]
	s_cbranch_execz .LBB68_119
; %bb.118:
	v_ashrrev_i32_e32 v106, 31, v105
	v_lshlrev_b64 v[106:107], 2, v[105:106]
	v_add_co_u32_e32 v106, vcc, v119, v106
	v_addc_co_u32_e32 v107, vcc, v120, v107, vcc
	global_load_dword v0, v[106:107], off
	global_load_dword v104, v[119:120], off offset:20
	s_waitcnt vmcnt(1)
	global_store_dword v[119:120], v0, off offset:20
	s_waitcnt vmcnt(1)
	global_store_dword v[106:107], v104, off
.LBB68_119:
	s_or_b64 exec, exec, s[20:21]
	v_mov_b32_e32 v104, v105
	v_mov_b32_e32 v0, v105
.LBB68_120:
	s_or_b64 exec, exec, s[18:19]
.LBB68_121:
	s_andn2_saveexec_b64 s[0:1], s[0:1]
	s_cbranch_execz .LBB68_123
; %bb.122:
	buffer_load_dword v104, off, s[24:27], 0 offset:48 ; 4-byte Folded Reload
	buffer_load_dword v105, off, s[24:27], 0 offset:52 ; 4-byte Folded Reload
	buffer_load_dword v106, off, s[24:27], 0 offset:56 ; 4-byte Folded Reload
	buffer_load_dword v107, off, s[24:27], 0 offset:60 ; 4-byte Folded Reload
	s_waitcnt vmcnt(0)
	ds_write2_b64 v102, v[104:105], v[106:107] offset0:12 offset1:13
	buffer_load_dword v104, off, s[24:27], 0 offset:32 ; 4-byte Folded Reload
	buffer_load_dword v105, off, s[24:27], 0 offset:36 ; 4-byte Folded Reload
	buffer_load_dword v106, off, s[24:27], 0 offset:40 ; 4-byte Folded Reload
	buffer_load_dword v107, off, s[24:27], 0 offset:44 ; 4-byte Folded Reload
	s_waitcnt vmcnt(0)
	ds_write2_b64 v102, v[104:105], v[106:107] offset0:14 offset1:15
	;; [unrolled: 6-line block ×3, first 2 shown]
	buffer_load_dword v104, off, s[24:27], 0 ; 4-byte Folded Reload
	buffer_load_dword v105, off, s[24:27], 0 offset:4 ; 4-byte Folded Reload
	buffer_load_dword v106, off, s[24:27], 0 offset:8 ; 4-byte Folded Reload
	;; [unrolled: 1-line block ×3, first 2 shown]
	s_waitcnt vmcnt(0)
	ds_write2_b64 v102, v[104:105], v[106:107] offset0:18 offset1:19
	ds_write2_b64 v102, v[93:94], v[95:96] offset0:20 offset1:21
	;; [unrolled: 1-line block ×26, first 2 shown]
	v_mov_b32_e32 v104, 5
.LBB68_123:
	s_or_b64 exec, exec, s[0:1]
	v_cmp_lt_i32_e32 vcc, 5, v104
	s_waitcnt vmcnt(0) lgkmcnt(0)
	s_barrier
	s_and_saveexec_b64 s[0:1], vcc
	s_cbranch_execz .LBB68_125
; %bb.124:
	buffer_load_dword v113, off, s[24:27], 0 offset:64 ; 4-byte Folded Reload
	buffer_load_dword v114, off, s[24:27], 0 offset:68 ; 4-byte Folded Reload
	;; [unrolled: 1-line block ×4, first 2 shown]
	s_waitcnt vmcnt(0)
	v_mul_f64 v[105:106], v[123:124], v[115:116]
	v_fma_f64 v[125:126], v[121:122], v[113:114], -v[105:106]
	v_mul_f64 v[105:106], v[121:122], v[115:116]
	v_fma_f64 v[115:116], v[123:124], v[113:114], v[105:106]
	ds_read2_b64 v[105:108], v102 offset0:12 offset1:13
	buffer_load_dword v111, off, s[24:27], 0 offset:48 ; 4-byte Folded Reload
	buffer_load_dword v112, off, s[24:27], 0 offset:52 ; 4-byte Folded Reload
	buffer_load_dword v113, off, s[24:27], 0 offset:56 ; 4-byte Folded Reload
	buffer_load_dword v114, off, s[24:27], 0 offset:60 ; 4-byte Folded Reload
	s_waitcnt lgkmcnt(0)
	v_mul_f64 v[109:110], v[107:108], v[115:116]
	v_fma_f64 v[109:110], v[105:106], v[125:126], -v[109:110]
	v_mul_f64 v[105:106], v[105:106], v[115:116]
	v_fma_f64 v[105:106], v[107:108], v[125:126], v[105:106]
	s_waitcnt vmcnt(2)
	v_add_f64 v[111:112], v[111:112], -v[109:110]
	s_waitcnt vmcnt(0)
	v_add_f64 v[113:114], v[113:114], -v[105:106]
	buffer_store_dword v111, off, s[24:27], 0 offset:48 ; 4-byte Folded Spill
	s_nop 0
	buffer_store_dword v112, off, s[24:27], 0 offset:52 ; 4-byte Folded Spill
	buffer_store_dword v113, off, s[24:27], 0 offset:56 ; 4-byte Folded Spill
	buffer_store_dword v114, off, s[24:27], 0 offset:60 ; 4-byte Folded Spill
	ds_read2_b64 v[105:108], v102 offset0:14 offset1:15
	buffer_load_dword v111, off, s[24:27], 0 offset:32 ; 4-byte Folded Reload
	buffer_load_dword v112, off, s[24:27], 0 offset:36 ; 4-byte Folded Reload
	buffer_load_dword v113, off, s[24:27], 0 offset:40 ; 4-byte Folded Reload
	buffer_load_dword v114, off, s[24:27], 0 offset:44 ; 4-byte Folded Reload
	s_waitcnt lgkmcnt(0)
	v_mul_f64 v[109:110], v[107:108], v[115:116]
	v_fma_f64 v[109:110], v[105:106], v[125:126], -v[109:110]
	v_mul_f64 v[105:106], v[105:106], v[115:116]
	v_fma_f64 v[105:106], v[107:108], v[125:126], v[105:106]
	s_waitcnt vmcnt(2)
	v_add_f64 v[111:112], v[111:112], -v[109:110]
	s_waitcnt vmcnt(0)
	v_add_f64 v[113:114], v[113:114], -v[105:106]
	buffer_store_dword v111, off, s[24:27], 0 offset:32 ; 4-byte Folded Spill
	s_nop 0
	buffer_store_dword v112, off, s[24:27], 0 offset:36 ; 4-byte Folded Spill
	buffer_store_dword v113, off, s[24:27], 0 offset:40 ; 4-byte Folded Spill
	buffer_store_dword v114, off, s[24:27], 0 offset:44 ; 4-byte Folded Spill
	;; [unrolled: 19-line block ×3, first 2 shown]
	ds_read2_b64 v[105:108], v102 offset0:18 offset1:19
	buffer_load_dword v111, off, s[24:27], 0 ; 4-byte Folded Reload
	buffer_load_dword v112, off, s[24:27], 0 offset:4 ; 4-byte Folded Reload
	buffer_load_dword v113, off, s[24:27], 0 offset:8 ; 4-byte Folded Reload
	;; [unrolled: 1-line block ×3, first 2 shown]
	s_waitcnt lgkmcnt(0)
	v_mul_f64 v[109:110], v[107:108], v[115:116]
	v_fma_f64 v[109:110], v[105:106], v[125:126], -v[109:110]
	v_mul_f64 v[105:106], v[105:106], v[115:116]
	v_fma_f64 v[105:106], v[107:108], v[125:126], v[105:106]
	s_waitcnt vmcnt(2)
	v_add_f64 v[111:112], v[111:112], -v[109:110]
	s_waitcnt vmcnt(0)
	v_add_f64 v[113:114], v[113:114], -v[105:106]
	buffer_store_dword v111, off, s[24:27], 0 ; 4-byte Folded Spill
	s_nop 0
	buffer_store_dword v112, off, s[24:27], 0 offset:4 ; 4-byte Folded Spill
	buffer_store_dword v113, off, s[24:27], 0 offset:8 ; 4-byte Folded Spill
	;; [unrolled: 1-line block ×3, first 2 shown]
	ds_read2_b64 v[105:108], v102 offset0:20 offset1:21
	v_mov_b32_e32 v113, v125
	v_mov_b32_e32 v114, v126
	s_waitcnt lgkmcnt(0)
	v_mul_f64 v[109:110], v[107:108], v[115:116]
	v_fma_f64 v[109:110], v[105:106], v[125:126], -v[109:110]
	v_mul_f64 v[105:106], v[105:106], v[115:116]
	v_add_f64 v[93:94], v[93:94], -v[109:110]
	v_fma_f64 v[105:106], v[107:108], v[125:126], v[105:106]
	v_add_f64 v[95:96], v[95:96], -v[105:106]
	ds_read2_b64 v[105:108], v102 offset0:22 offset1:23
	s_waitcnt lgkmcnt(0)
	v_mul_f64 v[109:110], v[107:108], v[115:116]
	v_fma_f64 v[109:110], v[105:106], v[125:126], -v[109:110]
	v_mul_f64 v[105:106], v[105:106], v[115:116]
	v_add_f64 v[89:90], v[89:90], -v[109:110]
	v_fma_f64 v[105:106], v[107:108], v[125:126], v[105:106]
	v_add_f64 v[91:92], v[91:92], -v[105:106]
	ds_read2_b64 v[105:108], v102 offset0:24 offset1:25
	;; [unrolled: 8-line block ×24, first 2 shown]
	s_waitcnt lgkmcnt(0)
	v_mul_f64 v[109:110], v[107:108], v[115:116]
	v_fma_f64 v[109:110], v[105:106], v[125:126], -v[109:110]
	v_mul_f64 v[105:106], v[105:106], v[115:116]
	buffer_store_dword v113, off, s[24:27], 0 offset:64 ; 4-byte Folded Spill
	s_nop 0
	buffer_store_dword v114, off, s[24:27], 0 offset:68 ; 4-byte Folded Spill
	buffer_store_dword v115, off, s[24:27], 0 offset:72 ; 4-byte Folded Spill
	;; [unrolled: 1-line block ×3, first 2 shown]
	v_add_f64 v[97:98], v[97:98], -v[109:110]
	v_fma_f64 v[105:106], v[107:108], v[125:126], v[105:106]
	v_add_f64 v[99:100], v[99:100], -v[105:106]
.LBB68_125:
	s_or_b64 exec, exec, s[0:1]
	s_waitcnt vmcnt(0)
	s_barrier
	buffer_load_dword v106, off, s[24:27], 0 offset:48 ; 4-byte Folded Reload
	buffer_load_dword v107, off, s[24:27], 0 offset:52 ; 4-byte Folded Reload
	buffer_load_dword v108, off, s[24:27], 0 offset:56 ; 4-byte Folded Reload
	buffer_load_dword v109, off, s[24:27], 0 offset:60 ; 4-byte Folded Reload
	v_lshl_add_u32 v105, v104, 4, v102
	s_cmp_lt_i32 s3, 8
	s_waitcnt vmcnt(0)
	ds_write2_b64 v105, v[106:107], v[108:109] offset1:1
	s_waitcnt lgkmcnt(0)
	s_barrier
	ds_read2_b64 v[121:124], v102 offset0:12 offset1:13
	v_mov_b32_e32 v105, 6
	s_cbranch_scc1 .LBB68_128
; %bb.126:
	v_add_u32_e32 v106, 0x70, v102
	s_mov_b32 s0, 7
	v_mov_b32_e32 v105, 6
.LBB68_127:                             ; =>This Inner Loop Header: Depth=1
	s_waitcnt lgkmcnt(0)
	v_cmp_gt_f64_e32 vcc, 0, v[121:122]
	v_xor_b32_e32 v111, 0x80000000, v122
	ds_read2_b64 v[107:110], v106 offset1:1
	v_xor_b32_e32 v113, 0x80000000, v124
	v_add_u32_e32 v106, 16, v106
	s_waitcnt lgkmcnt(0)
	v_xor_b32_e32 v115, 0x80000000, v110
	v_cndmask_b32_e32 v112, v122, v111, vcc
	v_cmp_gt_f64_e32 vcc, 0, v[123:124]
	v_mov_b32_e32 v111, v121
	v_cndmask_b32_e32 v114, v124, v113, vcc
	v_cmp_gt_f64_e32 vcc, 0, v[107:108]
	v_mov_b32_e32 v113, v123
	v_add_f64 v[111:112], v[111:112], v[113:114]
	v_xor_b32_e32 v113, 0x80000000, v108
	v_cndmask_b32_e32 v114, v108, v113, vcc
	v_cmp_gt_f64_e32 vcc, 0, v[109:110]
	v_mov_b32_e32 v113, v107
	v_cndmask_b32_e32 v116, v110, v115, vcc
	v_mov_b32_e32 v115, v109
	v_add_f64 v[113:114], v[113:114], v[115:116]
	v_cmp_lt_f64_e32 vcc, v[111:112], v[113:114]
	v_cndmask_b32_e32 v121, v121, v107, vcc
	v_mov_b32_e32 v107, s0
	s_add_i32 s0, s0, 1
	v_cndmask_b32_e32 v122, v122, v108, vcc
	v_cndmask_b32_e32 v124, v124, v110, vcc
	;; [unrolled: 1-line block ×4, first 2 shown]
	s_cmp_lg_u32 s3, s0
	s_cbranch_scc1 .LBB68_127
.LBB68_128:
	s_waitcnt lgkmcnt(0)
	v_cmp_eq_f64_e32 vcc, 0, v[121:122]
	v_cmp_eq_f64_e64 s[0:1], 0, v[123:124]
	s_and_b64 s[0:1], vcc, s[0:1]
	s_and_saveexec_b64 s[18:19], s[0:1]
	s_xor_b64 s[0:1], exec, s[18:19]
; %bb.129:
	v_cmp_ne_u32_e32 vcc, 0, v103
	v_cndmask_b32_e32 v103, 7, v103, vcc
; %bb.130:
	s_andn2_saveexec_b64 s[0:1], s[0:1]
	s_cbranch_execz .LBB68_136
; %bb.131:
	v_cmp_ngt_f64_e64 s[18:19], |v[121:122]|, |v[123:124]|
	s_and_saveexec_b64 s[20:21], s[18:19]
	s_xor_b64 s[18:19], exec, s[20:21]
	s_cbranch_execz .LBB68_133
; %bb.132:
	v_div_scale_f64 v[106:107], s[20:21], v[123:124], v[123:124], v[121:122]
	v_rcp_f64_e32 v[108:109], v[106:107]
	v_fma_f64 v[110:111], -v[106:107], v[108:109], 1.0
	v_fma_f64 v[108:109], v[108:109], v[110:111], v[108:109]
	v_div_scale_f64 v[110:111], vcc, v[121:122], v[123:124], v[121:122]
	v_fma_f64 v[112:113], -v[106:107], v[108:109], 1.0
	v_fma_f64 v[108:109], v[108:109], v[112:113], v[108:109]
	v_mul_f64 v[112:113], v[110:111], v[108:109]
	v_fma_f64 v[106:107], -v[106:107], v[112:113], v[110:111]
	v_div_fmas_f64 v[106:107], v[106:107], v[108:109], v[112:113]
	v_div_fixup_f64 v[106:107], v[106:107], v[123:124], v[121:122]
	v_fma_f64 v[108:109], v[121:122], v[106:107], v[123:124]
	v_div_scale_f64 v[110:111], s[20:21], v[108:109], v[108:109], 1.0
	v_div_scale_f64 v[116:117], vcc, 1.0, v[108:109], 1.0
	v_rcp_f64_e32 v[112:113], v[110:111]
	v_fma_f64 v[114:115], -v[110:111], v[112:113], 1.0
	v_fma_f64 v[112:113], v[112:113], v[114:115], v[112:113]
	v_fma_f64 v[114:115], -v[110:111], v[112:113], 1.0
	v_fma_f64 v[112:113], v[112:113], v[114:115], v[112:113]
	v_mul_f64 v[114:115], v[116:117], v[112:113]
	v_fma_f64 v[110:111], -v[110:111], v[114:115], v[116:117]
	v_div_fmas_f64 v[110:111], v[110:111], v[112:113], v[114:115]
	v_div_fixup_f64 v[123:124], v[110:111], v[108:109], 1.0
	v_mul_f64 v[121:122], v[106:107], v[123:124]
	v_xor_b32_e32 v124, 0x80000000, v124
.LBB68_133:
	s_andn2_saveexec_b64 s[18:19], s[18:19]
	s_cbranch_execz .LBB68_135
; %bb.134:
	v_div_scale_f64 v[106:107], s[20:21], v[121:122], v[121:122], v[123:124]
	v_rcp_f64_e32 v[108:109], v[106:107]
	v_fma_f64 v[110:111], -v[106:107], v[108:109], 1.0
	v_fma_f64 v[108:109], v[108:109], v[110:111], v[108:109]
	v_div_scale_f64 v[110:111], vcc, v[123:124], v[121:122], v[123:124]
	v_fma_f64 v[112:113], -v[106:107], v[108:109], 1.0
	v_fma_f64 v[108:109], v[108:109], v[112:113], v[108:109]
	v_mul_f64 v[112:113], v[110:111], v[108:109]
	v_fma_f64 v[106:107], -v[106:107], v[112:113], v[110:111]
	v_div_fmas_f64 v[106:107], v[106:107], v[108:109], v[112:113]
	v_div_fixup_f64 v[106:107], v[106:107], v[121:122], v[123:124]
	v_fma_f64 v[108:109], v[123:124], v[106:107], v[121:122]
	v_div_scale_f64 v[110:111], s[20:21], v[108:109], v[108:109], 1.0
	v_div_scale_f64 v[116:117], vcc, 1.0, v[108:109], 1.0
	v_rcp_f64_e32 v[112:113], v[110:111]
	v_fma_f64 v[114:115], -v[110:111], v[112:113], 1.0
	v_fma_f64 v[112:113], v[112:113], v[114:115], v[112:113]
	v_fma_f64 v[114:115], -v[110:111], v[112:113], 1.0
	v_fma_f64 v[112:113], v[112:113], v[114:115], v[112:113]
	v_mul_f64 v[114:115], v[116:117], v[112:113]
	v_fma_f64 v[110:111], -v[110:111], v[114:115], v[116:117]
	v_div_fmas_f64 v[110:111], v[110:111], v[112:113], v[114:115]
	v_div_fixup_f64 v[121:122], v[110:111], v[108:109], 1.0
	v_mul_f64 v[123:124], v[106:107], -v[121:122]
.LBB68_135:
	s_or_b64 exec, exec, s[18:19]
.LBB68_136:
	s_or_b64 exec, exec, s[0:1]
	v_cmp_ne_u32_e32 vcc, v104, v105
	s_and_saveexec_b64 s[0:1], vcc
	s_xor_b64 s[0:1], exec, s[0:1]
	s_cbranch_execz .LBB68_142
; %bb.137:
	v_cmp_eq_u32_e32 vcc, 6, v104
	s_and_saveexec_b64 s[18:19], vcc
	s_cbranch_execz .LBB68_141
; %bb.138:
	v_cmp_ne_u32_e32 vcc, 6, v105
	s_xor_b64 s[20:21], s[6:7], -1
	s_and_b64 s[22:23], s[20:21], vcc
	s_and_saveexec_b64 s[20:21], s[22:23]
	s_cbranch_execz .LBB68_140
; %bb.139:
	v_ashrrev_i32_e32 v106, 31, v105
	v_lshlrev_b64 v[106:107], 2, v[105:106]
	v_add_co_u32_e32 v106, vcc, v119, v106
	v_addc_co_u32_e32 v107, vcc, v120, v107, vcc
	global_load_dword v0, v[106:107], off
	global_load_dword v104, v[119:120], off offset:24
	s_waitcnt vmcnt(1)
	global_store_dword v[119:120], v0, off offset:24
	s_waitcnt vmcnt(1)
	global_store_dword v[106:107], v104, off
.LBB68_140:
	s_or_b64 exec, exec, s[20:21]
	v_mov_b32_e32 v104, v105
	v_mov_b32_e32 v0, v105
.LBB68_141:
	s_or_b64 exec, exec, s[18:19]
.LBB68_142:
	s_andn2_saveexec_b64 s[0:1], s[0:1]
	s_cbranch_execz .LBB68_144
; %bb.143:
	buffer_load_dword v104, off, s[24:27], 0 offset:32 ; 4-byte Folded Reload
	buffer_load_dword v105, off, s[24:27], 0 offset:36 ; 4-byte Folded Reload
	;; [unrolled: 1-line block ×4, first 2 shown]
	s_waitcnt vmcnt(0)
	ds_write2_b64 v102, v[104:105], v[106:107] offset0:14 offset1:15
	buffer_load_dword v104, off, s[24:27], 0 offset:16 ; 4-byte Folded Reload
	buffer_load_dword v105, off, s[24:27], 0 offset:20 ; 4-byte Folded Reload
	;; [unrolled: 1-line block ×4, first 2 shown]
	s_waitcnt vmcnt(0)
	ds_write2_b64 v102, v[104:105], v[106:107] offset0:16 offset1:17
	buffer_load_dword v104, off, s[24:27], 0 ; 4-byte Folded Reload
	buffer_load_dword v105, off, s[24:27], 0 offset:4 ; 4-byte Folded Reload
	buffer_load_dword v106, off, s[24:27], 0 offset:8 ; 4-byte Folded Reload
	;; [unrolled: 1-line block ×3, first 2 shown]
	s_waitcnt vmcnt(0)
	ds_write2_b64 v102, v[104:105], v[106:107] offset0:18 offset1:19
	ds_write2_b64 v102, v[93:94], v[95:96] offset0:20 offset1:21
	;; [unrolled: 1-line block ×26, first 2 shown]
	v_mov_b32_e32 v104, 6
.LBB68_144:
	s_or_b64 exec, exec, s[0:1]
	v_cmp_lt_i32_e32 vcc, 6, v104
	s_waitcnt vmcnt(0) lgkmcnt(0)
	s_barrier
	s_and_saveexec_b64 s[0:1], vcc
	s_cbranch_execz .LBB68_146
; %bb.145:
	buffer_load_dword v113, off, s[24:27], 0 offset:48 ; 4-byte Folded Reload
	buffer_load_dword v114, off, s[24:27], 0 offset:52 ; 4-byte Folded Reload
	;; [unrolled: 1-line block ×4, first 2 shown]
	s_waitcnt vmcnt(0)
	v_mul_f64 v[105:106], v[123:124], v[115:116]
	v_fma_f64 v[125:126], v[121:122], v[113:114], -v[105:106]
	v_mul_f64 v[105:106], v[121:122], v[115:116]
	v_fma_f64 v[115:116], v[123:124], v[113:114], v[105:106]
	ds_read2_b64 v[105:108], v102 offset0:14 offset1:15
	buffer_load_dword v111, off, s[24:27], 0 offset:32 ; 4-byte Folded Reload
	buffer_load_dword v112, off, s[24:27], 0 offset:36 ; 4-byte Folded Reload
	;; [unrolled: 1-line block ×4, first 2 shown]
	s_waitcnt lgkmcnt(0)
	v_mul_f64 v[109:110], v[107:108], v[115:116]
	v_fma_f64 v[109:110], v[105:106], v[125:126], -v[109:110]
	v_mul_f64 v[105:106], v[105:106], v[115:116]
	v_fma_f64 v[105:106], v[107:108], v[125:126], v[105:106]
	s_waitcnt vmcnt(2)
	v_add_f64 v[111:112], v[111:112], -v[109:110]
	s_waitcnt vmcnt(0)
	v_add_f64 v[113:114], v[113:114], -v[105:106]
	buffer_store_dword v111, off, s[24:27], 0 offset:32 ; 4-byte Folded Spill
	s_nop 0
	buffer_store_dword v112, off, s[24:27], 0 offset:36 ; 4-byte Folded Spill
	buffer_store_dword v113, off, s[24:27], 0 offset:40 ; 4-byte Folded Spill
	;; [unrolled: 1-line block ×3, first 2 shown]
	ds_read2_b64 v[105:108], v102 offset0:16 offset1:17
	buffer_load_dword v111, off, s[24:27], 0 offset:16 ; 4-byte Folded Reload
	buffer_load_dword v112, off, s[24:27], 0 offset:20 ; 4-byte Folded Reload
	;; [unrolled: 1-line block ×4, first 2 shown]
	s_waitcnt lgkmcnt(0)
	v_mul_f64 v[109:110], v[107:108], v[115:116]
	v_fma_f64 v[109:110], v[105:106], v[125:126], -v[109:110]
	v_mul_f64 v[105:106], v[105:106], v[115:116]
	v_fma_f64 v[105:106], v[107:108], v[125:126], v[105:106]
	s_waitcnt vmcnt(2)
	v_add_f64 v[111:112], v[111:112], -v[109:110]
	s_waitcnt vmcnt(0)
	v_add_f64 v[113:114], v[113:114], -v[105:106]
	buffer_store_dword v111, off, s[24:27], 0 offset:16 ; 4-byte Folded Spill
	s_nop 0
	buffer_store_dword v112, off, s[24:27], 0 offset:20 ; 4-byte Folded Spill
	buffer_store_dword v113, off, s[24:27], 0 offset:24 ; 4-byte Folded Spill
	;; [unrolled: 1-line block ×3, first 2 shown]
	ds_read2_b64 v[105:108], v102 offset0:18 offset1:19
	buffer_load_dword v111, off, s[24:27], 0 ; 4-byte Folded Reload
	buffer_load_dword v112, off, s[24:27], 0 offset:4 ; 4-byte Folded Reload
	buffer_load_dword v113, off, s[24:27], 0 offset:8 ; 4-byte Folded Reload
	buffer_load_dword v114, off, s[24:27], 0 offset:12 ; 4-byte Folded Reload
	s_waitcnt lgkmcnt(0)
	v_mul_f64 v[109:110], v[107:108], v[115:116]
	v_fma_f64 v[109:110], v[105:106], v[125:126], -v[109:110]
	v_mul_f64 v[105:106], v[105:106], v[115:116]
	v_fma_f64 v[105:106], v[107:108], v[125:126], v[105:106]
	s_waitcnt vmcnt(2)
	v_add_f64 v[111:112], v[111:112], -v[109:110]
	s_waitcnt vmcnt(0)
	v_add_f64 v[113:114], v[113:114], -v[105:106]
	buffer_store_dword v111, off, s[24:27], 0 ; 4-byte Folded Spill
	s_nop 0
	buffer_store_dword v112, off, s[24:27], 0 offset:4 ; 4-byte Folded Spill
	buffer_store_dword v113, off, s[24:27], 0 offset:8 ; 4-byte Folded Spill
	;; [unrolled: 1-line block ×3, first 2 shown]
	ds_read2_b64 v[105:108], v102 offset0:20 offset1:21
	v_mov_b32_e32 v113, v125
	v_mov_b32_e32 v114, v126
	s_waitcnt lgkmcnt(0)
	v_mul_f64 v[109:110], v[107:108], v[115:116]
	v_fma_f64 v[109:110], v[105:106], v[125:126], -v[109:110]
	v_mul_f64 v[105:106], v[105:106], v[115:116]
	v_add_f64 v[93:94], v[93:94], -v[109:110]
	v_fma_f64 v[105:106], v[107:108], v[125:126], v[105:106]
	v_add_f64 v[95:96], v[95:96], -v[105:106]
	ds_read2_b64 v[105:108], v102 offset0:22 offset1:23
	s_waitcnt lgkmcnt(0)
	v_mul_f64 v[109:110], v[107:108], v[115:116]
	v_fma_f64 v[109:110], v[105:106], v[125:126], -v[109:110]
	v_mul_f64 v[105:106], v[105:106], v[115:116]
	v_add_f64 v[89:90], v[89:90], -v[109:110]
	v_fma_f64 v[105:106], v[107:108], v[125:126], v[105:106]
	v_add_f64 v[91:92], v[91:92], -v[105:106]
	ds_read2_b64 v[105:108], v102 offset0:24 offset1:25
	;; [unrolled: 8-line block ×24, first 2 shown]
	s_waitcnt lgkmcnt(0)
	v_mul_f64 v[109:110], v[107:108], v[115:116]
	v_fma_f64 v[109:110], v[105:106], v[125:126], -v[109:110]
	v_mul_f64 v[105:106], v[105:106], v[115:116]
	buffer_store_dword v113, off, s[24:27], 0 offset:48 ; 4-byte Folded Spill
	s_nop 0
	buffer_store_dword v114, off, s[24:27], 0 offset:52 ; 4-byte Folded Spill
	buffer_store_dword v115, off, s[24:27], 0 offset:56 ; 4-byte Folded Spill
	;; [unrolled: 1-line block ×3, first 2 shown]
	v_add_f64 v[97:98], v[97:98], -v[109:110]
	v_fma_f64 v[105:106], v[107:108], v[125:126], v[105:106]
	v_add_f64 v[99:100], v[99:100], -v[105:106]
.LBB68_146:
	s_or_b64 exec, exec, s[0:1]
	s_waitcnt vmcnt(0)
	s_barrier
	buffer_load_dword v106, off, s[24:27], 0 offset:32 ; 4-byte Folded Reload
	buffer_load_dword v107, off, s[24:27], 0 offset:36 ; 4-byte Folded Reload
	buffer_load_dword v108, off, s[24:27], 0 offset:40 ; 4-byte Folded Reload
	buffer_load_dword v109, off, s[24:27], 0 offset:44 ; 4-byte Folded Reload
	v_lshl_add_u32 v105, v104, 4, v102
	s_cmp_lt_i32 s3, 9
	s_waitcnt vmcnt(0)
	ds_write2_b64 v105, v[106:107], v[108:109] offset1:1
	s_waitcnt lgkmcnt(0)
	s_barrier
	ds_read2_b64 v[121:124], v102 offset0:14 offset1:15
	v_mov_b32_e32 v105, 7
	s_cbranch_scc1 .LBB68_149
; %bb.147:
	v_add_u32_e32 v106, 0x80, v102
	s_mov_b32 s0, 8
	v_mov_b32_e32 v105, 7
.LBB68_148:                             ; =>This Inner Loop Header: Depth=1
	s_waitcnt lgkmcnt(0)
	v_cmp_gt_f64_e32 vcc, 0, v[121:122]
	v_xor_b32_e32 v111, 0x80000000, v122
	ds_read2_b64 v[107:110], v106 offset1:1
	v_xor_b32_e32 v113, 0x80000000, v124
	v_add_u32_e32 v106, 16, v106
	s_waitcnt lgkmcnt(0)
	v_xor_b32_e32 v115, 0x80000000, v110
	v_cndmask_b32_e32 v112, v122, v111, vcc
	v_cmp_gt_f64_e32 vcc, 0, v[123:124]
	v_mov_b32_e32 v111, v121
	v_cndmask_b32_e32 v114, v124, v113, vcc
	v_cmp_gt_f64_e32 vcc, 0, v[107:108]
	v_mov_b32_e32 v113, v123
	v_add_f64 v[111:112], v[111:112], v[113:114]
	v_xor_b32_e32 v113, 0x80000000, v108
	v_cndmask_b32_e32 v114, v108, v113, vcc
	v_cmp_gt_f64_e32 vcc, 0, v[109:110]
	v_mov_b32_e32 v113, v107
	v_cndmask_b32_e32 v116, v110, v115, vcc
	v_mov_b32_e32 v115, v109
	v_add_f64 v[113:114], v[113:114], v[115:116]
	v_cmp_lt_f64_e32 vcc, v[111:112], v[113:114]
	v_cndmask_b32_e32 v121, v121, v107, vcc
	v_mov_b32_e32 v107, s0
	s_add_i32 s0, s0, 1
	v_cndmask_b32_e32 v122, v122, v108, vcc
	v_cndmask_b32_e32 v124, v124, v110, vcc
	;; [unrolled: 1-line block ×4, first 2 shown]
	s_cmp_lg_u32 s3, s0
	s_cbranch_scc1 .LBB68_148
.LBB68_149:
	s_waitcnt lgkmcnt(0)
	v_cmp_eq_f64_e32 vcc, 0, v[121:122]
	v_cmp_eq_f64_e64 s[0:1], 0, v[123:124]
	s_and_b64 s[0:1], vcc, s[0:1]
	s_and_saveexec_b64 s[18:19], s[0:1]
	s_xor_b64 s[0:1], exec, s[18:19]
; %bb.150:
	v_cmp_ne_u32_e32 vcc, 0, v103
	v_cndmask_b32_e32 v103, 8, v103, vcc
; %bb.151:
	s_andn2_saveexec_b64 s[0:1], s[0:1]
	s_cbranch_execz .LBB68_157
; %bb.152:
	v_cmp_ngt_f64_e64 s[18:19], |v[121:122]|, |v[123:124]|
	s_and_saveexec_b64 s[20:21], s[18:19]
	s_xor_b64 s[18:19], exec, s[20:21]
	s_cbranch_execz .LBB68_154
; %bb.153:
	v_div_scale_f64 v[106:107], s[20:21], v[123:124], v[123:124], v[121:122]
	v_rcp_f64_e32 v[108:109], v[106:107]
	v_fma_f64 v[110:111], -v[106:107], v[108:109], 1.0
	v_fma_f64 v[108:109], v[108:109], v[110:111], v[108:109]
	v_div_scale_f64 v[110:111], vcc, v[121:122], v[123:124], v[121:122]
	v_fma_f64 v[112:113], -v[106:107], v[108:109], 1.0
	v_fma_f64 v[108:109], v[108:109], v[112:113], v[108:109]
	v_mul_f64 v[112:113], v[110:111], v[108:109]
	v_fma_f64 v[106:107], -v[106:107], v[112:113], v[110:111]
	v_div_fmas_f64 v[106:107], v[106:107], v[108:109], v[112:113]
	v_div_fixup_f64 v[106:107], v[106:107], v[123:124], v[121:122]
	v_fma_f64 v[108:109], v[121:122], v[106:107], v[123:124]
	v_div_scale_f64 v[110:111], s[20:21], v[108:109], v[108:109], 1.0
	v_div_scale_f64 v[116:117], vcc, 1.0, v[108:109], 1.0
	v_rcp_f64_e32 v[112:113], v[110:111]
	v_fma_f64 v[114:115], -v[110:111], v[112:113], 1.0
	v_fma_f64 v[112:113], v[112:113], v[114:115], v[112:113]
	v_fma_f64 v[114:115], -v[110:111], v[112:113], 1.0
	v_fma_f64 v[112:113], v[112:113], v[114:115], v[112:113]
	v_mul_f64 v[114:115], v[116:117], v[112:113]
	v_fma_f64 v[110:111], -v[110:111], v[114:115], v[116:117]
	v_div_fmas_f64 v[110:111], v[110:111], v[112:113], v[114:115]
	v_div_fixup_f64 v[123:124], v[110:111], v[108:109], 1.0
	v_mul_f64 v[121:122], v[106:107], v[123:124]
	v_xor_b32_e32 v124, 0x80000000, v124
.LBB68_154:
	s_andn2_saveexec_b64 s[18:19], s[18:19]
	s_cbranch_execz .LBB68_156
; %bb.155:
	v_div_scale_f64 v[106:107], s[20:21], v[121:122], v[121:122], v[123:124]
	v_rcp_f64_e32 v[108:109], v[106:107]
	v_fma_f64 v[110:111], -v[106:107], v[108:109], 1.0
	v_fma_f64 v[108:109], v[108:109], v[110:111], v[108:109]
	v_div_scale_f64 v[110:111], vcc, v[123:124], v[121:122], v[123:124]
	v_fma_f64 v[112:113], -v[106:107], v[108:109], 1.0
	v_fma_f64 v[108:109], v[108:109], v[112:113], v[108:109]
	v_mul_f64 v[112:113], v[110:111], v[108:109]
	v_fma_f64 v[106:107], -v[106:107], v[112:113], v[110:111]
	v_div_fmas_f64 v[106:107], v[106:107], v[108:109], v[112:113]
	v_div_fixup_f64 v[106:107], v[106:107], v[121:122], v[123:124]
	v_fma_f64 v[108:109], v[123:124], v[106:107], v[121:122]
	v_div_scale_f64 v[110:111], s[20:21], v[108:109], v[108:109], 1.0
	v_div_scale_f64 v[116:117], vcc, 1.0, v[108:109], 1.0
	v_rcp_f64_e32 v[112:113], v[110:111]
	v_fma_f64 v[114:115], -v[110:111], v[112:113], 1.0
	v_fma_f64 v[112:113], v[112:113], v[114:115], v[112:113]
	v_fma_f64 v[114:115], -v[110:111], v[112:113], 1.0
	v_fma_f64 v[112:113], v[112:113], v[114:115], v[112:113]
	v_mul_f64 v[114:115], v[116:117], v[112:113]
	v_fma_f64 v[110:111], -v[110:111], v[114:115], v[116:117]
	v_div_fmas_f64 v[110:111], v[110:111], v[112:113], v[114:115]
	v_div_fixup_f64 v[121:122], v[110:111], v[108:109], 1.0
	v_mul_f64 v[123:124], v[106:107], -v[121:122]
.LBB68_156:
	s_or_b64 exec, exec, s[18:19]
.LBB68_157:
	s_or_b64 exec, exec, s[0:1]
	v_cmp_ne_u32_e32 vcc, v104, v105
	s_and_saveexec_b64 s[0:1], vcc
	s_xor_b64 s[0:1], exec, s[0:1]
	s_cbranch_execz .LBB68_163
; %bb.158:
	v_cmp_eq_u32_e32 vcc, 7, v104
	s_and_saveexec_b64 s[18:19], vcc
	s_cbranch_execz .LBB68_162
; %bb.159:
	v_cmp_ne_u32_e32 vcc, 7, v105
	s_xor_b64 s[20:21], s[6:7], -1
	s_and_b64 s[22:23], s[20:21], vcc
	s_and_saveexec_b64 s[20:21], s[22:23]
	s_cbranch_execz .LBB68_161
; %bb.160:
	v_ashrrev_i32_e32 v106, 31, v105
	v_lshlrev_b64 v[106:107], 2, v[105:106]
	v_add_co_u32_e32 v106, vcc, v119, v106
	v_addc_co_u32_e32 v107, vcc, v120, v107, vcc
	global_load_dword v0, v[106:107], off
	global_load_dword v104, v[119:120], off offset:28
	s_waitcnt vmcnt(1)
	global_store_dword v[119:120], v0, off offset:28
	s_waitcnt vmcnt(1)
	global_store_dword v[106:107], v104, off
.LBB68_161:
	s_or_b64 exec, exec, s[20:21]
	v_mov_b32_e32 v104, v105
	v_mov_b32_e32 v0, v105
.LBB68_162:
	s_or_b64 exec, exec, s[18:19]
.LBB68_163:
	s_andn2_saveexec_b64 s[0:1], s[0:1]
	s_cbranch_execz .LBB68_165
; %bb.164:
	buffer_load_dword v104, off, s[24:27], 0 offset:16 ; 4-byte Folded Reload
	buffer_load_dword v105, off, s[24:27], 0 offset:20 ; 4-byte Folded Reload
	;; [unrolled: 1-line block ×4, first 2 shown]
	s_waitcnt vmcnt(0)
	ds_write2_b64 v102, v[104:105], v[106:107] offset0:16 offset1:17
	buffer_load_dword v104, off, s[24:27], 0 ; 4-byte Folded Reload
	buffer_load_dword v105, off, s[24:27], 0 offset:4 ; 4-byte Folded Reload
	buffer_load_dword v106, off, s[24:27], 0 offset:8 ; 4-byte Folded Reload
	;; [unrolled: 1-line block ×3, first 2 shown]
	s_waitcnt vmcnt(0)
	ds_write2_b64 v102, v[104:105], v[106:107] offset0:18 offset1:19
	ds_write2_b64 v102, v[93:94], v[95:96] offset0:20 offset1:21
	;; [unrolled: 1-line block ×26, first 2 shown]
	v_mov_b32_e32 v104, 7
.LBB68_165:
	s_or_b64 exec, exec, s[0:1]
	v_cmp_lt_i32_e32 vcc, 7, v104
	s_waitcnt vmcnt(0) lgkmcnt(0)
	s_barrier
	s_and_saveexec_b64 s[0:1], vcc
	s_cbranch_execz .LBB68_167
; %bb.166:
	buffer_load_dword v113, off, s[24:27], 0 offset:32 ; 4-byte Folded Reload
	buffer_load_dword v114, off, s[24:27], 0 offset:36 ; 4-byte Folded Reload
	;; [unrolled: 1-line block ×4, first 2 shown]
	s_waitcnt vmcnt(0)
	v_mul_f64 v[105:106], v[123:124], v[115:116]
	v_fma_f64 v[125:126], v[121:122], v[113:114], -v[105:106]
	v_mul_f64 v[105:106], v[121:122], v[115:116]
	v_fma_f64 v[115:116], v[123:124], v[113:114], v[105:106]
	ds_read2_b64 v[105:108], v102 offset0:16 offset1:17
	buffer_load_dword v111, off, s[24:27], 0 offset:16 ; 4-byte Folded Reload
	buffer_load_dword v112, off, s[24:27], 0 offset:20 ; 4-byte Folded Reload
	;; [unrolled: 1-line block ×4, first 2 shown]
	s_waitcnt lgkmcnt(0)
	v_mul_f64 v[109:110], v[107:108], v[115:116]
	v_fma_f64 v[109:110], v[105:106], v[125:126], -v[109:110]
	v_mul_f64 v[105:106], v[105:106], v[115:116]
	v_fma_f64 v[105:106], v[107:108], v[125:126], v[105:106]
	s_waitcnt vmcnt(2)
	v_add_f64 v[111:112], v[111:112], -v[109:110]
	s_waitcnt vmcnt(0)
	v_add_f64 v[113:114], v[113:114], -v[105:106]
	buffer_store_dword v111, off, s[24:27], 0 offset:16 ; 4-byte Folded Spill
	s_nop 0
	buffer_store_dword v112, off, s[24:27], 0 offset:20 ; 4-byte Folded Spill
	buffer_store_dword v113, off, s[24:27], 0 offset:24 ; 4-byte Folded Spill
	;; [unrolled: 1-line block ×3, first 2 shown]
	ds_read2_b64 v[105:108], v102 offset0:18 offset1:19
	buffer_load_dword v111, off, s[24:27], 0 ; 4-byte Folded Reload
	buffer_load_dword v112, off, s[24:27], 0 offset:4 ; 4-byte Folded Reload
	buffer_load_dword v113, off, s[24:27], 0 offset:8 ; 4-byte Folded Reload
	;; [unrolled: 1-line block ×3, first 2 shown]
	s_waitcnt lgkmcnt(0)
	v_mul_f64 v[109:110], v[107:108], v[115:116]
	v_fma_f64 v[109:110], v[105:106], v[125:126], -v[109:110]
	v_mul_f64 v[105:106], v[105:106], v[115:116]
	v_fma_f64 v[105:106], v[107:108], v[125:126], v[105:106]
	s_waitcnt vmcnt(2)
	v_add_f64 v[111:112], v[111:112], -v[109:110]
	s_waitcnt vmcnt(0)
	v_add_f64 v[113:114], v[113:114], -v[105:106]
	buffer_store_dword v111, off, s[24:27], 0 ; 4-byte Folded Spill
	s_nop 0
	buffer_store_dword v112, off, s[24:27], 0 offset:4 ; 4-byte Folded Spill
	buffer_store_dword v113, off, s[24:27], 0 offset:8 ; 4-byte Folded Spill
	;; [unrolled: 1-line block ×3, first 2 shown]
	ds_read2_b64 v[105:108], v102 offset0:20 offset1:21
	v_mov_b32_e32 v113, v125
	v_mov_b32_e32 v114, v126
	s_waitcnt lgkmcnt(0)
	v_mul_f64 v[109:110], v[107:108], v[115:116]
	v_fma_f64 v[109:110], v[105:106], v[125:126], -v[109:110]
	v_mul_f64 v[105:106], v[105:106], v[115:116]
	v_add_f64 v[93:94], v[93:94], -v[109:110]
	v_fma_f64 v[105:106], v[107:108], v[125:126], v[105:106]
	v_add_f64 v[95:96], v[95:96], -v[105:106]
	ds_read2_b64 v[105:108], v102 offset0:22 offset1:23
	s_waitcnt lgkmcnt(0)
	v_mul_f64 v[109:110], v[107:108], v[115:116]
	v_fma_f64 v[109:110], v[105:106], v[125:126], -v[109:110]
	v_mul_f64 v[105:106], v[105:106], v[115:116]
	v_add_f64 v[89:90], v[89:90], -v[109:110]
	v_fma_f64 v[105:106], v[107:108], v[125:126], v[105:106]
	v_add_f64 v[91:92], v[91:92], -v[105:106]
	ds_read2_b64 v[105:108], v102 offset0:24 offset1:25
	;; [unrolled: 8-line block ×24, first 2 shown]
	s_waitcnt lgkmcnt(0)
	v_mul_f64 v[109:110], v[107:108], v[115:116]
	v_fma_f64 v[109:110], v[105:106], v[125:126], -v[109:110]
	v_mul_f64 v[105:106], v[105:106], v[115:116]
	buffer_store_dword v113, off, s[24:27], 0 offset:32 ; 4-byte Folded Spill
	s_nop 0
	buffer_store_dword v114, off, s[24:27], 0 offset:36 ; 4-byte Folded Spill
	buffer_store_dword v115, off, s[24:27], 0 offset:40 ; 4-byte Folded Spill
	;; [unrolled: 1-line block ×3, first 2 shown]
	v_add_f64 v[97:98], v[97:98], -v[109:110]
	v_fma_f64 v[105:106], v[107:108], v[125:126], v[105:106]
	v_add_f64 v[99:100], v[99:100], -v[105:106]
.LBB68_167:
	s_or_b64 exec, exec, s[0:1]
	s_waitcnt vmcnt(0)
	s_barrier
	buffer_load_dword v106, off, s[24:27], 0 offset:16 ; 4-byte Folded Reload
	buffer_load_dword v107, off, s[24:27], 0 offset:20 ; 4-byte Folded Reload
	;; [unrolled: 1-line block ×4, first 2 shown]
	v_lshl_add_u32 v105, v104, 4, v102
	s_cmp_lt_i32 s3, 10
	s_waitcnt vmcnt(0)
	ds_write2_b64 v105, v[106:107], v[108:109] offset1:1
	s_waitcnt lgkmcnt(0)
	s_barrier
	ds_read2_b64 v[121:124], v102 offset0:16 offset1:17
	v_mov_b32_e32 v105, 8
	s_cbranch_scc1 .LBB68_170
; %bb.168:
	v_add_u32_e32 v106, 0x90, v102
	s_mov_b32 s0, 9
	v_mov_b32_e32 v105, 8
.LBB68_169:                             ; =>This Inner Loop Header: Depth=1
	s_waitcnt lgkmcnt(0)
	v_cmp_gt_f64_e32 vcc, 0, v[121:122]
	v_xor_b32_e32 v111, 0x80000000, v122
	ds_read2_b64 v[107:110], v106 offset1:1
	v_xor_b32_e32 v113, 0x80000000, v124
	v_add_u32_e32 v106, 16, v106
	s_waitcnt lgkmcnt(0)
	v_xor_b32_e32 v115, 0x80000000, v110
	v_cndmask_b32_e32 v112, v122, v111, vcc
	v_cmp_gt_f64_e32 vcc, 0, v[123:124]
	v_mov_b32_e32 v111, v121
	v_cndmask_b32_e32 v114, v124, v113, vcc
	v_cmp_gt_f64_e32 vcc, 0, v[107:108]
	v_mov_b32_e32 v113, v123
	v_add_f64 v[111:112], v[111:112], v[113:114]
	v_xor_b32_e32 v113, 0x80000000, v108
	v_cndmask_b32_e32 v114, v108, v113, vcc
	v_cmp_gt_f64_e32 vcc, 0, v[109:110]
	v_mov_b32_e32 v113, v107
	v_cndmask_b32_e32 v116, v110, v115, vcc
	v_mov_b32_e32 v115, v109
	v_add_f64 v[113:114], v[113:114], v[115:116]
	v_cmp_lt_f64_e32 vcc, v[111:112], v[113:114]
	v_cndmask_b32_e32 v121, v121, v107, vcc
	v_mov_b32_e32 v107, s0
	s_add_i32 s0, s0, 1
	v_cndmask_b32_e32 v122, v122, v108, vcc
	v_cndmask_b32_e32 v124, v124, v110, vcc
	;; [unrolled: 1-line block ×4, first 2 shown]
	s_cmp_lg_u32 s3, s0
	s_cbranch_scc1 .LBB68_169
.LBB68_170:
	s_waitcnt lgkmcnt(0)
	v_cmp_eq_f64_e32 vcc, 0, v[121:122]
	v_cmp_eq_f64_e64 s[0:1], 0, v[123:124]
	s_and_b64 s[0:1], vcc, s[0:1]
	s_and_saveexec_b64 s[18:19], s[0:1]
	s_xor_b64 s[0:1], exec, s[18:19]
; %bb.171:
	v_cmp_ne_u32_e32 vcc, 0, v103
	v_cndmask_b32_e32 v103, 9, v103, vcc
; %bb.172:
	s_andn2_saveexec_b64 s[0:1], s[0:1]
	s_cbranch_execz .LBB68_178
; %bb.173:
	v_cmp_ngt_f64_e64 s[18:19], |v[121:122]|, |v[123:124]|
	s_and_saveexec_b64 s[20:21], s[18:19]
	s_xor_b64 s[18:19], exec, s[20:21]
	s_cbranch_execz .LBB68_175
; %bb.174:
	v_div_scale_f64 v[106:107], s[20:21], v[123:124], v[123:124], v[121:122]
	v_rcp_f64_e32 v[108:109], v[106:107]
	v_fma_f64 v[110:111], -v[106:107], v[108:109], 1.0
	v_fma_f64 v[108:109], v[108:109], v[110:111], v[108:109]
	v_div_scale_f64 v[110:111], vcc, v[121:122], v[123:124], v[121:122]
	v_fma_f64 v[112:113], -v[106:107], v[108:109], 1.0
	v_fma_f64 v[108:109], v[108:109], v[112:113], v[108:109]
	v_mul_f64 v[112:113], v[110:111], v[108:109]
	v_fma_f64 v[106:107], -v[106:107], v[112:113], v[110:111]
	v_div_fmas_f64 v[106:107], v[106:107], v[108:109], v[112:113]
	v_div_fixup_f64 v[106:107], v[106:107], v[123:124], v[121:122]
	v_fma_f64 v[108:109], v[121:122], v[106:107], v[123:124]
	v_div_scale_f64 v[110:111], s[20:21], v[108:109], v[108:109], 1.0
	v_div_scale_f64 v[116:117], vcc, 1.0, v[108:109], 1.0
	v_rcp_f64_e32 v[112:113], v[110:111]
	v_fma_f64 v[114:115], -v[110:111], v[112:113], 1.0
	v_fma_f64 v[112:113], v[112:113], v[114:115], v[112:113]
	v_fma_f64 v[114:115], -v[110:111], v[112:113], 1.0
	v_fma_f64 v[112:113], v[112:113], v[114:115], v[112:113]
	v_mul_f64 v[114:115], v[116:117], v[112:113]
	v_fma_f64 v[110:111], -v[110:111], v[114:115], v[116:117]
	v_div_fmas_f64 v[110:111], v[110:111], v[112:113], v[114:115]
	v_div_fixup_f64 v[123:124], v[110:111], v[108:109], 1.0
	v_mul_f64 v[121:122], v[106:107], v[123:124]
	v_xor_b32_e32 v124, 0x80000000, v124
.LBB68_175:
	s_andn2_saveexec_b64 s[18:19], s[18:19]
	s_cbranch_execz .LBB68_177
; %bb.176:
	v_div_scale_f64 v[106:107], s[20:21], v[121:122], v[121:122], v[123:124]
	v_rcp_f64_e32 v[108:109], v[106:107]
	v_fma_f64 v[110:111], -v[106:107], v[108:109], 1.0
	v_fma_f64 v[108:109], v[108:109], v[110:111], v[108:109]
	v_div_scale_f64 v[110:111], vcc, v[123:124], v[121:122], v[123:124]
	v_fma_f64 v[112:113], -v[106:107], v[108:109], 1.0
	v_fma_f64 v[108:109], v[108:109], v[112:113], v[108:109]
	v_mul_f64 v[112:113], v[110:111], v[108:109]
	v_fma_f64 v[106:107], -v[106:107], v[112:113], v[110:111]
	v_div_fmas_f64 v[106:107], v[106:107], v[108:109], v[112:113]
	v_div_fixup_f64 v[106:107], v[106:107], v[121:122], v[123:124]
	v_fma_f64 v[108:109], v[123:124], v[106:107], v[121:122]
	v_div_scale_f64 v[110:111], s[20:21], v[108:109], v[108:109], 1.0
	v_div_scale_f64 v[116:117], vcc, 1.0, v[108:109], 1.0
	v_rcp_f64_e32 v[112:113], v[110:111]
	v_fma_f64 v[114:115], -v[110:111], v[112:113], 1.0
	v_fma_f64 v[112:113], v[112:113], v[114:115], v[112:113]
	v_fma_f64 v[114:115], -v[110:111], v[112:113], 1.0
	v_fma_f64 v[112:113], v[112:113], v[114:115], v[112:113]
	v_mul_f64 v[114:115], v[116:117], v[112:113]
	v_fma_f64 v[110:111], -v[110:111], v[114:115], v[116:117]
	v_div_fmas_f64 v[110:111], v[110:111], v[112:113], v[114:115]
	v_div_fixup_f64 v[121:122], v[110:111], v[108:109], 1.0
	v_mul_f64 v[123:124], v[106:107], -v[121:122]
.LBB68_177:
	s_or_b64 exec, exec, s[18:19]
.LBB68_178:
	s_or_b64 exec, exec, s[0:1]
	v_cmp_ne_u32_e32 vcc, v104, v105
	s_and_saveexec_b64 s[0:1], vcc
	s_xor_b64 s[0:1], exec, s[0:1]
	s_cbranch_execz .LBB68_184
; %bb.179:
	v_cmp_eq_u32_e32 vcc, 8, v104
	s_and_saveexec_b64 s[18:19], vcc
	s_cbranch_execz .LBB68_183
; %bb.180:
	v_cmp_ne_u32_e32 vcc, 8, v105
	s_xor_b64 s[20:21], s[6:7], -1
	s_and_b64 s[22:23], s[20:21], vcc
	s_and_saveexec_b64 s[20:21], s[22:23]
	s_cbranch_execz .LBB68_182
; %bb.181:
	v_ashrrev_i32_e32 v106, 31, v105
	v_lshlrev_b64 v[106:107], 2, v[105:106]
	v_add_co_u32_e32 v106, vcc, v119, v106
	v_addc_co_u32_e32 v107, vcc, v120, v107, vcc
	global_load_dword v0, v[106:107], off
	global_load_dword v104, v[119:120], off offset:32
	s_waitcnt vmcnt(1)
	global_store_dword v[119:120], v0, off offset:32
	s_waitcnt vmcnt(1)
	global_store_dword v[106:107], v104, off
.LBB68_182:
	s_or_b64 exec, exec, s[20:21]
	v_mov_b32_e32 v104, v105
	v_mov_b32_e32 v0, v105
.LBB68_183:
	s_or_b64 exec, exec, s[18:19]
.LBB68_184:
	s_andn2_saveexec_b64 s[0:1], s[0:1]
	s_cbranch_execz .LBB68_186
; %bb.185:
	buffer_load_dword v104, off, s[24:27], 0 ; 4-byte Folded Reload
	buffer_load_dword v105, off, s[24:27], 0 offset:4 ; 4-byte Folded Reload
	buffer_load_dword v106, off, s[24:27], 0 offset:8 ; 4-byte Folded Reload
	;; [unrolled: 1-line block ×3, first 2 shown]
	s_waitcnt vmcnt(0)
	ds_write2_b64 v102, v[104:105], v[106:107] offset0:18 offset1:19
	ds_write2_b64 v102, v[93:94], v[95:96] offset0:20 offset1:21
	;; [unrolled: 1-line block ×26, first 2 shown]
	v_mov_b32_e32 v104, 8
.LBB68_186:
	s_or_b64 exec, exec, s[0:1]
	v_cmp_lt_i32_e32 vcc, 8, v104
	s_waitcnt vmcnt(0) lgkmcnt(0)
	s_barrier
	s_and_saveexec_b64 s[0:1], vcc
	s_cbranch_execz .LBB68_188
; %bb.187:
	buffer_load_dword v113, off, s[24:27], 0 offset:16 ; 4-byte Folded Reload
	buffer_load_dword v114, off, s[24:27], 0 offset:20 ; 4-byte Folded Reload
	;; [unrolled: 1-line block ×4, first 2 shown]
	s_waitcnt vmcnt(0)
	v_mul_f64 v[105:106], v[123:124], v[115:116]
	v_fma_f64 v[125:126], v[121:122], v[113:114], -v[105:106]
	v_mul_f64 v[105:106], v[121:122], v[115:116]
	v_fma_f64 v[115:116], v[123:124], v[113:114], v[105:106]
	ds_read2_b64 v[105:108], v102 offset0:18 offset1:19
	buffer_load_dword v111, off, s[24:27], 0 ; 4-byte Folded Reload
	buffer_load_dword v112, off, s[24:27], 0 offset:4 ; 4-byte Folded Reload
	buffer_load_dword v113, off, s[24:27], 0 offset:8 ; 4-byte Folded Reload
	;; [unrolled: 1-line block ×3, first 2 shown]
	s_waitcnt lgkmcnt(0)
	v_mul_f64 v[109:110], v[107:108], v[115:116]
	v_fma_f64 v[109:110], v[105:106], v[125:126], -v[109:110]
	v_mul_f64 v[105:106], v[105:106], v[115:116]
	v_fma_f64 v[105:106], v[107:108], v[125:126], v[105:106]
	s_waitcnt vmcnt(2)
	v_add_f64 v[111:112], v[111:112], -v[109:110]
	s_waitcnt vmcnt(0)
	v_add_f64 v[113:114], v[113:114], -v[105:106]
	buffer_store_dword v111, off, s[24:27], 0 ; 4-byte Folded Spill
	s_nop 0
	buffer_store_dword v112, off, s[24:27], 0 offset:4 ; 4-byte Folded Spill
	buffer_store_dword v113, off, s[24:27], 0 offset:8 ; 4-byte Folded Spill
	;; [unrolled: 1-line block ×3, first 2 shown]
	ds_read2_b64 v[105:108], v102 offset0:20 offset1:21
	v_mov_b32_e32 v113, v125
	v_mov_b32_e32 v114, v126
	s_waitcnt lgkmcnt(0)
	v_mul_f64 v[109:110], v[107:108], v[115:116]
	v_fma_f64 v[109:110], v[105:106], v[125:126], -v[109:110]
	v_mul_f64 v[105:106], v[105:106], v[115:116]
	v_add_f64 v[93:94], v[93:94], -v[109:110]
	v_fma_f64 v[105:106], v[107:108], v[125:126], v[105:106]
	v_add_f64 v[95:96], v[95:96], -v[105:106]
	ds_read2_b64 v[105:108], v102 offset0:22 offset1:23
	s_waitcnt lgkmcnt(0)
	v_mul_f64 v[109:110], v[107:108], v[115:116]
	v_fma_f64 v[109:110], v[105:106], v[125:126], -v[109:110]
	v_mul_f64 v[105:106], v[105:106], v[115:116]
	v_add_f64 v[89:90], v[89:90], -v[109:110]
	v_fma_f64 v[105:106], v[107:108], v[125:126], v[105:106]
	v_add_f64 v[91:92], v[91:92], -v[105:106]
	ds_read2_b64 v[105:108], v102 offset0:24 offset1:25
	s_waitcnt lgkmcnt(0)
	v_mul_f64 v[109:110], v[107:108], v[115:116]
	v_fma_f64 v[109:110], v[105:106], v[125:126], -v[109:110]
	v_mul_f64 v[105:106], v[105:106], v[115:116]
	v_add_f64 v[85:86], v[85:86], -v[109:110]
	v_fma_f64 v[105:106], v[107:108], v[125:126], v[105:106]
	v_add_f64 v[87:88], v[87:88], -v[105:106]
	ds_read2_b64 v[105:108], v102 offset0:26 offset1:27
	s_waitcnt lgkmcnt(0)
	v_mul_f64 v[109:110], v[107:108], v[115:116]
	v_fma_f64 v[109:110], v[105:106], v[125:126], -v[109:110]
	v_mul_f64 v[105:106], v[105:106], v[115:116]
	v_add_f64 v[81:82], v[81:82], -v[109:110]
	v_fma_f64 v[105:106], v[107:108], v[125:126], v[105:106]
	v_add_f64 v[83:84], v[83:84], -v[105:106]
	ds_read2_b64 v[105:108], v102 offset0:28 offset1:29
	s_waitcnt lgkmcnt(0)
	v_mul_f64 v[109:110], v[107:108], v[115:116]
	v_fma_f64 v[109:110], v[105:106], v[125:126], -v[109:110]
	v_mul_f64 v[105:106], v[105:106], v[115:116]
	v_add_f64 v[77:78], v[77:78], -v[109:110]
	v_fma_f64 v[105:106], v[107:108], v[125:126], v[105:106]
	v_add_f64 v[79:80], v[79:80], -v[105:106]
	ds_read2_b64 v[105:108], v102 offset0:30 offset1:31
	s_waitcnt lgkmcnt(0)
	v_mul_f64 v[109:110], v[107:108], v[115:116]
	v_fma_f64 v[109:110], v[105:106], v[125:126], -v[109:110]
	v_mul_f64 v[105:106], v[105:106], v[115:116]
	v_add_f64 v[73:74], v[73:74], -v[109:110]
	v_fma_f64 v[105:106], v[107:108], v[125:126], v[105:106]
	v_add_f64 v[75:76], v[75:76], -v[105:106]
	ds_read2_b64 v[105:108], v102 offset0:32 offset1:33
	s_waitcnt lgkmcnt(0)
	v_mul_f64 v[109:110], v[107:108], v[115:116]
	v_fma_f64 v[109:110], v[105:106], v[125:126], -v[109:110]
	v_mul_f64 v[105:106], v[105:106], v[115:116]
	v_add_f64 v[69:70], v[69:70], -v[109:110]
	v_fma_f64 v[105:106], v[107:108], v[125:126], v[105:106]
	v_add_f64 v[71:72], v[71:72], -v[105:106]
	ds_read2_b64 v[105:108], v102 offset0:34 offset1:35
	s_waitcnt lgkmcnt(0)
	v_mul_f64 v[109:110], v[107:108], v[115:116]
	v_fma_f64 v[109:110], v[105:106], v[125:126], -v[109:110]
	v_mul_f64 v[105:106], v[105:106], v[115:116]
	v_add_f64 v[65:66], v[65:66], -v[109:110]
	v_fma_f64 v[105:106], v[107:108], v[125:126], v[105:106]
	v_add_f64 v[67:68], v[67:68], -v[105:106]
	ds_read2_b64 v[105:108], v102 offset0:36 offset1:37
	s_waitcnt lgkmcnt(0)
	v_mul_f64 v[109:110], v[107:108], v[115:116]
	v_fma_f64 v[109:110], v[105:106], v[125:126], -v[109:110]
	v_mul_f64 v[105:106], v[105:106], v[115:116]
	v_add_f64 v[61:62], v[61:62], -v[109:110]
	v_fma_f64 v[105:106], v[107:108], v[125:126], v[105:106]
	v_add_f64 v[63:64], v[63:64], -v[105:106]
	ds_read2_b64 v[105:108], v102 offset0:38 offset1:39
	s_waitcnt lgkmcnt(0)
	v_mul_f64 v[109:110], v[107:108], v[115:116]
	v_fma_f64 v[109:110], v[105:106], v[125:126], -v[109:110]
	v_mul_f64 v[105:106], v[105:106], v[115:116]
	v_add_f64 v[57:58], v[57:58], -v[109:110]
	v_fma_f64 v[105:106], v[107:108], v[125:126], v[105:106]
	v_add_f64 v[59:60], v[59:60], -v[105:106]
	ds_read2_b64 v[105:108], v102 offset0:40 offset1:41
	s_waitcnt lgkmcnt(0)
	v_mul_f64 v[109:110], v[107:108], v[115:116]
	v_fma_f64 v[109:110], v[105:106], v[125:126], -v[109:110]
	v_mul_f64 v[105:106], v[105:106], v[115:116]
	v_add_f64 v[53:54], v[53:54], -v[109:110]
	v_fma_f64 v[105:106], v[107:108], v[125:126], v[105:106]
	v_add_f64 v[55:56], v[55:56], -v[105:106]
	ds_read2_b64 v[105:108], v102 offset0:42 offset1:43
	s_waitcnt lgkmcnt(0)
	v_mul_f64 v[109:110], v[107:108], v[115:116]
	v_fma_f64 v[109:110], v[105:106], v[125:126], -v[109:110]
	v_mul_f64 v[105:106], v[105:106], v[115:116]
	v_add_f64 v[49:50], v[49:50], -v[109:110]
	v_fma_f64 v[105:106], v[107:108], v[125:126], v[105:106]
	v_add_f64 v[51:52], v[51:52], -v[105:106]
	ds_read2_b64 v[105:108], v102 offset0:44 offset1:45
	s_waitcnt lgkmcnt(0)
	v_mul_f64 v[109:110], v[107:108], v[115:116]
	v_fma_f64 v[109:110], v[105:106], v[125:126], -v[109:110]
	v_mul_f64 v[105:106], v[105:106], v[115:116]
	v_add_f64 v[45:46], v[45:46], -v[109:110]
	v_fma_f64 v[105:106], v[107:108], v[125:126], v[105:106]
	v_add_f64 v[47:48], v[47:48], -v[105:106]
	ds_read2_b64 v[105:108], v102 offset0:46 offset1:47
	s_waitcnt lgkmcnt(0)
	v_mul_f64 v[109:110], v[107:108], v[115:116]
	v_fma_f64 v[109:110], v[105:106], v[125:126], -v[109:110]
	v_mul_f64 v[105:106], v[105:106], v[115:116]
	v_add_f64 v[41:42], v[41:42], -v[109:110]
	v_fma_f64 v[105:106], v[107:108], v[125:126], v[105:106]
	v_add_f64 v[43:44], v[43:44], -v[105:106]
	ds_read2_b64 v[105:108], v102 offset0:48 offset1:49
	s_waitcnt lgkmcnt(0)
	v_mul_f64 v[109:110], v[107:108], v[115:116]
	v_fma_f64 v[109:110], v[105:106], v[125:126], -v[109:110]
	v_mul_f64 v[105:106], v[105:106], v[115:116]
	v_add_f64 v[37:38], v[37:38], -v[109:110]
	v_fma_f64 v[105:106], v[107:108], v[125:126], v[105:106]
	v_add_f64 v[39:40], v[39:40], -v[105:106]
	ds_read2_b64 v[105:108], v102 offset0:50 offset1:51
	s_waitcnt lgkmcnt(0)
	v_mul_f64 v[109:110], v[107:108], v[115:116]
	v_fma_f64 v[109:110], v[105:106], v[125:126], -v[109:110]
	v_mul_f64 v[105:106], v[105:106], v[115:116]
	v_add_f64 v[33:34], v[33:34], -v[109:110]
	v_fma_f64 v[105:106], v[107:108], v[125:126], v[105:106]
	v_add_f64 v[35:36], v[35:36], -v[105:106]
	ds_read2_b64 v[105:108], v102 offset0:52 offset1:53
	s_waitcnt lgkmcnt(0)
	v_mul_f64 v[109:110], v[107:108], v[115:116]
	v_fma_f64 v[109:110], v[105:106], v[125:126], -v[109:110]
	v_mul_f64 v[105:106], v[105:106], v[115:116]
	v_add_f64 v[29:30], v[29:30], -v[109:110]
	v_fma_f64 v[105:106], v[107:108], v[125:126], v[105:106]
	v_add_f64 v[31:32], v[31:32], -v[105:106]
	ds_read2_b64 v[105:108], v102 offset0:54 offset1:55
	s_waitcnt lgkmcnt(0)
	v_mul_f64 v[109:110], v[107:108], v[115:116]
	v_fma_f64 v[109:110], v[105:106], v[125:126], -v[109:110]
	v_mul_f64 v[105:106], v[105:106], v[115:116]
	v_add_f64 v[25:26], v[25:26], -v[109:110]
	v_fma_f64 v[105:106], v[107:108], v[125:126], v[105:106]
	v_add_f64 v[27:28], v[27:28], -v[105:106]
	ds_read2_b64 v[105:108], v102 offset0:56 offset1:57
	s_waitcnt lgkmcnt(0)
	v_mul_f64 v[109:110], v[107:108], v[115:116]
	v_fma_f64 v[109:110], v[105:106], v[125:126], -v[109:110]
	v_mul_f64 v[105:106], v[105:106], v[115:116]
	v_add_f64 v[21:22], v[21:22], -v[109:110]
	v_fma_f64 v[105:106], v[107:108], v[125:126], v[105:106]
	v_add_f64 v[23:24], v[23:24], -v[105:106]
	ds_read2_b64 v[105:108], v102 offset0:58 offset1:59
	s_waitcnt lgkmcnt(0)
	v_mul_f64 v[109:110], v[107:108], v[115:116]
	v_fma_f64 v[109:110], v[105:106], v[125:126], -v[109:110]
	v_mul_f64 v[105:106], v[105:106], v[115:116]
	v_add_f64 v[17:18], v[17:18], -v[109:110]
	v_fma_f64 v[105:106], v[107:108], v[125:126], v[105:106]
	v_add_f64 v[19:20], v[19:20], -v[105:106]
	ds_read2_b64 v[105:108], v102 offset0:60 offset1:61
	s_waitcnt lgkmcnt(0)
	v_mul_f64 v[109:110], v[107:108], v[115:116]
	v_fma_f64 v[109:110], v[105:106], v[125:126], -v[109:110]
	v_mul_f64 v[105:106], v[105:106], v[115:116]
	v_add_f64 v[13:14], v[13:14], -v[109:110]
	v_fma_f64 v[105:106], v[107:108], v[125:126], v[105:106]
	v_add_f64 v[15:16], v[15:16], -v[105:106]
	ds_read2_b64 v[105:108], v102 offset0:62 offset1:63
	s_waitcnt lgkmcnt(0)
	v_mul_f64 v[109:110], v[107:108], v[115:116]
	v_fma_f64 v[109:110], v[105:106], v[125:126], -v[109:110]
	v_mul_f64 v[105:106], v[105:106], v[115:116]
	v_add_f64 v[9:10], v[9:10], -v[109:110]
	v_fma_f64 v[105:106], v[107:108], v[125:126], v[105:106]
	v_add_f64 v[11:12], v[11:12], -v[105:106]
	ds_read2_b64 v[105:108], v102 offset0:64 offset1:65
	s_waitcnt lgkmcnt(0)
	v_mul_f64 v[109:110], v[107:108], v[115:116]
	v_fma_f64 v[109:110], v[105:106], v[125:126], -v[109:110]
	v_mul_f64 v[105:106], v[105:106], v[115:116]
	v_add_f64 v[5:6], v[5:6], -v[109:110]
	v_fma_f64 v[105:106], v[107:108], v[125:126], v[105:106]
	v_add_f64 v[7:8], v[7:8], -v[105:106]
	ds_read2_b64 v[105:108], v102 offset0:66 offset1:67
	s_waitcnt lgkmcnt(0)
	v_mul_f64 v[109:110], v[107:108], v[115:116]
	v_fma_f64 v[109:110], v[105:106], v[125:126], -v[109:110]
	v_mul_f64 v[105:106], v[105:106], v[115:116]
	v_add_f64 v[1:2], v[1:2], -v[109:110]
	v_fma_f64 v[105:106], v[107:108], v[125:126], v[105:106]
	v_add_f64 v[3:4], v[3:4], -v[105:106]
	ds_read2_b64 v[105:108], v102 offset0:68 offset1:69
	s_waitcnt lgkmcnt(0)
	v_mul_f64 v[109:110], v[107:108], v[115:116]
	v_fma_f64 v[109:110], v[105:106], v[125:126], -v[109:110]
	v_mul_f64 v[105:106], v[105:106], v[115:116]
	buffer_store_dword v113, off, s[24:27], 0 offset:16 ; 4-byte Folded Spill
	s_nop 0
	buffer_store_dword v114, off, s[24:27], 0 offset:20 ; 4-byte Folded Spill
	buffer_store_dword v115, off, s[24:27], 0 offset:24 ; 4-byte Folded Spill
	;; [unrolled: 1-line block ×3, first 2 shown]
	v_add_f64 v[97:98], v[97:98], -v[109:110]
	v_fma_f64 v[105:106], v[107:108], v[125:126], v[105:106]
	v_add_f64 v[99:100], v[99:100], -v[105:106]
.LBB68_188:
	s_or_b64 exec, exec, s[0:1]
	s_waitcnt vmcnt(0)
	s_barrier
	buffer_load_dword v106, off, s[24:27], 0 ; 4-byte Folded Reload
	buffer_load_dword v107, off, s[24:27], 0 offset:4 ; 4-byte Folded Reload
	buffer_load_dword v108, off, s[24:27], 0 offset:8 ; 4-byte Folded Reload
	;; [unrolled: 1-line block ×3, first 2 shown]
	v_lshl_add_u32 v105, v104, 4, v102
	s_cmp_lt_i32 s3, 11
	s_waitcnt vmcnt(0)
	ds_write2_b64 v105, v[106:107], v[108:109] offset1:1
	s_waitcnt lgkmcnt(0)
	s_barrier
	ds_read2_b64 v[121:124], v102 offset0:18 offset1:19
	v_mov_b32_e32 v105, 9
	s_cbranch_scc1 .LBB68_191
; %bb.189:
	v_add_u32_e32 v106, 0xa0, v102
	s_mov_b32 s0, 10
	v_mov_b32_e32 v105, 9
.LBB68_190:                             ; =>This Inner Loop Header: Depth=1
	s_waitcnt lgkmcnt(0)
	v_cmp_gt_f64_e32 vcc, 0, v[121:122]
	v_xor_b32_e32 v111, 0x80000000, v122
	ds_read2_b64 v[107:110], v106 offset1:1
	v_xor_b32_e32 v113, 0x80000000, v124
	v_add_u32_e32 v106, 16, v106
	s_waitcnt lgkmcnt(0)
	v_xor_b32_e32 v115, 0x80000000, v110
	v_cndmask_b32_e32 v112, v122, v111, vcc
	v_cmp_gt_f64_e32 vcc, 0, v[123:124]
	v_mov_b32_e32 v111, v121
	v_cndmask_b32_e32 v114, v124, v113, vcc
	v_cmp_gt_f64_e32 vcc, 0, v[107:108]
	v_mov_b32_e32 v113, v123
	v_add_f64 v[111:112], v[111:112], v[113:114]
	v_xor_b32_e32 v113, 0x80000000, v108
	v_cndmask_b32_e32 v114, v108, v113, vcc
	v_cmp_gt_f64_e32 vcc, 0, v[109:110]
	v_mov_b32_e32 v113, v107
	v_cndmask_b32_e32 v116, v110, v115, vcc
	v_mov_b32_e32 v115, v109
	v_add_f64 v[113:114], v[113:114], v[115:116]
	v_cmp_lt_f64_e32 vcc, v[111:112], v[113:114]
	v_cndmask_b32_e32 v121, v121, v107, vcc
	v_mov_b32_e32 v107, s0
	s_add_i32 s0, s0, 1
	v_cndmask_b32_e32 v122, v122, v108, vcc
	v_cndmask_b32_e32 v124, v124, v110, vcc
	;; [unrolled: 1-line block ×4, first 2 shown]
	s_cmp_lg_u32 s3, s0
	s_cbranch_scc1 .LBB68_190
.LBB68_191:
	s_waitcnt lgkmcnt(0)
	v_cmp_eq_f64_e32 vcc, 0, v[121:122]
	v_cmp_eq_f64_e64 s[0:1], 0, v[123:124]
	s_and_b64 s[0:1], vcc, s[0:1]
	s_and_saveexec_b64 s[18:19], s[0:1]
	s_xor_b64 s[0:1], exec, s[18:19]
; %bb.192:
	v_cmp_ne_u32_e32 vcc, 0, v103
	v_cndmask_b32_e32 v103, 10, v103, vcc
; %bb.193:
	s_andn2_saveexec_b64 s[0:1], s[0:1]
	s_cbranch_execz .LBB68_199
; %bb.194:
	v_cmp_ngt_f64_e64 s[18:19], |v[121:122]|, |v[123:124]|
	s_and_saveexec_b64 s[20:21], s[18:19]
	s_xor_b64 s[18:19], exec, s[20:21]
	s_cbranch_execz .LBB68_196
; %bb.195:
	v_div_scale_f64 v[106:107], s[20:21], v[123:124], v[123:124], v[121:122]
	v_rcp_f64_e32 v[108:109], v[106:107]
	v_fma_f64 v[110:111], -v[106:107], v[108:109], 1.0
	v_fma_f64 v[108:109], v[108:109], v[110:111], v[108:109]
	v_div_scale_f64 v[110:111], vcc, v[121:122], v[123:124], v[121:122]
	v_fma_f64 v[112:113], -v[106:107], v[108:109], 1.0
	v_fma_f64 v[108:109], v[108:109], v[112:113], v[108:109]
	v_mul_f64 v[112:113], v[110:111], v[108:109]
	v_fma_f64 v[106:107], -v[106:107], v[112:113], v[110:111]
	v_div_fmas_f64 v[106:107], v[106:107], v[108:109], v[112:113]
	v_div_fixup_f64 v[106:107], v[106:107], v[123:124], v[121:122]
	v_fma_f64 v[108:109], v[121:122], v[106:107], v[123:124]
	v_div_scale_f64 v[110:111], s[20:21], v[108:109], v[108:109], 1.0
	v_div_scale_f64 v[116:117], vcc, 1.0, v[108:109], 1.0
	v_rcp_f64_e32 v[112:113], v[110:111]
	v_fma_f64 v[114:115], -v[110:111], v[112:113], 1.0
	v_fma_f64 v[112:113], v[112:113], v[114:115], v[112:113]
	v_fma_f64 v[114:115], -v[110:111], v[112:113], 1.0
	v_fma_f64 v[112:113], v[112:113], v[114:115], v[112:113]
	v_mul_f64 v[114:115], v[116:117], v[112:113]
	v_fma_f64 v[110:111], -v[110:111], v[114:115], v[116:117]
	v_div_fmas_f64 v[110:111], v[110:111], v[112:113], v[114:115]
	v_div_fixup_f64 v[123:124], v[110:111], v[108:109], 1.0
	v_mul_f64 v[121:122], v[106:107], v[123:124]
	v_xor_b32_e32 v124, 0x80000000, v124
.LBB68_196:
	s_andn2_saveexec_b64 s[18:19], s[18:19]
	s_cbranch_execz .LBB68_198
; %bb.197:
	v_div_scale_f64 v[106:107], s[20:21], v[121:122], v[121:122], v[123:124]
	v_rcp_f64_e32 v[108:109], v[106:107]
	v_fma_f64 v[110:111], -v[106:107], v[108:109], 1.0
	v_fma_f64 v[108:109], v[108:109], v[110:111], v[108:109]
	v_div_scale_f64 v[110:111], vcc, v[123:124], v[121:122], v[123:124]
	v_fma_f64 v[112:113], -v[106:107], v[108:109], 1.0
	v_fma_f64 v[108:109], v[108:109], v[112:113], v[108:109]
	v_mul_f64 v[112:113], v[110:111], v[108:109]
	v_fma_f64 v[106:107], -v[106:107], v[112:113], v[110:111]
	v_div_fmas_f64 v[106:107], v[106:107], v[108:109], v[112:113]
	v_div_fixup_f64 v[106:107], v[106:107], v[121:122], v[123:124]
	v_fma_f64 v[108:109], v[123:124], v[106:107], v[121:122]
	v_div_scale_f64 v[110:111], s[20:21], v[108:109], v[108:109], 1.0
	v_div_scale_f64 v[116:117], vcc, 1.0, v[108:109], 1.0
	v_rcp_f64_e32 v[112:113], v[110:111]
	v_fma_f64 v[114:115], -v[110:111], v[112:113], 1.0
	v_fma_f64 v[112:113], v[112:113], v[114:115], v[112:113]
	v_fma_f64 v[114:115], -v[110:111], v[112:113], 1.0
	v_fma_f64 v[112:113], v[112:113], v[114:115], v[112:113]
	v_mul_f64 v[114:115], v[116:117], v[112:113]
	v_fma_f64 v[110:111], -v[110:111], v[114:115], v[116:117]
	v_div_fmas_f64 v[110:111], v[110:111], v[112:113], v[114:115]
	v_div_fixup_f64 v[121:122], v[110:111], v[108:109], 1.0
	v_mul_f64 v[123:124], v[106:107], -v[121:122]
.LBB68_198:
	s_or_b64 exec, exec, s[18:19]
.LBB68_199:
	s_or_b64 exec, exec, s[0:1]
	v_cmp_ne_u32_e32 vcc, v104, v105
	s_and_saveexec_b64 s[0:1], vcc
	s_xor_b64 s[0:1], exec, s[0:1]
	s_cbranch_execz .LBB68_205
; %bb.200:
	v_cmp_eq_u32_e32 vcc, 9, v104
	s_and_saveexec_b64 s[18:19], vcc
	s_cbranch_execz .LBB68_204
; %bb.201:
	v_cmp_ne_u32_e32 vcc, 9, v105
	s_xor_b64 s[20:21], s[6:7], -1
	s_and_b64 s[22:23], s[20:21], vcc
	s_and_saveexec_b64 s[20:21], s[22:23]
	s_cbranch_execz .LBB68_203
; %bb.202:
	v_ashrrev_i32_e32 v106, 31, v105
	v_lshlrev_b64 v[106:107], 2, v[105:106]
	v_add_co_u32_e32 v106, vcc, v119, v106
	v_addc_co_u32_e32 v107, vcc, v120, v107, vcc
	global_load_dword v0, v[106:107], off
	global_load_dword v104, v[119:120], off offset:36
	s_waitcnt vmcnt(1)
	global_store_dword v[119:120], v0, off offset:36
	s_waitcnt vmcnt(1)
	global_store_dword v[106:107], v104, off
.LBB68_203:
	s_or_b64 exec, exec, s[20:21]
	v_mov_b32_e32 v104, v105
	v_mov_b32_e32 v0, v105
.LBB68_204:
	s_or_b64 exec, exec, s[18:19]
.LBB68_205:
	s_andn2_saveexec_b64 s[0:1], s[0:1]
	s_cbranch_execz .LBB68_207
; %bb.206:
	v_mov_b32_e32 v104, 9
	ds_write2_b64 v102, v[93:94], v[95:96] offset0:20 offset1:21
	ds_write2_b64 v102, v[89:90], v[91:92] offset0:22 offset1:23
	;; [unrolled: 1-line block ×25, first 2 shown]
.LBB68_207:
	s_or_b64 exec, exec, s[0:1]
	v_cmp_lt_i32_e32 vcc, 9, v104
	s_waitcnt vmcnt(0) lgkmcnt(0)
	s_barrier
	s_and_saveexec_b64 s[0:1], vcc
	s_cbranch_execz .LBB68_209
; %bb.208:
	buffer_load_dword v109, off, s[24:27], 0 ; 4-byte Folded Reload
	buffer_load_dword v110, off, s[24:27], 0 offset:4 ; 4-byte Folded Reload
	buffer_load_dword v111, off, s[24:27], 0 offset:8 ; 4-byte Folded Reload
	buffer_load_dword v112, off, s[24:27], 0 offset:12 ; 4-byte Folded Reload
	s_waitcnt vmcnt(0)
	v_mul_f64 v[105:106], v[123:124], v[111:112]
	v_fma_f64 v[125:126], v[121:122], v[109:110], -v[105:106]
	v_mul_f64 v[105:106], v[121:122], v[111:112]
	v_fma_f64 v[111:112], v[123:124], v[109:110], v[105:106]
	ds_read2_b64 v[105:108], v102 offset0:20 offset1:21
	s_waitcnt lgkmcnt(0)
	v_mul_f64 v[109:110], v[107:108], v[111:112]
	v_fma_f64 v[109:110], v[105:106], v[125:126], -v[109:110]
	v_mul_f64 v[105:106], v[105:106], v[111:112]
	v_add_f64 v[93:94], v[93:94], -v[109:110]
	v_fma_f64 v[105:106], v[107:108], v[125:126], v[105:106]
	v_add_f64 v[95:96], v[95:96], -v[105:106]
	ds_read2_b64 v[105:108], v102 offset0:22 offset1:23
	s_waitcnt lgkmcnt(0)
	v_mul_f64 v[109:110], v[107:108], v[111:112]
	v_fma_f64 v[109:110], v[105:106], v[125:126], -v[109:110]
	v_mul_f64 v[105:106], v[105:106], v[111:112]
	v_add_f64 v[89:90], v[89:90], -v[109:110]
	v_fma_f64 v[105:106], v[107:108], v[125:126], v[105:106]
	v_add_f64 v[91:92], v[91:92], -v[105:106]
	ds_read2_b64 v[105:108], v102 offset0:24 offset1:25
	s_waitcnt lgkmcnt(0)
	v_mul_f64 v[109:110], v[107:108], v[111:112]
	v_fma_f64 v[109:110], v[105:106], v[125:126], -v[109:110]
	v_mul_f64 v[105:106], v[105:106], v[111:112]
	v_add_f64 v[85:86], v[85:86], -v[109:110]
	v_fma_f64 v[105:106], v[107:108], v[125:126], v[105:106]
	v_add_f64 v[87:88], v[87:88], -v[105:106]
	ds_read2_b64 v[105:108], v102 offset0:26 offset1:27
	s_waitcnt lgkmcnt(0)
	v_mul_f64 v[109:110], v[107:108], v[111:112]
	v_fma_f64 v[109:110], v[105:106], v[125:126], -v[109:110]
	v_mul_f64 v[105:106], v[105:106], v[111:112]
	v_add_f64 v[81:82], v[81:82], -v[109:110]
	v_fma_f64 v[105:106], v[107:108], v[125:126], v[105:106]
	v_add_f64 v[83:84], v[83:84], -v[105:106]
	ds_read2_b64 v[105:108], v102 offset0:28 offset1:29
	s_waitcnt lgkmcnt(0)
	v_mul_f64 v[109:110], v[107:108], v[111:112]
	v_fma_f64 v[109:110], v[105:106], v[125:126], -v[109:110]
	v_mul_f64 v[105:106], v[105:106], v[111:112]
	v_add_f64 v[77:78], v[77:78], -v[109:110]
	v_fma_f64 v[105:106], v[107:108], v[125:126], v[105:106]
	v_add_f64 v[79:80], v[79:80], -v[105:106]
	ds_read2_b64 v[105:108], v102 offset0:30 offset1:31
	s_waitcnt lgkmcnt(0)
	v_mul_f64 v[109:110], v[107:108], v[111:112]
	v_fma_f64 v[109:110], v[105:106], v[125:126], -v[109:110]
	v_mul_f64 v[105:106], v[105:106], v[111:112]
	v_add_f64 v[73:74], v[73:74], -v[109:110]
	v_fma_f64 v[105:106], v[107:108], v[125:126], v[105:106]
	v_add_f64 v[75:76], v[75:76], -v[105:106]
	ds_read2_b64 v[105:108], v102 offset0:32 offset1:33
	s_waitcnt lgkmcnt(0)
	v_mul_f64 v[109:110], v[107:108], v[111:112]
	v_fma_f64 v[109:110], v[105:106], v[125:126], -v[109:110]
	v_mul_f64 v[105:106], v[105:106], v[111:112]
	v_add_f64 v[69:70], v[69:70], -v[109:110]
	v_fma_f64 v[105:106], v[107:108], v[125:126], v[105:106]
	v_add_f64 v[71:72], v[71:72], -v[105:106]
	ds_read2_b64 v[105:108], v102 offset0:34 offset1:35
	s_waitcnt lgkmcnt(0)
	v_mul_f64 v[109:110], v[107:108], v[111:112]
	v_fma_f64 v[109:110], v[105:106], v[125:126], -v[109:110]
	v_mul_f64 v[105:106], v[105:106], v[111:112]
	v_add_f64 v[65:66], v[65:66], -v[109:110]
	v_fma_f64 v[105:106], v[107:108], v[125:126], v[105:106]
	v_add_f64 v[67:68], v[67:68], -v[105:106]
	ds_read2_b64 v[105:108], v102 offset0:36 offset1:37
	s_waitcnt lgkmcnt(0)
	v_mul_f64 v[109:110], v[107:108], v[111:112]
	v_fma_f64 v[109:110], v[105:106], v[125:126], -v[109:110]
	v_mul_f64 v[105:106], v[105:106], v[111:112]
	v_add_f64 v[61:62], v[61:62], -v[109:110]
	v_fma_f64 v[105:106], v[107:108], v[125:126], v[105:106]
	v_add_f64 v[63:64], v[63:64], -v[105:106]
	ds_read2_b64 v[105:108], v102 offset0:38 offset1:39
	s_waitcnt lgkmcnt(0)
	v_mul_f64 v[109:110], v[107:108], v[111:112]
	v_fma_f64 v[109:110], v[105:106], v[125:126], -v[109:110]
	v_mul_f64 v[105:106], v[105:106], v[111:112]
	v_add_f64 v[57:58], v[57:58], -v[109:110]
	v_fma_f64 v[105:106], v[107:108], v[125:126], v[105:106]
	v_add_f64 v[59:60], v[59:60], -v[105:106]
	ds_read2_b64 v[105:108], v102 offset0:40 offset1:41
	s_waitcnt lgkmcnt(0)
	v_mul_f64 v[109:110], v[107:108], v[111:112]
	v_fma_f64 v[109:110], v[105:106], v[125:126], -v[109:110]
	v_mul_f64 v[105:106], v[105:106], v[111:112]
	v_add_f64 v[53:54], v[53:54], -v[109:110]
	v_fma_f64 v[105:106], v[107:108], v[125:126], v[105:106]
	v_add_f64 v[55:56], v[55:56], -v[105:106]
	ds_read2_b64 v[105:108], v102 offset0:42 offset1:43
	s_waitcnt lgkmcnt(0)
	v_mul_f64 v[109:110], v[107:108], v[111:112]
	v_fma_f64 v[109:110], v[105:106], v[125:126], -v[109:110]
	v_mul_f64 v[105:106], v[105:106], v[111:112]
	v_add_f64 v[49:50], v[49:50], -v[109:110]
	v_fma_f64 v[105:106], v[107:108], v[125:126], v[105:106]
	v_add_f64 v[51:52], v[51:52], -v[105:106]
	ds_read2_b64 v[105:108], v102 offset0:44 offset1:45
	s_waitcnt lgkmcnt(0)
	v_mul_f64 v[109:110], v[107:108], v[111:112]
	v_fma_f64 v[109:110], v[105:106], v[125:126], -v[109:110]
	v_mul_f64 v[105:106], v[105:106], v[111:112]
	v_add_f64 v[45:46], v[45:46], -v[109:110]
	v_fma_f64 v[105:106], v[107:108], v[125:126], v[105:106]
	v_add_f64 v[47:48], v[47:48], -v[105:106]
	ds_read2_b64 v[105:108], v102 offset0:46 offset1:47
	s_waitcnt lgkmcnt(0)
	v_mul_f64 v[109:110], v[107:108], v[111:112]
	v_fma_f64 v[109:110], v[105:106], v[125:126], -v[109:110]
	v_mul_f64 v[105:106], v[105:106], v[111:112]
	v_add_f64 v[41:42], v[41:42], -v[109:110]
	v_fma_f64 v[105:106], v[107:108], v[125:126], v[105:106]
	v_add_f64 v[43:44], v[43:44], -v[105:106]
	ds_read2_b64 v[105:108], v102 offset0:48 offset1:49
	s_waitcnt lgkmcnt(0)
	v_mul_f64 v[109:110], v[107:108], v[111:112]
	v_fma_f64 v[109:110], v[105:106], v[125:126], -v[109:110]
	v_mul_f64 v[105:106], v[105:106], v[111:112]
	v_add_f64 v[37:38], v[37:38], -v[109:110]
	v_fma_f64 v[105:106], v[107:108], v[125:126], v[105:106]
	v_add_f64 v[39:40], v[39:40], -v[105:106]
	ds_read2_b64 v[105:108], v102 offset0:50 offset1:51
	s_waitcnt lgkmcnt(0)
	v_mul_f64 v[109:110], v[107:108], v[111:112]
	v_fma_f64 v[109:110], v[105:106], v[125:126], -v[109:110]
	v_mul_f64 v[105:106], v[105:106], v[111:112]
	v_add_f64 v[33:34], v[33:34], -v[109:110]
	v_fma_f64 v[105:106], v[107:108], v[125:126], v[105:106]
	v_add_f64 v[35:36], v[35:36], -v[105:106]
	ds_read2_b64 v[105:108], v102 offset0:52 offset1:53
	s_waitcnt lgkmcnt(0)
	v_mul_f64 v[109:110], v[107:108], v[111:112]
	v_fma_f64 v[109:110], v[105:106], v[125:126], -v[109:110]
	v_mul_f64 v[105:106], v[105:106], v[111:112]
	v_add_f64 v[29:30], v[29:30], -v[109:110]
	v_fma_f64 v[105:106], v[107:108], v[125:126], v[105:106]
	v_add_f64 v[31:32], v[31:32], -v[105:106]
	ds_read2_b64 v[105:108], v102 offset0:54 offset1:55
	s_waitcnt lgkmcnt(0)
	v_mul_f64 v[109:110], v[107:108], v[111:112]
	v_fma_f64 v[109:110], v[105:106], v[125:126], -v[109:110]
	v_mul_f64 v[105:106], v[105:106], v[111:112]
	v_add_f64 v[25:26], v[25:26], -v[109:110]
	v_fma_f64 v[105:106], v[107:108], v[125:126], v[105:106]
	v_add_f64 v[27:28], v[27:28], -v[105:106]
	ds_read2_b64 v[105:108], v102 offset0:56 offset1:57
	s_waitcnt lgkmcnt(0)
	v_mul_f64 v[109:110], v[107:108], v[111:112]
	v_fma_f64 v[109:110], v[105:106], v[125:126], -v[109:110]
	v_mul_f64 v[105:106], v[105:106], v[111:112]
	v_add_f64 v[21:22], v[21:22], -v[109:110]
	v_fma_f64 v[105:106], v[107:108], v[125:126], v[105:106]
	v_add_f64 v[23:24], v[23:24], -v[105:106]
	ds_read2_b64 v[105:108], v102 offset0:58 offset1:59
	s_waitcnt lgkmcnt(0)
	v_mul_f64 v[109:110], v[107:108], v[111:112]
	v_fma_f64 v[109:110], v[105:106], v[125:126], -v[109:110]
	v_mul_f64 v[105:106], v[105:106], v[111:112]
	v_add_f64 v[17:18], v[17:18], -v[109:110]
	v_fma_f64 v[105:106], v[107:108], v[125:126], v[105:106]
	v_add_f64 v[19:20], v[19:20], -v[105:106]
	ds_read2_b64 v[105:108], v102 offset0:60 offset1:61
	s_waitcnt lgkmcnt(0)
	v_mul_f64 v[109:110], v[107:108], v[111:112]
	v_fma_f64 v[109:110], v[105:106], v[125:126], -v[109:110]
	v_mul_f64 v[105:106], v[105:106], v[111:112]
	v_add_f64 v[13:14], v[13:14], -v[109:110]
	v_fma_f64 v[105:106], v[107:108], v[125:126], v[105:106]
	v_add_f64 v[15:16], v[15:16], -v[105:106]
	ds_read2_b64 v[105:108], v102 offset0:62 offset1:63
	s_waitcnt lgkmcnt(0)
	v_mul_f64 v[109:110], v[107:108], v[111:112]
	v_fma_f64 v[109:110], v[105:106], v[125:126], -v[109:110]
	v_mul_f64 v[105:106], v[105:106], v[111:112]
	v_add_f64 v[9:10], v[9:10], -v[109:110]
	v_fma_f64 v[105:106], v[107:108], v[125:126], v[105:106]
	v_add_f64 v[11:12], v[11:12], -v[105:106]
	ds_read2_b64 v[105:108], v102 offset0:64 offset1:65
	s_waitcnt lgkmcnt(0)
	v_mul_f64 v[109:110], v[107:108], v[111:112]
	v_fma_f64 v[109:110], v[105:106], v[125:126], -v[109:110]
	v_mul_f64 v[105:106], v[105:106], v[111:112]
	v_add_f64 v[5:6], v[5:6], -v[109:110]
	v_fma_f64 v[105:106], v[107:108], v[125:126], v[105:106]
	v_add_f64 v[7:8], v[7:8], -v[105:106]
	ds_read2_b64 v[105:108], v102 offset0:66 offset1:67
	s_waitcnt lgkmcnt(0)
	v_mul_f64 v[109:110], v[107:108], v[111:112]
	v_fma_f64 v[109:110], v[105:106], v[125:126], -v[109:110]
	v_mul_f64 v[105:106], v[105:106], v[111:112]
	v_add_f64 v[1:2], v[1:2], -v[109:110]
	v_fma_f64 v[105:106], v[107:108], v[125:126], v[105:106]
	v_add_f64 v[3:4], v[3:4], -v[105:106]
	ds_read2_b64 v[105:108], v102 offset0:68 offset1:69
	s_waitcnt lgkmcnt(0)
	v_mul_f64 v[109:110], v[107:108], v[111:112]
	v_fma_f64 v[109:110], v[105:106], v[125:126], -v[109:110]
	v_mul_f64 v[105:106], v[105:106], v[111:112]
	v_add_f64 v[97:98], v[97:98], -v[109:110]
	v_fma_f64 v[105:106], v[107:108], v[125:126], v[105:106]
	v_mov_b32_e32 v109, v125
	v_mov_b32_e32 v110, v126
	buffer_store_dword v109, off, s[24:27], 0 ; 4-byte Folded Spill
	s_nop 0
	buffer_store_dword v110, off, s[24:27], 0 offset:4 ; 4-byte Folded Spill
	buffer_store_dword v111, off, s[24:27], 0 offset:8 ; 4-byte Folded Spill
	;; [unrolled: 1-line block ×3, first 2 shown]
	v_add_f64 v[99:100], v[99:100], -v[105:106]
.LBB68_209:
	s_or_b64 exec, exec, s[0:1]
	v_lshl_add_u32 v105, v104, 4, v102
	s_waitcnt vmcnt(0)
	s_barrier
	ds_write2_b64 v105, v[93:94], v[95:96] offset1:1
	s_waitcnt lgkmcnt(0)
	s_barrier
	ds_read2_b64 v[121:124], v102 offset0:20 offset1:21
	s_cmp_lt_i32 s3, 12
	v_mov_b32_e32 v105, 10
	s_cbranch_scc1 .LBB68_212
; %bb.210:
	v_add_u32_e32 v106, 0xb0, v102
	s_mov_b32 s0, 11
	v_mov_b32_e32 v105, 10
.LBB68_211:                             ; =>This Inner Loop Header: Depth=1
	s_waitcnt lgkmcnt(0)
	v_cmp_gt_f64_e32 vcc, 0, v[121:122]
	v_xor_b32_e32 v111, 0x80000000, v122
	ds_read2_b64 v[107:110], v106 offset1:1
	v_xor_b32_e32 v113, 0x80000000, v124
	v_add_u32_e32 v106, 16, v106
	s_waitcnt lgkmcnt(0)
	v_xor_b32_e32 v115, 0x80000000, v110
	v_cndmask_b32_e32 v112, v122, v111, vcc
	v_cmp_gt_f64_e32 vcc, 0, v[123:124]
	v_mov_b32_e32 v111, v121
	v_cndmask_b32_e32 v114, v124, v113, vcc
	v_cmp_gt_f64_e32 vcc, 0, v[107:108]
	v_mov_b32_e32 v113, v123
	v_add_f64 v[111:112], v[111:112], v[113:114]
	v_xor_b32_e32 v113, 0x80000000, v108
	v_cndmask_b32_e32 v114, v108, v113, vcc
	v_cmp_gt_f64_e32 vcc, 0, v[109:110]
	v_mov_b32_e32 v113, v107
	v_cndmask_b32_e32 v116, v110, v115, vcc
	v_mov_b32_e32 v115, v109
	v_add_f64 v[113:114], v[113:114], v[115:116]
	v_cmp_lt_f64_e32 vcc, v[111:112], v[113:114]
	v_cndmask_b32_e32 v121, v121, v107, vcc
	v_mov_b32_e32 v107, s0
	s_add_i32 s0, s0, 1
	v_cndmask_b32_e32 v122, v122, v108, vcc
	v_cndmask_b32_e32 v124, v124, v110, vcc
	;; [unrolled: 1-line block ×4, first 2 shown]
	s_cmp_lg_u32 s3, s0
	s_cbranch_scc1 .LBB68_211
.LBB68_212:
	s_waitcnt lgkmcnt(0)
	v_cmp_eq_f64_e32 vcc, 0, v[121:122]
	v_cmp_eq_f64_e64 s[0:1], 0, v[123:124]
	s_and_b64 s[0:1], vcc, s[0:1]
	s_and_saveexec_b64 s[18:19], s[0:1]
	s_xor_b64 s[0:1], exec, s[18:19]
; %bb.213:
	v_cmp_ne_u32_e32 vcc, 0, v103
	v_cndmask_b32_e32 v103, 11, v103, vcc
; %bb.214:
	s_andn2_saveexec_b64 s[0:1], s[0:1]
	s_cbranch_execz .LBB68_220
; %bb.215:
	v_cmp_ngt_f64_e64 s[18:19], |v[121:122]|, |v[123:124]|
	s_and_saveexec_b64 s[20:21], s[18:19]
	s_xor_b64 s[18:19], exec, s[20:21]
	s_cbranch_execz .LBB68_217
; %bb.216:
	v_div_scale_f64 v[106:107], s[20:21], v[123:124], v[123:124], v[121:122]
	v_rcp_f64_e32 v[108:109], v[106:107]
	v_fma_f64 v[110:111], -v[106:107], v[108:109], 1.0
	v_fma_f64 v[108:109], v[108:109], v[110:111], v[108:109]
	v_div_scale_f64 v[110:111], vcc, v[121:122], v[123:124], v[121:122]
	v_fma_f64 v[112:113], -v[106:107], v[108:109], 1.0
	v_fma_f64 v[108:109], v[108:109], v[112:113], v[108:109]
	v_mul_f64 v[112:113], v[110:111], v[108:109]
	v_fma_f64 v[106:107], -v[106:107], v[112:113], v[110:111]
	v_div_fmas_f64 v[106:107], v[106:107], v[108:109], v[112:113]
	v_div_fixup_f64 v[106:107], v[106:107], v[123:124], v[121:122]
	v_fma_f64 v[108:109], v[121:122], v[106:107], v[123:124]
	v_div_scale_f64 v[110:111], s[20:21], v[108:109], v[108:109], 1.0
	v_div_scale_f64 v[116:117], vcc, 1.0, v[108:109], 1.0
	v_rcp_f64_e32 v[112:113], v[110:111]
	v_fma_f64 v[114:115], -v[110:111], v[112:113], 1.0
	v_fma_f64 v[112:113], v[112:113], v[114:115], v[112:113]
	v_fma_f64 v[114:115], -v[110:111], v[112:113], 1.0
	v_fma_f64 v[112:113], v[112:113], v[114:115], v[112:113]
	v_mul_f64 v[114:115], v[116:117], v[112:113]
	v_fma_f64 v[110:111], -v[110:111], v[114:115], v[116:117]
	v_div_fmas_f64 v[110:111], v[110:111], v[112:113], v[114:115]
	v_div_fixup_f64 v[123:124], v[110:111], v[108:109], 1.0
	v_mul_f64 v[121:122], v[106:107], v[123:124]
	v_xor_b32_e32 v124, 0x80000000, v124
.LBB68_217:
	s_andn2_saveexec_b64 s[18:19], s[18:19]
	s_cbranch_execz .LBB68_219
; %bb.218:
	v_div_scale_f64 v[106:107], s[20:21], v[121:122], v[121:122], v[123:124]
	v_rcp_f64_e32 v[108:109], v[106:107]
	v_fma_f64 v[110:111], -v[106:107], v[108:109], 1.0
	v_fma_f64 v[108:109], v[108:109], v[110:111], v[108:109]
	v_div_scale_f64 v[110:111], vcc, v[123:124], v[121:122], v[123:124]
	v_fma_f64 v[112:113], -v[106:107], v[108:109], 1.0
	v_fma_f64 v[108:109], v[108:109], v[112:113], v[108:109]
	v_mul_f64 v[112:113], v[110:111], v[108:109]
	v_fma_f64 v[106:107], -v[106:107], v[112:113], v[110:111]
	v_div_fmas_f64 v[106:107], v[106:107], v[108:109], v[112:113]
	v_div_fixup_f64 v[106:107], v[106:107], v[121:122], v[123:124]
	v_fma_f64 v[108:109], v[123:124], v[106:107], v[121:122]
	v_div_scale_f64 v[110:111], s[20:21], v[108:109], v[108:109], 1.0
	v_div_scale_f64 v[116:117], vcc, 1.0, v[108:109], 1.0
	v_rcp_f64_e32 v[112:113], v[110:111]
	v_fma_f64 v[114:115], -v[110:111], v[112:113], 1.0
	v_fma_f64 v[112:113], v[112:113], v[114:115], v[112:113]
	v_fma_f64 v[114:115], -v[110:111], v[112:113], 1.0
	v_fma_f64 v[112:113], v[112:113], v[114:115], v[112:113]
	v_mul_f64 v[114:115], v[116:117], v[112:113]
	v_fma_f64 v[110:111], -v[110:111], v[114:115], v[116:117]
	v_div_fmas_f64 v[110:111], v[110:111], v[112:113], v[114:115]
	v_div_fixup_f64 v[121:122], v[110:111], v[108:109], 1.0
	v_mul_f64 v[123:124], v[106:107], -v[121:122]
.LBB68_219:
	s_or_b64 exec, exec, s[18:19]
.LBB68_220:
	s_or_b64 exec, exec, s[0:1]
	v_cmp_ne_u32_e32 vcc, v104, v105
	s_and_saveexec_b64 s[0:1], vcc
	s_xor_b64 s[0:1], exec, s[0:1]
	s_cbranch_execz .LBB68_226
; %bb.221:
	v_cmp_eq_u32_e32 vcc, 10, v104
	s_and_saveexec_b64 s[18:19], vcc
	s_cbranch_execz .LBB68_225
; %bb.222:
	v_cmp_ne_u32_e32 vcc, 10, v105
	s_xor_b64 s[20:21], s[6:7], -1
	s_and_b64 s[22:23], s[20:21], vcc
	s_and_saveexec_b64 s[20:21], s[22:23]
	s_cbranch_execz .LBB68_224
; %bb.223:
	v_ashrrev_i32_e32 v106, 31, v105
	v_lshlrev_b64 v[106:107], 2, v[105:106]
	v_add_co_u32_e32 v106, vcc, v119, v106
	v_addc_co_u32_e32 v107, vcc, v120, v107, vcc
	global_load_dword v0, v[106:107], off
	global_load_dword v104, v[119:120], off offset:40
	s_waitcnt vmcnt(1)
	global_store_dword v[119:120], v0, off offset:40
	s_waitcnt vmcnt(1)
	global_store_dword v[106:107], v104, off
.LBB68_224:
	s_or_b64 exec, exec, s[20:21]
	v_mov_b32_e32 v104, v105
	v_mov_b32_e32 v0, v105
.LBB68_225:
	s_or_b64 exec, exec, s[18:19]
.LBB68_226:
	s_andn2_saveexec_b64 s[0:1], s[0:1]
	s_cbranch_execz .LBB68_228
; %bb.227:
	v_mov_b32_e32 v104, 10
	ds_write2_b64 v102, v[89:90], v[91:92] offset0:22 offset1:23
	ds_write2_b64 v102, v[85:86], v[87:88] offset0:24 offset1:25
	;; [unrolled: 1-line block ×24, first 2 shown]
.LBB68_228:
	s_or_b64 exec, exec, s[0:1]
	v_cmp_lt_i32_e32 vcc, 10, v104
	s_waitcnt vmcnt(0) lgkmcnt(0)
	s_barrier
	s_and_saveexec_b64 s[0:1], vcc
	s_cbranch_execz .LBB68_230
; %bb.229:
	v_mul_f64 v[105:106], v[123:124], v[95:96]
	v_mul_f64 v[95:96], v[121:122], v[95:96]
	v_fma_f64 v[125:126], v[121:122], v[93:94], -v[105:106]
	v_fma_f64 v[95:96], v[123:124], v[93:94], v[95:96]
	ds_read2_b64 v[105:108], v102 offset0:22 offset1:23
	s_waitcnt lgkmcnt(0)
	v_mul_f64 v[93:94], v[107:108], v[95:96]
	v_fma_f64 v[93:94], v[105:106], v[125:126], -v[93:94]
	v_mul_f64 v[105:106], v[105:106], v[95:96]
	v_add_f64 v[89:90], v[89:90], -v[93:94]
	v_fma_f64 v[105:106], v[107:108], v[125:126], v[105:106]
	v_add_f64 v[91:92], v[91:92], -v[105:106]
	ds_read2_b64 v[105:108], v102 offset0:24 offset1:25
	s_waitcnt lgkmcnt(0)
	v_mul_f64 v[93:94], v[107:108], v[95:96]
	v_fma_f64 v[93:94], v[105:106], v[125:126], -v[93:94]
	v_mul_f64 v[105:106], v[105:106], v[95:96]
	v_add_f64 v[85:86], v[85:86], -v[93:94]
	v_fma_f64 v[105:106], v[107:108], v[125:126], v[105:106]
	v_add_f64 v[87:88], v[87:88], -v[105:106]
	;; [unrolled: 8-line block ×23, first 2 shown]
	ds_read2_b64 v[105:108], v102 offset0:68 offset1:69
	s_waitcnt lgkmcnt(0)
	v_mul_f64 v[93:94], v[107:108], v[95:96]
	v_fma_f64 v[93:94], v[105:106], v[125:126], -v[93:94]
	v_mul_f64 v[105:106], v[105:106], v[95:96]
	v_add_f64 v[97:98], v[97:98], -v[93:94]
	v_fma_f64 v[105:106], v[107:108], v[125:126], v[105:106]
	v_mov_b32_e32 v93, v125
	v_mov_b32_e32 v94, v126
	v_add_f64 v[99:100], v[99:100], -v[105:106]
.LBB68_230:
	s_or_b64 exec, exec, s[0:1]
	v_lshl_add_u32 v105, v104, 4, v102
	s_barrier
	ds_write2_b64 v105, v[89:90], v[91:92] offset1:1
	s_waitcnt lgkmcnt(0)
	s_barrier
	ds_read2_b64 v[121:124], v102 offset0:22 offset1:23
	s_cmp_lt_i32 s3, 13
	v_mov_b32_e32 v105, 11
	s_cbranch_scc1 .LBB68_233
; %bb.231:
	v_add_u32_e32 v106, 0xc0, v102
	s_mov_b32 s0, 12
	v_mov_b32_e32 v105, 11
.LBB68_232:                             ; =>This Inner Loop Header: Depth=1
	s_waitcnt lgkmcnt(0)
	v_cmp_gt_f64_e32 vcc, 0, v[121:122]
	v_xor_b32_e32 v111, 0x80000000, v122
	ds_read2_b64 v[107:110], v106 offset1:1
	v_xor_b32_e32 v113, 0x80000000, v124
	v_add_u32_e32 v106, 16, v106
	s_waitcnt lgkmcnt(0)
	v_xor_b32_e32 v115, 0x80000000, v110
	v_cndmask_b32_e32 v112, v122, v111, vcc
	v_cmp_gt_f64_e32 vcc, 0, v[123:124]
	v_mov_b32_e32 v111, v121
	v_cndmask_b32_e32 v114, v124, v113, vcc
	v_cmp_gt_f64_e32 vcc, 0, v[107:108]
	v_mov_b32_e32 v113, v123
	v_add_f64 v[111:112], v[111:112], v[113:114]
	v_xor_b32_e32 v113, 0x80000000, v108
	v_cndmask_b32_e32 v114, v108, v113, vcc
	v_cmp_gt_f64_e32 vcc, 0, v[109:110]
	v_mov_b32_e32 v113, v107
	v_cndmask_b32_e32 v116, v110, v115, vcc
	v_mov_b32_e32 v115, v109
	v_add_f64 v[113:114], v[113:114], v[115:116]
	v_cmp_lt_f64_e32 vcc, v[111:112], v[113:114]
	v_cndmask_b32_e32 v121, v121, v107, vcc
	v_mov_b32_e32 v107, s0
	s_add_i32 s0, s0, 1
	v_cndmask_b32_e32 v122, v122, v108, vcc
	v_cndmask_b32_e32 v124, v124, v110, vcc
	;; [unrolled: 1-line block ×4, first 2 shown]
	s_cmp_lg_u32 s3, s0
	s_cbranch_scc1 .LBB68_232
.LBB68_233:
	s_waitcnt lgkmcnt(0)
	v_cmp_eq_f64_e32 vcc, 0, v[121:122]
	v_cmp_eq_f64_e64 s[0:1], 0, v[123:124]
	s_and_b64 s[0:1], vcc, s[0:1]
	s_and_saveexec_b64 s[18:19], s[0:1]
	s_xor_b64 s[0:1], exec, s[18:19]
; %bb.234:
	v_cmp_ne_u32_e32 vcc, 0, v103
	v_cndmask_b32_e32 v103, 12, v103, vcc
; %bb.235:
	s_andn2_saveexec_b64 s[0:1], s[0:1]
	s_cbranch_execz .LBB68_241
; %bb.236:
	v_cmp_ngt_f64_e64 s[18:19], |v[121:122]|, |v[123:124]|
	s_and_saveexec_b64 s[20:21], s[18:19]
	s_xor_b64 s[18:19], exec, s[20:21]
	s_cbranch_execz .LBB68_238
; %bb.237:
	v_div_scale_f64 v[106:107], s[20:21], v[123:124], v[123:124], v[121:122]
	v_rcp_f64_e32 v[108:109], v[106:107]
	v_fma_f64 v[110:111], -v[106:107], v[108:109], 1.0
	v_fma_f64 v[108:109], v[108:109], v[110:111], v[108:109]
	v_div_scale_f64 v[110:111], vcc, v[121:122], v[123:124], v[121:122]
	v_fma_f64 v[112:113], -v[106:107], v[108:109], 1.0
	v_fma_f64 v[108:109], v[108:109], v[112:113], v[108:109]
	v_mul_f64 v[112:113], v[110:111], v[108:109]
	v_fma_f64 v[106:107], -v[106:107], v[112:113], v[110:111]
	v_div_fmas_f64 v[106:107], v[106:107], v[108:109], v[112:113]
	v_div_fixup_f64 v[106:107], v[106:107], v[123:124], v[121:122]
	v_fma_f64 v[108:109], v[121:122], v[106:107], v[123:124]
	v_div_scale_f64 v[110:111], s[20:21], v[108:109], v[108:109], 1.0
	v_div_scale_f64 v[116:117], vcc, 1.0, v[108:109], 1.0
	v_rcp_f64_e32 v[112:113], v[110:111]
	v_fma_f64 v[114:115], -v[110:111], v[112:113], 1.0
	v_fma_f64 v[112:113], v[112:113], v[114:115], v[112:113]
	v_fma_f64 v[114:115], -v[110:111], v[112:113], 1.0
	v_fma_f64 v[112:113], v[112:113], v[114:115], v[112:113]
	v_mul_f64 v[114:115], v[116:117], v[112:113]
	v_fma_f64 v[110:111], -v[110:111], v[114:115], v[116:117]
	v_div_fmas_f64 v[110:111], v[110:111], v[112:113], v[114:115]
	v_div_fixup_f64 v[123:124], v[110:111], v[108:109], 1.0
	v_mul_f64 v[121:122], v[106:107], v[123:124]
	v_xor_b32_e32 v124, 0x80000000, v124
.LBB68_238:
	s_andn2_saveexec_b64 s[18:19], s[18:19]
	s_cbranch_execz .LBB68_240
; %bb.239:
	v_div_scale_f64 v[106:107], s[20:21], v[121:122], v[121:122], v[123:124]
	v_rcp_f64_e32 v[108:109], v[106:107]
	v_fma_f64 v[110:111], -v[106:107], v[108:109], 1.0
	v_fma_f64 v[108:109], v[108:109], v[110:111], v[108:109]
	v_div_scale_f64 v[110:111], vcc, v[123:124], v[121:122], v[123:124]
	v_fma_f64 v[112:113], -v[106:107], v[108:109], 1.0
	v_fma_f64 v[108:109], v[108:109], v[112:113], v[108:109]
	v_mul_f64 v[112:113], v[110:111], v[108:109]
	v_fma_f64 v[106:107], -v[106:107], v[112:113], v[110:111]
	v_div_fmas_f64 v[106:107], v[106:107], v[108:109], v[112:113]
	v_div_fixup_f64 v[106:107], v[106:107], v[121:122], v[123:124]
	v_fma_f64 v[108:109], v[123:124], v[106:107], v[121:122]
	v_div_scale_f64 v[110:111], s[20:21], v[108:109], v[108:109], 1.0
	v_div_scale_f64 v[116:117], vcc, 1.0, v[108:109], 1.0
	v_rcp_f64_e32 v[112:113], v[110:111]
	v_fma_f64 v[114:115], -v[110:111], v[112:113], 1.0
	v_fma_f64 v[112:113], v[112:113], v[114:115], v[112:113]
	v_fma_f64 v[114:115], -v[110:111], v[112:113], 1.0
	v_fma_f64 v[112:113], v[112:113], v[114:115], v[112:113]
	v_mul_f64 v[114:115], v[116:117], v[112:113]
	v_fma_f64 v[110:111], -v[110:111], v[114:115], v[116:117]
	v_div_fmas_f64 v[110:111], v[110:111], v[112:113], v[114:115]
	v_div_fixup_f64 v[121:122], v[110:111], v[108:109], 1.0
	v_mul_f64 v[123:124], v[106:107], -v[121:122]
.LBB68_240:
	s_or_b64 exec, exec, s[18:19]
.LBB68_241:
	s_or_b64 exec, exec, s[0:1]
	v_cmp_ne_u32_e32 vcc, v104, v105
	s_and_saveexec_b64 s[0:1], vcc
	s_xor_b64 s[0:1], exec, s[0:1]
	s_cbranch_execz .LBB68_247
; %bb.242:
	v_cmp_eq_u32_e32 vcc, 11, v104
	s_and_saveexec_b64 s[18:19], vcc
	s_cbranch_execz .LBB68_246
; %bb.243:
	v_cmp_ne_u32_e32 vcc, 11, v105
	s_xor_b64 s[20:21], s[6:7], -1
	s_and_b64 s[22:23], s[20:21], vcc
	s_and_saveexec_b64 s[20:21], s[22:23]
	s_cbranch_execz .LBB68_245
; %bb.244:
	v_ashrrev_i32_e32 v106, 31, v105
	v_lshlrev_b64 v[106:107], 2, v[105:106]
	v_add_co_u32_e32 v106, vcc, v119, v106
	v_addc_co_u32_e32 v107, vcc, v120, v107, vcc
	global_load_dword v0, v[106:107], off
	global_load_dword v104, v[119:120], off offset:44
	s_waitcnt vmcnt(1)
	global_store_dword v[119:120], v0, off offset:44
	s_waitcnt vmcnt(1)
	global_store_dword v[106:107], v104, off
.LBB68_245:
	s_or_b64 exec, exec, s[20:21]
	v_mov_b32_e32 v104, v105
	v_mov_b32_e32 v0, v105
.LBB68_246:
	s_or_b64 exec, exec, s[18:19]
.LBB68_247:
	s_andn2_saveexec_b64 s[0:1], s[0:1]
	s_cbranch_execz .LBB68_249
; %bb.248:
	v_mov_b32_e32 v104, 11
	ds_write2_b64 v102, v[85:86], v[87:88] offset0:24 offset1:25
	ds_write2_b64 v102, v[81:82], v[83:84] offset0:26 offset1:27
	ds_write2_b64 v102, v[77:78], v[79:80] offset0:28 offset1:29
	ds_write2_b64 v102, v[73:74], v[75:76] offset0:30 offset1:31
	ds_write2_b64 v102, v[69:70], v[71:72] offset0:32 offset1:33
	ds_write2_b64 v102, v[65:66], v[67:68] offset0:34 offset1:35
	ds_write2_b64 v102, v[61:62], v[63:64] offset0:36 offset1:37
	ds_write2_b64 v102, v[57:58], v[59:60] offset0:38 offset1:39
	ds_write2_b64 v102, v[53:54], v[55:56] offset0:40 offset1:41
	ds_write2_b64 v102, v[49:50], v[51:52] offset0:42 offset1:43
	ds_write2_b64 v102, v[45:46], v[47:48] offset0:44 offset1:45
	ds_write2_b64 v102, v[41:42], v[43:44] offset0:46 offset1:47
	ds_write2_b64 v102, v[37:38], v[39:40] offset0:48 offset1:49
	ds_write2_b64 v102, v[33:34], v[35:36] offset0:50 offset1:51
	ds_write2_b64 v102, v[29:30], v[31:32] offset0:52 offset1:53
	ds_write2_b64 v102, v[25:26], v[27:28] offset0:54 offset1:55
	ds_write2_b64 v102, v[21:22], v[23:24] offset0:56 offset1:57
	ds_write2_b64 v102, v[17:18], v[19:20] offset0:58 offset1:59
	ds_write2_b64 v102, v[13:14], v[15:16] offset0:60 offset1:61
	ds_write2_b64 v102, v[9:10], v[11:12] offset0:62 offset1:63
	ds_write2_b64 v102, v[5:6], v[7:8] offset0:64 offset1:65
	ds_write2_b64 v102, v[1:2], v[3:4] offset0:66 offset1:67
	ds_write2_b64 v102, v[97:98], v[99:100] offset0:68 offset1:69
.LBB68_249:
	s_or_b64 exec, exec, s[0:1]
	v_cmp_lt_i32_e32 vcc, 11, v104
	s_waitcnt vmcnt(0) lgkmcnt(0)
	s_barrier
	s_and_saveexec_b64 s[0:1], vcc
	s_cbranch_execz .LBB68_251
; %bb.250:
	v_mul_f64 v[105:106], v[123:124], v[91:92]
	v_mul_f64 v[91:92], v[121:122], v[91:92]
	v_fma_f64 v[125:126], v[121:122], v[89:90], -v[105:106]
	v_fma_f64 v[91:92], v[123:124], v[89:90], v[91:92]
	ds_read2_b64 v[105:108], v102 offset0:24 offset1:25
	s_waitcnt lgkmcnt(0)
	v_mul_f64 v[89:90], v[107:108], v[91:92]
	v_fma_f64 v[89:90], v[105:106], v[125:126], -v[89:90]
	v_mul_f64 v[105:106], v[105:106], v[91:92]
	v_add_f64 v[85:86], v[85:86], -v[89:90]
	v_fma_f64 v[105:106], v[107:108], v[125:126], v[105:106]
	v_add_f64 v[87:88], v[87:88], -v[105:106]
	ds_read2_b64 v[105:108], v102 offset0:26 offset1:27
	s_waitcnt lgkmcnt(0)
	v_mul_f64 v[89:90], v[107:108], v[91:92]
	v_fma_f64 v[89:90], v[105:106], v[125:126], -v[89:90]
	v_mul_f64 v[105:106], v[105:106], v[91:92]
	v_add_f64 v[81:82], v[81:82], -v[89:90]
	v_fma_f64 v[105:106], v[107:108], v[125:126], v[105:106]
	v_add_f64 v[83:84], v[83:84], -v[105:106]
	;; [unrolled: 8-line block ×22, first 2 shown]
	ds_read2_b64 v[105:108], v102 offset0:68 offset1:69
	s_waitcnt lgkmcnt(0)
	v_mul_f64 v[89:90], v[107:108], v[91:92]
	v_fma_f64 v[89:90], v[105:106], v[125:126], -v[89:90]
	v_mul_f64 v[105:106], v[105:106], v[91:92]
	v_add_f64 v[97:98], v[97:98], -v[89:90]
	v_fma_f64 v[105:106], v[107:108], v[125:126], v[105:106]
	v_mov_b32_e32 v89, v125
	v_mov_b32_e32 v90, v126
	v_add_f64 v[99:100], v[99:100], -v[105:106]
.LBB68_251:
	s_or_b64 exec, exec, s[0:1]
	v_lshl_add_u32 v105, v104, 4, v102
	s_barrier
	ds_write2_b64 v105, v[85:86], v[87:88] offset1:1
	s_waitcnt lgkmcnt(0)
	s_barrier
	ds_read2_b64 v[121:124], v102 offset0:24 offset1:25
	s_cmp_lt_i32 s3, 14
	v_mov_b32_e32 v105, 12
	s_cbranch_scc1 .LBB68_254
; %bb.252:
	v_add_u32_e32 v106, 0xd0, v102
	s_mov_b32 s0, 13
	v_mov_b32_e32 v105, 12
.LBB68_253:                             ; =>This Inner Loop Header: Depth=1
	s_waitcnt lgkmcnt(0)
	v_cmp_gt_f64_e32 vcc, 0, v[121:122]
	v_xor_b32_e32 v111, 0x80000000, v122
	ds_read2_b64 v[107:110], v106 offset1:1
	v_xor_b32_e32 v113, 0x80000000, v124
	v_add_u32_e32 v106, 16, v106
	s_waitcnt lgkmcnt(0)
	v_xor_b32_e32 v115, 0x80000000, v110
	v_cndmask_b32_e32 v112, v122, v111, vcc
	v_cmp_gt_f64_e32 vcc, 0, v[123:124]
	v_mov_b32_e32 v111, v121
	v_cndmask_b32_e32 v114, v124, v113, vcc
	v_cmp_gt_f64_e32 vcc, 0, v[107:108]
	v_mov_b32_e32 v113, v123
	v_add_f64 v[111:112], v[111:112], v[113:114]
	v_xor_b32_e32 v113, 0x80000000, v108
	v_cndmask_b32_e32 v114, v108, v113, vcc
	v_cmp_gt_f64_e32 vcc, 0, v[109:110]
	v_mov_b32_e32 v113, v107
	v_cndmask_b32_e32 v116, v110, v115, vcc
	v_mov_b32_e32 v115, v109
	v_add_f64 v[113:114], v[113:114], v[115:116]
	v_cmp_lt_f64_e32 vcc, v[111:112], v[113:114]
	v_cndmask_b32_e32 v121, v121, v107, vcc
	v_mov_b32_e32 v107, s0
	s_add_i32 s0, s0, 1
	v_cndmask_b32_e32 v122, v122, v108, vcc
	v_cndmask_b32_e32 v124, v124, v110, vcc
	;; [unrolled: 1-line block ×4, first 2 shown]
	s_cmp_lg_u32 s3, s0
	s_cbranch_scc1 .LBB68_253
.LBB68_254:
	s_waitcnt lgkmcnt(0)
	v_cmp_eq_f64_e32 vcc, 0, v[121:122]
	v_cmp_eq_f64_e64 s[0:1], 0, v[123:124]
	s_and_b64 s[0:1], vcc, s[0:1]
	s_and_saveexec_b64 s[18:19], s[0:1]
	s_xor_b64 s[0:1], exec, s[18:19]
; %bb.255:
	v_cmp_ne_u32_e32 vcc, 0, v103
	v_cndmask_b32_e32 v103, 13, v103, vcc
; %bb.256:
	s_andn2_saveexec_b64 s[0:1], s[0:1]
	s_cbranch_execz .LBB68_262
; %bb.257:
	v_cmp_ngt_f64_e64 s[18:19], |v[121:122]|, |v[123:124]|
	s_and_saveexec_b64 s[20:21], s[18:19]
	s_xor_b64 s[18:19], exec, s[20:21]
	s_cbranch_execz .LBB68_259
; %bb.258:
	v_div_scale_f64 v[106:107], s[20:21], v[123:124], v[123:124], v[121:122]
	v_rcp_f64_e32 v[108:109], v[106:107]
	v_fma_f64 v[110:111], -v[106:107], v[108:109], 1.0
	v_fma_f64 v[108:109], v[108:109], v[110:111], v[108:109]
	v_div_scale_f64 v[110:111], vcc, v[121:122], v[123:124], v[121:122]
	v_fma_f64 v[112:113], -v[106:107], v[108:109], 1.0
	v_fma_f64 v[108:109], v[108:109], v[112:113], v[108:109]
	v_mul_f64 v[112:113], v[110:111], v[108:109]
	v_fma_f64 v[106:107], -v[106:107], v[112:113], v[110:111]
	v_div_fmas_f64 v[106:107], v[106:107], v[108:109], v[112:113]
	v_div_fixup_f64 v[106:107], v[106:107], v[123:124], v[121:122]
	v_fma_f64 v[108:109], v[121:122], v[106:107], v[123:124]
	v_div_scale_f64 v[110:111], s[20:21], v[108:109], v[108:109], 1.0
	v_div_scale_f64 v[116:117], vcc, 1.0, v[108:109], 1.0
	v_rcp_f64_e32 v[112:113], v[110:111]
	v_fma_f64 v[114:115], -v[110:111], v[112:113], 1.0
	v_fma_f64 v[112:113], v[112:113], v[114:115], v[112:113]
	v_fma_f64 v[114:115], -v[110:111], v[112:113], 1.0
	v_fma_f64 v[112:113], v[112:113], v[114:115], v[112:113]
	v_mul_f64 v[114:115], v[116:117], v[112:113]
	v_fma_f64 v[110:111], -v[110:111], v[114:115], v[116:117]
	v_div_fmas_f64 v[110:111], v[110:111], v[112:113], v[114:115]
	v_div_fixup_f64 v[123:124], v[110:111], v[108:109], 1.0
	v_mul_f64 v[121:122], v[106:107], v[123:124]
	v_xor_b32_e32 v124, 0x80000000, v124
.LBB68_259:
	s_andn2_saveexec_b64 s[18:19], s[18:19]
	s_cbranch_execz .LBB68_261
; %bb.260:
	v_div_scale_f64 v[106:107], s[20:21], v[121:122], v[121:122], v[123:124]
	v_rcp_f64_e32 v[108:109], v[106:107]
	v_fma_f64 v[110:111], -v[106:107], v[108:109], 1.0
	v_fma_f64 v[108:109], v[108:109], v[110:111], v[108:109]
	v_div_scale_f64 v[110:111], vcc, v[123:124], v[121:122], v[123:124]
	v_fma_f64 v[112:113], -v[106:107], v[108:109], 1.0
	v_fma_f64 v[108:109], v[108:109], v[112:113], v[108:109]
	v_mul_f64 v[112:113], v[110:111], v[108:109]
	v_fma_f64 v[106:107], -v[106:107], v[112:113], v[110:111]
	v_div_fmas_f64 v[106:107], v[106:107], v[108:109], v[112:113]
	v_div_fixup_f64 v[106:107], v[106:107], v[121:122], v[123:124]
	v_fma_f64 v[108:109], v[123:124], v[106:107], v[121:122]
	v_div_scale_f64 v[110:111], s[20:21], v[108:109], v[108:109], 1.0
	v_div_scale_f64 v[116:117], vcc, 1.0, v[108:109], 1.0
	v_rcp_f64_e32 v[112:113], v[110:111]
	v_fma_f64 v[114:115], -v[110:111], v[112:113], 1.0
	v_fma_f64 v[112:113], v[112:113], v[114:115], v[112:113]
	v_fma_f64 v[114:115], -v[110:111], v[112:113], 1.0
	v_fma_f64 v[112:113], v[112:113], v[114:115], v[112:113]
	v_mul_f64 v[114:115], v[116:117], v[112:113]
	v_fma_f64 v[110:111], -v[110:111], v[114:115], v[116:117]
	v_div_fmas_f64 v[110:111], v[110:111], v[112:113], v[114:115]
	v_div_fixup_f64 v[121:122], v[110:111], v[108:109], 1.0
	v_mul_f64 v[123:124], v[106:107], -v[121:122]
.LBB68_261:
	s_or_b64 exec, exec, s[18:19]
.LBB68_262:
	s_or_b64 exec, exec, s[0:1]
	v_cmp_ne_u32_e32 vcc, v104, v105
	s_and_saveexec_b64 s[0:1], vcc
	s_xor_b64 s[0:1], exec, s[0:1]
	s_cbranch_execz .LBB68_268
; %bb.263:
	v_cmp_eq_u32_e32 vcc, 12, v104
	s_and_saveexec_b64 s[18:19], vcc
	s_cbranch_execz .LBB68_267
; %bb.264:
	v_cmp_ne_u32_e32 vcc, 12, v105
	s_xor_b64 s[20:21], s[6:7], -1
	s_and_b64 s[22:23], s[20:21], vcc
	s_and_saveexec_b64 s[20:21], s[22:23]
	s_cbranch_execz .LBB68_266
; %bb.265:
	v_ashrrev_i32_e32 v106, 31, v105
	v_lshlrev_b64 v[106:107], 2, v[105:106]
	v_add_co_u32_e32 v106, vcc, v119, v106
	v_addc_co_u32_e32 v107, vcc, v120, v107, vcc
	global_load_dword v0, v[106:107], off
	global_load_dword v104, v[119:120], off offset:48
	s_waitcnt vmcnt(1)
	global_store_dword v[119:120], v0, off offset:48
	s_waitcnt vmcnt(1)
	global_store_dword v[106:107], v104, off
.LBB68_266:
	s_or_b64 exec, exec, s[20:21]
	v_mov_b32_e32 v104, v105
	v_mov_b32_e32 v0, v105
.LBB68_267:
	s_or_b64 exec, exec, s[18:19]
.LBB68_268:
	s_andn2_saveexec_b64 s[0:1], s[0:1]
	s_cbranch_execz .LBB68_270
; %bb.269:
	v_mov_b32_e32 v104, 12
	ds_write2_b64 v102, v[81:82], v[83:84] offset0:26 offset1:27
	ds_write2_b64 v102, v[77:78], v[79:80] offset0:28 offset1:29
	;; [unrolled: 1-line block ×22, first 2 shown]
.LBB68_270:
	s_or_b64 exec, exec, s[0:1]
	v_cmp_lt_i32_e32 vcc, 12, v104
	s_waitcnt vmcnt(0) lgkmcnt(0)
	s_barrier
	s_and_saveexec_b64 s[0:1], vcc
	s_cbranch_execz .LBB68_272
; %bb.271:
	v_mul_f64 v[105:106], v[123:124], v[87:88]
	v_mul_f64 v[87:88], v[121:122], v[87:88]
	v_fma_f64 v[125:126], v[121:122], v[85:86], -v[105:106]
	v_fma_f64 v[87:88], v[123:124], v[85:86], v[87:88]
	ds_read2_b64 v[105:108], v102 offset0:26 offset1:27
	s_waitcnt lgkmcnt(0)
	v_mul_f64 v[85:86], v[107:108], v[87:88]
	v_fma_f64 v[85:86], v[105:106], v[125:126], -v[85:86]
	v_mul_f64 v[105:106], v[105:106], v[87:88]
	v_add_f64 v[81:82], v[81:82], -v[85:86]
	v_fma_f64 v[105:106], v[107:108], v[125:126], v[105:106]
	v_add_f64 v[83:84], v[83:84], -v[105:106]
	ds_read2_b64 v[105:108], v102 offset0:28 offset1:29
	s_waitcnt lgkmcnt(0)
	v_mul_f64 v[85:86], v[107:108], v[87:88]
	v_fma_f64 v[85:86], v[105:106], v[125:126], -v[85:86]
	v_mul_f64 v[105:106], v[105:106], v[87:88]
	v_add_f64 v[77:78], v[77:78], -v[85:86]
	v_fma_f64 v[105:106], v[107:108], v[125:126], v[105:106]
	v_add_f64 v[79:80], v[79:80], -v[105:106]
	;; [unrolled: 8-line block ×21, first 2 shown]
	ds_read2_b64 v[105:108], v102 offset0:68 offset1:69
	s_waitcnt lgkmcnt(0)
	v_mul_f64 v[85:86], v[107:108], v[87:88]
	v_fma_f64 v[85:86], v[105:106], v[125:126], -v[85:86]
	v_mul_f64 v[105:106], v[105:106], v[87:88]
	v_add_f64 v[97:98], v[97:98], -v[85:86]
	v_fma_f64 v[105:106], v[107:108], v[125:126], v[105:106]
	v_mov_b32_e32 v85, v125
	v_mov_b32_e32 v86, v126
	v_add_f64 v[99:100], v[99:100], -v[105:106]
.LBB68_272:
	s_or_b64 exec, exec, s[0:1]
	v_lshl_add_u32 v105, v104, 4, v102
	s_barrier
	ds_write2_b64 v105, v[81:82], v[83:84] offset1:1
	s_waitcnt lgkmcnt(0)
	s_barrier
	ds_read2_b64 v[121:124], v102 offset0:26 offset1:27
	s_cmp_lt_i32 s3, 15
	v_mov_b32_e32 v105, 13
	s_cbranch_scc1 .LBB68_275
; %bb.273:
	v_add_u32_e32 v106, 0xe0, v102
	s_mov_b32 s0, 14
	v_mov_b32_e32 v105, 13
.LBB68_274:                             ; =>This Inner Loop Header: Depth=1
	s_waitcnt lgkmcnt(0)
	v_cmp_gt_f64_e32 vcc, 0, v[121:122]
	v_xor_b32_e32 v111, 0x80000000, v122
	ds_read2_b64 v[107:110], v106 offset1:1
	v_xor_b32_e32 v113, 0x80000000, v124
	v_add_u32_e32 v106, 16, v106
	s_waitcnt lgkmcnt(0)
	v_xor_b32_e32 v115, 0x80000000, v110
	v_cndmask_b32_e32 v112, v122, v111, vcc
	v_cmp_gt_f64_e32 vcc, 0, v[123:124]
	v_mov_b32_e32 v111, v121
	v_cndmask_b32_e32 v114, v124, v113, vcc
	v_cmp_gt_f64_e32 vcc, 0, v[107:108]
	v_mov_b32_e32 v113, v123
	v_add_f64 v[111:112], v[111:112], v[113:114]
	v_xor_b32_e32 v113, 0x80000000, v108
	v_cndmask_b32_e32 v114, v108, v113, vcc
	v_cmp_gt_f64_e32 vcc, 0, v[109:110]
	v_mov_b32_e32 v113, v107
	v_cndmask_b32_e32 v116, v110, v115, vcc
	v_mov_b32_e32 v115, v109
	v_add_f64 v[113:114], v[113:114], v[115:116]
	v_cmp_lt_f64_e32 vcc, v[111:112], v[113:114]
	v_cndmask_b32_e32 v121, v121, v107, vcc
	v_mov_b32_e32 v107, s0
	s_add_i32 s0, s0, 1
	v_cndmask_b32_e32 v122, v122, v108, vcc
	v_cndmask_b32_e32 v124, v124, v110, vcc
	;; [unrolled: 1-line block ×4, first 2 shown]
	s_cmp_lg_u32 s3, s0
	s_cbranch_scc1 .LBB68_274
.LBB68_275:
	s_waitcnt lgkmcnt(0)
	v_cmp_eq_f64_e32 vcc, 0, v[121:122]
	v_cmp_eq_f64_e64 s[0:1], 0, v[123:124]
	s_and_b64 s[0:1], vcc, s[0:1]
	s_and_saveexec_b64 s[18:19], s[0:1]
	s_xor_b64 s[0:1], exec, s[18:19]
; %bb.276:
	v_cmp_ne_u32_e32 vcc, 0, v103
	v_cndmask_b32_e32 v103, 14, v103, vcc
; %bb.277:
	s_andn2_saveexec_b64 s[0:1], s[0:1]
	s_cbranch_execz .LBB68_283
; %bb.278:
	v_cmp_ngt_f64_e64 s[18:19], |v[121:122]|, |v[123:124]|
	s_and_saveexec_b64 s[20:21], s[18:19]
	s_xor_b64 s[18:19], exec, s[20:21]
	s_cbranch_execz .LBB68_280
; %bb.279:
	v_div_scale_f64 v[106:107], s[20:21], v[123:124], v[123:124], v[121:122]
	v_rcp_f64_e32 v[108:109], v[106:107]
	v_fma_f64 v[110:111], -v[106:107], v[108:109], 1.0
	v_fma_f64 v[108:109], v[108:109], v[110:111], v[108:109]
	v_div_scale_f64 v[110:111], vcc, v[121:122], v[123:124], v[121:122]
	v_fma_f64 v[112:113], -v[106:107], v[108:109], 1.0
	v_fma_f64 v[108:109], v[108:109], v[112:113], v[108:109]
	v_mul_f64 v[112:113], v[110:111], v[108:109]
	v_fma_f64 v[106:107], -v[106:107], v[112:113], v[110:111]
	v_div_fmas_f64 v[106:107], v[106:107], v[108:109], v[112:113]
	v_div_fixup_f64 v[106:107], v[106:107], v[123:124], v[121:122]
	v_fma_f64 v[108:109], v[121:122], v[106:107], v[123:124]
	v_div_scale_f64 v[110:111], s[20:21], v[108:109], v[108:109], 1.0
	v_div_scale_f64 v[116:117], vcc, 1.0, v[108:109], 1.0
	v_rcp_f64_e32 v[112:113], v[110:111]
	v_fma_f64 v[114:115], -v[110:111], v[112:113], 1.0
	v_fma_f64 v[112:113], v[112:113], v[114:115], v[112:113]
	v_fma_f64 v[114:115], -v[110:111], v[112:113], 1.0
	v_fma_f64 v[112:113], v[112:113], v[114:115], v[112:113]
	v_mul_f64 v[114:115], v[116:117], v[112:113]
	v_fma_f64 v[110:111], -v[110:111], v[114:115], v[116:117]
	v_div_fmas_f64 v[110:111], v[110:111], v[112:113], v[114:115]
	v_div_fixup_f64 v[123:124], v[110:111], v[108:109], 1.0
	v_mul_f64 v[121:122], v[106:107], v[123:124]
	v_xor_b32_e32 v124, 0x80000000, v124
.LBB68_280:
	s_andn2_saveexec_b64 s[18:19], s[18:19]
	s_cbranch_execz .LBB68_282
; %bb.281:
	v_div_scale_f64 v[106:107], s[20:21], v[121:122], v[121:122], v[123:124]
	v_rcp_f64_e32 v[108:109], v[106:107]
	v_fma_f64 v[110:111], -v[106:107], v[108:109], 1.0
	v_fma_f64 v[108:109], v[108:109], v[110:111], v[108:109]
	v_div_scale_f64 v[110:111], vcc, v[123:124], v[121:122], v[123:124]
	v_fma_f64 v[112:113], -v[106:107], v[108:109], 1.0
	v_fma_f64 v[108:109], v[108:109], v[112:113], v[108:109]
	v_mul_f64 v[112:113], v[110:111], v[108:109]
	v_fma_f64 v[106:107], -v[106:107], v[112:113], v[110:111]
	v_div_fmas_f64 v[106:107], v[106:107], v[108:109], v[112:113]
	v_div_fixup_f64 v[106:107], v[106:107], v[121:122], v[123:124]
	v_fma_f64 v[108:109], v[123:124], v[106:107], v[121:122]
	v_div_scale_f64 v[110:111], s[20:21], v[108:109], v[108:109], 1.0
	v_div_scale_f64 v[116:117], vcc, 1.0, v[108:109], 1.0
	v_rcp_f64_e32 v[112:113], v[110:111]
	v_fma_f64 v[114:115], -v[110:111], v[112:113], 1.0
	v_fma_f64 v[112:113], v[112:113], v[114:115], v[112:113]
	v_fma_f64 v[114:115], -v[110:111], v[112:113], 1.0
	v_fma_f64 v[112:113], v[112:113], v[114:115], v[112:113]
	v_mul_f64 v[114:115], v[116:117], v[112:113]
	v_fma_f64 v[110:111], -v[110:111], v[114:115], v[116:117]
	v_div_fmas_f64 v[110:111], v[110:111], v[112:113], v[114:115]
	v_div_fixup_f64 v[121:122], v[110:111], v[108:109], 1.0
	v_mul_f64 v[123:124], v[106:107], -v[121:122]
.LBB68_282:
	s_or_b64 exec, exec, s[18:19]
.LBB68_283:
	s_or_b64 exec, exec, s[0:1]
	v_cmp_ne_u32_e32 vcc, v104, v105
	s_and_saveexec_b64 s[0:1], vcc
	s_xor_b64 s[0:1], exec, s[0:1]
	s_cbranch_execz .LBB68_289
; %bb.284:
	v_cmp_eq_u32_e32 vcc, 13, v104
	s_and_saveexec_b64 s[18:19], vcc
	s_cbranch_execz .LBB68_288
; %bb.285:
	v_cmp_ne_u32_e32 vcc, 13, v105
	s_xor_b64 s[20:21], s[6:7], -1
	s_and_b64 s[22:23], s[20:21], vcc
	s_and_saveexec_b64 s[20:21], s[22:23]
	s_cbranch_execz .LBB68_287
; %bb.286:
	v_ashrrev_i32_e32 v106, 31, v105
	v_lshlrev_b64 v[106:107], 2, v[105:106]
	v_add_co_u32_e32 v106, vcc, v119, v106
	v_addc_co_u32_e32 v107, vcc, v120, v107, vcc
	global_load_dword v0, v[106:107], off
	global_load_dword v104, v[119:120], off offset:52
	s_waitcnt vmcnt(1)
	global_store_dword v[119:120], v0, off offset:52
	s_waitcnt vmcnt(1)
	global_store_dword v[106:107], v104, off
.LBB68_287:
	s_or_b64 exec, exec, s[20:21]
	v_mov_b32_e32 v104, v105
	v_mov_b32_e32 v0, v105
.LBB68_288:
	s_or_b64 exec, exec, s[18:19]
.LBB68_289:
	s_andn2_saveexec_b64 s[0:1], s[0:1]
	s_cbranch_execz .LBB68_291
; %bb.290:
	v_mov_b32_e32 v104, 13
	ds_write2_b64 v102, v[77:78], v[79:80] offset0:28 offset1:29
	ds_write2_b64 v102, v[73:74], v[75:76] offset0:30 offset1:31
	;; [unrolled: 1-line block ×21, first 2 shown]
.LBB68_291:
	s_or_b64 exec, exec, s[0:1]
	v_cmp_lt_i32_e32 vcc, 13, v104
	s_waitcnt vmcnt(0) lgkmcnt(0)
	s_barrier
	s_and_saveexec_b64 s[0:1], vcc
	s_cbranch_execz .LBB68_293
; %bb.292:
	v_mul_f64 v[105:106], v[123:124], v[83:84]
	v_mul_f64 v[83:84], v[121:122], v[83:84]
	v_fma_f64 v[125:126], v[121:122], v[81:82], -v[105:106]
	v_fma_f64 v[83:84], v[123:124], v[81:82], v[83:84]
	ds_read2_b64 v[105:108], v102 offset0:28 offset1:29
	s_waitcnt lgkmcnt(0)
	v_mul_f64 v[81:82], v[107:108], v[83:84]
	v_fma_f64 v[81:82], v[105:106], v[125:126], -v[81:82]
	v_mul_f64 v[105:106], v[105:106], v[83:84]
	v_add_f64 v[77:78], v[77:78], -v[81:82]
	v_fma_f64 v[105:106], v[107:108], v[125:126], v[105:106]
	v_add_f64 v[79:80], v[79:80], -v[105:106]
	ds_read2_b64 v[105:108], v102 offset0:30 offset1:31
	s_waitcnt lgkmcnt(0)
	v_mul_f64 v[81:82], v[107:108], v[83:84]
	v_fma_f64 v[81:82], v[105:106], v[125:126], -v[81:82]
	v_mul_f64 v[105:106], v[105:106], v[83:84]
	v_add_f64 v[73:74], v[73:74], -v[81:82]
	v_fma_f64 v[105:106], v[107:108], v[125:126], v[105:106]
	v_add_f64 v[75:76], v[75:76], -v[105:106]
	;; [unrolled: 8-line block ×20, first 2 shown]
	ds_read2_b64 v[105:108], v102 offset0:68 offset1:69
	s_waitcnt lgkmcnt(0)
	v_mul_f64 v[81:82], v[107:108], v[83:84]
	v_fma_f64 v[81:82], v[105:106], v[125:126], -v[81:82]
	v_mul_f64 v[105:106], v[105:106], v[83:84]
	v_add_f64 v[97:98], v[97:98], -v[81:82]
	v_fma_f64 v[105:106], v[107:108], v[125:126], v[105:106]
	v_mov_b32_e32 v81, v125
	v_mov_b32_e32 v82, v126
	v_add_f64 v[99:100], v[99:100], -v[105:106]
.LBB68_293:
	s_or_b64 exec, exec, s[0:1]
	v_lshl_add_u32 v105, v104, 4, v102
	s_barrier
	ds_write2_b64 v105, v[77:78], v[79:80] offset1:1
	s_waitcnt lgkmcnt(0)
	s_barrier
	ds_read2_b64 v[121:124], v102 offset0:28 offset1:29
	s_cmp_lt_i32 s3, 16
	v_mov_b32_e32 v105, 14
	s_cbranch_scc1 .LBB68_296
; %bb.294:
	v_add_u32_e32 v106, 0xf0, v102
	s_mov_b32 s0, 15
	v_mov_b32_e32 v105, 14
.LBB68_295:                             ; =>This Inner Loop Header: Depth=1
	s_waitcnt lgkmcnt(0)
	v_cmp_gt_f64_e32 vcc, 0, v[121:122]
	v_xor_b32_e32 v111, 0x80000000, v122
	ds_read2_b64 v[107:110], v106 offset1:1
	v_xor_b32_e32 v113, 0x80000000, v124
	v_add_u32_e32 v106, 16, v106
	s_waitcnt lgkmcnt(0)
	v_xor_b32_e32 v115, 0x80000000, v110
	v_cndmask_b32_e32 v112, v122, v111, vcc
	v_cmp_gt_f64_e32 vcc, 0, v[123:124]
	v_mov_b32_e32 v111, v121
	v_cndmask_b32_e32 v114, v124, v113, vcc
	v_cmp_gt_f64_e32 vcc, 0, v[107:108]
	v_mov_b32_e32 v113, v123
	v_add_f64 v[111:112], v[111:112], v[113:114]
	v_xor_b32_e32 v113, 0x80000000, v108
	v_cndmask_b32_e32 v114, v108, v113, vcc
	v_cmp_gt_f64_e32 vcc, 0, v[109:110]
	v_mov_b32_e32 v113, v107
	v_cndmask_b32_e32 v116, v110, v115, vcc
	v_mov_b32_e32 v115, v109
	v_add_f64 v[113:114], v[113:114], v[115:116]
	v_cmp_lt_f64_e32 vcc, v[111:112], v[113:114]
	v_cndmask_b32_e32 v121, v121, v107, vcc
	v_mov_b32_e32 v107, s0
	s_add_i32 s0, s0, 1
	v_cndmask_b32_e32 v122, v122, v108, vcc
	v_cndmask_b32_e32 v124, v124, v110, vcc
	;; [unrolled: 1-line block ×4, first 2 shown]
	s_cmp_lg_u32 s3, s0
	s_cbranch_scc1 .LBB68_295
.LBB68_296:
	s_waitcnt lgkmcnt(0)
	v_cmp_eq_f64_e32 vcc, 0, v[121:122]
	v_cmp_eq_f64_e64 s[0:1], 0, v[123:124]
	s_and_b64 s[0:1], vcc, s[0:1]
	s_and_saveexec_b64 s[18:19], s[0:1]
	s_xor_b64 s[0:1], exec, s[18:19]
; %bb.297:
	v_cmp_ne_u32_e32 vcc, 0, v103
	v_cndmask_b32_e32 v103, 15, v103, vcc
; %bb.298:
	s_andn2_saveexec_b64 s[0:1], s[0:1]
	s_cbranch_execz .LBB68_304
; %bb.299:
	v_cmp_ngt_f64_e64 s[18:19], |v[121:122]|, |v[123:124]|
	s_and_saveexec_b64 s[20:21], s[18:19]
	s_xor_b64 s[18:19], exec, s[20:21]
	s_cbranch_execz .LBB68_301
; %bb.300:
	v_div_scale_f64 v[106:107], s[20:21], v[123:124], v[123:124], v[121:122]
	v_rcp_f64_e32 v[108:109], v[106:107]
	v_fma_f64 v[110:111], -v[106:107], v[108:109], 1.0
	v_fma_f64 v[108:109], v[108:109], v[110:111], v[108:109]
	v_div_scale_f64 v[110:111], vcc, v[121:122], v[123:124], v[121:122]
	v_fma_f64 v[112:113], -v[106:107], v[108:109], 1.0
	v_fma_f64 v[108:109], v[108:109], v[112:113], v[108:109]
	v_mul_f64 v[112:113], v[110:111], v[108:109]
	v_fma_f64 v[106:107], -v[106:107], v[112:113], v[110:111]
	v_div_fmas_f64 v[106:107], v[106:107], v[108:109], v[112:113]
	v_div_fixup_f64 v[106:107], v[106:107], v[123:124], v[121:122]
	v_fma_f64 v[108:109], v[121:122], v[106:107], v[123:124]
	v_div_scale_f64 v[110:111], s[20:21], v[108:109], v[108:109], 1.0
	v_div_scale_f64 v[116:117], vcc, 1.0, v[108:109], 1.0
	v_rcp_f64_e32 v[112:113], v[110:111]
	v_fma_f64 v[114:115], -v[110:111], v[112:113], 1.0
	v_fma_f64 v[112:113], v[112:113], v[114:115], v[112:113]
	v_fma_f64 v[114:115], -v[110:111], v[112:113], 1.0
	v_fma_f64 v[112:113], v[112:113], v[114:115], v[112:113]
	v_mul_f64 v[114:115], v[116:117], v[112:113]
	v_fma_f64 v[110:111], -v[110:111], v[114:115], v[116:117]
	v_div_fmas_f64 v[110:111], v[110:111], v[112:113], v[114:115]
	v_div_fixup_f64 v[123:124], v[110:111], v[108:109], 1.0
	v_mul_f64 v[121:122], v[106:107], v[123:124]
	v_xor_b32_e32 v124, 0x80000000, v124
.LBB68_301:
	s_andn2_saveexec_b64 s[18:19], s[18:19]
	s_cbranch_execz .LBB68_303
; %bb.302:
	v_div_scale_f64 v[106:107], s[20:21], v[121:122], v[121:122], v[123:124]
	v_rcp_f64_e32 v[108:109], v[106:107]
	v_fma_f64 v[110:111], -v[106:107], v[108:109], 1.0
	v_fma_f64 v[108:109], v[108:109], v[110:111], v[108:109]
	v_div_scale_f64 v[110:111], vcc, v[123:124], v[121:122], v[123:124]
	v_fma_f64 v[112:113], -v[106:107], v[108:109], 1.0
	v_fma_f64 v[108:109], v[108:109], v[112:113], v[108:109]
	v_mul_f64 v[112:113], v[110:111], v[108:109]
	v_fma_f64 v[106:107], -v[106:107], v[112:113], v[110:111]
	v_div_fmas_f64 v[106:107], v[106:107], v[108:109], v[112:113]
	v_div_fixup_f64 v[106:107], v[106:107], v[121:122], v[123:124]
	v_fma_f64 v[108:109], v[123:124], v[106:107], v[121:122]
	v_div_scale_f64 v[110:111], s[20:21], v[108:109], v[108:109], 1.0
	v_div_scale_f64 v[116:117], vcc, 1.0, v[108:109], 1.0
	v_rcp_f64_e32 v[112:113], v[110:111]
	v_fma_f64 v[114:115], -v[110:111], v[112:113], 1.0
	v_fma_f64 v[112:113], v[112:113], v[114:115], v[112:113]
	v_fma_f64 v[114:115], -v[110:111], v[112:113], 1.0
	v_fma_f64 v[112:113], v[112:113], v[114:115], v[112:113]
	v_mul_f64 v[114:115], v[116:117], v[112:113]
	v_fma_f64 v[110:111], -v[110:111], v[114:115], v[116:117]
	v_div_fmas_f64 v[110:111], v[110:111], v[112:113], v[114:115]
	v_div_fixup_f64 v[121:122], v[110:111], v[108:109], 1.0
	v_mul_f64 v[123:124], v[106:107], -v[121:122]
.LBB68_303:
	s_or_b64 exec, exec, s[18:19]
.LBB68_304:
	s_or_b64 exec, exec, s[0:1]
	v_cmp_ne_u32_e32 vcc, v104, v105
	s_and_saveexec_b64 s[0:1], vcc
	s_xor_b64 s[0:1], exec, s[0:1]
	s_cbranch_execz .LBB68_310
; %bb.305:
	v_cmp_eq_u32_e32 vcc, 14, v104
	s_and_saveexec_b64 s[18:19], vcc
	s_cbranch_execz .LBB68_309
; %bb.306:
	v_cmp_ne_u32_e32 vcc, 14, v105
	s_xor_b64 s[20:21], s[6:7], -1
	s_and_b64 s[22:23], s[20:21], vcc
	s_and_saveexec_b64 s[20:21], s[22:23]
	s_cbranch_execz .LBB68_308
; %bb.307:
	v_ashrrev_i32_e32 v106, 31, v105
	v_lshlrev_b64 v[106:107], 2, v[105:106]
	v_add_co_u32_e32 v106, vcc, v119, v106
	v_addc_co_u32_e32 v107, vcc, v120, v107, vcc
	global_load_dword v0, v[106:107], off
	global_load_dword v104, v[119:120], off offset:56
	s_waitcnt vmcnt(1)
	global_store_dword v[119:120], v0, off offset:56
	s_waitcnt vmcnt(1)
	global_store_dword v[106:107], v104, off
.LBB68_308:
	s_or_b64 exec, exec, s[20:21]
	v_mov_b32_e32 v104, v105
	v_mov_b32_e32 v0, v105
.LBB68_309:
	s_or_b64 exec, exec, s[18:19]
.LBB68_310:
	s_andn2_saveexec_b64 s[0:1], s[0:1]
	s_cbranch_execz .LBB68_312
; %bb.311:
	v_mov_b32_e32 v104, 14
	ds_write2_b64 v102, v[73:74], v[75:76] offset0:30 offset1:31
	ds_write2_b64 v102, v[69:70], v[71:72] offset0:32 offset1:33
	;; [unrolled: 1-line block ×20, first 2 shown]
.LBB68_312:
	s_or_b64 exec, exec, s[0:1]
	v_cmp_lt_i32_e32 vcc, 14, v104
	s_waitcnt vmcnt(0) lgkmcnt(0)
	s_barrier
	s_and_saveexec_b64 s[0:1], vcc
	s_cbranch_execz .LBB68_314
; %bb.313:
	v_mul_f64 v[105:106], v[123:124], v[79:80]
	v_mul_f64 v[79:80], v[121:122], v[79:80]
	v_fma_f64 v[125:126], v[121:122], v[77:78], -v[105:106]
	v_fma_f64 v[79:80], v[123:124], v[77:78], v[79:80]
	ds_read2_b64 v[105:108], v102 offset0:30 offset1:31
	s_waitcnt lgkmcnt(0)
	v_mul_f64 v[77:78], v[107:108], v[79:80]
	v_fma_f64 v[77:78], v[105:106], v[125:126], -v[77:78]
	v_mul_f64 v[105:106], v[105:106], v[79:80]
	v_add_f64 v[73:74], v[73:74], -v[77:78]
	v_fma_f64 v[105:106], v[107:108], v[125:126], v[105:106]
	v_add_f64 v[75:76], v[75:76], -v[105:106]
	ds_read2_b64 v[105:108], v102 offset0:32 offset1:33
	s_waitcnt lgkmcnt(0)
	v_mul_f64 v[77:78], v[107:108], v[79:80]
	v_fma_f64 v[77:78], v[105:106], v[125:126], -v[77:78]
	v_mul_f64 v[105:106], v[105:106], v[79:80]
	v_add_f64 v[69:70], v[69:70], -v[77:78]
	v_fma_f64 v[105:106], v[107:108], v[125:126], v[105:106]
	v_add_f64 v[71:72], v[71:72], -v[105:106]
	;; [unrolled: 8-line block ×19, first 2 shown]
	ds_read2_b64 v[105:108], v102 offset0:68 offset1:69
	s_waitcnt lgkmcnt(0)
	v_mul_f64 v[77:78], v[107:108], v[79:80]
	v_fma_f64 v[77:78], v[105:106], v[125:126], -v[77:78]
	v_mul_f64 v[105:106], v[105:106], v[79:80]
	v_add_f64 v[97:98], v[97:98], -v[77:78]
	v_fma_f64 v[105:106], v[107:108], v[125:126], v[105:106]
	v_mov_b32_e32 v77, v125
	v_mov_b32_e32 v78, v126
	v_add_f64 v[99:100], v[99:100], -v[105:106]
.LBB68_314:
	s_or_b64 exec, exec, s[0:1]
	v_lshl_add_u32 v105, v104, 4, v102
	s_barrier
	ds_write2_b64 v105, v[73:74], v[75:76] offset1:1
	s_waitcnt lgkmcnt(0)
	s_barrier
	ds_read2_b64 v[121:124], v102 offset0:30 offset1:31
	s_cmp_lt_i32 s3, 17
	v_mov_b32_e32 v105, 15
	s_cbranch_scc1 .LBB68_317
; %bb.315:
	v_add_u32_e32 v106, 0x100, v102
	s_mov_b32 s0, 16
	v_mov_b32_e32 v105, 15
.LBB68_316:                             ; =>This Inner Loop Header: Depth=1
	s_waitcnt lgkmcnt(0)
	v_cmp_gt_f64_e32 vcc, 0, v[121:122]
	v_xor_b32_e32 v111, 0x80000000, v122
	ds_read2_b64 v[107:110], v106 offset1:1
	v_xor_b32_e32 v113, 0x80000000, v124
	v_add_u32_e32 v106, 16, v106
	s_waitcnt lgkmcnt(0)
	v_xor_b32_e32 v115, 0x80000000, v110
	v_cndmask_b32_e32 v112, v122, v111, vcc
	v_cmp_gt_f64_e32 vcc, 0, v[123:124]
	v_mov_b32_e32 v111, v121
	v_cndmask_b32_e32 v114, v124, v113, vcc
	v_cmp_gt_f64_e32 vcc, 0, v[107:108]
	v_mov_b32_e32 v113, v123
	v_add_f64 v[111:112], v[111:112], v[113:114]
	v_xor_b32_e32 v113, 0x80000000, v108
	v_cndmask_b32_e32 v114, v108, v113, vcc
	v_cmp_gt_f64_e32 vcc, 0, v[109:110]
	v_mov_b32_e32 v113, v107
	v_cndmask_b32_e32 v116, v110, v115, vcc
	v_mov_b32_e32 v115, v109
	v_add_f64 v[113:114], v[113:114], v[115:116]
	v_cmp_lt_f64_e32 vcc, v[111:112], v[113:114]
	v_cndmask_b32_e32 v121, v121, v107, vcc
	v_mov_b32_e32 v107, s0
	s_add_i32 s0, s0, 1
	v_cndmask_b32_e32 v122, v122, v108, vcc
	v_cndmask_b32_e32 v124, v124, v110, vcc
	;; [unrolled: 1-line block ×4, first 2 shown]
	s_cmp_lg_u32 s3, s0
	s_cbranch_scc1 .LBB68_316
.LBB68_317:
	s_waitcnt lgkmcnt(0)
	v_cmp_eq_f64_e32 vcc, 0, v[121:122]
	v_cmp_eq_f64_e64 s[0:1], 0, v[123:124]
	s_and_b64 s[0:1], vcc, s[0:1]
	s_and_saveexec_b64 s[18:19], s[0:1]
	s_xor_b64 s[0:1], exec, s[18:19]
; %bb.318:
	v_cmp_ne_u32_e32 vcc, 0, v103
	v_cndmask_b32_e32 v103, 16, v103, vcc
; %bb.319:
	s_andn2_saveexec_b64 s[0:1], s[0:1]
	s_cbranch_execz .LBB68_325
; %bb.320:
	v_cmp_ngt_f64_e64 s[18:19], |v[121:122]|, |v[123:124]|
	s_and_saveexec_b64 s[20:21], s[18:19]
	s_xor_b64 s[18:19], exec, s[20:21]
	s_cbranch_execz .LBB68_322
; %bb.321:
	v_div_scale_f64 v[106:107], s[20:21], v[123:124], v[123:124], v[121:122]
	v_rcp_f64_e32 v[108:109], v[106:107]
	v_fma_f64 v[110:111], -v[106:107], v[108:109], 1.0
	v_fma_f64 v[108:109], v[108:109], v[110:111], v[108:109]
	v_div_scale_f64 v[110:111], vcc, v[121:122], v[123:124], v[121:122]
	v_fma_f64 v[112:113], -v[106:107], v[108:109], 1.0
	v_fma_f64 v[108:109], v[108:109], v[112:113], v[108:109]
	v_mul_f64 v[112:113], v[110:111], v[108:109]
	v_fma_f64 v[106:107], -v[106:107], v[112:113], v[110:111]
	v_div_fmas_f64 v[106:107], v[106:107], v[108:109], v[112:113]
	v_div_fixup_f64 v[106:107], v[106:107], v[123:124], v[121:122]
	v_fma_f64 v[108:109], v[121:122], v[106:107], v[123:124]
	v_div_scale_f64 v[110:111], s[20:21], v[108:109], v[108:109], 1.0
	v_div_scale_f64 v[116:117], vcc, 1.0, v[108:109], 1.0
	v_rcp_f64_e32 v[112:113], v[110:111]
	v_fma_f64 v[114:115], -v[110:111], v[112:113], 1.0
	v_fma_f64 v[112:113], v[112:113], v[114:115], v[112:113]
	v_fma_f64 v[114:115], -v[110:111], v[112:113], 1.0
	v_fma_f64 v[112:113], v[112:113], v[114:115], v[112:113]
	v_mul_f64 v[114:115], v[116:117], v[112:113]
	v_fma_f64 v[110:111], -v[110:111], v[114:115], v[116:117]
	v_div_fmas_f64 v[110:111], v[110:111], v[112:113], v[114:115]
	v_div_fixup_f64 v[123:124], v[110:111], v[108:109], 1.0
	v_mul_f64 v[121:122], v[106:107], v[123:124]
	v_xor_b32_e32 v124, 0x80000000, v124
.LBB68_322:
	s_andn2_saveexec_b64 s[18:19], s[18:19]
	s_cbranch_execz .LBB68_324
; %bb.323:
	v_div_scale_f64 v[106:107], s[20:21], v[121:122], v[121:122], v[123:124]
	v_rcp_f64_e32 v[108:109], v[106:107]
	v_fma_f64 v[110:111], -v[106:107], v[108:109], 1.0
	v_fma_f64 v[108:109], v[108:109], v[110:111], v[108:109]
	v_div_scale_f64 v[110:111], vcc, v[123:124], v[121:122], v[123:124]
	v_fma_f64 v[112:113], -v[106:107], v[108:109], 1.0
	v_fma_f64 v[108:109], v[108:109], v[112:113], v[108:109]
	v_mul_f64 v[112:113], v[110:111], v[108:109]
	v_fma_f64 v[106:107], -v[106:107], v[112:113], v[110:111]
	v_div_fmas_f64 v[106:107], v[106:107], v[108:109], v[112:113]
	v_div_fixup_f64 v[106:107], v[106:107], v[121:122], v[123:124]
	v_fma_f64 v[108:109], v[123:124], v[106:107], v[121:122]
	v_div_scale_f64 v[110:111], s[20:21], v[108:109], v[108:109], 1.0
	v_div_scale_f64 v[116:117], vcc, 1.0, v[108:109], 1.0
	v_rcp_f64_e32 v[112:113], v[110:111]
	v_fma_f64 v[114:115], -v[110:111], v[112:113], 1.0
	v_fma_f64 v[112:113], v[112:113], v[114:115], v[112:113]
	v_fma_f64 v[114:115], -v[110:111], v[112:113], 1.0
	v_fma_f64 v[112:113], v[112:113], v[114:115], v[112:113]
	v_mul_f64 v[114:115], v[116:117], v[112:113]
	v_fma_f64 v[110:111], -v[110:111], v[114:115], v[116:117]
	v_div_fmas_f64 v[110:111], v[110:111], v[112:113], v[114:115]
	v_div_fixup_f64 v[121:122], v[110:111], v[108:109], 1.0
	v_mul_f64 v[123:124], v[106:107], -v[121:122]
.LBB68_324:
	s_or_b64 exec, exec, s[18:19]
.LBB68_325:
	s_or_b64 exec, exec, s[0:1]
	v_cmp_ne_u32_e32 vcc, v104, v105
	s_and_saveexec_b64 s[0:1], vcc
	s_xor_b64 s[0:1], exec, s[0:1]
	s_cbranch_execz .LBB68_331
; %bb.326:
	v_cmp_eq_u32_e32 vcc, 15, v104
	s_and_saveexec_b64 s[18:19], vcc
	s_cbranch_execz .LBB68_330
; %bb.327:
	v_cmp_ne_u32_e32 vcc, 15, v105
	s_xor_b64 s[20:21], s[6:7], -1
	s_and_b64 s[22:23], s[20:21], vcc
	s_and_saveexec_b64 s[20:21], s[22:23]
	s_cbranch_execz .LBB68_329
; %bb.328:
	v_ashrrev_i32_e32 v106, 31, v105
	v_lshlrev_b64 v[106:107], 2, v[105:106]
	v_add_co_u32_e32 v106, vcc, v119, v106
	v_addc_co_u32_e32 v107, vcc, v120, v107, vcc
	global_load_dword v0, v[106:107], off
	global_load_dword v104, v[119:120], off offset:60
	s_waitcnt vmcnt(1)
	global_store_dword v[119:120], v0, off offset:60
	s_waitcnt vmcnt(1)
	global_store_dword v[106:107], v104, off
.LBB68_329:
	s_or_b64 exec, exec, s[20:21]
	v_mov_b32_e32 v104, v105
	v_mov_b32_e32 v0, v105
.LBB68_330:
	s_or_b64 exec, exec, s[18:19]
.LBB68_331:
	s_andn2_saveexec_b64 s[0:1], s[0:1]
	s_cbranch_execz .LBB68_333
; %bb.332:
	v_mov_b32_e32 v104, 15
	ds_write2_b64 v102, v[69:70], v[71:72] offset0:32 offset1:33
	ds_write2_b64 v102, v[65:66], v[67:68] offset0:34 offset1:35
	;; [unrolled: 1-line block ×19, first 2 shown]
.LBB68_333:
	s_or_b64 exec, exec, s[0:1]
	v_cmp_lt_i32_e32 vcc, 15, v104
	s_waitcnt vmcnt(0) lgkmcnt(0)
	s_barrier
	s_and_saveexec_b64 s[0:1], vcc
	s_cbranch_execz .LBB68_335
; %bb.334:
	v_mul_f64 v[105:106], v[123:124], v[75:76]
	v_mul_f64 v[75:76], v[121:122], v[75:76]
	v_fma_f64 v[125:126], v[121:122], v[73:74], -v[105:106]
	v_fma_f64 v[75:76], v[123:124], v[73:74], v[75:76]
	ds_read2_b64 v[105:108], v102 offset0:32 offset1:33
	s_waitcnt lgkmcnt(0)
	v_mul_f64 v[73:74], v[107:108], v[75:76]
	v_fma_f64 v[73:74], v[105:106], v[125:126], -v[73:74]
	v_mul_f64 v[105:106], v[105:106], v[75:76]
	v_add_f64 v[69:70], v[69:70], -v[73:74]
	v_fma_f64 v[105:106], v[107:108], v[125:126], v[105:106]
	v_add_f64 v[71:72], v[71:72], -v[105:106]
	ds_read2_b64 v[105:108], v102 offset0:34 offset1:35
	s_waitcnt lgkmcnt(0)
	v_mul_f64 v[73:74], v[107:108], v[75:76]
	v_fma_f64 v[73:74], v[105:106], v[125:126], -v[73:74]
	v_mul_f64 v[105:106], v[105:106], v[75:76]
	v_add_f64 v[65:66], v[65:66], -v[73:74]
	v_fma_f64 v[105:106], v[107:108], v[125:126], v[105:106]
	v_add_f64 v[67:68], v[67:68], -v[105:106]
	ds_read2_b64 v[105:108], v102 offset0:36 offset1:37
	s_waitcnt lgkmcnt(0)
	v_mul_f64 v[73:74], v[107:108], v[75:76]
	v_fma_f64 v[73:74], v[105:106], v[125:126], -v[73:74]
	v_mul_f64 v[105:106], v[105:106], v[75:76]
	v_add_f64 v[61:62], v[61:62], -v[73:74]
	v_fma_f64 v[105:106], v[107:108], v[125:126], v[105:106]
	v_add_f64 v[63:64], v[63:64], -v[105:106]
	ds_read2_b64 v[105:108], v102 offset0:38 offset1:39
	s_waitcnt lgkmcnt(0)
	v_mul_f64 v[73:74], v[107:108], v[75:76]
	v_fma_f64 v[73:74], v[105:106], v[125:126], -v[73:74]
	v_mul_f64 v[105:106], v[105:106], v[75:76]
	v_add_f64 v[57:58], v[57:58], -v[73:74]
	v_fma_f64 v[105:106], v[107:108], v[125:126], v[105:106]
	v_add_f64 v[59:60], v[59:60], -v[105:106]
	ds_read2_b64 v[105:108], v102 offset0:40 offset1:41
	s_waitcnt lgkmcnt(0)
	v_mul_f64 v[73:74], v[107:108], v[75:76]
	v_fma_f64 v[73:74], v[105:106], v[125:126], -v[73:74]
	v_mul_f64 v[105:106], v[105:106], v[75:76]
	v_add_f64 v[53:54], v[53:54], -v[73:74]
	v_fma_f64 v[105:106], v[107:108], v[125:126], v[105:106]
	v_add_f64 v[55:56], v[55:56], -v[105:106]
	ds_read2_b64 v[105:108], v102 offset0:42 offset1:43
	s_waitcnt lgkmcnt(0)
	v_mul_f64 v[73:74], v[107:108], v[75:76]
	v_fma_f64 v[73:74], v[105:106], v[125:126], -v[73:74]
	v_mul_f64 v[105:106], v[105:106], v[75:76]
	v_add_f64 v[49:50], v[49:50], -v[73:74]
	v_fma_f64 v[105:106], v[107:108], v[125:126], v[105:106]
	v_add_f64 v[51:52], v[51:52], -v[105:106]
	ds_read2_b64 v[105:108], v102 offset0:44 offset1:45
	s_waitcnt lgkmcnt(0)
	v_mul_f64 v[73:74], v[107:108], v[75:76]
	v_fma_f64 v[73:74], v[105:106], v[125:126], -v[73:74]
	v_mul_f64 v[105:106], v[105:106], v[75:76]
	v_add_f64 v[45:46], v[45:46], -v[73:74]
	v_fma_f64 v[105:106], v[107:108], v[125:126], v[105:106]
	v_add_f64 v[47:48], v[47:48], -v[105:106]
	ds_read2_b64 v[105:108], v102 offset0:46 offset1:47
	s_waitcnt lgkmcnt(0)
	v_mul_f64 v[73:74], v[107:108], v[75:76]
	v_fma_f64 v[73:74], v[105:106], v[125:126], -v[73:74]
	v_mul_f64 v[105:106], v[105:106], v[75:76]
	v_add_f64 v[41:42], v[41:42], -v[73:74]
	v_fma_f64 v[105:106], v[107:108], v[125:126], v[105:106]
	v_add_f64 v[43:44], v[43:44], -v[105:106]
	ds_read2_b64 v[105:108], v102 offset0:48 offset1:49
	s_waitcnt lgkmcnt(0)
	v_mul_f64 v[73:74], v[107:108], v[75:76]
	v_fma_f64 v[73:74], v[105:106], v[125:126], -v[73:74]
	v_mul_f64 v[105:106], v[105:106], v[75:76]
	v_add_f64 v[37:38], v[37:38], -v[73:74]
	v_fma_f64 v[105:106], v[107:108], v[125:126], v[105:106]
	v_add_f64 v[39:40], v[39:40], -v[105:106]
	ds_read2_b64 v[105:108], v102 offset0:50 offset1:51
	s_waitcnt lgkmcnt(0)
	v_mul_f64 v[73:74], v[107:108], v[75:76]
	v_fma_f64 v[73:74], v[105:106], v[125:126], -v[73:74]
	v_mul_f64 v[105:106], v[105:106], v[75:76]
	v_add_f64 v[33:34], v[33:34], -v[73:74]
	v_fma_f64 v[105:106], v[107:108], v[125:126], v[105:106]
	v_add_f64 v[35:36], v[35:36], -v[105:106]
	ds_read2_b64 v[105:108], v102 offset0:52 offset1:53
	s_waitcnt lgkmcnt(0)
	v_mul_f64 v[73:74], v[107:108], v[75:76]
	v_fma_f64 v[73:74], v[105:106], v[125:126], -v[73:74]
	v_mul_f64 v[105:106], v[105:106], v[75:76]
	v_add_f64 v[29:30], v[29:30], -v[73:74]
	v_fma_f64 v[105:106], v[107:108], v[125:126], v[105:106]
	v_add_f64 v[31:32], v[31:32], -v[105:106]
	ds_read2_b64 v[105:108], v102 offset0:54 offset1:55
	s_waitcnt lgkmcnt(0)
	v_mul_f64 v[73:74], v[107:108], v[75:76]
	v_fma_f64 v[73:74], v[105:106], v[125:126], -v[73:74]
	v_mul_f64 v[105:106], v[105:106], v[75:76]
	v_add_f64 v[25:26], v[25:26], -v[73:74]
	v_fma_f64 v[105:106], v[107:108], v[125:126], v[105:106]
	v_add_f64 v[27:28], v[27:28], -v[105:106]
	ds_read2_b64 v[105:108], v102 offset0:56 offset1:57
	s_waitcnt lgkmcnt(0)
	v_mul_f64 v[73:74], v[107:108], v[75:76]
	v_fma_f64 v[73:74], v[105:106], v[125:126], -v[73:74]
	v_mul_f64 v[105:106], v[105:106], v[75:76]
	v_add_f64 v[21:22], v[21:22], -v[73:74]
	v_fma_f64 v[105:106], v[107:108], v[125:126], v[105:106]
	v_add_f64 v[23:24], v[23:24], -v[105:106]
	ds_read2_b64 v[105:108], v102 offset0:58 offset1:59
	s_waitcnt lgkmcnt(0)
	v_mul_f64 v[73:74], v[107:108], v[75:76]
	v_fma_f64 v[73:74], v[105:106], v[125:126], -v[73:74]
	v_mul_f64 v[105:106], v[105:106], v[75:76]
	v_add_f64 v[17:18], v[17:18], -v[73:74]
	v_fma_f64 v[105:106], v[107:108], v[125:126], v[105:106]
	v_add_f64 v[19:20], v[19:20], -v[105:106]
	ds_read2_b64 v[105:108], v102 offset0:60 offset1:61
	s_waitcnt lgkmcnt(0)
	v_mul_f64 v[73:74], v[107:108], v[75:76]
	v_fma_f64 v[73:74], v[105:106], v[125:126], -v[73:74]
	v_mul_f64 v[105:106], v[105:106], v[75:76]
	v_add_f64 v[13:14], v[13:14], -v[73:74]
	v_fma_f64 v[105:106], v[107:108], v[125:126], v[105:106]
	v_add_f64 v[15:16], v[15:16], -v[105:106]
	ds_read2_b64 v[105:108], v102 offset0:62 offset1:63
	s_waitcnt lgkmcnt(0)
	v_mul_f64 v[73:74], v[107:108], v[75:76]
	v_fma_f64 v[73:74], v[105:106], v[125:126], -v[73:74]
	v_mul_f64 v[105:106], v[105:106], v[75:76]
	v_add_f64 v[9:10], v[9:10], -v[73:74]
	v_fma_f64 v[105:106], v[107:108], v[125:126], v[105:106]
	v_add_f64 v[11:12], v[11:12], -v[105:106]
	ds_read2_b64 v[105:108], v102 offset0:64 offset1:65
	s_waitcnt lgkmcnt(0)
	v_mul_f64 v[73:74], v[107:108], v[75:76]
	v_fma_f64 v[73:74], v[105:106], v[125:126], -v[73:74]
	v_mul_f64 v[105:106], v[105:106], v[75:76]
	v_add_f64 v[5:6], v[5:6], -v[73:74]
	v_fma_f64 v[105:106], v[107:108], v[125:126], v[105:106]
	v_add_f64 v[7:8], v[7:8], -v[105:106]
	ds_read2_b64 v[105:108], v102 offset0:66 offset1:67
	s_waitcnt lgkmcnt(0)
	v_mul_f64 v[73:74], v[107:108], v[75:76]
	v_fma_f64 v[73:74], v[105:106], v[125:126], -v[73:74]
	v_mul_f64 v[105:106], v[105:106], v[75:76]
	v_add_f64 v[1:2], v[1:2], -v[73:74]
	v_fma_f64 v[105:106], v[107:108], v[125:126], v[105:106]
	v_add_f64 v[3:4], v[3:4], -v[105:106]
	ds_read2_b64 v[105:108], v102 offset0:68 offset1:69
	s_waitcnt lgkmcnt(0)
	v_mul_f64 v[73:74], v[107:108], v[75:76]
	v_fma_f64 v[73:74], v[105:106], v[125:126], -v[73:74]
	v_mul_f64 v[105:106], v[105:106], v[75:76]
	v_add_f64 v[97:98], v[97:98], -v[73:74]
	v_fma_f64 v[105:106], v[107:108], v[125:126], v[105:106]
	v_mov_b32_e32 v73, v125
	v_mov_b32_e32 v74, v126
	v_add_f64 v[99:100], v[99:100], -v[105:106]
.LBB68_335:
	s_or_b64 exec, exec, s[0:1]
	v_lshl_add_u32 v105, v104, 4, v102
	s_barrier
	ds_write2_b64 v105, v[69:70], v[71:72] offset1:1
	s_waitcnt lgkmcnt(0)
	s_barrier
	ds_read2_b64 v[121:124], v102 offset0:32 offset1:33
	s_cmp_lt_i32 s3, 18
	v_mov_b32_e32 v105, 16
	s_cbranch_scc1 .LBB68_338
; %bb.336:
	v_add_u32_e32 v106, 0x110, v102
	s_mov_b32 s0, 17
	v_mov_b32_e32 v105, 16
.LBB68_337:                             ; =>This Inner Loop Header: Depth=1
	s_waitcnt lgkmcnt(0)
	v_cmp_gt_f64_e32 vcc, 0, v[121:122]
	v_xor_b32_e32 v111, 0x80000000, v122
	ds_read2_b64 v[107:110], v106 offset1:1
	v_xor_b32_e32 v113, 0x80000000, v124
	v_add_u32_e32 v106, 16, v106
	s_waitcnt lgkmcnt(0)
	v_xor_b32_e32 v115, 0x80000000, v110
	v_cndmask_b32_e32 v112, v122, v111, vcc
	v_cmp_gt_f64_e32 vcc, 0, v[123:124]
	v_mov_b32_e32 v111, v121
	v_cndmask_b32_e32 v114, v124, v113, vcc
	v_cmp_gt_f64_e32 vcc, 0, v[107:108]
	v_mov_b32_e32 v113, v123
	v_add_f64 v[111:112], v[111:112], v[113:114]
	v_xor_b32_e32 v113, 0x80000000, v108
	v_cndmask_b32_e32 v114, v108, v113, vcc
	v_cmp_gt_f64_e32 vcc, 0, v[109:110]
	v_mov_b32_e32 v113, v107
	v_cndmask_b32_e32 v116, v110, v115, vcc
	v_mov_b32_e32 v115, v109
	v_add_f64 v[113:114], v[113:114], v[115:116]
	v_cmp_lt_f64_e32 vcc, v[111:112], v[113:114]
	v_cndmask_b32_e32 v121, v121, v107, vcc
	v_mov_b32_e32 v107, s0
	s_add_i32 s0, s0, 1
	v_cndmask_b32_e32 v122, v122, v108, vcc
	v_cndmask_b32_e32 v124, v124, v110, vcc
	;; [unrolled: 1-line block ×4, first 2 shown]
	s_cmp_lg_u32 s3, s0
	s_cbranch_scc1 .LBB68_337
.LBB68_338:
	s_waitcnt lgkmcnt(0)
	v_cmp_eq_f64_e32 vcc, 0, v[121:122]
	v_cmp_eq_f64_e64 s[0:1], 0, v[123:124]
	s_and_b64 s[0:1], vcc, s[0:1]
	s_and_saveexec_b64 s[18:19], s[0:1]
	s_xor_b64 s[0:1], exec, s[18:19]
; %bb.339:
	v_cmp_ne_u32_e32 vcc, 0, v103
	v_cndmask_b32_e32 v103, 17, v103, vcc
; %bb.340:
	s_andn2_saveexec_b64 s[0:1], s[0:1]
	s_cbranch_execz .LBB68_346
; %bb.341:
	v_cmp_ngt_f64_e64 s[18:19], |v[121:122]|, |v[123:124]|
	s_and_saveexec_b64 s[20:21], s[18:19]
	s_xor_b64 s[18:19], exec, s[20:21]
	s_cbranch_execz .LBB68_343
; %bb.342:
	v_div_scale_f64 v[106:107], s[20:21], v[123:124], v[123:124], v[121:122]
	v_rcp_f64_e32 v[108:109], v[106:107]
	v_fma_f64 v[110:111], -v[106:107], v[108:109], 1.0
	v_fma_f64 v[108:109], v[108:109], v[110:111], v[108:109]
	v_div_scale_f64 v[110:111], vcc, v[121:122], v[123:124], v[121:122]
	v_fma_f64 v[112:113], -v[106:107], v[108:109], 1.0
	v_fma_f64 v[108:109], v[108:109], v[112:113], v[108:109]
	v_mul_f64 v[112:113], v[110:111], v[108:109]
	v_fma_f64 v[106:107], -v[106:107], v[112:113], v[110:111]
	v_div_fmas_f64 v[106:107], v[106:107], v[108:109], v[112:113]
	v_div_fixup_f64 v[106:107], v[106:107], v[123:124], v[121:122]
	v_fma_f64 v[108:109], v[121:122], v[106:107], v[123:124]
	v_div_scale_f64 v[110:111], s[20:21], v[108:109], v[108:109], 1.0
	v_div_scale_f64 v[116:117], vcc, 1.0, v[108:109], 1.0
	v_rcp_f64_e32 v[112:113], v[110:111]
	v_fma_f64 v[114:115], -v[110:111], v[112:113], 1.0
	v_fma_f64 v[112:113], v[112:113], v[114:115], v[112:113]
	v_fma_f64 v[114:115], -v[110:111], v[112:113], 1.0
	v_fma_f64 v[112:113], v[112:113], v[114:115], v[112:113]
	v_mul_f64 v[114:115], v[116:117], v[112:113]
	v_fma_f64 v[110:111], -v[110:111], v[114:115], v[116:117]
	v_div_fmas_f64 v[110:111], v[110:111], v[112:113], v[114:115]
	v_div_fixup_f64 v[123:124], v[110:111], v[108:109], 1.0
	v_mul_f64 v[121:122], v[106:107], v[123:124]
	v_xor_b32_e32 v124, 0x80000000, v124
.LBB68_343:
	s_andn2_saveexec_b64 s[18:19], s[18:19]
	s_cbranch_execz .LBB68_345
; %bb.344:
	v_div_scale_f64 v[106:107], s[20:21], v[121:122], v[121:122], v[123:124]
	v_rcp_f64_e32 v[108:109], v[106:107]
	v_fma_f64 v[110:111], -v[106:107], v[108:109], 1.0
	v_fma_f64 v[108:109], v[108:109], v[110:111], v[108:109]
	v_div_scale_f64 v[110:111], vcc, v[123:124], v[121:122], v[123:124]
	v_fma_f64 v[112:113], -v[106:107], v[108:109], 1.0
	v_fma_f64 v[108:109], v[108:109], v[112:113], v[108:109]
	v_mul_f64 v[112:113], v[110:111], v[108:109]
	v_fma_f64 v[106:107], -v[106:107], v[112:113], v[110:111]
	v_div_fmas_f64 v[106:107], v[106:107], v[108:109], v[112:113]
	v_div_fixup_f64 v[106:107], v[106:107], v[121:122], v[123:124]
	v_fma_f64 v[108:109], v[123:124], v[106:107], v[121:122]
	v_div_scale_f64 v[110:111], s[20:21], v[108:109], v[108:109], 1.0
	v_div_scale_f64 v[116:117], vcc, 1.0, v[108:109], 1.0
	v_rcp_f64_e32 v[112:113], v[110:111]
	v_fma_f64 v[114:115], -v[110:111], v[112:113], 1.0
	v_fma_f64 v[112:113], v[112:113], v[114:115], v[112:113]
	v_fma_f64 v[114:115], -v[110:111], v[112:113], 1.0
	v_fma_f64 v[112:113], v[112:113], v[114:115], v[112:113]
	v_mul_f64 v[114:115], v[116:117], v[112:113]
	v_fma_f64 v[110:111], -v[110:111], v[114:115], v[116:117]
	v_div_fmas_f64 v[110:111], v[110:111], v[112:113], v[114:115]
	v_div_fixup_f64 v[121:122], v[110:111], v[108:109], 1.0
	v_mul_f64 v[123:124], v[106:107], -v[121:122]
.LBB68_345:
	s_or_b64 exec, exec, s[18:19]
.LBB68_346:
	s_or_b64 exec, exec, s[0:1]
	v_cmp_ne_u32_e32 vcc, v104, v105
	s_and_saveexec_b64 s[0:1], vcc
	s_xor_b64 s[0:1], exec, s[0:1]
	s_cbranch_execz .LBB68_352
; %bb.347:
	v_cmp_eq_u32_e32 vcc, 16, v104
	s_and_saveexec_b64 s[18:19], vcc
	s_cbranch_execz .LBB68_351
; %bb.348:
	v_cmp_ne_u32_e32 vcc, 16, v105
	s_xor_b64 s[20:21], s[6:7], -1
	s_and_b64 s[22:23], s[20:21], vcc
	s_and_saveexec_b64 s[20:21], s[22:23]
	s_cbranch_execz .LBB68_350
; %bb.349:
	v_ashrrev_i32_e32 v106, 31, v105
	v_lshlrev_b64 v[106:107], 2, v[105:106]
	v_add_co_u32_e32 v106, vcc, v119, v106
	v_addc_co_u32_e32 v107, vcc, v120, v107, vcc
	global_load_dword v0, v[106:107], off
	global_load_dword v104, v[119:120], off offset:64
	s_waitcnt vmcnt(1)
	global_store_dword v[119:120], v0, off offset:64
	s_waitcnt vmcnt(1)
	global_store_dword v[106:107], v104, off
.LBB68_350:
	s_or_b64 exec, exec, s[20:21]
	v_mov_b32_e32 v104, v105
	v_mov_b32_e32 v0, v105
.LBB68_351:
	s_or_b64 exec, exec, s[18:19]
.LBB68_352:
	s_andn2_saveexec_b64 s[0:1], s[0:1]
	s_cbranch_execz .LBB68_354
; %bb.353:
	v_mov_b32_e32 v104, 16
	ds_write2_b64 v102, v[65:66], v[67:68] offset0:34 offset1:35
	ds_write2_b64 v102, v[61:62], v[63:64] offset0:36 offset1:37
	;; [unrolled: 1-line block ×18, first 2 shown]
.LBB68_354:
	s_or_b64 exec, exec, s[0:1]
	v_cmp_lt_i32_e32 vcc, 16, v104
	s_waitcnt vmcnt(0) lgkmcnt(0)
	s_barrier
	s_and_saveexec_b64 s[0:1], vcc
	s_cbranch_execz .LBB68_356
; %bb.355:
	v_mul_f64 v[105:106], v[123:124], v[71:72]
	v_mul_f64 v[71:72], v[121:122], v[71:72]
	v_fma_f64 v[125:126], v[121:122], v[69:70], -v[105:106]
	v_fma_f64 v[71:72], v[123:124], v[69:70], v[71:72]
	ds_read2_b64 v[105:108], v102 offset0:34 offset1:35
	s_waitcnt lgkmcnt(0)
	v_mul_f64 v[69:70], v[107:108], v[71:72]
	v_fma_f64 v[69:70], v[105:106], v[125:126], -v[69:70]
	v_mul_f64 v[105:106], v[105:106], v[71:72]
	v_add_f64 v[65:66], v[65:66], -v[69:70]
	v_fma_f64 v[105:106], v[107:108], v[125:126], v[105:106]
	v_add_f64 v[67:68], v[67:68], -v[105:106]
	ds_read2_b64 v[105:108], v102 offset0:36 offset1:37
	s_waitcnt lgkmcnt(0)
	v_mul_f64 v[69:70], v[107:108], v[71:72]
	v_fma_f64 v[69:70], v[105:106], v[125:126], -v[69:70]
	v_mul_f64 v[105:106], v[105:106], v[71:72]
	v_add_f64 v[61:62], v[61:62], -v[69:70]
	v_fma_f64 v[105:106], v[107:108], v[125:126], v[105:106]
	v_add_f64 v[63:64], v[63:64], -v[105:106]
	;; [unrolled: 8-line block ×17, first 2 shown]
	ds_read2_b64 v[105:108], v102 offset0:68 offset1:69
	s_waitcnt lgkmcnt(0)
	v_mul_f64 v[69:70], v[107:108], v[71:72]
	v_fma_f64 v[69:70], v[105:106], v[125:126], -v[69:70]
	v_mul_f64 v[105:106], v[105:106], v[71:72]
	v_add_f64 v[97:98], v[97:98], -v[69:70]
	v_fma_f64 v[105:106], v[107:108], v[125:126], v[105:106]
	v_mov_b32_e32 v69, v125
	v_mov_b32_e32 v70, v126
	v_add_f64 v[99:100], v[99:100], -v[105:106]
.LBB68_356:
	s_or_b64 exec, exec, s[0:1]
	v_lshl_add_u32 v105, v104, 4, v102
	s_barrier
	ds_write2_b64 v105, v[65:66], v[67:68] offset1:1
	s_waitcnt lgkmcnt(0)
	s_barrier
	ds_read2_b64 v[121:124], v102 offset0:34 offset1:35
	s_cmp_lt_i32 s3, 19
	v_mov_b32_e32 v105, 17
	s_cbranch_scc1 .LBB68_359
; %bb.357:
	v_add_u32_e32 v106, 0x120, v102
	s_mov_b32 s0, 18
	v_mov_b32_e32 v105, 17
.LBB68_358:                             ; =>This Inner Loop Header: Depth=1
	s_waitcnt lgkmcnt(0)
	v_cmp_gt_f64_e32 vcc, 0, v[121:122]
	v_xor_b32_e32 v111, 0x80000000, v122
	ds_read2_b64 v[107:110], v106 offset1:1
	v_xor_b32_e32 v113, 0x80000000, v124
	v_add_u32_e32 v106, 16, v106
	s_waitcnt lgkmcnt(0)
	v_xor_b32_e32 v115, 0x80000000, v110
	v_cndmask_b32_e32 v112, v122, v111, vcc
	v_cmp_gt_f64_e32 vcc, 0, v[123:124]
	v_mov_b32_e32 v111, v121
	v_cndmask_b32_e32 v114, v124, v113, vcc
	v_cmp_gt_f64_e32 vcc, 0, v[107:108]
	v_mov_b32_e32 v113, v123
	v_add_f64 v[111:112], v[111:112], v[113:114]
	v_xor_b32_e32 v113, 0x80000000, v108
	v_cndmask_b32_e32 v114, v108, v113, vcc
	v_cmp_gt_f64_e32 vcc, 0, v[109:110]
	v_mov_b32_e32 v113, v107
	v_cndmask_b32_e32 v116, v110, v115, vcc
	v_mov_b32_e32 v115, v109
	v_add_f64 v[113:114], v[113:114], v[115:116]
	v_cmp_lt_f64_e32 vcc, v[111:112], v[113:114]
	v_cndmask_b32_e32 v121, v121, v107, vcc
	v_mov_b32_e32 v107, s0
	s_add_i32 s0, s0, 1
	v_cndmask_b32_e32 v122, v122, v108, vcc
	v_cndmask_b32_e32 v124, v124, v110, vcc
	;; [unrolled: 1-line block ×4, first 2 shown]
	s_cmp_lg_u32 s3, s0
	s_cbranch_scc1 .LBB68_358
.LBB68_359:
	s_waitcnt lgkmcnt(0)
	v_cmp_eq_f64_e32 vcc, 0, v[121:122]
	v_cmp_eq_f64_e64 s[0:1], 0, v[123:124]
	s_and_b64 s[0:1], vcc, s[0:1]
	s_and_saveexec_b64 s[18:19], s[0:1]
	s_xor_b64 s[0:1], exec, s[18:19]
; %bb.360:
	v_cmp_ne_u32_e32 vcc, 0, v103
	v_cndmask_b32_e32 v103, 18, v103, vcc
; %bb.361:
	s_andn2_saveexec_b64 s[0:1], s[0:1]
	s_cbranch_execz .LBB68_367
; %bb.362:
	v_cmp_ngt_f64_e64 s[18:19], |v[121:122]|, |v[123:124]|
	s_and_saveexec_b64 s[20:21], s[18:19]
	s_xor_b64 s[18:19], exec, s[20:21]
	s_cbranch_execz .LBB68_364
; %bb.363:
	v_div_scale_f64 v[106:107], s[20:21], v[123:124], v[123:124], v[121:122]
	v_rcp_f64_e32 v[108:109], v[106:107]
	v_fma_f64 v[110:111], -v[106:107], v[108:109], 1.0
	v_fma_f64 v[108:109], v[108:109], v[110:111], v[108:109]
	v_div_scale_f64 v[110:111], vcc, v[121:122], v[123:124], v[121:122]
	v_fma_f64 v[112:113], -v[106:107], v[108:109], 1.0
	v_fma_f64 v[108:109], v[108:109], v[112:113], v[108:109]
	v_mul_f64 v[112:113], v[110:111], v[108:109]
	v_fma_f64 v[106:107], -v[106:107], v[112:113], v[110:111]
	v_div_fmas_f64 v[106:107], v[106:107], v[108:109], v[112:113]
	v_div_fixup_f64 v[106:107], v[106:107], v[123:124], v[121:122]
	v_fma_f64 v[108:109], v[121:122], v[106:107], v[123:124]
	v_div_scale_f64 v[110:111], s[20:21], v[108:109], v[108:109], 1.0
	v_div_scale_f64 v[116:117], vcc, 1.0, v[108:109], 1.0
	v_rcp_f64_e32 v[112:113], v[110:111]
	v_fma_f64 v[114:115], -v[110:111], v[112:113], 1.0
	v_fma_f64 v[112:113], v[112:113], v[114:115], v[112:113]
	v_fma_f64 v[114:115], -v[110:111], v[112:113], 1.0
	v_fma_f64 v[112:113], v[112:113], v[114:115], v[112:113]
	v_mul_f64 v[114:115], v[116:117], v[112:113]
	v_fma_f64 v[110:111], -v[110:111], v[114:115], v[116:117]
	v_div_fmas_f64 v[110:111], v[110:111], v[112:113], v[114:115]
	v_div_fixup_f64 v[123:124], v[110:111], v[108:109], 1.0
	v_mul_f64 v[121:122], v[106:107], v[123:124]
	v_xor_b32_e32 v124, 0x80000000, v124
.LBB68_364:
	s_andn2_saveexec_b64 s[18:19], s[18:19]
	s_cbranch_execz .LBB68_366
; %bb.365:
	v_div_scale_f64 v[106:107], s[20:21], v[121:122], v[121:122], v[123:124]
	v_rcp_f64_e32 v[108:109], v[106:107]
	v_fma_f64 v[110:111], -v[106:107], v[108:109], 1.0
	v_fma_f64 v[108:109], v[108:109], v[110:111], v[108:109]
	v_div_scale_f64 v[110:111], vcc, v[123:124], v[121:122], v[123:124]
	v_fma_f64 v[112:113], -v[106:107], v[108:109], 1.0
	v_fma_f64 v[108:109], v[108:109], v[112:113], v[108:109]
	v_mul_f64 v[112:113], v[110:111], v[108:109]
	v_fma_f64 v[106:107], -v[106:107], v[112:113], v[110:111]
	v_div_fmas_f64 v[106:107], v[106:107], v[108:109], v[112:113]
	v_div_fixup_f64 v[106:107], v[106:107], v[121:122], v[123:124]
	v_fma_f64 v[108:109], v[123:124], v[106:107], v[121:122]
	v_div_scale_f64 v[110:111], s[20:21], v[108:109], v[108:109], 1.0
	v_div_scale_f64 v[116:117], vcc, 1.0, v[108:109], 1.0
	v_rcp_f64_e32 v[112:113], v[110:111]
	v_fma_f64 v[114:115], -v[110:111], v[112:113], 1.0
	v_fma_f64 v[112:113], v[112:113], v[114:115], v[112:113]
	v_fma_f64 v[114:115], -v[110:111], v[112:113], 1.0
	v_fma_f64 v[112:113], v[112:113], v[114:115], v[112:113]
	v_mul_f64 v[114:115], v[116:117], v[112:113]
	v_fma_f64 v[110:111], -v[110:111], v[114:115], v[116:117]
	v_div_fmas_f64 v[110:111], v[110:111], v[112:113], v[114:115]
	v_div_fixup_f64 v[121:122], v[110:111], v[108:109], 1.0
	v_mul_f64 v[123:124], v[106:107], -v[121:122]
.LBB68_366:
	s_or_b64 exec, exec, s[18:19]
.LBB68_367:
	s_or_b64 exec, exec, s[0:1]
	v_cmp_ne_u32_e32 vcc, v104, v105
	s_and_saveexec_b64 s[0:1], vcc
	s_xor_b64 s[0:1], exec, s[0:1]
	s_cbranch_execz .LBB68_373
; %bb.368:
	v_cmp_eq_u32_e32 vcc, 17, v104
	s_and_saveexec_b64 s[18:19], vcc
	s_cbranch_execz .LBB68_372
; %bb.369:
	v_cmp_ne_u32_e32 vcc, 17, v105
	s_xor_b64 s[20:21], s[6:7], -1
	s_and_b64 s[22:23], s[20:21], vcc
	s_and_saveexec_b64 s[20:21], s[22:23]
	s_cbranch_execz .LBB68_371
; %bb.370:
	v_ashrrev_i32_e32 v106, 31, v105
	v_lshlrev_b64 v[106:107], 2, v[105:106]
	v_add_co_u32_e32 v106, vcc, v119, v106
	v_addc_co_u32_e32 v107, vcc, v120, v107, vcc
	global_load_dword v0, v[106:107], off
	global_load_dword v104, v[119:120], off offset:68
	s_waitcnt vmcnt(1)
	global_store_dword v[119:120], v0, off offset:68
	s_waitcnt vmcnt(1)
	global_store_dword v[106:107], v104, off
.LBB68_371:
	s_or_b64 exec, exec, s[20:21]
	v_mov_b32_e32 v104, v105
	v_mov_b32_e32 v0, v105
.LBB68_372:
	s_or_b64 exec, exec, s[18:19]
.LBB68_373:
	s_andn2_saveexec_b64 s[0:1], s[0:1]
	s_cbranch_execz .LBB68_375
; %bb.374:
	v_mov_b32_e32 v104, 17
	ds_write2_b64 v102, v[61:62], v[63:64] offset0:36 offset1:37
	ds_write2_b64 v102, v[57:58], v[59:60] offset0:38 offset1:39
	;; [unrolled: 1-line block ×17, first 2 shown]
.LBB68_375:
	s_or_b64 exec, exec, s[0:1]
	v_cmp_lt_i32_e32 vcc, 17, v104
	s_waitcnt vmcnt(0) lgkmcnt(0)
	s_barrier
	s_and_saveexec_b64 s[0:1], vcc
	s_cbranch_execz .LBB68_377
; %bb.376:
	v_mul_f64 v[105:106], v[123:124], v[67:68]
	v_mul_f64 v[67:68], v[121:122], v[67:68]
	v_fma_f64 v[125:126], v[121:122], v[65:66], -v[105:106]
	v_fma_f64 v[67:68], v[123:124], v[65:66], v[67:68]
	ds_read2_b64 v[105:108], v102 offset0:36 offset1:37
	s_waitcnt lgkmcnt(0)
	v_mul_f64 v[65:66], v[107:108], v[67:68]
	v_fma_f64 v[65:66], v[105:106], v[125:126], -v[65:66]
	v_mul_f64 v[105:106], v[105:106], v[67:68]
	v_add_f64 v[61:62], v[61:62], -v[65:66]
	v_fma_f64 v[105:106], v[107:108], v[125:126], v[105:106]
	v_add_f64 v[63:64], v[63:64], -v[105:106]
	ds_read2_b64 v[105:108], v102 offset0:38 offset1:39
	s_waitcnt lgkmcnt(0)
	v_mul_f64 v[65:66], v[107:108], v[67:68]
	v_fma_f64 v[65:66], v[105:106], v[125:126], -v[65:66]
	v_mul_f64 v[105:106], v[105:106], v[67:68]
	v_add_f64 v[57:58], v[57:58], -v[65:66]
	v_fma_f64 v[105:106], v[107:108], v[125:126], v[105:106]
	v_add_f64 v[59:60], v[59:60], -v[105:106]
	;; [unrolled: 8-line block ×16, first 2 shown]
	ds_read2_b64 v[105:108], v102 offset0:68 offset1:69
	s_waitcnt lgkmcnt(0)
	v_mul_f64 v[65:66], v[107:108], v[67:68]
	v_fma_f64 v[65:66], v[105:106], v[125:126], -v[65:66]
	v_mul_f64 v[105:106], v[105:106], v[67:68]
	v_add_f64 v[97:98], v[97:98], -v[65:66]
	v_fma_f64 v[105:106], v[107:108], v[125:126], v[105:106]
	v_mov_b32_e32 v65, v125
	v_mov_b32_e32 v66, v126
	v_add_f64 v[99:100], v[99:100], -v[105:106]
.LBB68_377:
	s_or_b64 exec, exec, s[0:1]
	v_lshl_add_u32 v105, v104, 4, v102
	s_barrier
	ds_write2_b64 v105, v[61:62], v[63:64] offset1:1
	s_waitcnt lgkmcnt(0)
	s_barrier
	ds_read2_b64 v[121:124], v102 offset0:36 offset1:37
	s_cmp_lt_i32 s3, 20
	v_mov_b32_e32 v105, 18
	s_cbranch_scc1 .LBB68_380
; %bb.378:
	v_add_u32_e32 v106, 0x130, v102
	s_mov_b32 s0, 19
	v_mov_b32_e32 v105, 18
.LBB68_379:                             ; =>This Inner Loop Header: Depth=1
	s_waitcnt lgkmcnt(0)
	v_cmp_gt_f64_e32 vcc, 0, v[121:122]
	v_xor_b32_e32 v111, 0x80000000, v122
	ds_read2_b64 v[107:110], v106 offset1:1
	v_xor_b32_e32 v113, 0x80000000, v124
	v_add_u32_e32 v106, 16, v106
	s_waitcnt lgkmcnt(0)
	v_xor_b32_e32 v115, 0x80000000, v110
	v_cndmask_b32_e32 v112, v122, v111, vcc
	v_cmp_gt_f64_e32 vcc, 0, v[123:124]
	v_mov_b32_e32 v111, v121
	v_cndmask_b32_e32 v114, v124, v113, vcc
	v_cmp_gt_f64_e32 vcc, 0, v[107:108]
	v_mov_b32_e32 v113, v123
	v_add_f64 v[111:112], v[111:112], v[113:114]
	v_xor_b32_e32 v113, 0x80000000, v108
	v_cndmask_b32_e32 v114, v108, v113, vcc
	v_cmp_gt_f64_e32 vcc, 0, v[109:110]
	v_mov_b32_e32 v113, v107
	v_cndmask_b32_e32 v116, v110, v115, vcc
	v_mov_b32_e32 v115, v109
	v_add_f64 v[113:114], v[113:114], v[115:116]
	v_cmp_lt_f64_e32 vcc, v[111:112], v[113:114]
	v_cndmask_b32_e32 v121, v121, v107, vcc
	v_mov_b32_e32 v107, s0
	s_add_i32 s0, s0, 1
	v_cndmask_b32_e32 v122, v122, v108, vcc
	v_cndmask_b32_e32 v124, v124, v110, vcc
	;; [unrolled: 1-line block ×4, first 2 shown]
	s_cmp_lg_u32 s3, s0
	s_cbranch_scc1 .LBB68_379
.LBB68_380:
	s_waitcnt lgkmcnt(0)
	v_cmp_eq_f64_e32 vcc, 0, v[121:122]
	v_cmp_eq_f64_e64 s[0:1], 0, v[123:124]
	s_and_b64 s[0:1], vcc, s[0:1]
	s_and_saveexec_b64 s[18:19], s[0:1]
	s_xor_b64 s[0:1], exec, s[18:19]
; %bb.381:
	v_cmp_ne_u32_e32 vcc, 0, v103
	v_cndmask_b32_e32 v103, 19, v103, vcc
; %bb.382:
	s_andn2_saveexec_b64 s[0:1], s[0:1]
	s_cbranch_execz .LBB68_388
; %bb.383:
	v_cmp_ngt_f64_e64 s[18:19], |v[121:122]|, |v[123:124]|
	s_and_saveexec_b64 s[20:21], s[18:19]
	s_xor_b64 s[18:19], exec, s[20:21]
	s_cbranch_execz .LBB68_385
; %bb.384:
	v_div_scale_f64 v[106:107], s[20:21], v[123:124], v[123:124], v[121:122]
	v_rcp_f64_e32 v[108:109], v[106:107]
	v_fma_f64 v[110:111], -v[106:107], v[108:109], 1.0
	v_fma_f64 v[108:109], v[108:109], v[110:111], v[108:109]
	v_div_scale_f64 v[110:111], vcc, v[121:122], v[123:124], v[121:122]
	v_fma_f64 v[112:113], -v[106:107], v[108:109], 1.0
	v_fma_f64 v[108:109], v[108:109], v[112:113], v[108:109]
	v_mul_f64 v[112:113], v[110:111], v[108:109]
	v_fma_f64 v[106:107], -v[106:107], v[112:113], v[110:111]
	v_div_fmas_f64 v[106:107], v[106:107], v[108:109], v[112:113]
	v_div_fixup_f64 v[106:107], v[106:107], v[123:124], v[121:122]
	v_fma_f64 v[108:109], v[121:122], v[106:107], v[123:124]
	v_div_scale_f64 v[110:111], s[20:21], v[108:109], v[108:109], 1.0
	v_div_scale_f64 v[116:117], vcc, 1.0, v[108:109], 1.0
	v_rcp_f64_e32 v[112:113], v[110:111]
	v_fma_f64 v[114:115], -v[110:111], v[112:113], 1.0
	v_fma_f64 v[112:113], v[112:113], v[114:115], v[112:113]
	v_fma_f64 v[114:115], -v[110:111], v[112:113], 1.0
	v_fma_f64 v[112:113], v[112:113], v[114:115], v[112:113]
	v_mul_f64 v[114:115], v[116:117], v[112:113]
	v_fma_f64 v[110:111], -v[110:111], v[114:115], v[116:117]
	v_div_fmas_f64 v[110:111], v[110:111], v[112:113], v[114:115]
	v_div_fixup_f64 v[123:124], v[110:111], v[108:109], 1.0
	v_mul_f64 v[121:122], v[106:107], v[123:124]
	v_xor_b32_e32 v124, 0x80000000, v124
.LBB68_385:
	s_andn2_saveexec_b64 s[18:19], s[18:19]
	s_cbranch_execz .LBB68_387
; %bb.386:
	v_div_scale_f64 v[106:107], s[20:21], v[121:122], v[121:122], v[123:124]
	v_rcp_f64_e32 v[108:109], v[106:107]
	v_fma_f64 v[110:111], -v[106:107], v[108:109], 1.0
	v_fma_f64 v[108:109], v[108:109], v[110:111], v[108:109]
	v_div_scale_f64 v[110:111], vcc, v[123:124], v[121:122], v[123:124]
	v_fma_f64 v[112:113], -v[106:107], v[108:109], 1.0
	v_fma_f64 v[108:109], v[108:109], v[112:113], v[108:109]
	v_mul_f64 v[112:113], v[110:111], v[108:109]
	v_fma_f64 v[106:107], -v[106:107], v[112:113], v[110:111]
	v_div_fmas_f64 v[106:107], v[106:107], v[108:109], v[112:113]
	v_div_fixup_f64 v[106:107], v[106:107], v[121:122], v[123:124]
	v_fma_f64 v[108:109], v[123:124], v[106:107], v[121:122]
	v_div_scale_f64 v[110:111], s[20:21], v[108:109], v[108:109], 1.0
	v_div_scale_f64 v[116:117], vcc, 1.0, v[108:109], 1.0
	v_rcp_f64_e32 v[112:113], v[110:111]
	v_fma_f64 v[114:115], -v[110:111], v[112:113], 1.0
	v_fma_f64 v[112:113], v[112:113], v[114:115], v[112:113]
	v_fma_f64 v[114:115], -v[110:111], v[112:113], 1.0
	v_fma_f64 v[112:113], v[112:113], v[114:115], v[112:113]
	v_mul_f64 v[114:115], v[116:117], v[112:113]
	v_fma_f64 v[110:111], -v[110:111], v[114:115], v[116:117]
	v_div_fmas_f64 v[110:111], v[110:111], v[112:113], v[114:115]
	v_div_fixup_f64 v[121:122], v[110:111], v[108:109], 1.0
	v_mul_f64 v[123:124], v[106:107], -v[121:122]
.LBB68_387:
	s_or_b64 exec, exec, s[18:19]
.LBB68_388:
	s_or_b64 exec, exec, s[0:1]
	v_cmp_ne_u32_e32 vcc, v104, v105
	s_and_saveexec_b64 s[0:1], vcc
	s_xor_b64 s[0:1], exec, s[0:1]
	s_cbranch_execz .LBB68_394
; %bb.389:
	v_cmp_eq_u32_e32 vcc, 18, v104
	s_and_saveexec_b64 s[18:19], vcc
	s_cbranch_execz .LBB68_393
; %bb.390:
	v_cmp_ne_u32_e32 vcc, 18, v105
	s_xor_b64 s[20:21], s[6:7], -1
	s_and_b64 s[22:23], s[20:21], vcc
	s_and_saveexec_b64 s[20:21], s[22:23]
	s_cbranch_execz .LBB68_392
; %bb.391:
	v_ashrrev_i32_e32 v106, 31, v105
	v_lshlrev_b64 v[106:107], 2, v[105:106]
	v_add_co_u32_e32 v106, vcc, v119, v106
	v_addc_co_u32_e32 v107, vcc, v120, v107, vcc
	global_load_dword v0, v[106:107], off
	global_load_dword v104, v[119:120], off offset:72
	s_waitcnt vmcnt(1)
	global_store_dword v[119:120], v0, off offset:72
	s_waitcnt vmcnt(1)
	global_store_dword v[106:107], v104, off
.LBB68_392:
	s_or_b64 exec, exec, s[20:21]
	v_mov_b32_e32 v104, v105
	v_mov_b32_e32 v0, v105
.LBB68_393:
	s_or_b64 exec, exec, s[18:19]
.LBB68_394:
	s_andn2_saveexec_b64 s[0:1], s[0:1]
	s_cbranch_execz .LBB68_396
; %bb.395:
	v_mov_b32_e32 v104, 18
	ds_write2_b64 v102, v[57:58], v[59:60] offset0:38 offset1:39
	ds_write2_b64 v102, v[53:54], v[55:56] offset0:40 offset1:41
	;; [unrolled: 1-line block ×16, first 2 shown]
.LBB68_396:
	s_or_b64 exec, exec, s[0:1]
	v_cmp_lt_i32_e32 vcc, 18, v104
	s_waitcnt vmcnt(0) lgkmcnt(0)
	s_barrier
	s_and_saveexec_b64 s[0:1], vcc
	s_cbranch_execz .LBB68_398
; %bb.397:
	v_mul_f64 v[105:106], v[121:122], v[63:64]
	v_mul_f64 v[63:64], v[123:124], v[63:64]
	ds_read2_b64 v[107:110], v102 offset0:38 offset1:39
	v_fma_f64 v[105:106], v[123:124], v[61:62], v[105:106]
	v_fma_f64 v[61:62], v[121:122], v[61:62], -v[63:64]
	s_waitcnt lgkmcnt(0)
	v_mul_f64 v[63:64], v[109:110], v[105:106]
	v_fma_f64 v[63:64], v[107:108], v[61:62], -v[63:64]
	v_mul_f64 v[107:108], v[107:108], v[105:106]
	v_add_f64 v[57:58], v[57:58], -v[63:64]
	v_fma_f64 v[107:108], v[109:110], v[61:62], v[107:108]
	v_add_f64 v[59:60], v[59:60], -v[107:108]
	ds_read2_b64 v[107:110], v102 offset0:40 offset1:41
	s_waitcnt lgkmcnt(0)
	v_mul_f64 v[63:64], v[109:110], v[105:106]
	v_fma_f64 v[63:64], v[107:108], v[61:62], -v[63:64]
	v_mul_f64 v[107:108], v[107:108], v[105:106]
	v_add_f64 v[53:54], v[53:54], -v[63:64]
	v_fma_f64 v[107:108], v[109:110], v[61:62], v[107:108]
	v_add_f64 v[55:56], v[55:56], -v[107:108]
	ds_read2_b64 v[107:110], v102 offset0:42 offset1:43
	;; [unrolled: 8-line block ×15, first 2 shown]
	s_waitcnt lgkmcnt(0)
	v_mul_f64 v[63:64], v[109:110], v[105:106]
	v_fma_f64 v[63:64], v[107:108], v[61:62], -v[63:64]
	v_mul_f64 v[107:108], v[107:108], v[105:106]
	v_add_f64 v[97:98], v[97:98], -v[63:64]
	v_fma_f64 v[107:108], v[109:110], v[61:62], v[107:108]
	v_mov_b32_e32 v63, v105
	v_mov_b32_e32 v64, v106
	v_add_f64 v[99:100], v[99:100], -v[107:108]
.LBB68_398:
	s_or_b64 exec, exec, s[0:1]
	v_lshl_add_u32 v105, v104, 4, v102
	s_barrier
	ds_write2_b64 v105, v[57:58], v[59:60] offset1:1
	s_waitcnt lgkmcnt(0)
	s_barrier
	ds_read2_b64 v[121:124], v102 offset0:38 offset1:39
	s_cmp_lt_i32 s3, 21
	v_mov_b32_e32 v105, 19
	s_cbranch_scc1 .LBB68_401
; %bb.399:
	v_add_u32_e32 v106, 0x140, v102
	s_mov_b32 s0, 20
	v_mov_b32_e32 v105, 19
.LBB68_400:                             ; =>This Inner Loop Header: Depth=1
	s_waitcnt lgkmcnt(0)
	v_cmp_gt_f64_e32 vcc, 0, v[121:122]
	v_xor_b32_e32 v111, 0x80000000, v122
	ds_read2_b64 v[107:110], v106 offset1:1
	v_xor_b32_e32 v113, 0x80000000, v124
	v_add_u32_e32 v106, 16, v106
	s_waitcnt lgkmcnt(0)
	v_xor_b32_e32 v115, 0x80000000, v110
	v_cndmask_b32_e32 v112, v122, v111, vcc
	v_cmp_gt_f64_e32 vcc, 0, v[123:124]
	v_mov_b32_e32 v111, v121
	v_cndmask_b32_e32 v114, v124, v113, vcc
	v_cmp_gt_f64_e32 vcc, 0, v[107:108]
	v_mov_b32_e32 v113, v123
	v_add_f64 v[111:112], v[111:112], v[113:114]
	v_xor_b32_e32 v113, 0x80000000, v108
	v_cndmask_b32_e32 v114, v108, v113, vcc
	v_cmp_gt_f64_e32 vcc, 0, v[109:110]
	v_mov_b32_e32 v113, v107
	v_cndmask_b32_e32 v116, v110, v115, vcc
	v_mov_b32_e32 v115, v109
	v_add_f64 v[113:114], v[113:114], v[115:116]
	v_cmp_lt_f64_e32 vcc, v[111:112], v[113:114]
	v_cndmask_b32_e32 v121, v121, v107, vcc
	v_mov_b32_e32 v107, s0
	s_add_i32 s0, s0, 1
	v_cndmask_b32_e32 v122, v122, v108, vcc
	v_cndmask_b32_e32 v124, v124, v110, vcc
	;; [unrolled: 1-line block ×4, first 2 shown]
	s_cmp_lg_u32 s3, s0
	s_cbranch_scc1 .LBB68_400
.LBB68_401:
	s_waitcnt lgkmcnt(0)
	v_cmp_eq_f64_e32 vcc, 0, v[121:122]
	v_cmp_eq_f64_e64 s[0:1], 0, v[123:124]
	s_and_b64 s[0:1], vcc, s[0:1]
	s_and_saveexec_b64 s[18:19], s[0:1]
	s_xor_b64 s[0:1], exec, s[18:19]
; %bb.402:
	v_cmp_ne_u32_e32 vcc, 0, v103
	v_cndmask_b32_e32 v103, 20, v103, vcc
; %bb.403:
	s_andn2_saveexec_b64 s[0:1], s[0:1]
	s_cbranch_execz .LBB68_409
; %bb.404:
	v_cmp_ngt_f64_e64 s[18:19], |v[121:122]|, |v[123:124]|
	s_and_saveexec_b64 s[20:21], s[18:19]
	s_xor_b64 s[18:19], exec, s[20:21]
	s_cbranch_execz .LBB68_406
; %bb.405:
	v_div_scale_f64 v[106:107], s[20:21], v[123:124], v[123:124], v[121:122]
	v_rcp_f64_e32 v[108:109], v[106:107]
	v_fma_f64 v[110:111], -v[106:107], v[108:109], 1.0
	v_fma_f64 v[108:109], v[108:109], v[110:111], v[108:109]
	v_div_scale_f64 v[110:111], vcc, v[121:122], v[123:124], v[121:122]
	v_fma_f64 v[112:113], -v[106:107], v[108:109], 1.0
	v_fma_f64 v[108:109], v[108:109], v[112:113], v[108:109]
	v_mul_f64 v[112:113], v[110:111], v[108:109]
	v_fma_f64 v[106:107], -v[106:107], v[112:113], v[110:111]
	v_div_fmas_f64 v[106:107], v[106:107], v[108:109], v[112:113]
	v_div_fixup_f64 v[106:107], v[106:107], v[123:124], v[121:122]
	v_fma_f64 v[108:109], v[121:122], v[106:107], v[123:124]
	v_div_scale_f64 v[110:111], s[20:21], v[108:109], v[108:109], 1.0
	v_div_scale_f64 v[116:117], vcc, 1.0, v[108:109], 1.0
	v_rcp_f64_e32 v[112:113], v[110:111]
	v_fma_f64 v[114:115], -v[110:111], v[112:113], 1.0
	v_fma_f64 v[112:113], v[112:113], v[114:115], v[112:113]
	v_fma_f64 v[114:115], -v[110:111], v[112:113], 1.0
	v_fma_f64 v[112:113], v[112:113], v[114:115], v[112:113]
	v_mul_f64 v[114:115], v[116:117], v[112:113]
	v_fma_f64 v[110:111], -v[110:111], v[114:115], v[116:117]
	v_div_fmas_f64 v[110:111], v[110:111], v[112:113], v[114:115]
	v_div_fixup_f64 v[123:124], v[110:111], v[108:109], 1.0
	v_mul_f64 v[121:122], v[106:107], v[123:124]
	v_xor_b32_e32 v124, 0x80000000, v124
.LBB68_406:
	s_andn2_saveexec_b64 s[18:19], s[18:19]
	s_cbranch_execz .LBB68_408
; %bb.407:
	v_div_scale_f64 v[106:107], s[20:21], v[121:122], v[121:122], v[123:124]
	v_rcp_f64_e32 v[108:109], v[106:107]
	v_fma_f64 v[110:111], -v[106:107], v[108:109], 1.0
	v_fma_f64 v[108:109], v[108:109], v[110:111], v[108:109]
	v_div_scale_f64 v[110:111], vcc, v[123:124], v[121:122], v[123:124]
	v_fma_f64 v[112:113], -v[106:107], v[108:109], 1.0
	v_fma_f64 v[108:109], v[108:109], v[112:113], v[108:109]
	v_mul_f64 v[112:113], v[110:111], v[108:109]
	v_fma_f64 v[106:107], -v[106:107], v[112:113], v[110:111]
	v_div_fmas_f64 v[106:107], v[106:107], v[108:109], v[112:113]
	v_div_fixup_f64 v[106:107], v[106:107], v[121:122], v[123:124]
	v_fma_f64 v[108:109], v[123:124], v[106:107], v[121:122]
	v_div_scale_f64 v[110:111], s[20:21], v[108:109], v[108:109], 1.0
	v_div_scale_f64 v[116:117], vcc, 1.0, v[108:109], 1.0
	v_rcp_f64_e32 v[112:113], v[110:111]
	v_fma_f64 v[114:115], -v[110:111], v[112:113], 1.0
	v_fma_f64 v[112:113], v[112:113], v[114:115], v[112:113]
	v_fma_f64 v[114:115], -v[110:111], v[112:113], 1.0
	v_fma_f64 v[112:113], v[112:113], v[114:115], v[112:113]
	v_mul_f64 v[114:115], v[116:117], v[112:113]
	v_fma_f64 v[110:111], -v[110:111], v[114:115], v[116:117]
	v_div_fmas_f64 v[110:111], v[110:111], v[112:113], v[114:115]
	v_div_fixup_f64 v[121:122], v[110:111], v[108:109], 1.0
	v_mul_f64 v[123:124], v[106:107], -v[121:122]
.LBB68_408:
	s_or_b64 exec, exec, s[18:19]
.LBB68_409:
	s_or_b64 exec, exec, s[0:1]
	v_cmp_ne_u32_e32 vcc, v104, v105
	s_and_saveexec_b64 s[0:1], vcc
	s_xor_b64 s[0:1], exec, s[0:1]
	s_cbranch_execz .LBB68_415
; %bb.410:
	v_cmp_eq_u32_e32 vcc, 19, v104
	s_and_saveexec_b64 s[18:19], vcc
	s_cbranch_execz .LBB68_414
; %bb.411:
	v_cmp_ne_u32_e32 vcc, 19, v105
	s_xor_b64 s[20:21], s[6:7], -1
	s_and_b64 s[22:23], s[20:21], vcc
	s_and_saveexec_b64 s[20:21], s[22:23]
	s_cbranch_execz .LBB68_413
; %bb.412:
	v_ashrrev_i32_e32 v106, 31, v105
	v_lshlrev_b64 v[106:107], 2, v[105:106]
	v_add_co_u32_e32 v106, vcc, v119, v106
	v_addc_co_u32_e32 v107, vcc, v120, v107, vcc
	global_load_dword v0, v[106:107], off
	global_load_dword v104, v[119:120], off offset:76
	s_waitcnt vmcnt(1)
	global_store_dword v[119:120], v0, off offset:76
	s_waitcnt vmcnt(1)
	global_store_dword v[106:107], v104, off
.LBB68_413:
	s_or_b64 exec, exec, s[20:21]
	v_mov_b32_e32 v104, v105
	v_mov_b32_e32 v0, v105
.LBB68_414:
	s_or_b64 exec, exec, s[18:19]
.LBB68_415:
	s_andn2_saveexec_b64 s[0:1], s[0:1]
	s_cbranch_execz .LBB68_417
; %bb.416:
	v_mov_b32_e32 v104, 19
	ds_write2_b64 v102, v[53:54], v[55:56] offset0:40 offset1:41
	ds_write2_b64 v102, v[49:50], v[51:52] offset0:42 offset1:43
	;; [unrolled: 1-line block ×15, first 2 shown]
.LBB68_417:
	s_or_b64 exec, exec, s[0:1]
	v_cmp_lt_i32_e32 vcc, 19, v104
	s_waitcnt vmcnt(0) lgkmcnt(0)
	s_barrier
	s_and_saveexec_b64 s[0:1], vcc
	s_cbranch_execz .LBB68_419
; %bb.418:
	v_mul_f64 v[105:106], v[121:122], v[59:60]
	v_mul_f64 v[59:60], v[123:124], v[59:60]
	ds_read2_b64 v[107:110], v102 offset0:40 offset1:41
	v_fma_f64 v[105:106], v[123:124], v[57:58], v[105:106]
	v_fma_f64 v[57:58], v[121:122], v[57:58], -v[59:60]
	s_waitcnt lgkmcnt(0)
	v_mul_f64 v[59:60], v[109:110], v[105:106]
	v_fma_f64 v[59:60], v[107:108], v[57:58], -v[59:60]
	v_mul_f64 v[107:108], v[107:108], v[105:106]
	v_add_f64 v[53:54], v[53:54], -v[59:60]
	v_fma_f64 v[107:108], v[109:110], v[57:58], v[107:108]
	v_add_f64 v[55:56], v[55:56], -v[107:108]
	ds_read2_b64 v[107:110], v102 offset0:42 offset1:43
	s_waitcnt lgkmcnt(0)
	v_mul_f64 v[59:60], v[109:110], v[105:106]
	v_fma_f64 v[59:60], v[107:108], v[57:58], -v[59:60]
	v_mul_f64 v[107:108], v[107:108], v[105:106]
	v_add_f64 v[49:50], v[49:50], -v[59:60]
	v_fma_f64 v[107:108], v[109:110], v[57:58], v[107:108]
	v_add_f64 v[51:52], v[51:52], -v[107:108]
	ds_read2_b64 v[107:110], v102 offset0:44 offset1:45
	;; [unrolled: 8-line block ×14, first 2 shown]
	s_waitcnt lgkmcnt(0)
	v_mul_f64 v[59:60], v[109:110], v[105:106]
	v_fma_f64 v[59:60], v[107:108], v[57:58], -v[59:60]
	v_mul_f64 v[107:108], v[107:108], v[105:106]
	v_add_f64 v[97:98], v[97:98], -v[59:60]
	v_fma_f64 v[107:108], v[109:110], v[57:58], v[107:108]
	v_mov_b32_e32 v59, v105
	v_mov_b32_e32 v60, v106
	v_add_f64 v[99:100], v[99:100], -v[107:108]
.LBB68_419:
	s_or_b64 exec, exec, s[0:1]
	v_lshl_add_u32 v105, v104, 4, v102
	s_barrier
	ds_write2_b64 v105, v[53:54], v[55:56] offset1:1
	s_waitcnt lgkmcnt(0)
	s_barrier
	ds_read2_b64 v[121:124], v102 offset0:40 offset1:41
	s_cmp_lt_i32 s3, 22
	v_mov_b32_e32 v105, 20
	s_cbranch_scc1 .LBB68_422
; %bb.420:
	v_add_u32_e32 v106, 0x150, v102
	s_mov_b32 s0, 21
	v_mov_b32_e32 v105, 20
.LBB68_421:                             ; =>This Inner Loop Header: Depth=1
	s_waitcnt lgkmcnt(0)
	v_cmp_gt_f64_e32 vcc, 0, v[121:122]
	v_xor_b32_e32 v111, 0x80000000, v122
	ds_read2_b64 v[107:110], v106 offset1:1
	v_xor_b32_e32 v113, 0x80000000, v124
	v_add_u32_e32 v106, 16, v106
	s_waitcnt lgkmcnt(0)
	v_xor_b32_e32 v115, 0x80000000, v110
	v_cndmask_b32_e32 v112, v122, v111, vcc
	v_cmp_gt_f64_e32 vcc, 0, v[123:124]
	v_mov_b32_e32 v111, v121
	v_cndmask_b32_e32 v114, v124, v113, vcc
	v_cmp_gt_f64_e32 vcc, 0, v[107:108]
	v_mov_b32_e32 v113, v123
	v_add_f64 v[111:112], v[111:112], v[113:114]
	v_xor_b32_e32 v113, 0x80000000, v108
	v_cndmask_b32_e32 v114, v108, v113, vcc
	v_cmp_gt_f64_e32 vcc, 0, v[109:110]
	v_mov_b32_e32 v113, v107
	v_cndmask_b32_e32 v116, v110, v115, vcc
	v_mov_b32_e32 v115, v109
	v_add_f64 v[113:114], v[113:114], v[115:116]
	v_cmp_lt_f64_e32 vcc, v[111:112], v[113:114]
	v_cndmask_b32_e32 v121, v121, v107, vcc
	v_mov_b32_e32 v107, s0
	s_add_i32 s0, s0, 1
	v_cndmask_b32_e32 v122, v122, v108, vcc
	v_cndmask_b32_e32 v124, v124, v110, vcc
	;; [unrolled: 1-line block ×4, first 2 shown]
	s_cmp_lg_u32 s3, s0
	s_cbranch_scc1 .LBB68_421
.LBB68_422:
	s_waitcnt lgkmcnt(0)
	v_cmp_eq_f64_e32 vcc, 0, v[121:122]
	v_cmp_eq_f64_e64 s[0:1], 0, v[123:124]
	s_and_b64 s[0:1], vcc, s[0:1]
	s_and_saveexec_b64 s[18:19], s[0:1]
	s_xor_b64 s[0:1], exec, s[18:19]
; %bb.423:
	v_cmp_ne_u32_e32 vcc, 0, v103
	v_cndmask_b32_e32 v103, 21, v103, vcc
; %bb.424:
	s_andn2_saveexec_b64 s[0:1], s[0:1]
	s_cbranch_execz .LBB68_430
; %bb.425:
	v_cmp_ngt_f64_e64 s[18:19], |v[121:122]|, |v[123:124]|
	s_and_saveexec_b64 s[20:21], s[18:19]
	s_xor_b64 s[18:19], exec, s[20:21]
	s_cbranch_execz .LBB68_427
; %bb.426:
	v_div_scale_f64 v[106:107], s[20:21], v[123:124], v[123:124], v[121:122]
	v_rcp_f64_e32 v[108:109], v[106:107]
	v_fma_f64 v[110:111], -v[106:107], v[108:109], 1.0
	v_fma_f64 v[108:109], v[108:109], v[110:111], v[108:109]
	v_div_scale_f64 v[110:111], vcc, v[121:122], v[123:124], v[121:122]
	v_fma_f64 v[112:113], -v[106:107], v[108:109], 1.0
	v_fma_f64 v[108:109], v[108:109], v[112:113], v[108:109]
	v_mul_f64 v[112:113], v[110:111], v[108:109]
	v_fma_f64 v[106:107], -v[106:107], v[112:113], v[110:111]
	v_div_fmas_f64 v[106:107], v[106:107], v[108:109], v[112:113]
	v_div_fixup_f64 v[106:107], v[106:107], v[123:124], v[121:122]
	v_fma_f64 v[108:109], v[121:122], v[106:107], v[123:124]
	v_div_scale_f64 v[110:111], s[20:21], v[108:109], v[108:109], 1.0
	v_div_scale_f64 v[116:117], vcc, 1.0, v[108:109], 1.0
	v_rcp_f64_e32 v[112:113], v[110:111]
	v_fma_f64 v[114:115], -v[110:111], v[112:113], 1.0
	v_fma_f64 v[112:113], v[112:113], v[114:115], v[112:113]
	v_fma_f64 v[114:115], -v[110:111], v[112:113], 1.0
	v_fma_f64 v[112:113], v[112:113], v[114:115], v[112:113]
	v_mul_f64 v[114:115], v[116:117], v[112:113]
	v_fma_f64 v[110:111], -v[110:111], v[114:115], v[116:117]
	v_div_fmas_f64 v[110:111], v[110:111], v[112:113], v[114:115]
	v_div_fixup_f64 v[123:124], v[110:111], v[108:109], 1.0
	v_mul_f64 v[121:122], v[106:107], v[123:124]
	v_xor_b32_e32 v124, 0x80000000, v124
.LBB68_427:
	s_andn2_saveexec_b64 s[18:19], s[18:19]
	s_cbranch_execz .LBB68_429
; %bb.428:
	v_div_scale_f64 v[106:107], s[20:21], v[121:122], v[121:122], v[123:124]
	v_rcp_f64_e32 v[108:109], v[106:107]
	v_fma_f64 v[110:111], -v[106:107], v[108:109], 1.0
	v_fma_f64 v[108:109], v[108:109], v[110:111], v[108:109]
	v_div_scale_f64 v[110:111], vcc, v[123:124], v[121:122], v[123:124]
	v_fma_f64 v[112:113], -v[106:107], v[108:109], 1.0
	v_fma_f64 v[108:109], v[108:109], v[112:113], v[108:109]
	v_mul_f64 v[112:113], v[110:111], v[108:109]
	v_fma_f64 v[106:107], -v[106:107], v[112:113], v[110:111]
	v_div_fmas_f64 v[106:107], v[106:107], v[108:109], v[112:113]
	v_div_fixup_f64 v[106:107], v[106:107], v[121:122], v[123:124]
	v_fma_f64 v[108:109], v[123:124], v[106:107], v[121:122]
	v_div_scale_f64 v[110:111], s[20:21], v[108:109], v[108:109], 1.0
	v_div_scale_f64 v[116:117], vcc, 1.0, v[108:109], 1.0
	v_rcp_f64_e32 v[112:113], v[110:111]
	v_fma_f64 v[114:115], -v[110:111], v[112:113], 1.0
	v_fma_f64 v[112:113], v[112:113], v[114:115], v[112:113]
	v_fma_f64 v[114:115], -v[110:111], v[112:113], 1.0
	v_fma_f64 v[112:113], v[112:113], v[114:115], v[112:113]
	v_mul_f64 v[114:115], v[116:117], v[112:113]
	v_fma_f64 v[110:111], -v[110:111], v[114:115], v[116:117]
	v_div_fmas_f64 v[110:111], v[110:111], v[112:113], v[114:115]
	v_div_fixup_f64 v[121:122], v[110:111], v[108:109], 1.0
	v_mul_f64 v[123:124], v[106:107], -v[121:122]
.LBB68_429:
	s_or_b64 exec, exec, s[18:19]
.LBB68_430:
	s_or_b64 exec, exec, s[0:1]
	v_cmp_ne_u32_e32 vcc, v104, v105
	s_and_saveexec_b64 s[0:1], vcc
	s_xor_b64 s[0:1], exec, s[0:1]
	s_cbranch_execz .LBB68_436
; %bb.431:
	v_cmp_eq_u32_e32 vcc, 20, v104
	s_and_saveexec_b64 s[18:19], vcc
	s_cbranch_execz .LBB68_435
; %bb.432:
	v_cmp_ne_u32_e32 vcc, 20, v105
	s_xor_b64 s[20:21], s[6:7], -1
	s_and_b64 s[22:23], s[20:21], vcc
	s_and_saveexec_b64 s[20:21], s[22:23]
	s_cbranch_execz .LBB68_434
; %bb.433:
	v_ashrrev_i32_e32 v106, 31, v105
	v_lshlrev_b64 v[106:107], 2, v[105:106]
	v_add_co_u32_e32 v106, vcc, v119, v106
	v_addc_co_u32_e32 v107, vcc, v120, v107, vcc
	global_load_dword v0, v[106:107], off
	global_load_dword v104, v[119:120], off offset:80
	s_waitcnt vmcnt(1)
	global_store_dword v[119:120], v0, off offset:80
	s_waitcnt vmcnt(1)
	global_store_dword v[106:107], v104, off
.LBB68_434:
	s_or_b64 exec, exec, s[20:21]
	v_mov_b32_e32 v104, v105
	v_mov_b32_e32 v0, v105
.LBB68_435:
	s_or_b64 exec, exec, s[18:19]
.LBB68_436:
	s_andn2_saveexec_b64 s[0:1], s[0:1]
	s_cbranch_execz .LBB68_438
; %bb.437:
	v_mov_b32_e32 v104, 20
	ds_write2_b64 v102, v[49:50], v[51:52] offset0:42 offset1:43
	ds_write2_b64 v102, v[45:46], v[47:48] offset0:44 offset1:45
	;; [unrolled: 1-line block ×14, first 2 shown]
.LBB68_438:
	s_or_b64 exec, exec, s[0:1]
	v_cmp_lt_i32_e32 vcc, 20, v104
	s_waitcnt vmcnt(0) lgkmcnt(0)
	s_barrier
	s_and_saveexec_b64 s[0:1], vcc
	s_cbranch_execz .LBB68_440
; %bb.439:
	v_mul_f64 v[105:106], v[121:122], v[55:56]
	v_mul_f64 v[55:56], v[123:124], v[55:56]
	ds_read2_b64 v[107:110], v102 offset0:42 offset1:43
	v_fma_f64 v[105:106], v[123:124], v[53:54], v[105:106]
	v_fma_f64 v[53:54], v[121:122], v[53:54], -v[55:56]
	s_waitcnt lgkmcnt(0)
	v_mul_f64 v[55:56], v[109:110], v[105:106]
	v_fma_f64 v[55:56], v[107:108], v[53:54], -v[55:56]
	v_mul_f64 v[107:108], v[107:108], v[105:106]
	v_add_f64 v[49:50], v[49:50], -v[55:56]
	v_fma_f64 v[107:108], v[109:110], v[53:54], v[107:108]
	v_add_f64 v[51:52], v[51:52], -v[107:108]
	ds_read2_b64 v[107:110], v102 offset0:44 offset1:45
	s_waitcnt lgkmcnt(0)
	v_mul_f64 v[55:56], v[109:110], v[105:106]
	v_fma_f64 v[55:56], v[107:108], v[53:54], -v[55:56]
	v_mul_f64 v[107:108], v[107:108], v[105:106]
	v_add_f64 v[45:46], v[45:46], -v[55:56]
	v_fma_f64 v[107:108], v[109:110], v[53:54], v[107:108]
	v_add_f64 v[47:48], v[47:48], -v[107:108]
	ds_read2_b64 v[107:110], v102 offset0:46 offset1:47
	;; [unrolled: 8-line block ×13, first 2 shown]
	s_waitcnt lgkmcnt(0)
	v_mul_f64 v[55:56], v[109:110], v[105:106]
	v_fma_f64 v[55:56], v[107:108], v[53:54], -v[55:56]
	v_mul_f64 v[107:108], v[107:108], v[105:106]
	v_add_f64 v[97:98], v[97:98], -v[55:56]
	v_fma_f64 v[107:108], v[109:110], v[53:54], v[107:108]
	v_mov_b32_e32 v55, v105
	v_mov_b32_e32 v56, v106
	v_add_f64 v[99:100], v[99:100], -v[107:108]
.LBB68_440:
	s_or_b64 exec, exec, s[0:1]
	v_lshl_add_u32 v105, v104, 4, v102
	s_barrier
	ds_write2_b64 v105, v[49:50], v[51:52] offset1:1
	s_waitcnt lgkmcnt(0)
	s_barrier
	ds_read2_b64 v[121:124], v102 offset0:42 offset1:43
	s_cmp_lt_i32 s3, 23
	v_mov_b32_e32 v105, 21
	s_cbranch_scc1 .LBB68_443
; %bb.441:
	v_add_u32_e32 v106, 0x160, v102
	s_mov_b32 s0, 22
	v_mov_b32_e32 v105, 21
.LBB68_442:                             ; =>This Inner Loop Header: Depth=1
	s_waitcnt lgkmcnt(0)
	v_cmp_gt_f64_e32 vcc, 0, v[121:122]
	v_xor_b32_e32 v111, 0x80000000, v122
	ds_read2_b64 v[107:110], v106 offset1:1
	v_xor_b32_e32 v113, 0x80000000, v124
	v_add_u32_e32 v106, 16, v106
	s_waitcnt lgkmcnt(0)
	v_xor_b32_e32 v115, 0x80000000, v110
	v_cndmask_b32_e32 v112, v122, v111, vcc
	v_cmp_gt_f64_e32 vcc, 0, v[123:124]
	v_mov_b32_e32 v111, v121
	v_cndmask_b32_e32 v114, v124, v113, vcc
	v_cmp_gt_f64_e32 vcc, 0, v[107:108]
	v_mov_b32_e32 v113, v123
	v_add_f64 v[111:112], v[111:112], v[113:114]
	v_xor_b32_e32 v113, 0x80000000, v108
	v_cndmask_b32_e32 v114, v108, v113, vcc
	v_cmp_gt_f64_e32 vcc, 0, v[109:110]
	v_mov_b32_e32 v113, v107
	v_cndmask_b32_e32 v116, v110, v115, vcc
	v_mov_b32_e32 v115, v109
	v_add_f64 v[113:114], v[113:114], v[115:116]
	v_cmp_lt_f64_e32 vcc, v[111:112], v[113:114]
	v_cndmask_b32_e32 v121, v121, v107, vcc
	v_mov_b32_e32 v107, s0
	s_add_i32 s0, s0, 1
	v_cndmask_b32_e32 v122, v122, v108, vcc
	v_cndmask_b32_e32 v124, v124, v110, vcc
	;; [unrolled: 1-line block ×4, first 2 shown]
	s_cmp_lg_u32 s3, s0
	s_cbranch_scc1 .LBB68_442
.LBB68_443:
	s_waitcnt lgkmcnt(0)
	v_cmp_eq_f64_e32 vcc, 0, v[121:122]
	v_cmp_eq_f64_e64 s[0:1], 0, v[123:124]
	s_and_b64 s[0:1], vcc, s[0:1]
	s_and_saveexec_b64 s[18:19], s[0:1]
	s_xor_b64 s[0:1], exec, s[18:19]
; %bb.444:
	v_cmp_ne_u32_e32 vcc, 0, v103
	v_cndmask_b32_e32 v103, 22, v103, vcc
; %bb.445:
	s_andn2_saveexec_b64 s[0:1], s[0:1]
	s_cbranch_execz .LBB68_451
; %bb.446:
	v_cmp_ngt_f64_e64 s[18:19], |v[121:122]|, |v[123:124]|
	s_and_saveexec_b64 s[20:21], s[18:19]
	s_xor_b64 s[18:19], exec, s[20:21]
	s_cbranch_execz .LBB68_448
; %bb.447:
	v_div_scale_f64 v[106:107], s[20:21], v[123:124], v[123:124], v[121:122]
	v_rcp_f64_e32 v[108:109], v[106:107]
	v_fma_f64 v[110:111], -v[106:107], v[108:109], 1.0
	v_fma_f64 v[108:109], v[108:109], v[110:111], v[108:109]
	v_div_scale_f64 v[110:111], vcc, v[121:122], v[123:124], v[121:122]
	v_fma_f64 v[112:113], -v[106:107], v[108:109], 1.0
	v_fma_f64 v[108:109], v[108:109], v[112:113], v[108:109]
	v_mul_f64 v[112:113], v[110:111], v[108:109]
	v_fma_f64 v[106:107], -v[106:107], v[112:113], v[110:111]
	v_div_fmas_f64 v[106:107], v[106:107], v[108:109], v[112:113]
	v_div_fixup_f64 v[106:107], v[106:107], v[123:124], v[121:122]
	v_fma_f64 v[108:109], v[121:122], v[106:107], v[123:124]
	v_div_scale_f64 v[110:111], s[20:21], v[108:109], v[108:109], 1.0
	v_div_scale_f64 v[116:117], vcc, 1.0, v[108:109], 1.0
	v_rcp_f64_e32 v[112:113], v[110:111]
	v_fma_f64 v[114:115], -v[110:111], v[112:113], 1.0
	v_fma_f64 v[112:113], v[112:113], v[114:115], v[112:113]
	v_fma_f64 v[114:115], -v[110:111], v[112:113], 1.0
	v_fma_f64 v[112:113], v[112:113], v[114:115], v[112:113]
	v_mul_f64 v[114:115], v[116:117], v[112:113]
	v_fma_f64 v[110:111], -v[110:111], v[114:115], v[116:117]
	v_div_fmas_f64 v[110:111], v[110:111], v[112:113], v[114:115]
	v_div_fixup_f64 v[123:124], v[110:111], v[108:109], 1.0
	v_mul_f64 v[121:122], v[106:107], v[123:124]
	v_xor_b32_e32 v124, 0x80000000, v124
.LBB68_448:
	s_andn2_saveexec_b64 s[18:19], s[18:19]
	s_cbranch_execz .LBB68_450
; %bb.449:
	v_div_scale_f64 v[106:107], s[20:21], v[121:122], v[121:122], v[123:124]
	v_rcp_f64_e32 v[108:109], v[106:107]
	v_fma_f64 v[110:111], -v[106:107], v[108:109], 1.0
	v_fma_f64 v[108:109], v[108:109], v[110:111], v[108:109]
	v_div_scale_f64 v[110:111], vcc, v[123:124], v[121:122], v[123:124]
	v_fma_f64 v[112:113], -v[106:107], v[108:109], 1.0
	v_fma_f64 v[108:109], v[108:109], v[112:113], v[108:109]
	v_mul_f64 v[112:113], v[110:111], v[108:109]
	v_fma_f64 v[106:107], -v[106:107], v[112:113], v[110:111]
	v_div_fmas_f64 v[106:107], v[106:107], v[108:109], v[112:113]
	v_div_fixup_f64 v[106:107], v[106:107], v[121:122], v[123:124]
	v_fma_f64 v[108:109], v[123:124], v[106:107], v[121:122]
	v_div_scale_f64 v[110:111], s[20:21], v[108:109], v[108:109], 1.0
	v_div_scale_f64 v[116:117], vcc, 1.0, v[108:109], 1.0
	v_rcp_f64_e32 v[112:113], v[110:111]
	v_fma_f64 v[114:115], -v[110:111], v[112:113], 1.0
	v_fma_f64 v[112:113], v[112:113], v[114:115], v[112:113]
	v_fma_f64 v[114:115], -v[110:111], v[112:113], 1.0
	v_fma_f64 v[112:113], v[112:113], v[114:115], v[112:113]
	v_mul_f64 v[114:115], v[116:117], v[112:113]
	v_fma_f64 v[110:111], -v[110:111], v[114:115], v[116:117]
	v_div_fmas_f64 v[110:111], v[110:111], v[112:113], v[114:115]
	v_div_fixup_f64 v[121:122], v[110:111], v[108:109], 1.0
	v_mul_f64 v[123:124], v[106:107], -v[121:122]
.LBB68_450:
	s_or_b64 exec, exec, s[18:19]
.LBB68_451:
	s_or_b64 exec, exec, s[0:1]
	v_cmp_ne_u32_e32 vcc, v104, v105
	s_and_saveexec_b64 s[0:1], vcc
	s_xor_b64 s[0:1], exec, s[0:1]
	s_cbranch_execz .LBB68_457
; %bb.452:
	v_cmp_eq_u32_e32 vcc, 21, v104
	s_and_saveexec_b64 s[18:19], vcc
	s_cbranch_execz .LBB68_456
; %bb.453:
	v_cmp_ne_u32_e32 vcc, 21, v105
	s_xor_b64 s[20:21], s[6:7], -1
	s_and_b64 s[22:23], s[20:21], vcc
	s_and_saveexec_b64 s[20:21], s[22:23]
	s_cbranch_execz .LBB68_455
; %bb.454:
	v_ashrrev_i32_e32 v106, 31, v105
	v_lshlrev_b64 v[106:107], 2, v[105:106]
	v_add_co_u32_e32 v106, vcc, v119, v106
	v_addc_co_u32_e32 v107, vcc, v120, v107, vcc
	global_load_dword v0, v[106:107], off
	global_load_dword v104, v[119:120], off offset:84
	s_waitcnt vmcnt(1)
	global_store_dword v[119:120], v0, off offset:84
	s_waitcnt vmcnt(1)
	global_store_dword v[106:107], v104, off
.LBB68_455:
	s_or_b64 exec, exec, s[20:21]
	v_mov_b32_e32 v104, v105
	v_mov_b32_e32 v0, v105
.LBB68_456:
	s_or_b64 exec, exec, s[18:19]
.LBB68_457:
	s_andn2_saveexec_b64 s[0:1], s[0:1]
	s_cbranch_execz .LBB68_459
; %bb.458:
	v_mov_b32_e32 v104, 21
	ds_write2_b64 v102, v[45:46], v[47:48] offset0:44 offset1:45
	ds_write2_b64 v102, v[41:42], v[43:44] offset0:46 offset1:47
	;; [unrolled: 1-line block ×13, first 2 shown]
.LBB68_459:
	s_or_b64 exec, exec, s[0:1]
	v_cmp_lt_i32_e32 vcc, 21, v104
	s_waitcnt vmcnt(0) lgkmcnt(0)
	s_barrier
	s_and_saveexec_b64 s[0:1], vcc
	s_cbranch_execz .LBB68_461
; %bb.460:
	v_mul_f64 v[105:106], v[121:122], v[51:52]
	v_mul_f64 v[51:52], v[123:124], v[51:52]
	ds_read2_b64 v[107:110], v102 offset0:44 offset1:45
	v_fma_f64 v[105:106], v[123:124], v[49:50], v[105:106]
	v_fma_f64 v[49:50], v[121:122], v[49:50], -v[51:52]
	s_waitcnt lgkmcnt(0)
	v_mul_f64 v[51:52], v[109:110], v[105:106]
	v_fma_f64 v[51:52], v[107:108], v[49:50], -v[51:52]
	v_mul_f64 v[107:108], v[107:108], v[105:106]
	v_add_f64 v[45:46], v[45:46], -v[51:52]
	v_fma_f64 v[107:108], v[109:110], v[49:50], v[107:108]
	v_add_f64 v[47:48], v[47:48], -v[107:108]
	ds_read2_b64 v[107:110], v102 offset0:46 offset1:47
	s_waitcnt lgkmcnt(0)
	v_mul_f64 v[51:52], v[109:110], v[105:106]
	v_fma_f64 v[51:52], v[107:108], v[49:50], -v[51:52]
	v_mul_f64 v[107:108], v[107:108], v[105:106]
	v_add_f64 v[41:42], v[41:42], -v[51:52]
	v_fma_f64 v[107:108], v[109:110], v[49:50], v[107:108]
	v_add_f64 v[43:44], v[43:44], -v[107:108]
	ds_read2_b64 v[107:110], v102 offset0:48 offset1:49
	;; [unrolled: 8-line block ×12, first 2 shown]
	s_waitcnt lgkmcnt(0)
	v_mul_f64 v[51:52], v[109:110], v[105:106]
	v_fma_f64 v[51:52], v[107:108], v[49:50], -v[51:52]
	v_mul_f64 v[107:108], v[107:108], v[105:106]
	v_add_f64 v[97:98], v[97:98], -v[51:52]
	v_fma_f64 v[107:108], v[109:110], v[49:50], v[107:108]
	v_mov_b32_e32 v51, v105
	v_mov_b32_e32 v52, v106
	v_add_f64 v[99:100], v[99:100], -v[107:108]
.LBB68_461:
	s_or_b64 exec, exec, s[0:1]
	v_lshl_add_u32 v105, v104, 4, v102
	s_barrier
	ds_write2_b64 v105, v[45:46], v[47:48] offset1:1
	s_waitcnt lgkmcnt(0)
	s_barrier
	ds_read2_b64 v[121:124], v102 offset0:44 offset1:45
	s_cmp_lt_i32 s3, 24
	v_mov_b32_e32 v105, 22
	s_cbranch_scc1 .LBB68_464
; %bb.462:
	v_add_u32_e32 v106, 0x170, v102
	s_mov_b32 s0, 23
	v_mov_b32_e32 v105, 22
.LBB68_463:                             ; =>This Inner Loop Header: Depth=1
	s_waitcnt lgkmcnt(0)
	v_cmp_gt_f64_e32 vcc, 0, v[121:122]
	v_xor_b32_e32 v111, 0x80000000, v122
	ds_read2_b64 v[107:110], v106 offset1:1
	v_xor_b32_e32 v113, 0x80000000, v124
	v_add_u32_e32 v106, 16, v106
	s_waitcnt lgkmcnt(0)
	v_xor_b32_e32 v115, 0x80000000, v110
	v_cndmask_b32_e32 v112, v122, v111, vcc
	v_cmp_gt_f64_e32 vcc, 0, v[123:124]
	v_mov_b32_e32 v111, v121
	v_cndmask_b32_e32 v114, v124, v113, vcc
	v_cmp_gt_f64_e32 vcc, 0, v[107:108]
	v_mov_b32_e32 v113, v123
	v_add_f64 v[111:112], v[111:112], v[113:114]
	v_xor_b32_e32 v113, 0x80000000, v108
	v_cndmask_b32_e32 v114, v108, v113, vcc
	v_cmp_gt_f64_e32 vcc, 0, v[109:110]
	v_mov_b32_e32 v113, v107
	v_cndmask_b32_e32 v116, v110, v115, vcc
	v_mov_b32_e32 v115, v109
	v_add_f64 v[113:114], v[113:114], v[115:116]
	v_cmp_lt_f64_e32 vcc, v[111:112], v[113:114]
	v_cndmask_b32_e32 v121, v121, v107, vcc
	v_mov_b32_e32 v107, s0
	s_add_i32 s0, s0, 1
	v_cndmask_b32_e32 v122, v122, v108, vcc
	v_cndmask_b32_e32 v124, v124, v110, vcc
	;; [unrolled: 1-line block ×4, first 2 shown]
	s_cmp_lg_u32 s3, s0
	s_cbranch_scc1 .LBB68_463
.LBB68_464:
	s_waitcnt lgkmcnt(0)
	v_cmp_eq_f64_e32 vcc, 0, v[121:122]
	v_cmp_eq_f64_e64 s[0:1], 0, v[123:124]
	s_and_b64 s[0:1], vcc, s[0:1]
	s_and_saveexec_b64 s[18:19], s[0:1]
	s_xor_b64 s[0:1], exec, s[18:19]
; %bb.465:
	v_cmp_ne_u32_e32 vcc, 0, v103
	v_cndmask_b32_e32 v103, 23, v103, vcc
; %bb.466:
	s_andn2_saveexec_b64 s[0:1], s[0:1]
	s_cbranch_execz .LBB68_472
; %bb.467:
	v_cmp_ngt_f64_e64 s[18:19], |v[121:122]|, |v[123:124]|
	s_and_saveexec_b64 s[20:21], s[18:19]
	s_xor_b64 s[18:19], exec, s[20:21]
	s_cbranch_execz .LBB68_469
; %bb.468:
	v_div_scale_f64 v[106:107], s[20:21], v[123:124], v[123:124], v[121:122]
	v_rcp_f64_e32 v[108:109], v[106:107]
	v_fma_f64 v[110:111], -v[106:107], v[108:109], 1.0
	v_fma_f64 v[108:109], v[108:109], v[110:111], v[108:109]
	v_div_scale_f64 v[110:111], vcc, v[121:122], v[123:124], v[121:122]
	v_fma_f64 v[112:113], -v[106:107], v[108:109], 1.0
	v_fma_f64 v[108:109], v[108:109], v[112:113], v[108:109]
	v_mul_f64 v[112:113], v[110:111], v[108:109]
	v_fma_f64 v[106:107], -v[106:107], v[112:113], v[110:111]
	v_div_fmas_f64 v[106:107], v[106:107], v[108:109], v[112:113]
	v_div_fixup_f64 v[106:107], v[106:107], v[123:124], v[121:122]
	v_fma_f64 v[108:109], v[121:122], v[106:107], v[123:124]
	v_div_scale_f64 v[110:111], s[20:21], v[108:109], v[108:109], 1.0
	v_div_scale_f64 v[116:117], vcc, 1.0, v[108:109], 1.0
	v_rcp_f64_e32 v[112:113], v[110:111]
	v_fma_f64 v[114:115], -v[110:111], v[112:113], 1.0
	v_fma_f64 v[112:113], v[112:113], v[114:115], v[112:113]
	v_fma_f64 v[114:115], -v[110:111], v[112:113], 1.0
	v_fma_f64 v[112:113], v[112:113], v[114:115], v[112:113]
	v_mul_f64 v[114:115], v[116:117], v[112:113]
	v_fma_f64 v[110:111], -v[110:111], v[114:115], v[116:117]
	v_div_fmas_f64 v[110:111], v[110:111], v[112:113], v[114:115]
	v_div_fixup_f64 v[123:124], v[110:111], v[108:109], 1.0
	v_mul_f64 v[121:122], v[106:107], v[123:124]
	v_xor_b32_e32 v124, 0x80000000, v124
.LBB68_469:
	s_andn2_saveexec_b64 s[18:19], s[18:19]
	s_cbranch_execz .LBB68_471
; %bb.470:
	v_div_scale_f64 v[106:107], s[20:21], v[121:122], v[121:122], v[123:124]
	v_rcp_f64_e32 v[108:109], v[106:107]
	v_fma_f64 v[110:111], -v[106:107], v[108:109], 1.0
	v_fma_f64 v[108:109], v[108:109], v[110:111], v[108:109]
	v_div_scale_f64 v[110:111], vcc, v[123:124], v[121:122], v[123:124]
	v_fma_f64 v[112:113], -v[106:107], v[108:109], 1.0
	v_fma_f64 v[108:109], v[108:109], v[112:113], v[108:109]
	v_mul_f64 v[112:113], v[110:111], v[108:109]
	v_fma_f64 v[106:107], -v[106:107], v[112:113], v[110:111]
	v_div_fmas_f64 v[106:107], v[106:107], v[108:109], v[112:113]
	v_div_fixup_f64 v[106:107], v[106:107], v[121:122], v[123:124]
	v_fma_f64 v[108:109], v[123:124], v[106:107], v[121:122]
	v_div_scale_f64 v[110:111], s[20:21], v[108:109], v[108:109], 1.0
	v_div_scale_f64 v[116:117], vcc, 1.0, v[108:109], 1.0
	v_rcp_f64_e32 v[112:113], v[110:111]
	v_fma_f64 v[114:115], -v[110:111], v[112:113], 1.0
	v_fma_f64 v[112:113], v[112:113], v[114:115], v[112:113]
	v_fma_f64 v[114:115], -v[110:111], v[112:113], 1.0
	v_fma_f64 v[112:113], v[112:113], v[114:115], v[112:113]
	v_mul_f64 v[114:115], v[116:117], v[112:113]
	v_fma_f64 v[110:111], -v[110:111], v[114:115], v[116:117]
	v_div_fmas_f64 v[110:111], v[110:111], v[112:113], v[114:115]
	v_div_fixup_f64 v[121:122], v[110:111], v[108:109], 1.0
	v_mul_f64 v[123:124], v[106:107], -v[121:122]
.LBB68_471:
	s_or_b64 exec, exec, s[18:19]
.LBB68_472:
	s_or_b64 exec, exec, s[0:1]
	v_cmp_ne_u32_e32 vcc, v104, v105
	s_and_saveexec_b64 s[0:1], vcc
	s_xor_b64 s[0:1], exec, s[0:1]
	s_cbranch_execz .LBB68_478
; %bb.473:
	v_cmp_eq_u32_e32 vcc, 22, v104
	s_and_saveexec_b64 s[18:19], vcc
	s_cbranch_execz .LBB68_477
; %bb.474:
	v_cmp_ne_u32_e32 vcc, 22, v105
	s_xor_b64 s[20:21], s[6:7], -1
	s_and_b64 s[22:23], s[20:21], vcc
	s_and_saveexec_b64 s[20:21], s[22:23]
	s_cbranch_execz .LBB68_476
; %bb.475:
	v_ashrrev_i32_e32 v106, 31, v105
	v_lshlrev_b64 v[106:107], 2, v[105:106]
	v_add_co_u32_e32 v106, vcc, v119, v106
	v_addc_co_u32_e32 v107, vcc, v120, v107, vcc
	global_load_dword v0, v[106:107], off
	global_load_dword v104, v[119:120], off offset:88
	s_waitcnt vmcnt(1)
	global_store_dword v[119:120], v0, off offset:88
	s_waitcnt vmcnt(1)
	global_store_dword v[106:107], v104, off
.LBB68_476:
	s_or_b64 exec, exec, s[20:21]
	v_mov_b32_e32 v104, v105
	v_mov_b32_e32 v0, v105
.LBB68_477:
	s_or_b64 exec, exec, s[18:19]
.LBB68_478:
	s_andn2_saveexec_b64 s[0:1], s[0:1]
	s_cbranch_execz .LBB68_480
; %bb.479:
	v_mov_b32_e32 v104, 22
	ds_write2_b64 v102, v[41:42], v[43:44] offset0:46 offset1:47
	ds_write2_b64 v102, v[37:38], v[39:40] offset0:48 offset1:49
	;; [unrolled: 1-line block ×12, first 2 shown]
.LBB68_480:
	s_or_b64 exec, exec, s[0:1]
	v_cmp_lt_i32_e32 vcc, 22, v104
	s_waitcnt vmcnt(0) lgkmcnt(0)
	s_barrier
	s_and_saveexec_b64 s[0:1], vcc
	s_cbranch_execz .LBB68_482
; %bb.481:
	v_mul_f64 v[105:106], v[121:122], v[47:48]
	v_mul_f64 v[47:48], v[123:124], v[47:48]
	ds_read2_b64 v[107:110], v102 offset0:46 offset1:47
	v_fma_f64 v[105:106], v[123:124], v[45:46], v[105:106]
	v_fma_f64 v[45:46], v[121:122], v[45:46], -v[47:48]
	s_waitcnt lgkmcnt(0)
	v_mul_f64 v[47:48], v[109:110], v[105:106]
	v_fma_f64 v[47:48], v[107:108], v[45:46], -v[47:48]
	v_mul_f64 v[107:108], v[107:108], v[105:106]
	v_add_f64 v[41:42], v[41:42], -v[47:48]
	v_fma_f64 v[107:108], v[109:110], v[45:46], v[107:108]
	v_add_f64 v[43:44], v[43:44], -v[107:108]
	ds_read2_b64 v[107:110], v102 offset0:48 offset1:49
	s_waitcnt lgkmcnt(0)
	v_mul_f64 v[47:48], v[109:110], v[105:106]
	v_fma_f64 v[47:48], v[107:108], v[45:46], -v[47:48]
	v_mul_f64 v[107:108], v[107:108], v[105:106]
	v_add_f64 v[37:38], v[37:38], -v[47:48]
	v_fma_f64 v[107:108], v[109:110], v[45:46], v[107:108]
	v_add_f64 v[39:40], v[39:40], -v[107:108]
	ds_read2_b64 v[107:110], v102 offset0:50 offset1:51
	;; [unrolled: 8-line block ×11, first 2 shown]
	s_waitcnt lgkmcnt(0)
	v_mul_f64 v[47:48], v[109:110], v[105:106]
	v_fma_f64 v[47:48], v[107:108], v[45:46], -v[47:48]
	v_mul_f64 v[107:108], v[107:108], v[105:106]
	v_add_f64 v[97:98], v[97:98], -v[47:48]
	v_fma_f64 v[107:108], v[109:110], v[45:46], v[107:108]
	v_mov_b32_e32 v47, v105
	v_mov_b32_e32 v48, v106
	v_add_f64 v[99:100], v[99:100], -v[107:108]
.LBB68_482:
	s_or_b64 exec, exec, s[0:1]
	v_lshl_add_u32 v105, v104, 4, v102
	s_barrier
	ds_write2_b64 v105, v[41:42], v[43:44] offset1:1
	s_waitcnt lgkmcnt(0)
	s_barrier
	ds_read2_b64 v[121:124], v102 offset0:46 offset1:47
	s_cmp_lt_i32 s3, 25
	v_mov_b32_e32 v105, 23
	s_cbranch_scc1 .LBB68_485
; %bb.483:
	v_add_u32_e32 v106, 0x180, v102
	s_mov_b32 s0, 24
	v_mov_b32_e32 v105, 23
.LBB68_484:                             ; =>This Inner Loop Header: Depth=1
	s_waitcnt lgkmcnt(0)
	v_cmp_gt_f64_e32 vcc, 0, v[121:122]
	v_xor_b32_e32 v111, 0x80000000, v122
	ds_read2_b64 v[107:110], v106 offset1:1
	v_xor_b32_e32 v113, 0x80000000, v124
	v_add_u32_e32 v106, 16, v106
	s_waitcnt lgkmcnt(0)
	v_xor_b32_e32 v115, 0x80000000, v110
	v_cndmask_b32_e32 v112, v122, v111, vcc
	v_cmp_gt_f64_e32 vcc, 0, v[123:124]
	v_mov_b32_e32 v111, v121
	v_cndmask_b32_e32 v114, v124, v113, vcc
	v_cmp_gt_f64_e32 vcc, 0, v[107:108]
	v_mov_b32_e32 v113, v123
	v_add_f64 v[111:112], v[111:112], v[113:114]
	v_xor_b32_e32 v113, 0x80000000, v108
	v_cndmask_b32_e32 v114, v108, v113, vcc
	v_cmp_gt_f64_e32 vcc, 0, v[109:110]
	v_mov_b32_e32 v113, v107
	v_cndmask_b32_e32 v116, v110, v115, vcc
	v_mov_b32_e32 v115, v109
	v_add_f64 v[113:114], v[113:114], v[115:116]
	v_cmp_lt_f64_e32 vcc, v[111:112], v[113:114]
	v_cndmask_b32_e32 v121, v121, v107, vcc
	v_mov_b32_e32 v107, s0
	s_add_i32 s0, s0, 1
	v_cndmask_b32_e32 v122, v122, v108, vcc
	v_cndmask_b32_e32 v124, v124, v110, vcc
	;; [unrolled: 1-line block ×4, first 2 shown]
	s_cmp_lg_u32 s3, s0
	s_cbranch_scc1 .LBB68_484
.LBB68_485:
	s_waitcnt lgkmcnt(0)
	v_cmp_eq_f64_e32 vcc, 0, v[121:122]
	v_cmp_eq_f64_e64 s[0:1], 0, v[123:124]
	s_and_b64 s[0:1], vcc, s[0:1]
	s_and_saveexec_b64 s[18:19], s[0:1]
	s_xor_b64 s[0:1], exec, s[18:19]
; %bb.486:
	v_cmp_ne_u32_e32 vcc, 0, v103
	v_cndmask_b32_e32 v103, 24, v103, vcc
; %bb.487:
	s_andn2_saveexec_b64 s[0:1], s[0:1]
	s_cbranch_execz .LBB68_493
; %bb.488:
	v_cmp_ngt_f64_e64 s[18:19], |v[121:122]|, |v[123:124]|
	s_and_saveexec_b64 s[20:21], s[18:19]
	s_xor_b64 s[18:19], exec, s[20:21]
	s_cbranch_execz .LBB68_490
; %bb.489:
	v_div_scale_f64 v[106:107], s[20:21], v[123:124], v[123:124], v[121:122]
	v_rcp_f64_e32 v[108:109], v[106:107]
	v_fma_f64 v[110:111], -v[106:107], v[108:109], 1.0
	v_fma_f64 v[108:109], v[108:109], v[110:111], v[108:109]
	v_div_scale_f64 v[110:111], vcc, v[121:122], v[123:124], v[121:122]
	v_fma_f64 v[112:113], -v[106:107], v[108:109], 1.0
	v_fma_f64 v[108:109], v[108:109], v[112:113], v[108:109]
	v_mul_f64 v[112:113], v[110:111], v[108:109]
	v_fma_f64 v[106:107], -v[106:107], v[112:113], v[110:111]
	v_div_fmas_f64 v[106:107], v[106:107], v[108:109], v[112:113]
	v_div_fixup_f64 v[106:107], v[106:107], v[123:124], v[121:122]
	v_fma_f64 v[108:109], v[121:122], v[106:107], v[123:124]
	v_div_scale_f64 v[110:111], s[20:21], v[108:109], v[108:109], 1.0
	v_div_scale_f64 v[116:117], vcc, 1.0, v[108:109], 1.0
	v_rcp_f64_e32 v[112:113], v[110:111]
	v_fma_f64 v[114:115], -v[110:111], v[112:113], 1.0
	v_fma_f64 v[112:113], v[112:113], v[114:115], v[112:113]
	v_fma_f64 v[114:115], -v[110:111], v[112:113], 1.0
	v_fma_f64 v[112:113], v[112:113], v[114:115], v[112:113]
	v_mul_f64 v[114:115], v[116:117], v[112:113]
	v_fma_f64 v[110:111], -v[110:111], v[114:115], v[116:117]
	v_div_fmas_f64 v[110:111], v[110:111], v[112:113], v[114:115]
	v_div_fixup_f64 v[123:124], v[110:111], v[108:109], 1.0
	v_mul_f64 v[121:122], v[106:107], v[123:124]
	v_xor_b32_e32 v124, 0x80000000, v124
.LBB68_490:
	s_andn2_saveexec_b64 s[18:19], s[18:19]
	s_cbranch_execz .LBB68_492
; %bb.491:
	v_div_scale_f64 v[106:107], s[20:21], v[121:122], v[121:122], v[123:124]
	v_rcp_f64_e32 v[108:109], v[106:107]
	v_fma_f64 v[110:111], -v[106:107], v[108:109], 1.0
	v_fma_f64 v[108:109], v[108:109], v[110:111], v[108:109]
	v_div_scale_f64 v[110:111], vcc, v[123:124], v[121:122], v[123:124]
	v_fma_f64 v[112:113], -v[106:107], v[108:109], 1.0
	v_fma_f64 v[108:109], v[108:109], v[112:113], v[108:109]
	v_mul_f64 v[112:113], v[110:111], v[108:109]
	v_fma_f64 v[106:107], -v[106:107], v[112:113], v[110:111]
	v_div_fmas_f64 v[106:107], v[106:107], v[108:109], v[112:113]
	v_div_fixup_f64 v[106:107], v[106:107], v[121:122], v[123:124]
	v_fma_f64 v[108:109], v[123:124], v[106:107], v[121:122]
	v_div_scale_f64 v[110:111], s[20:21], v[108:109], v[108:109], 1.0
	v_div_scale_f64 v[116:117], vcc, 1.0, v[108:109], 1.0
	v_rcp_f64_e32 v[112:113], v[110:111]
	v_fma_f64 v[114:115], -v[110:111], v[112:113], 1.0
	v_fma_f64 v[112:113], v[112:113], v[114:115], v[112:113]
	v_fma_f64 v[114:115], -v[110:111], v[112:113], 1.0
	v_fma_f64 v[112:113], v[112:113], v[114:115], v[112:113]
	v_mul_f64 v[114:115], v[116:117], v[112:113]
	v_fma_f64 v[110:111], -v[110:111], v[114:115], v[116:117]
	v_div_fmas_f64 v[110:111], v[110:111], v[112:113], v[114:115]
	v_div_fixup_f64 v[121:122], v[110:111], v[108:109], 1.0
	v_mul_f64 v[123:124], v[106:107], -v[121:122]
.LBB68_492:
	s_or_b64 exec, exec, s[18:19]
.LBB68_493:
	s_or_b64 exec, exec, s[0:1]
	v_cmp_ne_u32_e32 vcc, v104, v105
	s_and_saveexec_b64 s[0:1], vcc
	s_xor_b64 s[0:1], exec, s[0:1]
	s_cbranch_execz .LBB68_499
; %bb.494:
	v_cmp_eq_u32_e32 vcc, 23, v104
	s_and_saveexec_b64 s[18:19], vcc
	s_cbranch_execz .LBB68_498
; %bb.495:
	v_cmp_ne_u32_e32 vcc, 23, v105
	s_xor_b64 s[20:21], s[6:7], -1
	s_and_b64 s[22:23], s[20:21], vcc
	s_and_saveexec_b64 s[20:21], s[22:23]
	s_cbranch_execz .LBB68_497
; %bb.496:
	v_ashrrev_i32_e32 v106, 31, v105
	v_lshlrev_b64 v[106:107], 2, v[105:106]
	v_add_co_u32_e32 v106, vcc, v119, v106
	v_addc_co_u32_e32 v107, vcc, v120, v107, vcc
	global_load_dword v0, v[106:107], off
	global_load_dword v104, v[119:120], off offset:92
	s_waitcnt vmcnt(1)
	global_store_dword v[119:120], v0, off offset:92
	s_waitcnt vmcnt(1)
	global_store_dword v[106:107], v104, off
.LBB68_497:
	s_or_b64 exec, exec, s[20:21]
	v_mov_b32_e32 v104, v105
	v_mov_b32_e32 v0, v105
.LBB68_498:
	s_or_b64 exec, exec, s[18:19]
.LBB68_499:
	s_andn2_saveexec_b64 s[0:1], s[0:1]
	s_cbranch_execz .LBB68_501
; %bb.500:
	v_mov_b32_e32 v104, 23
	ds_write2_b64 v102, v[37:38], v[39:40] offset0:48 offset1:49
	ds_write2_b64 v102, v[33:34], v[35:36] offset0:50 offset1:51
	;; [unrolled: 1-line block ×11, first 2 shown]
.LBB68_501:
	s_or_b64 exec, exec, s[0:1]
	v_cmp_lt_i32_e32 vcc, 23, v104
	s_waitcnt vmcnt(0) lgkmcnt(0)
	s_barrier
	s_and_saveexec_b64 s[0:1], vcc
	s_cbranch_execz .LBB68_503
; %bb.502:
	v_mul_f64 v[105:106], v[121:122], v[43:44]
	v_mul_f64 v[43:44], v[123:124], v[43:44]
	ds_read2_b64 v[107:110], v102 offset0:48 offset1:49
	v_fma_f64 v[105:106], v[123:124], v[41:42], v[105:106]
	v_fma_f64 v[41:42], v[121:122], v[41:42], -v[43:44]
	s_waitcnt lgkmcnt(0)
	v_mul_f64 v[43:44], v[109:110], v[105:106]
	v_fma_f64 v[43:44], v[107:108], v[41:42], -v[43:44]
	v_mul_f64 v[107:108], v[107:108], v[105:106]
	v_add_f64 v[37:38], v[37:38], -v[43:44]
	v_fma_f64 v[107:108], v[109:110], v[41:42], v[107:108]
	v_add_f64 v[39:40], v[39:40], -v[107:108]
	ds_read2_b64 v[107:110], v102 offset0:50 offset1:51
	s_waitcnt lgkmcnt(0)
	v_mul_f64 v[43:44], v[109:110], v[105:106]
	v_fma_f64 v[43:44], v[107:108], v[41:42], -v[43:44]
	v_mul_f64 v[107:108], v[107:108], v[105:106]
	v_add_f64 v[33:34], v[33:34], -v[43:44]
	v_fma_f64 v[107:108], v[109:110], v[41:42], v[107:108]
	v_add_f64 v[35:36], v[35:36], -v[107:108]
	ds_read2_b64 v[107:110], v102 offset0:52 offset1:53
	;; [unrolled: 8-line block ×10, first 2 shown]
	s_waitcnt lgkmcnt(0)
	v_mul_f64 v[43:44], v[109:110], v[105:106]
	v_fma_f64 v[43:44], v[107:108], v[41:42], -v[43:44]
	v_mul_f64 v[107:108], v[107:108], v[105:106]
	v_add_f64 v[97:98], v[97:98], -v[43:44]
	v_fma_f64 v[107:108], v[109:110], v[41:42], v[107:108]
	v_mov_b32_e32 v43, v105
	v_mov_b32_e32 v44, v106
	v_add_f64 v[99:100], v[99:100], -v[107:108]
.LBB68_503:
	s_or_b64 exec, exec, s[0:1]
	v_lshl_add_u32 v105, v104, 4, v102
	s_barrier
	ds_write2_b64 v105, v[37:38], v[39:40] offset1:1
	s_waitcnt lgkmcnt(0)
	s_barrier
	ds_read2_b64 v[121:124], v102 offset0:48 offset1:49
	s_cmp_lt_i32 s3, 26
	v_mov_b32_e32 v105, 24
	s_cbranch_scc1 .LBB68_506
; %bb.504:
	v_add_u32_e32 v106, 0x190, v102
	s_mov_b32 s0, 25
	v_mov_b32_e32 v105, 24
.LBB68_505:                             ; =>This Inner Loop Header: Depth=1
	s_waitcnt lgkmcnt(0)
	v_cmp_gt_f64_e32 vcc, 0, v[121:122]
	v_xor_b32_e32 v111, 0x80000000, v122
	ds_read2_b64 v[107:110], v106 offset1:1
	v_xor_b32_e32 v113, 0x80000000, v124
	v_add_u32_e32 v106, 16, v106
	s_waitcnt lgkmcnt(0)
	v_xor_b32_e32 v115, 0x80000000, v110
	v_cndmask_b32_e32 v112, v122, v111, vcc
	v_cmp_gt_f64_e32 vcc, 0, v[123:124]
	v_mov_b32_e32 v111, v121
	v_cndmask_b32_e32 v114, v124, v113, vcc
	v_cmp_gt_f64_e32 vcc, 0, v[107:108]
	v_mov_b32_e32 v113, v123
	v_add_f64 v[111:112], v[111:112], v[113:114]
	v_xor_b32_e32 v113, 0x80000000, v108
	v_cndmask_b32_e32 v114, v108, v113, vcc
	v_cmp_gt_f64_e32 vcc, 0, v[109:110]
	v_mov_b32_e32 v113, v107
	v_cndmask_b32_e32 v116, v110, v115, vcc
	v_mov_b32_e32 v115, v109
	v_add_f64 v[113:114], v[113:114], v[115:116]
	v_cmp_lt_f64_e32 vcc, v[111:112], v[113:114]
	v_cndmask_b32_e32 v121, v121, v107, vcc
	v_mov_b32_e32 v107, s0
	s_add_i32 s0, s0, 1
	v_cndmask_b32_e32 v122, v122, v108, vcc
	v_cndmask_b32_e32 v124, v124, v110, vcc
	;; [unrolled: 1-line block ×4, first 2 shown]
	s_cmp_lg_u32 s3, s0
	s_cbranch_scc1 .LBB68_505
.LBB68_506:
	s_waitcnt lgkmcnt(0)
	v_cmp_eq_f64_e32 vcc, 0, v[121:122]
	v_cmp_eq_f64_e64 s[0:1], 0, v[123:124]
	s_and_b64 s[0:1], vcc, s[0:1]
	s_and_saveexec_b64 s[18:19], s[0:1]
	s_xor_b64 s[0:1], exec, s[18:19]
; %bb.507:
	v_cmp_ne_u32_e32 vcc, 0, v103
	v_cndmask_b32_e32 v103, 25, v103, vcc
; %bb.508:
	s_andn2_saveexec_b64 s[0:1], s[0:1]
	s_cbranch_execz .LBB68_514
; %bb.509:
	v_cmp_ngt_f64_e64 s[18:19], |v[121:122]|, |v[123:124]|
	s_and_saveexec_b64 s[20:21], s[18:19]
	s_xor_b64 s[18:19], exec, s[20:21]
	s_cbranch_execz .LBB68_511
; %bb.510:
	v_div_scale_f64 v[106:107], s[20:21], v[123:124], v[123:124], v[121:122]
	v_rcp_f64_e32 v[108:109], v[106:107]
	v_fma_f64 v[110:111], -v[106:107], v[108:109], 1.0
	v_fma_f64 v[108:109], v[108:109], v[110:111], v[108:109]
	v_div_scale_f64 v[110:111], vcc, v[121:122], v[123:124], v[121:122]
	v_fma_f64 v[112:113], -v[106:107], v[108:109], 1.0
	v_fma_f64 v[108:109], v[108:109], v[112:113], v[108:109]
	v_mul_f64 v[112:113], v[110:111], v[108:109]
	v_fma_f64 v[106:107], -v[106:107], v[112:113], v[110:111]
	v_div_fmas_f64 v[106:107], v[106:107], v[108:109], v[112:113]
	v_div_fixup_f64 v[106:107], v[106:107], v[123:124], v[121:122]
	v_fma_f64 v[108:109], v[121:122], v[106:107], v[123:124]
	v_div_scale_f64 v[110:111], s[20:21], v[108:109], v[108:109], 1.0
	v_div_scale_f64 v[116:117], vcc, 1.0, v[108:109], 1.0
	v_rcp_f64_e32 v[112:113], v[110:111]
	v_fma_f64 v[114:115], -v[110:111], v[112:113], 1.0
	v_fma_f64 v[112:113], v[112:113], v[114:115], v[112:113]
	v_fma_f64 v[114:115], -v[110:111], v[112:113], 1.0
	v_fma_f64 v[112:113], v[112:113], v[114:115], v[112:113]
	v_mul_f64 v[114:115], v[116:117], v[112:113]
	v_fma_f64 v[110:111], -v[110:111], v[114:115], v[116:117]
	v_div_fmas_f64 v[110:111], v[110:111], v[112:113], v[114:115]
	v_div_fixup_f64 v[123:124], v[110:111], v[108:109], 1.0
	v_mul_f64 v[121:122], v[106:107], v[123:124]
	v_xor_b32_e32 v124, 0x80000000, v124
.LBB68_511:
	s_andn2_saveexec_b64 s[18:19], s[18:19]
	s_cbranch_execz .LBB68_513
; %bb.512:
	v_div_scale_f64 v[106:107], s[20:21], v[121:122], v[121:122], v[123:124]
	v_rcp_f64_e32 v[108:109], v[106:107]
	v_fma_f64 v[110:111], -v[106:107], v[108:109], 1.0
	v_fma_f64 v[108:109], v[108:109], v[110:111], v[108:109]
	v_div_scale_f64 v[110:111], vcc, v[123:124], v[121:122], v[123:124]
	v_fma_f64 v[112:113], -v[106:107], v[108:109], 1.0
	v_fma_f64 v[108:109], v[108:109], v[112:113], v[108:109]
	v_mul_f64 v[112:113], v[110:111], v[108:109]
	v_fma_f64 v[106:107], -v[106:107], v[112:113], v[110:111]
	v_div_fmas_f64 v[106:107], v[106:107], v[108:109], v[112:113]
	v_div_fixup_f64 v[106:107], v[106:107], v[121:122], v[123:124]
	v_fma_f64 v[108:109], v[123:124], v[106:107], v[121:122]
	v_div_scale_f64 v[110:111], s[20:21], v[108:109], v[108:109], 1.0
	v_div_scale_f64 v[116:117], vcc, 1.0, v[108:109], 1.0
	v_rcp_f64_e32 v[112:113], v[110:111]
	v_fma_f64 v[114:115], -v[110:111], v[112:113], 1.0
	v_fma_f64 v[112:113], v[112:113], v[114:115], v[112:113]
	v_fma_f64 v[114:115], -v[110:111], v[112:113], 1.0
	v_fma_f64 v[112:113], v[112:113], v[114:115], v[112:113]
	v_mul_f64 v[114:115], v[116:117], v[112:113]
	v_fma_f64 v[110:111], -v[110:111], v[114:115], v[116:117]
	v_div_fmas_f64 v[110:111], v[110:111], v[112:113], v[114:115]
	v_div_fixup_f64 v[121:122], v[110:111], v[108:109], 1.0
	v_mul_f64 v[123:124], v[106:107], -v[121:122]
.LBB68_513:
	s_or_b64 exec, exec, s[18:19]
.LBB68_514:
	s_or_b64 exec, exec, s[0:1]
	v_cmp_ne_u32_e32 vcc, v104, v105
	s_and_saveexec_b64 s[0:1], vcc
	s_xor_b64 s[0:1], exec, s[0:1]
	s_cbranch_execz .LBB68_520
; %bb.515:
	v_cmp_eq_u32_e32 vcc, 24, v104
	s_and_saveexec_b64 s[18:19], vcc
	s_cbranch_execz .LBB68_519
; %bb.516:
	v_cmp_ne_u32_e32 vcc, 24, v105
	s_xor_b64 s[20:21], s[6:7], -1
	s_and_b64 s[22:23], s[20:21], vcc
	s_and_saveexec_b64 s[20:21], s[22:23]
	s_cbranch_execz .LBB68_518
; %bb.517:
	v_ashrrev_i32_e32 v106, 31, v105
	v_lshlrev_b64 v[106:107], 2, v[105:106]
	v_add_co_u32_e32 v106, vcc, v119, v106
	v_addc_co_u32_e32 v107, vcc, v120, v107, vcc
	global_load_dword v0, v[106:107], off
	global_load_dword v104, v[119:120], off offset:96
	s_waitcnt vmcnt(1)
	global_store_dword v[119:120], v0, off offset:96
	s_waitcnt vmcnt(1)
	global_store_dword v[106:107], v104, off
.LBB68_518:
	s_or_b64 exec, exec, s[20:21]
	v_mov_b32_e32 v104, v105
	v_mov_b32_e32 v0, v105
.LBB68_519:
	s_or_b64 exec, exec, s[18:19]
.LBB68_520:
	s_andn2_saveexec_b64 s[0:1], s[0:1]
	s_cbranch_execz .LBB68_522
; %bb.521:
	v_mov_b32_e32 v104, 24
	ds_write2_b64 v102, v[33:34], v[35:36] offset0:50 offset1:51
	ds_write2_b64 v102, v[29:30], v[31:32] offset0:52 offset1:53
	;; [unrolled: 1-line block ×10, first 2 shown]
.LBB68_522:
	s_or_b64 exec, exec, s[0:1]
	v_cmp_lt_i32_e32 vcc, 24, v104
	s_waitcnt vmcnt(0) lgkmcnt(0)
	s_barrier
	s_and_saveexec_b64 s[0:1], vcc
	s_cbranch_execz .LBB68_524
; %bb.523:
	v_mul_f64 v[105:106], v[121:122], v[39:40]
	v_mul_f64 v[39:40], v[123:124], v[39:40]
	ds_read2_b64 v[107:110], v102 offset0:50 offset1:51
	v_fma_f64 v[105:106], v[123:124], v[37:38], v[105:106]
	v_fma_f64 v[37:38], v[121:122], v[37:38], -v[39:40]
	s_waitcnt lgkmcnt(0)
	v_mul_f64 v[39:40], v[109:110], v[105:106]
	v_fma_f64 v[39:40], v[107:108], v[37:38], -v[39:40]
	v_mul_f64 v[107:108], v[107:108], v[105:106]
	v_add_f64 v[33:34], v[33:34], -v[39:40]
	v_fma_f64 v[107:108], v[109:110], v[37:38], v[107:108]
	v_add_f64 v[35:36], v[35:36], -v[107:108]
	ds_read2_b64 v[107:110], v102 offset0:52 offset1:53
	s_waitcnt lgkmcnt(0)
	v_mul_f64 v[39:40], v[109:110], v[105:106]
	v_fma_f64 v[39:40], v[107:108], v[37:38], -v[39:40]
	v_mul_f64 v[107:108], v[107:108], v[105:106]
	v_add_f64 v[29:30], v[29:30], -v[39:40]
	v_fma_f64 v[107:108], v[109:110], v[37:38], v[107:108]
	v_add_f64 v[31:32], v[31:32], -v[107:108]
	ds_read2_b64 v[107:110], v102 offset0:54 offset1:55
	s_waitcnt lgkmcnt(0)
	v_mul_f64 v[39:40], v[109:110], v[105:106]
	v_fma_f64 v[39:40], v[107:108], v[37:38], -v[39:40]
	v_mul_f64 v[107:108], v[107:108], v[105:106]
	v_add_f64 v[25:26], v[25:26], -v[39:40]
	v_fma_f64 v[107:108], v[109:110], v[37:38], v[107:108]
	v_add_f64 v[27:28], v[27:28], -v[107:108]
	ds_read2_b64 v[107:110], v102 offset0:56 offset1:57
	s_waitcnt lgkmcnt(0)
	v_mul_f64 v[39:40], v[109:110], v[105:106]
	v_fma_f64 v[39:40], v[107:108], v[37:38], -v[39:40]
	v_mul_f64 v[107:108], v[107:108], v[105:106]
	v_add_f64 v[21:22], v[21:22], -v[39:40]
	v_fma_f64 v[107:108], v[109:110], v[37:38], v[107:108]
	v_add_f64 v[23:24], v[23:24], -v[107:108]
	ds_read2_b64 v[107:110], v102 offset0:58 offset1:59
	s_waitcnt lgkmcnt(0)
	v_mul_f64 v[39:40], v[109:110], v[105:106]
	v_fma_f64 v[39:40], v[107:108], v[37:38], -v[39:40]
	v_mul_f64 v[107:108], v[107:108], v[105:106]
	v_add_f64 v[17:18], v[17:18], -v[39:40]
	v_fma_f64 v[107:108], v[109:110], v[37:38], v[107:108]
	v_add_f64 v[19:20], v[19:20], -v[107:108]
	ds_read2_b64 v[107:110], v102 offset0:60 offset1:61
	s_waitcnt lgkmcnt(0)
	v_mul_f64 v[39:40], v[109:110], v[105:106]
	v_fma_f64 v[39:40], v[107:108], v[37:38], -v[39:40]
	v_mul_f64 v[107:108], v[107:108], v[105:106]
	v_add_f64 v[13:14], v[13:14], -v[39:40]
	v_fma_f64 v[107:108], v[109:110], v[37:38], v[107:108]
	v_add_f64 v[15:16], v[15:16], -v[107:108]
	ds_read2_b64 v[107:110], v102 offset0:62 offset1:63
	s_waitcnt lgkmcnt(0)
	v_mul_f64 v[39:40], v[109:110], v[105:106]
	v_fma_f64 v[39:40], v[107:108], v[37:38], -v[39:40]
	v_mul_f64 v[107:108], v[107:108], v[105:106]
	v_add_f64 v[9:10], v[9:10], -v[39:40]
	v_fma_f64 v[107:108], v[109:110], v[37:38], v[107:108]
	v_add_f64 v[11:12], v[11:12], -v[107:108]
	ds_read2_b64 v[107:110], v102 offset0:64 offset1:65
	s_waitcnt lgkmcnt(0)
	v_mul_f64 v[39:40], v[109:110], v[105:106]
	v_fma_f64 v[39:40], v[107:108], v[37:38], -v[39:40]
	v_mul_f64 v[107:108], v[107:108], v[105:106]
	v_add_f64 v[5:6], v[5:6], -v[39:40]
	v_fma_f64 v[107:108], v[109:110], v[37:38], v[107:108]
	v_add_f64 v[7:8], v[7:8], -v[107:108]
	ds_read2_b64 v[107:110], v102 offset0:66 offset1:67
	s_waitcnt lgkmcnt(0)
	v_mul_f64 v[39:40], v[109:110], v[105:106]
	v_fma_f64 v[39:40], v[107:108], v[37:38], -v[39:40]
	v_mul_f64 v[107:108], v[107:108], v[105:106]
	v_add_f64 v[1:2], v[1:2], -v[39:40]
	v_fma_f64 v[107:108], v[109:110], v[37:38], v[107:108]
	v_add_f64 v[3:4], v[3:4], -v[107:108]
	ds_read2_b64 v[107:110], v102 offset0:68 offset1:69
	s_waitcnt lgkmcnt(0)
	v_mul_f64 v[39:40], v[109:110], v[105:106]
	v_fma_f64 v[39:40], v[107:108], v[37:38], -v[39:40]
	v_mul_f64 v[107:108], v[107:108], v[105:106]
	v_add_f64 v[97:98], v[97:98], -v[39:40]
	v_fma_f64 v[107:108], v[109:110], v[37:38], v[107:108]
	v_mov_b32_e32 v39, v105
	v_mov_b32_e32 v40, v106
	v_add_f64 v[99:100], v[99:100], -v[107:108]
.LBB68_524:
	s_or_b64 exec, exec, s[0:1]
	v_lshl_add_u32 v105, v104, 4, v102
	s_barrier
	ds_write2_b64 v105, v[33:34], v[35:36] offset1:1
	s_waitcnt lgkmcnt(0)
	s_barrier
	ds_read2_b64 v[121:124], v102 offset0:50 offset1:51
	s_cmp_lt_i32 s3, 27
	v_mov_b32_e32 v105, 25
	s_cbranch_scc1 .LBB68_527
; %bb.525:
	v_add_u32_e32 v106, 0x1a0, v102
	s_mov_b32 s0, 26
	v_mov_b32_e32 v105, 25
.LBB68_526:                             ; =>This Inner Loop Header: Depth=1
	s_waitcnt lgkmcnt(0)
	v_cmp_gt_f64_e32 vcc, 0, v[121:122]
	v_xor_b32_e32 v111, 0x80000000, v122
	ds_read2_b64 v[107:110], v106 offset1:1
	v_xor_b32_e32 v113, 0x80000000, v124
	v_add_u32_e32 v106, 16, v106
	s_waitcnt lgkmcnt(0)
	v_xor_b32_e32 v115, 0x80000000, v110
	v_cndmask_b32_e32 v112, v122, v111, vcc
	v_cmp_gt_f64_e32 vcc, 0, v[123:124]
	v_mov_b32_e32 v111, v121
	v_cndmask_b32_e32 v114, v124, v113, vcc
	v_cmp_gt_f64_e32 vcc, 0, v[107:108]
	v_mov_b32_e32 v113, v123
	v_add_f64 v[111:112], v[111:112], v[113:114]
	v_xor_b32_e32 v113, 0x80000000, v108
	v_cndmask_b32_e32 v114, v108, v113, vcc
	v_cmp_gt_f64_e32 vcc, 0, v[109:110]
	v_mov_b32_e32 v113, v107
	v_cndmask_b32_e32 v116, v110, v115, vcc
	v_mov_b32_e32 v115, v109
	v_add_f64 v[113:114], v[113:114], v[115:116]
	v_cmp_lt_f64_e32 vcc, v[111:112], v[113:114]
	v_cndmask_b32_e32 v121, v121, v107, vcc
	v_mov_b32_e32 v107, s0
	s_add_i32 s0, s0, 1
	v_cndmask_b32_e32 v122, v122, v108, vcc
	v_cndmask_b32_e32 v124, v124, v110, vcc
	;; [unrolled: 1-line block ×4, first 2 shown]
	s_cmp_lg_u32 s3, s0
	s_cbranch_scc1 .LBB68_526
.LBB68_527:
	s_waitcnt lgkmcnt(0)
	v_cmp_eq_f64_e32 vcc, 0, v[121:122]
	v_cmp_eq_f64_e64 s[0:1], 0, v[123:124]
	s_and_b64 s[0:1], vcc, s[0:1]
	s_and_saveexec_b64 s[18:19], s[0:1]
	s_xor_b64 s[0:1], exec, s[18:19]
; %bb.528:
	v_cmp_ne_u32_e32 vcc, 0, v103
	v_cndmask_b32_e32 v103, 26, v103, vcc
; %bb.529:
	s_andn2_saveexec_b64 s[0:1], s[0:1]
	s_cbranch_execz .LBB68_535
; %bb.530:
	v_cmp_ngt_f64_e64 s[18:19], |v[121:122]|, |v[123:124]|
	s_and_saveexec_b64 s[20:21], s[18:19]
	s_xor_b64 s[18:19], exec, s[20:21]
	s_cbranch_execz .LBB68_532
; %bb.531:
	v_div_scale_f64 v[106:107], s[20:21], v[123:124], v[123:124], v[121:122]
	v_rcp_f64_e32 v[108:109], v[106:107]
	v_fma_f64 v[110:111], -v[106:107], v[108:109], 1.0
	v_fma_f64 v[108:109], v[108:109], v[110:111], v[108:109]
	v_div_scale_f64 v[110:111], vcc, v[121:122], v[123:124], v[121:122]
	v_fma_f64 v[112:113], -v[106:107], v[108:109], 1.0
	v_fma_f64 v[108:109], v[108:109], v[112:113], v[108:109]
	v_mul_f64 v[112:113], v[110:111], v[108:109]
	v_fma_f64 v[106:107], -v[106:107], v[112:113], v[110:111]
	v_div_fmas_f64 v[106:107], v[106:107], v[108:109], v[112:113]
	v_div_fixup_f64 v[106:107], v[106:107], v[123:124], v[121:122]
	v_fma_f64 v[108:109], v[121:122], v[106:107], v[123:124]
	v_div_scale_f64 v[110:111], s[20:21], v[108:109], v[108:109], 1.0
	v_div_scale_f64 v[116:117], vcc, 1.0, v[108:109], 1.0
	v_rcp_f64_e32 v[112:113], v[110:111]
	v_fma_f64 v[114:115], -v[110:111], v[112:113], 1.0
	v_fma_f64 v[112:113], v[112:113], v[114:115], v[112:113]
	v_fma_f64 v[114:115], -v[110:111], v[112:113], 1.0
	v_fma_f64 v[112:113], v[112:113], v[114:115], v[112:113]
	v_mul_f64 v[114:115], v[116:117], v[112:113]
	v_fma_f64 v[110:111], -v[110:111], v[114:115], v[116:117]
	v_div_fmas_f64 v[110:111], v[110:111], v[112:113], v[114:115]
	v_div_fixup_f64 v[123:124], v[110:111], v[108:109], 1.0
	v_mul_f64 v[121:122], v[106:107], v[123:124]
	v_xor_b32_e32 v124, 0x80000000, v124
.LBB68_532:
	s_andn2_saveexec_b64 s[18:19], s[18:19]
	s_cbranch_execz .LBB68_534
; %bb.533:
	v_div_scale_f64 v[106:107], s[20:21], v[121:122], v[121:122], v[123:124]
	v_rcp_f64_e32 v[108:109], v[106:107]
	v_fma_f64 v[110:111], -v[106:107], v[108:109], 1.0
	v_fma_f64 v[108:109], v[108:109], v[110:111], v[108:109]
	v_div_scale_f64 v[110:111], vcc, v[123:124], v[121:122], v[123:124]
	v_fma_f64 v[112:113], -v[106:107], v[108:109], 1.0
	v_fma_f64 v[108:109], v[108:109], v[112:113], v[108:109]
	v_mul_f64 v[112:113], v[110:111], v[108:109]
	v_fma_f64 v[106:107], -v[106:107], v[112:113], v[110:111]
	v_div_fmas_f64 v[106:107], v[106:107], v[108:109], v[112:113]
	v_div_fixup_f64 v[106:107], v[106:107], v[121:122], v[123:124]
	v_fma_f64 v[108:109], v[123:124], v[106:107], v[121:122]
	v_div_scale_f64 v[110:111], s[20:21], v[108:109], v[108:109], 1.0
	v_div_scale_f64 v[116:117], vcc, 1.0, v[108:109], 1.0
	v_rcp_f64_e32 v[112:113], v[110:111]
	v_fma_f64 v[114:115], -v[110:111], v[112:113], 1.0
	v_fma_f64 v[112:113], v[112:113], v[114:115], v[112:113]
	v_fma_f64 v[114:115], -v[110:111], v[112:113], 1.0
	v_fma_f64 v[112:113], v[112:113], v[114:115], v[112:113]
	v_mul_f64 v[114:115], v[116:117], v[112:113]
	v_fma_f64 v[110:111], -v[110:111], v[114:115], v[116:117]
	v_div_fmas_f64 v[110:111], v[110:111], v[112:113], v[114:115]
	v_div_fixup_f64 v[121:122], v[110:111], v[108:109], 1.0
	v_mul_f64 v[123:124], v[106:107], -v[121:122]
.LBB68_534:
	s_or_b64 exec, exec, s[18:19]
.LBB68_535:
	s_or_b64 exec, exec, s[0:1]
	v_cmp_ne_u32_e32 vcc, v104, v105
	s_and_saveexec_b64 s[0:1], vcc
	s_xor_b64 s[0:1], exec, s[0:1]
	s_cbranch_execz .LBB68_541
; %bb.536:
	v_cmp_eq_u32_e32 vcc, 25, v104
	s_and_saveexec_b64 s[18:19], vcc
	s_cbranch_execz .LBB68_540
; %bb.537:
	v_cmp_ne_u32_e32 vcc, 25, v105
	s_xor_b64 s[20:21], s[6:7], -1
	s_and_b64 s[22:23], s[20:21], vcc
	s_and_saveexec_b64 s[20:21], s[22:23]
	s_cbranch_execz .LBB68_539
; %bb.538:
	v_ashrrev_i32_e32 v106, 31, v105
	v_lshlrev_b64 v[106:107], 2, v[105:106]
	v_add_co_u32_e32 v106, vcc, v119, v106
	v_addc_co_u32_e32 v107, vcc, v120, v107, vcc
	global_load_dword v0, v[106:107], off
	global_load_dword v104, v[119:120], off offset:100
	s_waitcnt vmcnt(1)
	global_store_dword v[119:120], v0, off offset:100
	s_waitcnt vmcnt(1)
	global_store_dword v[106:107], v104, off
.LBB68_539:
	s_or_b64 exec, exec, s[20:21]
	v_mov_b32_e32 v104, v105
	v_mov_b32_e32 v0, v105
.LBB68_540:
	s_or_b64 exec, exec, s[18:19]
.LBB68_541:
	s_andn2_saveexec_b64 s[0:1], s[0:1]
	s_cbranch_execz .LBB68_543
; %bb.542:
	v_mov_b32_e32 v104, 25
	ds_write2_b64 v102, v[29:30], v[31:32] offset0:52 offset1:53
	ds_write2_b64 v102, v[25:26], v[27:28] offset0:54 offset1:55
	;; [unrolled: 1-line block ×9, first 2 shown]
.LBB68_543:
	s_or_b64 exec, exec, s[0:1]
	v_cmp_lt_i32_e32 vcc, 25, v104
	s_waitcnt vmcnt(0) lgkmcnt(0)
	s_barrier
	s_and_saveexec_b64 s[0:1], vcc
	s_cbranch_execz .LBB68_545
; %bb.544:
	v_mul_f64 v[105:106], v[121:122], v[35:36]
	v_mul_f64 v[35:36], v[123:124], v[35:36]
	ds_read2_b64 v[107:110], v102 offset0:52 offset1:53
	v_fma_f64 v[105:106], v[123:124], v[33:34], v[105:106]
	v_fma_f64 v[33:34], v[121:122], v[33:34], -v[35:36]
	s_waitcnt lgkmcnt(0)
	v_mul_f64 v[35:36], v[109:110], v[105:106]
	v_fma_f64 v[35:36], v[107:108], v[33:34], -v[35:36]
	v_mul_f64 v[107:108], v[107:108], v[105:106]
	v_add_f64 v[29:30], v[29:30], -v[35:36]
	v_fma_f64 v[107:108], v[109:110], v[33:34], v[107:108]
	v_add_f64 v[31:32], v[31:32], -v[107:108]
	ds_read2_b64 v[107:110], v102 offset0:54 offset1:55
	s_waitcnt lgkmcnt(0)
	v_mul_f64 v[35:36], v[109:110], v[105:106]
	v_fma_f64 v[35:36], v[107:108], v[33:34], -v[35:36]
	v_mul_f64 v[107:108], v[107:108], v[105:106]
	v_add_f64 v[25:26], v[25:26], -v[35:36]
	v_fma_f64 v[107:108], v[109:110], v[33:34], v[107:108]
	v_add_f64 v[27:28], v[27:28], -v[107:108]
	ds_read2_b64 v[107:110], v102 offset0:56 offset1:57
	;; [unrolled: 8-line block ×8, first 2 shown]
	s_waitcnt lgkmcnt(0)
	v_mul_f64 v[35:36], v[109:110], v[105:106]
	v_fma_f64 v[35:36], v[107:108], v[33:34], -v[35:36]
	v_mul_f64 v[107:108], v[107:108], v[105:106]
	v_add_f64 v[97:98], v[97:98], -v[35:36]
	v_fma_f64 v[107:108], v[109:110], v[33:34], v[107:108]
	v_mov_b32_e32 v35, v105
	v_mov_b32_e32 v36, v106
	v_add_f64 v[99:100], v[99:100], -v[107:108]
.LBB68_545:
	s_or_b64 exec, exec, s[0:1]
	v_lshl_add_u32 v105, v104, 4, v102
	s_barrier
	ds_write2_b64 v105, v[29:30], v[31:32] offset1:1
	s_waitcnt lgkmcnt(0)
	s_barrier
	ds_read2_b64 v[121:124], v102 offset0:52 offset1:53
	s_cmp_lt_i32 s3, 28
	v_mov_b32_e32 v105, 26
	s_cbranch_scc1 .LBB68_548
; %bb.546:
	v_add_u32_e32 v106, 0x1b0, v102
	s_mov_b32 s0, 27
	v_mov_b32_e32 v105, 26
.LBB68_547:                             ; =>This Inner Loop Header: Depth=1
	s_waitcnt lgkmcnt(0)
	v_cmp_gt_f64_e32 vcc, 0, v[121:122]
	v_xor_b32_e32 v111, 0x80000000, v122
	ds_read2_b64 v[107:110], v106 offset1:1
	v_xor_b32_e32 v113, 0x80000000, v124
	v_add_u32_e32 v106, 16, v106
	s_waitcnt lgkmcnt(0)
	v_xor_b32_e32 v115, 0x80000000, v110
	v_cndmask_b32_e32 v112, v122, v111, vcc
	v_cmp_gt_f64_e32 vcc, 0, v[123:124]
	v_mov_b32_e32 v111, v121
	v_cndmask_b32_e32 v114, v124, v113, vcc
	v_cmp_gt_f64_e32 vcc, 0, v[107:108]
	v_mov_b32_e32 v113, v123
	v_add_f64 v[111:112], v[111:112], v[113:114]
	v_xor_b32_e32 v113, 0x80000000, v108
	v_cndmask_b32_e32 v114, v108, v113, vcc
	v_cmp_gt_f64_e32 vcc, 0, v[109:110]
	v_mov_b32_e32 v113, v107
	v_cndmask_b32_e32 v116, v110, v115, vcc
	v_mov_b32_e32 v115, v109
	v_add_f64 v[113:114], v[113:114], v[115:116]
	v_cmp_lt_f64_e32 vcc, v[111:112], v[113:114]
	v_cndmask_b32_e32 v121, v121, v107, vcc
	v_mov_b32_e32 v107, s0
	s_add_i32 s0, s0, 1
	v_cndmask_b32_e32 v122, v122, v108, vcc
	v_cndmask_b32_e32 v124, v124, v110, vcc
	;; [unrolled: 1-line block ×4, first 2 shown]
	s_cmp_lg_u32 s3, s0
	s_cbranch_scc1 .LBB68_547
.LBB68_548:
	s_waitcnt lgkmcnt(0)
	v_cmp_eq_f64_e32 vcc, 0, v[121:122]
	v_cmp_eq_f64_e64 s[0:1], 0, v[123:124]
	s_and_b64 s[0:1], vcc, s[0:1]
	s_and_saveexec_b64 s[18:19], s[0:1]
	s_xor_b64 s[0:1], exec, s[18:19]
; %bb.549:
	v_cmp_ne_u32_e32 vcc, 0, v103
	v_cndmask_b32_e32 v103, 27, v103, vcc
; %bb.550:
	s_andn2_saveexec_b64 s[0:1], s[0:1]
	s_cbranch_execz .LBB68_556
; %bb.551:
	v_cmp_ngt_f64_e64 s[18:19], |v[121:122]|, |v[123:124]|
	s_and_saveexec_b64 s[20:21], s[18:19]
	s_xor_b64 s[18:19], exec, s[20:21]
	s_cbranch_execz .LBB68_553
; %bb.552:
	v_div_scale_f64 v[106:107], s[20:21], v[123:124], v[123:124], v[121:122]
	v_rcp_f64_e32 v[108:109], v[106:107]
	v_fma_f64 v[110:111], -v[106:107], v[108:109], 1.0
	v_fma_f64 v[108:109], v[108:109], v[110:111], v[108:109]
	v_div_scale_f64 v[110:111], vcc, v[121:122], v[123:124], v[121:122]
	v_fma_f64 v[112:113], -v[106:107], v[108:109], 1.0
	v_fma_f64 v[108:109], v[108:109], v[112:113], v[108:109]
	v_mul_f64 v[112:113], v[110:111], v[108:109]
	v_fma_f64 v[106:107], -v[106:107], v[112:113], v[110:111]
	v_div_fmas_f64 v[106:107], v[106:107], v[108:109], v[112:113]
	v_div_fixup_f64 v[106:107], v[106:107], v[123:124], v[121:122]
	v_fma_f64 v[108:109], v[121:122], v[106:107], v[123:124]
	v_div_scale_f64 v[110:111], s[20:21], v[108:109], v[108:109], 1.0
	v_div_scale_f64 v[116:117], vcc, 1.0, v[108:109], 1.0
	v_rcp_f64_e32 v[112:113], v[110:111]
	v_fma_f64 v[114:115], -v[110:111], v[112:113], 1.0
	v_fma_f64 v[112:113], v[112:113], v[114:115], v[112:113]
	v_fma_f64 v[114:115], -v[110:111], v[112:113], 1.0
	v_fma_f64 v[112:113], v[112:113], v[114:115], v[112:113]
	v_mul_f64 v[114:115], v[116:117], v[112:113]
	v_fma_f64 v[110:111], -v[110:111], v[114:115], v[116:117]
	v_div_fmas_f64 v[110:111], v[110:111], v[112:113], v[114:115]
	v_div_fixup_f64 v[123:124], v[110:111], v[108:109], 1.0
	v_mul_f64 v[121:122], v[106:107], v[123:124]
	v_xor_b32_e32 v124, 0x80000000, v124
.LBB68_553:
	s_andn2_saveexec_b64 s[18:19], s[18:19]
	s_cbranch_execz .LBB68_555
; %bb.554:
	v_div_scale_f64 v[106:107], s[20:21], v[121:122], v[121:122], v[123:124]
	v_rcp_f64_e32 v[108:109], v[106:107]
	v_fma_f64 v[110:111], -v[106:107], v[108:109], 1.0
	v_fma_f64 v[108:109], v[108:109], v[110:111], v[108:109]
	v_div_scale_f64 v[110:111], vcc, v[123:124], v[121:122], v[123:124]
	v_fma_f64 v[112:113], -v[106:107], v[108:109], 1.0
	v_fma_f64 v[108:109], v[108:109], v[112:113], v[108:109]
	v_mul_f64 v[112:113], v[110:111], v[108:109]
	v_fma_f64 v[106:107], -v[106:107], v[112:113], v[110:111]
	v_div_fmas_f64 v[106:107], v[106:107], v[108:109], v[112:113]
	v_div_fixup_f64 v[106:107], v[106:107], v[121:122], v[123:124]
	v_fma_f64 v[108:109], v[123:124], v[106:107], v[121:122]
	v_div_scale_f64 v[110:111], s[20:21], v[108:109], v[108:109], 1.0
	v_div_scale_f64 v[116:117], vcc, 1.0, v[108:109], 1.0
	v_rcp_f64_e32 v[112:113], v[110:111]
	v_fma_f64 v[114:115], -v[110:111], v[112:113], 1.0
	v_fma_f64 v[112:113], v[112:113], v[114:115], v[112:113]
	v_fma_f64 v[114:115], -v[110:111], v[112:113], 1.0
	v_fma_f64 v[112:113], v[112:113], v[114:115], v[112:113]
	v_mul_f64 v[114:115], v[116:117], v[112:113]
	v_fma_f64 v[110:111], -v[110:111], v[114:115], v[116:117]
	v_div_fmas_f64 v[110:111], v[110:111], v[112:113], v[114:115]
	v_div_fixup_f64 v[121:122], v[110:111], v[108:109], 1.0
	v_mul_f64 v[123:124], v[106:107], -v[121:122]
.LBB68_555:
	s_or_b64 exec, exec, s[18:19]
.LBB68_556:
	s_or_b64 exec, exec, s[0:1]
	v_cmp_ne_u32_e32 vcc, v104, v105
	s_and_saveexec_b64 s[0:1], vcc
	s_xor_b64 s[0:1], exec, s[0:1]
	s_cbranch_execz .LBB68_562
; %bb.557:
	v_cmp_eq_u32_e32 vcc, 26, v104
	s_and_saveexec_b64 s[18:19], vcc
	s_cbranch_execz .LBB68_561
; %bb.558:
	v_cmp_ne_u32_e32 vcc, 26, v105
	s_xor_b64 s[20:21], s[6:7], -1
	s_and_b64 s[22:23], s[20:21], vcc
	s_and_saveexec_b64 s[20:21], s[22:23]
	s_cbranch_execz .LBB68_560
; %bb.559:
	v_ashrrev_i32_e32 v106, 31, v105
	v_lshlrev_b64 v[106:107], 2, v[105:106]
	v_add_co_u32_e32 v106, vcc, v119, v106
	v_addc_co_u32_e32 v107, vcc, v120, v107, vcc
	global_load_dword v0, v[106:107], off
	global_load_dword v104, v[119:120], off offset:104
	s_waitcnt vmcnt(1)
	global_store_dword v[119:120], v0, off offset:104
	s_waitcnt vmcnt(1)
	global_store_dword v[106:107], v104, off
.LBB68_560:
	s_or_b64 exec, exec, s[20:21]
	v_mov_b32_e32 v104, v105
	v_mov_b32_e32 v0, v105
.LBB68_561:
	s_or_b64 exec, exec, s[18:19]
.LBB68_562:
	s_andn2_saveexec_b64 s[0:1], s[0:1]
	s_cbranch_execz .LBB68_564
; %bb.563:
	v_mov_b32_e32 v104, 26
	ds_write2_b64 v102, v[25:26], v[27:28] offset0:54 offset1:55
	ds_write2_b64 v102, v[21:22], v[23:24] offset0:56 offset1:57
	;; [unrolled: 1-line block ×8, first 2 shown]
.LBB68_564:
	s_or_b64 exec, exec, s[0:1]
	v_cmp_lt_i32_e32 vcc, 26, v104
	s_waitcnt vmcnt(0) lgkmcnt(0)
	s_barrier
	s_and_saveexec_b64 s[0:1], vcc
	s_cbranch_execz .LBB68_566
; %bb.565:
	v_mul_f64 v[105:106], v[121:122], v[31:32]
	v_mul_f64 v[31:32], v[123:124], v[31:32]
	ds_read2_b64 v[107:110], v102 offset0:54 offset1:55
	v_fma_f64 v[105:106], v[123:124], v[29:30], v[105:106]
	v_fma_f64 v[29:30], v[121:122], v[29:30], -v[31:32]
	s_waitcnt lgkmcnt(0)
	v_mul_f64 v[31:32], v[109:110], v[105:106]
	v_fma_f64 v[31:32], v[107:108], v[29:30], -v[31:32]
	v_mul_f64 v[107:108], v[107:108], v[105:106]
	v_add_f64 v[25:26], v[25:26], -v[31:32]
	v_fma_f64 v[107:108], v[109:110], v[29:30], v[107:108]
	v_add_f64 v[27:28], v[27:28], -v[107:108]
	ds_read2_b64 v[107:110], v102 offset0:56 offset1:57
	s_waitcnt lgkmcnt(0)
	v_mul_f64 v[31:32], v[109:110], v[105:106]
	v_fma_f64 v[31:32], v[107:108], v[29:30], -v[31:32]
	v_mul_f64 v[107:108], v[107:108], v[105:106]
	v_add_f64 v[21:22], v[21:22], -v[31:32]
	v_fma_f64 v[107:108], v[109:110], v[29:30], v[107:108]
	v_add_f64 v[23:24], v[23:24], -v[107:108]
	ds_read2_b64 v[107:110], v102 offset0:58 offset1:59
	;; [unrolled: 8-line block ×7, first 2 shown]
	s_waitcnt lgkmcnt(0)
	v_mul_f64 v[31:32], v[109:110], v[105:106]
	v_fma_f64 v[31:32], v[107:108], v[29:30], -v[31:32]
	v_mul_f64 v[107:108], v[107:108], v[105:106]
	v_add_f64 v[97:98], v[97:98], -v[31:32]
	v_fma_f64 v[107:108], v[109:110], v[29:30], v[107:108]
	v_mov_b32_e32 v31, v105
	v_mov_b32_e32 v32, v106
	v_add_f64 v[99:100], v[99:100], -v[107:108]
.LBB68_566:
	s_or_b64 exec, exec, s[0:1]
	v_lshl_add_u32 v105, v104, 4, v102
	s_barrier
	ds_write2_b64 v105, v[25:26], v[27:28] offset1:1
	s_waitcnt lgkmcnt(0)
	s_barrier
	ds_read2_b64 v[121:124], v102 offset0:54 offset1:55
	s_cmp_lt_i32 s3, 29
	v_mov_b32_e32 v105, 27
	s_cbranch_scc1 .LBB68_569
; %bb.567:
	v_add_u32_e32 v106, 0x1c0, v102
	s_mov_b32 s0, 28
	v_mov_b32_e32 v105, 27
.LBB68_568:                             ; =>This Inner Loop Header: Depth=1
	s_waitcnt lgkmcnt(0)
	v_cmp_gt_f64_e32 vcc, 0, v[121:122]
	v_xor_b32_e32 v111, 0x80000000, v122
	ds_read2_b64 v[107:110], v106 offset1:1
	v_xor_b32_e32 v113, 0x80000000, v124
	v_add_u32_e32 v106, 16, v106
	s_waitcnt lgkmcnt(0)
	v_xor_b32_e32 v115, 0x80000000, v110
	v_cndmask_b32_e32 v112, v122, v111, vcc
	v_cmp_gt_f64_e32 vcc, 0, v[123:124]
	v_mov_b32_e32 v111, v121
	v_cndmask_b32_e32 v114, v124, v113, vcc
	v_cmp_gt_f64_e32 vcc, 0, v[107:108]
	v_mov_b32_e32 v113, v123
	v_add_f64 v[111:112], v[111:112], v[113:114]
	v_xor_b32_e32 v113, 0x80000000, v108
	v_cndmask_b32_e32 v114, v108, v113, vcc
	v_cmp_gt_f64_e32 vcc, 0, v[109:110]
	v_mov_b32_e32 v113, v107
	v_cndmask_b32_e32 v116, v110, v115, vcc
	v_mov_b32_e32 v115, v109
	v_add_f64 v[113:114], v[113:114], v[115:116]
	v_cmp_lt_f64_e32 vcc, v[111:112], v[113:114]
	v_cndmask_b32_e32 v121, v121, v107, vcc
	v_mov_b32_e32 v107, s0
	s_add_i32 s0, s0, 1
	v_cndmask_b32_e32 v122, v122, v108, vcc
	v_cndmask_b32_e32 v124, v124, v110, vcc
	;; [unrolled: 1-line block ×4, first 2 shown]
	s_cmp_lg_u32 s3, s0
	s_cbranch_scc1 .LBB68_568
.LBB68_569:
	s_waitcnt lgkmcnt(0)
	v_cmp_eq_f64_e32 vcc, 0, v[121:122]
	v_cmp_eq_f64_e64 s[0:1], 0, v[123:124]
	s_and_b64 s[0:1], vcc, s[0:1]
	s_and_saveexec_b64 s[18:19], s[0:1]
	s_xor_b64 s[0:1], exec, s[18:19]
; %bb.570:
	v_cmp_ne_u32_e32 vcc, 0, v103
	v_cndmask_b32_e32 v103, 28, v103, vcc
; %bb.571:
	s_andn2_saveexec_b64 s[0:1], s[0:1]
	s_cbranch_execz .LBB68_577
; %bb.572:
	v_cmp_ngt_f64_e64 s[18:19], |v[121:122]|, |v[123:124]|
	s_and_saveexec_b64 s[20:21], s[18:19]
	s_xor_b64 s[18:19], exec, s[20:21]
	s_cbranch_execz .LBB68_574
; %bb.573:
	v_div_scale_f64 v[106:107], s[20:21], v[123:124], v[123:124], v[121:122]
	v_rcp_f64_e32 v[108:109], v[106:107]
	v_fma_f64 v[110:111], -v[106:107], v[108:109], 1.0
	v_fma_f64 v[108:109], v[108:109], v[110:111], v[108:109]
	v_div_scale_f64 v[110:111], vcc, v[121:122], v[123:124], v[121:122]
	v_fma_f64 v[112:113], -v[106:107], v[108:109], 1.0
	v_fma_f64 v[108:109], v[108:109], v[112:113], v[108:109]
	v_mul_f64 v[112:113], v[110:111], v[108:109]
	v_fma_f64 v[106:107], -v[106:107], v[112:113], v[110:111]
	v_div_fmas_f64 v[106:107], v[106:107], v[108:109], v[112:113]
	v_div_fixup_f64 v[106:107], v[106:107], v[123:124], v[121:122]
	v_fma_f64 v[108:109], v[121:122], v[106:107], v[123:124]
	v_div_scale_f64 v[110:111], s[20:21], v[108:109], v[108:109], 1.0
	v_div_scale_f64 v[116:117], vcc, 1.0, v[108:109], 1.0
	v_rcp_f64_e32 v[112:113], v[110:111]
	v_fma_f64 v[114:115], -v[110:111], v[112:113], 1.0
	v_fma_f64 v[112:113], v[112:113], v[114:115], v[112:113]
	v_fma_f64 v[114:115], -v[110:111], v[112:113], 1.0
	v_fma_f64 v[112:113], v[112:113], v[114:115], v[112:113]
	v_mul_f64 v[114:115], v[116:117], v[112:113]
	v_fma_f64 v[110:111], -v[110:111], v[114:115], v[116:117]
	v_div_fmas_f64 v[110:111], v[110:111], v[112:113], v[114:115]
	v_div_fixup_f64 v[123:124], v[110:111], v[108:109], 1.0
	v_mul_f64 v[121:122], v[106:107], v[123:124]
	v_xor_b32_e32 v124, 0x80000000, v124
.LBB68_574:
	s_andn2_saveexec_b64 s[18:19], s[18:19]
	s_cbranch_execz .LBB68_576
; %bb.575:
	v_div_scale_f64 v[106:107], s[20:21], v[121:122], v[121:122], v[123:124]
	v_rcp_f64_e32 v[108:109], v[106:107]
	v_fma_f64 v[110:111], -v[106:107], v[108:109], 1.0
	v_fma_f64 v[108:109], v[108:109], v[110:111], v[108:109]
	v_div_scale_f64 v[110:111], vcc, v[123:124], v[121:122], v[123:124]
	v_fma_f64 v[112:113], -v[106:107], v[108:109], 1.0
	v_fma_f64 v[108:109], v[108:109], v[112:113], v[108:109]
	v_mul_f64 v[112:113], v[110:111], v[108:109]
	v_fma_f64 v[106:107], -v[106:107], v[112:113], v[110:111]
	v_div_fmas_f64 v[106:107], v[106:107], v[108:109], v[112:113]
	v_div_fixup_f64 v[106:107], v[106:107], v[121:122], v[123:124]
	v_fma_f64 v[108:109], v[123:124], v[106:107], v[121:122]
	v_div_scale_f64 v[110:111], s[20:21], v[108:109], v[108:109], 1.0
	v_div_scale_f64 v[116:117], vcc, 1.0, v[108:109], 1.0
	v_rcp_f64_e32 v[112:113], v[110:111]
	v_fma_f64 v[114:115], -v[110:111], v[112:113], 1.0
	v_fma_f64 v[112:113], v[112:113], v[114:115], v[112:113]
	v_fma_f64 v[114:115], -v[110:111], v[112:113], 1.0
	v_fma_f64 v[112:113], v[112:113], v[114:115], v[112:113]
	v_mul_f64 v[114:115], v[116:117], v[112:113]
	v_fma_f64 v[110:111], -v[110:111], v[114:115], v[116:117]
	v_div_fmas_f64 v[110:111], v[110:111], v[112:113], v[114:115]
	v_div_fixup_f64 v[121:122], v[110:111], v[108:109], 1.0
	v_mul_f64 v[123:124], v[106:107], -v[121:122]
.LBB68_576:
	s_or_b64 exec, exec, s[18:19]
.LBB68_577:
	s_or_b64 exec, exec, s[0:1]
	v_cmp_ne_u32_e32 vcc, v104, v105
	s_and_saveexec_b64 s[0:1], vcc
	s_xor_b64 s[0:1], exec, s[0:1]
	s_cbranch_execz .LBB68_583
; %bb.578:
	v_cmp_eq_u32_e32 vcc, 27, v104
	s_and_saveexec_b64 s[18:19], vcc
	s_cbranch_execz .LBB68_582
; %bb.579:
	v_cmp_ne_u32_e32 vcc, 27, v105
	s_xor_b64 s[20:21], s[6:7], -1
	s_and_b64 s[22:23], s[20:21], vcc
	s_and_saveexec_b64 s[20:21], s[22:23]
	s_cbranch_execz .LBB68_581
; %bb.580:
	v_ashrrev_i32_e32 v106, 31, v105
	v_lshlrev_b64 v[106:107], 2, v[105:106]
	v_add_co_u32_e32 v106, vcc, v119, v106
	v_addc_co_u32_e32 v107, vcc, v120, v107, vcc
	global_load_dword v0, v[106:107], off
	global_load_dword v104, v[119:120], off offset:108
	s_waitcnt vmcnt(1)
	global_store_dword v[119:120], v0, off offset:108
	s_waitcnt vmcnt(1)
	global_store_dword v[106:107], v104, off
.LBB68_581:
	s_or_b64 exec, exec, s[20:21]
	v_mov_b32_e32 v104, v105
	v_mov_b32_e32 v0, v105
.LBB68_582:
	s_or_b64 exec, exec, s[18:19]
.LBB68_583:
	s_andn2_saveexec_b64 s[0:1], s[0:1]
	s_cbranch_execz .LBB68_585
; %bb.584:
	v_mov_b32_e32 v104, 27
	ds_write2_b64 v102, v[21:22], v[23:24] offset0:56 offset1:57
	ds_write2_b64 v102, v[17:18], v[19:20] offset0:58 offset1:59
	;; [unrolled: 1-line block ×7, first 2 shown]
.LBB68_585:
	s_or_b64 exec, exec, s[0:1]
	v_cmp_lt_i32_e32 vcc, 27, v104
	s_waitcnt vmcnt(0) lgkmcnt(0)
	s_barrier
	s_and_saveexec_b64 s[0:1], vcc
	s_cbranch_execz .LBB68_587
; %bb.586:
	v_mul_f64 v[105:106], v[121:122], v[27:28]
	v_mul_f64 v[27:28], v[123:124], v[27:28]
	ds_read2_b64 v[107:110], v102 offset0:56 offset1:57
	v_fma_f64 v[105:106], v[123:124], v[25:26], v[105:106]
	v_fma_f64 v[25:26], v[121:122], v[25:26], -v[27:28]
	s_waitcnt lgkmcnt(0)
	v_mul_f64 v[27:28], v[109:110], v[105:106]
	v_fma_f64 v[27:28], v[107:108], v[25:26], -v[27:28]
	v_mul_f64 v[107:108], v[107:108], v[105:106]
	v_add_f64 v[21:22], v[21:22], -v[27:28]
	v_fma_f64 v[107:108], v[109:110], v[25:26], v[107:108]
	v_add_f64 v[23:24], v[23:24], -v[107:108]
	ds_read2_b64 v[107:110], v102 offset0:58 offset1:59
	s_waitcnt lgkmcnt(0)
	v_mul_f64 v[27:28], v[109:110], v[105:106]
	v_fma_f64 v[27:28], v[107:108], v[25:26], -v[27:28]
	v_mul_f64 v[107:108], v[107:108], v[105:106]
	v_add_f64 v[17:18], v[17:18], -v[27:28]
	v_fma_f64 v[107:108], v[109:110], v[25:26], v[107:108]
	v_add_f64 v[19:20], v[19:20], -v[107:108]
	ds_read2_b64 v[107:110], v102 offset0:60 offset1:61
	;; [unrolled: 8-line block ×6, first 2 shown]
	s_waitcnt lgkmcnt(0)
	v_mul_f64 v[27:28], v[109:110], v[105:106]
	v_fma_f64 v[27:28], v[107:108], v[25:26], -v[27:28]
	v_mul_f64 v[107:108], v[107:108], v[105:106]
	v_add_f64 v[97:98], v[97:98], -v[27:28]
	v_fma_f64 v[107:108], v[109:110], v[25:26], v[107:108]
	v_mov_b32_e32 v27, v105
	v_mov_b32_e32 v28, v106
	v_add_f64 v[99:100], v[99:100], -v[107:108]
.LBB68_587:
	s_or_b64 exec, exec, s[0:1]
	v_lshl_add_u32 v105, v104, 4, v102
	s_barrier
	ds_write2_b64 v105, v[21:22], v[23:24] offset1:1
	s_waitcnt lgkmcnt(0)
	s_barrier
	ds_read2_b64 v[121:124], v102 offset0:56 offset1:57
	s_cmp_lt_i32 s3, 30
	v_mov_b32_e32 v105, 28
	s_cbranch_scc1 .LBB68_590
; %bb.588:
	v_add_u32_e32 v106, 0x1d0, v102
	s_mov_b32 s0, 29
	v_mov_b32_e32 v105, 28
.LBB68_589:                             ; =>This Inner Loop Header: Depth=1
	s_waitcnt lgkmcnt(0)
	v_cmp_gt_f64_e32 vcc, 0, v[121:122]
	v_xor_b32_e32 v111, 0x80000000, v122
	ds_read2_b64 v[107:110], v106 offset1:1
	v_xor_b32_e32 v113, 0x80000000, v124
	v_add_u32_e32 v106, 16, v106
	s_waitcnt lgkmcnt(0)
	v_xor_b32_e32 v115, 0x80000000, v110
	v_cndmask_b32_e32 v112, v122, v111, vcc
	v_cmp_gt_f64_e32 vcc, 0, v[123:124]
	v_mov_b32_e32 v111, v121
	v_cndmask_b32_e32 v114, v124, v113, vcc
	v_cmp_gt_f64_e32 vcc, 0, v[107:108]
	v_mov_b32_e32 v113, v123
	v_add_f64 v[111:112], v[111:112], v[113:114]
	v_xor_b32_e32 v113, 0x80000000, v108
	v_cndmask_b32_e32 v114, v108, v113, vcc
	v_cmp_gt_f64_e32 vcc, 0, v[109:110]
	v_mov_b32_e32 v113, v107
	v_cndmask_b32_e32 v116, v110, v115, vcc
	v_mov_b32_e32 v115, v109
	v_add_f64 v[113:114], v[113:114], v[115:116]
	v_cmp_lt_f64_e32 vcc, v[111:112], v[113:114]
	v_cndmask_b32_e32 v121, v121, v107, vcc
	v_mov_b32_e32 v107, s0
	s_add_i32 s0, s0, 1
	v_cndmask_b32_e32 v122, v122, v108, vcc
	v_cndmask_b32_e32 v124, v124, v110, vcc
	v_cndmask_b32_e32 v123, v123, v109, vcc
	v_cndmask_b32_e32 v105, v105, v107, vcc
	s_cmp_lg_u32 s3, s0
	s_cbranch_scc1 .LBB68_589
.LBB68_590:
	s_waitcnt lgkmcnt(0)
	v_cmp_eq_f64_e32 vcc, 0, v[121:122]
	v_cmp_eq_f64_e64 s[0:1], 0, v[123:124]
	s_and_b64 s[0:1], vcc, s[0:1]
	s_and_saveexec_b64 s[18:19], s[0:1]
	s_xor_b64 s[0:1], exec, s[18:19]
; %bb.591:
	v_cmp_ne_u32_e32 vcc, 0, v103
	v_cndmask_b32_e32 v103, 29, v103, vcc
; %bb.592:
	s_andn2_saveexec_b64 s[0:1], s[0:1]
	s_cbranch_execz .LBB68_598
; %bb.593:
	v_cmp_ngt_f64_e64 s[18:19], |v[121:122]|, |v[123:124]|
	s_and_saveexec_b64 s[20:21], s[18:19]
	s_xor_b64 s[18:19], exec, s[20:21]
	s_cbranch_execz .LBB68_595
; %bb.594:
	v_div_scale_f64 v[106:107], s[20:21], v[123:124], v[123:124], v[121:122]
	v_rcp_f64_e32 v[108:109], v[106:107]
	v_fma_f64 v[110:111], -v[106:107], v[108:109], 1.0
	v_fma_f64 v[108:109], v[108:109], v[110:111], v[108:109]
	v_div_scale_f64 v[110:111], vcc, v[121:122], v[123:124], v[121:122]
	v_fma_f64 v[112:113], -v[106:107], v[108:109], 1.0
	v_fma_f64 v[108:109], v[108:109], v[112:113], v[108:109]
	v_mul_f64 v[112:113], v[110:111], v[108:109]
	v_fma_f64 v[106:107], -v[106:107], v[112:113], v[110:111]
	v_div_fmas_f64 v[106:107], v[106:107], v[108:109], v[112:113]
	v_div_fixup_f64 v[106:107], v[106:107], v[123:124], v[121:122]
	v_fma_f64 v[108:109], v[121:122], v[106:107], v[123:124]
	v_div_scale_f64 v[110:111], s[20:21], v[108:109], v[108:109], 1.0
	v_div_scale_f64 v[116:117], vcc, 1.0, v[108:109], 1.0
	v_rcp_f64_e32 v[112:113], v[110:111]
	v_fma_f64 v[114:115], -v[110:111], v[112:113], 1.0
	v_fma_f64 v[112:113], v[112:113], v[114:115], v[112:113]
	v_fma_f64 v[114:115], -v[110:111], v[112:113], 1.0
	v_fma_f64 v[112:113], v[112:113], v[114:115], v[112:113]
	v_mul_f64 v[114:115], v[116:117], v[112:113]
	v_fma_f64 v[110:111], -v[110:111], v[114:115], v[116:117]
	v_div_fmas_f64 v[110:111], v[110:111], v[112:113], v[114:115]
	v_div_fixup_f64 v[123:124], v[110:111], v[108:109], 1.0
	v_mul_f64 v[121:122], v[106:107], v[123:124]
	v_xor_b32_e32 v124, 0x80000000, v124
.LBB68_595:
	s_andn2_saveexec_b64 s[18:19], s[18:19]
	s_cbranch_execz .LBB68_597
; %bb.596:
	v_div_scale_f64 v[106:107], s[20:21], v[121:122], v[121:122], v[123:124]
	v_rcp_f64_e32 v[108:109], v[106:107]
	v_fma_f64 v[110:111], -v[106:107], v[108:109], 1.0
	v_fma_f64 v[108:109], v[108:109], v[110:111], v[108:109]
	v_div_scale_f64 v[110:111], vcc, v[123:124], v[121:122], v[123:124]
	v_fma_f64 v[112:113], -v[106:107], v[108:109], 1.0
	v_fma_f64 v[108:109], v[108:109], v[112:113], v[108:109]
	v_mul_f64 v[112:113], v[110:111], v[108:109]
	v_fma_f64 v[106:107], -v[106:107], v[112:113], v[110:111]
	v_div_fmas_f64 v[106:107], v[106:107], v[108:109], v[112:113]
	v_div_fixup_f64 v[106:107], v[106:107], v[121:122], v[123:124]
	v_fma_f64 v[108:109], v[123:124], v[106:107], v[121:122]
	v_div_scale_f64 v[110:111], s[20:21], v[108:109], v[108:109], 1.0
	v_div_scale_f64 v[116:117], vcc, 1.0, v[108:109], 1.0
	v_rcp_f64_e32 v[112:113], v[110:111]
	v_fma_f64 v[114:115], -v[110:111], v[112:113], 1.0
	v_fma_f64 v[112:113], v[112:113], v[114:115], v[112:113]
	v_fma_f64 v[114:115], -v[110:111], v[112:113], 1.0
	v_fma_f64 v[112:113], v[112:113], v[114:115], v[112:113]
	v_mul_f64 v[114:115], v[116:117], v[112:113]
	v_fma_f64 v[110:111], -v[110:111], v[114:115], v[116:117]
	v_div_fmas_f64 v[110:111], v[110:111], v[112:113], v[114:115]
	v_div_fixup_f64 v[121:122], v[110:111], v[108:109], 1.0
	v_mul_f64 v[123:124], v[106:107], -v[121:122]
.LBB68_597:
	s_or_b64 exec, exec, s[18:19]
.LBB68_598:
	s_or_b64 exec, exec, s[0:1]
	v_cmp_ne_u32_e32 vcc, v104, v105
	s_and_saveexec_b64 s[0:1], vcc
	s_xor_b64 s[0:1], exec, s[0:1]
	s_cbranch_execz .LBB68_604
; %bb.599:
	v_cmp_eq_u32_e32 vcc, 28, v104
	s_and_saveexec_b64 s[18:19], vcc
	s_cbranch_execz .LBB68_603
; %bb.600:
	v_cmp_ne_u32_e32 vcc, 28, v105
	s_xor_b64 s[20:21], s[6:7], -1
	s_and_b64 s[22:23], s[20:21], vcc
	s_and_saveexec_b64 s[20:21], s[22:23]
	s_cbranch_execz .LBB68_602
; %bb.601:
	v_ashrrev_i32_e32 v106, 31, v105
	v_lshlrev_b64 v[106:107], 2, v[105:106]
	v_add_co_u32_e32 v106, vcc, v119, v106
	v_addc_co_u32_e32 v107, vcc, v120, v107, vcc
	global_load_dword v0, v[106:107], off
	global_load_dword v104, v[119:120], off offset:112
	s_waitcnt vmcnt(1)
	global_store_dword v[119:120], v0, off offset:112
	s_waitcnt vmcnt(1)
	global_store_dword v[106:107], v104, off
.LBB68_602:
	s_or_b64 exec, exec, s[20:21]
	v_mov_b32_e32 v104, v105
	v_mov_b32_e32 v0, v105
.LBB68_603:
	s_or_b64 exec, exec, s[18:19]
.LBB68_604:
	s_andn2_saveexec_b64 s[0:1], s[0:1]
	s_cbranch_execz .LBB68_606
; %bb.605:
	v_mov_b32_e32 v104, 28
	ds_write2_b64 v102, v[17:18], v[19:20] offset0:58 offset1:59
	ds_write2_b64 v102, v[13:14], v[15:16] offset0:60 offset1:61
	;; [unrolled: 1-line block ×6, first 2 shown]
.LBB68_606:
	s_or_b64 exec, exec, s[0:1]
	v_cmp_lt_i32_e32 vcc, 28, v104
	s_waitcnt vmcnt(0) lgkmcnt(0)
	s_barrier
	s_and_saveexec_b64 s[0:1], vcc
	s_cbranch_execz .LBB68_608
; %bb.607:
	v_mul_f64 v[105:106], v[121:122], v[23:24]
	v_mul_f64 v[23:24], v[123:124], v[23:24]
	ds_read2_b64 v[107:110], v102 offset0:58 offset1:59
	v_fma_f64 v[105:106], v[123:124], v[21:22], v[105:106]
	v_fma_f64 v[21:22], v[121:122], v[21:22], -v[23:24]
	s_waitcnt lgkmcnt(0)
	v_mul_f64 v[23:24], v[109:110], v[105:106]
	v_fma_f64 v[23:24], v[107:108], v[21:22], -v[23:24]
	v_mul_f64 v[107:108], v[107:108], v[105:106]
	v_add_f64 v[17:18], v[17:18], -v[23:24]
	v_fma_f64 v[107:108], v[109:110], v[21:22], v[107:108]
	v_add_f64 v[19:20], v[19:20], -v[107:108]
	ds_read2_b64 v[107:110], v102 offset0:60 offset1:61
	s_waitcnt lgkmcnt(0)
	v_mul_f64 v[23:24], v[109:110], v[105:106]
	v_fma_f64 v[23:24], v[107:108], v[21:22], -v[23:24]
	v_mul_f64 v[107:108], v[107:108], v[105:106]
	v_add_f64 v[13:14], v[13:14], -v[23:24]
	v_fma_f64 v[107:108], v[109:110], v[21:22], v[107:108]
	v_add_f64 v[15:16], v[15:16], -v[107:108]
	ds_read2_b64 v[107:110], v102 offset0:62 offset1:63
	;; [unrolled: 8-line block ×5, first 2 shown]
	s_waitcnt lgkmcnt(0)
	v_mul_f64 v[23:24], v[109:110], v[105:106]
	v_fma_f64 v[23:24], v[107:108], v[21:22], -v[23:24]
	v_mul_f64 v[107:108], v[107:108], v[105:106]
	v_add_f64 v[97:98], v[97:98], -v[23:24]
	v_fma_f64 v[107:108], v[109:110], v[21:22], v[107:108]
	v_mov_b32_e32 v23, v105
	v_mov_b32_e32 v24, v106
	v_add_f64 v[99:100], v[99:100], -v[107:108]
.LBB68_608:
	s_or_b64 exec, exec, s[0:1]
	v_lshl_add_u32 v105, v104, 4, v102
	s_barrier
	ds_write2_b64 v105, v[17:18], v[19:20] offset1:1
	s_waitcnt lgkmcnt(0)
	s_barrier
	ds_read2_b64 v[121:124], v102 offset0:58 offset1:59
	s_cmp_lt_i32 s3, 31
	v_mov_b32_e32 v105, 29
	s_cbranch_scc1 .LBB68_611
; %bb.609:
	v_add_u32_e32 v106, 0x1e0, v102
	s_mov_b32 s0, 30
	v_mov_b32_e32 v105, 29
.LBB68_610:                             ; =>This Inner Loop Header: Depth=1
	s_waitcnt lgkmcnt(0)
	v_cmp_gt_f64_e32 vcc, 0, v[121:122]
	v_xor_b32_e32 v111, 0x80000000, v122
	ds_read2_b64 v[107:110], v106 offset1:1
	v_xor_b32_e32 v113, 0x80000000, v124
	v_add_u32_e32 v106, 16, v106
	s_waitcnt lgkmcnt(0)
	v_xor_b32_e32 v115, 0x80000000, v110
	v_cndmask_b32_e32 v112, v122, v111, vcc
	v_cmp_gt_f64_e32 vcc, 0, v[123:124]
	v_mov_b32_e32 v111, v121
	v_cndmask_b32_e32 v114, v124, v113, vcc
	v_cmp_gt_f64_e32 vcc, 0, v[107:108]
	v_mov_b32_e32 v113, v123
	v_add_f64 v[111:112], v[111:112], v[113:114]
	v_xor_b32_e32 v113, 0x80000000, v108
	v_cndmask_b32_e32 v114, v108, v113, vcc
	v_cmp_gt_f64_e32 vcc, 0, v[109:110]
	v_mov_b32_e32 v113, v107
	v_cndmask_b32_e32 v116, v110, v115, vcc
	v_mov_b32_e32 v115, v109
	v_add_f64 v[113:114], v[113:114], v[115:116]
	v_cmp_lt_f64_e32 vcc, v[111:112], v[113:114]
	v_cndmask_b32_e32 v121, v121, v107, vcc
	v_mov_b32_e32 v107, s0
	s_add_i32 s0, s0, 1
	v_cndmask_b32_e32 v122, v122, v108, vcc
	v_cndmask_b32_e32 v124, v124, v110, vcc
	;; [unrolled: 1-line block ×4, first 2 shown]
	s_cmp_lg_u32 s3, s0
	s_cbranch_scc1 .LBB68_610
.LBB68_611:
	s_waitcnt lgkmcnt(0)
	v_cmp_eq_f64_e32 vcc, 0, v[121:122]
	v_cmp_eq_f64_e64 s[0:1], 0, v[123:124]
	s_and_b64 s[0:1], vcc, s[0:1]
	s_and_saveexec_b64 s[18:19], s[0:1]
	s_xor_b64 s[0:1], exec, s[18:19]
; %bb.612:
	v_cmp_ne_u32_e32 vcc, 0, v103
	v_cndmask_b32_e32 v103, 30, v103, vcc
; %bb.613:
	s_andn2_saveexec_b64 s[0:1], s[0:1]
	s_cbranch_execz .LBB68_619
; %bb.614:
	v_cmp_ngt_f64_e64 s[18:19], |v[121:122]|, |v[123:124]|
	s_and_saveexec_b64 s[20:21], s[18:19]
	s_xor_b64 s[18:19], exec, s[20:21]
	s_cbranch_execz .LBB68_616
; %bb.615:
	v_div_scale_f64 v[106:107], s[20:21], v[123:124], v[123:124], v[121:122]
	v_rcp_f64_e32 v[108:109], v[106:107]
	v_fma_f64 v[110:111], -v[106:107], v[108:109], 1.0
	v_fma_f64 v[108:109], v[108:109], v[110:111], v[108:109]
	v_div_scale_f64 v[110:111], vcc, v[121:122], v[123:124], v[121:122]
	v_fma_f64 v[112:113], -v[106:107], v[108:109], 1.0
	v_fma_f64 v[108:109], v[108:109], v[112:113], v[108:109]
	v_mul_f64 v[112:113], v[110:111], v[108:109]
	v_fma_f64 v[106:107], -v[106:107], v[112:113], v[110:111]
	v_div_fmas_f64 v[106:107], v[106:107], v[108:109], v[112:113]
	v_div_fixup_f64 v[106:107], v[106:107], v[123:124], v[121:122]
	v_fma_f64 v[108:109], v[121:122], v[106:107], v[123:124]
	v_div_scale_f64 v[110:111], s[20:21], v[108:109], v[108:109], 1.0
	v_div_scale_f64 v[116:117], vcc, 1.0, v[108:109], 1.0
	v_rcp_f64_e32 v[112:113], v[110:111]
	v_fma_f64 v[114:115], -v[110:111], v[112:113], 1.0
	v_fma_f64 v[112:113], v[112:113], v[114:115], v[112:113]
	v_fma_f64 v[114:115], -v[110:111], v[112:113], 1.0
	v_fma_f64 v[112:113], v[112:113], v[114:115], v[112:113]
	v_mul_f64 v[114:115], v[116:117], v[112:113]
	v_fma_f64 v[110:111], -v[110:111], v[114:115], v[116:117]
	v_div_fmas_f64 v[110:111], v[110:111], v[112:113], v[114:115]
	v_div_fixup_f64 v[123:124], v[110:111], v[108:109], 1.0
	v_mul_f64 v[121:122], v[106:107], v[123:124]
	v_xor_b32_e32 v124, 0x80000000, v124
.LBB68_616:
	s_andn2_saveexec_b64 s[18:19], s[18:19]
	s_cbranch_execz .LBB68_618
; %bb.617:
	v_div_scale_f64 v[106:107], s[20:21], v[121:122], v[121:122], v[123:124]
	v_rcp_f64_e32 v[108:109], v[106:107]
	v_fma_f64 v[110:111], -v[106:107], v[108:109], 1.0
	v_fma_f64 v[108:109], v[108:109], v[110:111], v[108:109]
	v_div_scale_f64 v[110:111], vcc, v[123:124], v[121:122], v[123:124]
	v_fma_f64 v[112:113], -v[106:107], v[108:109], 1.0
	v_fma_f64 v[108:109], v[108:109], v[112:113], v[108:109]
	v_mul_f64 v[112:113], v[110:111], v[108:109]
	v_fma_f64 v[106:107], -v[106:107], v[112:113], v[110:111]
	v_div_fmas_f64 v[106:107], v[106:107], v[108:109], v[112:113]
	v_div_fixup_f64 v[106:107], v[106:107], v[121:122], v[123:124]
	v_fma_f64 v[108:109], v[123:124], v[106:107], v[121:122]
	v_div_scale_f64 v[110:111], s[20:21], v[108:109], v[108:109], 1.0
	v_div_scale_f64 v[116:117], vcc, 1.0, v[108:109], 1.0
	v_rcp_f64_e32 v[112:113], v[110:111]
	v_fma_f64 v[114:115], -v[110:111], v[112:113], 1.0
	v_fma_f64 v[112:113], v[112:113], v[114:115], v[112:113]
	v_fma_f64 v[114:115], -v[110:111], v[112:113], 1.0
	v_fma_f64 v[112:113], v[112:113], v[114:115], v[112:113]
	v_mul_f64 v[114:115], v[116:117], v[112:113]
	v_fma_f64 v[110:111], -v[110:111], v[114:115], v[116:117]
	v_div_fmas_f64 v[110:111], v[110:111], v[112:113], v[114:115]
	v_div_fixup_f64 v[121:122], v[110:111], v[108:109], 1.0
	v_mul_f64 v[123:124], v[106:107], -v[121:122]
.LBB68_618:
	s_or_b64 exec, exec, s[18:19]
.LBB68_619:
	s_or_b64 exec, exec, s[0:1]
	v_cmp_ne_u32_e32 vcc, v104, v105
	s_and_saveexec_b64 s[0:1], vcc
	s_xor_b64 s[0:1], exec, s[0:1]
	s_cbranch_execz .LBB68_625
; %bb.620:
	v_cmp_eq_u32_e32 vcc, 29, v104
	s_and_saveexec_b64 s[18:19], vcc
	s_cbranch_execz .LBB68_624
; %bb.621:
	v_cmp_ne_u32_e32 vcc, 29, v105
	s_xor_b64 s[20:21], s[6:7], -1
	s_and_b64 s[22:23], s[20:21], vcc
	s_and_saveexec_b64 s[20:21], s[22:23]
	s_cbranch_execz .LBB68_623
; %bb.622:
	v_ashrrev_i32_e32 v106, 31, v105
	v_lshlrev_b64 v[106:107], 2, v[105:106]
	v_add_co_u32_e32 v106, vcc, v119, v106
	v_addc_co_u32_e32 v107, vcc, v120, v107, vcc
	global_load_dword v0, v[106:107], off
	global_load_dword v104, v[119:120], off offset:116
	s_waitcnt vmcnt(1)
	global_store_dword v[119:120], v0, off offset:116
	s_waitcnt vmcnt(1)
	global_store_dword v[106:107], v104, off
.LBB68_623:
	s_or_b64 exec, exec, s[20:21]
	v_mov_b32_e32 v104, v105
	v_mov_b32_e32 v0, v105
.LBB68_624:
	s_or_b64 exec, exec, s[18:19]
.LBB68_625:
	s_andn2_saveexec_b64 s[0:1], s[0:1]
	s_cbranch_execz .LBB68_627
; %bb.626:
	v_mov_b32_e32 v104, 29
	ds_write2_b64 v102, v[13:14], v[15:16] offset0:60 offset1:61
	ds_write2_b64 v102, v[9:10], v[11:12] offset0:62 offset1:63
	;; [unrolled: 1-line block ×5, first 2 shown]
.LBB68_627:
	s_or_b64 exec, exec, s[0:1]
	v_cmp_lt_i32_e32 vcc, 29, v104
	s_waitcnt vmcnt(0) lgkmcnt(0)
	s_barrier
	s_and_saveexec_b64 s[0:1], vcc
	s_cbranch_execz .LBB68_629
; %bb.628:
	v_mul_f64 v[105:106], v[121:122], v[19:20]
	v_mul_f64 v[19:20], v[123:124], v[19:20]
	v_fma_f64 v[109:110], v[123:124], v[17:18], v[105:106]
	ds_read2_b64 v[105:108], v102 offset0:60 offset1:61
	v_fma_f64 v[17:18], v[121:122], v[17:18], -v[19:20]
	s_waitcnt lgkmcnt(0)
	v_mul_f64 v[19:20], v[107:108], v[109:110]
	v_fma_f64 v[19:20], v[105:106], v[17:18], -v[19:20]
	v_mul_f64 v[105:106], v[105:106], v[109:110]
	v_add_f64 v[13:14], v[13:14], -v[19:20]
	v_fma_f64 v[105:106], v[107:108], v[17:18], v[105:106]
	v_add_f64 v[15:16], v[15:16], -v[105:106]
	ds_read2_b64 v[105:108], v102 offset0:62 offset1:63
	s_waitcnt lgkmcnt(0)
	v_mul_f64 v[19:20], v[107:108], v[109:110]
	v_fma_f64 v[19:20], v[105:106], v[17:18], -v[19:20]
	v_mul_f64 v[105:106], v[105:106], v[109:110]
	v_add_f64 v[9:10], v[9:10], -v[19:20]
	v_fma_f64 v[105:106], v[107:108], v[17:18], v[105:106]
	v_add_f64 v[11:12], v[11:12], -v[105:106]
	ds_read2_b64 v[105:108], v102 offset0:64 offset1:65
	s_waitcnt lgkmcnt(0)
	v_mul_f64 v[19:20], v[107:108], v[109:110]
	v_fma_f64 v[19:20], v[105:106], v[17:18], -v[19:20]
	v_mul_f64 v[105:106], v[105:106], v[109:110]
	v_add_f64 v[5:6], v[5:6], -v[19:20]
	v_fma_f64 v[105:106], v[107:108], v[17:18], v[105:106]
	v_add_f64 v[7:8], v[7:8], -v[105:106]
	ds_read2_b64 v[105:108], v102 offset0:66 offset1:67
	s_waitcnt lgkmcnt(0)
	v_mul_f64 v[19:20], v[107:108], v[109:110]
	v_fma_f64 v[19:20], v[105:106], v[17:18], -v[19:20]
	v_mul_f64 v[105:106], v[105:106], v[109:110]
	v_add_f64 v[1:2], v[1:2], -v[19:20]
	v_fma_f64 v[105:106], v[107:108], v[17:18], v[105:106]
	v_add_f64 v[3:4], v[3:4], -v[105:106]
	ds_read2_b64 v[105:108], v102 offset0:68 offset1:69
	s_waitcnt lgkmcnt(0)
	v_mul_f64 v[19:20], v[107:108], v[109:110]
	v_fma_f64 v[19:20], v[105:106], v[17:18], -v[19:20]
	v_mul_f64 v[105:106], v[105:106], v[109:110]
	v_add_f64 v[97:98], v[97:98], -v[19:20]
	v_fma_f64 v[105:106], v[107:108], v[17:18], v[105:106]
	v_mov_b32_e32 v19, v109
	v_mov_b32_e32 v20, v110
	v_add_f64 v[99:100], v[99:100], -v[105:106]
.LBB68_629:
	s_or_b64 exec, exec, s[0:1]
	v_lshl_add_u32 v105, v104, 4, v102
	s_barrier
	ds_write2_b64 v105, v[13:14], v[15:16] offset1:1
	s_waitcnt lgkmcnt(0)
	s_barrier
	ds_read2_b64 v[121:124], v102 offset0:60 offset1:61
	s_cmp_lt_i32 s3, 32
	v_mov_b32_e32 v105, 30
	s_cbranch_scc1 .LBB68_632
; %bb.630:
	v_add_u32_e32 v106, 0x1f0, v102
	s_mov_b32 s0, 31
	v_mov_b32_e32 v105, 30
.LBB68_631:                             ; =>This Inner Loop Header: Depth=1
	s_waitcnt lgkmcnt(0)
	v_cmp_gt_f64_e32 vcc, 0, v[121:122]
	v_xor_b32_e32 v111, 0x80000000, v122
	ds_read2_b64 v[107:110], v106 offset1:1
	v_xor_b32_e32 v113, 0x80000000, v124
	v_add_u32_e32 v106, 16, v106
	s_waitcnt lgkmcnt(0)
	v_xor_b32_e32 v115, 0x80000000, v110
	v_cndmask_b32_e32 v112, v122, v111, vcc
	v_cmp_gt_f64_e32 vcc, 0, v[123:124]
	v_mov_b32_e32 v111, v121
	v_cndmask_b32_e32 v114, v124, v113, vcc
	v_cmp_gt_f64_e32 vcc, 0, v[107:108]
	v_mov_b32_e32 v113, v123
	v_add_f64 v[111:112], v[111:112], v[113:114]
	v_xor_b32_e32 v113, 0x80000000, v108
	v_cndmask_b32_e32 v114, v108, v113, vcc
	v_cmp_gt_f64_e32 vcc, 0, v[109:110]
	v_mov_b32_e32 v113, v107
	v_cndmask_b32_e32 v116, v110, v115, vcc
	v_mov_b32_e32 v115, v109
	v_add_f64 v[113:114], v[113:114], v[115:116]
	v_cmp_lt_f64_e32 vcc, v[111:112], v[113:114]
	v_cndmask_b32_e32 v121, v121, v107, vcc
	v_mov_b32_e32 v107, s0
	s_add_i32 s0, s0, 1
	v_cndmask_b32_e32 v122, v122, v108, vcc
	v_cndmask_b32_e32 v124, v124, v110, vcc
	;; [unrolled: 1-line block ×4, first 2 shown]
	s_cmp_lg_u32 s3, s0
	s_cbranch_scc1 .LBB68_631
.LBB68_632:
	s_waitcnt lgkmcnt(0)
	v_cmp_eq_f64_e32 vcc, 0, v[121:122]
	v_cmp_eq_f64_e64 s[0:1], 0, v[123:124]
	s_and_b64 s[0:1], vcc, s[0:1]
	s_and_saveexec_b64 s[18:19], s[0:1]
	s_xor_b64 s[0:1], exec, s[18:19]
; %bb.633:
	v_cmp_ne_u32_e32 vcc, 0, v103
	v_cndmask_b32_e32 v103, 31, v103, vcc
; %bb.634:
	s_andn2_saveexec_b64 s[0:1], s[0:1]
	s_cbranch_execz .LBB68_640
; %bb.635:
	v_cmp_ngt_f64_e64 s[18:19], |v[121:122]|, |v[123:124]|
	s_and_saveexec_b64 s[20:21], s[18:19]
	s_xor_b64 s[18:19], exec, s[20:21]
	s_cbranch_execz .LBB68_637
; %bb.636:
	v_div_scale_f64 v[106:107], s[20:21], v[123:124], v[123:124], v[121:122]
	v_rcp_f64_e32 v[108:109], v[106:107]
	v_fma_f64 v[110:111], -v[106:107], v[108:109], 1.0
	v_fma_f64 v[108:109], v[108:109], v[110:111], v[108:109]
	v_div_scale_f64 v[110:111], vcc, v[121:122], v[123:124], v[121:122]
	v_fma_f64 v[112:113], -v[106:107], v[108:109], 1.0
	v_fma_f64 v[108:109], v[108:109], v[112:113], v[108:109]
	v_mul_f64 v[112:113], v[110:111], v[108:109]
	v_fma_f64 v[106:107], -v[106:107], v[112:113], v[110:111]
	v_div_fmas_f64 v[106:107], v[106:107], v[108:109], v[112:113]
	v_div_fixup_f64 v[106:107], v[106:107], v[123:124], v[121:122]
	v_fma_f64 v[108:109], v[121:122], v[106:107], v[123:124]
	v_div_scale_f64 v[110:111], s[20:21], v[108:109], v[108:109], 1.0
	v_div_scale_f64 v[116:117], vcc, 1.0, v[108:109], 1.0
	v_rcp_f64_e32 v[112:113], v[110:111]
	v_fma_f64 v[114:115], -v[110:111], v[112:113], 1.0
	v_fma_f64 v[112:113], v[112:113], v[114:115], v[112:113]
	v_fma_f64 v[114:115], -v[110:111], v[112:113], 1.0
	v_fma_f64 v[112:113], v[112:113], v[114:115], v[112:113]
	v_mul_f64 v[114:115], v[116:117], v[112:113]
	v_fma_f64 v[110:111], -v[110:111], v[114:115], v[116:117]
	v_div_fmas_f64 v[110:111], v[110:111], v[112:113], v[114:115]
	v_div_fixup_f64 v[123:124], v[110:111], v[108:109], 1.0
	v_mul_f64 v[121:122], v[106:107], v[123:124]
	v_xor_b32_e32 v124, 0x80000000, v124
.LBB68_637:
	s_andn2_saveexec_b64 s[18:19], s[18:19]
	s_cbranch_execz .LBB68_639
; %bb.638:
	v_div_scale_f64 v[106:107], s[20:21], v[121:122], v[121:122], v[123:124]
	v_rcp_f64_e32 v[108:109], v[106:107]
	v_fma_f64 v[110:111], -v[106:107], v[108:109], 1.0
	v_fma_f64 v[108:109], v[108:109], v[110:111], v[108:109]
	v_div_scale_f64 v[110:111], vcc, v[123:124], v[121:122], v[123:124]
	v_fma_f64 v[112:113], -v[106:107], v[108:109], 1.0
	v_fma_f64 v[108:109], v[108:109], v[112:113], v[108:109]
	v_mul_f64 v[112:113], v[110:111], v[108:109]
	v_fma_f64 v[106:107], -v[106:107], v[112:113], v[110:111]
	v_div_fmas_f64 v[106:107], v[106:107], v[108:109], v[112:113]
	v_div_fixup_f64 v[106:107], v[106:107], v[121:122], v[123:124]
	v_fma_f64 v[108:109], v[123:124], v[106:107], v[121:122]
	v_div_scale_f64 v[110:111], s[20:21], v[108:109], v[108:109], 1.0
	v_div_scale_f64 v[116:117], vcc, 1.0, v[108:109], 1.0
	v_rcp_f64_e32 v[112:113], v[110:111]
	v_fma_f64 v[114:115], -v[110:111], v[112:113], 1.0
	v_fma_f64 v[112:113], v[112:113], v[114:115], v[112:113]
	v_fma_f64 v[114:115], -v[110:111], v[112:113], 1.0
	v_fma_f64 v[112:113], v[112:113], v[114:115], v[112:113]
	v_mul_f64 v[114:115], v[116:117], v[112:113]
	v_fma_f64 v[110:111], -v[110:111], v[114:115], v[116:117]
	v_div_fmas_f64 v[110:111], v[110:111], v[112:113], v[114:115]
	v_div_fixup_f64 v[121:122], v[110:111], v[108:109], 1.0
	v_mul_f64 v[123:124], v[106:107], -v[121:122]
.LBB68_639:
	s_or_b64 exec, exec, s[18:19]
.LBB68_640:
	s_or_b64 exec, exec, s[0:1]
	v_cmp_ne_u32_e32 vcc, v104, v105
	s_and_saveexec_b64 s[0:1], vcc
	s_xor_b64 s[0:1], exec, s[0:1]
	s_cbranch_execz .LBB68_646
; %bb.641:
	v_cmp_eq_u32_e32 vcc, 30, v104
	s_and_saveexec_b64 s[18:19], vcc
	s_cbranch_execz .LBB68_645
; %bb.642:
	v_cmp_ne_u32_e32 vcc, 30, v105
	s_xor_b64 s[20:21], s[6:7], -1
	s_and_b64 s[22:23], s[20:21], vcc
	s_and_saveexec_b64 s[20:21], s[22:23]
	s_cbranch_execz .LBB68_644
; %bb.643:
	v_ashrrev_i32_e32 v106, 31, v105
	v_lshlrev_b64 v[106:107], 2, v[105:106]
	v_add_co_u32_e32 v106, vcc, v119, v106
	v_addc_co_u32_e32 v107, vcc, v120, v107, vcc
	global_load_dword v0, v[106:107], off
	global_load_dword v104, v[119:120], off offset:120
	s_waitcnt vmcnt(1)
	global_store_dword v[119:120], v0, off offset:120
	s_waitcnt vmcnt(1)
	global_store_dword v[106:107], v104, off
.LBB68_644:
	s_or_b64 exec, exec, s[20:21]
	v_mov_b32_e32 v104, v105
	v_mov_b32_e32 v0, v105
.LBB68_645:
	s_or_b64 exec, exec, s[18:19]
.LBB68_646:
	s_andn2_saveexec_b64 s[0:1], s[0:1]
	s_cbranch_execz .LBB68_648
; %bb.647:
	v_mov_b32_e32 v104, 30
	ds_write2_b64 v102, v[9:10], v[11:12] offset0:62 offset1:63
	ds_write2_b64 v102, v[5:6], v[7:8] offset0:64 offset1:65
	ds_write2_b64 v102, v[1:2], v[3:4] offset0:66 offset1:67
	ds_write2_b64 v102, v[97:98], v[99:100] offset0:68 offset1:69
.LBB68_648:
	s_or_b64 exec, exec, s[0:1]
	v_cmp_lt_i32_e32 vcc, 30, v104
	s_waitcnt vmcnt(0) lgkmcnt(0)
	s_barrier
	s_and_saveexec_b64 s[0:1], vcc
	s_cbranch_execz .LBB68_650
; %bb.649:
	v_mul_f64 v[105:106], v[121:122], v[15:16]
	v_mul_f64 v[15:16], v[123:124], v[15:16]
	v_fma_f64 v[109:110], v[123:124], v[13:14], v[105:106]
	ds_read2_b64 v[105:108], v102 offset0:62 offset1:63
	v_fma_f64 v[13:14], v[121:122], v[13:14], -v[15:16]
	s_waitcnt lgkmcnt(0)
	v_mul_f64 v[15:16], v[107:108], v[109:110]
	v_fma_f64 v[15:16], v[105:106], v[13:14], -v[15:16]
	v_mul_f64 v[105:106], v[105:106], v[109:110]
	v_add_f64 v[9:10], v[9:10], -v[15:16]
	v_fma_f64 v[105:106], v[107:108], v[13:14], v[105:106]
	v_add_f64 v[11:12], v[11:12], -v[105:106]
	ds_read2_b64 v[105:108], v102 offset0:64 offset1:65
	s_waitcnt lgkmcnt(0)
	v_mul_f64 v[15:16], v[107:108], v[109:110]
	v_fma_f64 v[15:16], v[105:106], v[13:14], -v[15:16]
	v_mul_f64 v[105:106], v[105:106], v[109:110]
	v_add_f64 v[5:6], v[5:6], -v[15:16]
	v_fma_f64 v[105:106], v[107:108], v[13:14], v[105:106]
	v_add_f64 v[7:8], v[7:8], -v[105:106]
	ds_read2_b64 v[105:108], v102 offset0:66 offset1:67
	;; [unrolled: 8-line block ×3, first 2 shown]
	s_waitcnt lgkmcnt(0)
	v_mul_f64 v[15:16], v[107:108], v[109:110]
	v_fma_f64 v[15:16], v[105:106], v[13:14], -v[15:16]
	v_mul_f64 v[105:106], v[105:106], v[109:110]
	v_add_f64 v[97:98], v[97:98], -v[15:16]
	v_fma_f64 v[105:106], v[107:108], v[13:14], v[105:106]
	v_mov_b32_e32 v15, v109
	v_mov_b32_e32 v16, v110
	v_add_f64 v[99:100], v[99:100], -v[105:106]
.LBB68_650:
	s_or_b64 exec, exec, s[0:1]
	v_lshl_add_u32 v105, v104, 4, v102
	s_barrier
	ds_write2_b64 v105, v[9:10], v[11:12] offset1:1
	s_waitcnt lgkmcnt(0)
	s_barrier
	ds_read2_b64 v[121:124], v102 offset0:62 offset1:63
	s_cmp_lt_i32 s3, 33
	v_mov_b32_e32 v105, 31
	s_cbranch_scc1 .LBB68_653
; %bb.651:
	v_add_u32_e32 v106, 0x200, v102
	s_mov_b32 s0, 32
	v_mov_b32_e32 v105, 31
.LBB68_652:                             ; =>This Inner Loop Header: Depth=1
	s_waitcnt lgkmcnt(0)
	v_cmp_gt_f64_e32 vcc, 0, v[121:122]
	v_xor_b32_e32 v111, 0x80000000, v122
	ds_read2_b64 v[107:110], v106 offset1:1
	v_xor_b32_e32 v113, 0x80000000, v124
	v_add_u32_e32 v106, 16, v106
	s_waitcnt lgkmcnt(0)
	v_xor_b32_e32 v115, 0x80000000, v110
	v_cndmask_b32_e32 v112, v122, v111, vcc
	v_cmp_gt_f64_e32 vcc, 0, v[123:124]
	v_mov_b32_e32 v111, v121
	v_cndmask_b32_e32 v114, v124, v113, vcc
	v_cmp_gt_f64_e32 vcc, 0, v[107:108]
	v_mov_b32_e32 v113, v123
	v_add_f64 v[111:112], v[111:112], v[113:114]
	v_xor_b32_e32 v113, 0x80000000, v108
	v_cndmask_b32_e32 v114, v108, v113, vcc
	v_cmp_gt_f64_e32 vcc, 0, v[109:110]
	v_mov_b32_e32 v113, v107
	v_cndmask_b32_e32 v116, v110, v115, vcc
	v_mov_b32_e32 v115, v109
	v_add_f64 v[113:114], v[113:114], v[115:116]
	v_cmp_lt_f64_e32 vcc, v[111:112], v[113:114]
	v_cndmask_b32_e32 v121, v121, v107, vcc
	v_mov_b32_e32 v107, s0
	s_add_i32 s0, s0, 1
	v_cndmask_b32_e32 v122, v122, v108, vcc
	v_cndmask_b32_e32 v124, v124, v110, vcc
	;; [unrolled: 1-line block ×4, first 2 shown]
	s_cmp_lg_u32 s3, s0
	s_cbranch_scc1 .LBB68_652
.LBB68_653:
	s_waitcnt lgkmcnt(0)
	v_cmp_eq_f64_e32 vcc, 0, v[121:122]
	v_cmp_eq_f64_e64 s[0:1], 0, v[123:124]
	s_and_b64 s[0:1], vcc, s[0:1]
	s_and_saveexec_b64 s[18:19], s[0:1]
	s_xor_b64 s[0:1], exec, s[18:19]
; %bb.654:
	v_cmp_ne_u32_e32 vcc, 0, v103
	v_cndmask_b32_e32 v103, 32, v103, vcc
; %bb.655:
	s_andn2_saveexec_b64 s[0:1], s[0:1]
	s_cbranch_execz .LBB68_661
; %bb.656:
	v_cmp_ngt_f64_e64 s[18:19], |v[121:122]|, |v[123:124]|
	s_and_saveexec_b64 s[20:21], s[18:19]
	s_xor_b64 s[18:19], exec, s[20:21]
	s_cbranch_execz .LBB68_658
; %bb.657:
	v_div_scale_f64 v[106:107], s[20:21], v[123:124], v[123:124], v[121:122]
	v_rcp_f64_e32 v[108:109], v[106:107]
	v_fma_f64 v[110:111], -v[106:107], v[108:109], 1.0
	v_fma_f64 v[108:109], v[108:109], v[110:111], v[108:109]
	v_div_scale_f64 v[110:111], vcc, v[121:122], v[123:124], v[121:122]
	v_fma_f64 v[112:113], -v[106:107], v[108:109], 1.0
	v_fma_f64 v[108:109], v[108:109], v[112:113], v[108:109]
	v_mul_f64 v[112:113], v[110:111], v[108:109]
	v_fma_f64 v[106:107], -v[106:107], v[112:113], v[110:111]
	v_div_fmas_f64 v[106:107], v[106:107], v[108:109], v[112:113]
	v_div_fixup_f64 v[106:107], v[106:107], v[123:124], v[121:122]
	v_fma_f64 v[108:109], v[121:122], v[106:107], v[123:124]
	v_div_scale_f64 v[110:111], s[20:21], v[108:109], v[108:109], 1.0
	v_div_scale_f64 v[116:117], vcc, 1.0, v[108:109], 1.0
	v_rcp_f64_e32 v[112:113], v[110:111]
	v_fma_f64 v[114:115], -v[110:111], v[112:113], 1.0
	v_fma_f64 v[112:113], v[112:113], v[114:115], v[112:113]
	v_fma_f64 v[114:115], -v[110:111], v[112:113], 1.0
	v_fma_f64 v[112:113], v[112:113], v[114:115], v[112:113]
	v_mul_f64 v[114:115], v[116:117], v[112:113]
	v_fma_f64 v[110:111], -v[110:111], v[114:115], v[116:117]
	v_div_fmas_f64 v[110:111], v[110:111], v[112:113], v[114:115]
	v_div_fixup_f64 v[123:124], v[110:111], v[108:109], 1.0
	v_mul_f64 v[121:122], v[106:107], v[123:124]
	v_xor_b32_e32 v124, 0x80000000, v124
.LBB68_658:
	s_andn2_saveexec_b64 s[18:19], s[18:19]
	s_cbranch_execz .LBB68_660
; %bb.659:
	v_div_scale_f64 v[106:107], s[20:21], v[121:122], v[121:122], v[123:124]
	v_rcp_f64_e32 v[108:109], v[106:107]
	v_fma_f64 v[110:111], -v[106:107], v[108:109], 1.0
	v_fma_f64 v[108:109], v[108:109], v[110:111], v[108:109]
	v_div_scale_f64 v[110:111], vcc, v[123:124], v[121:122], v[123:124]
	v_fma_f64 v[112:113], -v[106:107], v[108:109], 1.0
	v_fma_f64 v[108:109], v[108:109], v[112:113], v[108:109]
	v_mul_f64 v[112:113], v[110:111], v[108:109]
	v_fma_f64 v[106:107], -v[106:107], v[112:113], v[110:111]
	v_div_fmas_f64 v[106:107], v[106:107], v[108:109], v[112:113]
	v_div_fixup_f64 v[106:107], v[106:107], v[121:122], v[123:124]
	v_fma_f64 v[108:109], v[123:124], v[106:107], v[121:122]
	v_div_scale_f64 v[110:111], s[20:21], v[108:109], v[108:109], 1.0
	v_div_scale_f64 v[116:117], vcc, 1.0, v[108:109], 1.0
	v_rcp_f64_e32 v[112:113], v[110:111]
	v_fma_f64 v[114:115], -v[110:111], v[112:113], 1.0
	v_fma_f64 v[112:113], v[112:113], v[114:115], v[112:113]
	v_fma_f64 v[114:115], -v[110:111], v[112:113], 1.0
	v_fma_f64 v[112:113], v[112:113], v[114:115], v[112:113]
	v_mul_f64 v[114:115], v[116:117], v[112:113]
	v_fma_f64 v[110:111], -v[110:111], v[114:115], v[116:117]
	v_div_fmas_f64 v[110:111], v[110:111], v[112:113], v[114:115]
	v_div_fixup_f64 v[121:122], v[110:111], v[108:109], 1.0
	v_mul_f64 v[123:124], v[106:107], -v[121:122]
.LBB68_660:
	s_or_b64 exec, exec, s[18:19]
.LBB68_661:
	s_or_b64 exec, exec, s[0:1]
	v_cmp_ne_u32_e32 vcc, v104, v105
	s_and_saveexec_b64 s[0:1], vcc
	s_xor_b64 s[0:1], exec, s[0:1]
	s_cbranch_execz .LBB68_667
; %bb.662:
	v_cmp_eq_u32_e32 vcc, 31, v104
	s_and_saveexec_b64 s[18:19], vcc
	s_cbranch_execz .LBB68_666
; %bb.663:
	v_cmp_ne_u32_e32 vcc, 31, v105
	s_xor_b64 s[20:21], s[6:7], -1
	s_and_b64 s[22:23], s[20:21], vcc
	s_and_saveexec_b64 s[20:21], s[22:23]
	s_cbranch_execz .LBB68_665
; %bb.664:
	v_ashrrev_i32_e32 v106, 31, v105
	v_lshlrev_b64 v[106:107], 2, v[105:106]
	v_add_co_u32_e32 v106, vcc, v119, v106
	v_addc_co_u32_e32 v107, vcc, v120, v107, vcc
	global_load_dword v0, v[106:107], off
	global_load_dword v104, v[119:120], off offset:124
	s_waitcnt vmcnt(1)
	global_store_dword v[119:120], v0, off offset:124
	s_waitcnt vmcnt(1)
	global_store_dword v[106:107], v104, off
.LBB68_665:
	s_or_b64 exec, exec, s[20:21]
	v_mov_b32_e32 v104, v105
	v_mov_b32_e32 v0, v105
.LBB68_666:
	s_or_b64 exec, exec, s[18:19]
.LBB68_667:
	s_andn2_saveexec_b64 s[0:1], s[0:1]
	s_cbranch_execz .LBB68_669
; %bb.668:
	v_mov_b32_e32 v104, 31
	ds_write2_b64 v102, v[5:6], v[7:8] offset0:64 offset1:65
	ds_write2_b64 v102, v[1:2], v[3:4] offset0:66 offset1:67
	ds_write2_b64 v102, v[97:98], v[99:100] offset0:68 offset1:69
.LBB68_669:
	s_or_b64 exec, exec, s[0:1]
	v_cmp_lt_i32_e32 vcc, 31, v104
	s_waitcnt vmcnt(0) lgkmcnt(0)
	s_barrier
	s_and_saveexec_b64 s[0:1], vcc
	s_cbranch_execz .LBB68_671
; %bb.670:
	v_mul_f64 v[105:106], v[121:122], v[11:12]
	v_mul_f64 v[11:12], v[123:124], v[11:12]
	v_fma_f64 v[109:110], v[123:124], v[9:10], v[105:106]
	ds_read2_b64 v[105:108], v102 offset0:64 offset1:65
	v_fma_f64 v[9:10], v[121:122], v[9:10], -v[11:12]
	s_waitcnt lgkmcnt(0)
	v_mul_f64 v[11:12], v[107:108], v[109:110]
	v_fma_f64 v[11:12], v[105:106], v[9:10], -v[11:12]
	v_mul_f64 v[105:106], v[105:106], v[109:110]
	v_add_f64 v[5:6], v[5:6], -v[11:12]
	v_fma_f64 v[105:106], v[107:108], v[9:10], v[105:106]
	v_add_f64 v[7:8], v[7:8], -v[105:106]
	ds_read2_b64 v[105:108], v102 offset0:66 offset1:67
	s_waitcnt lgkmcnt(0)
	v_mul_f64 v[11:12], v[107:108], v[109:110]
	v_fma_f64 v[11:12], v[105:106], v[9:10], -v[11:12]
	v_mul_f64 v[105:106], v[105:106], v[109:110]
	v_add_f64 v[1:2], v[1:2], -v[11:12]
	v_fma_f64 v[105:106], v[107:108], v[9:10], v[105:106]
	v_add_f64 v[3:4], v[3:4], -v[105:106]
	ds_read2_b64 v[105:108], v102 offset0:68 offset1:69
	s_waitcnt lgkmcnt(0)
	v_mul_f64 v[11:12], v[107:108], v[109:110]
	v_fma_f64 v[11:12], v[105:106], v[9:10], -v[11:12]
	v_mul_f64 v[105:106], v[105:106], v[109:110]
	v_add_f64 v[97:98], v[97:98], -v[11:12]
	v_fma_f64 v[105:106], v[107:108], v[9:10], v[105:106]
	v_mov_b32_e32 v11, v109
	v_mov_b32_e32 v12, v110
	v_add_f64 v[99:100], v[99:100], -v[105:106]
.LBB68_671:
	s_or_b64 exec, exec, s[0:1]
	v_lshl_add_u32 v105, v104, 4, v102
	s_barrier
	ds_write2_b64 v105, v[5:6], v[7:8] offset1:1
	s_waitcnt lgkmcnt(0)
	s_barrier
	ds_read2_b64 v[121:124], v102 offset0:64 offset1:65
	s_cmp_lt_i32 s3, 34
	v_mov_b32_e32 v105, 32
	s_cbranch_scc1 .LBB68_674
; %bb.672:
	v_add_u32_e32 v106, 0x210, v102
	s_mov_b32 s0, 33
	v_mov_b32_e32 v105, 32
.LBB68_673:                             ; =>This Inner Loop Header: Depth=1
	s_waitcnt lgkmcnt(0)
	v_cmp_gt_f64_e32 vcc, 0, v[121:122]
	v_xor_b32_e32 v111, 0x80000000, v122
	ds_read2_b64 v[107:110], v106 offset1:1
	v_xor_b32_e32 v113, 0x80000000, v124
	v_add_u32_e32 v106, 16, v106
	s_waitcnt lgkmcnt(0)
	v_xor_b32_e32 v115, 0x80000000, v110
	v_cndmask_b32_e32 v112, v122, v111, vcc
	v_cmp_gt_f64_e32 vcc, 0, v[123:124]
	v_mov_b32_e32 v111, v121
	v_cndmask_b32_e32 v114, v124, v113, vcc
	v_cmp_gt_f64_e32 vcc, 0, v[107:108]
	v_mov_b32_e32 v113, v123
	v_add_f64 v[111:112], v[111:112], v[113:114]
	v_xor_b32_e32 v113, 0x80000000, v108
	v_cndmask_b32_e32 v114, v108, v113, vcc
	v_cmp_gt_f64_e32 vcc, 0, v[109:110]
	v_mov_b32_e32 v113, v107
	v_cndmask_b32_e32 v116, v110, v115, vcc
	v_mov_b32_e32 v115, v109
	v_add_f64 v[113:114], v[113:114], v[115:116]
	v_cmp_lt_f64_e32 vcc, v[111:112], v[113:114]
	v_cndmask_b32_e32 v121, v121, v107, vcc
	v_mov_b32_e32 v107, s0
	s_add_i32 s0, s0, 1
	v_cndmask_b32_e32 v122, v122, v108, vcc
	v_cndmask_b32_e32 v124, v124, v110, vcc
	;; [unrolled: 1-line block ×4, first 2 shown]
	s_cmp_lg_u32 s3, s0
	s_cbranch_scc1 .LBB68_673
.LBB68_674:
	s_waitcnt lgkmcnt(0)
	v_cmp_eq_f64_e32 vcc, 0, v[121:122]
	v_cmp_eq_f64_e64 s[0:1], 0, v[123:124]
	s_and_b64 s[0:1], vcc, s[0:1]
	s_and_saveexec_b64 s[18:19], s[0:1]
	s_xor_b64 s[0:1], exec, s[18:19]
; %bb.675:
	v_cmp_ne_u32_e32 vcc, 0, v103
	v_cndmask_b32_e32 v103, 33, v103, vcc
; %bb.676:
	s_andn2_saveexec_b64 s[0:1], s[0:1]
	s_cbranch_execz .LBB68_682
; %bb.677:
	v_cmp_ngt_f64_e64 s[18:19], |v[121:122]|, |v[123:124]|
	s_and_saveexec_b64 s[20:21], s[18:19]
	s_xor_b64 s[18:19], exec, s[20:21]
	s_cbranch_execz .LBB68_679
; %bb.678:
	v_div_scale_f64 v[106:107], s[20:21], v[123:124], v[123:124], v[121:122]
	v_rcp_f64_e32 v[108:109], v[106:107]
	v_fma_f64 v[110:111], -v[106:107], v[108:109], 1.0
	v_fma_f64 v[108:109], v[108:109], v[110:111], v[108:109]
	v_div_scale_f64 v[110:111], vcc, v[121:122], v[123:124], v[121:122]
	v_fma_f64 v[112:113], -v[106:107], v[108:109], 1.0
	v_fma_f64 v[108:109], v[108:109], v[112:113], v[108:109]
	v_mul_f64 v[112:113], v[110:111], v[108:109]
	v_fma_f64 v[106:107], -v[106:107], v[112:113], v[110:111]
	v_div_fmas_f64 v[106:107], v[106:107], v[108:109], v[112:113]
	v_div_fixup_f64 v[106:107], v[106:107], v[123:124], v[121:122]
	v_fma_f64 v[108:109], v[121:122], v[106:107], v[123:124]
	v_div_scale_f64 v[110:111], s[20:21], v[108:109], v[108:109], 1.0
	v_div_scale_f64 v[116:117], vcc, 1.0, v[108:109], 1.0
	v_rcp_f64_e32 v[112:113], v[110:111]
	v_fma_f64 v[114:115], -v[110:111], v[112:113], 1.0
	v_fma_f64 v[112:113], v[112:113], v[114:115], v[112:113]
	v_fma_f64 v[114:115], -v[110:111], v[112:113], 1.0
	v_fma_f64 v[112:113], v[112:113], v[114:115], v[112:113]
	v_mul_f64 v[114:115], v[116:117], v[112:113]
	v_fma_f64 v[110:111], -v[110:111], v[114:115], v[116:117]
	v_div_fmas_f64 v[110:111], v[110:111], v[112:113], v[114:115]
	v_div_fixup_f64 v[123:124], v[110:111], v[108:109], 1.0
	v_mul_f64 v[121:122], v[106:107], v[123:124]
	v_xor_b32_e32 v124, 0x80000000, v124
.LBB68_679:
	s_andn2_saveexec_b64 s[18:19], s[18:19]
	s_cbranch_execz .LBB68_681
; %bb.680:
	v_div_scale_f64 v[106:107], s[20:21], v[121:122], v[121:122], v[123:124]
	v_rcp_f64_e32 v[108:109], v[106:107]
	v_fma_f64 v[110:111], -v[106:107], v[108:109], 1.0
	v_fma_f64 v[108:109], v[108:109], v[110:111], v[108:109]
	v_div_scale_f64 v[110:111], vcc, v[123:124], v[121:122], v[123:124]
	v_fma_f64 v[112:113], -v[106:107], v[108:109], 1.0
	v_fma_f64 v[108:109], v[108:109], v[112:113], v[108:109]
	v_mul_f64 v[112:113], v[110:111], v[108:109]
	v_fma_f64 v[106:107], -v[106:107], v[112:113], v[110:111]
	v_div_fmas_f64 v[106:107], v[106:107], v[108:109], v[112:113]
	v_div_fixup_f64 v[106:107], v[106:107], v[121:122], v[123:124]
	v_fma_f64 v[108:109], v[123:124], v[106:107], v[121:122]
	v_div_scale_f64 v[110:111], s[20:21], v[108:109], v[108:109], 1.0
	v_div_scale_f64 v[116:117], vcc, 1.0, v[108:109], 1.0
	v_rcp_f64_e32 v[112:113], v[110:111]
	v_fma_f64 v[114:115], -v[110:111], v[112:113], 1.0
	v_fma_f64 v[112:113], v[112:113], v[114:115], v[112:113]
	v_fma_f64 v[114:115], -v[110:111], v[112:113], 1.0
	v_fma_f64 v[112:113], v[112:113], v[114:115], v[112:113]
	v_mul_f64 v[114:115], v[116:117], v[112:113]
	v_fma_f64 v[110:111], -v[110:111], v[114:115], v[116:117]
	v_div_fmas_f64 v[110:111], v[110:111], v[112:113], v[114:115]
	v_div_fixup_f64 v[121:122], v[110:111], v[108:109], 1.0
	v_mul_f64 v[123:124], v[106:107], -v[121:122]
.LBB68_681:
	s_or_b64 exec, exec, s[18:19]
.LBB68_682:
	s_or_b64 exec, exec, s[0:1]
	v_cmp_ne_u32_e32 vcc, v104, v105
	s_and_saveexec_b64 s[0:1], vcc
	s_xor_b64 s[0:1], exec, s[0:1]
	s_cbranch_execz .LBB68_688
; %bb.683:
	v_cmp_eq_u32_e32 vcc, 32, v104
	s_and_saveexec_b64 s[18:19], vcc
	s_cbranch_execz .LBB68_687
; %bb.684:
	v_cmp_ne_u32_e32 vcc, 32, v105
	s_xor_b64 s[20:21], s[6:7], -1
	s_and_b64 s[22:23], s[20:21], vcc
	s_and_saveexec_b64 s[20:21], s[22:23]
	s_cbranch_execz .LBB68_686
; %bb.685:
	v_ashrrev_i32_e32 v106, 31, v105
	v_lshlrev_b64 v[106:107], 2, v[105:106]
	v_add_co_u32_e32 v106, vcc, v119, v106
	v_addc_co_u32_e32 v107, vcc, v120, v107, vcc
	global_load_dword v0, v[106:107], off
	global_load_dword v104, v[119:120], off offset:128
	s_waitcnt vmcnt(1)
	global_store_dword v[119:120], v0, off offset:128
	s_waitcnt vmcnt(1)
	global_store_dword v[106:107], v104, off
.LBB68_686:
	s_or_b64 exec, exec, s[20:21]
	v_mov_b32_e32 v104, v105
	v_mov_b32_e32 v0, v105
.LBB68_687:
	s_or_b64 exec, exec, s[18:19]
.LBB68_688:
	s_andn2_saveexec_b64 s[0:1], s[0:1]
	s_cbranch_execz .LBB68_690
; %bb.689:
	v_mov_b32_e32 v104, 32
	ds_write2_b64 v102, v[1:2], v[3:4] offset0:66 offset1:67
	ds_write2_b64 v102, v[97:98], v[99:100] offset0:68 offset1:69
.LBB68_690:
	s_or_b64 exec, exec, s[0:1]
	v_cmp_lt_i32_e32 vcc, 32, v104
	s_waitcnt vmcnt(0) lgkmcnt(0)
	s_barrier
	s_and_saveexec_b64 s[0:1], vcc
	s_cbranch_execz .LBB68_692
; %bb.691:
	v_mul_f64 v[105:106], v[121:122], v[7:8]
	v_mul_f64 v[7:8], v[123:124], v[7:8]
	v_fma_f64 v[109:110], v[123:124], v[5:6], v[105:106]
	ds_read2_b64 v[105:108], v102 offset0:66 offset1:67
	v_fma_f64 v[5:6], v[121:122], v[5:6], -v[7:8]
	s_waitcnt lgkmcnt(0)
	v_mul_f64 v[7:8], v[107:108], v[109:110]
	v_fma_f64 v[7:8], v[105:106], v[5:6], -v[7:8]
	v_mul_f64 v[105:106], v[105:106], v[109:110]
	v_add_f64 v[1:2], v[1:2], -v[7:8]
	v_fma_f64 v[105:106], v[107:108], v[5:6], v[105:106]
	v_add_f64 v[3:4], v[3:4], -v[105:106]
	ds_read2_b64 v[105:108], v102 offset0:68 offset1:69
	s_waitcnt lgkmcnt(0)
	v_mul_f64 v[7:8], v[107:108], v[109:110]
	v_fma_f64 v[7:8], v[105:106], v[5:6], -v[7:8]
	v_mul_f64 v[105:106], v[105:106], v[109:110]
	v_add_f64 v[97:98], v[97:98], -v[7:8]
	v_fma_f64 v[105:106], v[107:108], v[5:6], v[105:106]
	v_mov_b32_e32 v7, v109
	v_mov_b32_e32 v8, v110
	v_add_f64 v[99:100], v[99:100], -v[105:106]
.LBB68_692:
	s_or_b64 exec, exec, s[0:1]
	v_lshl_add_u32 v105, v104, 4, v102
	s_barrier
	ds_write2_b64 v105, v[1:2], v[3:4] offset1:1
	s_waitcnt lgkmcnt(0)
	s_barrier
	ds_read2_b64 v[121:124], v102 offset0:66 offset1:67
	s_cmp_lt_i32 s3, 35
	v_mov_b32_e32 v105, 33
	s_cbranch_scc1 .LBB68_695
; %bb.693:
	v_add_u32_e32 v106, 0x220, v102
	s_mov_b32 s0, 34
	v_mov_b32_e32 v105, 33
.LBB68_694:                             ; =>This Inner Loop Header: Depth=1
	s_waitcnt lgkmcnt(0)
	v_cmp_gt_f64_e32 vcc, 0, v[121:122]
	v_xor_b32_e32 v111, 0x80000000, v122
	ds_read2_b64 v[107:110], v106 offset1:1
	v_xor_b32_e32 v113, 0x80000000, v124
	v_add_u32_e32 v106, 16, v106
	s_waitcnt lgkmcnt(0)
	v_xor_b32_e32 v115, 0x80000000, v110
	v_cndmask_b32_e32 v112, v122, v111, vcc
	v_cmp_gt_f64_e32 vcc, 0, v[123:124]
	v_mov_b32_e32 v111, v121
	v_cndmask_b32_e32 v114, v124, v113, vcc
	v_cmp_gt_f64_e32 vcc, 0, v[107:108]
	v_mov_b32_e32 v113, v123
	v_add_f64 v[111:112], v[111:112], v[113:114]
	v_xor_b32_e32 v113, 0x80000000, v108
	v_cndmask_b32_e32 v114, v108, v113, vcc
	v_cmp_gt_f64_e32 vcc, 0, v[109:110]
	v_mov_b32_e32 v113, v107
	v_cndmask_b32_e32 v116, v110, v115, vcc
	v_mov_b32_e32 v115, v109
	v_add_f64 v[113:114], v[113:114], v[115:116]
	v_cmp_lt_f64_e32 vcc, v[111:112], v[113:114]
	v_cndmask_b32_e32 v121, v121, v107, vcc
	v_mov_b32_e32 v107, s0
	s_add_i32 s0, s0, 1
	v_cndmask_b32_e32 v122, v122, v108, vcc
	v_cndmask_b32_e32 v124, v124, v110, vcc
	;; [unrolled: 1-line block ×4, first 2 shown]
	s_cmp_lg_u32 s3, s0
	s_cbranch_scc1 .LBB68_694
.LBB68_695:
	s_waitcnt lgkmcnt(0)
	v_cmp_eq_f64_e32 vcc, 0, v[121:122]
	v_cmp_eq_f64_e64 s[0:1], 0, v[123:124]
	s_and_b64 s[0:1], vcc, s[0:1]
	s_and_saveexec_b64 s[18:19], s[0:1]
	s_xor_b64 s[0:1], exec, s[18:19]
; %bb.696:
	v_cmp_ne_u32_e32 vcc, 0, v103
	v_cndmask_b32_e32 v103, 34, v103, vcc
; %bb.697:
	s_andn2_saveexec_b64 s[0:1], s[0:1]
	s_cbranch_execz .LBB68_703
; %bb.698:
	v_cmp_ngt_f64_e64 s[18:19], |v[121:122]|, |v[123:124]|
	s_and_saveexec_b64 s[20:21], s[18:19]
	s_xor_b64 s[18:19], exec, s[20:21]
	s_cbranch_execz .LBB68_700
; %bb.699:
	v_div_scale_f64 v[106:107], s[20:21], v[123:124], v[123:124], v[121:122]
	v_rcp_f64_e32 v[108:109], v[106:107]
	v_fma_f64 v[110:111], -v[106:107], v[108:109], 1.0
	v_fma_f64 v[108:109], v[108:109], v[110:111], v[108:109]
	v_div_scale_f64 v[110:111], vcc, v[121:122], v[123:124], v[121:122]
	v_fma_f64 v[112:113], -v[106:107], v[108:109], 1.0
	v_fma_f64 v[108:109], v[108:109], v[112:113], v[108:109]
	v_mul_f64 v[112:113], v[110:111], v[108:109]
	v_fma_f64 v[106:107], -v[106:107], v[112:113], v[110:111]
	v_div_fmas_f64 v[106:107], v[106:107], v[108:109], v[112:113]
	v_div_fixup_f64 v[106:107], v[106:107], v[123:124], v[121:122]
	v_fma_f64 v[108:109], v[121:122], v[106:107], v[123:124]
	v_div_scale_f64 v[110:111], s[20:21], v[108:109], v[108:109], 1.0
	v_div_scale_f64 v[116:117], vcc, 1.0, v[108:109], 1.0
	v_rcp_f64_e32 v[112:113], v[110:111]
	v_fma_f64 v[114:115], -v[110:111], v[112:113], 1.0
	v_fma_f64 v[112:113], v[112:113], v[114:115], v[112:113]
	v_fma_f64 v[114:115], -v[110:111], v[112:113], 1.0
	v_fma_f64 v[112:113], v[112:113], v[114:115], v[112:113]
	v_mul_f64 v[114:115], v[116:117], v[112:113]
	v_fma_f64 v[110:111], -v[110:111], v[114:115], v[116:117]
	v_div_fmas_f64 v[110:111], v[110:111], v[112:113], v[114:115]
	v_div_fixup_f64 v[123:124], v[110:111], v[108:109], 1.0
	v_mul_f64 v[121:122], v[106:107], v[123:124]
	v_xor_b32_e32 v124, 0x80000000, v124
.LBB68_700:
	s_andn2_saveexec_b64 s[18:19], s[18:19]
	s_cbranch_execz .LBB68_702
; %bb.701:
	v_div_scale_f64 v[106:107], s[20:21], v[121:122], v[121:122], v[123:124]
	v_rcp_f64_e32 v[108:109], v[106:107]
	v_fma_f64 v[110:111], -v[106:107], v[108:109], 1.0
	v_fma_f64 v[108:109], v[108:109], v[110:111], v[108:109]
	v_div_scale_f64 v[110:111], vcc, v[123:124], v[121:122], v[123:124]
	v_fma_f64 v[112:113], -v[106:107], v[108:109], 1.0
	v_fma_f64 v[108:109], v[108:109], v[112:113], v[108:109]
	v_mul_f64 v[112:113], v[110:111], v[108:109]
	v_fma_f64 v[106:107], -v[106:107], v[112:113], v[110:111]
	v_div_fmas_f64 v[106:107], v[106:107], v[108:109], v[112:113]
	v_div_fixup_f64 v[106:107], v[106:107], v[121:122], v[123:124]
	v_fma_f64 v[108:109], v[123:124], v[106:107], v[121:122]
	v_div_scale_f64 v[110:111], s[20:21], v[108:109], v[108:109], 1.0
	v_div_scale_f64 v[116:117], vcc, 1.0, v[108:109], 1.0
	v_rcp_f64_e32 v[112:113], v[110:111]
	v_fma_f64 v[114:115], -v[110:111], v[112:113], 1.0
	v_fma_f64 v[112:113], v[112:113], v[114:115], v[112:113]
	v_fma_f64 v[114:115], -v[110:111], v[112:113], 1.0
	v_fma_f64 v[112:113], v[112:113], v[114:115], v[112:113]
	v_mul_f64 v[114:115], v[116:117], v[112:113]
	v_fma_f64 v[110:111], -v[110:111], v[114:115], v[116:117]
	v_div_fmas_f64 v[110:111], v[110:111], v[112:113], v[114:115]
	v_div_fixup_f64 v[121:122], v[110:111], v[108:109], 1.0
	v_mul_f64 v[123:124], v[106:107], -v[121:122]
.LBB68_702:
	s_or_b64 exec, exec, s[18:19]
.LBB68_703:
	s_or_b64 exec, exec, s[0:1]
	v_cmp_ne_u32_e32 vcc, v104, v105
	s_and_saveexec_b64 s[0:1], vcc
	s_xor_b64 s[0:1], exec, s[0:1]
	s_cbranch_execz .LBB68_709
; %bb.704:
	v_cmp_eq_u32_e32 vcc, 33, v104
	s_and_saveexec_b64 s[18:19], vcc
	s_cbranch_execz .LBB68_708
; %bb.705:
	v_cmp_ne_u32_e32 vcc, 33, v105
	s_xor_b64 s[20:21], s[6:7], -1
	s_and_b64 s[22:23], s[20:21], vcc
	s_and_saveexec_b64 s[20:21], s[22:23]
	s_cbranch_execz .LBB68_707
; %bb.706:
	v_ashrrev_i32_e32 v106, 31, v105
	v_lshlrev_b64 v[106:107], 2, v[105:106]
	v_add_co_u32_e32 v106, vcc, v119, v106
	v_addc_co_u32_e32 v107, vcc, v120, v107, vcc
	global_load_dword v0, v[106:107], off
	global_load_dword v104, v[119:120], off offset:132
	s_waitcnt vmcnt(1)
	global_store_dword v[119:120], v0, off offset:132
	s_waitcnt vmcnt(1)
	global_store_dword v[106:107], v104, off
.LBB68_707:
	s_or_b64 exec, exec, s[20:21]
	v_mov_b32_e32 v104, v105
	v_mov_b32_e32 v0, v105
.LBB68_708:
	s_or_b64 exec, exec, s[18:19]
.LBB68_709:
	s_andn2_saveexec_b64 s[0:1], s[0:1]
; %bb.710:
	v_mov_b32_e32 v104, 33
	ds_write2_b64 v102, v[97:98], v[99:100] offset0:68 offset1:69
; %bb.711:
	s_or_b64 exec, exec, s[0:1]
	v_cmp_lt_i32_e32 vcc, 33, v104
	s_waitcnt vmcnt(0) lgkmcnt(0)
	s_barrier
	s_and_saveexec_b64 s[0:1], vcc
	s_cbranch_execz .LBB68_713
; %bb.712:
	v_mul_f64 v[105:106], v[121:122], v[3:4]
	v_mul_f64 v[3:4], v[123:124], v[3:4]
	v_fma_f64 v[109:110], v[123:124], v[1:2], v[105:106]
	ds_read2_b64 v[105:108], v102 offset0:68 offset1:69
	v_fma_f64 v[1:2], v[121:122], v[1:2], -v[3:4]
	s_waitcnt lgkmcnt(0)
	v_mul_f64 v[3:4], v[107:108], v[109:110]
	v_fma_f64 v[3:4], v[105:106], v[1:2], -v[3:4]
	v_mul_f64 v[105:106], v[105:106], v[109:110]
	v_add_f64 v[97:98], v[97:98], -v[3:4]
	v_fma_f64 v[105:106], v[107:108], v[1:2], v[105:106]
	v_mov_b32_e32 v3, v109
	v_mov_b32_e32 v4, v110
	v_add_f64 v[99:100], v[99:100], -v[105:106]
.LBB68_713:
	s_or_b64 exec, exec, s[0:1]
	v_lshl_add_u32 v105, v104, 4, v102
	s_barrier
	ds_write2_b64 v105, v[97:98], v[99:100] offset1:1
	s_waitcnt lgkmcnt(0)
	s_barrier
	ds_read2_b64 v[121:124], v102 offset0:68 offset1:69
	s_cmp_lt_i32 s3, 36
	v_mov_b32_e32 v105, 34
	s_cbranch_scc1 .LBB68_716
; %bb.714:
	v_add_u32_e32 v102, 0x230, v102
	s_mov_b32 s0, 35
	v_mov_b32_e32 v105, 34
.LBB68_715:                             ; =>This Inner Loop Header: Depth=1
	s_waitcnt lgkmcnt(0)
	v_cmp_gt_f64_e32 vcc, 0, v[121:122]
	v_xor_b32_e32 v110, 0x80000000, v122
	ds_read2_b64 v[106:109], v102 offset1:1
	v_xor_b32_e32 v112, 0x80000000, v124
	v_add_u32_e32 v102, 16, v102
	s_waitcnt lgkmcnt(0)
	v_xor_b32_e32 v114, 0x80000000, v109
	v_cndmask_b32_e32 v111, v122, v110, vcc
	v_cmp_gt_f64_e32 vcc, 0, v[123:124]
	v_mov_b32_e32 v110, v121
	v_cndmask_b32_e32 v113, v124, v112, vcc
	v_cmp_gt_f64_e32 vcc, 0, v[106:107]
	v_mov_b32_e32 v112, v123
	v_add_f64 v[110:111], v[110:111], v[112:113]
	v_xor_b32_e32 v112, 0x80000000, v107
	v_cndmask_b32_e32 v113, v107, v112, vcc
	v_cmp_gt_f64_e32 vcc, 0, v[108:109]
	v_mov_b32_e32 v112, v106
	v_cndmask_b32_e32 v115, v109, v114, vcc
	v_mov_b32_e32 v114, v108
	v_add_f64 v[112:113], v[112:113], v[114:115]
	v_cmp_lt_f64_e32 vcc, v[110:111], v[112:113]
	v_cndmask_b32_e32 v121, v121, v106, vcc
	v_mov_b32_e32 v106, s0
	s_add_i32 s0, s0, 1
	v_cndmask_b32_e32 v122, v122, v107, vcc
	v_cndmask_b32_e32 v124, v124, v109, vcc
	;; [unrolled: 1-line block ×4, first 2 shown]
	s_cmp_lg_u32 s3, s0
	s_cbranch_scc1 .LBB68_715
.LBB68_716:
	s_waitcnt lgkmcnt(0)
	v_cmp_eq_f64_e32 vcc, 0, v[121:122]
	v_cmp_eq_f64_e64 s[0:1], 0, v[123:124]
	s_and_b64 s[0:1], vcc, s[0:1]
	s_and_saveexec_b64 s[18:19], s[0:1]
	s_xor_b64 s[0:1], exec, s[18:19]
; %bb.717:
	v_cmp_ne_u32_e32 vcc, 0, v103
	v_cndmask_b32_e32 v103, 35, v103, vcc
; %bb.718:
	s_andn2_saveexec_b64 s[0:1], s[0:1]
	s_cbranch_execz .LBB68_724
; %bb.719:
	v_cmp_ngt_f64_e64 s[18:19], |v[121:122]|, |v[123:124]|
	s_and_saveexec_b64 s[20:21], s[18:19]
	s_xor_b64 s[18:19], exec, s[20:21]
	s_cbranch_execz .LBB68_721
; %bb.720:
	v_div_scale_f64 v[106:107], s[20:21], v[123:124], v[123:124], v[121:122]
	v_rcp_f64_e32 v[108:109], v[106:107]
	v_fma_f64 v[110:111], -v[106:107], v[108:109], 1.0
	v_fma_f64 v[108:109], v[108:109], v[110:111], v[108:109]
	v_div_scale_f64 v[110:111], vcc, v[121:122], v[123:124], v[121:122]
	v_fma_f64 v[112:113], -v[106:107], v[108:109], 1.0
	v_fma_f64 v[108:109], v[108:109], v[112:113], v[108:109]
	v_mul_f64 v[112:113], v[110:111], v[108:109]
	v_fma_f64 v[106:107], -v[106:107], v[112:113], v[110:111]
	v_div_fmas_f64 v[106:107], v[106:107], v[108:109], v[112:113]
	v_div_fixup_f64 v[106:107], v[106:107], v[123:124], v[121:122]
	v_fma_f64 v[108:109], v[121:122], v[106:107], v[123:124]
	v_div_scale_f64 v[110:111], s[20:21], v[108:109], v[108:109], 1.0
	v_div_scale_f64 v[116:117], vcc, 1.0, v[108:109], 1.0
	v_rcp_f64_e32 v[112:113], v[110:111]
	v_fma_f64 v[114:115], -v[110:111], v[112:113], 1.0
	v_fma_f64 v[112:113], v[112:113], v[114:115], v[112:113]
	v_fma_f64 v[114:115], -v[110:111], v[112:113], 1.0
	v_fma_f64 v[112:113], v[112:113], v[114:115], v[112:113]
	v_mul_f64 v[114:115], v[116:117], v[112:113]
	v_fma_f64 v[110:111], -v[110:111], v[114:115], v[116:117]
	v_div_fmas_f64 v[110:111], v[110:111], v[112:113], v[114:115]
	v_div_fixup_f64 v[123:124], v[110:111], v[108:109], 1.0
	v_mul_f64 v[121:122], v[106:107], v[123:124]
	v_xor_b32_e32 v124, 0x80000000, v124
.LBB68_721:
	s_andn2_saveexec_b64 s[18:19], s[18:19]
	s_cbranch_execz .LBB68_723
; %bb.722:
	v_div_scale_f64 v[106:107], s[20:21], v[121:122], v[121:122], v[123:124]
	v_rcp_f64_e32 v[108:109], v[106:107]
	v_fma_f64 v[110:111], -v[106:107], v[108:109], 1.0
	v_fma_f64 v[108:109], v[108:109], v[110:111], v[108:109]
	v_div_scale_f64 v[110:111], vcc, v[123:124], v[121:122], v[123:124]
	v_fma_f64 v[112:113], -v[106:107], v[108:109], 1.0
	v_fma_f64 v[108:109], v[108:109], v[112:113], v[108:109]
	v_mul_f64 v[112:113], v[110:111], v[108:109]
	v_fma_f64 v[106:107], -v[106:107], v[112:113], v[110:111]
	v_div_fmas_f64 v[106:107], v[106:107], v[108:109], v[112:113]
	v_div_fixup_f64 v[106:107], v[106:107], v[121:122], v[123:124]
	v_fma_f64 v[108:109], v[123:124], v[106:107], v[121:122]
	v_div_scale_f64 v[110:111], s[20:21], v[108:109], v[108:109], 1.0
	v_div_scale_f64 v[116:117], vcc, 1.0, v[108:109], 1.0
	v_rcp_f64_e32 v[112:113], v[110:111]
	v_fma_f64 v[114:115], -v[110:111], v[112:113], 1.0
	v_fma_f64 v[112:113], v[112:113], v[114:115], v[112:113]
	v_fma_f64 v[114:115], -v[110:111], v[112:113], 1.0
	v_fma_f64 v[112:113], v[112:113], v[114:115], v[112:113]
	v_mul_f64 v[114:115], v[116:117], v[112:113]
	v_fma_f64 v[110:111], -v[110:111], v[114:115], v[116:117]
	v_div_fmas_f64 v[110:111], v[110:111], v[112:113], v[114:115]
	v_div_fixup_f64 v[121:122], v[110:111], v[108:109], 1.0
	v_mul_f64 v[123:124], v[106:107], -v[121:122]
.LBB68_723:
	s_or_b64 exec, exec, s[18:19]
.LBB68_724:
	s_or_b64 exec, exec, s[0:1]
	v_cmp_ne_u32_e32 vcc, v104, v105
	v_mov_b32_e32 v106, 34
	s_and_saveexec_b64 s[0:1], vcc
	s_cbranch_execz .LBB68_730
; %bb.725:
	v_cmp_eq_u32_e32 vcc, 34, v104
	s_and_saveexec_b64 s[18:19], vcc
	s_cbranch_execz .LBB68_729
; %bb.726:
	v_cmp_ne_u32_e32 vcc, 34, v105
	s_xor_b64 s[6:7], s[6:7], -1
	s_and_b64 s[20:21], s[6:7], vcc
	s_and_saveexec_b64 s[6:7], s[20:21]
	s_cbranch_execz .LBB68_728
; %bb.727:
	v_ashrrev_i32_e32 v106, 31, v105
	v_lshlrev_b64 v[106:107], 2, v[105:106]
	v_add_co_u32_e32 v106, vcc, v119, v106
	v_addc_co_u32_e32 v107, vcc, v120, v107, vcc
	global_load_dword v0, v[106:107], off
	global_load_dword v102, v[119:120], off offset:136
	s_waitcnt vmcnt(1)
	global_store_dword v[119:120], v0, off offset:136
	s_waitcnt vmcnt(1)
	global_store_dword v[106:107], v102, off
.LBB68_728:
	s_or_b64 exec, exec, s[6:7]
	v_mov_b32_e32 v104, v105
	v_mov_b32_e32 v0, v105
.LBB68_729:
	s_or_b64 exec, exec, s[18:19]
	v_mov_b32_e32 v106, v104
.LBB68_730:
	s_or_b64 exec, exec, s[0:1]
	v_cmp_gt_i32_e32 vcc, 35, v106
	v_ashrrev_i32_e32 v107, 31, v106
	s_waitcnt vmcnt(0)
	s_barrier
	s_barrier
	s_and_saveexec_b64 s[0:1], vcc
	s_cbranch_execz .LBB68_732
; %bb.731:
	buffer_load_dword v104, off, s[24:27], 0 offset:168 ; 4-byte Folded Reload
	buffer_load_dword v105, off, s[24:27], 0 offset:172 ; 4-byte Folded Reload
	v_add3_u32 v0, v0, s17, 1
	s_waitcnt vmcnt(1)
	v_mul_lo_u32 v102, s15, v104
	s_waitcnt vmcnt(0)
	v_mul_lo_u32 v108, s14, v105
	v_mad_u64_u32 v[104:105], s[6:7], s14, v104, 0
	s_lshl_b64 s[6:7], s[12:13], 2
	v_add3_u32 v105, v105, v108, v102
	v_lshlrev_b64 v[104:105], 2, v[104:105]
	v_mov_b32_e32 v102, s11
	v_add_co_u32_e32 v104, vcc, s10, v104
	v_addc_co_u32_e32 v102, vcc, v102, v105, vcc
	v_mov_b32_e32 v105, s7
	v_add_co_u32_e32 v108, vcc, s6, v104
	v_addc_co_u32_e32 v102, vcc, v102, v105, vcc
	v_lshlrev_b64 v[104:105], 2, v[106:107]
	v_add_co_u32_e32 v104, vcc, v108, v104
	v_addc_co_u32_e32 v105, vcc, v102, v105, vcc
	global_store_dword v[104:105], v0, off
.LBB68_732:
	s_or_b64 exec, exec, s[0:1]
	v_cmp_eq_u32_e32 vcc, 0, v106
	s_and_saveexec_b64 s[6:7], vcc
	s_cbranch_execz .LBB68_735
; %bb.733:
	buffer_load_dword v104, off, s[24:27], 0 offset:168 ; 4-byte Folded Reload
	buffer_load_dword v105, off, s[24:27], 0 offset:172 ; 4-byte Folded Reload
	v_mov_b32_e32 v0, s5
	v_cmp_ne_u32_e64 s[0:1], 0, v103
	s_waitcnt vmcnt(0)
	v_lshlrev_b64 v[104:105], 2, v[104:105]
	v_add_co_u32_e32 v108, vcc, s4, v104
	v_addc_co_u32_e32 v109, vcc, v0, v105, vcc
	global_load_dword v0, v[108:109], off
	s_waitcnt vmcnt(0)
	v_cmp_eq_u32_e32 vcc, 0, v0
	s_and_b64 s[0:1], vcc, s[0:1]
	s_and_b64 exec, exec, s[0:1]
	s_cbranch_execz .LBB68_735
; %bb.734:
	v_add_u32_e32 v0, s17, v103
	global_store_dword v[108:109], v0, off
.LBB68_735:
	s_or_b64 exec, exec, s[6:7]
	v_mul_f64 v[102:103], v[121:122], v[99:100]
	v_cmp_lt_i32_e32 vcc, 34, v106
	v_mul_f64 v[104:105], v[123:124], v[99:100]
	v_mov_b32_e32 v0, s9
	v_fma_f64 v[102:103], v[123:124], v[97:98], v[102:103]
	v_fma_f64 v[104:105], v[121:122], v[97:98], -v[104:105]
	v_cndmask_b32_e32 v100, v100, v103, vcc
	v_cndmask_b32_e32 v99, v99, v102, vcc
	v_lshlrev_b64 v[102:103], 4, v[106:107]
	buffer_load_dword v107, off, s[24:27], 0 offset:152 ; 4-byte Folded Reload
	buffer_load_dword v108, off, s[24:27], 0 offset:156 ; 4-byte Folded Reload
	;; [unrolled: 1-line block ×4, first 2 shown]
	v_cndmask_b32_e32 v98, v98, v105, vcc
	v_cndmask_b32_e32 v97, v97, v104, vcc
	v_add_co_u32_e32 v102, vcc, v127, v102
	v_addc_co_u32_e32 v103, vcc, v101, v103, vcc
	s_waitcnt vmcnt(0)
	global_store_dwordx4 v[102:103], v[107:110], off
	buffer_load_dword v107, off, s[24:27], 0 offset:128 ; 4-byte Folded Reload
	s_nop 0
	buffer_load_dword v108, off, s[24:27], 0 offset:132 ; 4-byte Folded Reload
	buffer_load_dword v109, off, s[24:27], 0 offset:136 ; 4-byte Folded Reload
	;; [unrolled: 1-line block ×3, first 2 shown]
	v_add_co_u32_e32 v102, vcc, s8, v102
	v_addc_co_u32_e32 v103, vcc, v103, v0, vcc
	s_waitcnt vmcnt(0)
	global_store_dwordx4 v[102:103], v[107:110], off
	v_add_u32_e32 v102, s16, v106
	buffer_load_dword v105, off, s[24:27], 0 offset:112 ; 4-byte Folded Reload
	buffer_load_dword v106, off, s[24:27], 0 offset:116 ; 4-byte Folded Reload
	;; [unrolled: 1-line block ×4, first 2 shown]
	v_ashrrev_i32_e32 v103, 31, v102
	v_lshlrev_b64 v[103:104], 4, v[102:103]
	v_add_u32_e32 v102, s2, v102
	v_add_co_u32_e32 v103, vcc, v127, v103
	v_addc_co_u32_e32 v104, vcc, v101, v104, vcc
	s_waitcnt vmcnt(0)
	global_store_dwordx4 v[103:104], v[105:108], off
	buffer_load_dword v105, off, s[24:27], 0 offset:96 ; 4-byte Folded Reload
	s_nop 0
	buffer_load_dword v106, off, s[24:27], 0 offset:100 ; 4-byte Folded Reload
	buffer_load_dword v107, off, s[24:27], 0 offset:104 ; 4-byte Folded Reload
	buffer_load_dword v108, off, s[24:27], 0 offset:108 ; 4-byte Folded Reload
	v_ashrrev_i32_e32 v103, 31, v102
	v_lshlrev_b64 v[103:104], 4, v[102:103]
	v_add_u32_e32 v102, s2, v102
	v_add_co_u32_e32 v103, vcc, v127, v103
	v_addc_co_u32_e32 v104, vcc, v101, v104, vcc
	s_waitcnt vmcnt(0)
	global_store_dwordx4 v[103:104], v[105:108], off
	buffer_load_dword v105, off, s[24:27], 0 offset:80 ; 4-byte Folded Reload
	s_nop 0
	buffer_load_dword v106, off, s[24:27], 0 offset:84 ; 4-byte Folded Reload
	buffer_load_dword v107, off, s[24:27], 0 offset:88 ; 4-byte Folded Reload
	buffer_load_dword v108, off, s[24:27], 0 offset:92 ; 4-byte Folded Reload
	;; [unrolled: 12-line block ×6, first 2 shown]
	v_ashrrev_i32_e32 v103, 31, v102
	v_lshlrev_b64 v[103:104], 4, v[102:103]
	v_add_u32_e32 v102, s2, v102
	v_add_co_u32_e32 v103, vcc, v127, v103
	v_addc_co_u32_e32 v104, vcc, v101, v104, vcc
	s_waitcnt vmcnt(0)
	global_store_dwordx4 v[103:104], v[105:108], off
	buffer_load_dword v105, off, s[24:27], 0 ; 4-byte Folded Reload
	s_nop 0
	buffer_load_dword v106, off, s[24:27], 0 offset:4 ; 4-byte Folded Reload
	buffer_load_dword v107, off, s[24:27], 0 offset:8 ; 4-byte Folded Reload
	;; [unrolled: 1-line block ×3, first 2 shown]
	v_ashrrev_i32_e32 v103, 31, v102
	v_lshlrev_b64 v[103:104], 4, v[102:103]
	v_add_u32_e32 v102, s2, v102
	v_add_co_u32_e32 v103, vcc, v127, v103
	v_addc_co_u32_e32 v104, vcc, v101, v104, vcc
	s_waitcnt vmcnt(0)
	global_store_dwordx4 v[103:104], v[105:108], off
	v_ashrrev_i32_e32 v103, 31, v102
	v_lshlrev_b64 v[103:104], 4, v[102:103]
	v_add_co_u32_e32 v103, vcc, v127, v103
	v_addc_co_u32_e32 v104, vcc, v101, v104, vcc
	global_store_dwordx4 v[103:104], v[93:96], off
	s_nop 0
	v_add_u32_e32 v93, s2, v102
	v_ashrrev_i32_e32 v94, 31, v93
	v_lshlrev_b64 v[94:95], 4, v[93:94]
	v_add_co_u32_e32 v94, vcc, v127, v94
	v_addc_co_u32_e32 v95, vcc, v101, v95, vcc
	global_store_dwordx4 v[94:95], v[89:92], off
	s_nop 0
	v_add_u32_e32 v89, s2, v93
	;; [unrolled: 7-line block ×23, first 2 shown]
	v_ashrrev_i32_e32 v6, 31, v5
	v_lshlrev_b64 v[6:7], 4, v[5:6]
	v_add_u32_e32 v0, s2, v5
	v_add_co_u32_e32 v6, vcc, v127, v6
	v_addc_co_u32_e32 v7, vcc, v101, v7, vcc
	global_store_dwordx4 v[6:7], v[1:4], off
	s_nop 0
	v_ashrrev_i32_e32 v1, 31, v0
	v_lshlrev_b64 v[0:1], 4, v[0:1]
	v_add_co_u32_e32 v0, vcc, v127, v0
	v_addc_co_u32_e32 v1, vcc, v101, v1, vcc
	global_store_dwordx4 v[0:1], v[97:100], off
.LBB68_736:
	s_endpgm
	.section	.rodata,"a",@progbits
	.p2align	6, 0x0
	.amdhsa_kernel _ZN9rocsolver6v33100L18getf2_small_kernelILi35E19rocblas_complex_numIdEiiPS3_EEvT1_T3_lS5_lPS5_llPT2_S5_S5_S7_l
		.amdhsa_group_segment_fixed_size 0
		.amdhsa_private_segment_fixed_size 180
		.amdhsa_kernarg_size 352
		.amdhsa_user_sgpr_count 6
		.amdhsa_user_sgpr_private_segment_buffer 1
		.amdhsa_user_sgpr_dispatch_ptr 0
		.amdhsa_user_sgpr_queue_ptr 0
		.amdhsa_user_sgpr_kernarg_segment_ptr 1
		.amdhsa_user_sgpr_dispatch_id 0
		.amdhsa_user_sgpr_flat_scratch_init 0
		.amdhsa_user_sgpr_private_segment_size 0
		.amdhsa_uses_dynamic_stack 0
		.amdhsa_system_sgpr_private_segment_wavefront_offset 1
		.amdhsa_system_sgpr_workgroup_id_x 1
		.amdhsa_system_sgpr_workgroup_id_y 1
		.amdhsa_system_sgpr_workgroup_id_z 0
		.amdhsa_system_sgpr_workgroup_info 0
		.amdhsa_system_vgpr_workitem_id 1
		.amdhsa_next_free_vgpr 128
		.amdhsa_next_free_sgpr 28
		.amdhsa_reserve_vcc 1
		.amdhsa_reserve_flat_scratch 0
		.amdhsa_float_round_mode_32 0
		.amdhsa_float_round_mode_16_64 0
		.amdhsa_float_denorm_mode_32 3
		.amdhsa_float_denorm_mode_16_64 3
		.amdhsa_dx10_clamp 1
		.amdhsa_ieee_mode 1
		.amdhsa_fp16_overflow 0
		.amdhsa_exception_fp_ieee_invalid_op 0
		.amdhsa_exception_fp_denorm_src 0
		.amdhsa_exception_fp_ieee_div_zero 0
		.amdhsa_exception_fp_ieee_overflow 0
		.amdhsa_exception_fp_ieee_underflow 0
		.amdhsa_exception_fp_ieee_inexact 0
		.amdhsa_exception_int_div_zero 0
	.end_amdhsa_kernel
	.section	.text._ZN9rocsolver6v33100L18getf2_small_kernelILi35E19rocblas_complex_numIdEiiPS3_EEvT1_T3_lS5_lPS5_llPT2_S5_S5_S7_l,"axG",@progbits,_ZN9rocsolver6v33100L18getf2_small_kernelILi35E19rocblas_complex_numIdEiiPS3_EEvT1_T3_lS5_lPS5_llPT2_S5_S5_S7_l,comdat
.Lfunc_end68:
	.size	_ZN9rocsolver6v33100L18getf2_small_kernelILi35E19rocblas_complex_numIdEiiPS3_EEvT1_T3_lS5_lPS5_llPT2_S5_S5_S7_l, .Lfunc_end68-_ZN9rocsolver6v33100L18getf2_small_kernelILi35E19rocblas_complex_numIdEiiPS3_EEvT1_T3_lS5_lPS5_llPT2_S5_S5_S7_l
                                        ; -- End function
	.set _ZN9rocsolver6v33100L18getf2_small_kernelILi35E19rocblas_complex_numIdEiiPS3_EEvT1_T3_lS5_lPS5_llPT2_S5_S5_S7_l.num_vgpr, 128
	.set _ZN9rocsolver6v33100L18getf2_small_kernelILi35E19rocblas_complex_numIdEiiPS3_EEvT1_T3_lS5_lPS5_llPT2_S5_S5_S7_l.num_agpr, 0
	.set _ZN9rocsolver6v33100L18getf2_small_kernelILi35E19rocblas_complex_numIdEiiPS3_EEvT1_T3_lS5_lPS5_llPT2_S5_S5_S7_l.numbered_sgpr, 28
	.set _ZN9rocsolver6v33100L18getf2_small_kernelILi35E19rocblas_complex_numIdEiiPS3_EEvT1_T3_lS5_lPS5_llPT2_S5_S5_S7_l.num_named_barrier, 0
	.set _ZN9rocsolver6v33100L18getf2_small_kernelILi35E19rocblas_complex_numIdEiiPS3_EEvT1_T3_lS5_lPS5_llPT2_S5_S5_S7_l.private_seg_size, 180
	.set _ZN9rocsolver6v33100L18getf2_small_kernelILi35E19rocblas_complex_numIdEiiPS3_EEvT1_T3_lS5_lPS5_llPT2_S5_S5_S7_l.uses_vcc, 1
	.set _ZN9rocsolver6v33100L18getf2_small_kernelILi35E19rocblas_complex_numIdEiiPS3_EEvT1_T3_lS5_lPS5_llPT2_S5_S5_S7_l.uses_flat_scratch, 0
	.set _ZN9rocsolver6v33100L18getf2_small_kernelILi35E19rocblas_complex_numIdEiiPS3_EEvT1_T3_lS5_lPS5_llPT2_S5_S5_S7_l.has_dyn_sized_stack, 0
	.set _ZN9rocsolver6v33100L18getf2_small_kernelILi35E19rocblas_complex_numIdEiiPS3_EEvT1_T3_lS5_lPS5_llPT2_S5_S5_S7_l.has_recursion, 0
	.set _ZN9rocsolver6v33100L18getf2_small_kernelILi35E19rocblas_complex_numIdEiiPS3_EEvT1_T3_lS5_lPS5_llPT2_S5_S5_S7_l.has_indirect_call, 0
	.section	.AMDGPU.csdata,"",@progbits
; Kernel info:
; codeLenInByte = 81152
; TotalNumSgprs: 32
; NumVgprs: 128
; ScratchSize: 180
; MemoryBound: 0
; FloatMode: 240
; IeeeMode: 1
; LDSByteSize: 0 bytes/workgroup (compile time only)
; SGPRBlocks: 3
; VGPRBlocks: 31
; NumSGPRsForWavesPerEU: 32
; NumVGPRsForWavesPerEU: 128
; Occupancy: 2
; WaveLimiterHint : 0
; COMPUTE_PGM_RSRC2:SCRATCH_EN: 1
; COMPUTE_PGM_RSRC2:USER_SGPR: 6
; COMPUTE_PGM_RSRC2:TRAP_HANDLER: 0
; COMPUTE_PGM_RSRC2:TGID_X_EN: 1
; COMPUTE_PGM_RSRC2:TGID_Y_EN: 1
; COMPUTE_PGM_RSRC2:TGID_Z_EN: 0
; COMPUTE_PGM_RSRC2:TIDIG_COMP_CNT: 1
	.section	.text._ZN9rocsolver6v33100L23getf2_npvt_small_kernelILi35E19rocblas_complex_numIdEiiPS3_EEvT1_T3_lS5_lPT2_S5_S5_,"axG",@progbits,_ZN9rocsolver6v33100L23getf2_npvt_small_kernelILi35E19rocblas_complex_numIdEiiPS3_EEvT1_T3_lS5_lPT2_S5_S5_,comdat
	.globl	_ZN9rocsolver6v33100L23getf2_npvt_small_kernelILi35E19rocblas_complex_numIdEiiPS3_EEvT1_T3_lS5_lPT2_S5_S5_ ; -- Begin function _ZN9rocsolver6v33100L23getf2_npvt_small_kernelILi35E19rocblas_complex_numIdEiiPS3_EEvT1_T3_lS5_lPT2_S5_S5_
	.p2align	8
	.type	_ZN9rocsolver6v33100L23getf2_npvt_small_kernelILi35E19rocblas_complex_numIdEiiPS3_EEvT1_T3_lS5_lPT2_S5_S5_,@function
_ZN9rocsolver6v33100L23getf2_npvt_small_kernelILi35E19rocblas_complex_numIdEiiPS3_EEvT1_T3_lS5_lPT2_S5_S5_: ; @_ZN9rocsolver6v33100L23getf2_npvt_small_kernelILi35E19rocblas_complex_numIdEiiPS3_EEvT1_T3_lS5_lPT2_S5_S5_
; %bb.0:
	s_mov_b64 s[22:23], s[2:3]
	s_mov_b64 s[20:21], s[0:1]
	s_load_dword s0, s[4:5], 0x44
	s_load_dwordx2 s[12:13], s[4:5], 0x30
	s_add_u32 s20, s20, s8
	s_addc_u32 s21, s21, 0
	s_waitcnt lgkmcnt(0)
	s_lshr_b32 s2, s0, 16
	s_mul_i32 s7, s7, s2
	v_add_u32_e32 v3, s7, v1
	v_mov_b32_e32 v2, v3
	v_cmp_gt_i32_e32 vcc, s12, v3
	s_and_saveexec_b64 s[0:1], vcc
	s_cbranch_execz .LBB69_318
; %bb.1:
	s_load_dwordx4 s[8:11], s[4:5], 0x20
	s_load_dwordx4 s[16:19], s[4:5], 0x8
	v_ashrrev_i32_e32 v3, 31, v2
	s_mulk_i32 s2, 0x230
	s_waitcnt lgkmcnt(0)
	v_mul_lo_u32 v4, s9, v2
	v_mul_lo_u32 v5, s8, v3
	buffer_store_dword v2, off, s[20:23], 0 offset:944 ; 4-byte Folded Spill
	s_nop 0
	buffer_store_dword v3, off, s[20:23], 0 offset:948 ; 4-byte Folded Spill
	v_mov_b32_e32 v6, s17
	v_mad_u64_u32 v[2:3], s[0:1], s8, v2, 0
	s_load_dword s0, s[4:5], 0x18
	s_lshl_b64 s[4:5], s[18:19], 4
	v_add3_u32 v3, v3, v5, v4
	v_lshlrev_b64 v[2:3], 4, v[2:3]
	v_mov_b32_e32 v4, s5
	v_add_co_u32_e32 v2, vcc, s16, v2
	v_addc_co_u32_e32 v3, vcc, v6, v3, vcc
	v_add_co_u32_e32 v2, vcc, s4, v2
	s_waitcnt lgkmcnt(0)
	s_add_i32 s1, s0, s0
	v_addc_co_u32_e32 v3, vcc, v3, v4, vcc
	v_add_u32_e32 v4, s1, v0
	v_ashrrev_i32_e32 v5, 31, v4
	v_lshlrev_b64 v[5:6], 4, v[4:5]
	v_add_u32_e32 v4, s0, v4
	v_add_co_u32_e32 v91, vcc, v2, v5
	v_ashrrev_i32_e32 v5, 31, v4
	v_addc_co_u32_e32 v92, vcc, v3, v6, vcc
	v_lshlrev_b64 v[5:6], 4, v[4:5]
	v_add_u32_e32 v4, s0, v4
	v_add_co_u32_e32 v7, vcc, v2, v5
	v_ashrrev_i32_e32 v5, 31, v4
	v_addc_co_u32_e32 v8, vcc, v3, v6, vcc
	;; [unrolled: 5-line block ×31, first 2 shown]
	v_lshlrev_b64 v[5:6], 4, v[4:5]
	v_add_u32_e32 v4, s0, v4
	v_add_co_u32_e32 v107, vcc, v2, v5
	v_ashrrev_i32_e32 v5, 31, v4
	v_lshlrev_b64 v[4:5], 4, v[4:5]
	v_addc_co_u32_e32 v108, vcc, v3, v6, vcc
	v_add_co_u32_e32 v109, vcc, v2, v4
	v_addc_co_u32_e32 v110, vcc, v3, v5, vcc
	v_lshlrev_b32_e32 v4, 4, v0
	v_add_co_u32_e32 v4, vcc, v2, v4
	s_ashr_i32 s1, s0, 31
	v_addc_co_u32_e32 v5, vcc, 0, v3, vcc
	s_lshl_b64 s[0:1], s[0:1], 4
	v_mov_b32_e32 v2, s1
	v_add_co_u32_e32 v45, vcc, s0, v4
	v_addc_co_u32_e32 v46, vcc, v5, v2, vcc
	buffer_store_dword v4, off, s[20:23], 0 offset:440 ; 4-byte Folded Spill
	s_nop 0
	buffer_store_dword v5, off, s[20:23], 0 offset:444 ; 4-byte Folded Spill
	s_movk_i32 s0, 0x230
	s_add_i32 s1, s2, 0
	v_mad_u32_u24 v125, v1, s0, 0
	v_lshl_add_u32 v127, v1, 4, s1
	v_cmp_ne_u32_e64 s[2:3], 0, v0
	v_cmp_eq_u32_e64 s[0:1], 0, v0
	global_load_dwordx4 v[1:4], v[4:5], off
	s_waitcnt vmcnt(0)
	buffer_store_dword v1, off, s[20:23], 0 offset:176 ; 4-byte Folded Spill
	s_nop 0
	buffer_store_dword v2, off, s[20:23], 0 offset:180 ; 4-byte Folded Spill
	buffer_store_dword v3, off, s[20:23], 0 offset:184 ; 4-byte Folded Spill
	;; [unrolled: 1-line block ×4, first 2 shown]
	s_nop 0
	buffer_store_dword v46, off, s[20:23], 0 offset:452 ; 4-byte Folded Spill
	global_load_dwordx4 v[1:4], v[45:46], off
	s_waitcnt vmcnt(0)
	buffer_store_dword v1, off, s[20:23], 0 offset:160 ; 4-byte Folded Spill
	s_nop 0
	buffer_store_dword v2, off, s[20:23], 0 offset:164 ; 4-byte Folded Spill
	buffer_store_dword v3, off, s[20:23], 0 offset:168 ; 4-byte Folded Spill
	;; [unrolled: 1-line block ×3, first 2 shown]
	global_load_dwordx4 v[1:4], v[91:92], off
	s_waitcnt vmcnt(0)
	buffer_store_dword v1, off, s[20:23], 0 offset:144 ; 4-byte Folded Spill
	s_nop 0
	buffer_store_dword v2, off, s[20:23], 0 offset:148 ; 4-byte Folded Spill
	buffer_store_dword v3, off, s[20:23], 0 offset:152 ; 4-byte Folded Spill
	buffer_store_dword v4, off, s[20:23], 0 offset:156 ; 4-byte Folded Spill
	buffer_store_dword v7, off, s[20:23], 0 offset:192 ; 4-byte Folded Spill
	s_nop 0
	buffer_store_dword v8, off, s[20:23], 0 offset:196 ; 4-byte Folded Spill
	global_load_dwordx4 v[1:4], v[7:8], off
	s_waitcnt vmcnt(0)
	buffer_store_dword v1, off, s[20:23], 0 offset:128 ; 4-byte Folded Spill
	s_nop 0
	buffer_store_dword v2, off, s[20:23], 0 offset:132 ; 4-byte Folded Spill
	buffer_store_dword v3, off, s[20:23], 0 offset:136 ; 4-byte Folded Spill
	buffer_store_dword v4, off, s[20:23], 0 offset:140 ; 4-byte Folded Spill
	buffer_store_dword v47, off, s[20:23], 0 offset:936 ; 4-byte Folded Spill
	s_nop 0
	buffer_store_dword v48, off, s[20:23], 0 offset:940 ; 4-byte Folded Spill
	;; [unrolled: 10-line block ×9, first 2 shown]
	global_load_dwordx4 v[1:4], v[21:22], off
	s_waitcnt vmcnt(0)
	buffer_store_dword v1, off, s[20:23], 0 ; 4-byte Folded Spill
	s_nop 0
	buffer_store_dword v2, off, s[20:23], 0 offset:4 ; 4-byte Folded Spill
	buffer_store_dword v3, off, s[20:23], 0 offset:8 ; 4-byte Folded Spill
	;; [unrolled: 1-line block ×4, first 2 shown]
	s_nop 0
	buffer_store_dword v24, off, s[20:23], 0 offset:260 ; 4-byte Folded Spill
	global_load_dwordx4 v[113:116], v[23:24], off
	s_nop 0
	buffer_store_dword v25, off, s[20:23], 0 offset:264 ; 4-byte Folded Spill
	s_nop 0
	buffer_store_dword v26, off, s[20:23], 0 offset:268 ; 4-byte Folded Spill
	global_load_dwordx4 v[1:4], v[25:26], off
	s_nop 0
	buffer_store_dword v27, off, s[20:23], 0 offset:272 ; 4-byte Folded Spill
	s_nop 0
	buffer_store_dword v28, off, s[20:23], 0 offset:276 ; 4-byte Folded Spill
	global_load_dwordx4 v[5:8], v[27:28], off
	s_nop 0
	buffer_store_dword v29, off, s[20:23], 0 offset:280 ; 4-byte Folded Spill
	s_nop 0
	buffer_store_dword v30, off, s[20:23], 0 offset:284 ; 4-byte Folded Spill
	global_load_dwordx4 v[73:76], v[29:30], off
	s_nop 0
	buffer_store_dword v31, off, s[20:23], 0 offset:288 ; 4-byte Folded Spill
	s_nop 0
	buffer_store_dword v32, off, s[20:23], 0 offset:292 ; 4-byte Folded Spill
	global_load_dwordx4 v[69:72], v[31:32], off
	s_nop 0
	buffer_store_dword v33, off, s[20:23], 0 offset:296 ; 4-byte Folded Spill
	s_nop 0
	buffer_store_dword v34, off, s[20:23], 0 offset:300 ; 4-byte Folded Spill
	global_load_dwordx4 v[65:68], v[33:34], off
	s_nop 0
	buffer_store_dword v35, off, s[20:23], 0 offset:304 ; 4-byte Folded Spill
	s_nop 0
	buffer_store_dword v36, off, s[20:23], 0 offset:308 ; 4-byte Folded Spill
	global_load_dwordx4 v[61:64], v[35:36], off
	s_nop 0
	buffer_store_dword v37, off, s[20:23], 0 offset:312 ; 4-byte Folded Spill
	s_nop 0
	buffer_store_dword v38, off, s[20:23], 0 offset:316 ; 4-byte Folded Spill
	global_load_dwordx4 v[57:60], v[37:38], off
	s_nop 0
	buffer_store_dword v39, off, s[20:23], 0 offset:320 ; 4-byte Folded Spill
	s_nop 0
	buffer_store_dword v40, off, s[20:23], 0 offset:324 ; 4-byte Folded Spill
	global_load_dwordx4 v[53:56], v[39:40], off
	s_nop 0
	buffer_store_dword v41, off, s[20:23], 0 offset:328 ; 4-byte Folded Spill
	s_nop 0
	buffer_store_dword v42, off, s[20:23], 0 offset:332 ; 4-byte Folded Spill
	global_load_dwordx4 v[49:52], v[41:42], off
	s_nop 0
	buffer_store_dword v43, off, s[20:23], 0 offset:336 ; 4-byte Folded Spill
	s_nop 0
	buffer_store_dword v44, off, s[20:23], 0 offset:340 ; 4-byte Folded Spill
	global_load_dwordx4 v[45:48], v[43:44], off
	s_nop 0
	buffer_store_dword v77, off, s[20:23], 0 offset:432 ; 4-byte Folded Spill
	s_nop 0
	buffer_store_dword v78, off, s[20:23], 0 offset:436 ; 4-byte Folded Spill
	global_load_dwordx4 v[41:44], v[77:78], off
	s_nop 0
	buffer_store_dword v81, off, s[20:23], 0 offset:344 ; 4-byte Folded Spill
	s_nop 0
	buffer_store_dword v82, off, s[20:23], 0 offset:348 ; 4-byte Folded Spill
	s_waitcnt vmcnt(29)
	v_mov_b32_e32 v80, v8
	v_mov_b32_e32 v79, v7
	;; [unrolled: 1-line block ×4, first 2 shown]
	global_load_dwordx4 v[37:40], v[81:82], off
	s_nop 0
	buffer_store_dword v89, off, s[20:23], 0 offset:352 ; 4-byte Folded Spill
	s_nop 0
	buffer_store_dword v90, off, s[20:23], 0 offset:356 ; 4-byte Folded Spill
	global_load_dwordx4 v[33:36], v[89:90], off
	s_nop 0
	buffer_store_dword v93, off, s[20:23], 0 offset:360 ; 4-byte Folded Spill
	s_nop 0
	buffer_store_dword v94, off, s[20:23], 0 offset:364 ; 4-byte Folded Spill
	;; [unrolled: 5-line block ×4, first 2 shown]
	v_mov_b32_e32 v96, v4
	v_mov_b32_e32 v95, v3
	;; [unrolled: 1-line block ×4, first 2 shown]
	global_load_dwordx4 v[21:24], v[97:98], off
	s_nop 0
	buffer_store_dword v99, off, s[20:23], 0 offset:384 ; 4-byte Folded Spill
	s_nop 0
	buffer_store_dword v100, off, s[20:23], 0 offset:388 ; 4-byte Folded Spill
	global_load_dwordx4 v[17:20], v[99:100], off
	s_nop 0
	buffer_store_dword v101, off, s[20:23], 0 offset:392 ; 4-byte Folded Spill
	s_nop 0
	buffer_store_dword v102, off, s[20:23], 0 offset:396 ; 4-byte Folded Spill
	;; [unrolled: 5-line block ×6, first 2 shown]
	global_load_dwordx4 v[121:124], v[109:110], off
	s_and_saveexec_b64 s[6:7], s[0:1]
	s_cbranch_execz .LBB69_8
; %bb.2:
	buffer_load_dword v97, off, s[20:23], 0 offset:176 ; 4-byte Folded Reload
	buffer_load_dword v98, off, s[20:23], 0 offset:180 ; 4-byte Folded Reload
	;; [unrolled: 1-line block ×4, first 2 shown]
	s_waitcnt vmcnt(0)
	ds_write2_b64 v127, v[97:98], v[99:100] offset1:1
	buffer_load_dword v97, off, s[20:23], 0 offset:160 ; 4-byte Folded Reload
	buffer_load_dword v98, off, s[20:23], 0 offset:164 ; 4-byte Folded Reload
	buffer_load_dword v99, off, s[20:23], 0 offset:168 ; 4-byte Folded Reload
	buffer_load_dword v100, off, s[20:23], 0 offset:172 ; 4-byte Folded Reload
	s_waitcnt vmcnt(0)
	ds_write2_b64 v125, v[97:98], v[99:100] offset0:2 offset1:3
	buffer_load_dword v97, off, s[20:23], 0 offset:144 ; 4-byte Folded Reload
	buffer_load_dword v98, off, s[20:23], 0 offset:148 ; 4-byte Folded Reload
	buffer_load_dword v99, off, s[20:23], 0 offset:152 ; 4-byte Folded Reload
	buffer_load_dword v100, off, s[20:23], 0 offset:156 ; 4-byte Folded Reload
	s_waitcnt vmcnt(0)
	ds_write2_b64 v125, v[97:98], v[99:100] offset0:4 offset1:5
	;; [unrolled: 6-line block ×10, first 2 shown]
	buffer_load_dword v81, off, s[20:23], 0 ; 4-byte Folded Reload
	buffer_load_dword v82, off, s[20:23], 0 offset:4 ; 4-byte Folded Reload
	buffer_load_dword v83, off, s[20:23], 0 offset:8 ; 4-byte Folded Reload
	;; [unrolled: 1-line block ×3, first 2 shown]
	s_waitcnt vmcnt(0)
	ds_write2_b64 v125, v[81:82], v[83:84] offset0:22 offset1:23
	ds_write2_b64 v125, v[113:114], v[115:116] offset0:24 offset1:25
	;; [unrolled: 1-line block ×24, first 2 shown]
	ds_read2_b64 v[97:100], v127 offset1:1
	s_waitcnt lgkmcnt(0)
	v_cmp_neq_f64_e32 vcc, 0, v[97:98]
	v_cmp_neq_f64_e64 s[4:5], 0, v[99:100]
	s_or_b64 s[4:5], vcc, s[4:5]
	s_and_b64 exec, exec, s[4:5]
	s_cbranch_execz .LBB69_8
; %bb.3:
	v_cmp_ngt_f64_e64 s[4:5], |v[97:98]|, |v[99:100]|
                                        ; implicit-def: $vgpr101_vgpr102
	s_and_saveexec_b64 s[8:9], s[4:5]
	s_xor_b64 s[4:5], exec, s[8:9]
                                        ; implicit-def: $vgpr103_vgpr104
	s_cbranch_execz .LBB69_5
; %bb.4:
	v_div_scale_f64 v[101:102], s[8:9], v[99:100], v[99:100], v[97:98]
	v_rcp_f64_e32 v[103:104], v[101:102]
	v_fma_f64 v[105:106], -v[101:102], v[103:104], 1.0
	v_fma_f64 v[103:104], v[103:104], v[105:106], v[103:104]
	v_div_scale_f64 v[105:106], vcc, v[97:98], v[99:100], v[97:98]
	v_fma_f64 v[107:108], -v[101:102], v[103:104], 1.0
	v_fma_f64 v[103:104], v[103:104], v[107:108], v[103:104]
	v_mul_f64 v[107:108], v[105:106], v[103:104]
	v_fma_f64 v[101:102], -v[101:102], v[107:108], v[105:106]
	v_div_fmas_f64 v[101:102], v[101:102], v[103:104], v[107:108]
	v_div_fixup_f64 v[101:102], v[101:102], v[99:100], v[97:98]
	v_fma_f64 v[97:98], v[97:98], v[101:102], v[99:100]
	v_div_scale_f64 v[99:100], s[8:9], v[97:98], v[97:98], 1.0
	v_div_scale_f64 v[107:108], vcc, 1.0, v[97:98], 1.0
	v_rcp_f64_e32 v[103:104], v[99:100]
	v_fma_f64 v[105:106], -v[99:100], v[103:104], 1.0
	v_fma_f64 v[103:104], v[103:104], v[105:106], v[103:104]
	v_fma_f64 v[105:106], -v[99:100], v[103:104], 1.0
	v_fma_f64 v[103:104], v[103:104], v[105:106], v[103:104]
	v_mul_f64 v[105:106], v[107:108], v[103:104]
	v_fma_f64 v[99:100], -v[99:100], v[105:106], v[107:108]
	v_div_fmas_f64 v[99:100], v[99:100], v[103:104], v[105:106]
	v_div_fixup_f64 v[103:104], v[99:100], v[97:98], 1.0
                                        ; implicit-def: $vgpr97_vgpr98
	v_mul_f64 v[101:102], v[101:102], v[103:104]
	v_xor_b32_e32 v104, 0x80000000, v104
.LBB69_5:
	s_andn2_saveexec_b64 s[4:5], s[4:5]
	s_cbranch_execz .LBB69_7
; %bb.6:
	v_div_scale_f64 v[101:102], s[8:9], v[97:98], v[97:98], v[99:100]
	v_rcp_f64_e32 v[103:104], v[101:102]
	v_fma_f64 v[105:106], -v[101:102], v[103:104], 1.0
	v_fma_f64 v[103:104], v[103:104], v[105:106], v[103:104]
	v_div_scale_f64 v[105:106], vcc, v[99:100], v[97:98], v[99:100]
	v_fma_f64 v[107:108], -v[101:102], v[103:104], 1.0
	v_fma_f64 v[103:104], v[103:104], v[107:108], v[103:104]
	v_mul_f64 v[107:108], v[105:106], v[103:104]
	v_fma_f64 v[101:102], -v[101:102], v[107:108], v[105:106]
	v_div_fmas_f64 v[101:102], v[101:102], v[103:104], v[107:108]
	v_div_fixup_f64 v[103:104], v[101:102], v[97:98], v[99:100]
	v_fma_f64 v[97:98], v[99:100], v[103:104], v[97:98]
	v_div_scale_f64 v[99:100], s[8:9], v[97:98], v[97:98], 1.0
	v_div_scale_f64 v[107:108], vcc, 1.0, v[97:98], 1.0
	v_rcp_f64_e32 v[101:102], v[99:100]
	v_fma_f64 v[105:106], -v[99:100], v[101:102], 1.0
	v_fma_f64 v[101:102], v[101:102], v[105:106], v[101:102]
	v_fma_f64 v[105:106], -v[99:100], v[101:102], 1.0
	v_fma_f64 v[101:102], v[101:102], v[105:106], v[101:102]
	v_mul_f64 v[105:106], v[107:108], v[101:102]
	v_fma_f64 v[99:100], -v[99:100], v[105:106], v[107:108]
	v_div_fmas_f64 v[99:100], v[99:100], v[101:102], v[105:106]
	v_div_fixup_f64 v[101:102], v[99:100], v[97:98], 1.0
	v_mul_f64 v[103:104], v[103:104], -v[101:102]
.LBB69_7:
	s_or_b64 exec, exec, s[4:5]
	ds_write2_b64 v127, v[101:102], v[103:104] offset1:1
.LBB69_8:
	s_or_b64 exec, exec, s[6:7]
	s_waitcnt vmcnt(0) lgkmcnt(0)
	s_barrier
	ds_read2_b64 v[97:100], v127 offset1:1
	s_waitcnt lgkmcnt(0)
	buffer_store_dword v97, off, s[20:23], 0 offset:456 ; 4-byte Folded Spill
	s_nop 0
	buffer_store_dword v98, off, s[20:23], 0 offset:460 ; 4-byte Folded Spill
	buffer_store_dword v99, off, s[20:23], 0 offset:464 ; 4-byte Folded Spill
	;; [unrolled: 1-line block ×3, first 2 shown]
	s_and_saveexec_b64 s[4:5], s[2:3]
	s_cbranch_execz .LBB69_10
; %bb.9:
	buffer_load_dword v117, off, s[20:23], 0 offset:176 ; 4-byte Folded Reload
	buffer_load_dword v118, off, s[20:23], 0 offset:180 ; 4-byte Folded Reload
	;; [unrolled: 1-line block ×8, first 2 shown]
	s_waitcnt vmcnt(0)
	v_mul_f64 v[97:98], v[101:102], v[119:120]
	v_fma_f64 v[97:98], v[99:100], v[117:118], -v[97:98]
	v_mul_f64 v[99:100], v[99:100], v[119:120]
	v_fma_f64 v[119:120], v[101:102], v[117:118], v[99:100]
	ds_read2_b64 v[99:102], v125 offset0:2 offset1:3
	buffer_load_dword v105, off, s[20:23], 0 offset:160 ; 4-byte Folded Reload
	buffer_load_dword v106, off, s[20:23], 0 offset:164 ; 4-byte Folded Reload
	;; [unrolled: 1-line block ×4, first 2 shown]
	v_mov_b32_e32 v118, v98
	v_mov_b32_e32 v117, v97
	s_waitcnt lgkmcnt(0)
	v_mul_f64 v[103:104], v[101:102], v[119:120]
	v_fma_f64 v[103:104], v[99:100], v[97:98], -v[103:104]
	v_mul_f64 v[99:100], v[99:100], v[119:120]
	v_fma_f64 v[99:100], v[101:102], v[97:98], v[99:100]
	s_waitcnt vmcnt(2)
	v_add_f64 v[105:106], v[105:106], -v[103:104]
	s_waitcnt vmcnt(0)
	v_add_f64 v[107:108], v[107:108], -v[99:100]
	buffer_store_dword v105, off, s[20:23], 0 offset:160 ; 4-byte Folded Spill
	s_nop 0
	buffer_store_dword v106, off, s[20:23], 0 offset:164 ; 4-byte Folded Spill
	buffer_store_dword v107, off, s[20:23], 0 offset:168 ; 4-byte Folded Spill
	buffer_store_dword v108, off, s[20:23], 0 offset:172 ; 4-byte Folded Spill
	ds_read2_b64 v[99:102], v125 offset0:4 offset1:5
	buffer_load_dword v105, off, s[20:23], 0 offset:144 ; 4-byte Folded Reload
	buffer_load_dword v106, off, s[20:23], 0 offset:148 ; 4-byte Folded Reload
	buffer_load_dword v107, off, s[20:23], 0 offset:152 ; 4-byte Folded Reload
	buffer_load_dword v108, off, s[20:23], 0 offset:156 ; 4-byte Folded Reload
	s_waitcnt lgkmcnt(0)
	v_mul_f64 v[103:104], v[101:102], v[119:120]
	v_fma_f64 v[103:104], v[99:100], v[97:98], -v[103:104]
	v_mul_f64 v[99:100], v[99:100], v[119:120]
	v_fma_f64 v[99:100], v[101:102], v[97:98], v[99:100]
	s_waitcnt vmcnt(2)
	v_add_f64 v[105:106], v[105:106], -v[103:104]
	s_waitcnt vmcnt(0)
	v_add_f64 v[107:108], v[107:108], -v[99:100]
	buffer_store_dword v105, off, s[20:23], 0 offset:144 ; 4-byte Folded Spill
	s_nop 0
	buffer_store_dword v106, off, s[20:23], 0 offset:148 ; 4-byte Folded Spill
	buffer_store_dword v107, off, s[20:23], 0 offset:152 ; 4-byte Folded Spill
	buffer_store_dword v108, off, s[20:23], 0 offset:156 ; 4-byte Folded Spill
	ds_read2_b64 v[99:102], v125 offset0:6 offset1:7
	buffer_load_dword v105, off, s[20:23], 0 offset:128 ; 4-byte Folded Reload
	buffer_load_dword v106, off, s[20:23], 0 offset:132 ; 4-byte Folded Reload
	buffer_load_dword v107, off, s[20:23], 0 offset:136 ; 4-byte Folded Reload
	buffer_load_dword v108, off, s[20:23], 0 offset:140 ; 4-byte Folded Reload
	;; [unrolled: 19-line block ×9, first 2 shown]
	s_waitcnt lgkmcnt(0)
	v_mul_f64 v[103:104], v[101:102], v[119:120]
	v_fma_f64 v[103:104], v[99:100], v[97:98], -v[103:104]
	v_mul_f64 v[99:100], v[99:100], v[119:120]
	v_fma_f64 v[99:100], v[101:102], v[97:98], v[99:100]
	s_waitcnt vmcnt(2)
	v_add_f64 v[81:82], v[81:82], -v[103:104]
	s_waitcnt vmcnt(0)
	v_add_f64 v[83:84], v[83:84], -v[99:100]
	buffer_store_dword v81, off, s[20:23], 0 offset:16 ; 4-byte Folded Spill
	s_nop 0
	buffer_store_dword v82, off, s[20:23], 0 offset:20 ; 4-byte Folded Spill
	buffer_store_dword v83, off, s[20:23], 0 offset:24 ; 4-byte Folded Spill
	;; [unrolled: 1-line block ×3, first 2 shown]
	ds_read2_b64 v[99:102], v125 offset0:22 offset1:23
	buffer_load_dword v81, off, s[20:23], 0 ; 4-byte Folded Reload
	buffer_load_dword v82, off, s[20:23], 0 offset:4 ; 4-byte Folded Reload
	buffer_load_dword v83, off, s[20:23], 0 offset:8 ; 4-byte Folded Reload
	;; [unrolled: 1-line block ×3, first 2 shown]
	s_waitcnt lgkmcnt(0)
	v_mul_f64 v[103:104], v[101:102], v[119:120]
	v_fma_f64 v[103:104], v[99:100], v[97:98], -v[103:104]
	v_mul_f64 v[99:100], v[99:100], v[119:120]
	v_fma_f64 v[99:100], v[101:102], v[97:98], v[99:100]
	s_waitcnt vmcnt(2)
	v_add_f64 v[81:82], v[81:82], -v[103:104]
	s_waitcnt vmcnt(0)
	v_add_f64 v[83:84], v[83:84], -v[99:100]
	buffer_store_dword v81, off, s[20:23], 0 ; 4-byte Folded Spill
	s_nop 0
	buffer_store_dword v82, off, s[20:23], 0 offset:4 ; 4-byte Folded Spill
	buffer_store_dword v83, off, s[20:23], 0 offset:8 ; 4-byte Folded Spill
	;; [unrolled: 1-line block ×3, first 2 shown]
	ds_read2_b64 v[99:102], v125 offset0:24 offset1:25
	s_waitcnt lgkmcnt(0)
	v_mul_f64 v[103:104], v[101:102], v[119:120]
	v_fma_f64 v[103:104], v[99:100], v[97:98], -v[103:104]
	v_mul_f64 v[99:100], v[99:100], v[119:120]
	v_add_f64 v[113:114], v[113:114], -v[103:104]
	v_fma_f64 v[99:100], v[101:102], v[97:98], v[99:100]
	v_add_f64 v[115:116], v[115:116], -v[99:100]
	ds_read2_b64 v[99:102], v125 offset0:26 offset1:27
	s_waitcnt lgkmcnt(0)
	v_mul_f64 v[103:104], v[101:102], v[119:120]
	v_fma_f64 v[103:104], v[99:100], v[97:98], -v[103:104]
	v_mul_f64 v[99:100], v[99:100], v[119:120]
	v_add_f64 v[93:94], v[93:94], -v[103:104]
	v_fma_f64 v[99:100], v[101:102], v[97:98], v[99:100]
	v_add_f64 v[95:96], v[95:96], -v[99:100]
	;; [unrolled: 8-line block ×22, first 2 shown]
	ds_read2_b64 v[99:102], v125 offset0:68 offset1:69
	s_waitcnt lgkmcnt(0)
	v_mul_f64 v[103:104], v[101:102], v[119:120]
	v_fma_f64 v[103:104], v[99:100], v[97:98], -v[103:104]
	v_mul_f64 v[99:100], v[99:100], v[119:120]
	buffer_store_dword v117, off, s[20:23], 0 offset:176 ; 4-byte Folded Spill
	s_nop 0
	buffer_store_dword v118, off, s[20:23], 0 offset:180 ; 4-byte Folded Spill
	buffer_store_dword v119, off, s[20:23], 0 offset:184 ; 4-byte Folded Spill
	;; [unrolled: 1-line block ×3, first 2 shown]
	v_add_f64 v[121:122], v[121:122], -v[103:104]
	v_fma_f64 v[99:100], v[101:102], v[97:98], v[99:100]
	v_add_f64 v[123:124], v[123:124], -v[99:100]
.LBB69_10:
	s_or_b64 exec, exec, s[4:5]
	v_cmp_eq_u32_e32 vcc, 1, v0
	s_waitcnt vmcnt(0)
	s_barrier
	s_and_saveexec_b64 s[4:5], vcc
	s_cbranch_execz .LBB69_17
; %bb.11:
	buffer_load_dword v97, off, s[20:23], 0 offset:160 ; 4-byte Folded Reload
	buffer_load_dword v98, off, s[20:23], 0 offset:164 ; 4-byte Folded Reload
	;; [unrolled: 1-line block ×4, first 2 shown]
	s_waitcnt vmcnt(0)
	ds_write2_b64 v127, v[97:98], v[99:100] offset1:1
	buffer_load_dword v97, off, s[20:23], 0 offset:144 ; 4-byte Folded Reload
	buffer_load_dword v98, off, s[20:23], 0 offset:148 ; 4-byte Folded Reload
	buffer_load_dword v99, off, s[20:23], 0 offset:152 ; 4-byte Folded Reload
	buffer_load_dword v100, off, s[20:23], 0 offset:156 ; 4-byte Folded Reload
	s_waitcnt vmcnt(0)
	ds_write2_b64 v125, v[97:98], v[99:100] offset0:4 offset1:5
	buffer_load_dword v97, off, s[20:23], 0 offset:128 ; 4-byte Folded Reload
	buffer_load_dword v98, off, s[20:23], 0 offset:132 ; 4-byte Folded Reload
	buffer_load_dword v99, off, s[20:23], 0 offset:136 ; 4-byte Folded Reload
	buffer_load_dword v100, off, s[20:23], 0 offset:140 ; 4-byte Folded Reload
	s_waitcnt vmcnt(0)
	ds_write2_b64 v125, v[97:98], v[99:100] offset0:6 offset1:7
	;; [unrolled: 6-line block ×9, first 2 shown]
	buffer_load_dword v81, off, s[20:23], 0 ; 4-byte Folded Reload
	buffer_load_dword v82, off, s[20:23], 0 offset:4 ; 4-byte Folded Reload
	buffer_load_dword v83, off, s[20:23], 0 offset:8 ; 4-byte Folded Reload
	;; [unrolled: 1-line block ×3, first 2 shown]
	s_waitcnt vmcnt(0)
	ds_write2_b64 v125, v[81:82], v[83:84] offset0:22 offset1:23
	ds_write2_b64 v125, v[113:114], v[115:116] offset0:24 offset1:25
	;; [unrolled: 1-line block ×24, first 2 shown]
	ds_read2_b64 v[97:100], v127 offset1:1
	s_waitcnt lgkmcnt(0)
	v_cmp_neq_f64_e32 vcc, 0, v[97:98]
	v_cmp_neq_f64_e64 s[2:3], 0, v[99:100]
	s_or_b64 s[2:3], vcc, s[2:3]
	s_and_b64 exec, exec, s[2:3]
	s_cbranch_execz .LBB69_17
; %bb.12:
	v_cmp_ngt_f64_e64 s[2:3], |v[97:98]|, |v[99:100]|
                                        ; implicit-def: $vgpr101_vgpr102
	s_and_saveexec_b64 s[6:7], s[2:3]
	s_xor_b64 s[2:3], exec, s[6:7]
                                        ; implicit-def: $vgpr103_vgpr104
	s_cbranch_execz .LBB69_14
; %bb.13:
	v_div_scale_f64 v[101:102], s[6:7], v[99:100], v[99:100], v[97:98]
	v_rcp_f64_e32 v[103:104], v[101:102]
	v_fma_f64 v[105:106], -v[101:102], v[103:104], 1.0
	v_fma_f64 v[103:104], v[103:104], v[105:106], v[103:104]
	v_div_scale_f64 v[105:106], vcc, v[97:98], v[99:100], v[97:98]
	v_fma_f64 v[107:108], -v[101:102], v[103:104], 1.0
	v_fma_f64 v[103:104], v[103:104], v[107:108], v[103:104]
	v_mul_f64 v[107:108], v[105:106], v[103:104]
	v_fma_f64 v[101:102], -v[101:102], v[107:108], v[105:106]
	v_div_fmas_f64 v[101:102], v[101:102], v[103:104], v[107:108]
	v_div_fixup_f64 v[101:102], v[101:102], v[99:100], v[97:98]
	v_fma_f64 v[97:98], v[97:98], v[101:102], v[99:100]
	v_div_scale_f64 v[99:100], s[6:7], v[97:98], v[97:98], 1.0
	v_div_scale_f64 v[107:108], vcc, 1.0, v[97:98], 1.0
	v_rcp_f64_e32 v[103:104], v[99:100]
	v_fma_f64 v[105:106], -v[99:100], v[103:104], 1.0
	v_fma_f64 v[103:104], v[103:104], v[105:106], v[103:104]
	v_fma_f64 v[105:106], -v[99:100], v[103:104], 1.0
	v_fma_f64 v[103:104], v[103:104], v[105:106], v[103:104]
	v_mul_f64 v[105:106], v[107:108], v[103:104]
	v_fma_f64 v[99:100], -v[99:100], v[105:106], v[107:108]
	v_div_fmas_f64 v[99:100], v[99:100], v[103:104], v[105:106]
	v_div_fixup_f64 v[103:104], v[99:100], v[97:98], 1.0
                                        ; implicit-def: $vgpr97_vgpr98
	v_mul_f64 v[101:102], v[101:102], v[103:104]
	v_xor_b32_e32 v104, 0x80000000, v104
.LBB69_14:
	s_andn2_saveexec_b64 s[2:3], s[2:3]
	s_cbranch_execz .LBB69_16
; %bb.15:
	v_div_scale_f64 v[101:102], s[6:7], v[97:98], v[97:98], v[99:100]
	v_rcp_f64_e32 v[103:104], v[101:102]
	v_fma_f64 v[105:106], -v[101:102], v[103:104], 1.0
	v_fma_f64 v[103:104], v[103:104], v[105:106], v[103:104]
	v_div_scale_f64 v[105:106], vcc, v[99:100], v[97:98], v[99:100]
	v_fma_f64 v[107:108], -v[101:102], v[103:104], 1.0
	v_fma_f64 v[103:104], v[103:104], v[107:108], v[103:104]
	v_mul_f64 v[107:108], v[105:106], v[103:104]
	v_fma_f64 v[101:102], -v[101:102], v[107:108], v[105:106]
	v_div_fmas_f64 v[101:102], v[101:102], v[103:104], v[107:108]
	v_div_fixup_f64 v[103:104], v[101:102], v[97:98], v[99:100]
	v_fma_f64 v[97:98], v[99:100], v[103:104], v[97:98]
	v_div_scale_f64 v[99:100], s[6:7], v[97:98], v[97:98], 1.0
	v_div_scale_f64 v[107:108], vcc, 1.0, v[97:98], 1.0
	v_rcp_f64_e32 v[101:102], v[99:100]
	v_fma_f64 v[105:106], -v[99:100], v[101:102], 1.0
	v_fma_f64 v[101:102], v[101:102], v[105:106], v[101:102]
	v_fma_f64 v[105:106], -v[99:100], v[101:102], 1.0
	v_fma_f64 v[101:102], v[101:102], v[105:106], v[101:102]
	v_mul_f64 v[105:106], v[107:108], v[101:102]
	v_fma_f64 v[99:100], -v[99:100], v[105:106], v[107:108]
	v_div_fmas_f64 v[99:100], v[99:100], v[101:102], v[105:106]
	v_div_fixup_f64 v[101:102], v[99:100], v[97:98], 1.0
	v_mul_f64 v[103:104], v[103:104], -v[101:102]
.LBB69_16:
	s_or_b64 exec, exec, s[2:3]
	ds_write2_b64 v127, v[101:102], v[103:104] offset1:1
.LBB69_17:
	s_or_b64 exec, exec, s[4:5]
	s_waitcnt lgkmcnt(0)
	s_barrier
	ds_read2_b64 v[97:100], v127 offset1:1
	v_cmp_lt_u32_e32 vcc, 1, v0
	s_waitcnt lgkmcnt(0)
	buffer_store_dword v97, off, s[20:23], 0 offset:472 ; 4-byte Folded Spill
	s_nop 0
	buffer_store_dword v98, off, s[20:23], 0 offset:476 ; 4-byte Folded Spill
	buffer_store_dword v99, off, s[20:23], 0 offset:480 ; 4-byte Folded Spill
	;; [unrolled: 1-line block ×3, first 2 shown]
	s_and_saveexec_b64 s[2:3], vcc
	s_cbranch_execz .LBB69_19
; %bb.18:
	buffer_load_dword v117, off, s[20:23], 0 offset:160 ; 4-byte Folded Reload
	buffer_load_dword v118, off, s[20:23], 0 offset:164 ; 4-byte Folded Reload
	;; [unrolled: 1-line block ×8, first 2 shown]
	s_waitcnt vmcnt(0)
	v_mul_f64 v[97:98], v[101:102], v[119:120]
	v_fma_f64 v[97:98], v[99:100], v[117:118], -v[97:98]
	v_mul_f64 v[99:100], v[99:100], v[119:120]
	v_fma_f64 v[119:120], v[101:102], v[117:118], v[99:100]
	ds_read2_b64 v[99:102], v125 offset0:4 offset1:5
	buffer_load_dword v105, off, s[20:23], 0 offset:144 ; 4-byte Folded Reload
	buffer_load_dword v106, off, s[20:23], 0 offset:148 ; 4-byte Folded Reload
	buffer_load_dword v107, off, s[20:23], 0 offset:152 ; 4-byte Folded Reload
	buffer_load_dword v108, off, s[20:23], 0 offset:156 ; 4-byte Folded Reload
	v_mov_b32_e32 v118, v98
	v_mov_b32_e32 v117, v97
	s_waitcnt lgkmcnt(0)
	v_mul_f64 v[103:104], v[101:102], v[119:120]
	v_fma_f64 v[103:104], v[99:100], v[97:98], -v[103:104]
	v_mul_f64 v[99:100], v[99:100], v[119:120]
	v_fma_f64 v[99:100], v[101:102], v[97:98], v[99:100]
	s_waitcnt vmcnt(2)
	v_add_f64 v[105:106], v[105:106], -v[103:104]
	s_waitcnt vmcnt(0)
	v_add_f64 v[107:108], v[107:108], -v[99:100]
	buffer_store_dword v105, off, s[20:23], 0 offset:144 ; 4-byte Folded Spill
	s_nop 0
	buffer_store_dword v106, off, s[20:23], 0 offset:148 ; 4-byte Folded Spill
	buffer_store_dword v107, off, s[20:23], 0 offset:152 ; 4-byte Folded Spill
	buffer_store_dword v108, off, s[20:23], 0 offset:156 ; 4-byte Folded Spill
	ds_read2_b64 v[99:102], v125 offset0:6 offset1:7
	buffer_load_dword v105, off, s[20:23], 0 offset:128 ; 4-byte Folded Reload
	buffer_load_dword v106, off, s[20:23], 0 offset:132 ; 4-byte Folded Reload
	buffer_load_dword v107, off, s[20:23], 0 offset:136 ; 4-byte Folded Reload
	buffer_load_dword v108, off, s[20:23], 0 offset:140 ; 4-byte Folded Reload
	s_waitcnt lgkmcnt(0)
	v_mul_f64 v[103:104], v[101:102], v[119:120]
	v_fma_f64 v[103:104], v[99:100], v[97:98], -v[103:104]
	v_mul_f64 v[99:100], v[99:100], v[119:120]
	v_fma_f64 v[99:100], v[101:102], v[97:98], v[99:100]
	s_waitcnt vmcnt(2)
	v_add_f64 v[105:106], v[105:106], -v[103:104]
	s_waitcnt vmcnt(0)
	v_add_f64 v[107:108], v[107:108], -v[99:100]
	buffer_store_dword v105, off, s[20:23], 0 offset:128 ; 4-byte Folded Spill
	s_nop 0
	buffer_store_dword v106, off, s[20:23], 0 offset:132 ; 4-byte Folded Spill
	buffer_store_dword v107, off, s[20:23], 0 offset:136 ; 4-byte Folded Spill
	buffer_store_dword v108, off, s[20:23], 0 offset:140 ; 4-byte Folded Spill
	ds_read2_b64 v[99:102], v125 offset0:8 offset1:9
	buffer_load_dword v105, off, s[20:23], 0 offset:112 ; 4-byte Folded Reload
	buffer_load_dword v106, off, s[20:23], 0 offset:116 ; 4-byte Folded Reload
	buffer_load_dword v107, off, s[20:23], 0 offset:120 ; 4-byte Folded Reload
	buffer_load_dword v108, off, s[20:23], 0 offset:124 ; 4-byte Folded Reload
	s_waitcnt lgkmcnt(0)
	v_mul_f64 v[103:104], v[101:102], v[119:120]
	v_fma_f64 v[103:104], v[99:100], v[97:98], -v[103:104]
	v_mul_f64 v[99:100], v[99:100], v[119:120]
	v_fma_f64 v[99:100], v[101:102], v[97:98], v[99:100]
	s_waitcnt vmcnt(2)
	v_add_f64 v[105:106], v[105:106], -v[103:104]
	s_waitcnt vmcnt(0)
	v_add_f64 v[107:108], v[107:108], -v[99:100]
	buffer_store_dword v105, off, s[20:23], 0 offset:112 ; 4-byte Folded Spill
	s_nop 0
	buffer_store_dword v106, off, s[20:23], 0 offset:116 ; 4-byte Folded Spill
	buffer_store_dword v107, off, s[20:23], 0 offset:120 ; 4-byte Folded Spill
	buffer_store_dword v108, off, s[20:23], 0 offset:124 ; 4-byte Folded Spill
	ds_read2_b64 v[99:102], v125 offset0:10 offset1:11
	buffer_load_dword v105, off, s[20:23], 0 offset:96 ; 4-byte Folded Reload
	buffer_load_dword v106, off, s[20:23], 0 offset:100 ; 4-byte Folded Reload
	buffer_load_dword v107, off, s[20:23], 0 offset:104 ; 4-byte Folded Reload
	buffer_load_dword v108, off, s[20:23], 0 offset:108 ; 4-byte Folded Reload
	s_waitcnt lgkmcnt(0)
	v_mul_f64 v[103:104], v[101:102], v[119:120]
	v_fma_f64 v[103:104], v[99:100], v[97:98], -v[103:104]
	v_mul_f64 v[99:100], v[99:100], v[119:120]
	v_fma_f64 v[99:100], v[101:102], v[97:98], v[99:100]
	s_waitcnt vmcnt(2)
	v_add_f64 v[105:106], v[105:106], -v[103:104]
	s_waitcnt vmcnt(0)
	v_add_f64 v[107:108], v[107:108], -v[99:100]
	buffer_store_dword v105, off, s[20:23], 0 offset:96 ; 4-byte Folded Spill
	s_nop 0
	buffer_store_dword v106, off, s[20:23], 0 offset:100 ; 4-byte Folded Spill
	buffer_store_dword v107, off, s[20:23], 0 offset:104 ; 4-byte Folded Spill
	buffer_store_dword v108, off, s[20:23], 0 offset:108 ; 4-byte Folded Spill
	ds_read2_b64 v[99:102], v125 offset0:12 offset1:13
	buffer_load_dword v105, off, s[20:23], 0 offset:80 ; 4-byte Folded Reload
	buffer_load_dword v106, off, s[20:23], 0 offset:84 ; 4-byte Folded Reload
	buffer_load_dword v107, off, s[20:23], 0 offset:88 ; 4-byte Folded Reload
	buffer_load_dword v108, off, s[20:23], 0 offset:92 ; 4-byte Folded Reload
	s_waitcnt lgkmcnt(0)
	v_mul_f64 v[103:104], v[101:102], v[119:120]
	v_fma_f64 v[103:104], v[99:100], v[97:98], -v[103:104]
	v_mul_f64 v[99:100], v[99:100], v[119:120]
	v_fma_f64 v[99:100], v[101:102], v[97:98], v[99:100]
	s_waitcnt vmcnt(2)
	v_add_f64 v[105:106], v[105:106], -v[103:104]
	s_waitcnt vmcnt(0)
	v_add_f64 v[107:108], v[107:108], -v[99:100]
	buffer_store_dword v105, off, s[20:23], 0 offset:80 ; 4-byte Folded Spill
	s_nop 0
	buffer_store_dword v106, off, s[20:23], 0 offset:84 ; 4-byte Folded Spill
	buffer_store_dword v107, off, s[20:23], 0 offset:88 ; 4-byte Folded Spill
	buffer_store_dword v108, off, s[20:23], 0 offset:92 ; 4-byte Folded Spill
	ds_read2_b64 v[99:102], v125 offset0:14 offset1:15
	buffer_load_dword v105, off, s[20:23], 0 offset:64 ; 4-byte Folded Reload
	buffer_load_dword v106, off, s[20:23], 0 offset:68 ; 4-byte Folded Reload
	buffer_load_dword v107, off, s[20:23], 0 offset:72 ; 4-byte Folded Reload
	buffer_load_dword v108, off, s[20:23], 0 offset:76 ; 4-byte Folded Reload
	s_waitcnt lgkmcnt(0)
	v_mul_f64 v[103:104], v[101:102], v[119:120]
	v_fma_f64 v[103:104], v[99:100], v[97:98], -v[103:104]
	v_mul_f64 v[99:100], v[99:100], v[119:120]
	v_fma_f64 v[99:100], v[101:102], v[97:98], v[99:100]
	s_waitcnt vmcnt(2)
	v_add_f64 v[105:106], v[105:106], -v[103:104]
	s_waitcnt vmcnt(0)
	v_add_f64 v[107:108], v[107:108], -v[99:100]
	buffer_store_dword v105, off, s[20:23], 0 offset:64 ; 4-byte Folded Spill
	s_nop 0
	buffer_store_dword v106, off, s[20:23], 0 offset:68 ; 4-byte Folded Spill
	buffer_store_dword v107, off, s[20:23], 0 offset:72 ; 4-byte Folded Spill
	buffer_store_dword v108, off, s[20:23], 0 offset:76 ; 4-byte Folded Spill
	ds_read2_b64 v[99:102], v125 offset0:16 offset1:17
	buffer_load_dword v105, off, s[20:23], 0 offset:48 ; 4-byte Folded Reload
	buffer_load_dword v106, off, s[20:23], 0 offset:52 ; 4-byte Folded Reload
	buffer_load_dword v107, off, s[20:23], 0 offset:56 ; 4-byte Folded Reload
	buffer_load_dword v108, off, s[20:23], 0 offset:60 ; 4-byte Folded Reload
	s_waitcnt lgkmcnt(0)
	v_mul_f64 v[103:104], v[101:102], v[119:120]
	v_fma_f64 v[103:104], v[99:100], v[97:98], -v[103:104]
	v_mul_f64 v[99:100], v[99:100], v[119:120]
	v_fma_f64 v[99:100], v[101:102], v[97:98], v[99:100]
	s_waitcnt vmcnt(2)
	v_add_f64 v[105:106], v[105:106], -v[103:104]
	s_waitcnt vmcnt(0)
	v_add_f64 v[107:108], v[107:108], -v[99:100]
	buffer_store_dword v105, off, s[20:23], 0 offset:48 ; 4-byte Folded Spill
	s_nop 0
	buffer_store_dword v106, off, s[20:23], 0 offset:52 ; 4-byte Folded Spill
	buffer_store_dword v107, off, s[20:23], 0 offset:56 ; 4-byte Folded Spill
	buffer_store_dword v108, off, s[20:23], 0 offset:60 ; 4-byte Folded Spill
	ds_read2_b64 v[99:102], v125 offset0:18 offset1:19
	buffer_load_dword v105, off, s[20:23], 0 offset:32 ; 4-byte Folded Reload
	buffer_load_dword v106, off, s[20:23], 0 offset:36 ; 4-byte Folded Reload
	buffer_load_dword v107, off, s[20:23], 0 offset:40 ; 4-byte Folded Reload
	buffer_load_dword v108, off, s[20:23], 0 offset:44 ; 4-byte Folded Reload
	s_waitcnt lgkmcnt(0)
	v_mul_f64 v[103:104], v[101:102], v[119:120]
	v_fma_f64 v[103:104], v[99:100], v[97:98], -v[103:104]
	v_mul_f64 v[99:100], v[99:100], v[119:120]
	v_fma_f64 v[99:100], v[101:102], v[97:98], v[99:100]
	s_waitcnt vmcnt(2)
	v_add_f64 v[105:106], v[105:106], -v[103:104]
	s_waitcnt vmcnt(0)
	v_add_f64 v[107:108], v[107:108], -v[99:100]
	buffer_store_dword v105, off, s[20:23], 0 offset:32 ; 4-byte Folded Spill
	s_nop 0
	buffer_store_dword v106, off, s[20:23], 0 offset:36 ; 4-byte Folded Spill
	buffer_store_dword v107, off, s[20:23], 0 offset:40 ; 4-byte Folded Spill
	buffer_store_dword v108, off, s[20:23], 0 offset:44 ; 4-byte Folded Spill
	ds_read2_b64 v[99:102], v125 offset0:20 offset1:21
	buffer_load_dword v81, off, s[20:23], 0 offset:16 ; 4-byte Folded Reload
	buffer_load_dword v82, off, s[20:23], 0 offset:20 ; 4-byte Folded Reload
	buffer_load_dword v83, off, s[20:23], 0 offset:24 ; 4-byte Folded Reload
	buffer_load_dword v84, off, s[20:23], 0 offset:28 ; 4-byte Folded Reload
	s_waitcnt lgkmcnt(0)
	v_mul_f64 v[103:104], v[101:102], v[119:120]
	v_fma_f64 v[103:104], v[99:100], v[97:98], -v[103:104]
	v_mul_f64 v[99:100], v[99:100], v[119:120]
	v_fma_f64 v[99:100], v[101:102], v[97:98], v[99:100]
	s_waitcnt vmcnt(2)
	v_add_f64 v[81:82], v[81:82], -v[103:104]
	s_waitcnt vmcnt(0)
	v_add_f64 v[83:84], v[83:84], -v[99:100]
	buffer_store_dword v81, off, s[20:23], 0 offset:16 ; 4-byte Folded Spill
	s_nop 0
	buffer_store_dword v82, off, s[20:23], 0 offset:20 ; 4-byte Folded Spill
	buffer_store_dword v83, off, s[20:23], 0 offset:24 ; 4-byte Folded Spill
	;; [unrolled: 1-line block ×3, first 2 shown]
	ds_read2_b64 v[99:102], v125 offset0:22 offset1:23
	buffer_load_dword v81, off, s[20:23], 0 ; 4-byte Folded Reload
	buffer_load_dword v82, off, s[20:23], 0 offset:4 ; 4-byte Folded Reload
	buffer_load_dword v83, off, s[20:23], 0 offset:8 ; 4-byte Folded Reload
	;; [unrolled: 1-line block ×3, first 2 shown]
	s_waitcnt lgkmcnt(0)
	v_mul_f64 v[103:104], v[101:102], v[119:120]
	v_fma_f64 v[103:104], v[99:100], v[97:98], -v[103:104]
	v_mul_f64 v[99:100], v[99:100], v[119:120]
	v_fma_f64 v[99:100], v[101:102], v[97:98], v[99:100]
	s_waitcnt vmcnt(2)
	v_add_f64 v[81:82], v[81:82], -v[103:104]
	s_waitcnt vmcnt(0)
	v_add_f64 v[83:84], v[83:84], -v[99:100]
	buffer_store_dword v81, off, s[20:23], 0 ; 4-byte Folded Spill
	s_nop 0
	buffer_store_dword v82, off, s[20:23], 0 offset:4 ; 4-byte Folded Spill
	buffer_store_dword v83, off, s[20:23], 0 offset:8 ; 4-byte Folded Spill
	;; [unrolled: 1-line block ×3, first 2 shown]
	ds_read2_b64 v[99:102], v125 offset0:24 offset1:25
	s_waitcnt lgkmcnt(0)
	v_mul_f64 v[103:104], v[101:102], v[119:120]
	v_fma_f64 v[103:104], v[99:100], v[97:98], -v[103:104]
	v_mul_f64 v[99:100], v[99:100], v[119:120]
	v_add_f64 v[113:114], v[113:114], -v[103:104]
	v_fma_f64 v[99:100], v[101:102], v[97:98], v[99:100]
	v_add_f64 v[115:116], v[115:116], -v[99:100]
	ds_read2_b64 v[99:102], v125 offset0:26 offset1:27
	s_waitcnt lgkmcnt(0)
	v_mul_f64 v[103:104], v[101:102], v[119:120]
	v_fma_f64 v[103:104], v[99:100], v[97:98], -v[103:104]
	v_mul_f64 v[99:100], v[99:100], v[119:120]
	v_add_f64 v[93:94], v[93:94], -v[103:104]
	v_fma_f64 v[99:100], v[101:102], v[97:98], v[99:100]
	v_add_f64 v[95:96], v[95:96], -v[99:100]
	;; [unrolled: 8-line block ×22, first 2 shown]
	ds_read2_b64 v[99:102], v125 offset0:68 offset1:69
	s_waitcnt lgkmcnt(0)
	v_mul_f64 v[103:104], v[101:102], v[119:120]
	v_fma_f64 v[103:104], v[99:100], v[97:98], -v[103:104]
	v_mul_f64 v[99:100], v[99:100], v[119:120]
	buffer_store_dword v117, off, s[20:23], 0 offset:160 ; 4-byte Folded Spill
	s_nop 0
	buffer_store_dword v118, off, s[20:23], 0 offset:164 ; 4-byte Folded Spill
	buffer_store_dword v119, off, s[20:23], 0 offset:168 ; 4-byte Folded Spill
	;; [unrolled: 1-line block ×3, first 2 shown]
	v_add_f64 v[121:122], v[121:122], -v[103:104]
	v_fma_f64 v[99:100], v[101:102], v[97:98], v[99:100]
	v_add_f64 v[123:124], v[123:124], -v[99:100]
.LBB69_19:
	s_or_b64 exec, exec, s[2:3]
	v_cmp_eq_u32_e32 vcc, 2, v0
	s_waitcnt vmcnt(0)
	s_barrier
	s_and_saveexec_b64 s[4:5], vcc
	s_cbranch_execz .LBB69_26
; %bb.20:
	buffer_load_dword v97, off, s[20:23], 0 offset:144 ; 4-byte Folded Reload
	buffer_load_dword v98, off, s[20:23], 0 offset:148 ; 4-byte Folded Reload
	;; [unrolled: 1-line block ×4, first 2 shown]
	s_waitcnt vmcnt(0)
	ds_write2_b64 v127, v[97:98], v[99:100] offset1:1
	buffer_load_dword v97, off, s[20:23], 0 offset:128 ; 4-byte Folded Reload
	buffer_load_dword v98, off, s[20:23], 0 offset:132 ; 4-byte Folded Reload
	buffer_load_dword v99, off, s[20:23], 0 offset:136 ; 4-byte Folded Reload
	buffer_load_dword v100, off, s[20:23], 0 offset:140 ; 4-byte Folded Reload
	s_waitcnt vmcnt(0)
	ds_write2_b64 v125, v[97:98], v[99:100] offset0:6 offset1:7
	buffer_load_dword v97, off, s[20:23], 0 offset:112 ; 4-byte Folded Reload
	buffer_load_dword v98, off, s[20:23], 0 offset:116 ; 4-byte Folded Reload
	buffer_load_dword v99, off, s[20:23], 0 offset:120 ; 4-byte Folded Reload
	buffer_load_dword v100, off, s[20:23], 0 offset:124 ; 4-byte Folded Reload
	s_waitcnt vmcnt(0)
	ds_write2_b64 v125, v[97:98], v[99:100] offset0:8 offset1:9
	;; [unrolled: 6-line block ×8, first 2 shown]
	buffer_load_dword v81, off, s[20:23], 0 ; 4-byte Folded Reload
	buffer_load_dword v82, off, s[20:23], 0 offset:4 ; 4-byte Folded Reload
	buffer_load_dword v83, off, s[20:23], 0 offset:8 ; 4-byte Folded Reload
	;; [unrolled: 1-line block ×3, first 2 shown]
	s_waitcnt vmcnt(0)
	ds_write2_b64 v125, v[81:82], v[83:84] offset0:22 offset1:23
	ds_write2_b64 v125, v[113:114], v[115:116] offset0:24 offset1:25
	;; [unrolled: 1-line block ×24, first 2 shown]
	ds_read2_b64 v[97:100], v127 offset1:1
	s_waitcnt lgkmcnt(0)
	v_cmp_neq_f64_e32 vcc, 0, v[97:98]
	v_cmp_neq_f64_e64 s[2:3], 0, v[99:100]
	s_or_b64 s[2:3], vcc, s[2:3]
	s_and_b64 exec, exec, s[2:3]
	s_cbranch_execz .LBB69_26
; %bb.21:
	v_cmp_ngt_f64_e64 s[2:3], |v[97:98]|, |v[99:100]|
                                        ; implicit-def: $vgpr101_vgpr102
	s_and_saveexec_b64 s[6:7], s[2:3]
	s_xor_b64 s[2:3], exec, s[6:7]
                                        ; implicit-def: $vgpr103_vgpr104
	s_cbranch_execz .LBB69_23
; %bb.22:
	v_div_scale_f64 v[101:102], s[6:7], v[99:100], v[99:100], v[97:98]
	v_rcp_f64_e32 v[103:104], v[101:102]
	v_fma_f64 v[105:106], -v[101:102], v[103:104], 1.0
	v_fma_f64 v[103:104], v[103:104], v[105:106], v[103:104]
	v_div_scale_f64 v[105:106], vcc, v[97:98], v[99:100], v[97:98]
	v_fma_f64 v[107:108], -v[101:102], v[103:104], 1.0
	v_fma_f64 v[103:104], v[103:104], v[107:108], v[103:104]
	v_mul_f64 v[107:108], v[105:106], v[103:104]
	v_fma_f64 v[101:102], -v[101:102], v[107:108], v[105:106]
	v_div_fmas_f64 v[101:102], v[101:102], v[103:104], v[107:108]
	v_div_fixup_f64 v[101:102], v[101:102], v[99:100], v[97:98]
	v_fma_f64 v[97:98], v[97:98], v[101:102], v[99:100]
	v_div_scale_f64 v[99:100], s[6:7], v[97:98], v[97:98], 1.0
	v_div_scale_f64 v[107:108], vcc, 1.0, v[97:98], 1.0
	v_rcp_f64_e32 v[103:104], v[99:100]
	v_fma_f64 v[105:106], -v[99:100], v[103:104], 1.0
	v_fma_f64 v[103:104], v[103:104], v[105:106], v[103:104]
	v_fma_f64 v[105:106], -v[99:100], v[103:104], 1.0
	v_fma_f64 v[103:104], v[103:104], v[105:106], v[103:104]
	v_mul_f64 v[105:106], v[107:108], v[103:104]
	v_fma_f64 v[99:100], -v[99:100], v[105:106], v[107:108]
	v_div_fmas_f64 v[99:100], v[99:100], v[103:104], v[105:106]
	v_div_fixup_f64 v[103:104], v[99:100], v[97:98], 1.0
                                        ; implicit-def: $vgpr97_vgpr98
	v_mul_f64 v[101:102], v[101:102], v[103:104]
	v_xor_b32_e32 v104, 0x80000000, v104
.LBB69_23:
	s_andn2_saveexec_b64 s[2:3], s[2:3]
	s_cbranch_execz .LBB69_25
; %bb.24:
	v_div_scale_f64 v[101:102], s[6:7], v[97:98], v[97:98], v[99:100]
	v_rcp_f64_e32 v[103:104], v[101:102]
	v_fma_f64 v[105:106], -v[101:102], v[103:104], 1.0
	v_fma_f64 v[103:104], v[103:104], v[105:106], v[103:104]
	v_div_scale_f64 v[105:106], vcc, v[99:100], v[97:98], v[99:100]
	v_fma_f64 v[107:108], -v[101:102], v[103:104], 1.0
	v_fma_f64 v[103:104], v[103:104], v[107:108], v[103:104]
	v_mul_f64 v[107:108], v[105:106], v[103:104]
	v_fma_f64 v[101:102], -v[101:102], v[107:108], v[105:106]
	v_div_fmas_f64 v[101:102], v[101:102], v[103:104], v[107:108]
	v_div_fixup_f64 v[103:104], v[101:102], v[97:98], v[99:100]
	v_fma_f64 v[97:98], v[99:100], v[103:104], v[97:98]
	v_div_scale_f64 v[99:100], s[6:7], v[97:98], v[97:98], 1.0
	v_div_scale_f64 v[107:108], vcc, 1.0, v[97:98], 1.0
	v_rcp_f64_e32 v[101:102], v[99:100]
	v_fma_f64 v[105:106], -v[99:100], v[101:102], 1.0
	v_fma_f64 v[101:102], v[101:102], v[105:106], v[101:102]
	v_fma_f64 v[105:106], -v[99:100], v[101:102], 1.0
	v_fma_f64 v[101:102], v[101:102], v[105:106], v[101:102]
	v_mul_f64 v[105:106], v[107:108], v[101:102]
	v_fma_f64 v[99:100], -v[99:100], v[105:106], v[107:108]
	v_div_fmas_f64 v[99:100], v[99:100], v[101:102], v[105:106]
	v_div_fixup_f64 v[101:102], v[99:100], v[97:98], 1.0
	v_mul_f64 v[103:104], v[103:104], -v[101:102]
.LBB69_25:
	s_or_b64 exec, exec, s[2:3]
	ds_write2_b64 v127, v[101:102], v[103:104] offset1:1
.LBB69_26:
	s_or_b64 exec, exec, s[4:5]
	s_waitcnt lgkmcnt(0)
	s_barrier
	ds_read2_b64 v[97:100], v127 offset1:1
	v_cmp_lt_u32_e32 vcc, 2, v0
	s_waitcnt lgkmcnt(0)
	buffer_store_dword v97, off, s[20:23], 0 offset:488 ; 4-byte Folded Spill
	s_nop 0
	buffer_store_dword v98, off, s[20:23], 0 offset:492 ; 4-byte Folded Spill
	buffer_store_dword v99, off, s[20:23], 0 offset:496 ; 4-byte Folded Spill
	buffer_store_dword v100, off, s[20:23], 0 offset:500 ; 4-byte Folded Spill
	s_and_saveexec_b64 s[2:3], vcc
	s_cbranch_execz .LBB69_28
; %bb.27:
	buffer_load_dword v117, off, s[20:23], 0 offset:144 ; 4-byte Folded Reload
	buffer_load_dword v118, off, s[20:23], 0 offset:148 ; 4-byte Folded Reload
	;; [unrolled: 1-line block ×8, first 2 shown]
	s_waitcnt vmcnt(0)
	v_mul_f64 v[97:98], v[101:102], v[119:120]
	v_fma_f64 v[97:98], v[99:100], v[117:118], -v[97:98]
	v_mul_f64 v[99:100], v[99:100], v[119:120]
	v_fma_f64 v[119:120], v[101:102], v[117:118], v[99:100]
	ds_read2_b64 v[99:102], v125 offset0:6 offset1:7
	buffer_load_dword v105, off, s[20:23], 0 offset:128 ; 4-byte Folded Reload
	buffer_load_dword v106, off, s[20:23], 0 offset:132 ; 4-byte Folded Reload
	;; [unrolled: 1-line block ×4, first 2 shown]
	v_mov_b32_e32 v118, v98
	v_mov_b32_e32 v117, v97
	s_waitcnt lgkmcnt(0)
	v_mul_f64 v[103:104], v[101:102], v[119:120]
	v_fma_f64 v[103:104], v[99:100], v[97:98], -v[103:104]
	v_mul_f64 v[99:100], v[99:100], v[119:120]
	v_fma_f64 v[99:100], v[101:102], v[97:98], v[99:100]
	s_waitcnt vmcnt(2)
	v_add_f64 v[105:106], v[105:106], -v[103:104]
	s_waitcnt vmcnt(0)
	v_add_f64 v[107:108], v[107:108], -v[99:100]
	buffer_store_dword v105, off, s[20:23], 0 offset:128 ; 4-byte Folded Spill
	s_nop 0
	buffer_store_dword v106, off, s[20:23], 0 offset:132 ; 4-byte Folded Spill
	buffer_store_dword v107, off, s[20:23], 0 offset:136 ; 4-byte Folded Spill
	buffer_store_dword v108, off, s[20:23], 0 offset:140 ; 4-byte Folded Spill
	ds_read2_b64 v[99:102], v125 offset0:8 offset1:9
	buffer_load_dword v105, off, s[20:23], 0 offset:112 ; 4-byte Folded Reload
	buffer_load_dword v106, off, s[20:23], 0 offset:116 ; 4-byte Folded Reload
	buffer_load_dword v107, off, s[20:23], 0 offset:120 ; 4-byte Folded Reload
	buffer_load_dword v108, off, s[20:23], 0 offset:124 ; 4-byte Folded Reload
	s_waitcnt lgkmcnt(0)
	v_mul_f64 v[103:104], v[101:102], v[119:120]
	v_fma_f64 v[103:104], v[99:100], v[97:98], -v[103:104]
	v_mul_f64 v[99:100], v[99:100], v[119:120]
	v_fma_f64 v[99:100], v[101:102], v[97:98], v[99:100]
	s_waitcnt vmcnt(2)
	v_add_f64 v[105:106], v[105:106], -v[103:104]
	s_waitcnt vmcnt(0)
	v_add_f64 v[107:108], v[107:108], -v[99:100]
	buffer_store_dword v105, off, s[20:23], 0 offset:112 ; 4-byte Folded Spill
	s_nop 0
	buffer_store_dword v106, off, s[20:23], 0 offset:116 ; 4-byte Folded Spill
	buffer_store_dword v107, off, s[20:23], 0 offset:120 ; 4-byte Folded Spill
	buffer_store_dword v108, off, s[20:23], 0 offset:124 ; 4-byte Folded Spill
	ds_read2_b64 v[99:102], v125 offset0:10 offset1:11
	buffer_load_dword v105, off, s[20:23], 0 offset:96 ; 4-byte Folded Reload
	buffer_load_dword v106, off, s[20:23], 0 offset:100 ; 4-byte Folded Reload
	buffer_load_dword v107, off, s[20:23], 0 offset:104 ; 4-byte Folded Reload
	buffer_load_dword v108, off, s[20:23], 0 offset:108 ; 4-byte Folded Reload
	;; [unrolled: 19-line block ×7, first 2 shown]
	s_waitcnt lgkmcnt(0)
	v_mul_f64 v[103:104], v[101:102], v[119:120]
	v_fma_f64 v[103:104], v[99:100], v[97:98], -v[103:104]
	v_mul_f64 v[99:100], v[99:100], v[119:120]
	v_fma_f64 v[99:100], v[101:102], v[97:98], v[99:100]
	s_waitcnt vmcnt(2)
	v_add_f64 v[81:82], v[81:82], -v[103:104]
	s_waitcnt vmcnt(0)
	v_add_f64 v[83:84], v[83:84], -v[99:100]
	buffer_store_dword v81, off, s[20:23], 0 offset:16 ; 4-byte Folded Spill
	s_nop 0
	buffer_store_dword v82, off, s[20:23], 0 offset:20 ; 4-byte Folded Spill
	buffer_store_dword v83, off, s[20:23], 0 offset:24 ; 4-byte Folded Spill
	;; [unrolled: 1-line block ×3, first 2 shown]
	ds_read2_b64 v[99:102], v125 offset0:22 offset1:23
	buffer_load_dword v81, off, s[20:23], 0 ; 4-byte Folded Reload
	buffer_load_dword v82, off, s[20:23], 0 offset:4 ; 4-byte Folded Reload
	buffer_load_dword v83, off, s[20:23], 0 offset:8 ; 4-byte Folded Reload
	;; [unrolled: 1-line block ×3, first 2 shown]
	s_waitcnt lgkmcnt(0)
	v_mul_f64 v[103:104], v[101:102], v[119:120]
	v_fma_f64 v[103:104], v[99:100], v[97:98], -v[103:104]
	v_mul_f64 v[99:100], v[99:100], v[119:120]
	v_fma_f64 v[99:100], v[101:102], v[97:98], v[99:100]
	s_waitcnt vmcnt(2)
	v_add_f64 v[81:82], v[81:82], -v[103:104]
	s_waitcnt vmcnt(0)
	v_add_f64 v[83:84], v[83:84], -v[99:100]
	buffer_store_dword v81, off, s[20:23], 0 ; 4-byte Folded Spill
	s_nop 0
	buffer_store_dword v82, off, s[20:23], 0 offset:4 ; 4-byte Folded Spill
	buffer_store_dword v83, off, s[20:23], 0 offset:8 ; 4-byte Folded Spill
	;; [unrolled: 1-line block ×3, first 2 shown]
	ds_read2_b64 v[99:102], v125 offset0:24 offset1:25
	s_waitcnt lgkmcnt(0)
	v_mul_f64 v[103:104], v[101:102], v[119:120]
	v_fma_f64 v[103:104], v[99:100], v[97:98], -v[103:104]
	v_mul_f64 v[99:100], v[99:100], v[119:120]
	v_add_f64 v[113:114], v[113:114], -v[103:104]
	v_fma_f64 v[99:100], v[101:102], v[97:98], v[99:100]
	v_add_f64 v[115:116], v[115:116], -v[99:100]
	ds_read2_b64 v[99:102], v125 offset0:26 offset1:27
	s_waitcnt lgkmcnt(0)
	v_mul_f64 v[103:104], v[101:102], v[119:120]
	v_fma_f64 v[103:104], v[99:100], v[97:98], -v[103:104]
	v_mul_f64 v[99:100], v[99:100], v[119:120]
	v_add_f64 v[93:94], v[93:94], -v[103:104]
	v_fma_f64 v[99:100], v[101:102], v[97:98], v[99:100]
	v_add_f64 v[95:96], v[95:96], -v[99:100]
	;; [unrolled: 8-line block ×22, first 2 shown]
	ds_read2_b64 v[99:102], v125 offset0:68 offset1:69
	s_waitcnt lgkmcnt(0)
	v_mul_f64 v[103:104], v[101:102], v[119:120]
	v_fma_f64 v[103:104], v[99:100], v[97:98], -v[103:104]
	v_mul_f64 v[99:100], v[99:100], v[119:120]
	buffer_store_dword v117, off, s[20:23], 0 offset:144 ; 4-byte Folded Spill
	s_nop 0
	buffer_store_dword v118, off, s[20:23], 0 offset:148 ; 4-byte Folded Spill
	buffer_store_dword v119, off, s[20:23], 0 offset:152 ; 4-byte Folded Spill
	;; [unrolled: 1-line block ×3, first 2 shown]
	v_add_f64 v[121:122], v[121:122], -v[103:104]
	v_fma_f64 v[99:100], v[101:102], v[97:98], v[99:100]
	v_add_f64 v[123:124], v[123:124], -v[99:100]
.LBB69_28:
	s_or_b64 exec, exec, s[2:3]
	v_cmp_eq_u32_e32 vcc, 3, v0
	s_waitcnt vmcnt(0)
	s_barrier
	s_and_saveexec_b64 s[4:5], vcc
	s_cbranch_execz .LBB69_35
; %bb.29:
	buffer_load_dword v97, off, s[20:23], 0 offset:128 ; 4-byte Folded Reload
	buffer_load_dword v98, off, s[20:23], 0 offset:132 ; 4-byte Folded Reload
	buffer_load_dword v99, off, s[20:23], 0 offset:136 ; 4-byte Folded Reload
	buffer_load_dword v100, off, s[20:23], 0 offset:140 ; 4-byte Folded Reload
	s_waitcnt vmcnt(0)
	ds_write2_b64 v127, v[97:98], v[99:100] offset1:1
	buffer_load_dword v97, off, s[20:23], 0 offset:112 ; 4-byte Folded Reload
	buffer_load_dword v98, off, s[20:23], 0 offset:116 ; 4-byte Folded Reload
	buffer_load_dword v99, off, s[20:23], 0 offset:120 ; 4-byte Folded Reload
	buffer_load_dword v100, off, s[20:23], 0 offset:124 ; 4-byte Folded Reload
	s_waitcnt vmcnt(0)
	ds_write2_b64 v125, v[97:98], v[99:100] offset0:8 offset1:9
	buffer_load_dword v97, off, s[20:23], 0 offset:96 ; 4-byte Folded Reload
	buffer_load_dword v98, off, s[20:23], 0 offset:100 ; 4-byte Folded Reload
	buffer_load_dword v99, off, s[20:23], 0 offset:104 ; 4-byte Folded Reload
	buffer_load_dword v100, off, s[20:23], 0 offset:108 ; 4-byte Folded Reload
	s_waitcnt vmcnt(0)
	ds_write2_b64 v125, v[97:98], v[99:100] offset0:10 offset1:11
	;; [unrolled: 6-line block ×7, first 2 shown]
	buffer_load_dword v81, off, s[20:23], 0 ; 4-byte Folded Reload
	buffer_load_dword v82, off, s[20:23], 0 offset:4 ; 4-byte Folded Reload
	buffer_load_dword v83, off, s[20:23], 0 offset:8 ; 4-byte Folded Reload
	;; [unrolled: 1-line block ×3, first 2 shown]
	s_waitcnt vmcnt(0)
	ds_write2_b64 v125, v[81:82], v[83:84] offset0:22 offset1:23
	ds_write2_b64 v125, v[113:114], v[115:116] offset0:24 offset1:25
	;; [unrolled: 1-line block ×24, first 2 shown]
	ds_read2_b64 v[97:100], v127 offset1:1
	s_waitcnt lgkmcnt(0)
	v_cmp_neq_f64_e32 vcc, 0, v[97:98]
	v_cmp_neq_f64_e64 s[2:3], 0, v[99:100]
	s_or_b64 s[2:3], vcc, s[2:3]
	s_and_b64 exec, exec, s[2:3]
	s_cbranch_execz .LBB69_35
; %bb.30:
	v_cmp_ngt_f64_e64 s[2:3], |v[97:98]|, |v[99:100]|
                                        ; implicit-def: $vgpr101_vgpr102
	s_and_saveexec_b64 s[6:7], s[2:3]
	s_xor_b64 s[2:3], exec, s[6:7]
                                        ; implicit-def: $vgpr103_vgpr104
	s_cbranch_execz .LBB69_32
; %bb.31:
	v_div_scale_f64 v[101:102], s[6:7], v[99:100], v[99:100], v[97:98]
	v_rcp_f64_e32 v[103:104], v[101:102]
	v_fma_f64 v[105:106], -v[101:102], v[103:104], 1.0
	v_fma_f64 v[103:104], v[103:104], v[105:106], v[103:104]
	v_div_scale_f64 v[105:106], vcc, v[97:98], v[99:100], v[97:98]
	v_fma_f64 v[107:108], -v[101:102], v[103:104], 1.0
	v_fma_f64 v[103:104], v[103:104], v[107:108], v[103:104]
	v_mul_f64 v[107:108], v[105:106], v[103:104]
	v_fma_f64 v[101:102], -v[101:102], v[107:108], v[105:106]
	v_div_fmas_f64 v[101:102], v[101:102], v[103:104], v[107:108]
	v_div_fixup_f64 v[101:102], v[101:102], v[99:100], v[97:98]
	v_fma_f64 v[97:98], v[97:98], v[101:102], v[99:100]
	v_div_scale_f64 v[99:100], s[6:7], v[97:98], v[97:98], 1.0
	v_div_scale_f64 v[107:108], vcc, 1.0, v[97:98], 1.0
	v_rcp_f64_e32 v[103:104], v[99:100]
	v_fma_f64 v[105:106], -v[99:100], v[103:104], 1.0
	v_fma_f64 v[103:104], v[103:104], v[105:106], v[103:104]
	v_fma_f64 v[105:106], -v[99:100], v[103:104], 1.0
	v_fma_f64 v[103:104], v[103:104], v[105:106], v[103:104]
	v_mul_f64 v[105:106], v[107:108], v[103:104]
	v_fma_f64 v[99:100], -v[99:100], v[105:106], v[107:108]
	v_div_fmas_f64 v[99:100], v[99:100], v[103:104], v[105:106]
	v_div_fixup_f64 v[103:104], v[99:100], v[97:98], 1.0
                                        ; implicit-def: $vgpr97_vgpr98
	v_mul_f64 v[101:102], v[101:102], v[103:104]
	v_xor_b32_e32 v104, 0x80000000, v104
.LBB69_32:
	s_andn2_saveexec_b64 s[2:3], s[2:3]
	s_cbranch_execz .LBB69_34
; %bb.33:
	v_div_scale_f64 v[101:102], s[6:7], v[97:98], v[97:98], v[99:100]
	v_rcp_f64_e32 v[103:104], v[101:102]
	v_fma_f64 v[105:106], -v[101:102], v[103:104], 1.0
	v_fma_f64 v[103:104], v[103:104], v[105:106], v[103:104]
	v_div_scale_f64 v[105:106], vcc, v[99:100], v[97:98], v[99:100]
	v_fma_f64 v[107:108], -v[101:102], v[103:104], 1.0
	v_fma_f64 v[103:104], v[103:104], v[107:108], v[103:104]
	v_mul_f64 v[107:108], v[105:106], v[103:104]
	v_fma_f64 v[101:102], -v[101:102], v[107:108], v[105:106]
	v_div_fmas_f64 v[101:102], v[101:102], v[103:104], v[107:108]
	v_div_fixup_f64 v[103:104], v[101:102], v[97:98], v[99:100]
	v_fma_f64 v[97:98], v[99:100], v[103:104], v[97:98]
	v_div_scale_f64 v[99:100], s[6:7], v[97:98], v[97:98], 1.0
	v_div_scale_f64 v[107:108], vcc, 1.0, v[97:98], 1.0
	v_rcp_f64_e32 v[101:102], v[99:100]
	v_fma_f64 v[105:106], -v[99:100], v[101:102], 1.0
	v_fma_f64 v[101:102], v[101:102], v[105:106], v[101:102]
	v_fma_f64 v[105:106], -v[99:100], v[101:102], 1.0
	v_fma_f64 v[101:102], v[101:102], v[105:106], v[101:102]
	v_mul_f64 v[105:106], v[107:108], v[101:102]
	v_fma_f64 v[99:100], -v[99:100], v[105:106], v[107:108]
	v_div_fmas_f64 v[99:100], v[99:100], v[101:102], v[105:106]
	v_div_fixup_f64 v[101:102], v[99:100], v[97:98], 1.0
	v_mul_f64 v[103:104], v[103:104], -v[101:102]
.LBB69_34:
	s_or_b64 exec, exec, s[2:3]
	ds_write2_b64 v127, v[101:102], v[103:104] offset1:1
.LBB69_35:
	s_or_b64 exec, exec, s[4:5]
	s_waitcnt lgkmcnt(0)
	s_barrier
	ds_read2_b64 v[97:100], v127 offset1:1
	v_cmp_lt_u32_e32 vcc, 3, v0
	s_waitcnt lgkmcnt(0)
	buffer_store_dword v97, off, s[20:23], 0 offset:504 ; 4-byte Folded Spill
	s_nop 0
	buffer_store_dword v98, off, s[20:23], 0 offset:508 ; 4-byte Folded Spill
	buffer_store_dword v99, off, s[20:23], 0 offset:512 ; 4-byte Folded Spill
	;; [unrolled: 1-line block ×3, first 2 shown]
	s_and_saveexec_b64 s[2:3], vcc
	s_cbranch_execz .LBB69_37
; %bb.36:
	buffer_load_dword v117, off, s[20:23], 0 offset:128 ; 4-byte Folded Reload
	buffer_load_dword v118, off, s[20:23], 0 offset:132 ; 4-byte Folded Reload
	;; [unrolled: 1-line block ×8, first 2 shown]
	s_waitcnt vmcnt(0)
	v_mul_f64 v[97:98], v[101:102], v[119:120]
	v_fma_f64 v[97:98], v[99:100], v[117:118], -v[97:98]
	v_mul_f64 v[99:100], v[99:100], v[119:120]
	v_fma_f64 v[119:120], v[101:102], v[117:118], v[99:100]
	ds_read2_b64 v[99:102], v125 offset0:8 offset1:9
	buffer_load_dword v105, off, s[20:23], 0 offset:112 ; 4-byte Folded Reload
	buffer_load_dword v106, off, s[20:23], 0 offset:116 ; 4-byte Folded Reload
	;; [unrolled: 1-line block ×4, first 2 shown]
	v_mov_b32_e32 v118, v98
	v_mov_b32_e32 v117, v97
	s_waitcnt lgkmcnt(0)
	v_mul_f64 v[103:104], v[101:102], v[119:120]
	v_fma_f64 v[103:104], v[99:100], v[97:98], -v[103:104]
	v_mul_f64 v[99:100], v[99:100], v[119:120]
	v_fma_f64 v[99:100], v[101:102], v[97:98], v[99:100]
	s_waitcnt vmcnt(2)
	v_add_f64 v[105:106], v[105:106], -v[103:104]
	s_waitcnt vmcnt(0)
	v_add_f64 v[107:108], v[107:108], -v[99:100]
	buffer_store_dword v105, off, s[20:23], 0 offset:112 ; 4-byte Folded Spill
	s_nop 0
	buffer_store_dword v106, off, s[20:23], 0 offset:116 ; 4-byte Folded Spill
	buffer_store_dword v107, off, s[20:23], 0 offset:120 ; 4-byte Folded Spill
	buffer_store_dword v108, off, s[20:23], 0 offset:124 ; 4-byte Folded Spill
	ds_read2_b64 v[99:102], v125 offset0:10 offset1:11
	buffer_load_dword v105, off, s[20:23], 0 offset:96 ; 4-byte Folded Reload
	buffer_load_dword v106, off, s[20:23], 0 offset:100 ; 4-byte Folded Reload
	buffer_load_dword v107, off, s[20:23], 0 offset:104 ; 4-byte Folded Reload
	buffer_load_dword v108, off, s[20:23], 0 offset:108 ; 4-byte Folded Reload
	s_waitcnt lgkmcnt(0)
	v_mul_f64 v[103:104], v[101:102], v[119:120]
	v_fma_f64 v[103:104], v[99:100], v[97:98], -v[103:104]
	v_mul_f64 v[99:100], v[99:100], v[119:120]
	v_fma_f64 v[99:100], v[101:102], v[97:98], v[99:100]
	s_waitcnt vmcnt(2)
	v_add_f64 v[105:106], v[105:106], -v[103:104]
	s_waitcnt vmcnt(0)
	v_add_f64 v[107:108], v[107:108], -v[99:100]
	buffer_store_dword v105, off, s[20:23], 0 offset:96 ; 4-byte Folded Spill
	s_nop 0
	buffer_store_dword v106, off, s[20:23], 0 offset:100 ; 4-byte Folded Spill
	buffer_store_dword v107, off, s[20:23], 0 offset:104 ; 4-byte Folded Spill
	buffer_store_dword v108, off, s[20:23], 0 offset:108 ; 4-byte Folded Spill
	ds_read2_b64 v[99:102], v125 offset0:12 offset1:13
	buffer_load_dword v105, off, s[20:23], 0 offset:80 ; 4-byte Folded Reload
	buffer_load_dword v106, off, s[20:23], 0 offset:84 ; 4-byte Folded Reload
	buffer_load_dword v107, off, s[20:23], 0 offset:88 ; 4-byte Folded Reload
	buffer_load_dword v108, off, s[20:23], 0 offset:92 ; 4-byte Folded Reload
	;; [unrolled: 19-line block ×6, first 2 shown]
	s_waitcnt lgkmcnt(0)
	v_mul_f64 v[103:104], v[101:102], v[119:120]
	v_fma_f64 v[103:104], v[99:100], v[97:98], -v[103:104]
	v_mul_f64 v[99:100], v[99:100], v[119:120]
	v_fma_f64 v[99:100], v[101:102], v[97:98], v[99:100]
	s_waitcnt vmcnt(2)
	v_add_f64 v[81:82], v[81:82], -v[103:104]
	s_waitcnt vmcnt(0)
	v_add_f64 v[83:84], v[83:84], -v[99:100]
	buffer_store_dword v81, off, s[20:23], 0 offset:16 ; 4-byte Folded Spill
	s_nop 0
	buffer_store_dword v82, off, s[20:23], 0 offset:20 ; 4-byte Folded Spill
	buffer_store_dword v83, off, s[20:23], 0 offset:24 ; 4-byte Folded Spill
	;; [unrolled: 1-line block ×3, first 2 shown]
	ds_read2_b64 v[99:102], v125 offset0:22 offset1:23
	buffer_load_dword v81, off, s[20:23], 0 ; 4-byte Folded Reload
	buffer_load_dword v82, off, s[20:23], 0 offset:4 ; 4-byte Folded Reload
	buffer_load_dword v83, off, s[20:23], 0 offset:8 ; 4-byte Folded Reload
	;; [unrolled: 1-line block ×3, first 2 shown]
	s_waitcnt lgkmcnt(0)
	v_mul_f64 v[103:104], v[101:102], v[119:120]
	v_fma_f64 v[103:104], v[99:100], v[97:98], -v[103:104]
	v_mul_f64 v[99:100], v[99:100], v[119:120]
	v_fma_f64 v[99:100], v[101:102], v[97:98], v[99:100]
	s_waitcnt vmcnt(2)
	v_add_f64 v[81:82], v[81:82], -v[103:104]
	s_waitcnt vmcnt(0)
	v_add_f64 v[83:84], v[83:84], -v[99:100]
	buffer_store_dword v81, off, s[20:23], 0 ; 4-byte Folded Spill
	s_nop 0
	buffer_store_dword v82, off, s[20:23], 0 offset:4 ; 4-byte Folded Spill
	buffer_store_dword v83, off, s[20:23], 0 offset:8 ; 4-byte Folded Spill
	;; [unrolled: 1-line block ×3, first 2 shown]
	ds_read2_b64 v[99:102], v125 offset0:24 offset1:25
	s_waitcnt lgkmcnt(0)
	v_mul_f64 v[103:104], v[101:102], v[119:120]
	v_fma_f64 v[103:104], v[99:100], v[97:98], -v[103:104]
	v_mul_f64 v[99:100], v[99:100], v[119:120]
	v_add_f64 v[113:114], v[113:114], -v[103:104]
	v_fma_f64 v[99:100], v[101:102], v[97:98], v[99:100]
	v_add_f64 v[115:116], v[115:116], -v[99:100]
	ds_read2_b64 v[99:102], v125 offset0:26 offset1:27
	s_waitcnt lgkmcnt(0)
	v_mul_f64 v[103:104], v[101:102], v[119:120]
	v_fma_f64 v[103:104], v[99:100], v[97:98], -v[103:104]
	v_mul_f64 v[99:100], v[99:100], v[119:120]
	v_add_f64 v[93:94], v[93:94], -v[103:104]
	v_fma_f64 v[99:100], v[101:102], v[97:98], v[99:100]
	v_add_f64 v[95:96], v[95:96], -v[99:100]
	;; [unrolled: 8-line block ×22, first 2 shown]
	ds_read2_b64 v[99:102], v125 offset0:68 offset1:69
	s_waitcnt lgkmcnt(0)
	v_mul_f64 v[103:104], v[101:102], v[119:120]
	v_fma_f64 v[103:104], v[99:100], v[97:98], -v[103:104]
	v_mul_f64 v[99:100], v[99:100], v[119:120]
	buffer_store_dword v117, off, s[20:23], 0 offset:128 ; 4-byte Folded Spill
	s_nop 0
	buffer_store_dword v118, off, s[20:23], 0 offset:132 ; 4-byte Folded Spill
	buffer_store_dword v119, off, s[20:23], 0 offset:136 ; 4-byte Folded Spill
	;; [unrolled: 1-line block ×3, first 2 shown]
	v_add_f64 v[121:122], v[121:122], -v[103:104]
	v_fma_f64 v[99:100], v[101:102], v[97:98], v[99:100]
	v_add_f64 v[123:124], v[123:124], -v[99:100]
.LBB69_37:
	s_or_b64 exec, exec, s[2:3]
	v_cmp_eq_u32_e32 vcc, 4, v0
	s_waitcnt vmcnt(0)
	s_barrier
	s_and_saveexec_b64 s[4:5], vcc
	s_cbranch_execz .LBB69_44
; %bb.38:
	buffer_load_dword v97, off, s[20:23], 0 offset:112 ; 4-byte Folded Reload
	buffer_load_dword v98, off, s[20:23], 0 offset:116 ; 4-byte Folded Reload
	;; [unrolled: 1-line block ×4, first 2 shown]
	s_waitcnt vmcnt(0)
	ds_write2_b64 v127, v[97:98], v[99:100] offset1:1
	buffer_load_dword v97, off, s[20:23], 0 offset:96 ; 4-byte Folded Reload
	buffer_load_dword v98, off, s[20:23], 0 offset:100 ; 4-byte Folded Reload
	buffer_load_dword v99, off, s[20:23], 0 offset:104 ; 4-byte Folded Reload
	buffer_load_dword v100, off, s[20:23], 0 offset:108 ; 4-byte Folded Reload
	s_waitcnt vmcnt(0)
	ds_write2_b64 v125, v[97:98], v[99:100] offset0:10 offset1:11
	buffer_load_dword v97, off, s[20:23], 0 offset:80 ; 4-byte Folded Reload
	buffer_load_dword v98, off, s[20:23], 0 offset:84 ; 4-byte Folded Reload
	buffer_load_dword v99, off, s[20:23], 0 offset:88 ; 4-byte Folded Reload
	buffer_load_dword v100, off, s[20:23], 0 offset:92 ; 4-byte Folded Reload
	s_waitcnt vmcnt(0)
	ds_write2_b64 v125, v[97:98], v[99:100] offset0:12 offset1:13
	;; [unrolled: 6-line block ×6, first 2 shown]
	buffer_load_dword v81, off, s[20:23], 0 ; 4-byte Folded Reload
	buffer_load_dword v82, off, s[20:23], 0 offset:4 ; 4-byte Folded Reload
	buffer_load_dword v83, off, s[20:23], 0 offset:8 ; 4-byte Folded Reload
	;; [unrolled: 1-line block ×3, first 2 shown]
	s_waitcnt vmcnt(0)
	ds_write2_b64 v125, v[81:82], v[83:84] offset0:22 offset1:23
	ds_write2_b64 v125, v[113:114], v[115:116] offset0:24 offset1:25
	;; [unrolled: 1-line block ×24, first 2 shown]
	ds_read2_b64 v[97:100], v127 offset1:1
	s_waitcnt lgkmcnt(0)
	v_cmp_neq_f64_e32 vcc, 0, v[97:98]
	v_cmp_neq_f64_e64 s[2:3], 0, v[99:100]
	s_or_b64 s[2:3], vcc, s[2:3]
	s_and_b64 exec, exec, s[2:3]
	s_cbranch_execz .LBB69_44
; %bb.39:
	v_cmp_ngt_f64_e64 s[2:3], |v[97:98]|, |v[99:100]|
                                        ; implicit-def: $vgpr101_vgpr102
	s_and_saveexec_b64 s[6:7], s[2:3]
	s_xor_b64 s[2:3], exec, s[6:7]
                                        ; implicit-def: $vgpr103_vgpr104
	s_cbranch_execz .LBB69_41
; %bb.40:
	v_div_scale_f64 v[101:102], s[6:7], v[99:100], v[99:100], v[97:98]
	v_rcp_f64_e32 v[103:104], v[101:102]
	v_fma_f64 v[105:106], -v[101:102], v[103:104], 1.0
	v_fma_f64 v[103:104], v[103:104], v[105:106], v[103:104]
	v_div_scale_f64 v[105:106], vcc, v[97:98], v[99:100], v[97:98]
	v_fma_f64 v[107:108], -v[101:102], v[103:104], 1.0
	v_fma_f64 v[103:104], v[103:104], v[107:108], v[103:104]
	v_mul_f64 v[107:108], v[105:106], v[103:104]
	v_fma_f64 v[101:102], -v[101:102], v[107:108], v[105:106]
	v_div_fmas_f64 v[101:102], v[101:102], v[103:104], v[107:108]
	v_div_fixup_f64 v[101:102], v[101:102], v[99:100], v[97:98]
	v_fma_f64 v[97:98], v[97:98], v[101:102], v[99:100]
	v_div_scale_f64 v[99:100], s[6:7], v[97:98], v[97:98], 1.0
	v_div_scale_f64 v[107:108], vcc, 1.0, v[97:98], 1.0
	v_rcp_f64_e32 v[103:104], v[99:100]
	v_fma_f64 v[105:106], -v[99:100], v[103:104], 1.0
	v_fma_f64 v[103:104], v[103:104], v[105:106], v[103:104]
	v_fma_f64 v[105:106], -v[99:100], v[103:104], 1.0
	v_fma_f64 v[103:104], v[103:104], v[105:106], v[103:104]
	v_mul_f64 v[105:106], v[107:108], v[103:104]
	v_fma_f64 v[99:100], -v[99:100], v[105:106], v[107:108]
	v_div_fmas_f64 v[99:100], v[99:100], v[103:104], v[105:106]
	v_div_fixup_f64 v[103:104], v[99:100], v[97:98], 1.0
                                        ; implicit-def: $vgpr97_vgpr98
	v_mul_f64 v[101:102], v[101:102], v[103:104]
	v_xor_b32_e32 v104, 0x80000000, v104
.LBB69_41:
	s_andn2_saveexec_b64 s[2:3], s[2:3]
	s_cbranch_execz .LBB69_43
; %bb.42:
	v_div_scale_f64 v[101:102], s[6:7], v[97:98], v[97:98], v[99:100]
	v_rcp_f64_e32 v[103:104], v[101:102]
	v_fma_f64 v[105:106], -v[101:102], v[103:104], 1.0
	v_fma_f64 v[103:104], v[103:104], v[105:106], v[103:104]
	v_div_scale_f64 v[105:106], vcc, v[99:100], v[97:98], v[99:100]
	v_fma_f64 v[107:108], -v[101:102], v[103:104], 1.0
	v_fma_f64 v[103:104], v[103:104], v[107:108], v[103:104]
	v_mul_f64 v[107:108], v[105:106], v[103:104]
	v_fma_f64 v[101:102], -v[101:102], v[107:108], v[105:106]
	v_div_fmas_f64 v[101:102], v[101:102], v[103:104], v[107:108]
	v_div_fixup_f64 v[103:104], v[101:102], v[97:98], v[99:100]
	v_fma_f64 v[97:98], v[99:100], v[103:104], v[97:98]
	v_div_scale_f64 v[99:100], s[6:7], v[97:98], v[97:98], 1.0
	v_div_scale_f64 v[107:108], vcc, 1.0, v[97:98], 1.0
	v_rcp_f64_e32 v[101:102], v[99:100]
	v_fma_f64 v[105:106], -v[99:100], v[101:102], 1.0
	v_fma_f64 v[101:102], v[101:102], v[105:106], v[101:102]
	v_fma_f64 v[105:106], -v[99:100], v[101:102], 1.0
	v_fma_f64 v[101:102], v[101:102], v[105:106], v[101:102]
	v_mul_f64 v[105:106], v[107:108], v[101:102]
	v_fma_f64 v[99:100], -v[99:100], v[105:106], v[107:108]
	v_div_fmas_f64 v[99:100], v[99:100], v[101:102], v[105:106]
	v_div_fixup_f64 v[101:102], v[99:100], v[97:98], 1.0
	v_mul_f64 v[103:104], v[103:104], -v[101:102]
.LBB69_43:
	s_or_b64 exec, exec, s[2:3]
	ds_write2_b64 v127, v[101:102], v[103:104] offset1:1
.LBB69_44:
	s_or_b64 exec, exec, s[4:5]
	s_waitcnt lgkmcnt(0)
	s_barrier
	ds_read2_b64 v[97:100], v127 offset1:1
	v_cmp_lt_u32_e32 vcc, 4, v0
	s_waitcnt lgkmcnt(0)
	buffer_store_dword v97, off, s[20:23], 0 offset:520 ; 4-byte Folded Spill
	s_nop 0
	buffer_store_dword v98, off, s[20:23], 0 offset:524 ; 4-byte Folded Spill
	buffer_store_dword v99, off, s[20:23], 0 offset:528 ; 4-byte Folded Spill
	;; [unrolled: 1-line block ×3, first 2 shown]
	s_and_saveexec_b64 s[2:3], vcc
	s_cbranch_execz .LBB69_46
; %bb.45:
	buffer_load_dword v117, off, s[20:23], 0 offset:112 ; 4-byte Folded Reload
	buffer_load_dword v118, off, s[20:23], 0 offset:116 ; 4-byte Folded Reload
	;; [unrolled: 1-line block ×8, first 2 shown]
	s_waitcnt vmcnt(0)
	v_mul_f64 v[97:98], v[101:102], v[119:120]
	v_fma_f64 v[97:98], v[99:100], v[117:118], -v[97:98]
	v_mul_f64 v[99:100], v[99:100], v[119:120]
	v_fma_f64 v[119:120], v[101:102], v[117:118], v[99:100]
	ds_read2_b64 v[99:102], v125 offset0:10 offset1:11
	buffer_load_dword v105, off, s[20:23], 0 offset:96 ; 4-byte Folded Reload
	buffer_load_dword v106, off, s[20:23], 0 offset:100 ; 4-byte Folded Reload
	;; [unrolled: 1-line block ×4, first 2 shown]
	v_mov_b32_e32 v118, v98
	v_mov_b32_e32 v117, v97
	s_waitcnt lgkmcnt(0)
	v_mul_f64 v[103:104], v[101:102], v[119:120]
	v_fma_f64 v[103:104], v[99:100], v[97:98], -v[103:104]
	v_mul_f64 v[99:100], v[99:100], v[119:120]
	v_fma_f64 v[99:100], v[101:102], v[97:98], v[99:100]
	s_waitcnt vmcnt(2)
	v_add_f64 v[105:106], v[105:106], -v[103:104]
	s_waitcnt vmcnt(0)
	v_add_f64 v[107:108], v[107:108], -v[99:100]
	buffer_store_dword v105, off, s[20:23], 0 offset:96 ; 4-byte Folded Spill
	s_nop 0
	buffer_store_dword v106, off, s[20:23], 0 offset:100 ; 4-byte Folded Spill
	buffer_store_dword v107, off, s[20:23], 0 offset:104 ; 4-byte Folded Spill
	buffer_store_dword v108, off, s[20:23], 0 offset:108 ; 4-byte Folded Spill
	ds_read2_b64 v[99:102], v125 offset0:12 offset1:13
	buffer_load_dword v105, off, s[20:23], 0 offset:80 ; 4-byte Folded Reload
	buffer_load_dword v106, off, s[20:23], 0 offset:84 ; 4-byte Folded Reload
	buffer_load_dword v107, off, s[20:23], 0 offset:88 ; 4-byte Folded Reload
	buffer_load_dword v108, off, s[20:23], 0 offset:92 ; 4-byte Folded Reload
	s_waitcnt lgkmcnt(0)
	v_mul_f64 v[103:104], v[101:102], v[119:120]
	v_fma_f64 v[103:104], v[99:100], v[97:98], -v[103:104]
	v_mul_f64 v[99:100], v[99:100], v[119:120]
	v_fma_f64 v[99:100], v[101:102], v[97:98], v[99:100]
	s_waitcnt vmcnt(2)
	v_add_f64 v[105:106], v[105:106], -v[103:104]
	s_waitcnt vmcnt(0)
	v_add_f64 v[107:108], v[107:108], -v[99:100]
	buffer_store_dword v105, off, s[20:23], 0 offset:80 ; 4-byte Folded Spill
	s_nop 0
	buffer_store_dword v106, off, s[20:23], 0 offset:84 ; 4-byte Folded Spill
	buffer_store_dword v107, off, s[20:23], 0 offset:88 ; 4-byte Folded Spill
	buffer_store_dword v108, off, s[20:23], 0 offset:92 ; 4-byte Folded Spill
	ds_read2_b64 v[99:102], v125 offset0:14 offset1:15
	buffer_load_dword v105, off, s[20:23], 0 offset:64 ; 4-byte Folded Reload
	buffer_load_dword v106, off, s[20:23], 0 offset:68 ; 4-byte Folded Reload
	buffer_load_dword v107, off, s[20:23], 0 offset:72 ; 4-byte Folded Reload
	buffer_load_dword v108, off, s[20:23], 0 offset:76 ; 4-byte Folded Reload
	;; [unrolled: 19-line block ×5, first 2 shown]
	s_waitcnt lgkmcnt(0)
	v_mul_f64 v[103:104], v[101:102], v[119:120]
	v_fma_f64 v[103:104], v[99:100], v[97:98], -v[103:104]
	v_mul_f64 v[99:100], v[99:100], v[119:120]
	v_fma_f64 v[99:100], v[101:102], v[97:98], v[99:100]
	s_waitcnt vmcnt(2)
	v_add_f64 v[81:82], v[81:82], -v[103:104]
	s_waitcnt vmcnt(0)
	v_add_f64 v[83:84], v[83:84], -v[99:100]
	buffer_store_dword v81, off, s[20:23], 0 offset:16 ; 4-byte Folded Spill
	s_nop 0
	buffer_store_dword v82, off, s[20:23], 0 offset:20 ; 4-byte Folded Spill
	buffer_store_dword v83, off, s[20:23], 0 offset:24 ; 4-byte Folded Spill
	;; [unrolled: 1-line block ×3, first 2 shown]
	ds_read2_b64 v[99:102], v125 offset0:22 offset1:23
	buffer_load_dword v81, off, s[20:23], 0 ; 4-byte Folded Reload
	buffer_load_dword v82, off, s[20:23], 0 offset:4 ; 4-byte Folded Reload
	buffer_load_dword v83, off, s[20:23], 0 offset:8 ; 4-byte Folded Reload
	;; [unrolled: 1-line block ×3, first 2 shown]
	s_waitcnt lgkmcnt(0)
	v_mul_f64 v[103:104], v[101:102], v[119:120]
	v_fma_f64 v[103:104], v[99:100], v[97:98], -v[103:104]
	v_mul_f64 v[99:100], v[99:100], v[119:120]
	v_fma_f64 v[99:100], v[101:102], v[97:98], v[99:100]
	s_waitcnt vmcnt(2)
	v_add_f64 v[81:82], v[81:82], -v[103:104]
	s_waitcnt vmcnt(0)
	v_add_f64 v[83:84], v[83:84], -v[99:100]
	buffer_store_dword v81, off, s[20:23], 0 ; 4-byte Folded Spill
	s_nop 0
	buffer_store_dword v82, off, s[20:23], 0 offset:4 ; 4-byte Folded Spill
	buffer_store_dword v83, off, s[20:23], 0 offset:8 ; 4-byte Folded Spill
	;; [unrolled: 1-line block ×3, first 2 shown]
	ds_read2_b64 v[99:102], v125 offset0:24 offset1:25
	s_waitcnt lgkmcnt(0)
	v_mul_f64 v[103:104], v[101:102], v[119:120]
	v_fma_f64 v[103:104], v[99:100], v[97:98], -v[103:104]
	v_mul_f64 v[99:100], v[99:100], v[119:120]
	v_add_f64 v[113:114], v[113:114], -v[103:104]
	v_fma_f64 v[99:100], v[101:102], v[97:98], v[99:100]
	v_add_f64 v[115:116], v[115:116], -v[99:100]
	ds_read2_b64 v[99:102], v125 offset0:26 offset1:27
	s_waitcnt lgkmcnt(0)
	v_mul_f64 v[103:104], v[101:102], v[119:120]
	v_fma_f64 v[103:104], v[99:100], v[97:98], -v[103:104]
	v_mul_f64 v[99:100], v[99:100], v[119:120]
	v_add_f64 v[93:94], v[93:94], -v[103:104]
	v_fma_f64 v[99:100], v[101:102], v[97:98], v[99:100]
	v_add_f64 v[95:96], v[95:96], -v[99:100]
	;; [unrolled: 8-line block ×22, first 2 shown]
	ds_read2_b64 v[99:102], v125 offset0:68 offset1:69
	s_waitcnt lgkmcnt(0)
	v_mul_f64 v[103:104], v[101:102], v[119:120]
	v_fma_f64 v[103:104], v[99:100], v[97:98], -v[103:104]
	v_mul_f64 v[99:100], v[99:100], v[119:120]
	buffer_store_dword v117, off, s[20:23], 0 offset:112 ; 4-byte Folded Spill
	s_nop 0
	buffer_store_dword v118, off, s[20:23], 0 offset:116 ; 4-byte Folded Spill
	buffer_store_dword v119, off, s[20:23], 0 offset:120 ; 4-byte Folded Spill
	;; [unrolled: 1-line block ×3, first 2 shown]
	v_add_f64 v[121:122], v[121:122], -v[103:104]
	v_fma_f64 v[99:100], v[101:102], v[97:98], v[99:100]
	v_add_f64 v[123:124], v[123:124], -v[99:100]
.LBB69_46:
	s_or_b64 exec, exec, s[2:3]
	v_cmp_eq_u32_e32 vcc, 5, v0
	s_waitcnt vmcnt(0)
	s_barrier
	s_and_saveexec_b64 s[4:5], vcc
	s_cbranch_execz .LBB69_53
; %bb.47:
	buffer_load_dword v97, off, s[20:23], 0 offset:96 ; 4-byte Folded Reload
	buffer_load_dword v98, off, s[20:23], 0 offset:100 ; 4-byte Folded Reload
	;; [unrolled: 1-line block ×4, first 2 shown]
	s_waitcnt vmcnt(0)
	ds_write2_b64 v127, v[97:98], v[99:100] offset1:1
	buffer_load_dword v97, off, s[20:23], 0 offset:80 ; 4-byte Folded Reload
	buffer_load_dword v98, off, s[20:23], 0 offset:84 ; 4-byte Folded Reload
	buffer_load_dword v99, off, s[20:23], 0 offset:88 ; 4-byte Folded Reload
	buffer_load_dword v100, off, s[20:23], 0 offset:92 ; 4-byte Folded Reload
	s_waitcnt vmcnt(0)
	ds_write2_b64 v125, v[97:98], v[99:100] offset0:12 offset1:13
	buffer_load_dword v97, off, s[20:23], 0 offset:64 ; 4-byte Folded Reload
	buffer_load_dword v98, off, s[20:23], 0 offset:68 ; 4-byte Folded Reload
	buffer_load_dword v99, off, s[20:23], 0 offset:72 ; 4-byte Folded Reload
	buffer_load_dword v100, off, s[20:23], 0 offset:76 ; 4-byte Folded Reload
	s_waitcnt vmcnt(0)
	ds_write2_b64 v125, v[97:98], v[99:100] offset0:14 offset1:15
	;; [unrolled: 6-line block ×5, first 2 shown]
	buffer_load_dword v81, off, s[20:23], 0 ; 4-byte Folded Reload
	buffer_load_dword v82, off, s[20:23], 0 offset:4 ; 4-byte Folded Reload
	buffer_load_dword v83, off, s[20:23], 0 offset:8 ; 4-byte Folded Reload
	;; [unrolled: 1-line block ×3, first 2 shown]
	s_waitcnt vmcnt(0)
	ds_write2_b64 v125, v[81:82], v[83:84] offset0:22 offset1:23
	ds_write2_b64 v125, v[113:114], v[115:116] offset0:24 offset1:25
	ds_write2_b64 v125, v[93:94], v[95:96] offset0:26 offset1:27
	ds_write2_b64 v125, v[77:78], v[79:80] offset0:28 offset1:29
	ds_write2_b64 v125, v[73:74], v[75:76] offset0:30 offset1:31
	ds_write2_b64 v125, v[69:70], v[71:72] offset0:32 offset1:33
	ds_write2_b64 v125, v[65:66], v[67:68] offset0:34 offset1:35
	ds_write2_b64 v125, v[61:62], v[63:64] offset0:36 offset1:37
	ds_write2_b64 v125, v[57:58], v[59:60] offset0:38 offset1:39
	ds_write2_b64 v125, v[53:54], v[55:56] offset0:40 offset1:41
	ds_write2_b64 v125, v[49:50], v[51:52] offset0:42 offset1:43
	ds_write2_b64 v125, v[45:46], v[47:48] offset0:44 offset1:45
	ds_write2_b64 v125, v[41:42], v[43:44] offset0:46 offset1:47
	ds_write2_b64 v125, v[37:38], v[39:40] offset0:48 offset1:49
	ds_write2_b64 v125, v[33:34], v[35:36] offset0:50 offset1:51
	ds_write2_b64 v125, v[29:30], v[31:32] offset0:52 offset1:53
	ds_write2_b64 v125, v[25:26], v[27:28] offset0:54 offset1:55
	ds_write2_b64 v125, v[21:22], v[23:24] offset0:56 offset1:57
	ds_write2_b64 v125, v[17:18], v[19:20] offset0:58 offset1:59
	ds_write2_b64 v125, v[13:14], v[15:16] offset0:60 offset1:61
	ds_write2_b64 v125, v[9:10], v[11:12] offset0:62 offset1:63
	ds_write2_b64 v125, v[5:6], v[7:8] offset0:64 offset1:65
	ds_write2_b64 v125, v[1:2], v[3:4] offset0:66 offset1:67
	ds_write2_b64 v125, v[121:122], v[123:124] offset0:68 offset1:69
	ds_read2_b64 v[97:100], v127 offset1:1
	s_waitcnt lgkmcnt(0)
	v_cmp_neq_f64_e32 vcc, 0, v[97:98]
	v_cmp_neq_f64_e64 s[2:3], 0, v[99:100]
	s_or_b64 s[2:3], vcc, s[2:3]
	s_and_b64 exec, exec, s[2:3]
	s_cbranch_execz .LBB69_53
; %bb.48:
	v_cmp_ngt_f64_e64 s[2:3], |v[97:98]|, |v[99:100]|
                                        ; implicit-def: $vgpr101_vgpr102
	s_and_saveexec_b64 s[6:7], s[2:3]
	s_xor_b64 s[2:3], exec, s[6:7]
                                        ; implicit-def: $vgpr103_vgpr104
	s_cbranch_execz .LBB69_50
; %bb.49:
	v_div_scale_f64 v[101:102], s[6:7], v[99:100], v[99:100], v[97:98]
	v_rcp_f64_e32 v[103:104], v[101:102]
	v_fma_f64 v[105:106], -v[101:102], v[103:104], 1.0
	v_fma_f64 v[103:104], v[103:104], v[105:106], v[103:104]
	v_div_scale_f64 v[105:106], vcc, v[97:98], v[99:100], v[97:98]
	v_fma_f64 v[107:108], -v[101:102], v[103:104], 1.0
	v_fma_f64 v[103:104], v[103:104], v[107:108], v[103:104]
	v_mul_f64 v[107:108], v[105:106], v[103:104]
	v_fma_f64 v[101:102], -v[101:102], v[107:108], v[105:106]
	v_div_fmas_f64 v[101:102], v[101:102], v[103:104], v[107:108]
	v_div_fixup_f64 v[101:102], v[101:102], v[99:100], v[97:98]
	v_fma_f64 v[97:98], v[97:98], v[101:102], v[99:100]
	v_div_scale_f64 v[99:100], s[6:7], v[97:98], v[97:98], 1.0
	v_div_scale_f64 v[107:108], vcc, 1.0, v[97:98], 1.0
	v_rcp_f64_e32 v[103:104], v[99:100]
	v_fma_f64 v[105:106], -v[99:100], v[103:104], 1.0
	v_fma_f64 v[103:104], v[103:104], v[105:106], v[103:104]
	v_fma_f64 v[105:106], -v[99:100], v[103:104], 1.0
	v_fma_f64 v[103:104], v[103:104], v[105:106], v[103:104]
	v_mul_f64 v[105:106], v[107:108], v[103:104]
	v_fma_f64 v[99:100], -v[99:100], v[105:106], v[107:108]
	v_div_fmas_f64 v[99:100], v[99:100], v[103:104], v[105:106]
	v_div_fixup_f64 v[103:104], v[99:100], v[97:98], 1.0
                                        ; implicit-def: $vgpr97_vgpr98
	v_mul_f64 v[101:102], v[101:102], v[103:104]
	v_xor_b32_e32 v104, 0x80000000, v104
.LBB69_50:
	s_andn2_saveexec_b64 s[2:3], s[2:3]
	s_cbranch_execz .LBB69_52
; %bb.51:
	v_div_scale_f64 v[101:102], s[6:7], v[97:98], v[97:98], v[99:100]
	v_rcp_f64_e32 v[103:104], v[101:102]
	v_fma_f64 v[105:106], -v[101:102], v[103:104], 1.0
	v_fma_f64 v[103:104], v[103:104], v[105:106], v[103:104]
	v_div_scale_f64 v[105:106], vcc, v[99:100], v[97:98], v[99:100]
	v_fma_f64 v[107:108], -v[101:102], v[103:104], 1.0
	v_fma_f64 v[103:104], v[103:104], v[107:108], v[103:104]
	v_mul_f64 v[107:108], v[105:106], v[103:104]
	v_fma_f64 v[101:102], -v[101:102], v[107:108], v[105:106]
	v_div_fmas_f64 v[101:102], v[101:102], v[103:104], v[107:108]
	v_div_fixup_f64 v[103:104], v[101:102], v[97:98], v[99:100]
	v_fma_f64 v[97:98], v[99:100], v[103:104], v[97:98]
	v_div_scale_f64 v[99:100], s[6:7], v[97:98], v[97:98], 1.0
	v_div_scale_f64 v[107:108], vcc, 1.0, v[97:98], 1.0
	v_rcp_f64_e32 v[101:102], v[99:100]
	v_fma_f64 v[105:106], -v[99:100], v[101:102], 1.0
	v_fma_f64 v[101:102], v[101:102], v[105:106], v[101:102]
	v_fma_f64 v[105:106], -v[99:100], v[101:102], 1.0
	v_fma_f64 v[101:102], v[101:102], v[105:106], v[101:102]
	v_mul_f64 v[105:106], v[107:108], v[101:102]
	v_fma_f64 v[99:100], -v[99:100], v[105:106], v[107:108]
	v_div_fmas_f64 v[99:100], v[99:100], v[101:102], v[105:106]
	v_div_fixup_f64 v[101:102], v[99:100], v[97:98], 1.0
	v_mul_f64 v[103:104], v[103:104], -v[101:102]
.LBB69_52:
	s_or_b64 exec, exec, s[2:3]
	ds_write2_b64 v127, v[101:102], v[103:104] offset1:1
.LBB69_53:
	s_or_b64 exec, exec, s[4:5]
	s_waitcnt lgkmcnt(0)
	s_barrier
	ds_read2_b64 v[97:100], v127 offset1:1
	v_cmp_lt_u32_e32 vcc, 5, v0
	s_waitcnt lgkmcnt(0)
	buffer_store_dword v97, off, s[20:23], 0 offset:536 ; 4-byte Folded Spill
	s_nop 0
	buffer_store_dword v98, off, s[20:23], 0 offset:540 ; 4-byte Folded Spill
	buffer_store_dword v99, off, s[20:23], 0 offset:544 ; 4-byte Folded Spill
	buffer_store_dword v100, off, s[20:23], 0 offset:548 ; 4-byte Folded Spill
	s_and_saveexec_b64 s[2:3], vcc
	s_cbranch_execz .LBB69_55
; %bb.54:
	buffer_load_dword v117, off, s[20:23], 0 offset:96 ; 4-byte Folded Reload
	buffer_load_dword v118, off, s[20:23], 0 offset:100 ; 4-byte Folded Reload
	;; [unrolled: 1-line block ×8, first 2 shown]
	s_waitcnt vmcnt(0)
	v_mul_f64 v[97:98], v[101:102], v[119:120]
	v_fma_f64 v[97:98], v[99:100], v[117:118], -v[97:98]
	v_mul_f64 v[99:100], v[99:100], v[119:120]
	v_fma_f64 v[119:120], v[101:102], v[117:118], v[99:100]
	ds_read2_b64 v[99:102], v125 offset0:12 offset1:13
	buffer_load_dword v105, off, s[20:23], 0 offset:80 ; 4-byte Folded Reload
	buffer_load_dword v106, off, s[20:23], 0 offset:84 ; 4-byte Folded Reload
	;; [unrolled: 1-line block ×4, first 2 shown]
	v_mov_b32_e32 v118, v98
	v_mov_b32_e32 v117, v97
	s_waitcnt lgkmcnt(0)
	v_mul_f64 v[103:104], v[101:102], v[119:120]
	v_fma_f64 v[103:104], v[99:100], v[97:98], -v[103:104]
	v_mul_f64 v[99:100], v[99:100], v[119:120]
	v_fma_f64 v[99:100], v[101:102], v[97:98], v[99:100]
	s_waitcnt vmcnt(2)
	v_add_f64 v[105:106], v[105:106], -v[103:104]
	s_waitcnt vmcnt(0)
	v_add_f64 v[107:108], v[107:108], -v[99:100]
	buffer_store_dword v105, off, s[20:23], 0 offset:80 ; 4-byte Folded Spill
	s_nop 0
	buffer_store_dword v106, off, s[20:23], 0 offset:84 ; 4-byte Folded Spill
	buffer_store_dword v107, off, s[20:23], 0 offset:88 ; 4-byte Folded Spill
	buffer_store_dword v108, off, s[20:23], 0 offset:92 ; 4-byte Folded Spill
	ds_read2_b64 v[99:102], v125 offset0:14 offset1:15
	buffer_load_dword v105, off, s[20:23], 0 offset:64 ; 4-byte Folded Reload
	buffer_load_dword v106, off, s[20:23], 0 offset:68 ; 4-byte Folded Reload
	buffer_load_dword v107, off, s[20:23], 0 offset:72 ; 4-byte Folded Reload
	buffer_load_dword v108, off, s[20:23], 0 offset:76 ; 4-byte Folded Reload
	s_waitcnt lgkmcnt(0)
	v_mul_f64 v[103:104], v[101:102], v[119:120]
	v_fma_f64 v[103:104], v[99:100], v[97:98], -v[103:104]
	v_mul_f64 v[99:100], v[99:100], v[119:120]
	v_fma_f64 v[99:100], v[101:102], v[97:98], v[99:100]
	s_waitcnt vmcnt(2)
	v_add_f64 v[105:106], v[105:106], -v[103:104]
	s_waitcnt vmcnt(0)
	v_add_f64 v[107:108], v[107:108], -v[99:100]
	buffer_store_dword v105, off, s[20:23], 0 offset:64 ; 4-byte Folded Spill
	s_nop 0
	buffer_store_dword v106, off, s[20:23], 0 offset:68 ; 4-byte Folded Spill
	buffer_store_dword v107, off, s[20:23], 0 offset:72 ; 4-byte Folded Spill
	buffer_store_dword v108, off, s[20:23], 0 offset:76 ; 4-byte Folded Spill
	ds_read2_b64 v[99:102], v125 offset0:16 offset1:17
	buffer_load_dword v105, off, s[20:23], 0 offset:48 ; 4-byte Folded Reload
	buffer_load_dword v106, off, s[20:23], 0 offset:52 ; 4-byte Folded Reload
	buffer_load_dword v107, off, s[20:23], 0 offset:56 ; 4-byte Folded Reload
	buffer_load_dword v108, off, s[20:23], 0 offset:60 ; 4-byte Folded Reload
	;; [unrolled: 19-line block ×4, first 2 shown]
	s_waitcnt lgkmcnt(0)
	v_mul_f64 v[103:104], v[101:102], v[119:120]
	v_fma_f64 v[103:104], v[99:100], v[97:98], -v[103:104]
	v_mul_f64 v[99:100], v[99:100], v[119:120]
	v_fma_f64 v[99:100], v[101:102], v[97:98], v[99:100]
	s_waitcnt vmcnt(2)
	v_add_f64 v[81:82], v[81:82], -v[103:104]
	s_waitcnt vmcnt(0)
	v_add_f64 v[83:84], v[83:84], -v[99:100]
	buffer_store_dword v81, off, s[20:23], 0 offset:16 ; 4-byte Folded Spill
	s_nop 0
	buffer_store_dword v82, off, s[20:23], 0 offset:20 ; 4-byte Folded Spill
	buffer_store_dword v83, off, s[20:23], 0 offset:24 ; 4-byte Folded Spill
	;; [unrolled: 1-line block ×3, first 2 shown]
	ds_read2_b64 v[99:102], v125 offset0:22 offset1:23
	buffer_load_dword v81, off, s[20:23], 0 ; 4-byte Folded Reload
	buffer_load_dword v82, off, s[20:23], 0 offset:4 ; 4-byte Folded Reload
	buffer_load_dword v83, off, s[20:23], 0 offset:8 ; 4-byte Folded Reload
	;; [unrolled: 1-line block ×3, first 2 shown]
	s_waitcnt lgkmcnt(0)
	v_mul_f64 v[103:104], v[101:102], v[119:120]
	v_fma_f64 v[103:104], v[99:100], v[97:98], -v[103:104]
	v_mul_f64 v[99:100], v[99:100], v[119:120]
	v_fma_f64 v[99:100], v[101:102], v[97:98], v[99:100]
	s_waitcnt vmcnt(2)
	v_add_f64 v[81:82], v[81:82], -v[103:104]
	s_waitcnt vmcnt(0)
	v_add_f64 v[83:84], v[83:84], -v[99:100]
	buffer_store_dword v81, off, s[20:23], 0 ; 4-byte Folded Spill
	s_nop 0
	buffer_store_dword v82, off, s[20:23], 0 offset:4 ; 4-byte Folded Spill
	buffer_store_dword v83, off, s[20:23], 0 offset:8 ; 4-byte Folded Spill
	;; [unrolled: 1-line block ×3, first 2 shown]
	ds_read2_b64 v[99:102], v125 offset0:24 offset1:25
	s_waitcnt lgkmcnt(0)
	v_mul_f64 v[103:104], v[101:102], v[119:120]
	v_fma_f64 v[103:104], v[99:100], v[97:98], -v[103:104]
	v_mul_f64 v[99:100], v[99:100], v[119:120]
	v_add_f64 v[113:114], v[113:114], -v[103:104]
	v_fma_f64 v[99:100], v[101:102], v[97:98], v[99:100]
	v_add_f64 v[115:116], v[115:116], -v[99:100]
	ds_read2_b64 v[99:102], v125 offset0:26 offset1:27
	s_waitcnt lgkmcnt(0)
	v_mul_f64 v[103:104], v[101:102], v[119:120]
	v_fma_f64 v[103:104], v[99:100], v[97:98], -v[103:104]
	v_mul_f64 v[99:100], v[99:100], v[119:120]
	v_add_f64 v[93:94], v[93:94], -v[103:104]
	v_fma_f64 v[99:100], v[101:102], v[97:98], v[99:100]
	v_add_f64 v[95:96], v[95:96], -v[99:100]
	;; [unrolled: 8-line block ×22, first 2 shown]
	ds_read2_b64 v[99:102], v125 offset0:68 offset1:69
	s_waitcnt lgkmcnt(0)
	v_mul_f64 v[103:104], v[101:102], v[119:120]
	v_fma_f64 v[103:104], v[99:100], v[97:98], -v[103:104]
	v_mul_f64 v[99:100], v[99:100], v[119:120]
	buffer_store_dword v117, off, s[20:23], 0 offset:96 ; 4-byte Folded Spill
	s_nop 0
	buffer_store_dword v118, off, s[20:23], 0 offset:100 ; 4-byte Folded Spill
	buffer_store_dword v119, off, s[20:23], 0 offset:104 ; 4-byte Folded Spill
	;; [unrolled: 1-line block ×3, first 2 shown]
	v_add_f64 v[121:122], v[121:122], -v[103:104]
	v_fma_f64 v[99:100], v[101:102], v[97:98], v[99:100]
	v_add_f64 v[123:124], v[123:124], -v[99:100]
.LBB69_55:
	s_or_b64 exec, exec, s[2:3]
	v_cmp_eq_u32_e32 vcc, 6, v0
	s_waitcnt vmcnt(0)
	s_barrier
	s_and_saveexec_b64 s[4:5], vcc
	s_cbranch_execz .LBB69_62
; %bb.56:
	buffer_load_dword v97, off, s[20:23], 0 offset:80 ; 4-byte Folded Reload
	buffer_load_dword v98, off, s[20:23], 0 offset:84 ; 4-byte Folded Reload
	;; [unrolled: 1-line block ×4, first 2 shown]
	s_waitcnt vmcnt(0)
	ds_write2_b64 v127, v[97:98], v[99:100] offset1:1
	buffer_load_dword v97, off, s[20:23], 0 offset:64 ; 4-byte Folded Reload
	buffer_load_dword v98, off, s[20:23], 0 offset:68 ; 4-byte Folded Reload
	buffer_load_dword v99, off, s[20:23], 0 offset:72 ; 4-byte Folded Reload
	buffer_load_dword v100, off, s[20:23], 0 offset:76 ; 4-byte Folded Reload
	s_waitcnt vmcnt(0)
	ds_write2_b64 v125, v[97:98], v[99:100] offset0:14 offset1:15
	buffer_load_dword v97, off, s[20:23], 0 offset:48 ; 4-byte Folded Reload
	buffer_load_dword v98, off, s[20:23], 0 offset:52 ; 4-byte Folded Reload
	buffer_load_dword v99, off, s[20:23], 0 offset:56 ; 4-byte Folded Reload
	buffer_load_dword v100, off, s[20:23], 0 offset:60 ; 4-byte Folded Reload
	s_waitcnt vmcnt(0)
	ds_write2_b64 v125, v[97:98], v[99:100] offset0:16 offset1:17
	;; [unrolled: 6-line block ×4, first 2 shown]
	buffer_load_dword v81, off, s[20:23], 0 ; 4-byte Folded Reload
	buffer_load_dword v82, off, s[20:23], 0 offset:4 ; 4-byte Folded Reload
	buffer_load_dword v83, off, s[20:23], 0 offset:8 ; 4-byte Folded Reload
	;; [unrolled: 1-line block ×3, first 2 shown]
	s_waitcnt vmcnt(0)
	ds_write2_b64 v125, v[81:82], v[83:84] offset0:22 offset1:23
	ds_write2_b64 v125, v[113:114], v[115:116] offset0:24 offset1:25
	;; [unrolled: 1-line block ×24, first 2 shown]
	ds_read2_b64 v[97:100], v127 offset1:1
	s_waitcnt lgkmcnt(0)
	v_cmp_neq_f64_e32 vcc, 0, v[97:98]
	v_cmp_neq_f64_e64 s[2:3], 0, v[99:100]
	s_or_b64 s[2:3], vcc, s[2:3]
	s_and_b64 exec, exec, s[2:3]
	s_cbranch_execz .LBB69_62
; %bb.57:
	v_cmp_ngt_f64_e64 s[2:3], |v[97:98]|, |v[99:100]|
                                        ; implicit-def: $vgpr101_vgpr102
	s_and_saveexec_b64 s[6:7], s[2:3]
	s_xor_b64 s[2:3], exec, s[6:7]
                                        ; implicit-def: $vgpr103_vgpr104
	s_cbranch_execz .LBB69_59
; %bb.58:
	v_div_scale_f64 v[101:102], s[6:7], v[99:100], v[99:100], v[97:98]
	v_rcp_f64_e32 v[103:104], v[101:102]
	v_fma_f64 v[105:106], -v[101:102], v[103:104], 1.0
	v_fma_f64 v[103:104], v[103:104], v[105:106], v[103:104]
	v_div_scale_f64 v[105:106], vcc, v[97:98], v[99:100], v[97:98]
	v_fma_f64 v[107:108], -v[101:102], v[103:104], 1.0
	v_fma_f64 v[103:104], v[103:104], v[107:108], v[103:104]
	v_mul_f64 v[107:108], v[105:106], v[103:104]
	v_fma_f64 v[101:102], -v[101:102], v[107:108], v[105:106]
	v_div_fmas_f64 v[101:102], v[101:102], v[103:104], v[107:108]
	v_div_fixup_f64 v[101:102], v[101:102], v[99:100], v[97:98]
	v_fma_f64 v[97:98], v[97:98], v[101:102], v[99:100]
	v_div_scale_f64 v[99:100], s[6:7], v[97:98], v[97:98], 1.0
	v_div_scale_f64 v[107:108], vcc, 1.0, v[97:98], 1.0
	v_rcp_f64_e32 v[103:104], v[99:100]
	v_fma_f64 v[105:106], -v[99:100], v[103:104], 1.0
	v_fma_f64 v[103:104], v[103:104], v[105:106], v[103:104]
	v_fma_f64 v[105:106], -v[99:100], v[103:104], 1.0
	v_fma_f64 v[103:104], v[103:104], v[105:106], v[103:104]
	v_mul_f64 v[105:106], v[107:108], v[103:104]
	v_fma_f64 v[99:100], -v[99:100], v[105:106], v[107:108]
	v_div_fmas_f64 v[99:100], v[99:100], v[103:104], v[105:106]
	v_div_fixup_f64 v[103:104], v[99:100], v[97:98], 1.0
                                        ; implicit-def: $vgpr97_vgpr98
	v_mul_f64 v[101:102], v[101:102], v[103:104]
	v_xor_b32_e32 v104, 0x80000000, v104
.LBB69_59:
	s_andn2_saveexec_b64 s[2:3], s[2:3]
	s_cbranch_execz .LBB69_61
; %bb.60:
	v_div_scale_f64 v[101:102], s[6:7], v[97:98], v[97:98], v[99:100]
	v_rcp_f64_e32 v[103:104], v[101:102]
	v_fma_f64 v[105:106], -v[101:102], v[103:104], 1.0
	v_fma_f64 v[103:104], v[103:104], v[105:106], v[103:104]
	v_div_scale_f64 v[105:106], vcc, v[99:100], v[97:98], v[99:100]
	v_fma_f64 v[107:108], -v[101:102], v[103:104], 1.0
	v_fma_f64 v[103:104], v[103:104], v[107:108], v[103:104]
	v_mul_f64 v[107:108], v[105:106], v[103:104]
	v_fma_f64 v[101:102], -v[101:102], v[107:108], v[105:106]
	v_div_fmas_f64 v[101:102], v[101:102], v[103:104], v[107:108]
	v_div_fixup_f64 v[103:104], v[101:102], v[97:98], v[99:100]
	v_fma_f64 v[97:98], v[99:100], v[103:104], v[97:98]
	v_div_scale_f64 v[99:100], s[6:7], v[97:98], v[97:98], 1.0
	v_div_scale_f64 v[107:108], vcc, 1.0, v[97:98], 1.0
	v_rcp_f64_e32 v[101:102], v[99:100]
	v_fma_f64 v[105:106], -v[99:100], v[101:102], 1.0
	v_fma_f64 v[101:102], v[101:102], v[105:106], v[101:102]
	v_fma_f64 v[105:106], -v[99:100], v[101:102], 1.0
	v_fma_f64 v[101:102], v[101:102], v[105:106], v[101:102]
	v_mul_f64 v[105:106], v[107:108], v[101:102]
	v_fma_f64 v[99:100], -v[99:100], v[105:106], v[107:108]
	v_div_fmas_f64 v[99:100], v[99:100], v[101:102], v[105:106]
	v_div_fixup_f64 v[101:102], v[99:100], v[97:98], 1.0
	v_mul_f64 v[103:104], v[103:104], -v[101:102]
.LBB69_61:
	s_or_b64 exec, exec, s[2:3]
	ds_write2_b64 v127, v[101:102], v[103:104] offset1:1
.LBB69_62:
	s_or_b64 exec, exec, s[4:5]
	s_waitcnt lgkmcnt(0)
	s_barrier
	ds_read2_b64 v[97:100], v127 offset1:1
	v_cmp_lt_u32_e32 vcc, 6, v0
	s_waitcnt lgkmcnt(0)
	buffer_store_dword v97, off, s[20:23], 0 offset:552 ; 4-byte Folded Spill
	s_nop 0
	buffer_store_dword v98, off, s[20:23], 0 offset:556 ; 4-byte Folded Spill
	buffer_store_dword v99, off, s[20:23], 0 offset:560 ; 4-byte Folded Spill
	;; [unrolled: 1-line block ×3, first 2 shown]
	s_and_saveexec_b64 s[2:3], vcc
	s_cbranch_execz .LBB69_64
; %bb.63:
	buffer_load_dword v117, off, s[20:23], 0 offset:80 ; 4-byte Folded Reload
	buffer_load_dword v118, off, s[20:23], 0 offset:84 ; 4-byte Folded Reload
	buffer_load_dword v119, off, s[20:23], 0 offset:88 ; 4-byte Folded Reload
	buffer_load_dword v120, off, s[20:23], 0 offset:92 ; 4-byte Folded Reload
	buffer_load_dword v99, off, s[20:23], 0 offset:552 ; 4-byte Folded Reload
	buffer_load_dword v100, off, s[20:23], 0 offset:556 ; 4-byte Folded Reload
	buffer_load_dword v101, off, s[20:23], 0 offset:560 ; 4-byte Folded Reload
	buffer_load_dword v102, off, s[20:23], 0 offset:564 ; 4-byte Folded Reload
	s_waitcnt vmcnt(0)
	v_mul_f64 v[97:98], v[101:102], v[119:120]
	v_fma_f64 v[97:98], v[99:100], v[117:118], -v[97:98]
	v_mul_f64 v[99:100], v[99:100], v[119:120]
	v_fma_f64 v[119:120], v[101:102], v[117:118], v[99:100]
	ds_read2_b64 v[99:102], v125 offset0:14 offset1:15
	buffer_load_dword v105, off, s[20:23], 0 offset:64 ; 4-byte Folded Reload
	buffer_load_dword v106, off, s[20:23], 0 offset:68 ; 4-byte Folded Reload
	;; [unrolled: 1-line block ×4, first 2 shown]
	v_mov_b32_e32 v118, v98
	v_mov_b32_e32 v117, v97
	s_waitcnt lgkmcnt(0)
	v_mul_f64 v[103:104], v[101:102], v[119:120]
	v_fma_f64 v[103:104], v[99:100], v[97:98], -v[103:104]
	v_mul_f64 v[99:100], v[99:100], v[119:120]
	v_fma_f64 v[99:100], v[101:102], v[97:98], v[99:100]
	s_waitcnt vmcnt(2)
	v_add_f64 v[105:106], v[105:106], -v[103:104]
	s_waitcnt vmcnt(0)
	v_add_f64 v[107:108], v[107:108], -v[99:100]
	buffer_store_dword v105, off, s[20:23], 0 offset:64 ; 4-byte Folded Spill
	s_nop 0
	buffer_store_dword v106, off, s[20:23], 0 offset:68 ; 4-byte Folded Spill
	buffer_store_dword v107, off, s[20:23], 0 offset:72 ; 4-byte Folded Spill
	buffer_store_dword v108, off, s[20:23], 0 offset:76 ; 4-byte Folded Spill
	ds_read2_b64 v[99:102], v125 offset0:16 offset1:17
	buffer_load_dword v105, off, s[20:23], 0 offset:48 ; 4-byte Folded Reload
	buffer_load_dword v106, off, s[20:23], 0 offset:52 ; 4-byte Folded Reload
	buffer_load_dword v107, off, s[20:23], 0 offset:56 ; 4-byte Folded Reload
	buffer_load_dword v108, off, s[20:23], 0 offset:60 ; 4-byte Folded Reload
	s_waitcnt lgkmcnt(0)
	v_mul_f64 v[103:104], v[101:102], v[119:120]
	v_fma_f64 v[103:104], v[99:100], v[97:98], -v[103:104]
	v_mul_f64 v[99:100], v[99:100], v[119:120]
	v_fma_f64 v[99:100], v[101:102], v[97:98], v[99:100]
	s_waitcnt vmcnt(2)
	v_add_f64 v[105:106], v[105:106], -v[103:104]
	s_waitcnt vmcnt(0)
	v_add_f64 v[107:108], v[107:108], -v[99:100]
	buffer_store_dword v105, off, s[20:23], 0 offset:48 ; 4-byte Folded Spill
	s_nop 0
	buffer_store_dword v106, off, s[20:23], 0 offset:52 ; 4-byte Folded Spill
	buffer_store_dword v107, off, s[20:23], 0 offset:56 ; 4-byte Folded Spill
	buffer_store_dword v108, off, s[20:23], 0 offset:60 ; 4-byte Folded Spill
	ds_read2_b64 v[99:102], v125 offset0:18 offset1:19
	buffer_load_dword v105, off, s[20:23], 0 offset:32 ; 4-byte Folded Reload
	buffer_load_dword v106, off, s[20:23], 0 offset:36 ; 4-byte Folded Reload
	buffer_load_dword v107, off, s[20:23], 0 offset:40 ; 4-byte Folded Reload
	buffer_load_dword v108, off, s[20:23], 0 offset:44 ; 4-byte Folded Reload
	;; [unrolled: 19-line block ×3, first 2 shown]
	s_waitcnt lgkmcnt(0)
	v_mul_f64 v[103:104], v[101:102], v[119:120]
	v_fma_f64 v[103:104], v[99:100], v[97:98], -v[103:104]
	v_mul_f64 v[99:100], v[99:100], v[119:120]
	v_fma_f64 v[99:100], v[101:102], v[97:98], v[99:100]
	s_waitcnt vmcnt(2)
	v_add_f64 v[81:82], v[81:82], -v[103:104]
	s_waitcnt vmcnt(0)
	v_add_f64 v[83:84], v[83:84], -v[99:100]
	buffer_store_dword v81, off, s[20:23], 0 offset:16 ; 4-byte Folded Spill
	s_nop 0
	buffer_store_dword v82, off, s[20:23], 0 offset:20 ; 4-byte Folded Spill
	buffer_store_dword v83, off, s[20:23], 0 offset:24 ; 4-byte Folded Spill
	;; [unrolled: 1-line block ×3, first 2 shown]
	ds_read2_b64 v[99:102], v125 offset0:22 offset1:23
	buffer_load_dword v81, off, s[20:23], 0 ; 4-byte Folded Reload
	buffer_load_dword v82, off, s[20:23], 0 offset:4 ; 4-byte Folded Reload
	buffer_load_dword v83, off, s[20:23], 0 offset:8 ; 4-byte Folded Reload
	;; [unrolled: 1-line block ×3, first 2 shown]
	s_waitcnt lgkmcnt(0)
	v_mul_f64 v[103:104], v[101:102], v[119:120]
	v_fma_f64 v[103:104], v[99:100], v[97:98], -v[103:104]
	v_mul_f64 v[99:100], v[99:100], v[119:120]
	v_fma_f64 v[99:100], v[101:102], v[97:98], v[99:100]
	s_waitcnt vmcnt(2)
	v_add_f64 v[81:82], v[81:82], -v[103:104]
	s_waitcnt vmcnt(0)
	v_add_f64 v[83:84], v[83:84], -v[99:100]
	buffer_store_dword v81, off, s[20:23], 0 ; 4-byte Folded Spill
	s_nop 0
	buffer_store_dword v82, off, s[20:23], 0 offset:4 ; 4-byte Folded Spill
	buffer_store_dword v83, off, s[20:23], 0 offset:8 ; 4-byte Folded Spill
	;; [unrolled: 1-line block ×3, first 2 shown]
	ds_read2_b64 v[99:102], v125 offset0:24 offset1:25
	s_waitcnt lgkmcnt(0)
	v_mul_f64 v[103:104], v[101:102], v[119:120]
	v_fma_f64 v[103:104], v[99:100], v[97:98], -v[103:104]
	v_mul_f64 v[99:100], v[99:100], v[119:120]
	v_add_f64 v[113:114], v[113:114], -v[103:104]
	v_fma_f64 v[99:100], v[101:102], v[97:98], v[99:100]
	v_add_f64 v[115:116], v[115:116], -v[99:100]
	ds_read2_b64 v[99:102], v125 offset0:26 offset1:27
	s_waitcnt lgkmcnt(0)
	v_mul_f64 v[103:104], v[101:102], v[119:120]
	v_fma_f64 v[103:104], v[99:100], v[97:98], -v[103:104]
	v_mul_f64 v[99:100], v[99:100], v[119:120]
	v_add_f64 v[93:94], v[93:94], -v[103:104]
	v_fma_f64 v[99:100], v[101:102], v[97:98], v[99:100]
	v_add_f64 v[95:96], v[95:96], -v[99:100]
	;; [unrolled: 8-line block ×22, first 2 shown]
	ds_read2_b64 v[99:102], v125 offset0:68 offset1:69
	s_waitcnt lgkmcnt(0)
	v_mul_f64 v[103:104], v[101:102], v[119:120]
	v_fma_f64 v[103:104], v[99:100], v[97:98], -v[103:104]
	v_mul_f64 v[99:100], v[99:100], v[119:120]
	buffer_store_dword v117, off, s[20:23], 0 offset:80 ; 4-byte Folded Spill
	s_nop 0
	buffer_store_dword v118, off, s[20:23], 0 offset:84 ; 4-byte Folded Spill
	buffer_store_dword v119, off, s[20:23], 0 offset:88 ; 4-byte Folded Spill
	;; [unrolled: 1-line block ×3, first 2 shown]
	v_add_f64 v[121:122], v[121:122], -v[103:104]
	v_fma_f64 v[99:100], v[101:102], v[97:98], v[99:100]
	v_add_f64 v[123:124], v[123:124], -v[99:100]
.LBB69_64:
	s_or_b64 exec, exec, s[2:3]
	v_cmp_eq_u32_e32 vcc, 7, v0
	s_waitcnt vmcnt(0)
	s_barrier
	s_and_saveexec_b64 s[4:5], vcc
	s_cbranch_execz .LBB69_71
; %bb.65:
	buffer_load_dword v97, off, s[20:23], 0 offset:64 ; 4-byte Folded Reload
	buffer_load_dword v98, off, s[20:23], 0 offset:68 ; 4-byte Folded Reload
	;; [unrolled: 1-line block ×4, first 2 shown]
	s_waitcnt vmcnt(0)
	ds_write2_b64 v127, v[97:98], v[99:100] offset1:1
	buffer_load_dword v97, off, s[20:23], 0 offset:48 ; 4-byte Folded Reload
	buffer_load_dword v98, off, s[20:23], 0 offset:52 ; 4-byte Folded Reload
	buffer_load_dword v99, off, s[20:23], 0 offset:56 ; 4-byte Folded Reload
	buffer_load_dword v100, off, s[20:23], 0 offset:60 ; 4-byte Folded Reload
	s_waitcnt vmcnt(0)
	ds_write2_b64 v125, v[97:98], v[99:100] offset0:16 offset1:17
	buffer_load_dword v97, off, s[20:23], 0 offset:32 ; 4-byte Folded Reload
	buffer_load_dword v98, off, s[20:23], 0 offset:36 ; 4-byte Folded Reload
	buffer_load_dword v99, off, s[20:23], 0 offset:40 ; 4-byte Folded Reload
	buffer_load_dword v100, off, s[20:23], 0 offset:44 ; 4-byte Folded Reload
	s_waitcnt vmcnt(0)
	ds_write2_b64 v125, v[97:98], v[99:100] offset0:18 offset1:19
	;; [unrolled: 6-line block ×3, first 2 shown]
	buffer_load_dword v81, off, s[20:23], 0 ; 4-byte Folded Reload
	buffer_load_dword v82, off, s[20:23], 0 offset:4 ; 4-byte Folded Reload
	buffer_load_dword v83, off, s[20:23], 0 offset:8 ; 4-byte Folded Reload
	;; [unrolled: 1-line block ×3, first 2 shown]
	s_waitcnt vmcnt(0)
	ds_write2_b64 v125, v[81:82], v[83:84] offset0:22 offset1:23
	ds_write2_b64 v125, v[113:114], v[115:116] offset0:24 offset1:25
	;; [unrolled: 1-line block ×24, first 2 shown]
	ds_read2_b64 v[97:100], v127 offset1:1
	s_waitcnt lgkmcnt(0)
	v_cmp_neq_f64_e32 vcc, 0, v[97:98]
	v_cmp_neq_f64_e64 s[2:3], 0, v[99:100]
	s_or_b64 s[2:3], vcc, s[2:3]
	s_and_b64 exec, exec, s[2:3]
	s_cbranch_execz .LBB69_71
; %bb.66:
	v_cmp_ngt_f64_e64 s[2:3], |v[97:98]|, |v[99:100]|
                                        ; implicit-def: $vgpr101_vgpr102
	s_and_saveexec_b64 s[6:7], s[2:3]
	s_xor_b64 s[2:3], exec, s[6:7]
                                        ; implicit-def: $vgpr103_vgpr104
	s_cbranch_execz .LBB69_68
; %bb.67:
	v_div_scale_f64 v[101:102], s[6:7], v[99:100], v[99:100], v[97:98]
	v_rcp_f64_e32 v[103:104], v[101:102]
	v_fma_f64 v[105:106], -v[101:102], v[103:104], 1.0
	v_fma_f64 v[103:104], v[103:104], v[105:106], v[103:104]
	v_div_scale_f64 v[105:106], vcc, v[97:98], v[99:100], v[97:98]
	v_fma_f64 v[107:108], -v[101:102], v[103:104], 1.0
	v_fma_f64 v[103:104], v[103:104], v[107:108], v[103:104]
	v_mul_f64 v[107:108], v[105:106], v[103:104]
	v_fma_f64 v[101:102], -v[101:102], v[107:108], v[105:106]
	v_div_fmas_f64 v[101:102], v[101:102], v[103:104], v[107:108]
	v_div_fixup_f64 v[101:102], v[101:102], v[99:100], v[97:98]
	v_fma_f64 v[97:98], v[97:98], v[101:102], v[99:100]
	v_div_scale_f64 v[99:100], s[6:7], v[97:98], v[97:98], 1.0
	v_div_scale_f64 v[107:108], vcc, 1.0, v[97:98], 1.0
	v_rcp_f64_e32 v[103:104], v[99:100]
	v_fma_f64 v[105:106], -v[99:100], v[103:104], 1.0
	v_fma_f64 v[103:104], v[103:104], v[105:106], v[103:104]
	v_fma_f64 v[105:106], -v[99:100], v[103:104], 1.0
	v_fma_f64 v[103:104], v[103:104], v[105:106], v[103:104]
	v_mul_f64 v[105:106], v[107:108], v[103:104]
	v_fma_f64 v[99:100], -v[99:100], v[105:106], v[107:108]
	v_div_fmas_f64 v[99:100], v[99:100], v[103:104], v[105:106]
	v_div_fixup_f64 v[103:104], v[99:100], v[97:98], 1.0
                                        ; implicit-def: $vgpr97_vgpr98
	v_mul_f64 v[101:102], v[101:102], v[103:104]
	v_xor_b32_e32 v104, 0x80000000, v104
.LBB69_68:
	s_andn2_saveexec_b64 s[2:3], s[2:3]
	s_cbranch_execz .LBB69_70
; %bb.69:
	v_div_scale_f64 v[101:102], s[6:7], v[97:98], v[97:98], v[99:100]
	v_rcp_f64_e32 v[103:104], v[101:102]
	v_fma_f64 v[105:106], -v[101:102], v[103:104], 1.0
	v_fma_f64 v[103:104], v[103:104], v[105:106], v[103:104]
	v_div_scale_f64 v[105:106], vcc, v[99:100], v[97:98], v[99:100]
	v_fma_f64 v[107:108], -v[101:102], v[103:104], 1.0
	v_fma_f64 v[103:104], v[103:104], v[107:108], v[103:104]
	v_mul_f64 v[107:108], v[105:106], v[103:104]
	v_fma_f64 v[101:102], -v[101:102], v[107:108], v[105:106]
	v_div_fmas_f64 v[101:102], v[101:102], v[103:104], v[107:108]
	v_div_fixup_f64 v[103:104], v[101:102], v[97:98], v[99:100]
	v_fma_f64 v[97:98], v[99:100], v[103:104], v[97:98]
	v_div_scale_f64 v[99:100], s[6:7], v[97:98], v[97:98], 1.0
	v_div_scale_f64 v[107:108], vcc, 1.0, v[97:98], 1.0
	v_rcp_f64_e32 v[101:102], v[99:100]
	v_fma_f64 v[105:106], -v[99:100], v[101:102], 1.0
	v_fma_f64 v[101:102], v[101:102], v[105:106], v[101:102]
	v_fma_f64 v[105:106], -v[99:100], v[101:102], 1.0
	v_fma_f64 v[101:102], v[101:102], v[105:106], v[101:102]
	v_mul_f64 v[105:106], v[107:108], v[101:102]
	v_fma_f64 v[99:100], -v[99:100], v[105:106], v[107:108]
	v_div_fmas_f64 v[99:100], v[99:100], v[101:102], v[105:106]
	v_div_fixup_f64 v[101:102], v[99:100], v[97:98], 1.0
	v_mul_f64 v[103:104], v[103:104], -v[101:102]
.LBB69_70:
	s_or_b64 exec, exec, s[2:3]
	ds_write2_b64 v127, v[101:102], v[103:104] offset1:1
.LBB69_71:
	s_or_b64 exec, exec, s[4:5]
	s_waitcnt lgkmcnt(0)
	s_barrier
	ds_read2_b64 v[97:100], v127 offset1:1
	v_cmp_lt_u32_e32 vcc, 7, v0
	s_waitcnt lgkmcnt(0)
	buffer_store_dword v97, off, s[20:23], 0 offset:568 ; 4-byte Folded Spill
	s_nop 0
	buffer_store_dword v98, off, s[20:23], 0 offset:572 ; 4-byte Folded Spill
	buffer_store_dword v99, off, s[20:23], 0 offset:576 ; 4-byte Folded Spill
	;; [unrolled: 1-line block ×3, first 2 shown]
	s_and_saveexec_b64 s[2:3], vcc
	s_cbranch_execz .LBB69_73
; %bb.72:
	buffer_load_dword v117, off, s[20:23], 0 offset:64 ; 4-byte Folded Reload
	buffer_load_dword v118, off, s[20:23], 0 offset:68 ; 4-byte Folded Reload
	;; [unrolled: 1-line block ×8, first 2 shown]
	s_waitcnt vmcnt(0)
	v_mul_f64 v[97:98], v[101:102], v[119:120]
	v_fma_f64 v[97:98], v[99:100], v[117:118], -v[97:98]
	v_mul_f64 v[99:100], v[99:100], v[119:120]
	v_fma_f64 v[119:120], v[101:102], v[117:118], v[99:100]
	ds_read2_b64 v[99:102], v125 offset0:16 offset1:17
	buffer_load_dword v105, off, s[20:23], 0 offset:48 ; 4-byte Folded Reload
	buffer_load_dword v106, off, s[20:23], 0 offset:52 ; 4-byte Folded Reload
	;; [unrolled: 1-line block ×4, first 2 shown]
	v_mov_b32_e32 v118, v98
	v_mov_b32_e32 v117, v97
	s_waitcnt lgkmcnt(0)
	v_mul_f64 v[103:104], v[101:102], v[119:120]
	v_fma_f64 v[103:104], v[99:100], v[97:98], -v[103:104]
	v_mul_f64 v[99:100], v[99:100], v[119:120]
	v_fma_f64 v[99:100], v[101:102], v[97:98], v[99:100]
	s_waitcnt vmcnt(2)
	v_add_f64 v[105:106], v[105:106], -v[103:104]
	s_waitcnt vmcnt(0)
	v_add_f64 v[107:108], v[107:108], -v[99:100]
	buffer_store_dword v105, off, s[20:23], 0 offset:48 ; 4-byte Folded Spill
	s_nop 0
	buffer_store_dword v106, off, s[20:23], 0 offset:52 ; 4-byte Folded Spill
	buffer_store_dword v107, off, s[20:23], 0 offset:56 ; 4-byte Folded Spill
	buffer_store_dword v108, off, s[20:23], 0 offset:60 ; 4-byte Folded Spill
	ds_read2_b64 v[99:102], v125 offset0:18 offset1:19
	buffer_load_dword v105, off, s[20:23], 0 offset:32 ; 4-byte Folded Reload
	buffer_load_dword v106, off, s[20:23], 0 offset:36 ; 4-byte Folded Reload
	buffer_load_dword v107, off, s[20:23], 0 offset:40 ; 4-byte Folded Reload
	buffer_load_dword v108, off, s[20:23], 0 offset:44 ; 4-byte Folded Reload
	s_waitcnt lgkmcnt(0)
	v_mul_f64 v[103:104], v[101:102], v[119:120]
	v_fma_f64 v[103:104], v[99:100], v[97:98], -v[103:104]
	v_mul_f64 v[99:100], v[99:100], v[119:120]
	v_fma_f64 v[99:100], v[101:102], v[97:98], v[99:100]
	s_waitcnt vmcnt(2)
	v_add_f64 v[105:106], v[105:106], -v[103:104]
	s_waitcnt vmcnt(0)
	v_add_f64 v[107:108], v[107:108], -v[99:100]
	buffer_store_dword v105, off, s[20:23], 0 offset:32 ; 4-byte Folded Spill
	s_nop 0
	buffer_store_dword v106, off, s[20:23], 0 offset:36 ; 4-byte Folded Spill
	buffer_store_dword v107, off, s[20:23], 0 offset:40 ; 4-byte Folded Spill
	;; [unrolled: 1-line block ×3, first 2 shown]
	ds_read2_b64 v[99:102], v125 offset0:20 offset1:21
	buffer_load_dword v81, off, s[20:23], 0 offset:16 ; 4-byte Folded Reload
	buffer_load_dword v82, off, s[20:23], 0 offset:20 ; 4-byte Folded Reload
	;; [unrolled: 1-line block ×4, first 2 shown]
	s_waitcnt lgkmcnt(0)
	v_mul_f64 v[103:104], v[101:102], v[119:120]
	v_fma_f64 v[103:104], v[99:100], v[97:98], -v[103:104]
	v_mul_f64 v[99:100], v[99:100], v[119:120]
	v_fma_f64 v[99:100], v[101:102], v[97:98], v[99:100]
	s_waitcnt vmcnt(2)
	v_add_f64 v[81:82], v[81:82], -v[103:104]
	s_waitcnt vmcnt(0)
	v_add_f64 v[83:84], v[83:84], -v[99:100]
	buffer_store_dword v81, off, s[20:23], 0 offset:16 ; 4-byte Folded Spill
	s_nop 0
	buffer_store_dword v82, off, s[20:23], 0 offset:20 ; 4-byte Folded Spill
	buffer_store_dword v83, off, s[20:23], 0 offset:24 ; 4-byte Folded Spill
	;; [unrolled: 1-line block ×3, first 2 shown]
	ds_read2_b64 v[99:102], v125 offset0:22 offset1:23
	buffer_load_dword v81, off, s[20:23], 0 ; 4-byte Folded Reload
	buffer_load_dword v82, off, s[20:23], 0 offset:4 ; 4-byte Folded Reload
	buffer_load_dword v83, off, s[20:23], 0 offset:8 ; 4-byte Folded Reload
	;; [unrolled: 1-line block ×3, first 2 shown]
	s_waitcnt lgkmcnt(0)
	v_mul_f64 v[103:104], v[101:102], v[119:120]
	v_fma_f64 v[103:104], v[99:100], v[97:98], -v[103:104]
	v_mul_f64 v[99:100], v[99:100], v[119:120]
	v_fma_f64 v[99:100], v[101:102], v[97:98], v[99:100]
	s_waitcnt vmcnt(2)
	v_add_f64 v[81:82], v[81:82], -v[103:104]
	s_waitcnt vmcnt(0)
	v_add_f64 v[83:84], v[83:84], -v[99:100]
	buffer_store_dword v81, off, s[20:23], 0 ; 4-byte Folded Spill
	s_nop 0
	buffer_store_dword v82, off, s[20:23], 0 offset:4 ; 4-byte Folded Spill
	buffer_store_dword v83, off, s[20:23], 0 offset:8 ; 4-byte Folded Spill
	;; [unrolled: 1-line block ×3, first 2 shown]
	ds_read2_b64 v[99:102], v125 offset0:24 offset1:25
	s_waitcnt lgkmcnt(0)
	v_mul_f64 v[103:104], v[101:102], v[119:120]
	v_fma_f64 v[103:104], v[99:100], v[97:98], -v[103:104]
	v_mul_f64 v[99:100], v[99:100], v[119:120]
	v_add_f64 v[113:114], v[113:114], -v[103:104]
	v_fma_f64 v[99:100], v[101:102], v[97:98], v[99:100]
	v_add_f64 v[115:116], v[115:116], -v[99:100]
	ds_read2_b64 v[99:102], v125 offset0:26 offset1:27
	s_waitcnt lgkmcnt(0)
	v_mul_f64 v[103:104], v[101:102], v[119:120]
	v_fma_f64 v[103:104], v[99:100], v[97:98], -v[103:104]
	v_mul_f64 v[99:100], v[99:100], v[119:120]
	v_add_f64 v[93:94], v[93:94], -v[103:104]
	v_fma_f64 v[99:100], v[101:102], v[97:98], v[99:100]
	v_add_f64 v[95:96], v[95:96], -v[99:100]
	;; [unrolled: 8-line block ×22, first 2 shown]
	ds_read2_b64 v[99:102], v125 offset0:68 offset1:69
	s_waitcnt lgkmcnt(0)
	v_mul_f64 v[103:104], v[101:102], v[119:120]
	v_fma_f64 v[103:104], v[99:100], v[97:98], -v[103:104]
	v_mul_f64 v[99:100], v[99:100], v[119:120]
	buffer_store_dword v117, off, s[20:23], 0 offset:64 ; 4-byte Folded Spill
	s_nop 0
	buffer_store_dword v118, off, s[20:23], 0 offset:68 ; 4-byte Folded Spill
	buffer_store_dword v119, off, s[20:23], 0 offset:72 ; 4-byte Folded Spill
	;; [unrolled: 1-line block ×3, first 2 shown]
	v_add_f64 v[121:122], v[121:122], -v[103:104]
	v_fma_f64 v[99:100], v[101:102], v[97:98], v[99:100]
	v_add_f64 v[123:124], v[123:124], -v[99:100]
.LBB69_73:
	s_or_b64 exec, exec, s[2:3]
	v_cmp_eq_u32_e32 vcc, 8, v0
	s_waitcnt vmcnt(0)
	s_barrier
	s_and_saveexec_b64 s[4:5], vcc
	s_cbranch_execz .LBB69_80
; %bb.74:
	buffer_load_dword v97, off, s[20:23], 0 offset:48 ; 4-byte Folded Reload
	buffer_load_dword v98, off, s[20:23], 0 offset:52 ; 4-byte Folded Reload
	;; [unrolled: 1-line block ×4, first 2 shown]
	s_waitcnt vmcnt(0)
	ds_write2_b64 v127, v[97:98], v[99:100] offset1:1
	buffer_load_dword v97, off, s[20:23], 0 offset:32 ; 4-byte Folded Reload
	buffer_load_dword v98, off, s[20:23], 0 offset:36 ; 4-byte Folded Reload
	buffer_load_dword v99, off, s[20:23], 0 offset:40 ; 4-byte Folded Reload
	buffer_load_dword v100, off, s[20:23], 0 offset:44 ; 4-byte Folded Reload
	s_waitcnt vmcnt(0)
	ds_write2_b64 v125, v[97:98], v[99:100] offset0:18 offset1:19
	buffer_load_dword v81, off, s[20:23], 0 offset:16 ; 4-byte Folded Reload
	buffer_load_dword v82, off, s[20:23], 0 offset:20 ; 4-byte Folded Reload
	buffer_load_dword v83, off, s[20:23], 0 offset:24 ; 4-byte Folded Reload
	buffer_load_dword v84, off, s[20:23], 0 offset:28 ; 4-byte Folded Reload
	s_waitcnt vmcnt(0)
	ds_write2_b64 v125, v[81:82], v[83:84] offset0:20 offset1:21
	buffer_load_dword v81, off, s[20:23], 0 ; 4-byte Folded Reload
	buffer_load_dword v82, off, s[20:23], 0 offset:4 ; 4-byte Folded Reload
	buffer_load_dword v83, off, s[20:23], 0 offset:8 ; 4-byte Folded Reload
	;; [unrolled: 1-line block ×3, first 2 shown]
	s_waitcnt vmcnt(0)
	ds_write2_b64 v125, v[81:82], v[83:84] offset0:22 offset1:23
	ds_write2_b64 v125, v[113:114], v[115:116] offset0:24 offset1:25
	;; [unrolled: 1-line block ×24, first 2 shown]
	ds_read2_b64 v[97:100], v127 offset1:1
	s_waitcnt lgkmcnt(0)
	v_cmp_neq_f64_e32 vcc, 0, v[97:98]
	v_cmp_neq_f64_e64 s[2:3], 0, v[99:100]
	s_or_b64 s[2:3], vcc, s[2:3]
	s_and_b64 exec, exec, s[2:3]
	s_cbranch_execz .LBB69_80
; %bb.75:
	v_cmp_ngt_f64_e64 s[2:3], |v[97:98]|, |v[99:100]|
                                        ; implicit-def: $vgpr101_vgpr102
	s_and_saveexec_b64 s[6:7], s[2:3]
	s_xor_b64 s[2:3], exec, s[6:7]
                                        ; implicit-def: $vgpr103_vgpr104
	s_cbranch_execz .LBB69_77
; %bb.76:
	v_div_scale_f64 v[101:102], s[6:7], v[99:100], v[99:100], v[97:98]
	v_rcp_f64_e32 v[103:104], v[101:102]
	v_fma_f64 v[105:106], -v[101:102], v[103:104], 1.0
	v_fma_f64 v[103:104], v[103:104], v[105:106], v[103:104]
	v_div_scale_f64 v[105:106], vcc, v[97:98], v[99:100], v[97:98]
	v_fma_f64 v[107:108], -v[101:102], v[103:104], 1.0
	v_fma_f64 v[103:104], v[103:104], v[107:108], v[103:104]
	v_mul_f64 v[107:108], v[105:106], v[103:104]
	v_fma_f64 v[101:102], -v[101:102], v[107:108], v[105:106]
	v_div_fmas_f64 v[101:102], v[101:102], v[103:104], v[107:108]
	v_div_fixup_f64 v[101:102], v[101:102], v[99:100], v[97:98]
	v_fma_f64 v[97:98], v[97:98], v[101:102], v[99:100]
	v_div_scale_f64 v[99:100], s[6:7], v[97:98], v[97:98], 1.0
	v_div_scale_f64 v[107:108], vcc, 1.0, v[97:98], 1.0
	v_rcp_f64_e32 v[103:104], v[99:100]
	v_fma_f64 v[105:106], -v[99:100], v[103:104], 1.0
	v_fma_f64 v[103:104], v[103:104], v[105:106], v[103:104]
	v_fma_f64 v[105:106], -v[99:100], v[103:104], 1.0
	v_fma_f64 v[103:104], v[103:104], v[105:106], v[103:104]
	v_mul_f64 v[105:106], v[107:108], v[103:104]
	v_fma_f64 v[99:100], -v[99:100], v[105:106], v[107:108]
	v_div_fmas_f64 v[99:100], v[99:100], v[103:104], v[105:106]
	v_div_fixup_f64 v[103:104], v[99:100], v[97:98], 1.0
                                        ; implicit-def: $vgpr97_vgpr98
	v_mul_f64 v[101:102], v[101:102], v[103:104]
	v_xor_b32_e32 v104, 0x80000000, v104
.LBB69_77:
	s_andn2_saveexec_b64 s[2:3], s[2:3]
	s_cbranch_execz .LBB69_79
; %bb.78:
	v_div_scale_f64 v[101:102], s[6:7], v[97:98], v[97:98], v[99:100]
	v_rcp_f64_e32 v[103:104], v[101:102]
	v_fma_f64 v[105:106], -v[101:102], v[103:104], 1.0
	v_fma_f64 v[103:104], v[103:104], v[105:106], v[103:104]
	v_div_scale_f64 v[105:106], vcc, v[99:100], v[97:98], v[99:100]
	v_fma_f64 v[107:108], -v[101:102], v[103:104], 1.0
	v_fma_f64 v[103:104], v[103:104], v[107:108], v[103:104]
	v_mul_f64 v[107:108], v[105:106], v[103:104]
	v_fma_f64 v[101:102], -v[101:102], v[107:108], v[105:106]
	v_div_fmas_f64 v[101:102], v[101:102], v[103:104], v[107:108]
	v_div_fixup_f64 v[103:104], v[101:102], v[97:98], v[99:100]
	v_fma_f64 v[97:98], v[99:100], v[103:104], v[97:98]
	v_div_scale_f64 v[99:100], s[6:7], v[97:98], v[97:98], 1.0
	v_div_scale_f64 v[107:108], vcc, 1.0, v[97:98], 1.0
	v_rcp_f64_e32 v[101:102], v[99:100]
	v_fma_f64 v[105:106], -v[99:100], v[101:102], 1.0
	v_fma_f64 v[101:102], v[101:102], v[105:106], v[101:102]
	v_fma_f64 v[105:106], -v[99:100], v[101:102], 1.0
	v_fma_f64 v[101:102], v[101:102], v[105:106], v[101:102]
	v_mul_f64 v[105:106], v[107:108], v[101:102]
	v_fma_f64 v[99:100], -v[99:100], v[105:106], v[107:108]
	v_div_fmas_f64 v[99:100], v[99:100], v[101:102], v[105:106]
	v_div_fixup_f64 v[101:102], v[99:100], v[97:98], 1.0
	v_mul_f64 v[103:104], v[103:104], -v[101:102]
.LBB69_79:
	s_or_b64 exec, exec, s[2:3]
	ds_write2_b64 v127, v[101:102], v[103:104] offset1:1
.LBB69_80:
	s_or_b64 exec, exec, s[4:5]
	s_waitcnt lgkmcnt(0)
	s_barrier
	ds_read2_b64 v[97:100], v127 offset1:1
	v_cmp_lt_u32_e32 vcc, 8, v0
	s_waitcnt lgkmcnt(0)
	buffer_store_dword v97, off, s[20:23], 0 offset:584 ; 4-byte Folded Spill
	s_nop 0
	buffer_store_dword v98, off, s[20:23], 0 offset:588 ; 4-byte Folded Spill
	buffer_store_dword v99, off, s[20:23], 0 offset:592 ; 4-byte Folded Spill
	;; [unrolled: 1-line block ×3, first 2 shown]
	s_and_saveexec_b64 s[2:3], vcc
	s_cbranch_execz .LBB69_82
; %bb.81:
	buffer_load_dword v117, off, s[20:23], 0 offset:48 ; 4-byte Folded Reload
	buffer_load_dword v118, off, s[20:23], 0 offset:52 ; 4-byte Folded Reload
	;; [unrolled: 1-line block ×8, first 2 shown]
	s_waitcnt vmcnt(0)
	v_mul_f64 v[97:98], v[101:102], v[119:120]
	v_fma_f64 v[97:98], v[99:100], v[117:118], -v[97:98]
	v_mul_f64 v[99:100], v[99:100], v[119:120]
	v_fma_f64 v[119:120], v[101:102], v[117:118], v[99:100]
	ds_read2_b64 v[99:102], v125 offset0:18 offset1:19
	buffer_load_dword v105, off, s[20:23], 0 offset:32 ; 4-byte Folded Reload
	buffer_load_dword v106, off, s[20:23], 0 offset:36 ; 4-byte Folded Reload
	;; [unrolled: 1-line block ×4, first 2 shown]
	v_mov_b32_e32 v118, v98
	v_mov_b32_e32 v117, v97
	s_waitcnt lgkmcnt(0)
	v_mul_f64 v[103:104], v[101:102], v[119:120]
	v_fma_f64 v[103:104], v[99:100], v[97:98], -v[103:104]
	v_mul_f64 v[99:100], v[99:100], v[119:120]
	v_fma_f64 v[99:100], v[101:102], v[97:98], v[99:100]
	s_waitcnt vmcnt(2)
	v_add_f64 v[105:106], v[105:106], -v[103:104]
	s_waitcnt vmcnt(0)
	v_add_f64 v[107:108], v[107:108], -v[99:100]
	buffer_store_dword v105, off, s[20:23], 0 offset:32 ; 4-byte Folded Spill
	s_nop 0
	buffer_store_dword v106, off, s[20:23], 0 offset:36 ; 4-byte Folded Spill
	buffer_store_dword v107, off, s[20:23], 0 offset:40 ; 4-byte Folded Spill
	;; [unrolled: 1-line block ×3, first 2 shown]
	ds_read2_b64 v[99:102], v125 offset0:20 offset1:21
	buffer_load_dword v81, off, s[20:23], 0 offset:16 ; 4-byte Folded Reload
	buffer_load_dword v82, off, s[20:23], 0 offset:20 ; 4-byte Folded Reload
	;; [unrolled: 1-line block ×4, first 2 shown]
	s_waitcnt lgkmcnt(0)
	v_mul_f64 v[103:104], v[101:102], v[119:120]
	v_fma_f64 v[103:104], v[99:100], v[97:98], -v[103:104]
	v_mul_f64 v[99:100], v[99:100], v[119:120]
	v_fma_f64 v[99:100], v[101:102], v[97:98], v[99:100]
	s_waitcnt vmcnt(2)
	v_add_f64 v[81:82], v[81:82], -v[103:104]
	s_waitcnt vmcnt(0)
	v_add_f64 v[83:84], v[83:84], -v[99:100]
	buffer_store_dword v81, off, s[20:23], 0 offset:16 ; 4-byte Folded Spill
	s_nop 0
	buffer_store_dword v82, off, s[20:23], 0 offset:20 ; 4-byte Folded Spill
	buffer_store_dword v83, off, s[20:23], 0 offset:24 ; 4-byte Folded Spill
	;; [unrolled: 1-line block ×3, first 2 shown]
	ds_read2_b64 v[99:102], v125 offset0:22 offset1:23
	buffer_load_dword v81, off, s[20:23], 0 ; 4-byte Folded Reload
	buffer_load_dword v82, off, s[20:23], 0 offset:4 ; 4-byte Folded Reload
	buffer_load_dword v83, off, s[20:23], 0 offset:8 ; 4-byte Folded Reload
	;; [unrolled: 1-line block ×3, first 2 shown]
	s_waitcnt lgkmcnt(0)
	v_mul_f64 v[103:104], v[101:102], v[119:120]
	v_fma_f64 v[103:104], v[99:100], v[97:98], -v[103:104]
	v_mul_f64 v[99:100], v[99:100], v[119:120]
	v_fma_f64 v[99:100], v[101:102], v[97:98], v[99:100]
	s_waitcnt vmcnt(2)
	v_add_f64 v[81:82], v[81:82], -v[103:104]
	s_waitcnt vmcnt(0)
	v_add_f64 v[83:84], v[83:84], -v[99:100]
	buffer_store_dword v81, off, s[20:23], 0 ; 4-byte Folded Spill
	s_nop 0
	buffer_store_dword v82, off, s[20:23], 0 offset:4 ; 4-byte Folded Spill
	buffer_store_dword v83, off, s[20:23], 0 offset:8 ; 4-byte Folded Spill
	;; [unrolled: 1-line block ×3, first 2 shown]
	ds_read2_b64 v[99:102], v125 offset0:24 offset1:25
	s_waitcnt lgkmcnt(0)
	v_mul_f64 v[103:104], v[101:102], v[119:120]
	v_fma_f64 v[103:104], v[99:100], v[97:98], -v[103:104]
	v_mul_f64 v[99:100], v[99:100], v[119:120]
	v_add_f64 v[113:114], v[113:114], -v[103:104]
	v_fma_f64 v[99:100], v[101:102], v[97:98], v[99:100]
	v_add_f64 v[115:116], v[115:116], -v[99:100]
	ds_read2_b64 v[99:102], v125 offset0:26 offset1:27
	s_waitcnt lgkmcnt(0)
	v_mul_f64 v[103:104], v[101:102], v[119:120]
	v_fma_f64 v[103:104], v[99:100], v[97:98], -v[103:104]
	v_mul_f64 v[99:100], v[99:100], v[119:120]
	v_add_f64 v[93:94], v[93:94], -v[103:104]
	v_fma_f64 v[99:100], v[101:102], v[97:98], v[99:100]
	v_add_f64 v[95:96], v[95:96], -v[99:100]
	;; [unrolled: 8-line block ×22, first 2 shown]
	ds_read2_b64 v[99:102], v125 offset0:68 offset1:69
	s_waitcnt lgkmcnt(0)
	v_mul_f64 v[103:104], v[101:102], v[119:120]
	v_fma_f64 v[103:104], v[99:100], v[97:98], -v[103:104]
	v_mul_f64 v[99:100], v[99:100], v[119:120]
	buffer_store_dword v117, off, s[20:23], 0 offset:48 ; 4-byte Folded Spill
	s_nop 0
	buffer_store_dword v118, off, s[20:23], 0 offset:52 ; 4-byte Folded Spill
	buffer_store_dword v119, off, s[20:23], 0 offset:56 ; 4-byte Folded Spill
	;; [unrolled: 1-line block ×3, first 2 shown]
	v_add_f64 v[121:122], v[121:122], -v[103:104]
	v_fma_f64 v[99:100], v[101:102], v[97:98], v[99:100]
	v_add_f64 v[123:124], v[123:124], -v[99:100]
.LBB69_82:
	s_or_b64 exec, exec, s[2:3]
	v_cmp_eq_u32_e32 vcc, 9, v0
	s_waitcnt vmcnt(0)
	s_barrier
	s_and_saveexec_b64 s[4:5], vcc
	s_cbranch_execz .LBB69_89
; %bb.83:
	buffer_load_dword v97, off, s[20:23], 0 offset:32 ; 4-byte Folded Reload
	buffer_load_dword v98, off, s[20:23], 0 offset:36 ; 4-byte Folded Reload
	;; [unrolled: 1-line block ×4, first 2 shown]
	s_waitcnt vmcnt(0)
	ds_write2_b64 v127, v[97:98], v[99:100] offset1:1
	buffer_load_dword v81, off, s[20:23], 0 offset:16 ; 4-byte Folded Reload
	buffer_load_dword v82, off, s[20:23], 0 offset:20 ; 4-byte Folded Reload
	;; [unrolled: 1-line block ×4, first 2 shown]
	s_waitcnt vmcnt(0)
	ds_write2_b64 v125, v[81:82], v[83:84] offset0:20 offset1:21
	buffer_load_dword v81, off, s[20:23], 0 ; 4-byte Folded Reload
	buffer_load_dword v82, off, s[20:23], 0 offset:4 ; 4-byte Folded Reload
	buffer_load_dword v83, off, s[20:23], 0 offset:8 ; 4-byte Folded Reload
	;; [unrolled: 1-line block ×3, first 2 shown]
	s_waitcnt vmcnt(0)
	ds_write2_b64 v125, v[81:82], v[83:84] offset0:22 offset1:23
	ds_write2_b64 v125, v[113:114], v[115:116] offset0:24 offset1:25
	;; [unrolled: 1-line block ×24, first 2 shown]
	ds_read2_b64 v[97:100], v127 offset1:1
	s_waitcnt lgkmcnt(0)
	v_cmp_neq_f64_e32 vcc, 0, v[97:98]
	v_cmp_neq_f64_e64 s[2:3], 0, v[99:100]
	s_or_b64 s[2:3], vcc, s[2:3]
	s_and_b64 exec, exec, s[2:3]
	s_cbranch_execz .LBB69_89
; %bb.84:
	v_cmp_ngt_f64_e64 s[2:3], |v[97:98]|, |v[99:100]|
                                        ; implicit-def: $vgpr101_vgpr102
	s_and_saveexec_b64 s[6:7], s[2:3]
	s_xor_b64 s[2:3], exec, s[6:7]
                                        ; implicit-def: $vgpr103_vgpr104
	s_cbranch_execz .LBB69_86
; %bb.85:
	v_div_scale_f64 v[101:102], s[6:7], v[99:100], v[99:100], v[97:98]
	v_rcp_f64_e32 v[103:104], v[101:102]
	v_fma_f64 v[105:106], -v[101:102], v[103:104], 1.0
	v_fma_f64 v[103:104], v[103:104], v[105:106], v[103:104]
	v_div_scale_f64 v[105:106], vcc, v[97:98], v[99:100], v[97:98]
	v_fma_f64 v[107:108], -v[101:102], v[103:104], 1.0
	v_fma_f64 v[103:104], v[103:104], v[107:108], v[103:104]
	v_mul_f64 v[107:108], v[105:106], v[103:104]
	v_fma_f64 v[101:102], -v[101:102], v[107:108], v[105:106]
	v_div_fmas_f64 v[101:102], v[101:102], v[103:104], v[107:108]
	v_div_fixup_f64 v[101:102], v[101:102], v[99:100], v[97:98]
	v_fma_f64 v[97:98], v[97:98], v[101:102], v[99:100]
	v_div_scale_f64 v[99:100], s[6:7], v[97:98], v[97:98], 1.0
	v_div_scale_f64 v[107:108], vcc, 1.0, v[97:98], 1.0
	v_rcp_f64_e32 v[103:104], v[99:100]
	v_fma_f64 v[105:106], -v[99:100], v[103:104], 1.0
	v_fma_f64 v[103:104], v[103:104], v[105:106], v[103:104]
	v_fma_f64 v[105:106], -v[99:100], v[103:104], 1.0
	v_fma_f64 v[103:104], v[103:104], v[105:106], v[103:104]
	v_mul_f64 v[105:106], v[107:108], v[103:104]
	v_fma_f64 v[99:100], -v[99:100], v[105:106], v[107:108]
	v_div_fmas_f64 v[99:100], v[99:100], v[103:104], v[105:106]
	v_div_fixup_f64 v[103:104], v[99:100], v[97:98], 1.0
                                        ; implicit-def: $vgpr97_vgpr98
	v_mul_f64 v[101:102], v[101:102], v[103:104]
	v_xor_b32_e32 v104, 0x80000000, v104
.LBB69_86:
	s_andn2_saveexec_b64 s[2:3], s[2:3]
	s_cbranch_execz .LBB69_88
; %bb.87:
	v_div_scale_f64 v[101:102], s[6:7], v[97:98], v[97:98], v[99:100]
	v_rcp_f64_e32 v[103:104], v[101:102]
	v_fma_f64 v[105:106], -v[101:102], v[103:104], 1.0
	v_fma_f64 v[103:104], v[103:104], v[105:106], v[103:104]
	v_div_scale_f64 v[105:106], vcc, v[99:100], v[97:98], v[99:100]
	v_fma_f64 v[107:108], -v[101:102], v[103:104], 1.0
	v_fma_f64 v[103:104], v[103:104], v[107:108], v[103:104]
	v_mul_f64 v[107:108], v[105:106], v[103:104]
	v_fma_f64 v[101:102], -v[101:102], v[107:108], v[105:106]
	v_div_fmas_f64 v[101:102], v[101:102], v[103:104], v[107:108]
	v_div_fixup_f64 v[103:104], v[101:102], v[97:98], v[99:100]
	v_fma_f64 v[97:98], v[99:100], v[103:104], v[97:98]
	v_div_scale_f64 v[99:100], s[6:7], v[97:98], v[97:98], 1.0
	v_div_scale_f64 v[107:108], vcc, 1.0, v[97:98], 1.0
	v_rcp_f64_e32 v[101:102], v[99:100]
	v_fma_f64 v[105:106], -v[99:100], v[101:102], 1.0
	v_fma_f64 v[101:102], v[101:102], v[105:106], v[101:102]
	v_fma_f64 v[105:106], -v[99:100], v[101:102], 1.0
	v_fma_f64 v[101:102], v[101:102], v[105:106], v[101:102]
	v_mul_f64 v[105:106], v[107:108], v[101:102]
	v_fma_f64 v[99:100], -v[99:100], v[105:106], v[107:108]
	v_div_fmas_f64 v[99:100], v[99:100], v[101:102], v[105:106]
	v_div_fixup_f64 v[101:102], v[99:100], v[97:98], 1.0
	v_mul_f64 v[103:104], v[103:104], -v[101:102]
.LBB69_88:
	s_or_b64 exec, exec, s[2:3]
	ds_write2_b64 v127, v[101:102], v[103:104] offset1:1
.LBB69_89:
	s_or_b64 exec, exec, s[4:5]
	s_waitcnt lgkmcnt(0)
	s_barrier
	ds_read2_b64 v[97:100], v127 offset1:1
	v_cmp_lt_u32_e32 vcc, 9, v0
	s_waitcnt lgkmcnt(0)
	buffer_store_dword v97, off, s[20:23], 0 offset:600 ; 4-byte Folded Spill
	s_nop 0
	buffer_store_dword v98, off, s[20:23], 0 offset:604 ; 4-byte Folded Spill
	buffer_store_dword v99, off, s[20:23], 0 offset:608 ; 4-byte Folded Spill
	buffer_store_dword v100, off, s[20:23], 0 offset:612 ; 4-byte Folded Spill
	s_and_saveexec_b64 s[2:3], vcc
	s_cbranch_execz .LBB69_91
; %bb.90:
	buffer_load_dword v103, off, s[20:23], 0 offset:32 ; 4-byte Folded Reload
	buffer_load_dword v104, off, s[20:23], 0 offset:36 ; 4-byte Folded Reload
	;; [unrolled: 1-line block ×8, first 2 shown]
	s_waitcnt vmcnt(0)
	v_mul_f64 v[97:98], v[101:102], v[105:106]
	v_fma_f64 v[97:98], v[99:100], v[103:104], -v[97:98]
	v_mul_f64 v[99:100], v[99:100], v[105:106]
	v_fma_f64 v[105:106], v[101:102], v[103:104], v[99:100]
	ds_read2_b64 v[99:102], v125 offset0:20 offset1:21
	buffer_load_dword v81, off, s[20:23], 0 offset:16 ; 4-byte Folded Reload
	buffer_load_dword v82, off, s[20:23], 0 offset:20 ; 4-byte Folded Reload
	;; [unrolled: 1-line block ×4, first 2 shown]
	s_waitcnt lgkmcnt(0)
	v_mul_f64 v[103:104], v[101:102], v[105:106]
	v_fma_f64 v[103:104], v[99:100], v[97:98], -v[103:104]
	v_mul_f64 v[99:100], v[99:100], v[105:106]
	v_fma_f64 v[99:100], v[101:102], v[97:98], v[99:100]
	s_waitcnt vmcnt(2)
	v_add_f64 v[81:82], v[81:82], -v[103:104]
	s_waitcnt vmcnt(0)
	v_add_f64 v[83:84], v[83:84], -v[99:100]
	buffer_store_dword v81, off, s[20:23], 0 offset:16 ; 4-byte Folded Spill
	s_nop 0
	buffer_store_dword v82, off, s[20:23], 0 offset:20 ; 4-byte Folded Spill
	buffer_store_dword v83, off, s[20:23], 0 offset:24 ; 4-byte Folded Spill
	;; [unrolled: 1-line block ×3, first 2 shown]
	ds_read2_b64 v[99:102], v125 offset0:22 offset1:23
	buffer_load_dword v81, off, s[20:23], 0 ; 4-byte Folded Reload
	buffer_load_dword v82, off, s[20:23], 0 offset:4 ; 4-byte Folded Reload
	buffer_load_dword v83, off, s[20:23], 0 offset:8 ; 4-byte Folded Reload
	;; [unrolled: 1-line block ×3, first 2 shown]
	s_waitcnt lgkmcnt(0)
	v_mul_f64 v[103:104], v[101:102], v[105:106]
	v_fma_f64 v[103:104], v[99:100], v[97:98], -v[103:104]
	v_mul_f64 v[99:100], v[99:100], v[105:106]
	v_fma_f64 v[99:100], v[101:102], v[97:98], v[99:100]
	s_waitcnt vmcnt(2)
	v_add_f64 v[81:82], v[81:82], -v[103:104]
	s_waitcnt vmcnt(0)
	v_add_f64 v[83:84], v[83:84], -v[99:100]
	buffer_store_dword v81, off, s[20:23], 0 ; 4-byte Folded Spill
	s_nop 0
	buffer_store_dword v82, off, s[20:23], 0 offset:4 ; 4-byte Folded Spill
	buffer_store_dword v83, off, s[20:23], 0 offset:8 ; 4-byte Folded Spill
	;; [unrolled: 1-line block ×3, first 2 shown]
	ds_read2_b64 v[99:102], v125 offset0:24 offset1:25
	s_waitcnt lgkmcnt(0)
	v_mul_f64 v[103:104], v[101:102], v[105:106]
	v_fma_f64 v[103:104], v[99:100], v[97:98], -v[103:104]
	v_mul_f64 v[99:100], v[99:100], v[105:106]
	v_add_f64 v[113:114], v[113:114], -v[103:104]
	v_fma_f64 v[99:100], v[101:102], v[97:98], v[99:100]
	v_add_f64 v[115:116], v[115:116], -v[99:100]
	ds_read2_b64 v[99:102], v125 offset0:26 offset1:27
	s_waitcnt lgkmcnt(0)
	v_mul_f64 v[103:104], v[101:102], v[105:106]
	v_fma_f64 v[103:104], v[99:100], v[97:98], -v[103:104]
	v_mul_f64 v[99:100], v[99:100], v[105:106]
	v_add_f64 v[93:94], v[93:94], -v[103:104]
	v_fma_f64 v[99:100], v[101:102], v[97:98], v[99:100]
	v_add_f64 v[95:96], v[95:96], -v[99:100]
	;; [unrolled: 8-line block ×22, first 2 shown]
	ds_read2_b64 v[99:102], v125 offset0:68 offset1:69
	s_waitcnt lgkmcnt(0)
	v_mul_f64 v[103:104], v[101:102], v[105:106]
	v_fma_f64 v[103:104], v[99:100], v[97:98], -v[103:104]
	v_mul_f64 v[99:100], v[99:100], v[105:106]
	v_add_f64 v[121:122], v[121:122], -v[103:104]
	v_fma_f64 v[99:100], v[101:102], v[97:98], v[99:100]
	v_mov_b32_e32 v104, v98
	v_mov_b32_e32 v103, v97
	buffer_store_dword v103, off, s[20:23], 0 offset:32 ; 4-byte Folded Spill
	s_nop 0
	buffer_store_dword v104, off, s[20:23], 0 offset:36 ; 4-byte Folded Spill
	buffer_store_dword v105, off, s[20:23], 0 offset:40 ; 4-byte Folded Spill
	;; [unrolled: 1-line block ×3, first 2 shown]
	v_add_f64 v[123:124], v[123:124], -v[99:100]
.LBB69_91:
	s_or_b64 exec, exec, s[2:3]
	v_cmp_eq_u32_e32 vcc, 10, v0
	s_waitcnt vmcnt(0)
	s_barrier
	s_and_saveexec_b64 s[4:5], vcc
	s_cbranch_execz .LBB69_98
; %bb.92:
	buffer_load_dword v81, off, s[20:23], 0 offset:16 ; 4-byte Folded Reload
	buffer_load_dword v82, off, s[20:23], 0 offset:20 ; 4-byte Folded Reload
	;; [unrolled: 1-line block ×4, first 2 shown]
	s_waitcnt vmcnt(0)
	ds_write2_b64 v127, v[81:82], v[83:84] offset1:1
	buffer_load_dword v81, off, s[20:23], 0 ; 4-byte Folded Reload
	buffer_load_dword v82, off, s[20:23], 0 offset:4 ; 4-byte Folded Reload
	buffer_load_dword v83, off, s[20:23], 0 offset:8 ; 4-byte Folded Reload
	;; [unrolled: 1-line block ×3, first 2 shown]
	s_waitcnt vmcnt(0)
	ds_write2_b64 v125, v[81:82], v[83:84] offset0:22 offset1:23
	ds_write2_b64 v125, v[113:114], v[115:116] offset0:24 offset1:25
	;; [unrolled: 1-line block ×24, first 2 shown]
	ds_read2_b64 v[97:100], v127 offset1:1
	s_waitcnt lgkmcnt(0)
	v_cmp_neq_f64_e32 vcc, 0, v[97:98]
	v_cmp_neq_f64_e64 s[2:3], 0, v[99:100]
	s_or_b64 s[2:3], vcc, s[2:3]
	s_and_b64 exec, exec, s[2:3]
	s_cbranch_execz .LBB69_98
; %bb.93:
	v_cmp_ngt_f64_e64 s[2:3], |v[97:98]|, |v[99:100]|
                                        ; implicit-def: $vgpr101_vgpr102
	s_and_saveexec_b64 s[6:7], s[2:3]
	s_xor_b64 s[2:3], exec, s[6:7]
                                        ; implicit-def: $vgpr103_vgpr104
	s_cbranch_execz .LBB69_95
; %bb.94:
	v_div_scale_f64 v[101:102], s[6:7], v[99:100], v[99:100], v[97:98]
	v_rcp_f64_e32 v[103:104], v[101:102]
	v_fma_f64 v[105:106], -v[101:102], v[103:104], 1.0
	v_fma_f64 v[103:104], v[103:104], v[105:106], v[103:104]
	v_div_scale_f64 v[105:106], vcc, v[97:98], v[99:100], v[97:98]
	v_fma_f64 v[107:108], -v[101:102], v[103:104], 1.0
	v_fma_f64 v[103:104], v[103:104], v[107:108], v[103:104]
	v_mul_f64 v[107:108], v[105:106], v[103:104]
	v_fma_f64 v[101:102], -v[101:102], v[107:108], v[105:106]
	v_div_fmas_f64 v[101:102], v[101:102], v[103:104], v[107:108]
	v_div_fixup_f64 v[101:102], v[101:102], v[99:100], v[97:98]
	v_fma_f64 v[97:98], v[97:98], v[101:102], v[99:100]
	v_div_scale_f64 v[99:100], s[6:7], v[97:98], v[97:98], 1.0
	v_div_scale_f64 v[107:108], vcc, 1.0, v[97:98], 1.0
	v_rcp_f64_e32 v[103:104], v[99:100]
	v_fma_f64 v[105:106], -v[99:100], v[103:104], 1.0
	v_fma_f64 v[103:104], v[103:104], v[105:106], v[103:104]
	v_fma_f64 v[105:106], -v[99:100], v[103:104], 1.0
	v_fma_f64 v[103:104], v[103:104], v[105:106], v[103:104]
	v_mul_f64 v[105:106], v[107:108], v[103:104]
	v_fma_f64 v[99:100], -v[99:100], v[105:106], v[107:108]
	v_div_fmas_f64 v[99:100], v[99:100], v[103:104], v[105:106]
	v_div_fixup_f64 v[103:104], v[99:100], v[97:98], 1.0
                                        ; implicit-def: $vgpr97_vgpr98
	v_mul_f64 v[101:102], v[101:102], v[103:104]
	v_xor_b32_e32 v104, 0x80000000, v104
.LBB69_95:
	s_andn2_saveexec_b64 s[2:3], s[2:3]
	s_cbranch_execz .LBB69_97
; %bb.96:
	v_div_scale_f64 v[101:102], s[6:7], v[97:98], v[97:98], v[99:100]
	v_rcp_f64_e32 v[103:104], v[101:102]
	v_fma_f64 v[105:106], -v[101:102], v[103:104], 1.0
	v_fma_f64 v[103:104], v[103:104], v[105:106], v[103:104]
	v_div_scale_f64 v[105:106], vcc, v[99:100], v[97:98], v[99:100]
	v_fma_f64 v[107:108], -v[101:102], v[103:104], 1.0
	v_fma_f64 v[103:104], v[103:104], v[107:108], v[103:104]
	v_mul_f64 v[107:108], v[105:106], v[103:104]
	v_fma_f64 v[101:102], -v[101:102], v[107:108], v[105:106]
	v_div_fmas_f64 v[101:102], v[101:102], v[103:104], v[107:108]
	v_div_fixup_f64 v[103:104], v[101:102], v[97:98], v[99:100]
	v_fma_f64 v[97:98], v[99:100], v[103:104], v[97:98]
	v_div_scale_f64 v[99:100], s[6:7], v[97:98], v[97:98], 1.0
	v_div_scale_f64 v[107:108], vcc, 1.0, v[97:98], 1.0
	v_rcp_f64_e32 v[101:102], v[99:100]
	v_fma_f64 v[105:106], -v[99:100], v[101:102], 1.0
	v_fma_f64 v[101:102], v[101:102], v[105:106], v[101:102]
	v_fma_f64 v[105:106], -v[99:100], v[101:102], 1.0
	v_fma_f64 v[101:102], v[101:102], v[105:106], v[101:102]
	v_mul_f64 v[105:106], v[107:108], v[101:102]
	v_fma_f64 v[99:100], -v[99:100], v[105:106], v[107:108]
	v_div_fmas_f64 v[99:100], v[99:100], v[101:102], v[105:106]
	v_div_fixup_f64 v[101:102], v[99:100], v[97:98], 1.0
	v_mul_f64 v[103:104], v[103:104], -v[101:102]
.LBB69_97:
	s_or_b64 exec, exec, s[2:3]
	ds_write2_b64 v127, v[101:102], v[103:104] offset1:1
.LBB69_98:
	s_or_b64 exec, exec, s[4:5]
	s_waitcnt lgkmcnt(0)
	s_barrier
	ds_read2_b64 v[97:100], v127 offset1:1
	v_cmp_lt_u32_e32 vcc, 10, v0
	s_waitcnt lgkmcnt(0)
	buffer_store_dword v97, off, s[20:23], 0 offset:616 ; 4-byte Folded Spill
	s_nop 0
	buffer_store_dword v98, off, s[20:23], 0 offset:620 ; 4-byte Folded Spill
	buffer_store_dword v99, off, s[20:23], 0 offset:624 ; 4-byte Folded Spill
	;; [unrolled: 1-line block ×3, first 2 shown]
	s_and_saveexec_b64 s[2:3], vcc
	s_cbranch_execz .LBB69_100
; %bb.99:
	buffer_load_dword v99, off, s[20:23], 0 offset:616 ; 4-byte Folded Reload
	buffer_load_dword v100, off, s[20:23], 0 offset:620 ; 4-byte Folded Reload
	buffer_load_dword v101, off, s[20:23], 0 offset:624 ; 4-byte Folded Reload
	buffer_load_dword v102, off, s[20:23], 0 offset:628 ; 4-byte Folded Reload
	buffer_load_dword v81, off, s[20:23], 0 offset:16 ; 4-byte Folded Reload
	buffer_load_dword v82, off, s[20:23], 0 offset:20 ; 4-byte Folded Reload
	buffer_load_dword v83, off, s[20:23], 0 offset:24 ; 4-byte Folded Reload
	buffer_load_dword v84, off, s[20:23], 0 offset:28 ; 4-byte Folded Reload
	v_mov_b32_e32 v106, v96
	v_mov_b32_e32 v105, v95
	;; [unrolled: 1-line block ×4, first 2 shown]
	s_waitcnt vmcnt(0)
	v_mul_f64 v[97:98], v[101:102], v[83:84]
	v_mul_f64 v[95:96], v[99:100], v[83:84]
	v_fma_f64 v[97:98], v[99:100], v[81:82], -v[97:98]
	v_fma_f64 v[83:84], v[101:102], v[81:82], v[95:96]
	ds_read2_b64 v[99:102], v125 offset0:22 offset1:23
	buffer_load_dword v85, off, s[20:23], 0 ; 4-byte Folded Reload
	buffer_load_dword v86, off, s[20:23], 0 offset:4 ; 4-byte Folded Reload
	buffer_load_dword v87, off, s[20:23], 0 offset:8 ; 4-byte Folded Reload
	buffer_load_dword v88, off, s[20:23], 0 offset:12 ; 4-byte Folded Reload
	v_mov_b32_e32 v81, v97
	s_waitcnt lgkmcnt(0)
	v_mul_f64 v[93:94], v[101:102], v[83:84]
	v_mov_b32_e32 v82, v98
	v_fma_f64 v[93:94], v[99:100], v[97:98], -v[93:94]
	v_mul_f64 v[99:100], v[99:100], v[83:84]
	v_fma_f64 v[99:100], v[101:102], v[97:98], v[99:100]
	s_waitcnt vmcnt(2)
	v_add_f64 v[85:86], v[85:86], -v[93:94]
	s_waitcnt vmcnt(0)
	v_add_f64 v[87:88], v[87:88], -v[99:100]
	buffer_store_dword v85, off, s[20:23], 0 ; 4-byte Folded Spill
	s_nop 0
	buffer_store_dword v86, off, s[20:23], 0 offset:4 ; 4-byte Folded Spill
	buffer_store_dword v87, off, s[20:23], 0 offset:8 ; 4-byte Folded Spill
	;; [unrolled: 1-line block ×3, first 2 shown]
	ds_read2_b64 v[99:102], v125 offset0:24 offset1:25
	s_waitcnt lgkmcnt(0)
	v_mul_f64 v[93:94], v[101:102], v[83:84]
	v_fma_f64 v[93:94], v[99:100], v[97:98], -v[93:94]
	v_mul_f64 v[99:100], v[99:100], v[83:84]
	v_add_f64 v[113:114], v[113:114], -v[93:94]
	v_fma_f64 v[99:100], v[101:102], v[97:98], v[99:100]
	v_add_f64 v[115:116], v[115:116], -v[99:100]
	ds_read2_b64 v[99:102], v125 offset0:26 offset1:27
	s_waitcnt lgkmcnt(0)
	v_mul_f64 v[93:94], v[101:102], v[83:84]
	v_fma_f64 v[93:94], v[99:100], v[97:98], -v[93:94]
	v_mul_f64 v[99:100], v[99:100], v[83:84]
	v_add_f64 v[103:104], v[103:104], -v[93:94]
	v_fma_f64 v[99:100], v[101:102], v[97:98], v[99:100]
	v_add_f64 v[105:106], v[105:106], -v[99:100]
	;; [unrolled: 8-line block ×22, first 2 shown]
	ds_read2_b64 v[99:102], v125 offset0:68 offset1:69
	s_waitcnt lgkmcnt(0)
	v_mul_f64 v[93:94], v[101:102], v[83:84]
	v_fma_f64 v[93:94], v[99:100], v[97:98], -v[93:94]
	v_mul_f64 v[99:100], v[99:100], v[83:84]
	buffer_store_dword v81, off, s[20:23], 0 offset:16 ; 4-byte Folded Spill
	s_nop 0
	buffer_store_dword v82, off, s[20:23], 0 offset:20 ; 4-byte Folded Spill
	buffer_store_dword v83, off, s[20:23], 0 offset:24 ; 4-byte Folded Spill
	;; [unrolled: 1-line block ×3, first 2 shown]
	v_add_f64 v[121:122], v[121:122], -v[93:94]
	v_fma_f64 v[99:100], v[101:102], v[97:98], v[99:100]
	v_mov_b32_e32 v93, v103
	v_mov_b32_e32 v94, v104
	;; [unrolled: 1-line block ×4, first 2 shown]
	v_add_f64 v[123:124], v[123:124], -v[99:100]
.LBB69_100:
	s_or_b64 exec, exec, s[2:3]
	v_cmp_eq_u32_e32 vcc, 11, v0
	s_waitcnt vmcnt(0)
	s_barrier
	s_and_saveexec_b64 s[4:5], vcc
	s_cbranch_execz .LBB69_107
; %bb.101:
	buffer_load_dword v81, off, s[20:23], 0 ; 4-byte Folded Reload
	buffer_load_dword v82, off, s[20:23], 0 offset:4 ; 4-byte Folded Reload
	buffer_load_dword v83, off, s[20:23], 0 offset:8 ; 4-byte Folded Reload
	;; [unrolled: 1-line block ×3, first 2 shown]
	s_waitcnt vmcnt(0)
	ds_write2_b64 v127, v[81:82], v[83:84] offset1:1
	ds_write2_b64 v125, v[113:114], v[115:116] offset0:24 offset1:25
	ds_write2_b64 v125, v[93:94], v[95:96] offset0:26 offset1:27
	;; [unrolled: 1-line block ×23, first 2 shown]
	ds_read2_b64 v[97:100], v127 offset1:1
	s_waitcnt lgkmcnt(0)
	v_cmp_neq_f64_e32 vcc, 0, v[97:98]
	v_cmp_neq_f64_e64 s[2:3], 0, v[99:100]
	s_or_b64 s[2:3], vcc, s[2:3]
	s_and_b64 exec, exec, s[2:3]
	s_cbranch_execz .LBB69_107
; %bb.102:
	v_cmp_ngt_f64_e64 s[2:3], |v[97:98]|, |v[99:100]|
                                        ; implicit-def: $vgpr101_vgpr102
	s_and_saveexec_b64 s[6:7], s[2:3]
	s_xor_b64 s[2:3], exec, s[6:7]
                                        ; implicit-def: $vgpr103_vgpr104
	s_cbranch_execz .LBB69_104
; %bb.103:
	v_div_scale_f64 v[101:102], s[6:7], v[99:100], v[99:100], v[97:98]
	v_rcp_f64_e32 v[103:104], v[101:102]
	v_fma_f64 v[105:106], -v[101:102], v[103:104], 1.0
	v_fma_f64 v[103:104], v[103:104], v[105:106], v[103:104]
	v_div_scale_f64 v[105:106], vcc, v[97:98], v[99:100], v[97:98]
	v_fma_f64 v[107:108], -v[101:102], v[103:104], 1.0
	v_fma_f64 v[103:104], v[103:104], v[107:108], v[103:104]
	v_mul_f64 v[107:108], v[105:106], v[103:104]
	v_fma_f64 v[101:102], -v[101:102], v[107:108], v[105:106]
	v_div_fmas_f64 v[101:102], v[101:102], v[103:104], v[107:108]
	v_div_fixup_f64 v[101:102], v[101:102], v[99:100], v[97:98]
	v_fma_f64 v[97:98], v[97:98], v[101:102], v[99:100]
	v_div_scale_f64 v[99:100], s[6:7], v[97:98], v[97:98], 1.0
	v_div_scale_f64 v[107:108], vcc, 1.0, v[97:98], 1.0
	v_rcp_f64_e32 v[103:104], v[99:100]
	v_fma_f64 v[105:106], -v[99:100], v[103:104], 1.0
	v_fma_f64 v[103:104], v[103:104], v[105:106], v[103:104]
	v_fma_f64 v[105:106], -v[99:100], v[103:104], 1.0
	v_fma_f64 v[103:104], v[103:104], v[105:106], v[103:104]
	v_mul_f64 v[105:106], v[107:108], v[103:104]
	v_fma_f64 v[99:100], -v[99:100], v[105:106], v[107:108]
	v_div_fmas_f64 v[99:100], v[99:100], v[103:104], v[105:106]
	v_div_fixup_f64 v[103:104], v[99:100], v[97:98], 1.0
                                        ; implicit-def: $vgpr97_vgpr98
	v_mul_f64 v[101:102], v[101:102], v[103:104]
	v_xor_b32_e32 v104, 0x80000000, v104
.LBB69_104:
	s_andn2_saveexec_b64 s[2:3], s[2:3]
	s_cbranch_execz .LBB69_106
; %bb.105:
	v_div_scale_f64 v[101:102], s[6:7], v[97:98], v[97:98], v[99:100]
	v_rcp_f64_e32 v[103:104], v[101:102]
	v_fma_f64 v[105:106], -v[101:102], v[103:104], 1.0
	v_fma_f64 v[103:104], v[103:104], v[105:106], v[103:104]
	v_div_scale_f64 v[105:106], vcc, v[99:100], v[97:98], v[99:100]
	v_fma_f64 v[107:108], -v[101:102], v[103:104], 1.0
	v_fma_f64 v[103:104], v[103:104], v[107:108], v[103:104]
	v_mul_f64 v[107:108], v[105:106], v[103:104]
	v_fma_f64 v[101:102], -v[101:102], v[107:108], v[105:106]
	v_div_fmas_f64 v[101:102], v[101:102], v[103:104], v[107:108]
	v_div_fixup_f64 v[103:104], v[101:102], v[97:98], v[99:100]
	v_fma_f64 v[97:98], v[99:100], v[103:104], v[97:98]
	v_div_scale_f64 v[99:100], s[6:7], v[97:98], v[97:98], 1.0
	v_div_scale_f64 v[107:108], vcc, 1.0, v[97:98], 1.0
	v_rcp_f64_e32 v[101:102], v[99:100]
	v_fma_f64 v[105:106], -v[99:100], v[101:102], 1.0
	v_fma_f64 v[101:102], v[101:102], v[105:106], v[101:102]
	v_fma_f64 v[105:106], -v[99:100], v[101:102], 1.0
	v_fma_f64 v[101:102], v[101:102], v[105:106], v[101:102]
	v_mul_f64 v[105:106], v[107:108], v[101:102]
	v_fma_f64 v[99:100], -v[99:100], v[105:106], v[107:108]
	v_div_fmas_f64 v[99:100], v[99:100], v[101:102], v[105:106]
	v_div_fixup_f64 v[101:102], v[99:100], v[97:98], 1.0
	v_mul_f64 v[103:104], v[103:104], -v[101:102]
.LBB69_106:
	s_or_b64 exec, exec, s[2:3]
	ds_write2_b64 v127, v[101:102], v[103:104] offset1:1
.LBB69_107:
	s_or_b64 exec, exec, s[4:5]
	s_waitcnt lgkmcnt(0)
	s_barrier
	ds_read2_b64 v[97:100], v127 offset1:1
	v_cmp_lt_u32_e32 vcc, 11, v0
	s_waitcnt lgkmcnt(0)
	buffer_store_dword v97, off, s[20:23], 0 offset:632 ; 4-byte Folded Spill
	s_nop 0
	buffer_store_dword v98, off, s[20:23], 0 offset:636 ; 4-byte Folded Spill
	buffer_store_dword v99, off, s[20:23], 0 offset:640 ; 4-byte Folded Spill
	;; [unrolled: 1-line block ×3, first 2 shown]
	s_and_saveexec_b64 s[2:3], vcc
	s_cbranch_execz .LBB69_109
; %bb.108:
	buffer_load_dword v99, off, s[20:23], 0 offset:632 ; 4-byte Folded Reload
	buffer_load_dword v100, off, s[20:23], 0 offset:636 ; 4-byte Folded Reload
	buffer_load_dword v101, off, s[20:23], 0 offset:640 ; 4-byte Folded Reload
	buffer_load_dword v102, off, s[20:23], 0 offset:644 ; 4-byte Folded Reload
	buffer_load_dword v81, off, s[20:23], 0 ; 4-byte Folded Reload
	buffer_load_dword v82, off, s[20:23], 0 offset:4 ; 4-byte Folded Reload
	buffer_load_dword v83, off, s[20:23], 0 offset:8 ; 4-byte Folded Reload
	;; [unrolled: 1-line block ×3, first 2 shown]
	v_mov_b32_e32 v89, v91
	v_mov_b32_e32 v90, v92
	s_waitcnt vmcnt(0)
	v_mul_f64 v[91:92], v[99:100], v[83:84]
	v_mul_f64 v[97:98], v[101:102], v[83:84]
	v_fma_f64 v[83:84], v[101:102], v[81:82], v[91:92]
	v_fma_f64 v[97:98], v[99:100], v[81:82], -v[97:98]
	ds_read2_b64 v[99:102], v125 offset0:24 offset1:25
	v_mov_b32_e32 v92, v90
	v_mov_b32_e32 v91, v89
	s_waitcnt lgkmcnt(0)
	v_mul_f64 v[89:90], v[101:102], v[83:84]
	v_mov_b32_e32 v81, v97
	v_mov_b32_e32 v82, v98
	v_fma_f64 v[89:90], v[99:100], v[97:98], -v[89:90]
	v_mul_f64 v[99:100], v[99:100], v[83:84]
	v_add_f64 v[113:114], v[113:114], -v[89:90]
	v_fma_f64 v[99:100], v[101:102], v[97:98], v[99:100]
	v_add_f64 v[115:116], v[115:116], -v[99:100]
	ds_read2_b64 v[99:102], v125 offset0:26 offset1:27
	s_waitcnt lgkmcnt(0)
	v_mul_f64 v[89:90], v[101:102], v[83:84]
	v_fma_f64 v[89:90], v[99:100], v[97:98], -v[89:90]
	v_mul_f64 v[99:100], v[99:100], v[83:84]
	v_add_f64 v[93:94], v[93:94], -v[89:90]
	v_fma_f64 v[99:100], v[101:102], v[97:98], v[99:100]
	v_add_f64 v[95:96], v[95:96], -v[99:100]
	ds_read2_b64 v[99:102], v125 offset0:28 offset1:29
	s_waitcnt lgkmcnt(0)
	v_mul_f64 v[89:90], v[101:102], v[83:84]
	;; [unrolled: 8-line block ×22, first 2 shown]
	v_fma_f64 v[89:90], v[99:100], v[97:98], -v[89:90]
	v_mul_f64 v[99:100], v[99:100], v[83:84]
	buffer_store_dword v81, off, s[20:23], 0 ; 4-byte Folded Spill
	s_nop 0
	buffer_store_dword v82, off, s[20:23], 0 offset:4 ; 4-byte Folded Spill
	buffer_store_dword v83, off, s[20:23], 0 offset:8 ; 4-byte Folded Spill
	;; [unrolled: 1-line block ×3, first 2 shown]
	v_add_f64 v[121:122], v[121:122], -v[89:90]
	v_fma_f64 v[99:100], v[101:102], v[97:98], v[99:100]
	v_add_f64 v[123:124], v[123:124], -v[99:100]
.LBB69_109:
	s_or_b64 exec, exec, s[2:3]
	v_cmp_eq_u32_e32 vcc, 12, v0
	s_waitcnt vmcnt(0)
	s_barrier
	s_and_saveexec_b64 s[4:5], vcc
	s_cbranch_execz .LBB69_116
; %bb.110:
	ds_write2_b64 v127, v[113:114], v[115:116] offset1:1
	ds_write2_b64 v125, v[93:94], v[95:96] offset0:26 offset1:27
	ds_write2_b64 v125, v[77:78], v[79:80] offset0:28 offset1:29
	;; [unrolled: 1-line block ×22, first 2 shown]
	ds_read2_b64 v[97:100], v127 offset1:1
	s_waitcnt lgkmcnt(0)
	v_cmp_neq_f64_e32 vcc, 0, v[97:98]
	v_cmp_neq_f64_e64 s[2:3], 0, v[99:100]
	s_or_b64 s[2:3], vcc, s[2:3]
	s_and_b64 exec, exec, s[2:3]
	s_cbranch_execz .LBB69_116
; %bb.111:
	v_cmp_ngt_f64_e64 s[2:3], |v[97:98]|, |v[99:100]|
                                        ; implicit-def: $vgpr101_vgpr102
	s_and_saveexec_b64 s[6:7], s[2:3]
	s_xor_b64 s[2:3], exec, s[6:7]
                                        ; implicit-def: $vgpr103_vgpr104
	s_cbranch_execz .LBB69_113
; %bb.112:
	v_div_scale_f64 v[101:102], s[6:7], v[99:100], v[99:100], v[97:98]
	v_rcp_f64_e32 v[103:104], v[101:102]
	v_fma_f64 v[105:106], -v[101:102], v[103:104], 1.0
	v_fma_f64 v[103:104], v[103:104], v[105:106], v[103:104]
	v_div_scale_f64 v[105:106], vcc, v[97:98], v[99:100], v[97:98]
	v_fma_f64 v[107:108], -v[101:102], v[103:104], 1.0
	v_fma_f64 v[103:104], v[103:104], v[107:108], v[103:104]
	v_mul_f64 v[107:108], v[105:106], v[103:104]
	v_fma_f64 v[101:102], -v[101:102], v[107:108], v[105:106]
	v_div_fmas_f64 v[101:102], v[101:102], v[103:104], v[107:108]
	v_div_fixup_f64 v[101:102], v[101:102], v[99:100], v[97:98]
	v_fma_f64 v[97:98], v[97:98], v[101:102], v[99:100]
	v_div_scale_f64 v[99:100], s[6:7], v[97:98], v[97:98], 1.0
	v_div_scale_f64 v[107:108], vcc, 1.0, v[97:98], 1.0
	v_rcp_f64_e32 v[103:104], v[99:100]
	v_fma_f64 v[105:106], -v[99:100], v[103:104], 1.0
	v_fma_f64 v[103:104], v[103:104], v[105:106], v[103:104]
	v_fma_f64 v[105:106], -v[99:100], v[103:104], 1.0
	v_fma_f64 v[103:104], v[103:104], v[105:106], v[103:104]
	v_mul_f64 v[105:106], v[107:108], v[103:104]
	v_fma_f64 v[99:100], -v[99:100], v[105:106], v[107:108]
	v_div_fmas_f64 v[99:100], v[99:100], v[103:104], v[105:106]
	v_div_fixup_f64 v[103:104], v[99:100], v[97:98], 1.0
                                        ; implicit-def: $vgpr97_vgpr98
	v_mul_f64 v[101:102], v[101:102], v[103:104]
	v_xor_b32_e32 v104, 0x80000000, v104
.LBB69_113:
	s_andn2_saveexec_b64 s[2:3], s[2:3]
	s_cbranch_execz .LBB69_115
; %bb.114:
	v_div_scale_f64 v[101:102], s[6:7], v[97:98], v[97:98], v[99:100]
	v_rcp_f64_e32 v[103:104], v[101:102]
	v_fma_f64 v[105:106], -v[101:102], v[103:104], 1.0
	v_fma_f64 v[103:104], v[103:104], v[105:106], v[103:104]
	v_div_scale_f64 v[105:106], vcc, v[99:100], v[97:98], v[99:100]
	v_fma_f64 v[107:108], -v[101:102], v[103:104], 1.0
	v_fma_f64 v[103:104], v[103:104], v[107:108], v[103:104]
	v_mul_f64 v[107:108], v[105:106], v[103:104]
	v_fma_f64 v[101:102], -v[101:102], v[107:108], v[105:106]
	v_div_fmas_f64 v[101:102], v[101:102], v[103:104], v[107:108]
	v_div_fixup_f64 v[103:104], v[101:102], v[97:98], v[99:100]
	v_fma_f64 v[97:98], v[99:100], v[103:104], v[97:98]
	v_div_scale_f64 v[99:100], s[6:7], v[97:98], v[97:98], 1.0
	v_div_scale_f64 v[107:108], vcc, 1.0, v[97:98], 1.0
	v_rcp_f64_e32 v[101:102], v[99:100]
	v_fma_f64 v[105:106], -v[99:100], v[101:102], 1.0
	v_fma_f64 v[101:102], v[101:102], v[105:106], v[101:102]
	v_fma_f64 v[105:106], -v[99:100], v[101:102], 1.0
	v_fma_f64 v[101:102], v[101:102], v[105:106], v[101:102]
	v_mul_f64 v[105:106], v[107:108], v[101:102]
	v_fma_f64 v[99:100], -v[99:100], v[105:106], v[107:108]
	v_div_fmas_f64 v[99:100], v[99:100], v[101:102], v[105:106]
	v_div_fixup_f64 v[101:102], v[99:100], v[97:98], 1.0
	v_mul_f64 v[103:104], v[103:104], -v[101:102]
.LBB69_115:
	s_or_b64 exec, exec, s[2:3]
	ds_write2_b64 v127, v[101:102], v[103:104] offset1:1
.LBB69_116:
	s_or_b64 exec, exec, s[4:5]
	s_waitcnt lgkmcnt(0)
	s_barrier
	ds_read2_b64 v[97:100], v127 offset1:1
	v_cmp_lt_u32_e32 vcc, 12, v0
	s_waitcnt lgkmcnt(0)
	buffer_store_dword v97, off, s[20:23], 0 offset:648 ; 4-byte Folded Spill
	s_nop 0
	buffer_store_dword v98, off, s[20:23], 0 offset:652 ; 4-byte Folded Spill
	buffer_store_dword v99, off, s[20:23], 0 offset:656 ; 4-byte Folded Spill
	;; [unrolled: 1-line block ×3, first 2 shown]
	s_and_saveexec_b64 s[2:3], vcc
	s_cbranch_execz .LBB69_118
; %bb.117:
	buffer_load_dword v99, off, s[20:23], 0 offset:648 ; 4-byte Folded Reload
	buffer_load_dword v100, off, s[20:23], 0 offset:652 ; 4-byte Folded Reload
	buffer_load_dword v101, off, s[20:23], 0 offset:656 ; 4-byte Folded Reload
	buffer_load_dword v102, off, s[20:23], 0 offset:660 ; 4-byte Folded Reload
	s_waitcnt vmcnt(2)
	v_mul_f64 v[87:88], v[99:100], v[115:116]
	s_waitcnt vmcnt(0)
	v_mul_f64 v[97:98], v[101:102], v[115:116]
	v_fma_f64 v[115:116], v[101:102], v[113:114], v[87:88]
	v_fma_f64 v[97:98], v[99:100], v[113:114], -v[97:98]
	ds_read2_b64 v[99:102], v125 offset0:26 offset1:27
	s_waitcnt lgkmcnt(0)
	v_mul_f64 v[85:86], v[101:102], v[115:116]
	v_mov_b32_e32 v114, v98
	v_mov_b32_e32 v113, v97
	v_fma_f64 v[85:86], v[99:100], v[97:98], -v[85:86]
	v_mul_f64 v[99:100], v[99:100], v[115:116]
	v_add_f64 v[93:94], v[93:94], -v[85:86]
	v_fma_f64 v[99:100], v[101:102], v[97:98], v[99:100]
	v_add_f64 v[95:96], v[95:96], -v[99:100]
	ds_read2_b64 v[99:102], v125 offset0:28 offset1:29
	s_waitcnt lgkmcnt(0)
	v_mul_f64 v[85:86], v[101:102], v[115:116]
	v_fma_f64 v[85:86], v[99:100], v[97:98], -v[85:86]
	v_mul_f64 v[99:100], v[99:100], v[115:116]
	v_add_f64 v[77:78], v[77:78], -v[85:86]
	v_fma_f64 v[99:100], v[101:102], v[97:98], v[99:100]
	v_add_f64 v[79:80], v[79:80], -v[99:100]
	ds_read2_b64 v[99:102], v125 offset0:30 offset1:31
	s_waitcnt lgkmcnt(0)
	v_mul_f64 v[85:86], v[101:102], v[115:116]
	;; [unrolled: 8-line block ×21, first 2 shown]
	v_fma_f64 v[85:86], v[99:100], v[97:98], -v[85:86]
	v_mul_f64 v[99:100], v[99:100], v[115:116]
	v_add_f64 v[121:122], v[121:122], -v[85:86]
	v_fma_f64 v[99:100], v[101:102], v[97:98], v[99:100]
	v_add_f64 v[123:124], v[123:124], -v[99:100]
.LBB69_118:
	s_or_b64 exec, exec, s[2:3]
	v_cmp_eq_u32_e32 vcc, 13, v0
	s_waitcnt vmcnt(0)
	s_barrier
	s_and_saveexec_b64 s[4:5], vcc
	s_cbranch_execz .LBB69_125
; %bb.119:
	ds_write2_b64 v127, v[93:94], v[95:96] offset1:1
	ds_write2_b64 v125, v[77:78], v[79:80] offset0:28 offset1:29
	ds_write2_b64 v125, v[73:74], v[75:76] offset0:30 offset1:31
	;; [unrolled: 1-line block ×21, first 2 shown]
	ds_read2_b64 v[97:100], v127 offset1:1
	s_waitcnt lgkmcnt(0)
	v_cmp_neq_f64_e32 vcc, 0, v[97:98]
	v_cmp_neq_f64_e64 s[2:3], 0, v[99:100]
	s_or_b64 s[2:3], vcc, s[2:3]
	s_and_b64 exec, exec, s[2:3]
	s_cbranch_execz .LBB69_125
; %bb.120:
	v_cmp_ngt_f64_e64 s[2:3], |v[97:98]|, |v[99:100]|
                                        ; implicit-def: $vgpr101_vgpr102
	s_and_saveexec_b64 s[6:7], s[2:3]
	s_xor_b64 s[2:3], exec, s[6:7]
                                        ; implicit-def: $vgpr103_vgpr104
	s_cbranch_execz .LBB69_122
; %bb.121:
	v_div_scale_f64 v[101:102], s[6:7], v[99:100], v[99:100], v[97:98]
	v_rcp_f64_e32 v[103:104], v[101:102]
	v_fma_f64 v[105:106], -v[101:102], v[103:104], 1.0
	v_fma_f64 v[103:104], v[103:104], v[105:106], v[103:104]
	v_div_scale_f64 v[105:106], vcc, v[97:98], v[99:100], v[97:98]
	v_fma_f64 v[107:108], -v[101:102], v[103:104], 1.0
	v_fma_f64 v[103:104], v[103:104], v[107:108], v[103:104]
	v_mul_f64 v[107:108], v[105:106], v[103:104]
	v_fma_f64 v[101:102], -v[101:102], v[107:108], v[105:106]
	v_div_fmas_f64 v[101:102], v[101:102], v[103:104], v[107:108]
	v_div_fixup_f64 v[101:102], v[101:102], v[99:100], v[97:98]
	v_fma_f64 v[97:98], v[97:98], v[101:102], v[99:100]
	v_div_scale_f64 v[99:100], s[6:7], v[97:98], v[97:98], 1.0
	v_div_scale_f64 v[107:108], vcc, 1.0, v[97:98], 1.0
	v_rcp_f64_e32 v[103:104], v[99:100]
	v_fma_f64 v[105:106], -v[99:100], v[103:104], 1.0
	v_fma_f64 v[103:104], v[103:104], v[105:106], v[103:104]
	v_fma_f64 v[105:106], -v[99:100], v[103:104], 1.0
	v_fma_f64 v[103:104], v[103:104], v[105:106], v[103:104]
	v_mul_f64 v[105:106], v[107:108], v[103:104]
	v_fma_f64 v[99:100], -v[99:100], v[105:106], v[107:108]
	v_div_fmas_f64 v[99:100], v[99:100], v[103:104], v[105:106]
	v_div_fixup_f64 v[103:104], v[99:100], v[97:98], 1.0
                                        ; implicit-def: $vgpr97_vgpr98
	v_mul_f64 v[101:102], v[101:102], v[103:104]
	v_xor_b32_e32 v104, 0x80000000, v104
.LBB69_122:
	s_andn2_saveexec_b64 s[2:3], s[2:3]
	s_cbranch_execz .LBB69_124
; %bb.123:
	v_div_scale_f64 v[101:102], s[6:7], v[97:98], v[97:98], v[99:100]
	v_rcp_f64_e32 v[103:104], v[101:102]
	v_fma_f64 v[105:106], -v[101:102], v[103:104], 1.0
	v_fma_f64 v[103:104], v[103:104], v[105:106], v[103:104]
	v_div_scale_f64 v[105:106], vcc, v[99:100], v[97:98], v[99:100]
	v_fma_f64 v[107:108], -v[101:102], v[103:104], 1.0
	v_fma_f64 v[103:104], v[103:104], v[107:108], v[103:104]
	v_mul_f64 v[107:108], v[105:106], v[103:104]
	v_fma_f64 v[101:102], -v[101:102], v[107:108], v[105:106]
	v_div_fmas_f64 v[101:102], v[101:102], v[103:104], v[107:108]
	v_div_fixup_f64 v[103:104], v[101:102], v[97:98], v[99:100]
	v_fma_f64 v[97:98], v[99:100], v[103:104], v[97:98]
	v_div_scale_f64 v[99:100], s[6:7], v[97:98], v[97:98], 1.0
	v_div_scale_f64 v[107:108], vcc, 1.0, v[97:98], 1.0
	v_rcp_f64_e32 v[101:102], v[99:100]
	v_fma_f64 v[105:106], -v[99:100], v[101:102], 1.0
	v_fma_f64 v[101:102], v[101:102], v[105:106], v[101:102]
	v_fma_f64 v[105:106], -v[99:100], v[101:102], 1.0
	v_fma_f64 v[101:102], v[101:102], v[105:106], v[101:102]
	v_mul_f64 v[105:106], v[107:108], v[101:102]
	v_fma_f64 v[99:100], -v[99:100], v[105:106], v[107:108]
	v_div_fmas_f64 v[99:100], v[99:100], v[101:102], v[105:106]
	v_div_fixup_f64 v[101:102], v[99:100], v[97:98], 1.0
	v_mul_f64 v[103:104], v[103:104], -v[101:102]
.LBB69_124:
	s_or_b64 exec, exec, s[2:3]
	ds_write2_b64 v127, v[101:102], v[103:104] offset1:1
.LBB69_125:
	s_or_b64 exec, exec, s[4:5]
	s_waitcnt lgkmcnt(0)
	s_barrier
	ds_read2_b64 v[97:100], v127 offset1:1
	v_cmp_lt_u32_e32 vcc, 13, v0
	s_waitcnt lgkmcnt(0)
	buffer_store_dword v97, off, s[20:23], 0 offset:664 ; 4-byte Folded Spill
	s_nop 0
	buffer_store_dword v98, off, s[20:23], 0 offset:668 ; 4-byte Folded Spill
	buffer_store_dword v99, off, s[20:23], 0 offset:672 ; 4-byte Folded Spill
	;; [unrolled: 1-line block ×3, first 2 shown]
	s_and_saveexec_b64 s[2:3], vcc
	s_cbranch_execz .LBB69_127
; %bb.126:
	buffer_load_dword v99, off, s[20:23], 0 offset:664 ; 4-byte Folded Reload
	buffer_load_dword v100, off, s[20:23], 0 offset:668 ; 4-byte Folded Reload
	;; [unrolled: 1-line block ×4, first 2 shown]
	s_waitcnt vmcnt(2)
	v_mul_f64 v[83:84], v[99:100], v[95:96]
	s_waitcnt vmcnt(0)
	v_mul_f64 v[97:98], v[101:102], v[95:96]
	v_fma_f64 v[95:96], v[101:102], v[93:94], v[83:84]
	v_fma_f64 v[97:98], v[99:100], v[93:94], -v[97:98]
	ds_read2_b64 v[99:102], v125 offset0:28 offset1:29
	s_waitcnt lgkmcnt(0)
	v_mul_f64 v[81:82], v[101:102], v[95:96]
	v_mov_b32_e32 v93, v97
	v_mov_b32_e32 v94, v98
	v_fma_f64 v[81:82], v[99:100], v[97:98], -v[81:82]
	v_mul_f64 v[99:100], v[99:100], v[95:96]
	v_add_f64 v[77:78], v[77:78], -v[81:82]
	v_fma_f64 v[99:100], v[101:102], v[97:98], v[99:100]
	v_add_f64 v[79:80], v[79:80], -v[99:100]
	ds_read2_b64 v[99:102], v125 offset0:30 offset1:31
	s_waitcnt lgkmcnt(0)
	v_mul_f64 v[81:82], v[101:102], v[95:96]
	v_fma_f64 v[81:82], v[99:100], v[97:98], -v[81:82]
	v_mul_f64 v[99:100], v[99:100], v[95:96]
	v_add_f64 v[73:74], v[73:74], -v[81:82]
	v_fma_f64 v[99:100], v[101:102], v[97:98], v[99:100]
	v_add_f64 v[75:76], v[75:76], -v[99:100]
	ds_read2_b64 v[99:102], v125 offset0:32 offset1:33
	s_waitcnt lgkmcnt(0)
	v_mul_f64 v[81:82], v[101:102], v[95:96]
	;; [unrolled: 8-line block ×20, first 2 shown]
	v_fma_f64 v[81:82], v[99:100], v[97:98], -v[81:82]
	v_mul_f64 v[99:100], v[99:100], v[95:96]
	v_add_f64 v[121:122], v[121:122], -v[81:82]
	v_fma_f64 v[99:100], v[101:102], v[97:98], v[99:100]
	v_add_f64 v[123:124], v[123:124], -v[99:100]
.LBB69_127:
	s_or_b64 exec, exec, s[2:3]
	v_cmp_eq_u32_e32 vcc, 14, v0
	s_waitcnt vmcnt(0)
	s_barrier
	s_and_saveexec_b64 s[4:5], vcc
	s_cbranch_execz .LBB69_134
; %bb.128:
	ds_write2_b64 v127, v[77:78], v[79:80] offset1:1
	ds_write2_b64 v125, v[73:74], v[75:76] offset0:30 offset1:31
	ds_write2_b64 v125, v[69:70], v[71:72] offset0:32 offset1:33
	;; [unrolled: 1-line block ×20, first 2 shown]
	ds_read2_b64 v[97:100], v127 offset1:1
	s_waitcnt lgkmcnt(0)
	v_cmp_neq_f64_e32 vcc, 0, v[97:98]
	v_cmp_neq_f64_e64 s[2:3], 0, v[99:100]
	s_or_b64 s[2:3], vcc, s[2:3]
	s_and_b64 exec, exec, s[2:3]
	s_cbranch_execz .LBB69_134
; %bb.129:
	v_cmp_ngt_f64_e64 s[2:3], |v[97:98]|, |v[99:100]|
                                        ; implicit-def: $vgpr101_vgpr102
	s_and_saveexec_b64 s[6:7], s[2:3]
	s_xor_b64 s[2:3], exec, s[6:7]
                                        ; implicit-def: $vgpr103_vgpr104
	s_cbranch_execz .LBB69_131
; %bb.130:
	v_div_scale_f64 v[101:102], s[6:7], v[99:100], v[99:100], v[97:98]
	v_rcp_f64_e32 v[103:104], v[101:102]
	v_fma_f64 v[105:106], -v[101:102], v[103:104], 1.0
	v_fma_f64 v[103:104], v[103:104], v[105:106], v[103:104]
	v_div_scale_f64 v[105:106], vcc, v[97:98], v[99:100], v[97:98]
	v_fma_f64 v[107:108], -v[101:102], v[103:104], 1.0
	v_fma_f64 v[103:104], v[103:104], v[107:108], v[103:104]
	v_mul_f64 v[107:108], v[105:106], v[103:104]
	v_fma_f64 v[101:102], -v[101:102], v[107:108], v[105:106]
	v_div_fmas_f64 v[101:102], v[101:102], v[103:104], v[107:108]
	v_div_fixup_f64 v[101:102], v[101:102], v[99:100], v[97:98]
	v_fma_f64 v[97:98], v[97:98], v[101:102], v[99:100]
	v_div_scale_f64 v[99:100], s[6:7], v[97:98], v[97:98], 1.0
	v_div_scale_f64 v[107:108], vcc, 1.0, v[97:98], 1.0
	v_rcp_f64_e32 v[103:104], v[99:100]
	v_fma_f64 v[105:106], -v[99:100], v[103:104], 1.0
	v_fma_f64 v[103:104], v[103:104], v[105:106], v[103:104]
	v_fma_f64 v[105:106], -v[99:100], v[103:104], 1.0
	v_fma_f64 v[103:104], v[103:104], v[105:106], v[103:104]
	v_mul_f64 v[105:106], v[107:108], v[103:104]
	v_fma_f64 v[99:100], -v[99:100], v[105:106], v[107:108]
	v_div_fmas_f64 v[99:100], v[99:100], v[103:104], v[105:106]
	v_div_fixup_f64 v[103:104], v[99:100], v[97:98], 1.0
                                        ; implicit-def: $vgpr97_vgpr98
	v_mul_f64 v[101:102], v[101:102], v[103:104]
	v_xor_b32_e32 v104, 0x80000000, v104
.LBB69_131:
	s_andn2_saveexec_b64 s[2:3], s[2:3]
	s_cbranch_execz .LBB69_133
; %bb.132:
	v_div_scale_f64 v[101:102], s[6:7], v[97:98], v[97:98], v[99:100]
	v_rcp_f64_e32 v[103:104], v[101:102]
	v_fma_f64 v[105:106], -v[101:102], v[103:104], 1.0
	v_fma_f64 v[103:104], v[103:104], v[105:106], v[103:104]
	v_div_scale_f64 v[105:106], vcc, v[99:100], v[97:98], v[99:100]
	v_fma_f64 v[107:108], -v[101:102], v[103:104], 1.0
	v_fma_f64 v[103:104], v[103:104], v[107:108], v[103:104]
	v_mul_f64 v[107:108], v[105:106], v[103:104]
	v_fma_f64 v[101:102], -v[101:102], v[107:108], v[105:106]
	v_div_fmas_f64 v[101:102], v[101:102], v[103:104], v[107:108]
	v_div_fixup_f64 v[103:104], v[101:102], v[97:98], v[99:100]
	v_fma_f64 v[97:98], v[99:100], v[103:104], v[97:98]
	v_div_scale_f64 v[99:100], s[6:7], v[97:98], v[97:98], 1.0
	v_div_scale_f64 v[107:108], vcc, 1.0, v[97:98], 1.0
	v_rcp_f64_e32 v[101:102], v[99:100]
	v_fma_f64 v[105:106], -v[99:100], v[101:102], 1.0
	v_fma_f64 v[101:102], v[101:102], v[105:106], v[101:102]
	v_fma_f64 v[105:106], -v[99:100], v[101:102], 1.0
	v_fma_f64 v[101:102], v[101:102], v[105:106], v[101:102]
	v_mul_f64 v[105:106], v[107:108], v[101:102]
	v_fma_f64 v[99:100], -v[99:100], v[105:106], v[107:108]
	v_div_fmas_f64 v[99:100], v[99:100], v[101:102], v[105:106]
	v_div_fixup_f64 v[101:102], v[99:100], v[97:98], 1.0
	v_mul_f64 v[103:104], v[103:104], -v[101:102]
.LBB69_133:
	s_or_b64 exec, exec, s[2:3]
	ds_write2_b64 v127, v[101:102], v[103:104] offset1:1
.LBB69_134:
	s_or_b64 exec, exec, s[4:5]
	s_waitcnt lgkmcnt(0)
	s_barrier
	ds_read2_b64 v[97:100], v127 offset1:1
	v_cmp_lt_u32_e32 vcc, 14, v0
	s_waitcnt lgkmcnt(0)
	buffer_store_dword v97, off, s[20:23], 0 offset:680 ; 4-byte Folded Spill
	s_nop 0
	buffer_store_dword v98, off, s[20:23], 0 offset:684 ; 4-byte Folded Spill
	buffer_store_dword v99, off, s[20:23], 0 offset:688 ; 4-byte Folded Spill
	buffer_store_dword v100, off, s[20:23], 0 offset:692 ; 4-byte Folded Spill
	s_and_saveexec_b64 s[2:3], vcc
	s_cbranch_execz .LBB69_136
; %bb.135:
	buffer_load_dword v99, off, s[20:23], 0 offset:680 ; 4-byte Folded Reload
	buffer_load_dword v100, off, s[20:23], 0 offset:684 ; 4-byte Folded Reload
	;; [unrolled: 1-line block ×4, first 2 shown]
	s_waitcnt vmcnt(0)
	v_mul_f64 v[97:98], v[101:102], v[79:80]
	v_mul_f64 v[79:80], v[99:100], v[79:80]
	v_fma_f64 v[97:98], v[99:100], v[77:78], -v[97:98]
	v_fma_f64 v[79:80], v[101:102], v[77:78], v[79:80]
	ds_read2_b64 v[99:102], v125 offset0:30 offset1:31
	s_waitcnt lgkmcnt(0)
	v_mul_f64 v[77:78], v[101:102], v[79:80]
	v_fma_f64 v[77:78], v[99:100], v[97:98], -v[77:78]
	v_mul_f64 v[99:100], v[99:100], v[79:80]
	v_add_f64 v[73:74], v[73:74], -v[77:78]
	v_fma_f64 v[99:100], v[101:102], v[97:98], v[99:100]
	v_add_f64 v[75:76], v[75:76], -v[99:100]
	ds_read2_b64 v[99:102], v125 offset0:32 offset1:33
	s_waitcnt lgkmcnt(0)
	v_mul_f64 v[77:78], v[101:102], v[79:80]
	v_fma_f64 v[77:78], v[99:100], v[97:98], -v[77:78]
	v_mul_f64 v[99:100], v[99:100], v[79:80]
	v_add_f64 v[69:70], v[69:70], -v[77:78]
	v_fma_f64 v[99:100], v[101:102], v[97:98], v[99:100]
	v_add_f64 v[71:72], v[71:72], -v[99:100]
	;; [unrolled: 8-line block ×19, first 2 shown]
	ds_read2_b64 v[99:102], v125 offset0:68 offset1:69
	s_waitcnt lgkmcnt(0)
	v_mul_f64 v[77:78], v[101:102], v[79:80]
	v_fma_f64 v[77:78], v[99:100], v[97:98], -v[77:78]
	v_mul_f64 v[99:100], v[99:100], v[79:80]
	v_add_f64 v[121:122], v[121:122], -v[77:78]
	v_fma_f64 v[99:100], v[101:102], v[97:98], v[99:100]
	v_mov_b32_e32 v77, v97
	v_mov_b32_e32 v78, v98
	v_add_f64 v[123:124], v[123:124], -v[99:100]
.LBB69_136:
	s_or_b64 exec, exec, s[2:3]
	v_cmp_eq_u32_e32 vcc, 15, v0
	s_waitcnt vmcnt(0)
	s_barrier
	s_and_saveexec_b64 s[4:5], vcc
	s_cbranch_execz .LBB69_143
; %bb.137:
	ds_write2_b64 v127, v[73:74], v[75:76] offset1:1
	ds_write2_b64 v125, v[69:70], v[71:72] offset0:32 offset1:33
	ds_write2_b64 v125, v[65:66], v[67:68] offset0:34 offset1:35
	;; [unrolled: 1-line block ×19, first 2 shown]
	ds_read2_b64 v[97:100], v127 offset1:1
	s_waitcnt lgkmcnt(0)
	v_cmp_neq_f64_e32 vcc, 0, v[97:98]
	v_cmp_neq_f64_e64 s[2:3], 0, v[99:100]
	s_or_b64 s[2:3], vcc, s[2:3]
	s_and_b64 exec, exec, s[2:3]
	s_cbranch_execz .LBB69_143
; %bb.138:
	v_cmp_ngt_f64_e64 s[2:3], |v[97:98]|, |v[99:100]|
                                        ; implicit-def: $vgpr101_vgpr102
	s_and_saveexec_b64 s[6:7], s[2:3]
	s_xor_b64 s[2:3], exec, s[6:7]
                                        ; implicit-def: $vgpr103_vgpr104
	s_cbranch_execz .LBB69_140
; %bb.139:
	v_div_scale_f64 v[101:102], s[6:7], v[99:100], v[99:100], v[97:98]
	v_rcp_f64_e32 v[103:104], v[101:102]
	v_fma_f64 v[105:106], -v[101:102], v[103:104], 1.0
	v_fma_f64 v[103:104], v[103:104], v[105:106], v[103:104]
	v_div_scale_f64 v[105:106], vcc, v[97:98], v[99:100], v[97:98]
	v_fma_f64 v[107:108], -v[101:102], v[103:104], 1.0
	v_fma_f64 v[103:104], v[103:104], v[107:108], v[103:104]
	v_mul_f64 v[107:108], v[105:106], v[103:104]
	v_fma_f64 v[101:102], -v[101:102], v[107:108], v[105:106]
	v_div_fmas_f64 v[101:102], v[101:102], v[103:104], v[107:108]
	v_div_fixup_f64 v[101:102], v[101:102], v[99:100], v[97:98]
	v_fma_f64 v[97:98], v[97:98], v[101:102], v[99:100]
	v_div_scale_f64 v[99:100], s[6:7], v[97:98], v[97:98], 1.0
	v_div_scale_f64 v[107:108], vcc, 1.0, v[97:98], 1.0
	v_rcp_f64_e32 v[103:104], v[99:100]
	v_fma_f64 v[105:106], -v[99:100], v[103:104], 1.0
	v_fma_f64 v[103:104], v[103:104], v[105:106], v[103:104]
	v_fma_f64 v[105:106], -v[99:100], v[103:104], 1.0
	v_fma_f64 v[103:104], v[103:104], v[105:106], v[103:104]
	v_mul_f64 v[105:106], v[107:108], v[103:104]
	v_fma_f64 v[99:100], -v[99:100], v[105:106], v[107:108]
	v_div_fmas_f64 v[99:100], v[99:100], v[103:104], v[105:106]
	v_div_fixup_f64 v[103:104], v[99:100], v[97:98], 1.0
                                        ; implicit-def: $vgpr97_vgpr98
	v_mul_f64 v[101:102], v[101:102], v[103:104]
	v_xor_b32_e32 v104, 0x80000000, v104
.LBB69_140:
	s_andn2_saveexec_b64 s[2:3], s[2:3]
	s_cbranch_execz .LBB69_142
; %bb.141:
	v_div_scale_f64 v[101:102], s[6:7], v[97:98], v[97:98], v[99:100]
	v_rcp_f64_e32 v[103:104], v[101:102]
	v_fma_f64 v[105:106], -v[101:102], v[103:104], 1.0
	v_fma_f64 v[103:104], v[103:104], v[105:106], v[103:104]
	v_div_scale_f64 v[105:106], vcc, v[99:100], v[97:98], v[99:100]
	v_fma_f64 v[107:108], -v[101:102], v[103:104], 1.0
	v_fma_f64 v[103:104], v[103:104], v[107:108], v[103:104]
	v_mul_f64 v[107:108], v[105:106], v[103:104]
	v_fma_f64 v[101:102], -v[101:102], v[107:108], v[105:106]
	v_div_fmas_f64 v[101:102], v[101:102], v[103:104], v[107:108]
	v_div_fixup_f64 v[103:104], v[101:102], v[97:98], v[99:100]
	v_fma_f64 v[97:98], v[99:100], v[103:104], v[97:98]
	v_div_scale_f64 v[99:100], s[6:7], v[97:98], v[97:98], 1.0
	v_div_scale_f64 v[107:108], vcc, 1.0, v[97:98], 1.0
	v_rcp_f64_e32 v[101:102], v[99:100]
	v_fma_f64 v[105:106], -v[99:100], v[101:102], 1.0
	v_fma_f64 v[101:102], v[101:102], v[105:106], v[101:102]
	v_fma_f64 v[105:106], -v[99:100], v[101:102], 1.0
	v_fma_f64 v[101:102], v[101:102], v[105:106], v[101:102]
	v_mul_f64 v[105:106], v[107:108], v[101:102]
	v_fma_f64 v[99:100], -v[99:100], v[105:106], v[107:108]
	v_div_fmas_f64 v[99:100], v[99:100], v[101:102], v[105:106]
	v_div_fixup_f64 v[101:102], v[99:100], v[97:98], 1.0
	v_mul_f64 v[103:104], v[103:104], -v[101:102]
.LBB69_142:
	s_or_b64 exec, exec, s[2:3]
	ds_write2_b64 v127, v[101:102], v[103:104] offset1:1
.LBB69_143:
	s_or_b64 exec, exec, s[4:5]
	s_waitcnt lgkmcnt(0)
	s_barrier
	ds_read2_b64 v[97:100], v127 offset1:1
	v_cmp_lt_u32_e32 vcc, 15, v0
	s_waitcnt lgkmcnt(0)
	buffer_store_dword v97, off, s[20:23], 0 offset:696 ; 4-byte Folded Spill
	s_nop 0
	buffer_store_dword v98, off, s[20:23], 0 offset:700 ; 4-byte Folded Spill
	buffer_store_dword v99, off, s[20:23], 0 offset:704 ; 4-byte Folded Spill
	;; [unrolled: 1-line block ×3, first 2 shown]
	s_and_saveexec_b64 s[2:3], vcc
	s_cbranch_execz .LBB69_145
; %bb.144:
	buffer_load_dword v99, off, s[20:23], 0 offset:696 ; 4-byte Folded Reload
	buffer_load_dword v100, off, s[20:23], 0 offset:700 ; 4-byte Folded Reload
	;; [unrolled: 1-line block ×4, first 2 shown]
	s_waitcnt vmcnt(0)
	v_mul_f64 v[97:98], v[101:102], v[75:76]
	v_mul_f64 v[75:76], v[99:100], v[75:76]
	v_fma_f64 v[97:98], v[99:100], v[73:74], -v[97:98]
	v_fma_f64 v[75:76], v[101:102], v[73:74], v[75:76]
	ds_read2_b64 v[99:102], v125 offset0:32 offset1:33
	s_waitcnt lgkmcnt(0)
	v_mul_f64 v[73:74], v[101:102], v[75:76]
	v_fma_f64 v[73:74], v[99:100], v[97:98], -v[73:74]
	v_mul_f64 v[99:100], v[99:100], v[75:76]
	v_add_f64 v[69:70], v[69:70], -v[73:74]
	v_fma_f64 v[99:100], v[101:102], v[97:98], v[99:100]
	v_add_f64 v[71:72], v[71:72], -v[99:100]
	ds_read2_b64 v[99:102], v125 offset0:34 offset1:35
	s_waitcnt lgkmcnt(0)
	v_mul_f64 v[73:74], v[101:102], v[75:76]
	v_fma_f64 v[73:74], v[99:100], v[97:98], -v[73:74]
	v_mul_f64 v[99:100], v[99:100], v[75:76]
	v_add_f64 v[65:66], v[65:66], -v[73:74]
	v_fma_f64 v[99:100], v[101:102], v[97:98], v[99:100]
	v_add_f64 v[67:68], v[67:68], -v[99:100]
	;; [unrolled: 8-line block ×18, first 2 shown]
	ds_read2_b64 v[99:102], v125 offset0:68 offset1:69
	s_waitcnt lgkmcnt(0)
	v_mul_f64 v[73:74], v[101:102], v[75:76]
	v_fma_f64 v[73:74], v[99:100], v[97:98], -v[73:74]
	v_mul_f64 v[99:100], v[99:100], v[75:76]
	v_add_f64 v[121:122], v[121:122], -v[73:74]
	v_fma_f64 v[99:100], v[101:102], v[97:98], v[99:100]
	v_mov_b32_e32 v73, v97
	v_mov_b32_e32 v74, v98
	v_add_f64 v[123:124], v[123:124], -v[99:100]
.LBB69_145:
	s_or_b64 exec, exec, s[2:3]
	v_cmp_eq_u32_e32 vcc, 16, v0
	s_waitcnt vmcnt(0)
	s_barrier
	s_and_saveexec_b64 s[4:5], vcc
	s_cbranch_execz .LBB69_152
; %bb.146:
	ds_write2_b64 v127, v[69:70], v[71:72] offset1:1
	ds_write2_b64 v125, v[65:66], v[67:68] offset0:34 offset1:35
	ds_write2_b64 v125, v[61:62], v[63:64] offset0:36 offset1:37
	;; [unrolled: 1-line block ×18, first 2 shown]
	ds_read2_b64 v[97:100], v127 offset1:1
	s_waitcnt lgkmcnt(0)
	v_cmp_neq_f64_e32 vcc, 0, v[97:98]
	v_cmp_neq_f64_e64 s[2:3], 0, v[99:100]
	s_or_b64 s[2:3], vcc, s[2:3]
	s_and_b64 exec, exec, s[2:3]
	s_cbranch_execz .LBB69_152
; %bb.147:
	v_cmp_ngt_f64_e64 s[2:3], |v[97:98]|, |v[99:100]|
                                        ; implicit-def: $vgpr101_vgpr102
	s_and_saveexec_b64 s[6:7], s[2:3]
	s_xor_b64 s[2:3], exec, s[6:7]
                                        ; implicit-def: $vgpr103_vgpr104
	s_cbranch_execz .LBB69_149
; %bb.148:
	v_div_scale_f64 v[101:102], s[6:7], v[99:100], v[99:100], v[97:98]
	v_rcp_f64_e32 v[103:104], v[101:102]
	v_fma_f64 v[105:106], -v[101:102], v[103:104], 1.0
	v_fma_f64 v[103:104], v[103:104], v[105:106], v[103:104]
	v_div_scale_f64 v[105:106], vcc, v[97:98], v[99:100], v[97:98]
	v_fma_f64 v[107:108], -v[101:102], v[103:104], 1.0
	v_fma_f64 v[103:104], v[103:104], v[107:108], v[103:104]
	v_mul_f64 v[107:108], v[105:106], v[103:104]
	v_fma_f64 v[101:102], -v[101:102], v[107:108], v[105:106]
	v_div_fmas_f64 v[101:102], v[101:102], v[103:104], v[107:108]
	v_div_fixup_f64 v[101:102], v[101:102], v[99:100], v[97:98]
	v_fma_f64 v[97:98], v[97:98], v[101:102], v[99:100]
	v_div_scale_f64 v[99:100], s[6:7], v[97:98], v[97:98], 1.0
	v_div_scale_f64 v[107:108], vcc, 1.0, v[97:98], 1.0
	v_rcp_f64_e32 v[103:104], v[99:100]
	v_fma_f64 v[105:106], -v[99:100], v[103:104], 1.0
	v_fma_f64 v[103:104], v[103:104], v[105:106], v[103:104]
	v_fma_f64 v[105:106], -v[99:100], v[103:104], 1.0
	v_fma_f64 v[103:104], v[103:104], v[105:106], v[103:104]
	v_mul_f64 v[105:106], v[107:108], v[103:104]
	v_fma_f64 v[99:100], -v[99:100], v[105:106], v[107:108]
	v_div_fmas_f64 v[99:100], v[99:100], v[103:104], v[105:106]
	v_div_fixup_f64 v[103:104], v[99:100], v[97:98], 1.0
                                        ; implicit-def: $vgpr97_vgpr98
	v_mul_f64 v[101:102], v[101:102], v[103:104]
	v_xor_b32_e32 v104, 0x80000000, v104
.LBB69_149:
	s_andn2_saveexec_b64 s[2:3], s[2:3]
	s_cbranch_execz .LBB69_151
; %bb.150:
	v_div_scale_f64 v[101:102], s[6:7], v[97:98], v[97:98], v[99:100]
	v_rcp_f64_e32 v[103:104], v[101:102]
	v_fma_f64 v[105:106], -v[101:102], v[103:104], 1.0
	v_fma_f64 v[103:104], v[103:104], v[105:106], v[103:104]
	v_div_scale_f64 v[105:106], vcc, v[99:100], v[97:98], v[99:100]
	v_fma_f64 v[107:108], -v[101:102], v[103:104], 1.0
	v_fma_f64 v[103:104], v[103:104], v[107:108], v[103:104]
	v_mul_f64 v[107:108], v[105:106], v[103:104]
	v_fma_f64 v[101:102], -v[101:102], v[107:108], v[105:106]
	v_div_fmas_f64 v[101:102], v[101:102], v[103:104], v[107:108]
	v_div_fixup_f64 v[103:104], v[101:102], v[97:98], v[99:100]
	v_fma_f64 v[97:98], v[99:100], v[103:104], v[97:98]
	v_div_scale_f64 v[99:100], s[6:7], v[97:98], v[97:98], 1.0
	v_div_scale_f64 v[107:108], vcc, 1.0, v[97:98], 1.0
	v_rcp_f64_e32 v[101:102], v[99:100]
	v_fma_f64 v[105:106], -v[99:100], v[101:102], 1.0
	v_fma_f64 v[101:102], v[101:102], v[105:106], v[101:102]
	v_fma_f64 v[105:106], -v[99:100], v[101:102], 1.0
	v_fma_f64 v[101:102], v[101:102], v[105:106], v[101:102]
	v_mul_f64 v[105:106], v[107:108], v[101:102]
	v_fma_f64 v[99:100], -v[99:100], v[105:106], v[107:108]
	v_div_fmas_f64 v[99:100], v[99:100], v[101:102], v[105:106]
	v_div_fixup_f64 v[101:102], v[99:100], v[97:98], 1.0
	v_mul_f64 v[103:104], v[103:104], -v[101:102]
.LBB69_151:
	s_or_b64 exec, exec, s[2:3]
	ds_write2_b64 v127, v[101:102], v[103:104] offset1:1
.LBB69_152:
	s_or_b64 exec, exec, s[4:5]
	s_waitcnt lgkmcnt(0)
	s_barrier
	ds_read2_b64 v[97:100], v127 offset1:1
	v_cmp_lt_u32_e32 vcc, 16, v0
	s_waitcnt lgkmcnt(0)
	buffer_store_dword v97, off, s[20:23], 0 offset:712 ; 4-byte Folded Spill
	s_nop 0
	buffer_store_dword v98, off, s[20:23], 0 offset:716 ; 4-byte Folded Spill
	buffer_store_dword v99, off, s[20:23], 0 offset:720 ; 4-byte Folded Spill
	;; [unrolled: 1-line block ×3, first 2 shown]
	s_and_saveexec_b64 s[2:3], vcc
	s_cbranch_execz .LBB69_154
; %bb.153:
	buffer_load_dword v99, off, s[20:23], 0 offset:712 ; 4-byte Folded Reload
	buffer_load_dword v100, off, s[20:23], 0 offset:716 ; 4-byte Folded Reload
	;; [unrolled: 1-line block ×4, first 2 shown]
	s_waitcnt vmcnt(0)
	v_mul_f64 v[97:98], v[101:102], v[71:72]
	v_mul_f64 v[71:72], v[99:100], v[71:72]
	v_fma_f64 v[97:98], v[99:100], v[69:70], -v[97:98]
	v_fma_f64 v[71:72], v[101:102], v[69:70], v[71:72]
	ds_read2_b64 v[99:102], v125 offset0:34 offset1:35
	s_waitcnt lgkmcnt(0)
	v_mul_f64 v[69:70], v[101:102], v[71:72]
	v_fma_f64 v[69:70], v[99:100], v[97:98], -v[69:70]
	v_mul_f64 v[99:100], v[99:100], v[71:72]
	v_add_f64 v[65:66], v[65:66], -v[69:70]
	v_fma_f64 v[99:100], v[101:102], v[97:98], v[99:100]
	v_add_f64 v[67:68], v[67:68], -v[99:100]
	ds_read2_b64 v[99:102], v125 offset0:36 offset1:37
	s_waitcnt lgkmcnt(0)
	v_mul_f64 v[69:70], v[101:102], v[71:72]
	v_fma_f64 v[69:70], v[99:100], v[97:98], -v[69:70]
	v_mul_f64 v[99:100], v[99:100], v[71:72]
	v_add_f64 v[61:62], v[61:62], -v[69:70]
	v_fma_f64 v[99:100], v[101:102], v[97:98], v[99:100]
	v_add_f64 v[63:64], v[63:64], -v[99:100]
	;; [unrolled: 8-line block ×17, first 2 shown]
	ds_read2_b64 v[99:102], v125 offset0:68 offset1:69
	s_waitcnt lgkmcnt(0)
	v_mul_f64 v[69:70], v[101:102], v[71:72]
	v_fma_f64 v[69:70], v[99:100], v[97:98], -v[69:70]
	v_mul_f64 v[99:100], v[99:100], v[71:72]
	v_add_f64 v[121:122], v[121:122], -v[69:70]
	v_fma_f64 v[99:100], v[101:102], v[97:98], v[99:100]
	v_mov_b32_e32 v69, v97
	v_mov_b32_e32 v70, v98
	v_add_f64 v[123:124], v[123:124], -v[99:100]
.LBB69_154:
	s_or_b64 exec, exec, s[2:3]
	v_cmp_eq_u32_e32 vcc, 17, v0
	s_waitcnt vmcnt(0)
	s_barrier
	s_and_saveexec_b64 s[4:5], vcc
	s_cbranch_execz .LBB69_161
; %bb.155:
	ds_write2_b64 v127, v[65:66], v[67:68] offset1:1
	ds_write2_b64 v125, v[61:62], v[63:64] offset0:36 offset1:37
	ds_write2_b64 v125, v[57:58], v[59:60] offset0:38 offset1:39
	;; [unrolled: 1-line block ×17, first 2 shown]
	ds_read2_b64 v[97:100], v127 offset1:1
	s_waitcnt lgkmcnt(0)
	v_cmp_neq_f64_e32 vcc, 0, v[97:98]
	v_cmp_neq_f64_e64 s[2:3], 0, v[99:100]
	s_or_b64 s[2:3], vcc, s[2:3]
	s_and_b64 exec, exec, s[2:3]
	s_cbranch_execz .LBB69_161
; %bb.156:
	v_cmp_ngt_f64_e64 s[2:3], |v[97:98]|, |v[99:100]|
                                        ; implicit-def: $vgpr101_vgpr102
	s_and_saveexec_b64 s[6:7], s[2:3]
	s_xor_b64 s[2:3], exec, s[6:7]
                                        ; implicit-def: $vgpr103_vgpr104
	s_cbranch_execz .LBB69_158
; %bb.157:
	v_div_scale_f64 v[101:102], s[6:7], v[99:100], v[99:100], v[97:98]
	v_rcp_f64_e32 v[103:104], v[101:102]
	v_fma_f64 v[105:106], -v[101:102], v[103:104], 1.0
	v_fma_f64 v[103:104], v[103:104], v[105:106], v[103:104]
	v_div_scale_f64 v[105:106], vcc, v[97:98], v[99:100], v[97:98]
	v_fma_f64 v[107:108], -v[101:102], v[103:104], 1.0
	v_fma_f64 v[103:104], v[103:104], v[107:108], v[103:104]
	v_mul_f64 v[107:108], v[105:106], v[103:104]
	v_fma_f64 v[101:102], -v[101:102], v[107:108], v[105:106]
	v_div_fmas_f64 v[101:102], v[101:102], v[103:104], v[107:108]
	v_div_fixup_f64 v[101:102], v[101:102], v[99:100], v[97:98]
	v_fma_f64 v[97:98], v[97:98], v[101:102], v[99:100]
	v_div_scale_f64 v[99:100], s[6:7], v[97:98], v[97:98], 1.0
	v_div_scale_f64 v[107:108], vcc, 1.0, v[97:98], 1.0
	v_rcp_f64_e32 v[103:104], v[99:100]
	v_fma_f64 v[105:106], -v[99:100], v[103:104], 1.0
	v_fma_f64 v[103:104], v[103:104], v[105:106], v[103:104]
	v_fma_f64 v[105:106], -v[99:100], v[103:104], 1.0
	v_fma_f64 v[103:104], v[103:104], v[105:106], v[103:104]
	v_mul_f64 v[105:106], v[107:108], v[103:104]
	v_fma_f64 v[99:100], -v[99:100], v[105:106], v[107:108]
	v_div_fmas_f64 v[99:100], v[99:100], v[103:104], v[105:106]
	v_div_fixup_f64 v[103:104], v[99:100], v[97:98], 1.0
                                        ; implicit-def: $vgpr97_vgpr98
	v_mul_f64 v[101:102], v[101:102], v[103:104]
	v_xor_b32_e32 v104, 0x80000000, v104
.LBB69_158:
	s_andn2_saveexec_b64 s[2:3], s[2:3]
	s_cbranch_execz .LBB69_160
; %bb.159:
	v_div_scale_f64 v[101:102], s[6:7], v[97:98], v[97:98], v[99:100]
	v_rcp_f64_e32 v[103:104], v[101:102]
	v_fma_f64 v[105:106], -v[101:102], v[103:104], 1.0
	v_fma_f64 v[103:104], v[103:104], v[105:106], v[103:104]
	v_div_scale_f64 v[105:106], vcc, v[99:100], v[97:98], v[99:100]
	v_fma_f64 v[107:108], -v[101:102], v[103:104], 1.0
	v_fma_f64 v[103:104], v[103:104], v[107:108], v[103:104]
	v_mul_f64 v[107:108], v[105:106], v[103:104]
	v_fma_f64 v[101:102], -v[101:102], v[107:108], v[105:106]
	v_div_fmas_f64 v[101:102], v[101:102], v[103:104], v[107:108]
	v_div_fixup_f64 v[103:104], v[101:102], v[97:98], v[99:100]
	v_fma_f64 v[97:98], v[99:100], v[103:104], v[97:98]
	v_div_scale_f64 v[99:100], s[6:7], v[97:98], v[97:98], 1.0
	v_div_scale_f64 v[107:108], vcc, 1.0, v[97:98], 1.0
	v_rcp_f64_e32 v[101:102], v[99:100]
	v_fma_f64 v[105:106], -v[99:100], v[101:102], 1.0
	v_fma_f64 v[101:102], v[101:102], v[105:106], v[101:102]
	v_fma_f64 v[105:106], -v[99:100], v[101:102], 1.0
	v_fma_f64 v[101:102], v[101:102], v[105:106], v[101:102]
	v_mul_f64 v[105:106], v[107:108], v[101:102]
	v_fma_f64 v[99:100], -v[99:100], v[105:106], v[107:108]
	v_div_fmas_f64 v[99:100], v[99:100], v[101:102], v[105:106]
	v_div_fixup_f64 v[101:102], v[99:100], v[97:98], 1.0
	v_mul_f64 v[103:104], v[103:104], -v[101:102]
.LBB69_160:
	s_or_b64 exec, exec, s[2:3]
	ds_write2_b64 v127, v[101:102], v[103:104] offset1:1
.LBB69_161:
	s_or_b64 exec, exec, s[4:5]
	s_waitcnt lgkmcnt(0)
	s_barrier
	ds_read2_b64 v[97:100], v127 offset1:1
	v_cmp_lt_u32_e32 vcc, 17, v0
	s_waitcnt lgkmcnt(0)
	buffer_store_dword v97, off, s[20:23], 0 offset:728 ; 4-byte Folded Spill
	s_nop 0
	buffer_store_dword v98, off, s[20:23], 0 offset:732 ; 4-byte Folded Spill
	buffer_store_dword v99, off, s[20:23], 0 offset:736 ; 4-byte Folded Spill
	buffer_store_dword v100, off, s[20:23], 0 offset:740 ; 4-byte Folded Spill
	s_and_saveexec_b64 s[2:3], vcc
	s_cbranch_execz .LBB69_163
; %bb.162:
	buffer_load_dword v99, off, s[20:23], 0 offset:728 ; 4-byte Folded Reload
	buffer_load_dword v100, off, s[20:23], 0 offset:732 ; 4-byte Folded Reload
	;; [unrolled: 1-line block ×4, first 2 shown]
	s_waitcnt vmcnt(0)
	v_mul_f64 v[97:98], v[101:102], v[67:68]
	v_mul_f64 v[67:68], v[99:100], v[67:68]
	v_fma_f64 v[97:98], v[99:100], v[65:66], -v[97:98]
	v_fma_f64 v[67:68], v[101:102], v[65:66], v[67:68]
	ds_read2_b64 v[99:102], v125 offset0:36 offset1:37
	s_waitcnt lgkmcnt(0)
	v_mul_f64 v[65:66], v[101:102], v[67:68]
	v_fma_f64 v[65:66], v[99:100], v[97:98], -v[65:66]
	v_mul_f64 v[99:100], v[99:100], v[67:68]
	v_add_f64 v[61:62], v[61:62], -v[65:66]
	v_fma_f64 v[99:100], v[101:102], v[97:98], v[99:100]
	v_add_f64 v[63:64], v[63:64], -v[99:100]
	ds_read2_b64 v[99:102], v125 offset0:38 offset1:39
	s_waitcnt lgkmcnt(0)
	v_mul_f64 v[65:66], v[101:102], v[67:68]
	v_fma_f64 v[65:66], v[99:100], v[97:98], -v[65:66]
	v_mul_f64 v[99:100], v[99:100], v[67:68]
	v_add_f64 v[57:58], v[57:58], -v[65:66]
	v_fma_f64 v[99:100], v[101:102], v[97:98], v[99:100]
	v_add_f64 v[59:60], v[59:60], -v[99:100]
	;; [unrolled: 8-line block ×16, first 2 shown]
	ds_read2_b64 v[99:102], v125 offset0:68 offset1:69
	s_waitcnt lgkmcnt(0)
	v_mul_f64 v[65:66], v[101:102], v[67:68]
	v_fma_f64 v[65:66], v[99:100], v[97:98], -v[65:66]
	v_mul_f64 v[99:100], v[99:100], v[67:68]
	v_add_f64 v[121:122], v[121:122], -v[65:66]
	v_fma_f64 v[99:100], v[101:102], v[97:98], v[99:100]
	v_mov_b32_e32 v65, v97
	v_mov_b32_e32 v66, v98
	v_add_f64 v[123:124], v[123:124], -v[99:100]
.LBB69_163:
	s_or_b64 exec, exec, s[2:3]
	v_cmp_eq_u32_e32 vcc, 18, v0
	s_waitcnt vmcnt(0)
	s_barrier
	s_and_saveexec_b64 s[4:5], vcc
	s_cbranch_execz .LBB69_170
; %bb.164:
	ds_write2_b64 v127, v[61:62], v[63:64] offset1:1
	ds_write2_b64 v125, v[57:58], v[59:60] offset0:38 offset1:39
	ds_write2_b64 v125, v[53:54], v[55:56] offset0:40 offset1:41
	;; [unrolled: 1-line block ×16, first 2 shown]
	ds_read2_b64 v[97:100], v127 offset1:1
	s_waitcnt lgkmcnt(0)
	v_cmp_neq_f64_e32 vcc, 0, v[97:98]
	v_cmp_neq_f64_e64 s[2:3], 0, v[99:100]
	s_or_b64 s[2:3], vcc, s[2:3]
	s_and_b64 exec, exec, s[2:3]
	s_cbranch_execz .LBB69_170
; %bb.165:
	v_cmp_ngt_f64_e64 s[2:3], |v[97:98]|, |v[99:100]|
                                        ; implicit-def: $vgpr101_vgpr102
	s_and_saveexec_b64 s[6:7], s[2:3]
	s_xor_b64 s[2:3], exec, s[6:7]
                                        ; implicit-def: $vgpr103_vgpr104
	s_cbranch_execz .LBB69_167
; %bb.166:
	v_div_scale_f64 v[101:102], s[6:7], v[99:100], v[99:100], v[97:98]
	v_rcp_f64_e32 v[103:104], v[101:102]
	v_fma_f64 v[105:106], -v[101:102], v[103:104], 1.0
	v_fma_f64 v[103:104], v[103:104], v[105:106], v[103:104]
	v_div_scale_f64 v[105:106], vcc, v[97:98], v[99:100], v[97:98]
	v_fma_f64 v[107:108], -v[101:102], v[103:104], 1.0
	v_fma_f64 v[103:104], v[103:104], v[107:108], v[103:104]
	v_mul_f64 v[107:108], v[105:106], v[103:104]
	v_fma_f64 v[101:102], -v[101:102], v[107:108], v[105:106]
	v_div_fmas_f64 v[101:102], v[101:102], v[103:104], v[107:108]
	v_div_fixup_f64 v[101:102], v[101:102], v[99:100], v[97:98]
	v_fma_f64 v[97:98], v[97:98], v[101:102], v[99:100]
	v_div_scale_f64 v[99:100], s[6:7], v[97:98], v[97:98], 1.0
	v_div_scale_f64 v[107:108], vcc, 1.0, v[97:98], 1.0
	v_rcp_f64_e32 v[103:104], v[99:100]
	v_fma_f64 v[105:106], -v[99:100], v[103:104], 1.0
	v_fma_f64 v[103:104], v[103:104], v[105:106], v[103:104]
	v_fma_f64 v[105:106], -v[99:100], v[103:104], 1.0
	v_fma_f64 v[103:104], v[103:104], v[105:106], v[103:104]
	v_mul_f64 v[105:106], v[107:108], v[103:104]
	v_fma_f64 v[99:100], -v[99:100], v[105:106], v[107:108]
	v_div_fmas_f64 v[99:100], v[99:100], v[103:104], v[105:106]
	v_div_fixup_f64 v[103:104], v[99:100], v[97:98], 1.0
                                        ; implicit-def: $vgpr97_vgpr98
	v_mul_f64 v[101:102], v[101:102], v[103:104]
	v_xor_b32_e32 v104, 0x80000000, v104
.LBB69_167:
	s_andn2_saveexec_b64 s[2:3], s[2:3]
	s_cbranch_execz .LBB69_169
; %bb.168:
	v_div_scale_f64 v[101:102], s[6:7], v[97:98], v[97:98], v[99:100]
	v_rcp_f64_e32 v[103:104], v[101:102]
	v_fma_f64 v[105:106], -v[101:102], v[103:104], 1.0
	v_fma_f64 v[103:104], v[103:104], v[105:106], v[103:104]
	v_div_scale_f64 v[105:106], vcc, v[99:100], v[97:98], v[99:100]
	v_fma_f64 v[107:108], -v[101:102], v[103:104], 1.0
	v_fma_f64 v[103:104], v[103:104], v[107:108], v[103:104]
	v_mul_f64 v[107:108], v[105:106], v[103:104]
	v_fma_f64 v[101:102], -v[101:102], v[107:108], v[105:106]
	v_div_fmas_f64 v[101:102], v[101:102], v[103:104], v[107:108]
	v_div_fixup_f64 v[103:104], v[101:102], v[97:98], v[99:100]
	v_fma_f64 v[97:98], v[99:100], v[103:104], v[97:98]
	v_div_scale_f64 v[99:100], s[6:7], v[97:98], v[97:98], 1.0
	v_div_scale_f64 v[107:108], vcc, 1.0, v[97:98], 1.0
	v_rcp_f64_e32 v[101:102], v[99:100]
	v_fma_f64 v[105:106], -v[99:100], v[101:102], 1.0
	v_fma_f64 v[101:102], v[101:102], v[105:106], v[101:102]
	v_fma_f64 v[105:106], -v[99:100], v[101:102], 1.0
	v_fma_f64 v[101:102], v[101:102], v[105:106], v[101:102]
	v_mul_f64 v[105:106], v[107:108], v[101:102]
	v_fma_f64 v[99:100], -v[99:100], v[105:106], v[107:108]
	v_div_fmas_f64 v[99:100], v[99:100], v[101:102], v[105:106]
	v_div_fixup_f64 v[101:102], v[99:100], v[97:98], 1.0
	v_mul_f64 v[103:104], v[103:104], -v[101:102]
.LBB69_169:
	s_or_b64 exec, exec, s[2:3]
	ds_write2_b64 v127, v[101:102], v[103:104] offset1:1
.LBB69_170:
	s_or_b64 exec, exec, s[4:5]
	s_waitcnt lgkmcnt(0)
	s_barrier
	ds_read2_b64 v[97:100], v127 offset1:1
	v_cmp_lt_u32_e32 vcc, 18, v0
	s_waitcnt lgkmcnt(0)
	buffer_store_dword v97, off, s[20:23], 0 offset:744 ; 4-byte Folded Spill
	s_nop 0
	buffer_store_dword v98, off, s[20:23], 0 offset:748 ; 4-byte Folded Spill
	buffer_store_dword v99, off, s[20:23], 0 offset:752 ; 4-byte Folded Spill
	;; [unrolled: 1-line block ×3, first 2 shown]
	s_and_saveexec_b64 s[2:3], vcc
	s_cbranch_execz .LBB69_172
; %bb.171:
	buffer_load_dword v99, off, s[20:23], 0 offset:744 ; 4-byte Folded Reload
	buffer_load_dword v100, off, s[20:23], 0 offset:748 ; 4-byte Folded Reload
	buffer_load_dword v101, off, s[20:23], 0 offset:752 ; 4-byte Folded Reload
	buffer_load_dword v102, off, s[20:23], 0 offset:756 ; 4-byte Folded Reload
	s_waitcnt vmcnt(2)
	v_mul_f64 v[97:98], v[99:100], v[63:64]
	s_waitcnt vmcnt(0)
	v_mul_f64 v[63:64], v[101:102], v[63:64]
	v_fma_f64 v[97:98], v[101:102], v[61:62], v[97:98]
	v_fma_f64 v[61:62], v[99:100], v[61:62], -v[63:64]
	ds_read2_b64 v[99:102], v125 offset0:38 offset1:39
	s_waitcnt lgkmcnt(0)
	v_mul_f64 v[63:64], v[101:102], v[97:98]
	v_fma_f64 v[63:64], v[99:100], v[61:62], -v[63:64]
	v_mul_f64 v[99:100], v[99:100], v[97:98]
	v_add_f64 v[57:58], v[57:58], -v[63:64]
	v_fma_f64 v[99:100], v[101:102], v[61:62], v[99:100]
	v_add_f64 v[59:60], v[59:60], -v[99:100]
	ds_read2_b64 v[99:102], v125 offset0:40 offset1:41
	s_waitcnt lgkmcnt(0)
	v_mul_f64 v[63:64], v[101:102], v[97:98]
	v_fma_f64 v[63:64], v[99:100], v[61:62], -v[63:64]
	v_mul_f64 v[99:100], v[99:100], v[97:98]
	v_add_f64 v[53:54], v[53:54], -v[63:64]
	v_fma_f64 v[99:100], v[101:102], v[61:62], v[99:100]
	v_add_f64 v[55:56], v[55:56], -v[99:100]
	;; [unrolled: 8-line block ×15, first 2 shown]
	ds_read2_b64 v[99:102], v125 offset0:68 offset1:69
	s_waitcnt lgkmcnt(0)
	v_mul_f64 v[63:64], v[101:102], v[97:98]
	v_fma_f64 v[63:64], v[99:100], v[61:62], -v[63:64]
	v_mul_f64 v[99:100], v[99:100], v[97:98]
	v_add_f64 v[121:122], v[121:122], -v[63:64]
	v_fma_f64 v[99:100], v[101:102], v[61:62], v[99:100]
	v_mov_b32_e32 v63, v97
	v_mov_b32_e32 v64, v98
	v_add_f64 v[123:124], v[123:124], -v[99:100]
.LBB69_172:
	s_or_b64 exec, exec, s[2:3]
	v_cmp_eq_u32_e32 vcc, 19, v0
	s_waitcnt vmcnt(0)
	s_barrier
	s_and_saveexec_b64 s[4:5], vcc
	s_cbranch_execz .LBB69_179
; %bb.173:
	ds_write2_b64 v127, v[57:58], v[59:60] offset1:1
	ds_write2_b64 v125, v[53:54], v[55:56] offset0:40 offset1:41
	ds_write2_b64 v125, v[49:50], v[51:52] offset0:42 offset1:43
	;; [unrolled: 1-line block ×15, first 2 shown]
	ds_read2_b64 v[97:100], v127 offset1:1
	s_waitcnt lgkmcnt(0)
	v_cmp_neq_f64_e32 vcc, 0, v[97:98]
	v_cmp_neq_f64_e64 s[2:3], 0, v[99:100]
	s_or_b64 s[2:3], vcc, s[2:3]
	s_and_b64 exec, exec, s[2:3]
	s_cbranch_execz .LBB69_179
; %bb.174:
	v_cmp_ngt_f64_e64 s[2:3], |v[97:98]|, |v[99:100]|
                                        ; implicit-def: $vgpr101_vgpr102
	s_and_saveexec_b64 s[6:7], s[2:3]
	s_xor_b64 s[2:3], exec, s[6:7]
                                        ; implicit-def: $vgpr103_vgpr104
	s_cbranch_execz .LBB69_176
; %bb.175:
	v_div_scale_f64 v[101:102], s[6:7], v[99:100], v[99:100], v[97:98]
	v_rcp_f64_e32 v[103:104], v[101:102]
	v_fma_f64 v[105:106], -v[101:102], v[103:104], 1.0
	v_fma_f64 v[103:104], v[103:104], v[105:106], v[103:104]
	v_div_scale_f64 v[105:106], vcc, v[97:98], v[99:100], v[97:98]
	v_fma_f64 v[107:108], -v[101:102], v[103:104], 1.0
	v_fma_f64 v[103:104], v[103:104], v[107:108], v[103:104]
	v_mul_f64 v[107:108], v[105:106], v[103:104]
	v_fma_f64 v[101:102], -v[101:102], v[107:108], v[105:106]
	v_div_fmas_f64 v[101:102], v[101:102], v[103:104], v[107:108]
	v_div_fixup_f64 v[101:102], v[101:102], v[99:100], v[97:98]
	v_fma_f64 v[97:98], v[97:98], v[101:102], v[99:100]
	v_div_scale_f64 v[99:100], s[6:7], v[97:98], v[97:98], 1.0
	v_div_scale_f64 v[107:108], vcc, 1.0, v[97:98], 1.0
	v_rcp_f64_e32 v[103:104], v[99:100]
	v_fma_f64 v[105:106], -v[99:100], v[103:104], 1.0
	v_fma_f64 v[103:104], v[103:104], v[105:106], v[103:104]
	v_fma_f64 v[105:106], -v[99:100], v[103:104], 1.0
	v_fma_f64 v[103:104], v[103:104], v[105:106], v[103:104]
	v_mul_f64 v[105:106], v[107:108], v[103:104]
	v_fma_f64 v[99:100], -v[99:100], v[105:106], v[107:108]
	v_div_fmas_f64 v[99:100], v[99:100], v[103:104], v[105:106]
	v_div_fixup_f64 v[103:104], v[99:100], v[97:98], 1.0
                                        ; implicit-def: $vgpr97_vgpr98
	v_mul_f64 v[101:102], v[101:102], v[103:104]
	v_xor_b32_e32 v104, 0x80000000, v104
.LBB69_176:
	s_andn2_saveexec_b64 s[2:3], s[2:3]
	s_cbranch_execz .LBB69_178
; %bb.177:
	v_div_scale_f64 v[101:102], s[6:7], v[97:98], v[97:98], v[99:100]
	v_rcp_f64_e32 v[103:104], v[101:102]
	v_fma_f64 v[105:106], -v[101:102], v[103:104], 1.0
	v_fma_f64 v[103:104], v[103:104], v[105:106], v[103:104]
	v_div_scale_f64 v[105:106], vcc, v[99:100], v[97:98], v[99:100]
	v_fma_f64 v[107:108], -v[101:102], v[103:104], 1.0
	v_fma_f64 v[103:104], v[103:104], v[107:108], v[103:104]
	v_mul_f64 v[107:108], v[105:106], v[103:104]
	v_fma_f64 v[101:102], -v[101:102], v[107:108], v[105:106]
	v_div_fmas_f64 v[101:102], v[101:102], v[103:104], v[107:108]
	v_div_fixup_f64 v[103:104], v[101:102], v[97:98], v[99:100]
	v_fma_f64 v[97:98], v[99:100], v[103:104], v[97:98]
	v_div_scale_f64 v[99:100], s[6:7], v[97:98], v[97:98], 1.0
	v_div_scale_f64 v[107:108], vcc, 1.0, v[97:98], 1.0
	v_rcp_f64_e32 v[101:102], v[99:100]
	v_fma_f64 v[105:106], -v[99:100], v[101:102], 1.0
	v_fma_f64 v[101:102], v[101:102], v[105:106], v[101:102]
	v_fma_f64 v[105:106], -v[99:100], v[101:102], 1.0
	v_fma_f64 v[101:102], v[101:102], v[105:106], v[101:102]
	v_mul_f64 v[105:106], v[107:108], v[101:102]
	v_fma_f64 v[99:100], -v[99:100], v[105:106], v[107:108]
	v_div_fmas_f64 v[99:100], v[99:100], v[101:102], v[105:106]
	v_div_fixup_f64 v[101:102], v[99:100], v[97:98], 1.0
	v_mul_f64 v[103:104], v[103:104], -v[101:102]
.LBB69_178:
	s_or_b64 exec, exec, s[2:3]
	ds_write2_b64 v127, v[101:102], v[103:104] offset1:1
.LBB69_179:
	s_or_b64 exec, exec, s[4:5]
	s_waitcnt lgkmcnt(0)
	s_barrier
	ds_read2_b64 v[97:100], v127 offset1:1
	v_cmp_lt_u32_e32 vcc, 19, v0
	s_waitcnt lgkmcnt(0)
	buffer_store_dword v97, off, s[20:23], 0 offset:760 ; 4-byte Folded Spill
	s_nop 0
	buffer_store_dword v98, off, s[20:23], 0 offset:764 ; 4-byte Folded Spill
	buffer_store_dword v99, off, s[20:23], 0 offset:768 ; 4-byte Folded Spill
	;; [unrolled: 1-line block ×3, first 2 shown]
	s_and_saveexec_b64 s[2:3], vcc
	s_cbranch_execz .LBB69_181
; %bb.180:
	buffer_load_dword v99, off, s[20:23], 0 offset:760 ; 4-byte Folded Reload
	buffer_load_dword v100, off, s[20:23], 0 offset:764 ; 4-byte Folded Reload
	;; [unrolled: 1-line block ×4, first 2 shown]
	s_waitcnt vmcnt(2)
	v_mul_f64 v[97:98], v[99:100], v[59:60]
	s_waitcnt vmcnt(0)
	v_mul_f64 v[59:60], v[101:102], v[59:60]
	v_fma_f64 v[97:98], v[101:102], v[57:58], v[97:98]
	v_fma_f64 v[57:58], v[99:100], v[57:58], -v[59:60]
	ds_read2_b64 v[99:102], v125 offset0:40 offset1:41
	s_waitcnt lgkmcnt(0)
	v_mul_f64 v[59:60], v[101:102], v[97:98]
	v_fma_f64 v[59:60], v[99:100], v[57:58], -v[59:60]
	v_mul_f64 v[99:100], v[99:100], v[97:98]
	v_add_f64 v[53:54], v[53:54], -v[59:60]
	v_fma_f64 v[99:100], v[101:102], v[57:58], v[99:100]
	v_add_f64 v[55:56], v[55:56], -v[99:100]
	ds_read2_b64 v[99:102], v125 offset0:42 offset1:43
	s_waitcnt lgkmcnt(0)
	v_mul_f64 v[59:60], v[101:102], v[97:98]
	v_fma_f64 v[59:60], v[99:100], v[57:58], -v[59:60]
	v_mul_f64 v[99:100], v[99:100], v[97:98]
	v_add_f64 v[49:50], v[49:50], -v[59:60]
	v_fma_f64 v[99:100], v[101:102], v[57:58], v[99:100]
	v_add_f64 v[51:52], v[51:52], -v[99:100]
	;; [unrolled: 8-line block ×14, first 2 shown]
	ds_read2_b64 v[99:102], v125 offset0:68 offset1:69
	s_waitcnt lgkmcnt(0)
	v_mul_f64 v[59:60], v[101:102], v[97:98]
	v_fma_f64 v[59:60], v[99:100], v[57:58], -v[59:60]
	v_mul_f64 v[99:100], v[99:100], v[97:98]
	v_add_f64 v[121:122], v[121:122], -v[59:60]
	v_fma_f64 v[99:100], v[101:102], v[57:58], v[99:100]
	v_mov_b32_e32 v59, v97
	v_mov_b32_e32 v60, v98
	v_add_f64 v[123:124], v[123:124], -v[99:100]
.LBB69_181:
	s_or_b64 exec, exec, s[2:3]
	v_cmp_eq_u32_e32 vcc, 20, v0
	s_waitcnt vmcnt(0)
	s_barrier
	s_and_saveexec_b64 s[4:5], vcc
	s_cbranch_execz .LBB69_188
; %bb.182:
	ds_write2_b64 v127, v[53:54], v[55:56] offset1:1
	ds_write2_b64 v125, v[49:50], v[51:52] offset0:42 offset1:43
	ds_write2_b64 v125, v[45:46], v[47:48] offset0:44 offset1:45
	;; [unrolled: 1-line block ×14, first 2 shown]
	ds_read2_b64 v[97:100], v127 offset1:1
	s_waitcnt lgkmcnt(0)
	v_cmp_neq_f64_e32 vcc, 0, v[97:98]
	v_cmp_neq_f64_e64 s[2:3], 0, v[99:100]
	s_or_b64 s[2:3], vcc, s[2:3]
	s_and_b64 exec, exec, s[2:3]
	s_cbranch_execz .LBB69_188
; %bb.183:
	v_cmp_ngt_f64_e64 s[2:3], |v[97:98]|, |v[99:100]|
                                        ; implicit-def: $vgpr101_vgpr102
	s_and_saveexec_b64 s[6:7], s[2:3]
	s_xor_b64 s[2:3], exec, s[6:7]
                                        ; implicit-def: $vgpr103_vgpr104
	s_cbranch_execz .LBB69_185
; %bb.184:
	v_div_scale_f64 v[101:102], s[6:7], v[99:100], v[99:100], v[97:98]
	v_rcp_f64_e32 v[103:104], v[101:102]
	v_fma_f64 v[105:106], -v[101:102], v[103:104], 1.0
	v_fma_f64 v[103:104], v[103:104], v[105:106], v[103:104]
	v_div_scale_f64 v[105:106], vcc, v[97:98], v[99:100], v[97:98]
	v_fma_f64 v[107:108], -v[101:102], v[103:104], 1.0
	v_fma_f64 v[103:104], v[103:104], v[107:108], v[103:104]
	v_mul_f64 v[107:108], v[105:106], v[103:104]
	v_fma_f64 v[101:102], -v[101:102], v[107:108], v[105:106]
	v_div_fmas_f64 v[101:102], v[101:102], v[103:104], v[107:108]
	v_div_fixup_f64 v[101:102], v[101:102], v[99:100], v[97:98]
	v_fma_f64 v[97:98], v[97:98], v[101:102], v[99:100]
	v_div_scale_f64 v[99:100], s[6:7], v[97:98], v[97:98], 1.0
	v_div_scale_f64 v[107:108], vcc, 1.0, v[97:98], 1.0
	v_rcp_f64_e32 v[103:104], v[99:100]
	v_fma_f64 v[105:106], -v[99:100], v[103:104], 1.0
	v_fma_f64 v[103:104], v[103:104], v[105:106], v[103:104]
	v_fma_f64 v[105:106], -v[99:100], v[103:104], 1.0
	v_fma_f64 v[103:104], v[103:104], v[105:106], v[103:104]
	v_mul_f64 v[105:106], v[107:108], v[103:104]
	v_fma_f64 v[99:100], -v[99:100], v[105:106], v[107:108]
	v_div_fmas_f64 v[99:100], v[99:100], v[103:104], v[105:106]
	v_div_fixup_f64 v[103:104], v[99:100], v[97:98], 1.0
                                        ; implicit-def: $vgpr97_vgpr98
	v_mul_f64 v[101:102], v[101:102], v[103:104]
	v_xor_b32_e32 v104, 0x80000000, v104
.LBB69_185:
	s_andn2_saveexec_b64 s[2:3], s[2:3]
	s_cbranch_execz .LBB69_187
; %bb.186:
	v_div_scale_f64 v[101:102], s[6:7], v[97:98], v[97:98], v[99:100]
	v_rcp_f64_e32 v[103:104], v[101:102]
	v_fma_f64 v[105:106], -v[101:102], v[103:104], 1.0
	v_fma_f64 v[103:104], v[103:104], v[105:106], v[103:104]
	v_div_scale_f64 v[105:106], vcc, v[99:100], v[97:98], v[99:100]
	v_fma_f64 v[107:108], -v[101:102], v[103:104], 1.0
	v_fma_f64 v[103:104], v[103:104], v[107:108], v[103:104]
	v_mul_f64 v[107:108], v[105:106], v[103:104]
	v_fma_f64 v[101:102], -v[101:102], v[107:108], v[105:106]
	v_div_fmas_f64 v[101:102], v[101:102], v[103:104], v[107:108]
	v_div_fixup_f64 v[103:104], v[101:102], v[97:98], v[99:100]
	v_fma_f64 v[97:98], v[99:100], v[103:104], v[97:98]
	v_div_scale_f64 v[99:100], s[6:7], v[97:98], v[97:98], 1.0
	v_div_scale_f64 v[107:108], vcc, 1.0, v[97:98], 1.0
	v_rcp_f64_e32 v[101:102], v[99:100]
	v_fma_f64 v[105:106], -v[99:100], v[101:102], 1.0
	v_fma_f64 v[101:102], v[101:102], v[105:106], v[101:102]
	v_fma_f64 v[105:106], -v[99:100], v[101:102], 1.0
	v_fma_f64 v[101:102], v[101:102], v[105:106], v[101:102]
	v_mul_f64 v[105:106], v[107:108], v[101:102]
	v_fma_f64 v[99:100], -v[99:100], v[105:106], v[107:108]
	v_div_fmas_f64 v[99:100], v[99:100], v[101:102], v[105:106]
	v_div_fixup_f64 v[101:102], v[99:100], v[97:98], 1.0
	v_mul_f64 v[103:104], v[103:104], -v[101:102]
.LBB69_187:
	s_or_b64 exec, exec, s[2:3]
	ds_write2_b64 v127, v[101:102], v[103:104] offset1:1
.LBB69_188:
	s_or_b64 exec, exec, s[4:5]
	s_waitcnt lgkmcnt(0)
	s_barrier
	ds_read2_b64 v[97:100], v127 offset1:1
	v_cmp_lt_u32_e32 vcc, 20, v0
	s_waitcnt lgkmcnt(0)
	buffer_store_dword v97, off, s[20:23], 0 offset:776 ; 4-byte Folded Spill
	s_nop 0
	buffer_store_dword v98, off, s[20:23], 0 offset:780 ; 4-byte Folded Spill
	buffer_store_dword v99, off, s[20:23], 0 offset:784 ; 4-byte Folded Spill
	buffer_store_dword v100, off, s[20:23], 0 offset:788 ; 4-byte Folded Spill
	s_and_saveexec_b64 s[2:3], vcc
	s_cbranch_execz .LBB69_190
; %bb.189:
	buffer_load_dword v99, off, s[20:23], 0 offset:776 ; 4-byte Folded Reload
	buffer_load_dword v100, off, s[20:23], 0 offset:780 ; 4-byte Folded Reload
	;; [unrolled: 1-line block ×4, first 2 shown]
	s_waitcnt vmcnt(2)
	v_mul_f64 v[97:98], v[99:100], v[55:56]
	s_waitcnt vmcnt(0)
	v_mul_f64 v[55:56], v[101:102], v[55:56]
	v_fma_f64 v[97:98], v[101:102], v[53:54], v[97:98]
	v_fma_f64 v[53:54], v[99:100], v[53:54], -v[55:56]
	ds_read2_b64 v[99:102], v125 offset0:42 offset1:43
	s_waitcnt lgkmcnt(0)
	v_mul_f64 v[55:56], v[101:102], v[97:98]
	v_fma_f64 v[55:56], v[99:100], v[53:54], -v[55:56]
	v_mul_f64 v[99:100], v[99:100], v[97:98]
	v_add_f64 v[49:50], v[49:50], -v[55:56]
	v_fma_f64 v[99:100], v[101:102], v[53:54], v[99:100]
	v_add_f64 v[51:52], v[51:52], -v[99:100]
	ds_read2_b64 v[99:102], v125 offset0:44 offset1:45
	s_waitcnt lgkmcnt(0)
	v_mul_f64 v[55:56], v[101:102], v[97:98]
	v_fma_f64 v[55:56], v[99:100], v[53:54], -v[55:56]
	v_mul_f64 v[99:100], v[99:100], v[97:98]
	v_add_f64 v[45:46], v[45:46], -v[55:56]
	v_fma_f64 v[99:100], v[101:102], v[53:54], v[99:100]
	v_add_f64 v[47:48], v[47:48], -v[99:100]
	;; [unrolled: 8-line block ×13, first 2 shown]
	ds_read2_b64 v[99:102], v125 offset0:68 offset1:69
	s_waitcnt lgkmcnt(0)
	v_mul_f64 v[55:56], v[101:102], v[97:98]
	v_fma_f64 v[55:56], v[99:100], v[53:54], -v[55:56]
	v_mul_f64 v[99:100], v[99:100], v[97:98]
	v_add_f64 v[121:122], v[121:122], -v[55:56]
	v_fma_f64 v[99:100], v[101:102], v[53:54], v[99:100]
	v_mov_b32_e32 v55, v97
	v_mov_b32_e32 v56, v98
	v_add_f64 v[123:124], v[123:124], -v[99:100]
.LBB69_190:
	s_or_b64 exec, exec, s[2:3]
	v_cmp_eq_u32_e32 vcc, 21, v0
	s_waitcnt vmcnt(0)
	s_barrier
	s_and_saveexec_b64 s[4:5], vcc
	s_cbranch_execz .LBB69_197
; %bb.191:
	ds_write2_b64 v127, v[49:50], v[51:52] offset1:1
	ds_write2_b64 v125, v[45:46], v[47:48] offset0:44 offset1:45
	ds_write2_b64 v125, v[41:42], v[43:44] offset0:46 offset1:47
	;; [unrolled: 1-line block ×13, first 2 shown]
	ds_read2_b64 v[97:100], v127 offset1:1
	s_waitcnt lgkmcnt(0)
	v_cmp_neq_f64_e32 vcc, 0, v[97:98]
	v_cmp_neq_f64_e64 s[2:3], 0, v[99:100]
	s_or_b64 s[2:3], vcc, s[2:3]
	s_and_b64 exec, exec, s[2:3]
	s_cbranch_execz .LBB69_197
; %bb.192:
	v_cmp_ngt_f64_e64 s[2:3], |v[97:98]|, |v[99:100]|
                                        ; implicit-def: $vgpr101_vgpr102
	s_and_saveexec_b64 s[6:7], s[2:3]
	s_xor_b64 s[2:3], exec, s[6:7]
                                        ; implicit-def: $vgpr103_vgpr104
	s_cbranch_execz .LBB69_194
; %bb.193:
	v_div_scale_f64 v[101:102], s[6:7], v[99:100], v[99:100], v[97:98]
	v_rcp_f64_e32 v[103:104], v[101:102]
	v_fma_f64 v[105:106], -v[101:102], v[103:104], 1.0
	v_fma_f64 v[103:104], v[103:104], v[105:106], v[103:104]
	v_div_scale_f64 v[105:106], vcc, v[97:98], v[99:100], v[97:98]
	v_fma_f64 v[107:108], -v[101:102], v[103:104], 1.0
	v_fma_f64 v[103:104], v[103:104], v[107:108], v[103:104]
	v_mul_f64 v[107:108], v[105:106], v[103:104]
	v_fma_f64 v[101:102], -v[101:102], v[107:108], v[105:106]
	v_div_fmas_f64 v[101:102], v[101:102], v[103:104], v[107:108]
	v_div_fixup_f64 v[101:102], v[101:102], v[99:100], v[97:98]
	v_fma_f64 v[97:98], v[97:98], v[101:102], v[99:100]
	v_div_scale_f64 v[99:100], s[6:7], v[97:98], v[97:98], 1.0
	v_div_scale_f64 v[107:108], vcc, 1.0, v[97:98], 1.0
	v_rcp_f64_e32 v[103:104], v[99:100]
	v_fma_f64 v[105:106], -v[99:100], v[103:104], 1.0
	v_fma_f64 v[103:104], v[103:104], v[105:106], v[103:104]
	v_fma_f64 v[105:106], -v[99:100], v[103:104], 1.0
	v_fma_f64 v[103:104], v[103:104], v[105:106], v[103:104]
	v_mul_f64 v[105:106], v[107:108], v[103:104]
	v_fma_f64 v[99:100], -v[99:100], v[105:106], v[107:108]
	v_div_fmas_f64 v[99:100], v[99:100], v[103:104], v[105:106]
	v_div_fixup_f64 v[103:104], v[99:100], v[97:98], 1.0
                                        ; implicit-def: $vgpr97_vgpr98
	v_mul_f64 v[101:102], v[101:102], v[103:104]
	v_xor_b32_e32 v104, 0x80000000, v104
.LBB69_194:
	s_andn2_saveexec_b64 s[2:3], s[2:3]
	s_cbranch_execz .LBB69_196
; %bb.195:
	v_div_scale_f64 v[101:102], s[6:7], v[97:98], v[97:98], v[99:100]
	v_rcp_f64_e32 v[103:104], v[101:102]
	v_fma_f64 v[105:106], -v[101:102], v[103:104], 1.0
	v_fma_f64 v[103:104], v[103:104], v[105:106], v[103:104]
	v_div_scale_f64 v[105:106], vcc, v[99:100], v[97:98], v[99:100]
	v_fma_f64 v[107:108], -v[101:102], v[103:104], 1.0
	v_fma_f64 v[103:104], v[103:104], v[107:108], v[103:104]
	v_mul_f64 v[107:108], v[105:106], v[103:104]
	v_fma_f64 v[101:102], -v[101:102], v[107:108], v[105:106]
	v_div_fmas_f64 v[101:102], v[101:102], v[103:104], v[107:108]
	v_div_fixup_f64 v[103:104], v[101:102], v[97:98], v[99:100]
	v_fma_f64 v[97:98], v[99:100], v[103:104], v[97:98]
	v_div_scale_f64 v[99:100], s[6:7], v[97:98], v[97:98], 1.0
	v_div_scale_f64 v[107:108], vcc, 1.0, v[97:98], 1.0
	v_rcp_f64_e32 v[101:102], v[99:100]
	v_fma_f64 v[105:106], -v[99:100], v[101:102], 1.0
	v_fma_f64 v[101:102], v[101:102], v[105:106], v[101:102]
	v_fma_f64 v[105:106], -v[99:100], v[101:102], 1.0
	v_fma_f64 v[101:102], v[101:102], v[105:106], v[101:102]
	v_mul_f64 v[105:106], v[107:108], v[101:102]
	v_fma_f64 v[99:100], -v[99:100], v[105:106], v[107:108]
	v_div_fmas_f64 v[99:100], v[99:100], v[101:102], v[105:106]
	v_div_fixup_f64 v[101:102], v[99:100], v[97:98], 1.0
	v_mul_f64 v[103:104], v[103:104], -v[101:102]
.LBB69_196:
	s_or_b64 exec, exec, s[2:3]
	ds_write2_b64 v127, v[101:102], v[103:104] offset1:1
.LBB69_197:
	s_or_b64 exec, exec, s[4:5]
	s_waitcnt lgkmcnt(0)
	s_barrier
	ds_read2_b64 v[97:100], v127 offset1:1
	v_cmp_lt_u32_e32 vcc, 21, v0
	s_waitcnt lgkmcnt(0)
	buffer_store_dword v97, off, s[20:23], 0 offset:792 ; 4-byte Folded Spill
	s_nop 0
	buffer_store_dword v98, off, s[20:23], 0 offset:796 ; 4-byte Folded Spill
	buffer_store_dword v99, off, s[20:23], 0 offset:800 ; 4-byte Folded Spill
	;; [unrolled: 1-line block ×3, first 2 shown]
	s_and_saveexec_b64 s[2:3], vcc
	s_cbranch_execz .LBB69_199
; %bb.198:
	buffer_load_dword v99, off, s[20:23], 0 offset:792 ; 4-byte Folded Reload
	buffer_load_dword v100, off, s[20:23], 0 offset:796 ; 4-byte Folded Reload
	;; [unrolled: 1-line block ×4, first 2 shown]
	s_waitcnt vmcnt(2)
	v_mul_f64 v[97:98], v[99:100], v[51:52]
	s_waitcnt vmcnt(0)
	v_mul_f64 v[51:52], v[101:102], v[51:52]
	v_fma_f64 v[97:98], v[101:102], v[49:50], v[97:98]
	v_fma_f64 v[49:50], v[99:100], v[49:50], -v[51:52]
	ds_read2_b64 v[99:102], v125 offset0:44 offset1:45
	s_waitcnt lgkmcnt(0)
	v_mul_f64 v[51:52], v[101:102], v[97:98]
	v_fma_f64 v[51:52], v[99:100], v[49:50], -v[51:52]
	v_mul_f64 v[99:100], v[99:100], v[97:98]
	v_add_f64 v[45:46], v[45:46], -v[51:52]
	v_fma_f64 v[99:100], v[101:102], v[49:50], v[99:100]
	v_add_f64 v[47:48], v[47:48], -v[99:100]
	ds_read2_b64 v[99:102], v125 offset0:46 offset1:47
	s_waitcnt lgkmcnt(0)
	v_mul_f64 v[51:52], v[101:102], v[97:98]
	v_fma_f64 v[51:52], v[99:100], v[49:50], -v[51:52]
	v_mul_f64 v[99:100], v[99:100], v[97:98]
	v_add_f64 v[41:42], v[41:42], -v[51:52]
	v_fma_f64 v[99:100], v[101:102], v[49:50], v[99:100]
	v_add_f64 v[43:44], v[43:44], -v[99:100]
	;; [unrolled: 8-line block ×12, first 2 shown]
	ds_read2_b64 v[99:102], v125 offset0:68 offset1:69
	s_waitcnt lgkmcnt(0)
	v_mul_f64 v[51:52], v[101:102], v[97:98]
	v_fma_f64 v[51:52], v[99:100], v[49:50], -v[51:52]
	v_mul_f64 v[99:100], v[99:100], v[97:98]
	v_add_f64 v[121:122], v[121:122], -v[51:52]
	v_fma_f64 v[99:100], v[101:102], v[49:50], v[99:100]
	v_mov_b32_e32 v51, v97
	v_mov_b32_e32 v52, v98
	v_add_f64 v[123:124], v[123:124], -v[99:100]
.LBB69_199:
	s_or_b64 exec, exec, s[2:3]
	v_cmp_eq_u32_e32 vcc, 22, v0
	s_waitcnt vmcnt(0)
	s_barrier
	s_and_saveexec_b64 s[4:5], vcc
	s_cbranch_execz .LBB69_206
; %bb.200:
	ds_write2_b64 v127, v[45:46], v[47:48] offset1:1
	ds_write2_b64 v125, v[41:42], v[43:44] offset0:46 offset1:47
	ds_write2_b64 v125, v[37:38], v[39:40] offset0:48 offset1:49
	;; [unrolled: 1-line block ×12, first 2 shown]
	ds_read2_b64 v[97:100], v127 offset1:1
	s_waitcnt lgkmcnt(0)
	v_cmp_neq_f64_e32 vcc, 0, v[97:98]
	v_cmp_neq_f64_e64 s[2:3], 0, v[99:100]
	s_or_b64 s[2:3], vcc, s[2:3]
	s_and_b64 exec, exec, s[2:3]
	s_cbranch_execz .LBB69_206
; %bb.201:
	v_cmp_ngt_f64_e64 s[2:3], |v[97:98]|, |v[99:100]|
                                        ; implicit-def: $vgpr101_vgpr102
	s_and_saveexec_b64 s[6:7], s[2:3]
	s_xor_b64 s[2:3], exec, s[6:7]
                                        ; implicit-def: $vgpr103_vgpr104
	s_cbranch_execz .LBB69_203
; %bb.202:
	v_div_scale_f64 v[101:102], s[6:7], v[99:100], v[99:100], v[97:98]
	v_rcp_f64_e32 v[103:104], v[101:102]
	v_fma_f64 v[105:106], -v[101:102], v[103:104], 1.0
	v_fma_f64 v[103:104], v[103:104], v[105:106], v[103:104]
	v_div_scale_f64 v[105:106], vcc, v[97:98], v[99:100], v[97:98]
	v_fma_f64 v[107:108], -v[101:102], v[103:104], 1.0
	v_fma_f64 v[103:104], v[103:104], v[107:108], v[103:104]
	v_mul_f64 v[107:108], v[105:106], v[103:104]
	v_fma_f64 v[101:102], -v[101:102], v[107:108], v[105:106]
	v_div_fmas_f64 v[101:102], v[101:102], v[103:104], v[107:108]
	v_div_fixup_f64 v[101:102], v[101:102], v[99:100], v[97:98]
	v_fma_f64 v[97:98], v[97:98], v[101:102], v[99:100]
	v_div_scale_f64 v[99:100], s[6:7], v[97:98], v[97:98], 1.0
	v_div_scale_f64 v[107:108], vcc, 1.0, v[97:98], 1.0
	v_rcp_f64_e32 v[103:104], v[99:100]
	v_fma_f64 v[105:106], -v[99:100], v[103:104], 1.0
	v_fma_f64 v[103:104], v[103:104], v[105:106], v[103:104]
	v_fma_f64 v[105:106], -v[99:100], v[103:104], 1.0
	v_fma_f64 v[103:104], v[103:104], v[105:106], v[103:104]
	v_mul_f64 v[105:106], v[107:108], v[103:104]
	v_fma_f64 v[99:100], -v[99:100], v[105:106], v[107:108]
	v_div_fmas_f64 v[99:100], v[99:100], v[103:104], v[105:106]
	v_div_fixup_f64 v[103:104], v[99:100], v[97:98], 1.0
                                        ; implicit-def: $vgpr97_vgpr98
	v_mul_f64 v[101:102], v[101:102], v[103:104]
	v_xor_b32_e32 v104, 0x80000000, v104
.LBB69_203:
	s_andn2_saveexec_b64 s[2:3], s[2:3]
	s_cbranch_execz .LBB69_205
; %bb.204:
	v_div_scale_f64 v[101:102], s[6:7], v[97:98], v[97:98], v[99:100]
	v_rcp_f64_e32 v[103:104], v[101:102]
	v_fma_f64 v[105:106], -v[101:102], v[103:104], 1.0
	v_fma_f64 v[103:104], v[103:104], v[105:106], v[103:104]
	v_div_scale_f64 v[105:106], vcc, v[99:100], v[97:98], v[99:100]
	v_fma_f64 v[107:108], -v[101:102], v[103:104], 1.0
	v_fma_f64 v[103:104], v[103:104], v[107:108], v[103:104]
	v_mul_f64 v[107:108], v[105:106], v[103:104]
	v_fma_f64 v[101:102], -v[101:102], v[107:108], v[105:106]
	v_div_fmas_f64 v[101:102], v[101:102], v[103:104], v[107:108]
	v_div_fixup_f64 v[103:104], v[101:102], v[97:98], v[99:100]
	v_fma_f64 v[97:98], v[99:100], v[103:104], v[97:98]
	v_div_scale_f64 v[99:100], s[6:7], v[97:98], v[97:98], 1.0
	v_div_scale_f64 v[107:108], vcc, 1.0, v[97:98], 1.0
	v_rcp_f64_e32 v[101:102], v[99:100]
	v_fma_f64 v[105:106], -v[99:100], v[101:102], 1.0
	v_fma_f64 v[101:102], v[101:102], v[105:106], v[101:102]
	v_fma_f64 v[105:106], -v[99:100], v[101:102], 1.0
	v_fma_f64 v[101:102], v[101:102], v[105:106], v[101:102]
	v_mul_f64 v[105:106], v[107:108], v[101:102]
	v_fma_f64 v[99:100], -v[99:100], v[105:106], v[107:108]
	v_div_fmas_f64 v[99:100], v[99:100], v[101:102], v[105:106]
	v_div_fixup_f64 v[101:102], v[99:100], v[97:98], 1.0
	v_mul_f64 v[103:104], v[103:104], -v[101:102]
.LBB69_205:
	s_or_b64 exec, exec, s[2:3]
	ds_write2_b64 v127, v[101:102], v[103:104] offset1:1
.LBB69_206:
	s_or_b64 exec, exec, s[4:5]
	s_waitcnt lgkmcnt(0)
	s_barrier
	ds_read2_b64 v[97:100], v127 offset1:1
	v_cmp_lt_u32_e32 vcc, 22, v0
	s_waitcnt lgkmcnt(0)
	buffer_store_dword v97, off, s[20:23], 0 offset:808 ; 4-byte Folded Spill
	s_nop 0
	buffer_store_dword v98, off, s[20:23], 0 offset:812 ; 4-byte Folded Spill
	buffer_store_dword v99, off, s[20:23], 0 offset:816 ; 4-byte Folded Spill
	;; [unrolled: 1-line block ×3, first 2 shown]
	s_and_saveexec_b64 s[2:3], vcc
	s_cbranch_execz .LBB69_208
; %bb.207:
	buffer_load_dword v99, off, s[20:23], 0 offset:808 ; 4-byte Folded Reload
	buffer_load_dword v100, off, s[20:23], 0 offset:812 ; 4-byte Folded Reload
	;; [unrolled: 1-line block ×4, first 2 shown]
	s_waitcnt vmcnt(2)
	v_mul_f64 v[97:98], v[99:100], v[47:48]
	s_waitcnt vmcnt(0)
	v_mul_f64 v[47:48], v[101:102], v[47:48]
	v_fma_f64 v[97:98], v[101:102], v[45:46], v[97:98]
	v_fma_f64 v[45:46], v[99:100], v[45:46], -v[47:48]
	ds_read2_b64 v[99:102], v125 offset0:46 offset1:47
	s_waitcnt lgkmcnt(0)
	v_mul_f64 v[47:48], v[101:102], v[97:98]
	v_fma_f64 v[47:48], v[99:100], v[45:46], -v[47:48]
	v_mul_f64 v[99:100], v[99:100], v[97:98]
	v_add_f64 v[41:42], v[41:42], -v[47:48]
	v_fma_f64 v[99:100], v[101:102], v[45:46], v[99:100]
	v_add_f64 v[43:44], v[43:44], -v[99:100]
	ds_read2_b64 v[99:102], v125 offset0:48 offset1:49
	s_waitcnt lgkmcnt(0)
	v_mul_f64 v[47:48], v[101:102], v[97:98]
	v_fma_f64 v[47:48], v[99:100], v[45:46], -v[47:48]
	v_mul_f64 v[99:100], v[99:100], v[97:98]
	v_add_f64 v[37:38], v[37:38], -v[47:48]
	v_fma_f64 v[99:100], v[101:102], v[45:46], v[99:100]
	v_add_f64 v[39:40], v[39:40], -v[99:100]
	;; [unrolled: 8-line block ×11, first 2 shown]
	ds_read2_b64 v[99:102], v125 offset0:68 offset1:69
	s_waitcnt lgkmcnt(0)
	v_mul_f64 v[47:48], v[101:102], v[97:98]
	v_fma_f64 v[47:48], v[99:100], v[45:46], -v[47:48]
	v_mul_f64 v[99:100], v[99:100], v[97:98]
	v_add_f64 v[121:122], v[121:122], -v[47:48]
	v_fma_f64 v[99:100], v[101:102], v[45:46], v[99:100]
	v_mov_b32_e32 v47, v97
	v_mov_b32_e32 v48, v98
	v_add_f64 v[123:124], v[123:124], -v[99:100]
.LBB69_208:
	s_or_b64 exec, exec, s[2:3]
	v_cmp_eq_u32_e32 vcc, 23, v0
	s_waitcnt vmcnt(0)
	s_barrier
	s_and_saveexec_b64 s[4:5], vcc
	s_cbranch_execz .LBB69_215
; %bb.209:
	ds_write2_b64 v127, v[41:42], v[43:44] offset1:1
	ds_write2_b64 v125, v[37:38], v[39:40] offset0:48 offset1:49
	ds_write2_b64 v125, v[33:34], v[35:36] offset0:50 offset1:51
	;; [unrolled: 1-line block ×11, first 2 shown]
	ds_read2_b64 v[97:100], v127 offset1:1
	s_waitcnt lgkmcnt(0)
	v_cmp_neq_f64_e32 vcc, 0, v[97:98]
	v_cmp_neq_f64_e64 s[2:3], 0, v[99:100]
	s_or_b64 s[2:3], vcc, s[2:3]
	s_and_b64 exec, exec, s[2:3]
	s_cbranch_execz .LBB69_215
; %bb.210:
	v_cmp_ngt_f64_e64 s[2:3], |v[97:98]|, |v[99:100]|
                                        ; implicit-def: $vgpr101_vgpr102
	s_and_saveexec_b64 s[6:7], s[2:3]
	s_xor_b64 s[2:3], exec, s[6:7]
                                        ; implicit-def: $vgpr103_vgpr104
	s_cbranch_execz .LBB69_212
; %bb.211:
	v_div_scale_f64 v[101:102], s[6:7], v[99:100], v[99:100], v[97:98]
	v_rcp_f64_e32 v[103:104], v[101:102]
	v_fma_f64 v[105:106], -v[101:102], v[103:104], 1.0
	v_fma_f64 v[103:104], v[103:104], v[105:106], v[103:104]
	v_div_scale_f64 v[105:106], vcc, v[97:98], v[99:100], v[97:98]
	v_fma_f64 v[107:108], -v[101:102], v[103:104], 1.0
	v_fma_f64 v[103:104], v[103:104], v[107:108], v[103:104]
	v_mul_f64 v[107:108], v[105:106], v[103:104]
	v_fma_f64 v[101:102], -v[101:102], v[107:108], v[105:106]
	v_div_fmas_f64 v[101:102], v[101:102], v[103:104], v[107:108]
	v_div_fixup_f64 v[101:102], v[101:102], v[99:100], v[97:98]
	v_fma_f64 v[97:98], v[97:98], v[101:102], v[99:100]
	v_div_scale_f64 v[99:100], s[6:7], v[97:98], v[97:98], 1.0
	v_div_scale_f64 v[107:108], vcc, 1.0, v[97:98], 1.0
	v_rcp_f64_e32 v[103:104], v[99:100]
	v_fma_f64 v[105:106], -v[99:100], v[103:104], 1.0
	v_fma_f64 v[103:104], v[103:104], v[105:106], v[103:104]
	v_fma_f64 v[105:106], -v[99:100], v[103:104], 1.0
	v_fma_f64 v[103:104], v[103:104], v[105:106], v[103:104]
	v_mul_f64 v[105:106], v[107:108], v[103:104]
	v_fma_f64 v[99:100], -v[99:100], v[105:106], v[107:108]
	v_div_fmas_f64 v[99:100], v[99:100], v[103:104], v[105:106]
	v_div_fixup_f64 v[103:104], v[99:100], v[97:98], 1.0
                                        ; implicit-def: $vgpr97_vgpr98
	v_mul_f64 v[101:102], v[101:102], v[103:104]
	v_xor_b32_e32 v104, 0x80000000, v104
.LBB69_212:
	s_andn2_saveexec_b64 s[2:3], s[2:3]
	s_cbranch_execz .LBB69_214
; %bb.213:
	v_div_scale_f64 v[101:102], s[6:7], v[97:98], v[97:98], v[99:100]
	v_rcp_f64_e32 v[103:104], v[101:102]
	v_fma_f64 v[105:106], -v[101:102], v[103:104], 1.0
	v_fma_f64 v[103:104], v[103:104], v[105:106], v[103:104]
	v_div_scale_f64 v[105:106], vcc, v[99:100], v[97:98], v[99:100]
	v_fma_f64 v[107:108], -v[101:102], v[103:104], 1.0
	v_fma_f64 v[103:104], v[103:104], v[107:108], v[103:104]
	v_mul_f64 v[107:108], v[105:106], v[103:104]
	v_fma_f64 v[101:102], -v[101:102], v[107:108], v[105:106]
	v_div_fmas_f64 v[101:102], v[101:102], v[103:104], v[107:108]
	v_div_fixup_f64 v[103:104], v[101:102], v[97:98], v[99:100]
	v_fma_f64 v[97:98], v[99:100], v[103:104], v[97:98]
	v_div_scale_f64 v[99:100], s[6:7], v[97:98], v[97:98], 1.0
	v_div_scale_f64 v[107:108], vcc, 1.0, v[97:98], 1.0
	v_rcp_f64_e32 v[101:102], v[99:100]
	v_fma_f64 v[105:106], -v[99:100], v[101:102], 1.0
	v_fma_f64 v[101:102], v[101:102], v[105:106], v[101:102]
	v_fma_f64 v[105:106], -v[99:100], v[101:102], 1.0
	v_fma_f64 v[101:102], v[101:102], v[105:106], v[101:102]
	v_mul_f64 v[105:106], v[107:108], v[101:102]
	v_fma_f64 v[99:100], -v[99:100], v[105:106], v[107:108]
	v_div_fmas_f64 v[99:100], v[99:100], v[101:102], v[105:106]
	v_div_fixup_f64 v[101:102], v[99:100], v[97:98], 1.0
	v_mul_f64 v[103:104], v[103:104], -v[101:102]
.LBB69_214:
	s_or_b64 exec, exec, s[2:3]
	ds_write2_b64 v127, v[101:102], v[103:104] offset1:1
.LBB69_215:
	s_or_b64 exec, exec, s[4:5]
	s_waitcnt lgkmcnt(0)
	s_barrier
	ds_read2_b64 v[97:100], v127 offset1:1
	v_cmp_lt_u32_e32 vcc, 23, v0
	s_waitcnt lgkmcnt(0)
	buffer_store_dword v97, off, s[20:23], 0 offset:824 ; 4-byte Folded Spill
	s_nop 0
	buffer_store_dword v98, off, s[20:23], 0 offset:828 ; 4-byte Folded Spill
	buffer_store_dword v99, off, s[20:23], 0 offset:832 ; 4-byte Folded Spill
	;; [unrolled: 1-line block ×3, first 2 shown]
	s_and_saveexec_b64 s[2:3], vcc
	s_cbranch_execz .LBB69_217
; %bb.216:
	buffer_load_dword v99, off, s[20:23], 0 offset:824 ; 4-byte Folded Reload
	buffer_load_dword v100, off, s[20:23], 0 offset:828 ; 4-byte Folded Reload
	;; [unrolled: 1-line block ×4, first 2 shown]
	s_waitcnt vmcnt(2)
	v_mul_f64 v[97:98], v[99:100], v[43:44]
	s_waitcnt vmcnt(0)
	v_mul_f64 v[43:44], v[101:102], v[43:44]
	v_fma_f64 v[97:98], v[101:102], v[41:42], v[97:98]
	v_fma_f64 v[41:42], v[99:100], v[41:42], -v[43:44]
	ds_read2_b64 v[99:102], v125 offset0:48 offset1:49
	s_waitcnt lgkmcnt(0)
	v_mul_f64 v[43:44], v[101:102], v[97:98]
	v_fma_f64 v[43:44], v[99:100], v[41:42], -v[43:44]
	v_mul_f64 v[99:100], v[99:100], v[97:98]
	v_add_f64 v[37:38], v[37:38], -v[43:44]
	v_fma_f64 v[99:100], v[101:102], v[41:42], v[99:100]
	v_add_f64 v[39:40], v[39:40], -v[99:100]
	ds_read2_b64 v[99:102], v125 offset0:50 offset1:51
	s_waitcnt lgkmcnt(0)
	v_mul_f64 v[43:44], v[101:102], v[97:98]
	v_fma_f64 v[43:44], v[99:100], v[41:42], -v[43:44]
	v_mul_f64 v[99:100], v[99:100], v[97:98]
	v_add_f64 v[33:34], v[33:34], -v[43:44]
	v_fma_f64 v[99:100], v[101:102], v[41:42], v[99:100]
	v_add_f64 v[35:36], v[35:36], -v[99:100]
	;; [unrolled: 8-line block ×10, first 2 shown]
	ds_read2_b64 v[99:102], v125 offset0:68 offset1:69
	s_waitcnt lgkmcnt(0)
	v_mul_f64 v[43:44], v[101:102], v[97:98]
	v_fma_f64 v[43:44], v[99:100], v[41:42], -v[43:44]
	v_mul_f64 v[99:100], v[99:100], v[97:98]
	v_add_f64 v[121:122], v[121:122], -v[43:44]
	v_fma_f64 v[99:100], v[101:102], v[41:42], v[99:100]
	v_mov_b32_e32 v43, v97
	v_mov_b32_e32 v44, v98
	v_add_f64 v[123:124], v[123:124], -v[99:100]
.LBB69_217:
	s_or_b64 exec, exec, s[2:3]
	v_cmp_eq_u32_e32 vcc, 24, v0
	s_waitcnt vmcnt(0)
	s_barrier
	s_and_saveexec_b64 s[4:5], vcc
	s_cbranch_execz .LBB69_224
; %bb.218:
	ds_write2_b64 v127, v[37:38], v[39:40] offset1:1
	ds_write2_b64 v125, v[33:34], v[35:36] offset0:50 offset1:51
	ds_write2_b64 v125, v[29:30], v[31:32] offset0:52 offset1:53
	;; [unrolled: 1-line block ×10, first 2 shown]
	ds_read2_b64 v[97:100], v127 offset1:1
	s_waitcnt lgkmcnt(0)
	v_cmp_neq_f64_e32 vcc, 0, v[97:98]
	v_cmp_neq_f64_e64 s[2:3], 0, v[99:100]
	s_or_b64 s[2:3], vcc, s[2:3]
	s_and_b64 exec, exec, s[2:3]
	s_cbranch_execz .LBB69_224
; %bb.219:
	v_cmp_ngt_f64_e64 s[2:3], |v[97:98]|, |v[99:100]|
                                        ; implicit-def: $vgpr101_vgpr102
	s_and_saveexec_b64 s[6:7], s[2:3]
	s_xor_b64 s[2:3], exec, s[6:7]
                                        ; implicit-def: $vgpr103_vgpr104
	s_cbranch_execz .LBB69_221
; %bb.220:
	v_div_scale_f64 v[101:102], s[6:7], v[99:100], v[99:100], v[97:98]
	v_rcp_f64_e32 v[103:104], v[101:102]
	v_fma_f64 v[105:106], -v[101:102], v[103:104], 1.0
	v_fma_f64 v[103:104], v[103:104], v[105:106], v[103:104]
	v_div_scale_f64 v[105:106], vcc, v[97:98], v[99:100], v[97:98]
	v_fma_f64 v[107:108], -v[101:102], v[103:104], 1.0
	v_fma_f64 v[103:104], v[103:104], v[107:108], v[103:104]
	v_mul_f64 v[107:108], v[105:106], v[103:104]
	v_fma_f64 v[101:102], -v[101:102], v[107:108], v[105:106]
	v_div_fmas_f64 v[101:102], v[101:102], v[103:104], v[107:108]
	v_div_fixup_f64 v[101:102], v[101:102], v[99:100], v[97:98]
	v_fma_f64 v[97:98], v[97:98], v[101:102], v[99:100]
	v_div_scale_f64 v[99:100], s[6:7], v[97:98], v[97:98], 1.0
	v_div_scale_f64 v[107:108], vcc, 1.0, v[97:98], 1.0
	v_rcp_f64_e32 v[103:104], v[99:100]
	v_fma_f64 v[105:106], -v[99:100], v[103:104], 1.0
	v_fma_f64 v[103:104], v[103:104], v[105:106], v[103:104]
	v_fma_f64 v[105:106], -v[99:100], v[103:104], 1.0
	v_fma_f64 v[103:104], v[103:104], v[105:106], v[103:104]
	v_mul_f64 v[105:106], v[107:108], v[103:104]
	v_fma_f64 v[99:100], -v[99:100], v[105:106], v[107:108]
	v_div_fmas_f64 v[99:100], v[99:100], v[103:104], v[105:106]
	v_div_fixup_f64 v[103:104], v[99:100], v[97:98], 1.0
                                        ; implicit-def: $vgpr97_vgpr98
	v_mul_f64 v[101:102], v[101:102], v[103:104]
	v_xor_b32_e32 v104, 0x80000000, v104
.LBB69_221:
	s_andn2_saveexec_b64 s[2:3], s[2:3]
	s_cbranch_execz .LBB69_223
; %bb.222:
	v_div_scale_f64 v[101:102], s[6:7], v[97:98], v[97:98], v[99:100]
	v_rcp_f64_e32 v[103:104], v[101:102]
	v_fma_f64 v[105:106], -v[101:102], v[103:104], 1.0
	v_fma_f64 v[103:104], v[103:104], v[105:106], v[103:104]
	v_div_scale_f64 v[105:106], vcc, v[99:100], v[97:98], v[99:100]
	v_fma_f64 v[107:108], -v[101:102], v[103:104], 1.0
	v_fma_f64 v[103:104], v[103:104], v[107:108], v[103:104]
	v_mul_f64 v[107:108], v[105:106], v[103:104]
	v_fma_f64 v[101:102], -v[101:102], v[107:108], v[105:106]
	v_div_fmas_f64 v[101:102], v[101:102], v[103:104], v[107:108]
	v_div_fixup_f64 v[103:104], v[101:102], v[97:98], v[99:100]
	v_fma_f64 v[97:98], v[99:100], v[103:104], v[97:98]
	v_div_scale_f64 v[99:100], s[6:7], v[97:98], v[97:98], 1.0
	v_div_scale_f64 v[107:108], vcc, 1.0, v[97:98], 1.0
	v_rcp_f64_e32 v[101:102], v[99:100]
	v_fma_f64 v[105:106], -v[99:100], v[101:102], 1.0
	v_fma_f64 v[101:102], v[101:102], v[105:106], v[101:102]
	v_fma_f64 v[105:106], -v[99:100], v[101:102], 1.0
	v_fma_f64 v[101:102], v[101:102], v[105:106], v[101:102]
	v_mul_f64 v[105:106], v[107:108], v[101:102]
	v_fma_f64 v[99:100], -v[99:100], v[105:106], v[107:108]
	v_div_fmas_f64 v[99:100], v[99:100], v[101:102], v[105:106]
	v_div_fixup_f64 v[101:102], v[99:100], v[97:98], 1.0
	v_mul_f64 v[103:104], v[103:104], -v[101:102]
.LBB69_223:
	s_or_b64 exec, exec, s[2:3]
	ds_write2_b64 v127, v[101:102], v[103:104] offset1:1
.LBB69_224:
	s_or_b64 exec, exec, s[4:5]
	s_waitcnt lgkmcnt(0)
	s_barrier
	ds_read2_b64 v[97:100], v127 offset1:1
	v_cmp_lt_u32_e32 vcc, 24, v0
	s_waitcnt lgkmcnt(0)
	buffer_store_dword v97, off, s[20:23], 0 offset:840 ; 4-byte Folded Spill
	s_nop 0
	buffer_store_dword v98, off, s[20:23], 0 offset:844 ; 4-byte Folded Spill
	buffer_store_dword v99, off, s[20:23], 0 offset:848 ; 4-byte Folded Spill
	;; [unrolled: 1-line block ×3, first 2 shown]
	s_and_saveexec_b64 s[2:3], vcc
	s_cbranch_execz .LBB69_226
; %bb.225:
	buffer_load_dword v99, off, s[20:23], 0 offset:840 ; 4-byte Folded Reload
	buffer_load_dword v100, off, s[20:23], 0 offset:844 ; 4-byte Folded Reload
	;; [unrolled: 1-line block ×4, first 2 shown]
	s_waitcnt vmcnt(2)
	v_mul_f64 v[97:98], v[99:100], v[39:40]
	s_waitcnt vmcnt(0)
	v_mul_f64 v[39:40], v[101:102], v[39:40]
	v_fma_f64 v[97:98], v[101:102], v[37:38], v[97:98]
	v_fma_f64 v[37:38], v[99:100], v[37:38], -v[39:40]
	ds_read2_b64 v[99:102], v125 offset0:50 offset1:51
	s_waitcnt lgkmcnt(0)
	v_mul_f64 v[39:40], v[101:102], v[97:98]
	v_fma_f64 v[39:40], v[99:100], v[37:38], -v[39:40]
	v_mul_f64 v[99:100], v[99:100], v[97:98]
	v_add_f64 v[33:34], v[33:34], -v[39:40]
	v_fma_f64 v[99:100], v[101:102], v[37:38], v[99:100]
	v_add_f64 v[35:36], v[35:36], -v[99:100]
	ds_read2_b64 v[99:102], v125 offset0:52 offset1:53
	s_waitcnt lgkmcnt(0)
	v_mul_f64 v[39:40], v[101:102], v[97:98]
	v_fma_f64 v[39:40], v[99:100], v[37:38], -v[39:40]
	v_mul_f64 v[99:100], v[99:100], v[97:98]
	v_add_f64 v[29:30], v[29:30], -v[39:40]
	v_fma_f64 v[99:100], v[101:102], v[37:38], v[99:100]
	v_add_f64 v[31:32], v[31:32], -v[99:100]
	;; [unrolled: 8-line block ×9, first 2 shown]
	ds_read2_b64 v[99:102], v125 offset0:68 offset1:69
	s_waitcnt lgkmcnt(0)
	v_mul_f64 v[39:40], v[101:102], v[97:98]
	v_fma_f64 v[39:40], v[99:100], v[37:38], -v[39:40]
	v_mul_f64 v[99:100], v[99:100], v[97:98]
	v_add_f64 v[121:122], v[121:122], -v[39:40]
	v_fma_f64 v[99:100], v[101:102], v[37:38], v[99:100]
	v_mov_b32_e32 v39, v97
	v_mov_b32_e32 v40, v98
	v_add_f64 v[123:124], v[123:124], -v[99:100]
.LBB69_226:
	s_or_b64 exec, exec, s[2:3]
	v_cmp_eq_u32_e32 vcc, 25, v0
	s_waitcnt vmcnt(0)
	s_barrier
	s_and_saveexec_b64 s[4:5], vcc
	s_cbranch_execz .LBB69_233
; %bb.227:
	ds_write2_b64 v127, v[33:34], v[35:36] offset1:1
	ds_write2_b64 v125, v[29:30], v[31:32] offset0:52 offset1:53
	ds_write2_b64 v125, v[25:26], v[27:28] offset0:54 offset1:55
	;; [unrolled: 1-line block ×9, first 2 shown]
	ds_read2_b64 v[97:100], v127 offset1:1
	s_waitcnt lgkmcnt(0)
	v_cmp_neq_f64_e32 vcc, 0, v[97:98]
	v_cmp_neq_f64_e64 s[2:3], 0, v[99:100]
	s_or_b64 s[2:3], vcc, s[2:3]
	s_and_b64 exec, exec, s[2:3]
	s_cbranch_execz .LBB69_233
; %bb.228:
	v_cmp_ngt_f64_e64 s[2:3], |v[97:98]|, |v[99:100]|
                                        ; implicit-def: $vgpr101_vgpr102
	s_and_saveexec_b64 s[6:7], s[2:3]
	s_xor_b64 s[2:3], exec, s[6:7]
                                        ; implicit-def: $vgpr103_vgpr104
	s_cbranch_execz .LBB69_230
; %bb.229:
	v_div_scale_f64 v[101:102], s[6:7], v[99:100], v[99:100], v[97:98]
	v_rcp_f64_e32 v[103:104], v[101:102]
	v_fma_f64 v[105:106], -v[101:102], v[103:104], 1.0
	v_fma_f64 v[103:104], v[103:104], v[105:106], v[103:104]
	v_div_scale_f64 v[105:106], vcc, v[97:98], v[99:100], v[97:98]
	v_fma_f64 v[107:108], -v[101:102], v[103:104], 1.0
	v_fma_f64 v[103:104], v[103:104], v[107:108], v[103:104]
	v_mul_f64 v[107:108], v[105:106], v[103:104]
	v_fma_f64 v[101:102], -v[101:102], v[107:108], v[105:106]
	v_div_fmas_f64 v[101:102], v[101:102], v[103:104], v[107:108]
	v_div_fixup_f64 v[101:102], v[101:102], v[99:100], v[97:98]
	v_fma_f64 v[97:98], v[97:98], v[101:102], v[99:100]
	v_div_scale_f64 v[99:100], s[6:7], v[97:98], v[97:98], 1.0
	v_div_scale_f64 v[107:108], vcc, 1.0, v[97:98], 1.0
	v_rcp_f64_e32 v[103:104], v[99:100]
	v_fma_f64 v[105:106], -v[99:100], v[103:104], 1.0
	v_fma_f64 v[103:104], v[103:104], v[105:106], v[103:104]
	v_fma_f64 v[105:106], -v[99:100], v[103:104], 1.0
	v_fma_f64 v[103:104], v[103:104], v[105:106], v[103:104]
	v_mul_f64 v[105:106], v[107:108], v[103:104]
	v_fma_f64 v[99:100], -v[99:100], v[105:106], v[107:108]
	v_div_fmas_f64 v[99:100], v[99:100], v[103:104], v[105:106]
	v_div_fixup_f64 v[103:104], v[99:100], v[97:98], 1.0
                                        ; implicit-def: $vgpr97_vgpr98
	v_mul_f64 v[101:102], v[101:102], v[103:104]
	v_xor_b32_e32 v104, 0x80000000, v104
.LBB69_230:
	s_andn2_saveexec_b64 s[2:3], s[2:3]
	s_cbranch_execz .LBB69_232
; %bb.231:
	v_div_scale_f64 v[101:102], s[6:7], v[97:98], v[97:98], v[99:100]
	v_rcp_f64_e32 v[103:104], v[101:102]
	v_fma_f64 v[105:106], -v[101:102], v[103:104], 1.0
	v_fma_f64 v[103:104], v[103:104], v[105:106], v[103:104]
	v_div_scale_f64 v[105:106], vcc, v[99:100], v[97:98], v[99:100]
	v_fma_f64 v[107:108], -v[101:102], v[103:104], 1.0
	v_fma_f64 v[103:104], v[103:104], v[107:108], v[103:104]
	v_mul_f64 v[107:108], v[105:106], v[103:104]
	v_fma_f64 v[101:102], -v[101:102], v[107:108], v[105:106]
	v_div_fmas_f64 v[101:102], v[101:102], v[103:104], v[107:108]
	v_div_fixup_f64 v[103:104], v[101:102], v[97:98], v[99:100]
	v_fma_f64 v[97:98], v[99:100], v[103:104], v[97:98]
	v_div_scale_f64 v[99:100], s[6:7], v[97:98], v[97:98], 1.0
	v_div_scale_f64 v[107:108], vcc, 1.0, v[97:98], 1.0
	v_rcp_f64_e32 v[101:102], v[99:100]
	v_fma_f64 v[105:106], -v[99:100], v[101:102], 1.0
	v_fma_f64 v[101:102], v[101:102], v[105:106], v[101:102]
	v_fma_f64 v[105:106], -v[99:100], v[101:102], 1.0
	v_fma_f64 v[101:102], v[101:102], v[105:106], v[101:102]
	v_mul_f64 v[105:106], v[107:108], v[101:102]
	v_fma_f64 v[99:100], -v[99:100], v[105:106], v[107:108]
	v_div_fmas_f64 v[99:100], v[99:100], v[101:102], v[105:106]
	v_div_fixup_f64 v[101:102], v[99:100], v[97:98], 1.0
	v_mul_f64 v[103:104], v[103:104], -v[101:102]
.LBB69_232:
	s_or_b64 exec, exec, s[2:3]
	ds_write2_b64 v127, v[101:102], v[103:104] offset1:1
.LBB69_233:
	s_or_b64 exec, exec, s[4:5]
	s_waitcnt lgkmcnt(0)
	s_barrier
	ds_read2_b64 v[97:100], v127 offset1:1
	v_cmp_lt_u32_e32 vcc, 25, v0
	s_waitcnt lgkmcnt(0)
	buffer_store_dword v97, off, s[20:23], 0 offset:856 ; 4-byte Folded Spill
	s_nop 0
	buffer_store_dword v98, off, s[20:23], 0 offset:860 ; 4-byte Folded Spill
	buffer_store_dword v99, off, s[20:23], 0 offset:864 ; 4-byte Folded Spill
	buffer_store_dword v100, off, s[20:23], 0 offset:868 ; 4-byte Folded Spill
	s_and_saveexec_b64 s[2:3], vcc
	s_cbranch_execz .LBB69_235
; %bb.234:
	buffer_load_dword v99, off, s[20:23], 0 offset:856 ; 4-byte Folded Reload
	buffer_load_dword v100, off, s[20:23], 0 offset:860 ; 4-byte Folded Reload
	buffer_load_dword v101, off, s[20:23], 0 offset:864 ; 4-byte Folded Reload
	buffer_load_dword v102, off, s[20:23], 0 offset:868 ; 4-byte Folded Reload
	s_waitcnt vmcnt(2)
	v_mul_f64 v[97:98], v[99:100], v[35:36]
	s_waitcnt vmcnt(0)
	v_mul_f64 v[35:36], v[101:102], v[35:36]
	v_fma_f64 v[97:98], v[101:102], v[33:34], v[97:98]
	v_fma_f64 v[33:34], v[99:100], v[33:34], -v[35:36]
	ds_read2_b64 v[99:102], v125 offset0:52 offset1:53
	s_waitcnt lgkmcnt(0)
	v_mul_f64 v[35:36], v[101:102], v[97:98]
	v_fma_f64 v[35:36], v[99:100], v[33:34], -v[35:36]
	v_mul_f64 v[99:100], v[99:100], v[97:98]
	v_add_f64 v[29:30], v[29:30], -v[35:36]
	v_fma_f64 v[99:100], v[101:102], v[33:34], v[99:100]
	v_add_f64 v[31:32], v[31:32], -v[99:100]
	ds_read2_b64 v[99:102], v125 offset0:54 offset1:55
	s_waitcnt lgkmcnt(0)
	v_mul_f64 v[35:36], v[101:102], v[97:98]
	v_fma_f64 v[35:36], v[99:100], v[33:34], -v[35:36]
	v_mul_f64 v[99:100], v[99:100], v[97:98]
	v_add_f64 v[25:26], v[25:26], -v[35:36]
	v_fma_f64 v[99:100], v[101:102], v[33:34], v[99:100]
	v_add_f64 v[27:28], v[27:28], -v[99:100]
	;; [unrolled: 8-line block ×8, first 2 shown]
	ds_read2_b64 v[99:102], v125 offset0:68 offset1:69
	s_waitcnt lgkmcnt(0)
	v_mul_f64 v[35:36], v[101:102], v[97:98]
	v_fma_f64 v[35:36], v[99:100], v[33:34], -v[35:36]
	v_mul_f64 v[99:100], v[99:100], v[97:98]
	v_add_f64 v[121:122], v[121:122], -v[35:36]
	v_fma_f64 v[99:100], v[101:102], v[33:34], v[99:100]
	v_mov_b32_e32 v35, v97
	v_mov_b32_e32 v36, v98
	v_add_f64 v[123:124], v[123:124], -v[99:100]
.LBB69_235:
	s_or_b64 exec, exec, s[2:3]
	v_cmp_eq_u32_e32 vcc, 26, v0
	s_waitcnt vmcnt(0)
	s_barrier
	s_and_saveexec_b64 s[4:5], vcc
	s_cbranch_execz .LBB69_242
; %bb.236:
	ds_write2_b64 v127, v[29:30], v[31:32] offset1:1
	ds_write2_b64 v125, v[25:26], v[27:28] offset0:54 offset1:55
	ds_write2_b64 v125, v[21:22], v[23:24] offset0:56 offset1:57
	;; [unrolled: 1-line block ×8, first 2 shown]
	ds_read2_b64 v[97:100], v127 offset1:1
	s_waitcnt lgkmcnt(0)
	v_cmp_neq_f64_e32 vcc, 0, v[97:98]
	v_cmp_neq_f64_e64 s[2:3], 0, v[99:100]
	s_or_b64 s[2:3], vcc, s[2:3]
	s_and_b64 exec, exec, s[2:3]
	s_cbranch_execz .LBB69_242
; %bb.237:
	v_cmp_ngt_f64_e64 s[2:3], |v[97:98]|, |v[99:100]|
                                        ; implicit-def: $vgpr101_vgpr102
	s_and_saveexec_b64 s[6:7], s[2:3]
	s_xor_b64 s[2:3], exec, s[6:7]
                                        ; implicit-def: $vgpr103_vgpr104
	s_cbranch_execz .LBB69_239
; %bb.238:
	v_div_scale_f64 v[101:102], s[6:7], v[99:100], v[99:100], v[97:98]
	v_rcp_f64_e32 v[103:104], v[101:102]
	v_fma_f64 v[105:106], -v[101:102], v[103:104], 1.0
	v_fma_f64 v[103:104], v[103:104], v[105:106], v[103:104]
	v_div_scale_f64 v[105:106], vcc, v[97:98], v[99:100], v[97:98]
	v_fma_f64 v[107:108], -v[101:102], v[103:104], 1.0
	v_fma_f64 v[103:104], v[103:104], v[107:108], v[103:104]
	v_mul_f64 v[107:108], v[105:106], v[103:104]
	v_fma_f64 v[101:102], -v[101:102], v[107:108], v[105:106]
	v_div_fmas_f64 v[101:102], v[101:102], v[103:104], v[107:108]
	v_div_fixup_f64 v[101:102], v[101:102], v[99:100], v[97:98]
	v_fma_f64 v[97:98], v[97:98], v[101:102], v[99:100]
	v_div_scale_f64 v[99:100], s[6:7], v[97:98], v[97:98], 1.0
	v_div_scale_f64 v[107:108], vcc, 1.0, v[97:98], 1.0
	v_rcp_f64_e32 v[103:104], v[99:100]
	v_fma_f64 v[105:106], -v[99:100], v[103:104], 1.0
	v_fma_f64 v[103:104], v[103:104], v[105:106], v[103:104]
	v_fma_f64 v[105:106], -v[99:100], v[103:104], 1.0
	v_fma_f64 v[103:104], v[103:104], v[105:106], v[103:104]
	v_mul_f64 v[105:106], v[107:108], v[103:104]
	v_fma_f64 v[99:100], -v[99:100], v[105:106], v[107:108]
	v_div_fmas_f64 v[99:100], v[99:100], v[103:104], v[105:106]
	v_div_fixup_f64 v[103:104], v[99:100], v[97:98], 1.0
                                        ; implicit-def: $vgpr97_vgpr98
	v_mul_f64 v[101:102], v[101:102], v[103:104]
	v_xor_b32_e32 v104, 0x80000000, v104
.LBB69_239:
	s_andn2_saveexec_b64 s[2:3], s[2:3]
	s_cbranch_execz .LBB69_241
; %bb.240:
	v_div_scale_f64 v[101:102], s[6:7], v[97:98], v[97:98], v[99:100]
	v_rcp_f64_e32 v[103:104], v[101:102]
	v_fma_f64 v[105:106], -v[101:102], v[103:104], 1.0
	v_fma_f64 v[103:104], v[103:104], v[105:106], v[103:104]
	v_div_scale_f64 v[105:106], vcc, v[99:100], v[97:98], v[99:100]
	v_fma_f64 v[107:108], -v[101:102], v[103:104], 1.0
	v_fma_f64 v[103:104], v[103:104], v[107:108], v[103:104]
	v_mul_f64 v[107:108], v[105:106], v[103:104]
	v_fma_f64 v[101:102], -v[101:102], v[107:108], v[105:106]
	v_div_fmas_f64 v[101:102], v[101:102], v[103:104], v[107:108]
	v_div_fixup_f64 v[103:104], v[101:102], v[97:98], v[99:100]
	v_fma_f64 v[97:98], v[99:100], v[103:104], v[97:98]
	v_div_scale_f64 v[99:100], s[6:7], v[97:98], v[97:98], 1.0
	v_div_scale_f64 v[107:108], vcc, 1.0, v[97:98], 1.0
	v_rcp_f64_e32 v[101:102], v[99:100]
	v_fma_f64 v[105:106], -v[99:100], v[101:102], 1.0
	v_fma_f64 v[101:102], v[101:102], v[105:106], v[101:102]
	v_fma_f64 v[105:106], -v[99:100], v[101:102], 1.0
	v_fma_f64 v[101:102], v[101:102], v[105:106], v[101:102]
	v_mul_f64 v[105:106], v[107:108], v[101:102]
	v_fma_f64 v[99:100], -v[99:100], v[105:106], v[107:108]
	v_div_fmas_f64 v[99:100], v[99:100], v[101:102], v[105:106]
	v_div_fixup_f64 v[101:102], v[99:100], v[97:98], 1.0
	v_mul_f64 v[103:104], v[103:104], -v[101:102]
.LBB69_241:
	s_or_b64 exec, exec, s[2:3]
	ds_write2_b64 v127, v[101:102], v[103:104] offset1:1
.LBB69_242:
	s_or_b64 exec, exec, s[4:5]
	s_waitcnt lgkmcnt(0)
	s_barrier
	ds_read2_b64 v[97:100], v127 offset1:1
	v_cmp_lt_u32_e32 vcc, 26, v0
	s_waitcnt lgkmcnt(0)
	buffer_store_dword v97, off, s[20:23], 0 offset:872 ; 4-byte Folded Spill
	s_nop 0
	buffer_store_dword v98, off, s[20:23], 0 offset:876 ; 4-byte Folded Spill
	buffer_store_dword v99, off, s[20:23], 0 offset:880 ; 4-byte Folded Spill
	;; [unrolled: 1-line block ×3, first 2 shown]
	s_and_saveexec_b64 s[2:3], vcc
	s_cbranch_execz .LBB69_244
; %bb.243:
	buffer_load_dword v99, off, s[20:23], 0 offset:872 ; 4-byte Folded Reload
	buffer_load_dword v100, off, s[20:23], 0 offset:876 ; 4-byte Folded Reload
	;; [unrolled: 1-line block ×4, first 2 shown]
	s_waitcnt vmcnt(2)
	v_mul_f64 v[97:98], v[99:100], v[31:32]
	s_waitcnt vmcnt(0)
	v_mul_f64 v[31:32], v[101:102], v[31:32]
	v_fma_f64 v[97:98], v[101:102], v[29:30], v[97:98]
	v_fma_f64 v[29:30], v[99:100], v[29:30], -v[31:32]
	ds_read2_b64 v[99:102], v125 offset0:54 offset1:55
	s_waitcnt lgkmcnt(0)
	v_mul_f64 v[31:32], v[101:102], v[97:98]
	v_fma_f64 v[31:32], v[99:100], v[29:30], -v[31:32]
	v_mul_f64 v[99:100], v[99:100], v[97:98]
	v_add_f64 v[25:26], v[25:26], -v[31:32]
	v_fma_f64 v[99:100], v[101:102], v[29:30], v[99:100]
	v_add_f64 v[27:28], v[27:28], -v[99:100]
	ds_read2_b64 v[99:102], v125 offset0:56 offset1:57
	s_waitcnt lgkmcnt(0)
	v_mul_f64 v[31:32], v[101:102], v[97:98]
	v_fma_f64 v[31:32], v[99:100], v[29:30], -v[31:32]
	v_mul_f64 v[99:100], v[99:100], v[97:98]
	v_add_f64 v[21:22], v[21:22], -v[31:32]
	v_fma_f64 v[99:100], v[101:102], v[29:30], v[99:100]
	v_add_f64 v[23:24], v[23:24], -v[99:100]
	;; [unrolled: 8-line block ×7, first 2 shown]
	ds_read2_b64 v[99:102], v125 offset0:68 offset1:69
	s_waitcnt lgkmcnt(0)
	v_mul_f64 v[31:32], v[101:102], v[97:98]
	v_fma_f64 v[31:32], v[99:100], v[29:30], -v[31:32]
	v_mul_f64 v[99:100], v[99:100], v[97:98]
	v_add_f64 v[121:122], v[121:122], -v[31:32]
	v_fma_f64 v[99:100], v[101:102], v[29:30], v[99:100]
	v_mov_b32_e32 v31, v97
	v_mov_b32_e32 v32, v98
	v_add_f64 v[123:124], v[123:124], -v[99:100]
.LBB69_244:
	s_or_b64 exec, exec, s[2:3]
	v_cmp_eq_u32_e32 vcc, 27, v0
	s_waitcnt vmcnt(0)
	s_barrier
	s_and_saveexec_b64 s[4:5], vcc
	s_cbranch_execz .LBB69_251
; %bb.245:
	ds_write2_b64 v127, v[25:26], v[27:28] offset1:1
	ds_write2_b64 v125, v[21:22], v[23:24] offset0:56 offset1:57
	ds_write2_b64 v125, v[17:18], v[19:20] offset0:58 offset1:59
	;; [unrolled: 1-line block ×7, first 2 shown]
	ds_read2_b64 v[97:100], v127 offset1:1
	s_waitcnt lgkmcnt(0)
	v_cmp_neq_f64_e32 vcc, 0, v[97:98]
	v_cmp_neq_f64_e64 s[2:3], 0, v[99:100]
	s_or_b64 s[2:3], vcc, s[2:3]
	s_and_b64 exec, exec, s[2:3]
	s_cbranch_execz .LBB69_251
; %bb.246:
	v_cmp_ngt_f64_e64 s[2:3], |v[97:98]|, |v[99:100]|
                                        ; implicit-def: $vgpr101_vgpr102
	s_and_saveexec_b64 s[6:7], s[2:3]
	s_xor_b64 s[2:3], exec, s[6:7]
                                        ; implicit-def: $vgpr103_vgpr104
	s_cbranch_execz .LBB69_248
; %bb.247:
	v_div_scale_f64 v[101:102], s[6:7], v[99:100], v[99:100], v[97:98]
	v_rcp_f64_e32 v[103:104], v[101:102]
	v_fma_f64 v[105:106], -v[101:102], v[103:104], 1.0
	v_fma_f64 v[103:104], v[103:104], v[105:106], v[103:104]
	v_div_scale_f64 v[105:106], vcc, v[97:98], v[99:100], v[97:98]
	v_fma_f64 v[107:108], -v[101:102], v[103:104], 1.0
	v_fma_f64 v[103:104], v[103:104], v[107:108], v[103:104]
	v_mul_f64 v[107:108], v[105:106], v[103:104]
	v_fma_f64 v[101:102], -v[101:102], v[107:108], v[105:106]
	v_div_fmas_f64 v[101:102], v[101:102], v[103:104], v[107:108]
	v_div_fixup_f64 v[101:102], v[101:102], v[99:100], v[97:98]
	v_fma_f64 v[97:98], v[97:98], v[101:102], v[99:100]
	v_div_scale_f64 v[99:100], s[6:7], v[97:98], v[97:98], 1.0
	v_div_scale_f64 v[107:108], vcc, 1.0, v[97:98], 1.0
	v_rcp_f64_e32 v[103:104], v[99:100]
	v_fma_f64 v[105:106], -v[99:100], v[103:104], 1.0
	v_fma_f64 v[103:104], v[103:104], v[105:106], v[103:104]
	v_fma_f64 v[105:106], -v[99:100], v[103:104], 1.0
	v_fma_f64 v[103:104], v[103:104], v[105:106], v[103:104]
	v_mul_f64 v[105:106], v[107:108], v[103:104]
	v_fma_f64 v[99:100], -v[99:100], v[105:106], v[107:108]
	v_div_fmas_f64 v[99:100], v[99:100], v[103:104], v[105:106]
	v_div_fixup_f64 v[103:104], v[99:100], v[97:98], 1.0
                                        ; implicit-def: $vgpr97_vgpr98
	v_mul_f64 v[101:102], v[101:102], v[103:104]
	v_xor_b32_e32 v104, 0x80000000, v104
.LBB69_248:
	s_andn2_saveexec_b64 s[2:3], s[2:3]
	s_cbranch_execz .LBB69_250
; %bb.249:
	v_div_scale_f64 v[101:102], s[6:7], v[97:98], v[97:98], v[99:100]
	v_rcp_f64_e32 v[103:104], v[101:102]
	v_fma_f64 v[105:106], -v[101:102], v[103:104], 1.0
	v_fma_f64 v[103:104], v[103:104], v[105:106], v[103:104]
	v_div_scale_f64 v[105:106], vcc, v[99:100], v[97:98], v[99:100]
	v_fma_f64 v[107:108], -v[101:102], v[103:104], 1.0
	v_fma_f64 v[103:104], v[103:104], v[107:108], v[103:104]
	v_mul_f64 v[107:108], v[105:106], v[103:104]
	v_fma_f64 v[101:102], -v[101:102], v[107:108], v[105:106]
	v_div_fmas_f64 v[101:102], v[101:102], v[103:104], v[107:108]
	v_div_fixup_f64 v[103:104], v[101:102], v[97:98], v[99:100]
	v_fma_f64 v[97:98], v[99:100], v[103:104], v[97:98]
	v_div_scale_f64 v[99:100], s[6:7], v[97:98], v[97:98], 1.0
	v_div_scale_f64 v[107:108], vcc, 1.0, v[97:98], 1.0
	v_rcp_f64_e32 v[101:102], v[99:100]
	v_fma_f64 v[105:106], -v[99:100], v[101:102], 1.0
	v_fma_f64 v[101:102], v[101:102], v[105:106], v[101:102]
	v_fma_f64 v[105:106], -v[99:100], v[101:102], 1.0
	v_fma_f64 v[101:102], v[101:102], v[105:106], v[101:102]
	v_mul_f64 v[105:106], v[107:108], v[101:102]
	v_fma_f64 v[99:100], -v[99:100], v[105:106], v[107:108]
	v_div_fmas_f64 v[99:100], v[99:100], v[101:102], v[105:106]
	v_div_fixup_f64 v[101:102], v[99:100], v[97:98], 1.0
	v_mul_f64 v[103:104], v[103:104], -v[101:102]
.LBB69_250:
	s_or_b64 exec, exec, s[2:3]
	ds_write2_b64 v127, v[101:102], v[103:104] offset1:1
.LBB69_251:
	s_or_b64 exec, exec, s[4:5]
	s_waitcnt lgkmcnt(0)
	s_barrier
	ds_read2_b64 v[97:100], v127 offset1:1
	v_cmp_lt_u32_e32 vcc, 27, v0
	s_waitcnt lgkmcnt(0)
	buffer_store_dword v97, off, s[20:23], 0 offset:888 ; 4-byte Folded Spill
	s_nop 0
	buffer_store_dword v98, off, s[20:23], 0 offset:892 ; 4-byte Folded Spill
	buffer_store_dword v99, off, s[20:23], 0 offset:896 ; 4-byte Folded Spill
	;; [unrolled: 1-line block ×3, first 2 shown]
	s_and_saveexec_b64 s[2:3], vcc
	s_cbranch_execz .LBB69_253
; %bb.252:
	buffer_load_dword v99, off, s[20:23], 0 offset:888 ; 4-byte Folded Reload
	buffer_load_dword v100, off, s[20:23], 0 offset:892 ; 4-byte Folded Reload
	;; [unrolled: 1-line block ×4, first 2 shown]
	s_waitcnt vmcnt(2)
	v_mul_f64 v[97:98], v[99:100], v[27:28]
	s_waitcnt vmcnt(0)
	v_mul_f64 v[27:28], v[101:102], v[27:28]
	v_fma_f64 v[97:98], v[101:102], v[25:26], v[97:98]
	v_fma_f64 v[25:26], v[99:100], v[25:26], -v[27:28]
	ds_read2_b64 v[99:102], v125 offset0:56 offset1:57
	s_waitcnt lgkmcnt(0)
	v_mul_f64 v[27:28], v[101:102], v[97:98]
	v_fma_f64 v[27:28], v[99:100], v[25:26], -v[27:28]
	v_mul_f64 v[99:100], v[99:100], v[97:98]
	v_add_f64 v[21:22], v[21:22], -v[27:28]
	v_fma_f64 v[99:100], v[101:102], v[25:26], v[99:100]
	v_add_f64 v[23:24], v[23:24], -v[99:100]
	ds_read2_b64 v[99:102], v125 offset0:58 offset1:59
	s_waitcnt lgkmcnt(0)
	v_mul_f64 v[27:28], v[101:102], v[97:98]
	v_fma_f64 v[27:28], v[99:100], v[25:26], -v[27:28]
	v_mul_f64 v[99:100], v[99:100], v[97:98]
	v_add_f64 v[17:18], v[17:18], -v[27:28]
	v_fma_f64 v[99:100], v[101:102], v[25:26], v[99:100]
	v_add_f64 v[19:20], v[19:20], -v[99:100]
	;; [unrolled: 8-line block ×6, first 2 shown]
	ds_read2_b64 v[99:102], v125 offset0:68 offset1:69
	s_waitcnt lgkmcnt(0)
	v_mul_f64 v[27:28], v[101:102], v[97:98]
	v_fma_f64 v[27:28], v[99:100], v[25:26], -v[27:28]
	v_mul_f64 v[99:100], v[99:100], v[97:98]
	v_add_f64 v[121:122], v[121:122], -v[27:28]
	v_fma_f64 v[99:100], v[101:102], v[25:26], v[99:100]
	v_mov_b32_e32 v27, v97
	v_mov_b32_e32 v28, v98
	v_add_f64 v[123:124], v[123:124], -v[99:100]
.LBB69_253:
	s_or_b64 exec, exec, s[2:3]
	v_cmp_eq_u32_e32 vcc, 28, v0
	s_waitcnt vmcnt(0)
	s_barrier
	s_and_saveexec_b64 s[4:5], vcc
	s_cbranch_execz .LBB69_260
; %bb.254:
	ds_write2_b64 v127, v[21:22], v[23:24] offset1:1
	ds_write2_b64 v125, v[17:18], v[19:20] offset0:58 offset1:59
	ds_write2_b64 v125, v[13:14], v[15:16] offset0:60 offset1:61
	;; [unrolled: 1-line block ×6, first 2 shown]
	ds_read2_b64 v[97:100], v127 offset1:1
	s_waitcnt lgkmcnt(0)
	v_cmp_neq_f64_e32 vcc, 0, v[97:98]
	v_cmp_neq_f64_e64 s[2:3], 0, v[99:100]
	s_or_b64 s[2:3], vcc, s[2:3]
	s_and_b64 exec, exec, s[2:3]
	s_cbranch_execz .LBB69_260
; %bb.255:
	v_cmp_ngt_f64_e64 s[2:3], |v[97:98]|, |v[99:100]|
                                        ; implicit-def: $vgpr101_vgpr102
	s_and_saveexec_b64 s[6:7], s[2:3]
	s_xor_b64 s[2:3], exec, s[6:7]
                                        ; implicit-def: $vgpr103_vgpr104
	s_cbranch_execz .LBB69_257
; %bb.256:
	v_div_scale_f64 v[101:102], s[6:7], v[99:100], v[99:100], v[97:98]
	v_rcp_f64_e32 v[103:104], v[101:102]
	v_fma_f64 v[105:106], -v[101:102], v[103:104], 1.0
	v_fma_f64 v[103:104], v[103:104], v[105:106], v[103:104]
	v_div_scale_f64 v[105:106], vcc, v[97:98], v[99:100], v[97:98]
	v_fma_f64 v[107:108], -v[101:102], v[103:104], 1.0
	v_fma_f64 v[103:104], v[103:104], v[107:108], v[103:104]
	v_mul_f64 v[107:108], v[105:106], v[103:104]
	v_fma_f64 v[101:102], -v[101:102], v[107:108], v[105:106]
	v_div_fmas_f64 v[101:102], v[101:102], v[103:104], v[107:108]
	v_div_fixup_f64 v[101:102], v[101:102], v[99:100], v[97:98]
	v_fma_f64 v[97:98], v[97:98], v[101:102], v[99:100]
	v_div_scale_f64 v[99:100], s[6:7], v[97:98], v[97:98], 1.0
	v_div_scale_f64 v[107:108], vcc, 1.0, v[97:98], 1.0
	v_rcp_f64_e32 v[103:104], v[99:100]
	v_fma_f64 v[105:106], -v[99:100], v[103:104], 1.0
	v_fma_f64 v[103:104], v[103:104], v[105:106], v[103:104]
	v_fma_f64 v[105:106], -v[99:100], v[103:104], 1.0
	v_fma_f64 v[103:104], v[103:104], v[105:106], v[103:104]
	v_mul_f64 v[105:106], v[107:108], v[103:104]
	v_fma_f64 v[99:100], -v[99:100], v[105:106], v[107:108]
	v_div_fmas_f64 v[99:100], v[99:100], v[103:104], v[105:106]
	v_div_fixup_f64 v[103:104], v[99:100], v[97:98], 1.0
                                        ; implicit-def: $vgpr97_vgpr98
	v_mul_f64 v[101:102], v[101:102], v[103:104]
	v_xor_b32_e32 v104, 0x80000000, v104
.LBB69_257:
	s_andn2_saveexec_b64 s[2:3], s[2:3]
	s_cbranch_execz .LBB69_259
; %bb.258:
	v_div_scale_f64 v[101:102], s[6:7], v[97:98], v[97:98], v[99:100]
	v_rcp_f64_e32 v[103:104], v[101:102]
	v_fma_f64 v[105:106], -v[101:102], v[103:104], 1.0
	v_fma_f64 v[103:104], v[103:104], v[105:106], v[103:104]
	v_div_scale_f64 v[105:106], vcc, v[99:100], v[97:98], v[99:100]
	v_fma_f64 v[107:108], -v[101:102], v[103:104], 1.0
	v_fma_f64 v[103:104], v[103:104], v[107:108], v[103:104]
	v_mul_f64 v[107:108], v[105:106], v[103:104]
	v_fma_f64 v[101:102], -v[101:102], v[107:108], v[105:106]
	v_div_fmas_f64 v[101:102], v[101:102], v[103:104], v[107:108]
	v_div_fixup_f64 v[103:104], v[101:102], v[97:98], v[99:100]
	v_fma_f64 v[97:98], v[99:100], v[103:104], v[97:98]
	v_div_scale_f64 v[99:100], s[6:7], v[97:98], v[97:98], 1.0
	v_div_scale_f64 v[107:108], vcc, 1.0, v[97:98], 1.0
	v_rcp_f64_e32 v[101:102], v[99:100]
	v_fma_f64 v[105:106], -v[99:100], v[101:102], 1.0
	v_fma_f64 v[101:102], v[101:102], v[105:106], v[101:102]
	v_fma_f64 v[105:106], -v[99:100], v[101:102], 1.0
	v_fma_f64 v[101:102], v[101:102], v[105:106], v[101:102]
	v_mul_f64 v[105:106], v[107:108], v[101:102]
	v_fma_f64 v[99:100], -v[99:100], v[105:106], v[107:108]
	v_div_fmas_f64 v[99:100], v[99:100], v[101:102], v[105:106]
	v_div_fixup_f64 v[101:102], v[99:100], v[97:98], 1.0
	v_mul_f64 v[103:104], v[103:104], -v[101:102]
.LBB69_259:
	s_or_b64 exec, exec, s[2:3]
	ds_write2_b64 v127, v[101:102], v[103:104] offset1:1
.LBB69_260:
	s_or_b64 exec, exec, s[4:5]
	s_waitcnt lgkmcnt(0)
	s_barrier
	ds_read2_b64 v[97:100], v127 offset1:1
	v_cmp_lt_u32_e32 vcc, 28, v0
	s_waitcnt lgkmcnt(0)
	buffer_store_dword v97, off, s[20:23], 0 offset:904 ; 4-byte Folded Spill
	s_nop 0
	buffer_store_dword v98, off, s[20:23], 0 offset:908 ; 4-byte Folded Spill
	buffer_store_dword v99, off, s[20:23], 0 offset:912 ; 4-byte Folded Spill
	;; [unrolled: 1-line block ×3, first 2 shown]
	s_and_saveexec_b64 s[2:3], vcc
	s_cbranch_execz .LBB69_262
; %bb.261:
	buffer_load_dword v99, off, s[20:23], 0 offset:904 ; 4-byte Folded Reload
	buffer_load_dword v100, off, s[20:23], 0 offset:908 ; 4-byte Folded Reload
	;; [unrolled: 1-line block ×4, first 2 shown]
	s_waitcnt vmcnt(2)
	v_mul_f64 v[97:98], v[99:100], v[23:24]
	s_waitcnt vmcnt(0)
	v_mul_f64 v[23:24], v[101:102], v[23:24]
	v_fma_f64 v[97:98], v[101:102], v[21:22], v[97:98]
	v_fma_f64 v[21:22], v[99:100], v[21:22], -v[23:24]
	ds_read2_b64 v[99:102], v125 offset0:58 offset1:59
	s_waitcnt lgkmcnt(0)
	v_mul_f64 v[23:24], v[101:102], v[97:98]
	v_fma_f64 v[23:24], v[99:100], v[21:22], -v[23:24]
	v_mul_f64 v[99:100], v[99:100], v[97:98]
	v_add_f64 v[17:18], v[17:18], -v[23:24]
	v_fma_f64 v[99:100], v[101:102], v[21:22], v[99:100]
	v_add_f64 v[19:20], v[19:20], -v[99:100]
	ds_read2_b64 v[99:102], v125 offset0:60 offset1:61
	s_waitcnt lgkmcnt(0)
	v_mul_f64 v[23:24], v[101:102], v[97:98]
	v_fma_f64 v[23:24], v[99:100], v[21:22], -v[23:24]
	v_mul_f64 v[99:100], v[99:100], v[97:98]
	v_add_f64 v[13:14], v[13:14], -v[23:24]
	v_fma_f64 v[99:100], v[101:102], v[21:22], v[99:100]
	v_add_f64 v[15:16], v[15:16], -v[99:100]
	;; [unrolled: 8-line block ×5, first 2 shown]
	ds_read2_b64 v[99:102], v125 offset0:68 offset1:69
	s_waitcnt lgkmcnt(0)
	v_mul_f64 v[23:24], v[101:102], v[97:98]
	v_fma_f64 v[23:24], v[99:100], v[21:22], -v[23:24]
	v_mul_f64 v[99:100], v[99:100], v[97:98]
	v_add_f64 v[121:122], v[121:122], -v[23:24]
	v_fma_f64 v[99:100], v[101:102], v[21:22], v[99:100]
	v_mov_b32_e32 v23, v97
	v_mov_b32_e32 v24, v98
	v_add_f64 v[123:124], v[123:124], -v[99:100]
.LBB69_262:
	s_or_b64 exec, exec, s[2:3]
	v_cmp_eq_u32_e32 vcc, 29, v0
	s_waitcnt vmcnt(0)
	s_barrier
	s_and_saveexec_b64 s[4:5], vcc
	s_cbranch_execz .LBB69_269
; %bb.263:
	ds_write2_b64 v127, v[17:18], v[19:20] offset1:1
	ds_write2_b64 v125, v[13:14], v[15:16] offset0:60 offset1:61
	ds_write2_b64 v125, v[9:10], v[11:12] offset0:62 offset1:63
	;; [unrolled: 1-line block ×5, first 2 shown]
	ds_read2_b64 v[97:100], v127 offset1:1
	s_waitcnt lgkmcnt(0)
	v_cmp_neq_f64_e32 vcc, 0, v[97:98]
	v_cmp_neq_f64_e64 s[2:3], 0, v[99:100]
	s_or_b64 s[2:3], vcc, s[2:3]
	s_and_b64 exec, exec, s[2:3]
	s_cbranch_execz .LBB69_269
; %bb.264:
	v_cmp_ngt_f64_e64 s[2:3], |v[97:98]|, |v[99:100]|
                                        ; implicit-def: $vgpr101_vgpr102
	s_and_saveexec_b64 s[6:7], s[2:3]
	s_xor_b64 s[2:3], exec, s[6:7]
                                        ; implicit-def: $vgpr103_vgpr104
	s_cbranch_execz .LBB69_266
; %bb.265:
	v_div_scale_f64 v[101:102], s[6:7], v[99:100], v[99:100], v[97:98]
	v_rcp_f64_e32 v[103:104], v[101:102]
	v_fma_f64 v[105:106], -v[101:102], v[103:104], 1.0
	v_fma_f64 v[103:104], v[103:104], v[105:106], v[103:104]
	v_div_scale_f64 v[105:106], vcc, v[97:98], v[99:100], v[97:98]
	v_fma_f64 v[107:108], -v[101:102], v[103:104], 1.0
	v_fma_f64 v[103:104], v[103:104], v[107:108], v[103:104]
	v_mul_f64 v[107:108], v[105:106], v[103:104]
	v_fma_f64 v[101:102], -v[101:102], v[107:108], v[105:106]
	v_div_fmas_f64 v[101:102], v[101:102], v[103:104], v[107:108]
	v_div_fixup_f64 v[101:102], v[101:102], v[99:100], v[97:98]
	v_fma_f64 v[97:98], v[97:98], v[101:102], v[99:100]
	v_div_scale_f64 v[99:100], s[6:7], v[97:98], v[97:98], 1.0
	v_div_scale_f64 v[107:108], vcc, 1.0, v[97:98], 1.0
	v_rcp_f64_e32 v[103:104], v[99:100]
	v_fma_f64 v[105:106], -v[99:100], v[103:104], 1.0
	v_fma_f64 v[103:104], v[103:104], v[105:106], v[103:104]
	v_fma_f64 v[105:106], -v[99:100], v[103:104], 1.0
	v_fma_f64 v[103:104], v[103:104], v[105:106], v[103:104]
	v_mul_f64 v[105:106], v[107:108], v[103:104]
	v_fma_f64 v[99:100], -v[99:100], v[105:106], v[107:108]
	v_div_fmas_f64 v[99:100], v[99:100], v[103:104], v[105:106]
	v_div_fixup_f64 v[103:104], v[99:100], v[97:98], 1.0
                                        ; implicit-def: $vgpr97_vgpr98
	v_mul_f64 v[101:102], v[101:102], v[103:104]
	v_xor_b32_e32 v104, 0x80000000, v104
.LBB69_266:
	s_andn2_saveexec_b64 s[2:3], s[2:3]
	s_cbranch_execz .LBB69_268
; %bb.267:
	v_div_scale_f64 v[101:102], s[6:7], v[97:98], v[97:98], v[99:100]
	v_rcp_f64_e32 v[103:104], v[101:102]
	v_fma_f64 v[105:106], -v[101:102], v[103:104], 1.0
	v_fma_f64 v[103:104], v[103:104], v[105:106], v[103:104]
	v_div_scale_f64 v[105:106], vcc, v[99:100], v[97:98], v[99:100]
	v_fma_f64 v[107:108], -v[101:102], v[103:104], 1.0
	v_fma_f64 v[103:104], v[103:104], v[107:108], v[103:104]
	v_mul_f64 v[107:108], v[105:106], v[103:104]
	v_fma_f64 v[101:102], -v[101:102], v[107:108], v[105:106]
	v_div_fmas_f64 v[101:102], v[101:102], v[103:104], v[107:108]
	v_div_fixup_f64 v[103:104], v[101:102], v[97:98], v[99:100]
	v_fma_f64 v[97:98], v[99:100], v[103:104], v[97:98]
	v_div_scale_f64 v[99:100], s[6:7], v[97:98], v[97:98], 1.0
	v_div_scale_f64 v[107:108], vcc, 1.0, v[97:98], 1.0
	v_rcp_f64_e32 v[101:102], v[99:100]
	v_fma_f64 v[105:106], -v[99:100], v[101:102], 1.0
	v_fma_f64 v[101:102], v[101:102], v[105:106], v[101:102]
	v_fma_f64 v[105:106], -v[99:100], v[101:102], 1.0
	v_fma_f64 v[101:102], v[101:102], v[105:106], v[101:102]
	v_mul_f64 v[105:106], v[107:108], v[101:102]
	v_fma_f64 v[99:100], -v[99:100], v[105:106], v[107:108]
	v_div_fmas_f64 v[99:100], v[99:100], v[101:102], v[105:106]
	v_div_fixup_f64 v[101:102], v[99:100], v[97:98], 1.0
	v_mul_f64 v[103:104], v[103:104], -v[101:102]
.LBB69_268:
	s_or_b64 exec, exec, s[2:3]
	ds_write2_b64 v127, v[101:102], v[103:104] offset1:1
.LBB69_269:
	s_or_b64 exec, exec, s[4:5]
	s_waitcnt lgkmcnt(0)
	s_barrier
	ds_read2_b64 v[97:100], v127 offset1:1
	v_cmp_lt_u32_e32 vcc, 29, v0
	s_waitcnt lgkmcnt(0)
	buffer_store_dword v97, off, s[20:23], 0 offset:920 ; 4-byte Folded Spill
	s_nop 0
	buffer_store_dword v98, off, s[20:23], 0 offset:924 ; 4-byte Folded Spill
	buffer_store_dword v99, off, s[20:23], 0 offset:928 ; 4-byte Folded Spill
	;; [unrolled: 1-line block ×3, first 2 shown]
	s_and_saveexec_b64 s[2:3], vcc
	s_cbranch_execz .LBB69_271
; %bb.270:
	buffer_load_dword v103, off, s[20:23], 0 offset:920 ; 4-byte Folded Reload
	buffer_load_dword v104, off, s[20:23], 0 offset:924 ; 4-byte Folded Reload
	;; [unrolled: 1-line block ×4, first 2 shown]
	s_waitcnt vmcnt(2)
	v_mul_f64 v[97:98], v[103:104], v[19:20]
	s_waitcnt vmcnt(0)
	v_mul_f64 v[19:20], v[105:106], v[19:20]
	v_fma_f64 v[101:102], v[105:106], v[17:18], v[97:98]
	ds_read2_b64 v[97:100], v125 offset0:60 offset1:61
	v_fma_f64 v[17:18], v[103:104], v[17:18], -v[19:20]
	s_waitcnt lgkmcnt(0)
	v_mul_f64 v[19:20], v[99:100], v[101:102]
	v_fma_f64 v[19:20], v[97:98], v[17:18], -v[19:20]
	v_mul_f64 v[97:98], v[97:98], v[101:102]
	v_add_f64 v[13:14], v[13:14], -v[19:20]
	v_fma_f64 v[97:98], v[99:100], v[17:18], v[97:98]
	v_add_f64 v[15:16], v[15:16], -v[97:98]
	ds_read2_b64 v[97:100], v125 offset0:62 offset1:63
	s_waitcnt lgkmcnt(0)
	v_mul_f64 v[19:20], v[99:100], v[101:102]
	v_fma_f64 v[19:20], v[97:98], v[17:18], -v[19:20]
	v_mul_f64 v[97:98], v[97:98], v[101:102]
	v_add_f64 v[9:10], v[9:10], -v[19:20]
	v_fma_f64 v[97:98], v[99:100], v[17:18], v[97:98]
	v_add_f64 v[11:12], v[11:12], -v[97:98]
	ds_read2_b64 v[97:100], v125 offset0:64 offset1:65
	;; [unrolled: 8-line block ×4, first 2 shown]
	s_waitcnt lgkmcnt(0)
	v_mul_f64 v[19:20], v[99:100], v[101:102]
	v_fma_f64 v[19:20], v[97:98], v[17:18], -v[19:20]
	v_mul_f64 v[97:98], v[97:98], v[101:102]
	v_add_f64 v[121:122], v[121:122], -v[19:20]
	v_fma_f64 v[97:98], v[99:100], v[17:18], v[97:98]
	v_mov_b32_e32 v19, v101
	v_mov_b32_e32 v20, v102
	v_add_f64 v[123:124], v[123:124], -v[97:98]
.LBB69_271:
	s_or_b64 exec, exec, s[2:3]
	v_cmp_eq_u32_e32 vcc, 30, v0
	s_waitcnt vmcnt(0)
	s_barrier
	s_and_saveexec_b64 s[4:5], vcc
	s_cbranch_execz .LBB69_278
; %bb.272:
	ds_write2_b64 v127, v[13:14], v[15:16] offset1:1
	ds_write2_b64 v125, v[9:10], v[11:12] offset0:62 offset1:63
	ds_write2_b64 v125, v[5:6], v[7:8] offset0:64 offset1:65
	;; [unrolled: 1-line block ×4, first 2 shown]
	ds_read2_b64 v[97:100], v127 offset1:1
	s_waitcnt lgkmcnt(0)
	v_cmp_neq_f64_e32 vcc, 0, v[97:98]
	v_cmp_neq_f64_e64 s[2:3], 0, v[99:100]
	s_or_b64 s[2:3], vcc, s[2:3]
	s_and_b64 exec, exec, s[2:3]
	s_cbranch_execz .LBB69_278
; %bb.273:
	v_cmp_ngt_f64_e64 s[2:3], |v[97:98]|, |v[99:100]|
                                        ; implicit-def: $vgpr101_vgpr102
	s_and_saveexec_b64 s[6:7], s[2:3]
	s_xor_b64 s[2:3], exec, s[6:7]
                                        ; implicit-def: $vgpr103_vgpr104
	s_cbranch_execz .LBB69_275
; %bb.274:
	v_div_scale_f64 v[101:102], s[6:7], v[99:100], v[99:100], v[97:98]
	v_rcp_f64_e32 v[103:104], v[101:102]
	v_fma_f64 v[105:106], -v[101:102], v[103:104], 1.0
	v_fma_f64 v[103:104], v[103:104], v[105:106], v[103:104]
	v_div_scale_f64 v[105:106], vcc, v[97:98], v[99:100], v[97:98]
	v_fma_f64 v[107:108], -v[101:102], v[103:104], 1.0
	v_fma_f64 v[103:104], v[103:104], v[107:108], v[103:104]
	v_mul_f64 v[107:108], v[105:106], v[103:104]
	v_fma_f64 v[101:102], -v[101:102], v[107:108], v[105:106]
	v_div_fmas_f64 v[101:102], v[101:102], v[103:104], v[107:108]
	v_div_fixup_f64 v[101:102], v[101:102], v[99:100], v[97:98]
	v_fma_f64 v[97:98], v[97:98], v[101:102], v[99:100]
	v_div_scale_f64 v[99:100], s[6:7], v[97:98], v[97:98], 1.0
	v_div_scale_f64 v[107:108], vcc, 1.0, v[97:98], 1.0
	v_rcp_f64_e32 v[103:104], v[99:100]
	v_fma_f64 v[105:106], -v[99:100], v[103:104], 1.0
	v_fma_f64 v[103:104], v[103:104], v[105:106], v[103:104]
	v_fma_f64 v[105:106], -v[99:100], v[103:104], 1.0
	v_fma_f64 v[103:104], v[103:104], v[105:106], v[103:104]
	v_mul_f64 v[105:106], v[107:108], v[103:104]
	v_fma_f64 v[99:100], -v[99:100], v[105:106], v[107:108]
	v_div_fmas_f64 v[99:100], v[99:100], v[103:104], v[105:106]
	v_div_fixup_f64 v[103:104], v[99:100], v[97:98], 1.0
                                        ; implicit-def: $vgpr97_vgpr98
	v_mul_f64 v[101:102], v[101:102], v[103:104]
	v_xor_b32_e32 v104, 0x80000000, v104
.LBB69_275:
	s_andn2_saveexec_b64 s[2:3], s[2:3]
	s_cbranch_execz .LBB69_277
; %bb.276:
	v_div_scale_f64 v[101:102], s[6:7], v[97:98], v[97:98], v[99:100]
	v_rcp_f64_e32 v[103:104], v[101:102]
	v_fma_f64 v[105:106], -v[101:102], v[103:104], 1.0
	v_fma_f64 v[103:104], v[103:104], v[105:106], v[103:104]
	v_div_scale_f64 v[105:106], vcc, v[99:100], v[97:98], v[99:100]
	v_fma_f64 v[107:108], -v[101:102], v[103:104], 1.0
	v_fma_f64 v[103:104], v[103:104], v[107:108], v[103:104]
	v_mul_f64 v[107:108], v[105:106], v[103:104]
	v_fma_f64 v[101:102], -v[101:102], v[107:108], v[105:106]
	v_div_fmas_f64 v[101:102], v[101:102], v[103:104], v[107:108]
	v_div_fixup_f64 v[103:104], v[101:102], v[97:98], v[99:100]
	v_fma_f64 v[97:98], v[99:100], v[103:104], v[97:98]
	v_div_scale_f64 v[99:100], s[6:7], v[97:98], v[97:98], 1.0
	v_div_scale_f64 v[107:108], vcc, 1.0, v[97:98], 1.0
	v_rcp_f64_e32 v[101:102], v[99:100]
	v_fma_f64 v[105:106], -v[99:100], v[101:102], 1.0
	v_fma_f64 v[101:102], v[101:102], v[105:106], v[101:102]
	v_fma_f64 v[105:106], -v[99:100], v[101:102], 1.0
	v_fma_f64 v[101:102], v[101:102], v[105:106], v[101:102]
	v_mul_f64 v[105:106], v[107:108], v[101:102]
	v_fma_f64 v[99:100], -v[99:100], v[105:106], v[107:108]
	v_div_fmas_f64 v[99:100], v[99:100], v[101:102], v[105:106]
	v_div_fixup_f64 v[101:102], v[99:100], v[97:98], 1.0
	v_mul_f64 v[103:104], v[103:104], -v[101:102]
.LBB69_277:
	s_or_b64 exec, exec, s[2:3]
	ds_write2_b64 v127, v[101:102], v[103:104] offset1:1
.LBB69_278:
	s_or_b64 exec, exec, s[4:5]
	s_waitcnt lgkmcnt(0)
	s_barrier
	ds_read2_b64 v[105:108], v127 offset1:1
	v_cmp_lt_u32_e32 vcc, 30, v0
	s_and_saveexec_b64 s[2:3], vcc
	s_cbranch_execz .LBB69_280
; %bb.279:
	s_waitcnt lgkmcnt(0)
	v_mul_f64 v[97:98], v[105:106], v[15:16]
	v_mul_f64 v[15:16], v[107:108], v[15:16]
	v_fma_f64 v[101:102], v[107:108], v[13:14], v[97:98]
	ds_read2_b64 v[97:100], v125 offset0:62 offset1:63
	v_fma_f64 v[13:14], v[105:106], v[13:14], -v[15:16]
	s_waitcnt lgkmcnt(0)
	v_mul_f64 v[15:16], v[99:100], v[101:102]
	v_fma_f64 v[15:16], v[97:98], v[13:14], -v[15:16]
	v_mul_f64 v[97:98], v[97:98], v[101:102]
	v_add_f64 v[9:10], v[9:10], -v[15:16]
	v_fma_f64 v[97:98], v[99:100], v[13:14], v[97:98]
	v_add_f64 v[11:12], v[11:12], -v[97:98]
	ds_read2_b64 v[97:100], v125 offset0:64 offset1:65
	s_waitcnt lgkmcnt(0)
	v_mul_f64 v[15:16], v[99:100], v[101:102]
	v_fma_f64 v[15:16], v[97:98], v[13:14], -v[15:16]
	v_mul_f64 v[97:98], v[97:98], v[101:102]
	v_add_f64 v[5:6], v[5:6], -v[15:16]
	v_fma_f64 v[97:98], v[99:100], v[13:14], v[97:98]
	v_add_f64 v[7:8], v[7:8], -v[97:98]
	ds_read2_b64 v[97:100], v125 offset0:66 offset1:67
	;; [unrolled: 8-line block ×3, first 2 shown]
	s_waitcnt lgkmcnt(0)
	v_mul_f64 v[15:16], v[99:100], v[101:102]
	v_fma_f64 v[15:16], v[97:98], v[13:14], -v[15:16]
	v_mul_f64 v[97:98], v[97:98], v[101:102]
	v_add_f64 v[121:122], v[121:122], -v[15:16]
	v_fma_f64 v[97:98], v[99:100], v[13:14], v[97:98]
	v_mov_b32_e32 v15, v101
	v_mov_b32_e32 v16, v102
	v_add_f64 v[123:124], v[123:124], -v[97:98]
.LBB69_280:
	s_or_b64 exec, exec, s[2:3]
	v_cmp_eq_u32_e32 vcc, 31, v0
	s_waitcnt lgkmcnt(0)
	s_barrier
	s_and_saveexec_b64 s[4:5], vcc
	s_cbranch_execz .LBB69_287
; %bb.281:
	ds_write2_b64 v127, v[9:10], v[11:12] offset1:1
	ds_write2_b64 v125, v[5:6], v[7:8] offset0:64 offset1:65
	ds_write2_b64 v125, v[1:2], v[3:4] offset0:66 offset1:67
	;; [unrolled: 1-line block ×3, first 2 shown]
	ds_read2_b64 v[97:100], v127 offset1:1
	s_waitcnt lgkmcnt(0)
	v_cmp_neq_f64_e32 vcc, 0, v[97:98]
	v_cmp_neq_f64_e64 s[2:3], 0, v[99:100]
	s_or_b64 s[2:3], vcc, s[2:3]
	s_and_b64 exec, exec, s[2:3]
	s_cbranch_execz .LBB69_287
; %bb.282:
	v_cmp_ngt_f64_e64 s[2:3], |v[97:98]|, |v[99:100]|
                                        ; implicit-def: $vgpr101_vgpr102
	s_and_saveexec_b64 s[6:7], s[2:3]
	s_xor_b64 s[2:3], exec, s[6:7]
                                        ; implicit-def: $vgpr103_vgpr104
	s_cbranch_execz .LBB69_284
; %bb.283:
	v_div_scale_f64 v[101:102], s[6:7], v[99:100], v[99:100], v[97:98]
	v_mov_b32_e32 v81, v105
	v_mov_b32_e32 v82, v106
	;; [unrolled: 1-line block ×4, first 2 shown]
	v_rcp_f64_e32 v[103:104], v[101:102]
	v_fma_f64 v[105:106], -v[101:102], v[103:104], 1.0
	v_fma_f64 v[103:104], v[103:104], v[105:106], v[103:104]
	v_div_scale_f64 v[105:106], vcc, v[97:98], v[99:100], v[97:98]
	v_fma_f64 v[107:108], -v[101:102], v[103:104], 1.0
	v_fma_f64 v[103:104], v[103:104], v[107:108], v[103:104]
	v_mul_f64 v[107:108], v[105:106], v[103:104]
	v_fma_f64 v[101:102], -v[101:102], v[107:108], v[105:106]
	v_div_fmas_f64 v[101:102], v[101:102], v[103:104], v[107:108]
	v_div_fixup_f64 v[101:102], v[101:102], v[99:100], v[97:98]
	v_fma_f64 v[97:98], v[97:98], v[101:102], v[99:100]
	v_div_scale_f64 v[99:100], s[6:7], v[97:98], v[97:98], 1.0
	v_div_scale_f64 v[107:108], vcc, 1.0, v[97:98], 1.0
	v_rcp_f64_e32 v[103:104], v[99:100]
	v_fma_f64 v[105:106], -v[99:100], v[103:104], 1.0
	v_fma_f64 v[103:104], v[103:104], v[105:106], v[103:104]
	v_fma_f64 v[105:106], -v[99:100], v[103:104], 1.0
	v_fma_f64 v[103:104], v[103:104], v[105:106], v[103:104]
	v_mul_f64 v[105:106], v[107:108], v[103:104]
	v_fma_f64 v[99:100], -v[99:100], v[105:106], v[107:108]
	v_div_fmas_f64 v[99:100], v[99:100], v[103:104], v[105:106]
	v_mov_b32_e32 v108, v84
	v_mov_b32_e32 v107, v83
	;; [unrolled: 1-line block ×4, first 2 shown]
	v_div_fixup_f64 v[103:104], v[99:100], v[97:98], 1.0
                                        ; implicit-def: $vgpr97_vgpr98
	v_mul_f64 v[101:102], v[101:102], v[103:104]
	v_xor_b32_e32 v104, 0x80000000, v104
.LBB69_284:
	s_andn2_saveexec_b64 s[2:3], s[2:3]
	s_cbranch_execz .LBB69_286
; %bb.285:
	v_div_scale_f64 v[101:102], s[6:7], v[97:98], v[97:98], v[99:100]
	v_mov_b32_e32 v81, v105
	v_mov_b32_e32 v82, v106
	;; [unrolled: 1-line block ×4, first 2 shown]
	v_rcp_f64_e32 v[103:104], v[101:102]
	v_fma_f64 v[105:106], -v[101:102], v[103:104], 1.0
	v_fma_f64 v[103:104], v[103:104], v[105:106], v[103:104]
	v_div_scale_f64 v[105:106], vcc, v[99:100], v[97:98], v[99:100]
	v_fma_f64 v[107:108], -v[101:102], v[103:104], 1.0
	v_fma_f64 v[103:104], v[103:104], v[107:108], v[103:104]
	v_mul_f64 v[107:108], v[105:106], v[103:104]
	v_fma_f64 v[101:102], -v[101:102], v[107:108], v[105:106]
	v_div_fmas_f64 v[101:102], v[101:102], v[103:104], v[107:108]
	v_div_fixup_f64 v[103:104], v[101:102], v[97:98], v[99:100]
	v_fma_f64 v[97:98], v[99:100], v[103:104], v[97:98]
	v_div_scale_f64 v[99:100], s[6:7], v[97:98], v[97:98], 1.0
	v_div_scale_f64 v[107:108], vcc, 1.0, v[97:98], 1.0
	v_rcp_f64_e32 v[101:102], v[99:100]
	v_fma_f64 v[105:106], -v[99:100], v[101:102], 1.0
	v_fma_f64 v[101:102], v[101:102], v[105:106], v[101:102]
	v_fma_f64 v[105:106], -v[99:100], v[101:102], 1.0
	v_fma_f64 v[101:102], v[101:102], v[105:106], v[101:102]
	v_mul_f64 v[105:106], v[107:108], v[101:102]
	v_fma_f64 v[99:100], -v[99:100], v[105:106], v[107:108]
	v_div_fmas_f64 v[99:100], v[99:100], v[101:102], v[105:106]
	v_mov_b32_e32 v108, v84
	v_mov_b32_e32 v107, v83
	;; [unrolled: 1-line block ×4, first 2 shown]
	v_div_fixup_f64 v[101:102], v[99:100], v[97:98], 1.0
	v_mul_f64 v[103:104], v[103:104], -v[101:102]
.LBB69_286:
	s_or_b64 exec, exec, s[2:3]
	ds_write2_b64 v127, v[101:102], v[103:104] offset1:1
.LBB69_287:
	s_or_b64 exec, exec, s[4:5]
	s_waitcnt lgkmcnt(0)
	s_barrier
	ds_read2_b64 v[85:88], v127 offset1:1
	v_cmp_lt_u32_e32 vcc, 31, v0
	s_and_saveexec_b64 s[2:3], vcc
	s_cbranch_execz .LBB69_289
; %bb.288:
	s_waitcnt lgkmcnt(0)
	v_mul_f64 v[97:98], v[85:86], v[11:12]
	v_mul_f64 v[11:12], v[87:88], v[11:12]
	v_fma_f64 v[101:102], v[87:88], v[9:10], v[97:98]
	ds_read2_b64 v[97:100], v125 offset0:64 offset1:65
	v_fma_f64 v[9:10], v[85:86], v[9:10], -v[11:12]
	s_waitcnt lgkmcnt(0)
	v_mul_f64 v[11:12], v[99:100], v[101:102]
	v_fma_f64 v[11:12], v[97:98], v[9:10], -v[11:12]
	v_mul_f64 v[97:98], v[97:98], v[101:102]
	v_add_f64 v[5:6], v[5:6], -v[11:12]
	v_fma_f64 v[97:98], v[99:100], v[9:10], v[97:98]
	v_add_f64 v[7:8], v[7:8], -v[97:98]
	ds_read2_b64 v[97:100], v125 offset0:66 offset1:67
	s_waitcnt lgkmcnt(0)
	v_mul_f64 v[11:12], v[99:100], v[101:102]
	v_fma_f64 v[11:12], v[97:98], v[9:10], -v[11:12]
	v_mul_f64 v[97:98], v[97:98], v[101:102]
	v_add_f64 v[1:2], v[1:2], -v[11:12]
	v_fma_f64 v[97:98], v[99:100], v[9:10], v[97:98]
	v_add_f64 v[3:4], v[3:4], -v[97:98]
	ds_read2_b64 v[97:100], v125 offset0:68 offset1:69
	s_waitcnt lgkmcnt(0)
	v_mul_f64 v[11:12], v[99:100], v[101:102]
	v_fma_f64 v[11:12], v[97:98], v[9:10], -v[11:12]
	v_mul_f64 v[97:98], v[97:98], v[101:102]
	v_add_f64 v[121:122], v[121:122], -v[11:12]
	v_fma_f64 v[97:98], v[99:100], v[9:10], v[97:98]
	v_mov_b32_e32 v11, v101
	v_mov_b32_e32 v12, v102
	v_add_f64 v[123:124], v[123:124], -v[97:98]
.LBB69_289:
	s_or_b64 exec, exec, s[2:3]
	v_cmp_eq_u32_e32 vcc, 32, v0
	s_waitcnt lgkmcnt(0)
	s_barrier
	s_and_saveexec_b64 s[4:5], vcc
	s_cbranch_execz .LBB69_296
; %bb.290:
	ds_write2_b64 v127, v[5:6], v[7:8] offset1:1
	ds_write2_b64 v125, v[1:2], v[3:4] offset0:66 offset1:67
	ds_write2_b64 v125, v[121:122], v[123:124] offset0:68 offset1:69
	ds_read2_b64 v[97:100], v127 offset1:1
	s_waitcnt lgkmcnt(0)
	v_cmp_neq_f64_e32 vcc, 0, v[97:98]
	v_cmp_neq_f64_e64 s[2:3], 0, v[99:100]
	s_or_b64 s[2:3], vcc, s[2:3]
	s_and_b64 exec, exec, s[2:3]
	s_cbranch_execz .LBB69_296
; %bb.291:
	v_cmp_ngt_f64_e64 s[2:3], |v[97:98]|, |v[99:100]|
                                        ; implicit-def: $vgpr101_vgpr102
	s_and_saveexec_b64 s[6:7], s[2:3]
	s_xor_b64 s[2:3], exec, s[6:7]
                                        ; implicit-def: $vgpr103_vgpr104
	s_cbranch_execz .LBB69_293
; %bb.292:
	v_div_scale_f64 v[101:102], s[6:7], v[99:100], v[99:100], v[97:98]
	v_rcp_f64_e32 v[103:104], v[101:102]
	v_fma_f64 v[117:118], -v[101:102], v[103:104], 1.0
	v_fma_f64 v[103:104], v[103:104], v[117:118], v[103:104]
	v_div_scale_f64 v[117:118], vcc, v[97:98], v[99:100], v[97:98]
	v_fma_f64 v[119:120], -v[101:102], v[103:104], 1.0
	v_fma_f64 v[103:104], v[103:104], v[119:120], v[103:104]
	v_mul_f64 v[119:120], v[117:118], v[103:104]
	v_fma_f64 v[101:102], -v[101:102], v[119:120], v[117:118]
	v_div_fmas_f64 v[101:102], v[101:102], v[103:104], v[119:120]
	v_div_fixup_f64 v[101:102], v[101:102], v[99:100], v[97:98]
	v_fma_f64 v[97:98], v[97:98], v[101:102], v[99:100]
	v_div_scale_f64 v[99:100], s[6:7], v[97:98], v[97:98], 1.0
	v_div_scale_f64 v[119:120], vcc, 1.0, v[97:98], 1.0
	v_rcp_f64_e32 v[103:104], v[99:100]
	v_fma_f64 v[117:118], -v[99:100], v[103:104], 1.0
	v_fma_f64 v[103:104], v[103:104], v[117:118], v[103:104]
	v_fma_f64 v[117:118], -v[99:100], v[103:104], 1.0
	v_fma_f64 v[103:104], v[103:104], v[117:118], v[103:104]
	v_mul_f64 v[117:118], v[119:120], v[103:104]
	v_fma_f64 v[99:100], -v[99:100], v[117:118], v[119:120]
	v_div_fmas_f64 v[99:100], v[99:100], v[103:104], v[117:118]
	v_div_fixup_f64 v[103:104], v[99:100], v[97:98], 1.0
                                        ; implicit-def: $vgpr97_vgpr98
	v_mul_f64 v[101:102], v[101:102], v[103:104]
	v_xor_b32_e32 v104, 0x80000000, v104
.LBB69_293:
	s_andn2_saveexec_b64 s[2:3], s[2:3]
	s_cbranch_execz .LBB69_295
; %bb.294:
	v_div_scale_f64 v[101:102], s[6:7], v[97:98], v[97:98], v[99:100]
	v_rcp_f64_e32 v[103:104], v[101:102]
	v_fma_f64 v[117:118], -v[101:102], v[103:104], 1.0
	v_fma_f64 v[103:104], v[103:104], v[117:118], v[103:104]
	v_div_scale_f64 v[117:118], vcc, v[99:100], v[97:98], v[99:100]
	v_fma_f64 v[119:120], -v[101:102], v[103:104], 1.0
	v_fma_f64 v[103:104], v[103:104], v[119:120], v[103:104]
	v_mul_f64 v[119:120], v[117:118], v[103:104]
	v_fma_f64 v[101:102], -v[101:102], v[119:120], v[117:118]
	v_div_fmas_f64 v[101:102], v[101:102], v[103:104], v[119:120]
	v_div_fixup_f64 v[103:104], v[101:102], v[97:98], v[99:100]
	v_fma_f64 v[97:98], v[99:100], v[103:104], v[97:98]
	v_div_scale_f64 v[99:100], s[6:7], v[97:98], v[97:98], 1.0
	v_div_scale_f64 v[119:120], vcc, 1.0, v[97:98], 1.0
	v_rcp_f64_e32 v[101:102], v[99:100]
	v_fma_f64 v[117:118], -v[99:100], v[101:102], 1.0
	v_fma_f64 v[101:102], v[101:102], v[117:118], v[101:102]
	v_fma_f64 v[117:118], -v[99:100], v[101:102], 1.0
	v_fma_f64 v[101:102], v[101:102], v[117:118], v[101:102]
	v_mul_f64 v[117:118], v[119:120], v[101:102]
	v_fma_f64 v[99:100], -v[99:100], v[117:118], v[119:120]
	v_div_fmas_f64 v[99:100], v[99:100], v[101:102], v[117:118]
	v_div_fixup_f64 v[101:102], v[99:100], v[97:98], 1.0
	v_mul_f64 v[103:104], v[103:104], -v[101:102]
.LBB69_295:
	s_or_b64 exec, exec, s[2:3]
	ds_write2_b64 v127, v[101:102], v[103:104] offset1:1
.LBB69_296:
	s_or_b64 exec, exec, s[4:5]
	s_waitcnt lgkmcnt(0)
	s_barrier
	ds_read2_b64 v[101:104], v127 offset1:1
	v_cmp_lt_u32_e32 vcc, 32, v0
	s_and_saveexec_b64 s[2:3], vcc
	s_cbranch_execz .LBB69_298
; %bb.297:
	s_waitcnt lgkmcnt(0)
	v_mul_f64 v[97:98], v[101:102], v[7:8]
	v_mul_f64 v[7:8], v[103:104], v[7:8]
	v_fma_f64 v[117:118], v[103:104], v[5:6], v[97:98]
	ds_read2_b64 v[97:100], v125 offset0:66 offset1:67
	v_fma_f64 v[5:6], v[101:102], v[5:6], -v[7:8]
	s_waitcnt lgkmcnt(0)
	v_mul_f64 v[7:8], v[99:100], v[117:118]
	v_fma_f64 v[7:8], v[97:98], v[5:6], -v[7:8]
	v_mul_f64 v[97:98], v[97:98], v[117:118]
	v_add_f64 v[1:2], v[1:2], -v[7:8]
	v_fma_f64 v[97:98], v[99:100], v[5:6], v[97:98]
	v_add_f64 v[3:4], v[3:4], -v[97:98]
	ds_read2_b64 v[97:100], v125 offset0:68 offset1:69
	s_waitcnt lgkmcnt(0)
	v_mul_f64 v[7:8], v[99:100], v[117:118]
	v_fma_f64 v[7:8], v[97:98], v[5:6], -v[7:8]
	v_mul_f64 v[97:98], v[97:98], v[117:118]
	v_add_f64 v[121:122], v[121:122], -v[7:8]
	v_fma_f64 v[97:98], v[99:100], v[5:6], v[97:98]
	v_mov_b32_e32 v7, v117
	v_mov_b32_e32 v8, v118
	v_add_f64 v[123:124], v[123:124], -v[97:98]
.LBB69_298:
	s_or_b64 exec, exec, s[2:3]
	v_cmp_eq_u32_e32 vcc, 33, v0
	s_waitcnt lgkmcnt(0)
	s_barrier
	s_and_saveexec_b64 s[4:5], vcc
	s_cbranch_execz .LBB69_305
; %bb.299:
	ds_write2_b64 v127, v[1:2], v[3:4] offset1:1
	ds_write2_b64 v125, v[121:122], v[123:124] offset0:68 offset1:69
	ds_read2_b64 v[97:100], v127 offset1:1
	s_waitcnt lgkmcnt(0)
	v_cmp_neq_f64_e32 vcc, 0, v[97:98]
	v_cmp_neq_f64_e64 s[2:3], 0, v[99:100]
	s_or_b64 s[2:3], vcc, s[2:3]
	s_and_b64 exec, exec, s[2:3]
	s_cbranch_execz .LBB69_305
; %bb.300:
	v_cmp_ngt_f64_e64 s[2:3], |v[97:98]|, |v[99:100]|
                                        ; implicit-def: $vgpr117_vgpr118
	s_and_saveexec_b64 s[6:7], s[2:3]
	s_xor_b64 s[2:3], exec, s[6:7]
                                        ; implicit-def: $vgpr119_vgpr120
	s_cbranch_execz .LBB69_302
; %bb.301:
	v_div_scale_f64 v[117:118], s[6:7], v[99:100], v[99:100], v[97:98]
	v_mov_b32_e32 v84, v80
	v_mov_b32_e32 v83, v79
	;; [unrolled: 1-line block ×8, first 2 shown]
	v_div_scale_f64 v[95:96], vcc, v[97:98], v[99:100], v[97:98]
	v_rcp_f64_e32 v[119:120], v[117:118]
	v_fma_f64 v[93:94], -v[117:118], v[119:120], 1.0
	v_fma_f64 v[93:94], v[119:120], v[93:94], v[119:120]
	v_fma_f64 v[119:120], -v[117:118], v[93:94], 1.0
	v_fma_f64 v[93:94], v[93:94], v[119:120], v[93:94]
	v_mul_f64 v[119:120], v[95:96], v[93:94]
	v_fma_f64 v[95:96], -v[117:118], v[119:120], v[95:96]
	v_div_fmas_f64 v[93:94], v[95:96], v[93:94], v[119:120]
	v_div_fixup_f64 v[93:94], v[93:94], v[99:100], v[97:98]
	v_fma_f64 v[95:96], v[97:98], v[93:94], v[99:100]
	v_div_scale_f64 v[97:98], s[6:7], v[95:96], v[95:96], 1.0
	v_div_scale_f64 v[119:120], vcc, 1.0, v[95:96], 1.0
	v_rcp_f64_e32 v[99:100], v[97:98]
	v_fma_f64 v[117:118], -v[97:98], v[99:100], 1.0
	v_fma_f64 v[99:100], v[99:100], v[117:118], v[99:100]
	v_fma_f64 v[117:118], -v[97:98], v[99:100], 1.0
	v_fma_f64 v[99:100], v[99:100], v[117:118], v[99:100]
	v_mul_f64 v[117:118], v[119:120], v[99:100]
	v_fma_f64 v[97:98], -v[97:98], v[117:118], v[119:120]
	v_div_fmas_f64 v[97:98], v[97:98], v[99:100], v[117:118]
	v_div_fixup_f64 v[119:120], v[97:98], v[95:96], 1.0
                                        ; implicit-def: $vgpr97_vgpr98
	v_mul_f64 v[117:118], v[93:94], v[119:120]
	v_mov_b32_e32 v96, v80
	v_mov_b32_e32 v95, v79
	;; [unrolled: 1-line block ×8, first 2 shown]
	v_xor_b32_e32 v120, 0x80000000, v120
.LBB69_302:
	s_andn2_saveexec_b64 s[2:3], s[2:3]
	s_cbranch_execz .LBB69_304
; %bb.303:
	v_mov_b32_e32 v81, v93
	v_mov_b32_e32 v82, v94
	v_mov_b32_e32 v83, v95
	v_mov_b32_e32 v84, v96
	v_div_scale_f64 v[93:94], s[6:7], v[97:98], v[97:98], v[99:100]
	v_rcp_f64_e32 v[95:96], v[93:94]
	v_fma_f64 v[117:118], -v[93:94], v[95:96], 1.0
	v_fma_f64 v[95:96], v[95:96], v[117:118], v[95:96]
	v_div_scale_f64 v[117:118], vcc, v[99:100], v[97:98], v[99:100]
	v_fma_f64 v[119:120], -v[93:94], v[95:96], 1.0
	v_fma_f64 v[95:96], v[95:96], v[119:120], v[95:96]
	v_mul_f64 v[119:120], v[117:118], v[95:96]
	v_fma_f64 v[93:94], -v[93:94], v[119:120], v[117:118]
	v_div_fmas_f64 v[93:94], v[93:94], v[95:96], v[119:120]
	v_div_fixup_f64 v[93:94], v[93:94], v[97:98], v[99:100]
	v_fma_f64 v[95:96], v[99:100], v[93:94], v[97:98]
	v_div_scale_f64 v[97:98], s[6:7], v[95:96], v[95:96], 1.0
	v_div_scale_f64 v[119:120], vcc, 1.0, v[95:96], 1.0
	v_rcp_f64_e32 v[99:100], v[97:98]
	v_fma_f64 v[117:118], -v[97:98], v[99:100], 1.0
	v_fma_f64 v[99:100], v[99:100], v[117:118], v[99:100]
	v_fma_f64 v[117:118], -v[97:98], v[99:100], 1.0
	v_fma_f64 v[99:100], v[99:100], v[117:118], v[99:100]
	v_mul_f64 v[117:118], v[119:120], v[99:100]
	v_fma_f64 v[97:98], -v[97:98], v[117:118], v[119:120]
	v_div_fmas_f64 v[97:98], v[97:98], v[99:100], v[117:118]
	v_div_fixup_f64 v[117:118], v[97:98], v[95:96], 1.0
	v_mul_f64 v[119:120], v[93:94], -v[117:118]
	v_mov_b32_e32 v96, v84
	v_mov_b32_e32 v95, v83
	;; [unrolled: 1-line block ×4, first 2 shown]
.LBB69_304:
	s_or_b64 exec, exec, s[2:3]
	ds_write2_b64 v127, v[117:118], v[119:120] offset1:1
.LBB69_305:
	s_or_b64 exec, exec, s[4:5]
	s_waitcnt lgkmcnt(0)
	s_barrier
	ds_read2_b64 v[109:112], v127 offset1:1
	v_cmp_lt_u32_e32 vcc, 33, v0
	s_and_saveexec_b64 s[2:3], vcc
	s_cbranch_execz .LBB69_307
; %bb.306:
	v_mov_b32_e32 v81, v93
	v_mov_b32_e32 v82, v94
	;; [unrolled: 1-line block ×4, first 2 shown]
	s_waitcnt lgkmcnt(0)
	v_mul_f64 v[93:94], v[109:110], v[3:4]
	v_mul_f64 v[3:4], v[111:112], v[3:4]
	ds_read2_b64 v[117:120], v125 offset0:68 offset1:69
	v_fma_f64 v[93:94], v[111:112], v[1:2], v[93:94]
	v_fma_f64 v[1:2], v[109:110], v[1:2], -v[3:4]
	s_waitcnt lgkmcnt(0)
	v_mul_f64 v[3:4], v[119:120], v[93:94]
	v_mul_f64 v[95:96], v[117:118], v[93:94]
	v_fma_f64 v[3:4], v[117:118], v[1:2], -v[3:4]
	v_fma_f64 v[95:96], v[119:120], v[1:2], v[95:96]
	v_add_f64 v[121:122], v[121:122], -v[3:4]
	v_add_f64 v[123:124], v[123:124], -v[95:96]
	v_mov_b32_e32 v3, v93
	v_mov_b32_e32 v4, v94
	;; [unrolled: 1-line block ×6, first 2 shown]
.LBB69_307:
	s_or_b64 exec, exec, s[2:3]
	v_cmp_eq_u32_e32 vcc, 34, v0
	s_waitcnt lgkmcnt(0)
	s_barrier
	s_and_saveexec_b64 s[4:5], vcc
	s_cbranch_execz .LBB69_314
; %bb.308:
	v_cmp_neq_f64_e32 vcc, 0, v[121:122]
	v_cmp_neq_f64_e64 s[2:3], 0, v[123:124]
	ds_write2_b64 v127, v[121:122], v[123:124] offset1:1
	s_or_b64 s[2:3], vcc, s[2:3]
	s_and_b64 exec, exec, s[2:3]
	s_cbranch_execz .LBB69_314
; %bb.309:
	v_cmp_ngt_f64_e64 s[2:3], |v[121:122]|, |v[123:124]|
                                        ; implicit-def: $vgpr117_vgpr118
	s_and_saveexec_b64 s[6:7], s[2:3]
	s_xor_b64 s[2:3], exec, s[6:7]
                                        ; implicit-def: $vgpr119_vgpr120
	s_cbranch_execz .LBB69_311
; %bb.310:
	v_mov_b32_e32 v81, v105
	v_mov_b32_e32 v82, v106
	v_mov_b32_e32 v83, v107
	v_mov_b32_e32 v84, v108
	v_mov_b32_e32 v108, v4
	v_mov_b32_e32 v107, v3
	v_mov_b32_e32 v106, v2
	v_mov_b32_e32 v105, v1
	v_mov_b32_e32 v1, v5
	v_mov_b32_e32 v2, v6
	v_mov_b32_e32 v3, v7
	v_mov_b32_e32 v4, v8
	v_mov_b32_e32 v5, v9
	v_mov_b32_e32 v6, v10
	v_mov_b32_e32 v7, v11
	v_mov_b32_e32 v8, v12
	v_mov_b32_e32 v9, v13
	v_mov_b32_e32 v10, v14
	v_mov_b32_e32 v11, v15
	v_mov_b32_e32 v12, v16
	v_mov_b32_e32 v13, v17
	v_mov_b32_e32 v14, v18
	v_mov_b32_e32 v15, v19
	v_mov_b32_e32 v16, v20
	v_mov_b32_e32 v17, v21
	v_mov_b32_e32 v18, v22
	v_mov_b32_e32 v19, v23
	v_mov_b32_e32 v20, v24
	v_mov_b32_e32 v21, v25
	v_mov_b32_e32 v22, v26
	v_mov_b32_e32 v23, v27
	v_mov_b32_e32 v24, v28
	v_mov_b32_e32 v25, v29
	v_mov_b32_e32 v26, v30
	v_mov_b32_e32 v27, v31
	v_mov_b32_e32 v28, v32
	v_mov_b32_e32 v29, v33
	v_mov_b32_e32 v30, v34
	v_mov_b32_e32 v31, v35
	v_mov_b32_e32 v32, v36
	v_mov_b32_e32 v33, v37
	v_mov_b32_e32 v34, v38
	v_mov_b32_e32 v35, v39
	v_mov_b32_e32 v36, v40
	v_mov_b32_e32 v37, v41
	v_mov_b32_e32 v38, v42
	v_mov_b32_e32 v39, v43
	v_mov_b32_e32 v40, v44
	v_mov_b32_e32 v41, v45
	v_mov_b32_e32 v42, v46
	v_mov_b32_e32 v43, v47
	v_mov_b32_e32 v44, v48
	v_mov_b32_e32 v45, v49
	v_mov_b32_e32 v46, v50
	v_mov_b32_e32 v47, v51
	v_mov_b32_e32 v48, v52
	v_mov_b32_e32 v49, v53
	v_mov_b32_e32 v50, v54
	v_mov_b32_e32 v51, v55
	v_mov_b32_e32 v52, v56
	v_mov_b32_e32 v53, v57
	v_mov_b32_e32 v54, v58
	v_mov_b32_e32 v55, v59
	v_mov_b32_e32 v56, v60
	v_mov_b32_e32 v57, v61
	v_mov_b32_e32 v58, v62
	v_mov_b32_e32 v59, v63
	v_mov_b32_e32 v60, v64
	v_mov_b32_e32 v61, v65
	v_mov_b32_e32 v62, v66
	v_mov_b32_e32 v63, v67
	v_mov_b32_e32 v64, v68
	v_mov_b32_e32 v65, v69
	v_mov_b32_e32 v66, v70
	v_mov_b32_e32 v67, v71
	v_mov_b32_e32 v68, v72
	v_mov_b32_e32 v69, v73
	v_mov_b32_e32 v70, v74
	v_mov_b32_e32 v71, v75
	v_mov_b32_e32 v72, v76
	v_mov_b32_e32 v73, v113
	v_mov_b32_e32 v74, v114
	v_mov_b32_e32 v75, v115
	v_mov_b32_e32 v76, v116
	v_mov_b32_e32 v116, v80
	v_mov_b32_e32 v115, v79
	v_mov_b32_e32 v114, v78
	v_mov_b32_e32 v113, v77
	v_mov_b32_e32 v77, v93
	v_mov_b32_e32 v78, v94
	v_mov_b32_e32 v79, v95
	v_mov_b32_e32 v80, v96
	v_div_scale_f64 v[93:94], s[6:7], v[123:124], v[123:124], v[121:122]
	v_mov_b32_e32 v97, v101
	v_mov_b32_e32 v98, v102
	;; [unrolled: 1-line block ×8, first 2 shown]
	v_rcp_f64_e32 v[95:96], v[93:94]
	v_fma_f64 v[117:118], -v[93:94], v[95:96], 1.0
	v_fma_f64 v[95:96], v[95:96], v[117:118], v[95:96]
	v_div_scale_f64 v[117:118], vcc, v[121:122], v[123:124], v[121:122]
	v_fma_f64 v[119:120], -v[93:94], v[95:96], 1.0
	v_fma_f64 v[95:96], v[95:96], v[119:120], v[95:96]
	v_mul_f64 v[119:120], v[117:118], v[95:96]
	v_fma_f64 v[93:94], -v[93:94], v[119:120], v[117:118]
	v_div_fmas_f64 v[93:94], v[93:94], v[95:96], v[119:120]
	v_div_fixup_f64 v[93:94], v[93:94], v[123:124], v[121:122]
	v_fma_f64 v[95:96], v[121:122], v[93:94], v[123:124]
	v_mov_b32_e32 v124, v88
	v_mov_b32_e32 v123, v87
	;; [unrolled: 1-line block ×6, first 2 shown]
	v_div_scale_f64 v[117:118], s[6:7], v[95:96], v[95:96], 1.0
	v_div_scale_f64 v[89:90], vcc, 1.0, v[95:96], 1.0
	v_rcp_f64_e32 v[119:120], v[117:118]
	v_fma_f64 v[125:126], -v[117:118], v[119:120], 1.0
	v_fma_f64 v[119:120], v[119:120], v[125:126], v[119:120]
	v_fma_f64 v[125:126], -v[117:118], v[119:120], 1.0
	v_fma_f64 v[91:92], v[119:120], v[125:126], v[119:120]
	v_mul_f64 v[119:120], v[89:90], v[91:92]
	v_fma_f64 v[89:90], -v[117:118], v[119:120], v[89:90]
	v_div_fmas_f64 v[89:90], v[89:90], v[91:92], v[119:120]
	v_mov_b32_e32 v92, v86
	v_mov_b32_e32 v91, v85
	;; [unrolled: 1-line block ×14, first 2 shown]
	v_div_fixup_f64 v[119:120], v[89:90], v[95:96], 1.0
	v_mul_f64 v[117:118], v[93:94], v[119:120]
	v_mov_b32_e32 v96, v80
	v_mov_b32_e32 v95, v79
	;; [unrolled: 1-line block ×92, first 2 shown]
	v_xor_b32_e32 v120, 0x80000000, v120
.LBB69_311:
	s_andn2_saveexec_b64 s[2:3], s[2:3]
	s_cbranch_execz .LBB69_313
; %bb.312:
	v_div_scale_f64 v[89:90], s[6:7], v[121:122], v[121:122], v[123:124]
	v_mov_b32_e32 v126, v92
	v_mov_b32_e32 v125, v91
	v_mov_b32_e32 v84, v80
	v_mov_b32_e32 v83, v79
	v_mov_b32_e32 v82, v78
	v_mov_b32_e32 v81, v77
	v_mov_b32_e32 v77, v93
	v_mov_b32_e32 v78, v94
	v_mov_b32_e32 v79, v95
	v_mov_b32_e32 v80, v96
	v_rcp_f64_e32 v[91:92], v[89:90]
	v_fma_f64 v[93:94], -v[89:90], v[91:92], 1.0
	v_fma_f64 v[91:92], v[91:92], v[93:94], v[91:92]
	v_div_scale_f64 v[93:94], vcc, v[123:124], v[121:122], v[123:124]
	v_fma_f64 v[95:96], -v[89:90], v[91:92], 1.0
	v_fma_f64 v[91:92], v[91:92], v[95:96], v[91:92]
	v_mul_f64 v[95:96], v[93:94], v[91:92]
	v_fma_f64 v[89:90], -v[89:90], v[95:96], v[93:94]
	v_div_fmas_f64 v[89:90], v[89:90], v[91:92], v[95:96]
	v_div_fixup_f64 v[89:90], v[89:90], v[121:122], v[123:124]
	v_fma_f64 v[91:92], v[123:124], v[89:90], v[121:122]
	v_div_scale_f64 v[93:94], s[6:7], v[91:92], v[91:92], 1.0
	v_div_scale_f64 v[119:120], vcc, 1.0, v[91:92], 1.0
	v_rcp_f64_e32 v[95:96], v[93:94]
	v_fma_f64 v[117:118], -v[93:94], v[95:96], 1.0
	v_fma_f64 v[95:96], v[95:96], v[117:118], v[95:96]
	v_fma_f64 v[117:118], -v[93:94], v[95:96], 1.0
	v_fma_f64 v[95:96], v[95:96], v[117:118], v[95:96]
	v_mul_f64 v[117:118], v[119:120], v[95:96]
	v_fma_f64 v[93:94], -v[93:94], v[117:118], v[119:120]
	v_div_fmas_f64 v[93:94], v[93:94], v[95:96], v[117:118]
	v_div_fixup_f64 v[117:118], v[93:94], v[91:92], 1.0
	v_mov_b32_e32 v96, v80
	v_mov_b32_e32 v95, v79
	;; [unrolled: 1-line block ×7, first 2 shown]
	v_mul_f64 v[119:120], v[89:90], -v[117:118]
	v_mov_b32_e32 v79, v83
	v_mov_b32_e32 v80, v84
	;; [unrolled: 1-line block ×3, first 2 shown]
.LBB69_313:
	s_or_b64 exec, exec, s[2:3]
	ds_write2_b64 v127, v[117:118], v[119:120] offset1:1
.LBB69_314:
	s_or_b64 exec, exec, s[4:5]
	s_waitcnt lgkmcnt(0)
	s_barrier
	ds_read2_b64 v[117:120], v127 offset1:1
	s_waitcnt lgkmcnt(0)
	s_barrier
	s_and_saveexec_b64 s[2:3], s[0:1]
	s_cbranch_execz .LBB69_317
; %bb.315:
	v_mov_b32_e32 v81, v85
	v_mov_b32_e32 v82, v86
	;; [unrolled: 1-line block ×8, first 2 shown]
	buffer_load_dword v105, off, s[20:23], 0 offset:456 ; 4-byte Folded Reload
	buffer_load_dword v106, off, s[20:23], 0 offset:460 ; 4-byte Folded Reload
	;; [unrolled: 1-line block ×4, first 2 shown]
	s_waitcnt vmcnt(2)
	v_cmp_eq_f64_e32 vcc, 0, v[105:106]
	s_waitcnt vmcnt(0)
	v_cmp_eq_f64_e64 s[0:1], 0, v[107:108]
	buffer_load_dword v105, off, s[20:23], 0 offset:472 ; 4-byte Folded Reload
	buffer_load_dword v106, off, s[20:23], 0 offset:476 ; 4-byte Folded Reload
	;; [unrolled: 1-line block ×4, first 2 shown]
	s_and_b64 s[4:5], vcc, s[0:1]
	v_cndmask_b32_e64 v89, 0, 1, s[4:5]
	s_waitcnt vmcnt(2)
	v_cmp_neq_f64_e32 vcc, 0, v[105:106]
	s_waitcnt vmcnt(0)
	v_cmp_neq_f64_e64 s[0:1], 0, v[107:108]
	buffer_load_dword v105, off, s[20:23], 0 offset:488 ; 4-byte Folded Reload
	buffer_load_dword v106, off, s[20:23], 0 offset:492 ; 4-byte Folded Reload
	;; [unrolled: 1-line block ×4, first 2 shown]
	s_or_b64 s[0:1], vcc, s[0:1]
	s_or_b64 vcc, s[0:1], s[4:5]
	v_cndmask_b32_e32 v89, 2, v89, vcc
	s_waitcnt vmcnt(2)
	v_cmp_eq_f64_e32 vcc, 0, v[105:106]
	s_waitcnt vmcnt(0)
	v_cmp_eq_f64_e64 s[0:1], 0, v[107:108]
	buffer_load_dword v105, off, s[20:23], 0 offset:504 ; 4-byte Folded Reload
	buffer_load_dword v106, off, s[20:23], 0 offset:508 ; 4-byte Folded Reload
	buffer_load_dword v107, off, s[20:23], 0 offset:512 ; 4-byte Folded Reload
	buffer_load_dword v108, off, s[20:23], 0 offset:516 ; 4-byte Folded Reload
	s_and_b64 s[0:1], vcc, s[0:1]
	v_cmp_eq_u32_e32 vcc, 0, v89
	s_and_b64 s[0:1], s[0:1], vcc
	v_cndmask_b32_e64 v89, v89, 3, s[0:1]
	s_waitcnt vmcnt(2)
	v_cmp_eq_f64_e32 vcc, 0, v[105:106]
	s_waitcnt vmcnt(0)
	v_cmp_eq_f64_e64 s[0:1], 0, v[107:108]
	buffer_load_dword v105, off, s[20:23], 0 offset:520 ; 4-byte Folded Reload
	buffer_load_dword v106, off, s[20:23], 0 offset:524 ; 4-byte Folded Reload
	buffer_load_dword v107, off, s[20:23], 0 offset:528 ; 4-byte Folded Reload
	buffer_load_dword v108, off, s[20:23], 0 offset:532 ; 4-byte Folded Reload
	s_and_b64 s[0:1], vcc, s[0:1]
	v_cmp_eq_u32_e32 vcc, 0, v89
	s_and_b64 s[0:1], s[0:1], vcc
	v_cndmask_b32_e64 v89, v89, 4, s[0:1]
	;; [unrolled: 12-line block ×27, first 2 shown]
	s_waitcnt vmcnt(2)
	v_cmp_eq_f64_e32 vcc, 0, v[105:106]
	s_waitcnt vmcnt(0)
	v_cmp_eq_f64_e64 s[0:1], 0, v[107:108]
	s_and_b64 s[0:1], vcc, s[0:1]
	v_cmp_eq_u32_e32 vcc, 0, v89
	s_and_b64 s[0:1], s[0:1], vcc
	v_cndmask_b32_e64 v89, v89, 30, s[0:1]
	v_cmp_eq_f64_e32 vcc, 0, v[85:86]
	v_cmp_eq_f64_e64 s[0:1], 0, v[87:88]
	s_and_b64 s[0:1], vcc, s[0:1]
	v_cmp_eq_u32_e32 vcc, 0, v89
	s_and_b64 s[0:1], s[0:1], vcc
	v_cmp_eq_f64_e32 vcc, 0, v[81:82]
	buffer_load_dword v81, off, s[20:23], 0 offset:944 ; 4-byte Folded Reload
	buffer_load_dword v82, off, s[20:23], 0 offset:948 ; 4-byte Folded Reload
	v_cndmask_b32_e64 v89, v89, 31, s[0:1]
	v_cmp_eq_f64_e64 s[0:1], 0, v[83:84]
	s_and_b64 s[0:1], vcc, s[0:1]
	v_cmp_eq_u32_e32 vcc, 0, v89
	s_and_b64 s[0:1], s[0:1], vcc
	v_cndmask_b32_e64 v89, v89, 32, s[0:1]
	v_cmp_eq_f64_e32 vcc, 0, v[101:102]
	v_cmp_eq_f64_e64 s[0:1], 0, v[103:104]
	s_and_b64 s[0:1], vcc, s[0:1]
	v_cmp_eq_u32_e32 vcc, 0, v89
	s_and_b64 s[0:1], s[0:1], vcc
	v_cndmask_b32_e64 v89, v89, 33, s[0:1]
	v_cmp_eq_f64_e32 vcc, 0, v[109:110]
	;; [unrolled: 6-line block ×3, first 2 shown]
	v_cmp_eq_f64_e64 s[0:1], 0, v[119:120]
	s_and_b64 s[0:1], vcc, s[0:1]
	v_cmp_eq_u32_e32 vcc, 0, v89
	s_and_b64 s[0:1], s[0:1], vcc
	v_cndmask_b32_e64 v99, v89, 35, s[0:1]
	v_cmp_ne_u32_e64 s[0:1], 0, v99
	s_waitcnt vmcnt(0)
	v_lshlrev_b64 v[89:90], 2, v[81:82]
	v_add_co_u32_e32 v97, vcc, s10, v89
	v_mov_b32_e32 v89, s11
	v_addc_co_u32_e32 v98, vcc, v89, v90, vcc
	global_load_dword v89, v[97:98], off
	s_waitcnt vmcnt(0)
	v_cmp_eq_u32_e32 vcc, 0, v89
	s_and_b64 s[0:1], vcc, s[0:1]
	s_and_b64 exec, exec, s[0:1]
	s_cbranch_execz .LBB69_317
; %bb.316:
	v_add_u32_e32 v89, s13, v99
	global_store_dword v[97:98], v89, off
.LBB69_317:
	s_or_b64 exec, exec, s[2:3]
	buffer_load_dword v87, off, s[20:23], 0 offset:440 ; 4-byte Folded Reload
	buffer_load_dword v88, off, s[20:23], 0 offset:444 ; 4-byte Folded Reload
	;; [unrolled: 1-line block ×6, first 2 shown]
	v_cmp_lt_u32_e32 vcc, 34, v0
	s_waitcnt vmcnt(0)
	global_store_dwordx4 v[87:88], v[97:100], off
	buffer_load_dword v87, off, s[20:23], 0 offset:448 ; 4-byte Folded Reload
	s_nop 0
	buffer_load_dword v88, off, s[20:23], 0 offset:452 ; 4-byte Folded Reload
	buffer_load_dword v97, off, s[20:23], 0 offset:160 ; 4-byte Folded Reload
	;; [unrolled: 1-line block ×5, first 2 shown]
	s_waitcnt vmcnt(0)
	global_store_dwordx4 v[87:88], v[97:100], off
	buffer_load_dword v87, off, s[20:23], 0 offset:144 ; 4-byte Folded Reload
	s_nop 0
	buffer_load_dword v88, off, s[20:23], 0 offset:148 ; 4-byte Folded Reload
	buffer_load_dword v89, off, s[20:23], 0 offset:152 ; 4-byte Folded Reload
	;; [unrolled: 1-line block ×3, first 2 shown]
	s_waitcnt vmcnt(0)
	global_store_dwordx4 v[91:92], v[87:90], off
	buffer_load_dword v87, off, s[20:23], 0 offset:192 ; 4-byte Folded Reload
	s_nop 0
	buffer_load_dword v88, off, s[20:23], 0 offset:196 ; 4-byte Folded Reload
	buffer_load_dword v89, off, s[20:23], 0 offset:128 ; 4-byte Folded Reload
	;; [unrolled: 1-line block ×5, first 2 shown]
	s_waitcnt vmcnt(0)
	global_store_dwordx4 v[87:88], v[89:92], off
	buffer_load_dword v87, off, s[20:23], 0 offset:112 ; 4-byte Folded Reload
	s_nop 0
	buffer_load_dword v88, off, s[20:23], 0 offset:116 ; 4-byte Folded Reload
	buffer_load_dword v89, off, s[20:23], 0 offset:120 ; 4-byte Folded Reload
	;; [unrolled: 1-line block ×5, first 2 shown]
	v_mul_f64 v[91:92], v[119:120], v[123:124]
	v_fma_f64 v[91:92], v[117:118], v[121:122], -v[91:92]
	v_cndmask_b32_e32 v98, v122, v92, vcc
	v_cndmask_b32_e32 v97, v121, v91, vcc
	s_waitcnt vmcnt(0)
	global_store_dwordx4 v[81:82], v[87:90], off
	buffer_load_dword v85, off, s[20:23], 0 offset:200 ; 4-byte Folded Reload
	buffer_load_dword v86, off, s[20:23], 0 offset:204 ; 4-byte Folded Reload
	s_nop 0
	buffer_load_dword v87, off, s[20:23], 0 offset:96 ; 4-byte Folded Reload
	buffer_load_dword v88, off, s[20:23], 0 offset:100 ; 4-byte Folded Reload
	;; [unrolled: 1-line block ×4, first 2 shown]
	s_waitcnt vmcnt(0)
	global_store_dwordx4 v[85:86], v[87:90], off
	buffer_load_dword v85, off, s[20:23], 0 offset:208 ; 4-byte Folded Reload
	s_nop 0
	buffer_load_dword v86, off, s[20:23], 0 offset:212 ; 4-byte Folded Reload
	buffer_load_dword v87, off, s[20:23], 0 offset:80 ; 4-byte Folded Reload
	;; [unrolled: 1-line block ×5, first 2 shown]
	s_waitcnt vmcnt(0)
	global_store_dwordx4 v[85:86], v[87:90], off
	buffer_load_dword v85, off, s[20:23], 0 offset:216 ; 4-byte Folded Reload
	s_nop 0
	buffer_load_dword v86, off, s[20:23], 0 offset:220 ; 4-byte Folded Reload
	buffer_load_dword v87, off, s[20:23], 0 offset:64 ; 4-byte Folded Reload
	;; [unrolled: 1-line block ×5, first 2 shown]
	s_waitcnt vmcnt(0)
	global_store_dwordx4 v[85:86], v[87:90], off
	s_nop 0
	v_mul_f64 v[89:90], v[117:118], v[123:124]
	v_fma_f64 v[89:90], v[119:120], v[121:122], v[89:90]
	v_cndmask_b32_e32 v100, v124, v90, vcc
	v_cndmask_b32_e32 v99, v123, v89, vcc
	buffer_load_dword v85, off, s[20:23], 0 offset:224 ; 4-byte Folded Reload
	buffer_load_dword v86, off, s[20:23], 0 offset:228 ; 4-byte Folded Reload
	;; [unrolled: 1-line block ×6, first 2 shown]
	s_waitcnt vmcnt(0)
	global_store_dwordx4 v[85:86], v[87:90], off
	buffer_load_dword v85, off, s[20:23], 0 offset:232 ; 4-byte Folded Reload
	s_nop 0
	buffer_load_dword v86, off, s[20:23], 0 offset:236 ; 4-byte Folded Reload
	buffer_load_dword v87, off, s[20:23], 0 offset:32 ; 4-byte Folded Reload
	;; [unrolled: 1-line block ×5, first 2 shown]
	s_waitcnt vmcnt(0)
	global_store_dwordx4 v[85:86], v[87:90], off
	buffer_load_dword v85, off, s[20:23], 0 offset:240 ; 4-byte Folded Reload
	s_nop 0
	buffer_load_dword v86, off, s[20:23], 0 offset:244 ; 4-byte Folded Reload
	buffer_load_dword v81, off, s[20:23], 0 offset:16 ; 4-byte Folded Reload
	;; [unrolled: 1-line block ×5, first 2 shown]
	s_waitcnt vmcnt(0)
	global_store_dwordx4 v[85:86], v[81:84], off
	buffer_load_dword v85, off, s[20:23], 0 offset:248 ; 4-byte Folded Reload
	s_nop 0
	buffer_load_dword v86, off, s[20:23], 0 offset:252 ; 4-byte Folded Reload
	buffer_load_dword v81, off, s[20:23], 0 ; 4-byte Folded Reload
	buffer_load_dword v82, off, s[20:23], 0 offset:4 ; 4-byte Folded Reload
	buffer_load_dword v83, off, s[20:23], 0 offset:8 ; 4-byte Folded Reload
	;; [unrolled: 1-line block ×3, first 2 shown]
	s_waitcnt vmcnt(0)
	global_store_dwordx4 v[85:86], v[81:84], off
	buffer_load_dword v85, off, s[20:23], 0 offset:256 ; 4-byte Folded Reload
	s_nop 0
	buffer_load_dword v86, off, s[20:23], 0 offset:260 ; 4-byte Folded Reload
	s_waitcnt vmcnt(0)
	global_store_dwordx4 v[85:86], v[113:116], off
	buffer_load_dword v85, off, s[20:23], 0 offset:264 ; 4-byte Folded Reload
	s_nop 0
	buffer_load_dword v86, off, s[20:23], 0 offset:268 ; 4-byte Folded Reload
	s_waitcnt vmcnt(0)
	global_store_dwordx4 v[85:86], v[93:96], off
	buffer_load_dword v81, off, s[20:23], 0 offset:272 ; 4-byte Folded Reload
	buffer_load_dword v82, off, s[20:23], 0 offset:276 ; 4-byte Folded Reload
	s_waitcnt vmcnt(0)
	global_store_dwordx4 v[81:82], v[77:80], off
	buffer_load_dword v77, off, s[20:23], 0 offset:280 ; 4-byte Folded Reload
	s_nop 0
	buffer_load_dword v78, off, s[20:23], 0 offset:284 ; 4-byte Folded Reload
	s_waitcnt vmcnt(0)
	global_store_dwordx4 v[77:78], v[73:76], off
	buffer_load_dword v73, off, s[20:23], 0 offset:288 ; 4-byte Folded Reload
	s_nop 0
	;; [unrolled: 5-line block ×20, first 2 shown]
	buffer_load_dword v1, off, s[20:23], 0 offset:428 ; 4-byte Folded Reload
	s_waitcnt vmcnt(0)
	global_store_dwordx4 v[0:1], v[97:100], off
.LBB69_318:
	s_endpgm
	.section	.rodata,"a",@progbits
	.p2align	6, 0x0
	.amdhsa_kernel _ZN9rocsolver6v33100L23getf2_npvt_small_kernelILi35E19rocblas_complex_numIdEiiPS3_EEvT1_T3_lS5_lPT2_S5_S5_
		.amdhsa_group_segment_fixed_size 0
		.amdhsa_private_segment_fixed_size 956
		.amdhsa_kernarg_size 312
		.amdhsa_user_sgpr_count 6
		.amdhsa_user_sgpr_private_segment_buffer 1
		.amdhsa_user_sgpr_dispatch_ptr 0
		.amdhsa_user_sgpr_queue_ptr 0
		.amdhsa_user_sgpr_kernarg_segment_ptr 1
		.amdhsa_user_sgpr_dispatch_id 0
		.amdhsa_user_sgpr_flat_scratch_init 0
		.amdhsa_user_sgpr_private_segment_size 0
		.amdhsa_uses_dynamic_stack 0
		.amdhsa_system_sgpr_private_segment_wavefront_offset 1
		.amdhsa_system_sgpr_workgroup_id_x 1
		.amdhsa_system_sgpr_workgroup_id_y 1
		.amdhsa_system_sgpr_workgroup_id_z 0
		.amdhsa_system_sgpr_workgroup_info 0
		.amdhsa_system_vgpr_workitem_id 1
		.amdhsa_next_free_vgpr 128
		.amdhsa_next_free_sgpr 24
		.amdhsa_reserve_vcc 1
		.amdhsa_reserve_flat_scratch 0
		.amdhsa_float_round_mode_32 0
		.amdhsa_float_round_mode_16_64 0
		.amdhsa_float_denorm_mode_32 3
		.amdhsa_float_denorm_mode_16_64 3
		.amdhsa_dx10_clamp 1
		.amdhsa_ieee_mode 1
		.amdhsa_fp16_overflow 0
		.amdhsa_exception_fp_ieee_invalid_op 0
		.amdhsa_exception_fp_denorm_src 0
		.amdhsa_exception_fp_ieee_div_zero 0
		.amdhsa_exception_fp_ieee_overflow 0
		.amdhsa_exception_fp_ieee_underflow 0
		.amdhsa_exception_fp_ieee_inexact 0
		.amdhsa_exception_int_div_zero 0
	.end_amdhsa_kernel
	.section	.text._ZN9rocsolver6v33100L23getf2_npvt_small_kernelILi35E19rocblas_complex_numIdEiiPS3_EEvT1_T3_lS5_lPT2_S5_S5_,"axG",@progbits,_ZN9rocsolver6v33100L23getf2_npvt_small_kernelILi35E19rocblas_complex_numIdEiiPS3_EEvT1_T3_lS5_lPT2_S5_S5_,comdat
.Lfunc_end69:
	.size	_ZN9rocsolver6v33100L23getf2_npvt_small_kernelILi35E19rocblas_complex_numIdEiiPS3_EEvT1_T3_lS5_lPT2_S5_S5_, .Lfunc_end69-_ZN9rocsolver6v33100L23getf2_npvt_small_kernelILi35E19rocblas_complex_numIdEiiPS3_EEvT1_T3_lS5_lPT2_S5_S5_
                                        ; -- End function
	.set _ZN9rocsolver6v33100L23getf2_npvt_small_kernelILi35E19rocblas_complex_numIdEiiPS3_EEvT1_T3_lS5_lPT2_S5_S5_.num_vgpr, 128
	.set _ZN9rocsolver6v33100L23getf2_npvt_small_kernelILi35E19rocblas_complex_numIdEiiPS3_EEvT1_T3_lS5_lPT2_S5_S5_.num_agpr, 0
	.set _ZN9rocsolver6v33100L23getf2_npvt_small_kernelILi35E19rocblas_complex_numIdEiiPS3_EEvT1_T3_lS5_lPT2_S5_S5_.numbered_sgpr, 24
	.set _ZN9rocsolver6v33100L23getf2_npvt_small_kernelILi35E19rocblas_complex_numIdEiiPS3_EEvT1_T3_lS5_lPT2_S5_S5_.num_named_barrier, 0
	.set _ZN9rocsolver6v33100L23getf2_npvt_small_kernelILi35E19rocblas_complex_numIdEiiPS3_EEvT1_T3_lS5_lPT2_S5_S5_.private_seg_size, 956
	.set _ZN9rocsolver6v33100L23getf2_npvt_small_kernelILi35E19rocblas_complex_numIdEiiPS3_EEvT1_T3_lS5_lPT2_S5_S5_.uses_vcc, 1
	.set _ZN9rocsolver6v33100L23getf2_npvt_small_kernelILi35E19rocblas_complex_numIdEiiPS3_EEvT1_T3_lS5_lPT2_S5_S5_.uses_flat_scratch, 0
	.set _ZN9rocsolver6v33100L23getf2_npvt_small_kernelILi35E19rocblas_complex_numIdEiiPS3_EEvT1_T3_lS5_lPT2_S5_S5_.has_dyn_sized_stack, 0
	.set _ZN9rocsolver6v33100L23getf2_npvt_small_kernelILi35E19rocblas_complex_numIdEiiPS3_EEvT1_T3_lS5_lPT2_S5_S5_.has_recursion, 0
	.set _ZN9rocsolver6v33100L23getf2_npvt_small_kernelILi35E19rocblas_complex_numIdEiiPS3_EEvT1_T3_lS5_lPT2_S5_S5_.has_indirect_call, 0
	.section	.AMDGPU.csdata,"",@progbits
; Kernel info:
; codeLenInByte = 78600
; TotalNumSgprs: 28
; NumVgprs: 128
; ScratchSize: 956
; MemoryBound: 1
; FloatMode: 240
; IeeeMode: 1
; LDSByteSize: 0 bytes/workgroup (compile time only)
; SGPRBlocks: 3
; VGPRBlocks: 31
; NumSGPRsForWavesPerEU: 28
; NumVGPRsForWavesPerEU: 128
; Occupancy: 2
; WaveLimiterHint : 0
; COMPUTE_PGM_RSRC2:SCRATCH_EN: 1
; COMPUTE_PGM_RSRC2:USER_SGPR: 6
; COMPUTE_PGM_RSRC2:TRAP_HANDLER: 0
; COMPUTE_PGM_RSRC2:TGID_X_EN: 1
; COMPUTE_PGM_RSRC2:TGID_Y_EN: 1
; COMPUTE_PGM_RSRC2:TGID_Z_EN: 0
; COMPUTE_PGM_RSRC2:TIDIG_COMP_CNT: 1
	.section	.text._ZN9rocsolver6v33100L18getf2_small_kernelILi36E19rocblas_complex_numIdEiiPS3_EEvT1_T3_lS5_lPS5_llPT2_S5_S5_S7_l,"axG",@progbits,_ZN9rocsolver6v33100L18getf2_small_kernelILi36E19rocblas_complex_numIdEiiPS3_EEvT1_T3_lS5_lPS5_llPT2_S5_S5_S7_l,comdat
	.globl	_ZN9rocsolver6v33100L18getf2_small_kernelILi36E19rocblas_complex_numIdEiiPS3_EEvT1_T3_lS5_lPS5_llPT2_S5_S5_S7_l ; -- Begin function _ZN9rocsolver6v33100L18getf2_small_kernelILi36E19rocblas_complex_numIdEiiPS3_EEvT1_T3_lS5_lPS5_llPT2_S5_S5_S7_l
	.p2align	8
	.type	_ZN9rocsolver6v33100L18getf2_small_kernelILi36E19rocblas_complex_numIdEiiPS3_EEvT1_T3_lS5_lPS5_llPT2_S5_S5_S7_l,@function
_ZN9rocsolver6v33100L18getf2_small_kernelILi36E19rocblas_complex_numIdEiiPS3_EEvT1_T3_lS5_lPS5_llPT2_S5_S5_S7_l: ; @_ZN9rocsolver6v33100L18getf2_small_kernelILi36E19rocblas_complex_numIdEiiPS3_EEvT1_T3_lS5_lPS5_llPT2_S5_S5_S7_l
; %bb.0:
	s_mov_b64 s[26:27], s[2:3]
	s_mov_b64 s[24:25], s[0:1]
	s_load_dword s0, s[4:5], 0x6c
	s_load_dwordx2 s[16:17], s[4:5], 0x48
	s_add_u32 s24, s24, s8
	s_addc_u32 s25, s25, 0
	s_waitcnt lgkmcnt(0)
	s_lshr_b32 s0, s0, 16
	s_mul_i32 s7, s7, s0
	v_add_u32_e32 v6, s7, v1
	v_cmp_gt_i32_e32 vcc, s16, v6
	s_and_saveexec_b64 s[0:1], vcc
	s_cbranch_execz .LBB70_757
; %bb.1:
	s_load_dwordx4 s[0:3], s[4:5], 0x50
	v_mov_b32_e32 v2, 0
	v_ashrrev_i32_e32 v7, 31, v6
	v_mov_b32_e32 v3, 0
	s_waitcnt lgkmcnt(0)
	s_cmp_eq_u64 s[0:1], 0
	s_cselect_b64 s[6:7], -1, 0
	s_and_b64 vcc, exec, s[6:7]
	s_cbranch_vccnz .LBB70_3
; %bb.2:
	v_mul_lo_u32 v4, s3, v6
	v_mul_lo_u32 v5, s2, v7
	v_mad_u64_u32 v[2:3], s[2:3], s2, v6, 0
	v_add3_u32 v3, v3, v5, v4
	v_lshlrev_b64 v[2:3], 2, v[2:3]
	v_mov_b32_e32 v4, s1
	v_add_co_u32_e32 v2, vcc, s0, v2
	v_addc_co_u32_e32 v3, vcc, v4, v3, vcc
.LBB70_3:
	buffer_store_dword v2, off, s[24:27], 0 offset:160 ; 4-byte Folded Spill
	s_nop 0
	buffer_store_dword v3, off, s[24:27], 0 offset:164 ; 4-byte Folded Spill
	s_load_dwordx8 s[8:15], s[4:5], 0x20
	s_load_dwordx4 s[20:23], s[4:5], 0x8
	s_load_dword s2, s[4:5], 0x18
	v_lshlrev_b32_e32 v50, 4, v0
	s_waitcnt lgkmcnt(0)
	v_mul_lo_u32 v4, s9, v6
	v_mul_lo_u32 v5, s8, v7
	buffer_store_dword v6, off, s[24:27], 0 offset:184 ; 4-byte Folded Spill
	s_nop 0
	buffer_store_dword v7, off, s[24:27], 0 offset:188 ; 4-byte Folded Spill
	s_add_i32 s16, s2, s2
	s_ashr_i32 s3, s2, 31
	v_mad_u64_u32 v[2:3], s[0:1], s8, v6, 0
	v_mov_b32_e32 v6, s21
	s_lshl_b64 s[0:1], s[22:23], 4
	v_add3_u32 v3, v3, v5, v4
	v_lshlrev_b64 v[2:3], 4, v[2:3]
	v_mov_b32_e32 v4, s1
	v_add_co_u32_e32 v2, vcc, s20, v2
	v_addc_co_u32_e32 v3, vcc, v6, v3, vcc
	v_add_co_u32_e32 v127, vcc, s0, v2
	v_addc_co_u32_e32 v97, vcc, v3, v4, vcc
	v_add_u32_e32 v4, s16, v0
	v_ashrrev_i32_e32 v5, 31, v4
	v_lshlrev_b64 v[2:3], 4, v[4:5]
	v_add_u32_e32 v6, s2, v4
	v_ashrrev_i32_e32 v7, 31, v6
	v_add_co_u32_e32 v2, vcc, v127, v2
	v_lshlrev_b64 v[4:5], 4, v[6:7]
	v_add_u32_e32 v8, s2, v6
	v_addc_co_u32_e32 v3, vcc, v97, v3, vcc
	v_ashrrev_i32_e32 v9, 31, v8
	v_add_co_u32_e32 v4, vcc, v127, v4
	v_lshlrev_b64 v[6:7], 4, v[8:9]
	v_add_u32_e32 v10, s2, v8
	v_addc_co_u32_e32 v5, vcc, v97, v5, vcc
	;; [unrolled: 5-line block ×21, first 2 shown]
	v_ashrrev_i32_e32 v47, 31, v46
	v_add_co_u32_e32 v44, vcc, v127, v44
	v_lshlrev_b64 v[47:48], 4, v[46:47]
	v_addc_co_u32_e32 v45, vcc, v97, v45, vcc
	v_add_u32_e32 v46, s2, v46
	v_add_co_u32_e32 v101, vcc, v127, v47
	v_ashrrev_i32_e32 v47, 31, v46
	v_addc_co_u32_e32 v102, vcc, v97, v48, vcc
	v_lshlrev_b64 v[47:48], 4, v[46:47]
	v_add_u32_e32 v46, s2, v46
	v_add_co_u32_e32 v103, vcc, v127, v47
	v_ashrrev_i32_e32 v47, 31, v46
	v_addc_co_u32_e32 v104, vcc, v97, v48, vcc
	v_lshlrev_b64 v[47:48], 4, v[46:47]
	;; [unrolled: 5-line block ×9, first 2 shown]
	v_add_u32_e32 v46, s2, v46
	v_add_co_u32_e32 v109, vcc, v127, v47
	v_ashrrev_i32_e32 v47, 31, v46
	s_lshl_b64 s[8:9], s[2:3], 4
	s_load_dword s3, s[4:5], 0x0
	v_addc_co_u32_e32 v110, vcc, v97, v48, vcc
	v_lshlrev_b64 v[47:48], 4, v[46:47]
	v_add_u32_e32 v46, s2, v46
	v_add_co_u32_e32 v111, vcc, v127, v47
	v_ashrrev_i32_e32 v47, 31, v46
	v_lshlrev_b64 v[46:47], 4, v[46:47]
	v_addc_co_u32_e32 v112, vcc, v97, v48, vcc
	s_waitcnt lgkmcnt(0)
	s_max_i32 s0, s3, 36
	v_add_co_u32_e32 v105, vcc, v127, v46
	v_mul_lo_u32 v99, s0, v1
	v_addc_co_u32_e32 v106, vcc, v97, v47, vcc
	v_add_co_u32_e32 v48, vcc, v127, v50
	v_addc_co_u32_e32 v49, vcc, 0, v97, vcc
	v_mov_b32_e32 v47, s9
	v_add_co_u32_e32 v46, vcc, s8, v48
	v_lshl_add_u32 v98, v99, 4, 0
	v_addc_co_u32_e32 v47, vcc, v49, v47, vcc
	v_add_u32_e32 v1, v98, v50
	global_load_dwordx4 v[48:51], v[48:49], off
	s_nop 0
	global_load_dwordx4 v[52:55], v[46:47], off
	s_waitcnt vmcnt(0)
	buffer_store_dword v52, off, s[24:27], 0 offset:144 ; 4-byte Folded Spill
	s_nop 0
	buffer_store_dword v53, off, s[24:27], 0 offset:148 ; 4-byte Folded Spill
	buffer_store_dword v54, off, s[24:27], 0 offset:152 ; 4-byte Folded Spill
	buffer_store_dword v55, off, s[24:27], 0 offset:156 ; 4-byte Folded Spill
	buffer_store_dword v48, off, s[24:27], 0 offset:168 ; 4-byte Folded Spill
	s_nop 0
	buffer_store_dword v49, off, s[24:27], 0 offset:172 ; 4-byte Folded Spill
	buffer_store_dword v50, off, s[24:27], 0 offset:176 ; 4-byte Folded Spill
	;; [unrolled: 1-line block ×3, first 2 shown]
	s_load_dwordx2 s[4:5], s[4:5], 0x40
	s_cmp_lt_i32 s3, 2
	v_lshlrev_b32_e32 v107, 4, v99
	ds_write2_b64 v1, v[48:49], v[50:51] offset1:1
	global_load_dwordx4 v[46:49], v[2:3], off
	s_waitcnt vmcnt(0)
	buffer_store_dword v46, off, s[24:27], 0 offset:128 ; 4-byte Folded Spill
	s_nop 0
	buffer_store_dword v47, off, s[24:27], 0 offset:132 ; 4-byte Folded Spill
	buffer_store_dword v48, off, s[24:27], 0 offset:136 ; 4-byte Folded Spill
	buffer_store_dword v49, off, s[24:27], 0 offset:140 ; 4-byte Folded Spill
	global_load_dwordx4 v[1:4], v[4:5], off
	s_waitcnt vmcnt(0)
	buffer_store_dword v1, off, s[24:27], 0 offset:112 ; 4-byte Folded Spill
	s_nop 0
	buffer_store_dword v2, off, s[24:27], 0 offset:116 ; 4-byte Folded Spill
	buffer_store_dword v3, off, s[24:27], 0 offset:120 ; 4-byte Folded Spill
	buffer_store_dword v4, off, s[24:27], 0 offset:124 ; 4-byte Folded Spill
	global_load_dwordx4 v[1:4], v[6:7], off
	s_waitcnt vmcnt(0)
	buffer_store_dword v1, off, s[24:27], 0 offset:96 ; 4-byte Folded Spill
	s_nop 0
	buffer_store_dword v2, off, s[24:27], 0 offset:100 ; 4-byte Folded Spill
	buffer_store_dword v3, off, s[24:27], 0 offset:104 ; 4-byte Folded Spill
	buffer_store_dword v4, off, s[24:27], 0 offset:108 ; 4-byte Folded Spill
	global_load_dwordx4 v[1:4], v[8:9], off
	s_waitcnt vmcnt(0)
	buffer_store_dword v1, off, s[24:27], 0 offset:80 ; 4-byte Folded Spill
	s_nop 0
	buffer_store_dword v2, off, s[24:27], 0 offset:84 ; 4-byte Folded Spill
	buffer_store_dword v3, off, s[24:27], 0 offset:88 ; 4-byte Folded Spill
	buffer_store_dword v4, off, s[24:27], 0 offset:92 ; 4-byte Folded Spill
	global_load_dwordx4 v[1:4], v[10:11], off
	s_waitcnt vmcnt(0)
	buffer_store_dword v1, off, s[24:27], 0 offset:64 ; 4-byte Folded Spill
	s_nop 0
	buffer_store_dword v2, off, s[24:27], 0 offset:68 ; 4-byte Folded Spill
	buffer_store_dword v3, off, s[24:27], 0 offset:72 ; 4-byte Folded Spill
	buffer_store_dword v4, off, s[24:27], 0 offset:76 ; 4-byte Folded Spill
	global_load_dwordx4 v[1:4], v[12:13], off
	s_waitcnt vmcnt(0)
	buffer_store_dword v1, off, s[24:27], 0 offset:48 ; 4-byte Folded Spill
	s_nop 0
	buffer_store_dword v2, off, s[24:27], 0 offset:52 ; 4-byte Folded Spill
	buffer_store_dword v3, off, s[24:27], 0 offset:56 ; 4-byte Folded Spill
	buffer_store_dword v4, off, s[24:27], 0 offset:60 ; 4-byte Folded Spill
	global_load_dwordx4 v[1:4], v[14:15], off
	s_waitcnt vmcnt(0)
	buffer_store_dword v1, off, s[24:27], 0 offset:32 ; 4-byte Folded Spill
	s_nop 0
	buffer_store_dword v2, off, s[24:27], 0 offset:36 ; 4-byte Folded Spill
	buffer_store_dword v3, off, s[24:27], 0 offset:40 ; 4-byte Folded Spill
	buffer_store_dword v4, off, s[24:27], 0 offset:44 ; 4-byte Folded Spill
	global_load_dwordx4 v[1:4], v[16:17], off
	s_waitcnt vmcnt(0)
	buffer_store_dword v1, off, s[24:27], 0 offset:16 ; 4-byte Folded Spill
	s_nop 0
	buffer_store_dword v2, off, s[24:27], 0 offset:20 ; 4-byte Folded Spill
	buffer_store_dword v3, off, s[24:27], 0 offset:24 ; 4-byte Folded Spill
	buffer_store_dword v4, off, s[24:27], 0 offset:28 ; 4-byte Folded Spill
	global_load_dwordx4 v[1:4], v[18:19], off
	s_waitcnt vmcnt(0)
	buffer_store_dword v1, off, s[24:27], 0 ; 4-byte Folded Spill
	s_nop 0
	buffer_store_dword v2, off, s[24:27], 0 offset:4 ; 4-byte Folded Spill
	buffer_store_dword v3, off, s[24:27], 0 offset:8 ; 4-byte Folded Spill
	;; [unrolled: 1-line block ×3, first 2 shown]
	global_load_dwordx4 v[93:96], v[20:21], off
	global_load_dwordx4 v[89:92], v[22:23], off
	;; [unrolled: 1-line block ×12, first 2 shown]
	s_nop 0
	global_load_dwordx4 v[45:48], v[44:45], off
	s_nop 0
	global_load_dwordx4 v[41:44], v[101:102], off
	global_load_dwordx4 v[37:40], v[103:104], off
	;; [unrolled: 1-line block ×12, first 2 shown]
	s_waitcnt vmcnt(0) lgkmcnt(0)
	s_barrier
	ds_read2_b64 v[121:124], v98 offset1:1
	v_mov_b32_e32 v105, 0
	s_cbranch_scc1 .LBB70_6
; %bb.4:
	v_add3_u32 v99, v107, 0, 16
	s_mov_b32 s0, 1
	v_mov_b32_e32 v105, 0
.LBB70_5:                               ; =>This Inner Loop Header: Depth=1
	s_waitcnt lgkmcnt(0)
	v_cmp_gt_f64_e32 vcc, 0, v[121:122]
	v_xor_b32_e32 v100, 0x80000000, v122
	ds_read2_b64 v[108:111], v99 offset1:1
	v_mov_b32_e32 v112, v121
	v_mov_b32_e32 v114, v123
	v_add_u32_e32 v99, 16, v99
	s_waitcnt lgkmcnt(0)
	v_mov_b32_e32 v116, v110
	v_cndmask_b32_e32 v113, v122, v100, vcc
	v_cmp_gt_f64_e32 vcc, 0, v[123:124]
	v_xor_b32_e32 v100, 0x80000000, v124
	v_cndmask_b32_e32 v115, v124, v100, vcc
	v_cmp_gt_f64_e32 vcc, 0, v[108:109]
	v_xor_b32_e32 v100, 0x80000000, v109
	v_add_f64 v[112:113], v[112:113], v[114:115]
	v_mov_b32_e32 v114, v108
	v_cndmask_b32_e32 v115, v109, v100, vcc
	v_cmp_gt_f64_e32 vcc, 0, v[110:111]
	v_xor_b32_e32 v100, 0x80000000, v111
	v_cndmask_b32_e32 v117, v111, v100, vcc
	v_add_f64 v[114:115], v[114:115], v[116:117]
	v_mov_b32_e32 v100, s0
	s_add_i32 s0, s0, 1
	s_cmp_eq_u32 s3, s0
	v_cmp_lt_f64_e32 vcc, v[112:113], v[114:115]
	v_cndmask_b32_e32 v122, v122, v109, vcc
	v_cndmask_b32_e32 v121, v121, v108, vcc
	;; [unrolled: 1-line block ×5, first 2 shown]
	s_cbranch_scc0 .LBB70_5
.LBB70_6:
	buffer_load_dword v119, off, s[24:27], 0 offset:160 ; 4-byte Folded Reload
	buffer_load_dword v120, off, s[24:27], 0 offset:164 ; 4-byte Folded Reload
	s_waitcnt lgkmcnt(0)
	v_cmp_neq_f64_e32 vcc, 0, v[121:122]
	v_cmp_neq_f64_e64 s[0:1], 0, v[123:124]
	v_mov_b32_e32 v99, 1
	v_mov_b32_e32 v108, 1
	s_or_b64 s[18:19], vcc, s[0:1]
	s_and_saveexec_b64 s[0:1], s[18:19]
	s_cbranch_execz .LBB70_12
; %bb.7:
	v_cmp_ngt_f64_e64 s[18:19], |v[121:122]|, |v[123:124]|
	s_and_saveexec_b64 s[20:21], s[18:19]
	s_xor_b64 s[18:19], exec, s[20:21]
	s_cbranch_execz .LBB70_9
; %bb.8:
	v_div_scale_f64 v[99:100], s[20:21], v[123:124], v[123:124], v[121:122]
	v_rcp_f64_e32 v[108:109], v[99:100]
	v_fma_f64 v[110:111], -v[99:100], v[108:109], 1.0
	v_fma_f64 v[108:109], v[108:109], v[110:111], v[108:109]
	v_div_scale_f64 v[110:111], vcc, v[121:122], v[123:124], v[121:122]
	v_fma_f64 v[112:113], -v[99:100], v[108:109], 1.0
	v_fma_f64 v[108:109], v[108:109], v[112:113], v[108:109]
	v_mul_f64 v[112:113], v[110:111], v[108:109]
	v_fma_f64 v[99:100], -v[99:100], v[112:113], v[110:111]
	v_div_fmas_f64 v[99:100], v[99:100], v[108:109], v[112:113]
	v_div_fixup_f64 v[99:100], v[99:100], v[123:124], v[121:122]
	v_fma_f64 v[108:109], v[121:122], v[99:100], v[123:124]
	v_div_scale_f64 v[110:111], s[20:21], v[108:109], v[108:109], 1.0
	v_div_scale_f64 v[116:117], vcc, 1.0, v[108:109], 1.0
	v_rcp_f64_e32 v[112:113], v[110:111]
	v_fma_f64 v[114:115], -v[110:111], v[112:113], 1.0
	v_fma_f64 v[112:113], v[112:113], v[114:115], v[112:113]
	v_fma_f64 v[114:115], -v[110:111], v[112:113], 1.0
	v_fma_f64 v[112:113], v[112:113], v[114:115], v[112:113]
	v_mul_f64 v[114:115], v[116:117], v[112:113]
	v_fma_f64 v[110:111], -v[110:111], v[114:115], v[116:117]
	v_div_fmas_f64 v[110:111], v[110:111], v[112:113], v[114:115]
	v_div_fixup_f64 v[123:124], v[110:111], v[108:109], 1.0
	v_mul_f64 v[121:122], v[99:100], v[123:124]
	v_xor_b32_e32 v124, 0x80000000, v124
.LBB70_9:
	s_andn2_saveexec_b64 s[18:19], s[18:19]
	s_cbranch_execz .LBB70_11
; %bb.10:
	v_div_scale_f64 v[99:100], s[20:21], v[121:122], v[121:122], v[123:124]
	v_rcp_f64_e32 v[108:109], v[99:100]
	v_fma_f64 v[110:111], -v[99:100], v[108:109], 1.0
	v_fma_f64 v[108:109], v[108:109], v[110:111], v[108:109]
	v_div_scale_f64 v[110:111], vcc, v[123:124], v[121:122], v[123:124]
	v_fma_f64 v[112:113], -v[99:100], v[108:109], 1.0
	v_fma_f64 v[108:109], v[108:109], v[112:113], v[108:109]
	v_mul_f64 v[112:113], v[110:111], v[108:109]
	v_fma_f64 v[99:100], -v[99:100], v[112:113], v[110:111]
	v_div_fmas_f64 v[99:100], v[99:100], v[108:109], v[112:113]
	v_div_fixup_f64 v[99:100], v[99:100], v[121:122], v[123:124]
	v_fma_f64 v[108:109], v[123:124], v[99:100], v[121:122]
	v_div_scale_f64 v[110:111], s[20:21], v[108:109], v[108:109], 1.0
	v_div_scale_f64 v[116:117], vcc, 1.0, v[108:109], 1.0
	v_rcp_f64_e32 v[112:113], v[110:111]
	v_fma_f64 v[114:115], -v[110:111], v[112:113], 1.0
	v_fma_f64 v[112:113], v[112:113], v[114:115], v[112:113]
	v_fma_f64 v[114:115], -v[110:111], v[112:113], 1.0
	v_fma_f64 v[112:113], v[112:113], v[114:115], v[112:113]
	v_mul_f64 v[114:115], v[116:117], v[112:113]
	v_fma_f64 v[110:111], -v[110:111], v[114:115], v[116:117]
	v_div_fmas_f64 v[110:111], v[110:111], v[112:113], v[114:115]
	v_div_fixup_f64 v[121:122], v[110:111], v[108:109], 1.0
	v_mul_f64 v[123:124], v[99:100], -v[121:122]
.LBB70_11:
	s_or_b64 exec, exec, s[18:19]
	v_mov_b32_e32 v108, 0
	v_mov_b32_e32 v99, 2
.LBB70_12:
	s_or_b64 exec, exec, s[0:1]
	v_cmp_ne_u32_e32 vcc, v0, v105
	s_and_saveexec_b64 s[0:1], vcc
	s_xor_b64 s[0:1], exec, s[0:1]
	s_cbranch_execz .LBB70_18
; %bb.13:
	v_cmp_eq_u32_e32 vcc, 0, v0
	s_and_saveexec_b64 s[18:19], vcc
	s_cbranch_execz .LBB70_17
; %bb.14:
	v_cmp_ne_u32_e32 vcc, 0, v105
	s_xor_b64 s[20:21], s[6:7], -1
	s_and_b64 s[22:23], s[20:21], vcc
	s_and_saveexec_b64 s[20:21], s[22:23]
	s_cbranch_execz .LBB70_16
; %bb.15:
	v_ashrrev_i32_e32 v106, 31, v105
	v_lshlrev_b64 v[109:110], 2, v[105:106]
	s_waitcnt vmcnt(1)
	v_add_co_u32_e32 v109, vcc, v119, v109
	s_waitcnt vmcnt(0)
	v_addc_co_u32_e32 v110, vcc, v120, v110, vcc
	global_load_dword v0, v[109:110], off
	global_load_dword v100, v[119:120], off
	s_waitcnt vmcnt(1)
	global_store_dword v[119:120], v0, off
	s_waitcnt vmcnt(1)
	global_store_dword v[109:110], v100, off
.LBB70_16:
	s_or_b64 exec, exec, s[20:21]
	v_mov_b32_e32 v0, v105
.LBB70_17:
	s_or_b64 exec, exec, s[18:19]
.LBB70_18:
	s_or_saveexec_b64 s[0:1], s[0:1]
	v_mov_b32_e32 v100, v0
	s_xor_b64 exec, exec, s[0:1]
	s_cbranch_execz .LBB70_20
; %bb.19:
	buffer_load_dword v109, off, s[24:27], 0 offset:144 ; 4-byte Folded Reload
	buffer_load_dword v110, off, s[24:27], 0 offset:148 ; 4-byte Folded Reload
	;; [unrolled: 1-line block ×4, first 2 shown]
	v_mov_b32_e32 v100, 0
	s_waitcnt vmcnt(0)
	ds_write2_b64 v98, v[109:110], v[111:112] offset0:2 offset1:3
	buffer_load_dword v109, off, s[24:27], 0 offset:128 ; 4-byte Folded Reload
	buffer_load_dword v110, off, s[24:27], 0 offset:132 ; 4-byte Folded Reload
	buffer_load_dword v111, off, s[24:27], 0 offset:136 ; 4-byte Folded Reload
	buffer_load_dword v112, off, s[24:27], 0 offset:140 ; 4-byte Folded Reload
	s_waitcnt vmcnt(0)
	ds_write2_b64 v98, v[109:110], v[111:112] offset0:4 offset1:5
	buffer_load_dword v109, off, s[24:27], 0 offset:112 ; 4-byte Folded Reload
	buffer_load_dword v110, off, s[24:27], 0 offset:116 ; 4-byte Folded Reload
	buffer_load_dword v111, off, s[24:27], 0 offset:120 ; 4-byte Folded Reload
	buffer_load_dword v112, off, s[24:27], 0 offset:124 ; 4-byte Folded Reload
	;; [unrolled: 6-line block ×8, first 2 shown]
	s_waitcnt vmcnt(0)
	ds_write2_b64 v98, v[109:110], v[111:112] offset0:18 offset1:19
	buffer_load_dword v109, off, s[24:27], 0 ; 4-byte Folded Reload
	buffer_load_dword v110, off, s[24:27], 0 offset:4 ; 4-byte Folded Reload
	buffer_load_dword v111, off, s[24:27], 0 offset:8 ; 4-byte Folded Reload
	;; [unrolled: 1-line block ×3, first 2 shown]
	s_waitcnt vmcnt(0)
	ds_write2_b64 v98, v[109:110], v[111:112] offset0:20 offset1:21
	ds_write2_b64 v98, v[93:94], v[95:96] offset0:22 offset1:23
	;; [unrolled: 1-line block ×26, first 2 shown]
.LBB70_20:
	s_or_b64 exec, exec, s[0:1]
	v_cmp_lt_i32_e32 vcc, 0, v100
	s_waitcnt vmcnt(0) lgkmcnt(0)
	s_barrier
	s_and_saveexec_b64 s[0:1], vcc
	s_cbranch_execz .LBB70_22
; %bb.21:
	buffer_load_dword v113, off, s[24:27], 0 offset:168 ; 4-byte Folded Reload
	buffer_load_dword v114, off, s[24:27], 0 offset:172 ; 4-byte Folded Reload
	;; [unrolled: 1-line block ×4, first 2 shown]
	ds_read2_b64 v[109:112], v98 offset0:2 offset1:3
	s_waitcnt vmcnt(0)
	v_mul_f64 v[105:106], v[123:124], v[115:116]
	v_fma_f64 v[125:126], v[121:122], v[113:114], -v[105:106]
	v_mul_f64 v[105:106], v[121:122], v[115:116]
	v_fma_f64 v[115:116], v[123:124], v[113:114], v[105:106]
	s_waitcnt lgkmcnt(0)
	v_mul_f64 v[105:106], v[111:112], v[115:116]
	v_fma_f64 v[105:106], v[109:110], v[125:126], -v[105:106]
	v_mul_f64 v[109:110], v[109:110], v[115:116]
	v_fma_f64 v[109:110], v[111:112], v[125:126], v[109:110]
	buffer_load_dword v111, off, s[24:27], 0 offset:144 ; 4-byte Folded Reload
	buffer_load_dword v112, off, s[24:27], 0 offset:148 ; 4-byte Folded Reload
	buffer_load_dword v113, off, s[24:27], 0 offset:152 ; 4-byte Folded Reload
	buffer_load_dword v114, off, s[24:27], 0 offset:156 ; 4-byte Folded Reload
	s_waitcnt vmcnt(2)
	v_add_f64 v[111:112], v[111:112], -v[105:106]
	s_waitcnt vmcnt(0)
	v_add_f64 v[113:114], v[113:114], -v[109:110]
	buffer_store_dword v111, off, s[24:27], 0 offset:144 ; 4-byte Folded Spill
	s_nop 0
	buffer_store_dword v112, off, s[24:27], 0 offset:148 ; 4-byte Folded Spill
	buffer_store_dword v113, off, s[24:27], 0 offset:152 ; 4-byte Folded Spill
	buffer_store_dword v114, off, s[24:27], 0 offset:156 ; 4-byte Folded Spill
	ds_read2_b64 v[109:112], v98 offset0:4 offset1:5
	s_waitcnt lgkmcnt(0)
	v_mul_f64 v[105:106], v[111:112], v[115:116]
	v_fma_f64 v[105:106], v[109:110], v[125:126], -v[105:106]
	v_mul_f64 v[109:110], v[109:110], v[115:116]
	v_fma_f64 v[109:110], v[111:112], v[125:126], v[109:110]
	buffer_load_dword v111, off, s[24:27], 0 offset:128 ; 4-byte Folded Reload
	buffer_load_dword v112, off, s[24:27], 0 offset:132 ; 4-byte Folded Reload
	buffer_load_dword v113, off, s[24:27], 0 offset:136 ; 4-byte Folded Reload
	buffer_load_dword v114, off, s[24:27], 0 offset:140 ; 4-byte Folded Reload
	s_waitcnt vmcnt(2)
	v_add_f64 v[111:112], v[111:112], -v[105:106]
	s_waitcnt vmcnt(0)
	v_add_f64 v[113:114], v[113:114], -v[109:110]
	buffer_store_dword v111, off, s[24:27], 0 offset:128 ; 4-byte Folded Spill
	s_nop 0
	buffer_store_dword v112, off, s[24:27], 0 offset:132 ; 4-byte Folded Spill
	buffer_store_dword v113, off, s[24:27], 0 offset:136 ; 4-byte Folded Spill
	buffer_store_dword v114, off, s[24:27], 0 offset:140 ; 4-byte Folded Spill
	ds_read2_b64 v[109:112], v98 offset0:6 offset1:7
	;; [unrolled: 19-line block ×9, first 2 shown]
	s_waitcnt lgkmcnt(0)
	v_mul_f64 v[105:106], v[111:112], v[115:116]
	v_fma_f64 v[105:106], v[109:110], v[125:126], -v[105:106]
	v_mul_f64 v[109:110], v[109:110], v[115:116]
	v_fma_f64 v[109:110], v[111:112], v[125:126], v[109:110]
	buffer_load_dword v111, off, s[24:27], 0 ; 4-byte Folded Reload
	buffer_load_dword v112, off, s[24:27], 0 offset:4 ; 4-byte Folded Reload
	buffer_load_dword v113, off, s[24:27], 0 offset:8 ; 4-byte Folded Reload
	;; [unrolled: 1-line block ×3, first 2 shown]
	s_waitcnt vmcnt(2)
	v_add_f64 v[111:112], v[111:112], -v[105:106]
	s_waitcnt vmcnt(0)
	v_add_f64 v[113:114], v[113:114], -v[109:110]
	buffer_store_dword v111, off, s[24:27], 0 ; 4-byte Folded Spill
	s_nop 0
	buffer_store_dword v112, off, s[24:27], 0 offset:4 ; 4-byte Folded Spill
	buffer_store_dword v113, off, s[24:27], 0 offset:8 ; 4-byte Folded Spill
	;; [unrolled: 1-line block ×3, first 2 shown]
	ds_read2_b64 v[109:112], v98 offset0:22 offset1:23
	v_mov_b32_e32 v113, v125
	v_mov_b32_e32 v114, v126
	s_waitcnt lgkmcnt(0)
	v_mul_f64 v[105:106], v[111:112], v[115:116]
	v_fma_f64 v[105:106], v[109:110], v[125:126], -v[105:106]
	v_mul_f64 v[109:110], v[109:110], v[115:116]
	v_add_f64 v[93:94], v[93:94], -v[105:106]
	v_fma_f64 v[109:110], v[111:112], v[125:126], v[109:110]
	v_add_f64 v[95:96], v[95:96], -v[109:110]
	ds_read2_b64 v[109:112], v98 offset0:24 offset1:25
	s_waitcnt lgkmcnt(0)
	v_mul_f64 v[105:106], v[111:112], v[115:116]
	v_fma_f64 v[105:106], v[109:110], v[125:126], -v[105:106]
	v_mul_f64 v[109:110], v[109:110], v[115:116]
	v_add_f64 v[89:90], v[89:90], -v[105:106]
	v_fma_f64 v[109:110], v[111:112], v[125:126], v[109:110]
	v_add_f64 v[91:92], v[91:92], -v[109:110]
	ds_read2_b64 v[109:112], v98 offset0:26 offset1:27
	;; [unrolled: 8-line block ×24, first 2 shown]
	s_waitcnt lgkmcnt(0)
	v_mul_f64 v[105:106], v[111:112], v[115:116]
	v_fma_f64 v[105:106], v[109:110], v[125:126], -v[105:106]
	v_mul_f64 v[109:110], v[109:110], v[115:116]
	buffer_store_dword v113, off, s[24:27], 0 offset:168 ; 4-byte Folded Spill
	s_nop 0
	buffer_store_dword v114, off, s[24:27], 0 offset:172 ; 4-byte Folded Spill
	buffer_store_dword v115, off, s[24:27], 0 offset:176 ; 4-byte Folded Spill
	;; [unrolled: 1-line block ×3, first 2 shown]
	v_add_f64 v[101:102], v[101:102], -v[105:106]
	v_fma_f64 v[109:110], v[111:112], v[125:126], v[109:110]
	v_add_f64 v[103:104], v[103:104], -v[109:110]
.LBB70_22:
	s_or_b64 exec, exec, s[0:1]
	s_waitcnt vmcnt(0)
	s_barrier
	buffer_load_dword v109, off, s[24:27], 0 offset:144 ; 4-byte Folded Reload
	buffer_load_dword v110, off, s[24:27], 0 offset:148 ; 4-byte Folded Reload
	;; [unrolled: 1-line block ×4, first 2 shown]
	v_lshl_add_u32 v105, v100, 4, v98
	s_cmp_lt_i32 s3, 3
	s_waitcnt vmcnt(0)
	ds_write2_b64 v105, v[109:110], v[111:112] offset1:1
	s_waitcnt lgkmcnt(0)
	s_barrier
	ds_read2_b64 v[121:124], v98 offset0:2 offset1:3
	v_mov_b32_e32 v105, 1
	s_cbranch_scc1 .LBB70_25
; %bb.23:
	v_add3_u32 v106, v107, 0, 32
	s_mov_b32 s0, 2
	v_mov_b32_e32 v105, 1
.LBB70_24:                              ; =>This Inner Loop Header: Depth=1
	s_waitcnt lgkmcnt(0)
	v_cmp_gt_f64_e32 vcc, 0, v[121:122]
	v_xor_b32_e32 v113, 0x80000000, v122
	ds_read2_b64 v[109:112], v106 offset1:1
	v_xor_b32_e32 v115, 0x80000000, v124
	v_add_u32_e32 v106, 16, v106
	s_waitcnt lgkmcnt(0)
	v_xor_b32_e32 v117, 0x80000000, v112
	v_cndmask_b32_e32 v114, v122, v113, vcc
	v_cmp_gt_f64_e32 vcc, 0, v[123:124]
	v_mov_b32_e32 v113, v121
	v_cndmask_b32_e32 v116, v124, v115, vcc
	v_cmp_gt_f64_e32 vcc, 0, v[109:110]
	v_mov_b32_e32 v115, v123
	v_add_f64 v[113:114], v[113:114], v[115:116]
	v_xor_b32_e32 v115, 0x80000000, v110
	v_cndmask_b32_e32 v116, v110, v115, vcc
	v_cmp_gt_f64_e32 vcc, 0, v[111:112]
	v_mov_b32_e32 v115, v109
	v_cndmask_b32_e32 v118, v112, v117, vcc
	v_mov_b32_e32 v117, v111
	v_add_f64 v[115:116], v[115:116], v[117:118]
	v_cmp_lt_f64_e32 vcc, v[113:114], v[115:116]
	v_cndmask_b32_e32 v121, v121, v109, vcc
	v_mov_b32_e32 v109, s0
	s_add_i32 s0, s0, 1
	v_cndmask_b32_e32 v122, v122, v110, vcc
	v_cndmask_b32_e32 v124, v124, v112, vcc
	;; [unrolled: 1-line block ×4, first 2 shown]
	s_cmp_lg_u32 s3, s0
	s_cbranch_scc1 .LBB70_24
.LBB70_25:
	s_waitcnt lgkmcnt(0)
	v_cmp_neq_f64_e32 vcc, 0, v[121:122]
	v_cmp_neq_f64_e64 s[0:1], 0, v[123:124]
	s_or_b64 s[18:19], vcc, s[0:1]
	s_and_saveexec_b64 s[0:1], s[18:19]
	s_cbranch_execz .LBB70_31
; %bb.26:
	v_cmp_ngt_f64_e64 s[18:19], |v[121:122]|, |v[123:124]|
	s_and_saveexec_b64 s[20:21], s[18:19]
	s_xor_b64 s[18:19], exec, s[20:21]
	s_cbranch_execz .LBB70_28
; %bb.27:
	v_div_scale_f64 v[109:110], s[20:21], v[123:124], v[123:124], v[121:122]
	v_rcp_f64_e32 v[111:112], v[109:110]
	v_fma_f64 v[113:114], -v[109:110], v[111:112], 1.0
	v_fma_f64 v[111:112], v[111:112], v[113:114], v[111:112]
	v_div_scale_f64 v[113:114], vcc, v[121:122], v[123:124], v[121:122]
	v_fma_f64 v[115:116], -v[109:110], v[111:112], 1.0
	v_fma_f64 v[111:112], v[111:112], v[115:116], v[111:112]
	v_mul_f64 v[115:116], v[113:114], v[111:112]
	v_fma_f64 v[109:110], -v[109:110], v[115:116], v[113:114]
	v_div_fmas_f64 v[109:110], v[109:110], v[111:112], v[115:116]
	v_div_fixup_f64 v[109:110], v[109:110], v[123:124], v[121:122]
	v_fma_f64 v[111:112], v[121:122], v[109:110], v[123:124]
	v_div_scale_f64 v[113:114], s[20:21], v[111:112], v[111:112], 1.0
	v_div_scale_f64 v[119:120], vcc, 1.0, v[111:112], 1.0
	v_rcp_f64_e32 v[115:116], v[113:114]
	v_fma_f64 v[117:118], -v[113:114], v[115:116], 1.0
	v_fma_f64 v[115:116], v[115:116], v[117:118], v[115:116]
	v_fma_f64 v[117:118], -v[113:114], v[115:116], 1.0
	v_fma_f64 v[115:116], v[115:116], v[117:118], v[115:116]
	v_mul_f64 v[117:118], v[119:120], v[115:116]
	v_fma_f64 v[113:114], -v[113:114], v[117:118], v[119:120]
	buffer_load_dword v119, off, s[24:27], 0 offset:160 ; 4-byte Folded Reload
	buffer_load_dword v120, off, s[24:27], 0 offset:164 ; 4-byte Folded Reload
	v_div_fmas_f64 v[113:114], v[113:114], v[115:116], v[117:118]
	v_div_fixup_f64 v[123:124], v[113:114], v[111:112], 1.0
	v_mul_f64 v[121:122], v[109:110], v[123:124]
	v_xor_b32_e32 v124, 0x80000000, v124
.LBB70_28:
	s_andn2_saveexec_b64 s[18:19], s[18:19]
	s_cbranch_execz .LBB70_30
; %bb.29:
	v_div_scale_f64 v[109:110], s[20:21], v[121:122], v[121:122], v[123:124]
	v_rcp_f64_e32 v[111:112], v[109:110]
	v_fma_f64 v[113:114], -v[109:110], v[111:112], 1.0
	v_fma_f64 v[111:112], v[111:112], v[113:114], v[111:112]
	v_div_scale_f64 v[113:114], vcc, v[123:124], v[121:122], v[123:124]
	v_fma_f64 v[115:116], -v[109:110], v[111:112], 1.0
	v_fma_f64 v[111:112], v[111:112], v[115:116], v[111:112]
	v_mul_f64 v[115:116], v[113:114], v[111:112]
	v_fma_f64 v[109:110], -v[109:110], v[115:116], v[113:114]
	v_div_fmas_f64 v[109:110], v[109:110], v[111:112], v[115:116]
	v_div_fixup_f64 v[109:110], v[109:110], v[121:122], v[123:124]
	v_fma_f64 v[111:112], v[123:124], v[109:110], v[121:122]
	v_div_scale_f64 v[113:114], s[20:21], v[111:112], v[111:112], 1.0
	s_waitcnt vmcnt(0)
	v_div_scale_f64 v[119:120], vcc, 1.0, v[111:112], 1.0
	v_rcp_f64_e32 v[115:116], v[113:114]
	v_fma_f64 v[117:118], -v[113:114], v[115:116], 1.0
	v_fma_f64 v[115:116], v[115:116], v[117:118], v[115:116]
	v_fma_f64 v[117:118], -v[113:114], v[115:116], 1.0
	v_fma_f64 v[115:116], v[115:116], v[117:118], v[115:116]
	v_mul_f64 v[117:118], v[119:120], v[115:116]
	v_fma_f64 v[113:114], -v[113:114], v[117:118], v[119:120]
	buffer_load_dword v119, off, s[24:27], 0 offset:160 ; 4-byte Folded Reload
	buffer_load_dword v120, off, s[24:27], 0 offset:164 ; 4-byte Folded Reload
	v_div_fmas_f64 v[113:114], v[113:114], v[115:116], v[117:118]
	v_div_fixup_f64 v[121:122], v[113:114], v[111:112], 1.0
	v_mul_f64 v[123:124], v[109:110], -v[121:122]
.LBB70_30:
	s_or_b64 exec, exec, s[18:19]
	v_mov_b32_e32 v99, v108
.LBB70_31:
	s_or_b64 exec, exec, s[0:1]
	v_cmp_ne_u32_e32 vcc, v100, v105
	s_and_saveexec_b64 s[0:1], vcc
	s_xor_b64 s[0:1], exec, s[0:1]
	s_cbranch_execz .LBB70_37
; %bb.32:
	v_cmp_eq_u32_e32 vcc, 1, v100
	s_and_saveexec_b64 s[18:19], vcc
	s_cbranch_execz .LBB70_36
; %bb.33:
	v_cmp_ne_u32_e32 vcc, 1, v105
	s_xor_b64 s[20:21], s[6:7], -1
	s_and_b64 s[22:23], s[20:21], vcc
	s_and_saveexec_b64 s[20:21], s[22:23]
	s_cbranch_execz .LBB70_35
; %bb.34:
	v_ashrrev_i32_e32 v106, 31, v105
	v_lshlrev_b64 v[108:109], 2, v[105:106]
	s_waitcnt vmcnt(1)
	v_add_co_u32_e32 v108, vcc, v119, v108
	s_waitcnt vmcnt(0)
	v_addc_co_u32_e32 v109, vcc, v120, v109, vcc
	global_load_dword v0, v[108:109], off
	global_load_dword v100, v[119:120], off offset:4
	s_waitcnt vmcnt(1)
	global_store_dword v[119:120], v0, off offset:4
	s_waitcnt vmcnt(1)
	global_store_dword v[108:109], v100, off
.LBB70_35:
	s_or_b64 exec, exec, s[20:21]
	v_mov_b32_e32 v100, v105
	v_mov_b32_e32 v0, v105
.LBB70_36:
	s_or_b64 exec, exec, s[18:19]
.LBB70_37:
	s_andn2_saveexec_b64 s[0:1], s[0:1]
	s_cbranch_execz .LBB70_39
; %bb.38:
	buffer_load_dword v108, off, s[24:27], 0 offset:128 ; 4-byte Folded Reload
	buffer_load_dword v109, off, s[24:27], 0 offset:132 ; 4-byte Folded Reload
	;; [unrolled: 1-line block ×4, first 2 shown]
	v_mov_b32_e32 v100, 1
	s_waitcnt vmcnt(0)
	ds_write2_b64 v98, v[108:109], v[110:111] offset0:4 offset1:5
	buffer_load_dword v108, off, s[24:27], 0 offset:112 ; 4-byte Folded Reload
	buffer_load_dword v109, off, s[24:27], 0 offset:116 ; 4-byte Folded Reload
	buffer_load_dword v110, off, s[24:27], 0 offset:120 ; 4-byte Folded Reload
	buffer_load_dword v111, off, s[24:27], 0 offset:124 ; 4-byte Folded Reload
	s_waitcnt vmcnt(0)
	ds_write2_b64 v98, v[108:109], v[110:111] offset0:6 offset1:7
	buffer_load_dword v108, off, s[24:27], 0 offset:96 ; 4-byte Folded Reload
	buffer_load_dword v109, off, s[24:27], 0 offset:100 ; 4-byte Folded Reload
	buffer_load_dword v110, off, s[24:27], 0 offset:104 ; 4-byte Folded Reload
	buffer_load_dword v111, off, s[24:27], 0 offset:108 ; 4-byte Folded Reload
	;; [unrolled: 6-line block ×7, first 2 shown]
	s_waitcnt vmcnt(0)
	ds_write2_b64 v98, v[108:109], v[110:111] offset0:18 offset1:19
	buffer_load_dword v108, off, s[24:27], 0 ; 4-byte Folded Reload
	buffer_load_dword v109, off, s[24:27], 0 offset:4 ; 4-byte Folded Reload
	buffer_load_dword v110, off, s[24:27], 0 offset:8 ; 4-byte Folded Reload
	;; [unrolled: 1-line block ×3, first 2 shown]
	s_waitcnt vmcnt(0)
	ds_write2_b64 v98, v[108:109], v[110:111] offset0:20 offset1:21
	ds_write2_b64 v98, v[93:94], v[95:96] offset0:22 offset1:23
	;; [unrolled: 1-line block ×26, first 2 shown]
.LBB70_39:
	s_or_b64 exec, exec, s[0:1]
	v_cmp_lt_i32_e32 vcc, 1, v100
	s_waitcnt vmcnt(0) lgkmcnt(0)
	s_barrier
	s_and_saveexec_b64 s[0:1], vcc
	s_cbranch_execz .LBB70_41
; %bb.40:
	buffer_load_dword v112, off, s[24:27], 0 offset:144 ; 4-byte Folded Reload
	buffer_load_dword v113, off, s[24:27], 0 offset:148 ; 4-byte Folded Reload
	;; [unrolled: 1-line block ×4, first 2 shown]
	ds_read2_b64 v[108:111], v98 offset0:4 offset1:5
	s_waitcnt vmcnt(0)
	v_mul_f64 v[105:106], v[123:124], v[114:115]
	v_fma_f64 v[125:126], v[121:122], v[112:113], -v[105:106]
	v_mul_f64 v[105:106], v[121:122], v[114:115]
	v_fma_f64 v[114:115], v[123:124], v[112:113], v[105:106]
	s_waitcnt lgkmcnt(0)
	v_mul_f64 v[105:106], v[110:111], v[114:115]
	v_fma_f64 v[105:106], v[108:109], v[125:126], -v[105:106]
	v_mul_f64 v[108:109], v[108:109], v[114:115]
	v_fma_f64 v[108:109], v[110:111], v[125:126], v[108:109]
	buffer_load_dword v110, off, s[24:27], 0 offset:128 ; 4-byte Folded Reload
	buffer_load_dword v111, off, s[24:27], 0 offset:132 ; 4-byte Folded Reload
	buffer_load_dword v112, off, s[24:27], 0 offset:136 ; 4-byte Folded Reload
	buffer_load_dword v113, off, s[24:27], 0 offset:140 ; 4-byte Folded Reload
	s_waitcnt vmcnt(2)
	v_add_f64 v[110:111], v[110:111], -v[105:106]
	s_waitcnt vmcnt(0)
	v_add_f64 v[112:113], v[112:113], -v[108:109]
	buffer_store_dword v110, off, s[24:27], 0 offset:128 ; 4-byte Folded Spill
	s_nop 0
	buffer_store_dword v111, off, s[24:27], 0 offset:132 ; 4-byte Folded Spill
	buffer_store_dword v112, off, s[24:27], 0 offset:136 ; 4-byte Folded Spill
	buffer_store_dword v113, off, s[24:27], 0 offset:140 ; 4-byte Folded Spill
	ds_read2_b64 v[108:111], v98 offset0:6 offset1:7
	s_waitcnt lgkmcnt(0)
	v_mul_f64 v[105:106], v[110:111], v[114:115]
	v_fma_f64 v[105:106], v[108:109], v[125:126], -v[105:106]
	v_mul_f64 v[108:109], v[108:109], v[114:115]
	v_fma_f64 v[108:109], v[110:111], v[125:126], v[108:109]
	buffer_load_dword v110, off, s[24:27], 0 offset:112 ; 4-byte Folded Reload
	buffer_load_dword v111, off, s[24:27], 0 offset:116 ; 4-byte Folded Reload
	buffer_load_dword v112, off, s[24:27], 0 offset:120 ; 4-byte Folded Reload
	buffer_load_dword v113, off, s[24:27], 0 offset:124 ; 4-byte Folded Reload
	s_waitcnt vmcnt(2)
	v_add_f64 v[110:111], v[110:111], -v[105:106]
	s_waitcnt vmcnt(0)
	v_add_f64 v[112:113], v[112:113], -v[108:109]
	buffer_store_dword v110, off, s[24:27], 0 offset:112 ; 4-byte Folded Spill
	s_nop 0
	buffer_store_dword v111, off, s[24:27], 0 offset:116 ; 4-byte Folded Spill
	buffer_store_dword v112, off, s[24:27], 0 offset:120 ; 4-byte Folded Spill
	buffer_store_dword v113, off, s[24:27], 0 offset:124 ; 4-byte Folded Spill
	ds_read2_b64 v[108:111], v98 offset0:8 offset1:9
	s_waitcnt lgkmcnt(0)
	v_mul_f64 v[105:106], v[110:111], v[114:115]
	v_fma_f64 v[105:106], v[108:109], v[125:126], -v[105:106]
	v_mul_f64 v[108:109], v[108:109], v[114:115]
	v_fma_f64 v[108:109], v[110:111], v[125:126], v[108:109]
	buffer_load_dword v110, off, s[24:27], 0 offset:96 ; 4-byte Folded Reload
	buffer_load_dword v111, off, s[24:27], 0 offset:100 ; 4-byte Folded Reload
	buffer_load_dword v112, off, s[24:27], 0 offset:104 ; 4-byte Folded Reload
	buffer_load_dword v113, off, s[24:27], 0 offset:108 ; 4-byte Folded Reload
	s_waitcnt vmcnt(2)
	v_add_f64 v[110:111], v[110:111], -v[105:106]
	s_waitcnt vmcnt(0)
	v_add_f64 v[112:113], v[112:113], -v[108:109]
	buffer_store_dword v110, off, s[24:27], 0 offset:96 ; 4-byte Folded Spill
	s_nop 0
	buffer_store_dword v111, off, s[24:27], 0 offset:100 ; 4-byte Folded Spill
	buffer_store_dword v112, off, s[24:27], 0 offset:104 ; 4-byte Folded Spill
	buffer_store_dword v113, off, s[24:27], 0 offset:108 ; 4-byte Folded Spill
	ds_read2_b64 v[108:111], v98 offset0:10 offset1:11
	s_waitcnt lgkmcnt(0)
	v_mul_f64 v[105:106], v[110:111], v[114:115]
	v_fma_f64 v[105:106], v[108:109], v[125:126], -v[105:106]
	v_mul_f64 v[108:109], v[108:109], v[114:115]
	v_fma_f64 v[108:109], v[110:111], v[125:126], v[108:109]
	buffer_load_dword v110, off, s[24:27], 0 offset:80 ; 4-byte Folded Reload
	buffer_load_dword v111, off, s[24:27], 0 offset:84 ; 4-byte Folded Reload
	buffer_load_dword v112, off, s[24:27], 0 offset:88 ; 4-byte Folded Reload
	buffer_load_dword v113, off, s[24:27], 0 offset:92 ; 4-byte Folded Reload
	s_waitcnt vmcnt(2)
	v_add_f64 v[110:111], v[110:111], -v[105:106]
	s_waitcnt vmcnt(0)
	v_add_f64 v[112:113], v[112:113], -v[108:109]
	buffer_store_dword v110, off, s[24:27], 0 offset:80 ; 4-byte Folded Spill
	s_nop 0
	buffer_store_dword v111, off, s[24:27], 0 offset:84 ; 4-byte Folded Spill
	buffer_store_dword v112, off, s[24:27], 0 offset:88 ; 4-byte Folded Spill
	buffer_store_dword v113, off, s[24:27], 0 offset:92 ; 4-byte Folded Spill
	ds_read2_b64 v[108:111], v98 offset0:12 offset1:13
	s_waitcnt lgkmcnt(0)
	v_mul_f64 v[105:106], v[110:111], v[114:115]
	v_fma_f64 v[105:106], v[108:109], v[125:126], -v[105:106]
	v_mul_f64 v[108:109], v[108:109], v[114:115]
	v_fma_f64 v[108:109], v[110:111], v[125:126], v[108:109]
	buffer_load_dword v110, off, s[24:27], 0 offset:64 ; 4-byte Folded Reload
	buffer_load_dword v111, off, s[24:27], 0 offset:68 ; 4-byte Folded Reload
	buffer_load_dword v112, off, s[24:27], 0 offset:72 ; 4-byte Folded Reload
	buffer_load_dword v113, off, s[24:27], 0 offset:76 ; 4-byte Folded Reload
	s_waitcnt vmcnt(2)
	v_add_f64 v[110:111], v[110:111], -v[105:106]
	s_waitcnt vmcnt(0)
	v_add_f64 v[112:113], v[112:113], -v[108:109]
	buffer_store_dword v110, off, s[24:27], 0 offset:64 ; 4-byte Folded Spill
	s_nop 0
	buffer_store_dword v111, off, s[24:27], 0 offset:68 ; 4-byte Folded Spill
	buffer_store_dword v112, off, s[24:27], 0 offset:72 ; 4-byte Folded Spill
	buffer_store_dword v113, off, s[24:27], 0 offset:76 ; 4-byte Folded Spill
	ds_read2_b64 v[108:111], v98 offset0:14 offset1:15
	s_waitcnt lgkmcnt(0)
	v_mul_f64 v[105:106], v[110:111], v[114:115]
	v_fma_f64 v[105:106], v[108:109], v[125:126], -v[105:106]
	v_mul_f64 v[108:109], v[108:109], v[114:115]
	v_fma_f64 v[108:109], v[110:111], v[125:126], v[108:109]
	buffer_load_dword v110, off, s[24:27], 0 offset:48 ; 4-byte Folded Reload
	buffer_load_dword v111, off, s[24:27], 0 offset:52 ; 4-byte Folded Reload
	buffer_load_dword v112, off, s[24:27], 0 offset:56 ; 4-byte Folded Reload
	buffer_load_dword v113, off, s[24:27], 0 offset:60 ; 4-byte Folded Reload
	s_waitcnt vmcnt(2)
	v_add_f64 v[110:111], v[110:111], -v[105:106]
	s_waitcnt vmcnt(0)
	v_add_f64 v[112:113], v[112:113], -v[108:109]
	buffer_store_dword v110, off, s[24:27], 0 offset:48 ; 4-byte Folded Spill
	s_nop 0
	buffer_store_dword v111, off, s[24:27], 0 offset:52 ; 4-byte Folded Spill
	buffer_store_dword v112, off, s[24:27], 0 offset:56 ; 4-byte Folded Spill
	buffer_store_dword v113, off, s[24:27], 0 offset:60 ; 4-byte Folded Spill
	ds_read2_b64 v[108:111], v98 offset0:16 offset1:17
	s_waitcnt lgkmcnt(0)
	v_mul_f64 v[105:106], v[110:111], v[114:115]
	v_fma_f64 v[105:106], v[108:109], v[125:126], -v[105:106]
	v_mul_f64 v[108:109], v[108:109], v[114:115]
	v_fma_f64 v[108:109], v[110:111], v[125:126], v[108:109]
	buffer_load_dword v110, off, s[24:27], 0 offset:32 ; 4-byte Folded Reload
	buffer_load_dword v111, off, s[24:27], 0 offset:36 ; 4-byte Folded Reload
	buffer_load_dword v112, off, s[24:27], 0 offset:40 ; 4-byte Folded Reload
	buffer_load_dword v113, off, s[24:27], 0 offset:44 ; 4-byte Folded Reload
	s_waitcnt vmcnt(2)
	v_add_f64 v[110:111], v[110:111], -v[105:106]
	s_waitcnt vmcnt(0)
	v_add_f64 v[112:113], v[112:113], -v[108:109]
	buffer_store_dword v110, off, s[24:27], 0 offset:32 ; 4-byte Folded Spill
	s_nop 0
	buffer_store_dword v111, off, s[24:27], 0 offset:36 ; 4-byte Folded Spill
	buffer_store_dword v112, off, s[24:27], 0 offset:40 ; 4-byte Folded Spill
	buffer_store_dword v113, off, s[24:27], 0 offset:44 ; 4-byte Folded Spill
	ds_read2_b64 v[108:111], v98 offset0:18 offset1:19
	s_waitcnt lgkmcnt(0)
	v_mul_f64 v[105:106], v[110:111], v[114:115]
	v_fma_f64 v[105:106], v[108:109], v[125:126], -v[105:106]
	v_mul_f64 v[108:109], v[108:109], v[114:115]
	v_fma_f64 v[108:109], v[110:111], v[125:126], v[108:109]
	buffer_load_dword v110, off, s[24:27], 0 offset:16 ; 4-byte Folded Reload
	buffer_load_dword v111, off, s[24:27], 0 offset:20 ; 4-byte Folded Reload
	buffer_load_dword v112, off, s[24:27], 0 offset:24 ; 4-byte Folded Reload
	buffer_load_dword v113, off, s[24:27], 0 offset:28 ; 4-byte Folded Reload
	s_waitcnt vmcnt(2)
	v_add_f64 v[110:111], v[110:111], -v[105:106]
	s_waitcnt vmcnt(0)
	v_add_f64 v[112:113], v[112:113], -v[108:109]
	buffer_store_dword v110, off, s[24:27], 0 offset:16 ; 4-byte Folded Spill
	s_nop 0
	buffer_store_dword v111, off, s[24:27], 0 offset:20 ; 4-byte Folded Spill
	buffer_store_dword v112, off, s[24:27], 0 offset:24 ; 4-byte Folded Spill
	buffer_store_dword v113, off, s[24:27], 0 offset:28 ; 4-byte Folded Spill
	ds_read2_b64 v[108:111], v98 offset0:20 offset1:21
	s_waitcnt lgkmcnt(0)
	v_mul_f64 v[105:106], v[110:111], v[114:115]
	v_fma_f64 v[105:106], v[108:109], v[125:126], -v[105:106]
	v_mul_f64 v[108:109], v[108:109], v[114:115]
	v_fma_f64 v[108:109], v[110:111], v[125:126], v[108:109]
	buffer_load_dword v110, off, s[24:27], 0 ; 4-byte Folded Reload
	buffer_load_dword v111, off, s[24:27], 0 offset:4 ; 4-byte Folded Reload
	buffer_load_dword v112, off, s[24:27], 0 offset:8 ; 4-byte Folded Reload
	;; [unrolled: 1-line block ×3, first 2 shown]
	s_waitcnt vmcnt(2)
	v_add_f64 v[110:111], v[110:111], -v[105:106]
	s_waitcnt vmcnt(0)
	v_add_f64 v[112:113], v[112:113], -v[108:109]
	buffer_store_dword v110, off, s[24:27], 0 ; 4-byte Folded Spill
	s_nop 0
	buffer_store_dword v111, off, s[24:27], 0 offset:4 ; 4-byte Folded Spill
	buffer_store_dword v112, off, s[24:27], 0 offset:8 ; 4-byte Folded Spill
	;; [unrolled: 1-line block ×3, first 2 shown]
	ds_read2_b64 v[108:111], v98 offset0:22 offset1:23
	v_mov_b32_e32 v112, v125
	v_mov_b32_e32 v113, v126
	s_waitcnt lgkmcnt(0)
	v_mul_f64 v[105:106], v[110:111], v[114:115]
	v_fma_f64 v[105:106], v[108:109], v[125:126], -v[105:106]
	v_mul_f64 v[108:109], v[108:109], v[114:115]
	v_add_f64 v[93:94], v[93:94], -v[105:106]
	v_fma_f64 v[108:109], v[110:111], v[125:126], v[108:109]
	v_add_f64 v[95:96], v[95:96], -v[108:109]
	ds_read2_b64 v[108:111], v98 offset0:24 offset1:25
	s_waitcnt lgkmcnt(0)
	v_mul_f64 v[105:106], v[110:111], v[114:115]
	v_fma_f64 v[105:106], v[108:109], v[125:126], -v[105:106]
	v_mul_f64 v[108:109], v[108:109], v[114:115]
	v_add_f64 v[89:90], v[89:90], -v[105:106]
	v_fma_f64 v[108:109], v[110:111], v[125:126], v[108:109]
	v_add_f64 v[91:92], v[91:92], -v[108:109]
	ds_read2_b64 v[108:111], v98 offset0:26 offset1:27
	;; [unrolled: 8-line block ×24, first 2 shown]
	s_waitcnt lgkmcnt(0)
	v_mul_f64 v[105:106], v[110:111], v[114:115]
	v_fma_f64 v[105:106], v[108:109], v[125:126], -v[105:106]
	v_mul_f64 v[108:109], v[108:109], v[114:115]
	buffer_store_dword v112, off, s[24:27], 0 offset:144 ; 4-byte Folded Spill
	s_nop 0
	buffer_store_dword v113, off, s[24:27], 0 offset:148 ; 4-byte Folded Spill
	buffer_store_dword v114, off, s[24:27], 0 offset:152 ; 4-byte Folded Spill
	;; [unrolled: 1-line block ×3, first 2 shown]
	v_add_f64 v[101:102], v[101:102], -v[105:106]
	v_fma_f64 v[108:109], v[110:111], v[125:126], v[108:109]
	v_add_f64 v[103:104], v[103:104], -v[108:109]
.LBB70_41:
	s_or_b64 exec, exec, s[0:1]
	s_waitcnt vmcnt(0)
	s_barrier
	buffer_load_dword v108, off, s[24:27], 0 offset:128 ; 4-byte Folded Reload
	buffer_load_dword v109, off, s[24:27], 0 offset:132 ; 4-byte Folded Reload
	;; [unrolled: 1-line block ×4, first 2 shown]
	v_lshl_add_u32 v105, v100, 4, v98
	s_cmp_lt_i32 s3, 4
	s_waitcnt vmcnt(0)
	ds_write2_b64 v105, v[108:109], v[110:111] offset1:1
	s_waitcnt lgkmcnt(0)
	s_barrier
	ds_read2_b64 v[121:124], v98 offset0:4 offset1:5
	v_mov_b32_e32 v105, 2
	s_cbranch_scc1 .LBB70_44
; %bb.42:
	v_add3_u32 v106, v107, 0, 48
	s_mov_b32 s0, 3
	v_mov_b32_e32 v105, 2
.LBB70_43:                              ; =>This Inner Loop Header: Depth=1
	s_waitcnt lgkmcnt(0)
	v_cmp_gt_f64_e32 vcc, 0, v[121:122]
	v_xor_b32_e32 v112, 0x80000000, v122
	ds_read2_b64 v[108:111], v106 offset1:1
	v_xor_b32_e32 v114, 0x80000000, v124
	v_add_u32_e32 v106, 16, v106
	s_waitcnt lgkmcnt(0)
	v_xor_b32_e32 v116, 0x80000000, v111
	v_cndmask_b32_e32 v113, v122, v112, vcc
	v_cmp_gt_f64_e32 vcc, 0, v[123:124]
	v_mov_b32_e32 v112, v121
	v_cndmask_b32_e32 v115, v124, v114, vcc
	v_cmp_gt_f64_e32 vcc, 0, v[108:109]
	v_mov_b32_e32 v114, v123
	v_add_f64 v[112:113], v[112:113], v[114:115]
	v_xor_b32_e32 v114, 0x80000000, v109
	v_cndmask_b32_e32 v115, v109, v114, vcc
	v_cmp_gt_f64_e32 vcc, 0, v[110:111]
	v_mov_b32_e32 v114, v108
	v_cndmask_b32_e32 v117, v111, v116, vcc
	v_mov_b32_e32 v116, v110
	v_add_f64 v[114:115], v[114:115], v[116:117]
	v_cmp_lt_f64_e32 vcc, v[112:113], v[114:115]
	v_cndmask_b32_e32 v121, v121, v108, vcc
	v_mov_b32_e32 v108, s0
	s_add_i32 s0, s0, 1
	v_cndmask_b32_e32 v122, v122, v109, vcc
	v_cndmask_b32_e32 v124, v124, v111, vcc
	;; [unrolled: 1-line block ×4, first 2 shown]
	s_cmp_lg_u32 s3, s0
	s_cbranch_scc1 .LBB70_43
.LBB70_44:
	s_waitcnt lgkmcnt(0)
	v_cmp_eq_f64_e32 vcc, 0, v[121:122]
	v_cmp_eq_f64_e64 s[0:1], 0, v[123:124]
	s_and_b64 s[0:1], vcc, s[0:1]
	s_and_saveexec_b64 s[18:19], s[0:1]
	s_xor_b64 s[0:1], exec, s[18:19]
; %bb.45:
	v_cmp_ne_u32_e32 vcc, 0, v99
	v_cndmask_b32_e32 v99, 3, v99, vcc
; %bb.46:
	s_andn2_saveexec_b64 s[0:1], s[0:1]
	s_cbranch_execz .LBB70_52
; %bb.47:
	v_cmp_ngt_f64_e64 s[18:19], |v[121:122]|, |v[123:124]|
	s_and_saveexec_b64 s[20:21], s[18:19]
	s_xor_b64 s[18:19], exec, s[20:21]
	s_cbranch_execz .LBB70_49
; %bb.48:
	v_div_scale_f64 v[108:109], s[20:21], v[123:124], v[123:124], v[121:122]
	v_rcp_f64_e32 v[110:111], v[108:109]
	v_fma_f64 v[112:113], -v[108:109], v[110:111], 1.0
	v_fma_f64 v[110:111], v[110:111], v[112:113], v[110:111]
	v_div_scale_f64 v[112:113], vcc, v[121:122], v[123:124], v[121:122]
	v_fma_f64 v[114:115], -v[108:109], v[110:111], 1.0
	v_fma_f64 v[110:111], v[110:111], v[114:115], v[110:111]
	v_mul_f64 v[114:115], v[112:113], v[110:111]
	v_fma_f64 v[108:109], -v[108:109], v[114:115], v[112:113]
	v_div_fmas_f64 v[108:109], v[108:109], v[110:111], v[114:115]
	v_div_fixup_f64 v[108:109], v[108:109], v[123:124], v[121:122]
	v_fma_f64 v[110:111], v[121:122], v[108:109], v[123:124]
	v_div_scale_f64 v[112:113], s[20:21], v[110:111], v[110:111], 1.0
	v_div_scale_f64 v[118:119], vcc, 1.0, v[110:111], 1.0
	v_rcp_f64_e32 v[114:115], v[112:113]
	v_fma_f64 v[116:117], -v[112:113], v[114:115], 1.0
	v_fma_f64 v[114:115], v[114:115], v[116:117], v[114:115]
	v_fma_f64 v[116:117], -v[112:113], v[114:115], 1.0
	v_fma_f64 v[114:115], v[114:115], v[116:117], v[114:115]
	v_mul_f64 v[116:117], v[118:119], v[114:115]
	v_fma_f64 v[112:113], -v[112:113], v[116:117], v[118:119]
	buffer_load_dword v119, off, s[24:27], 0 offset:160 ; 4-byte Folded Reload
	buffer_load_dword v120, off, s[24:27], 0 offset:164 ; 4-byte Folded Reload
	v_div_fmas_f64 v[112:113], v[112:113], v[114:115], v[116:117]
	v_div_fixup_f64 v[123:124], v[112:113], v[110:111], 1.0
	v_mul_f64 v[121:122], v[108:109], v[123:124]
	v_xor_b32_e32 v124, 0x80000000, v124
.LBB70_49:
	s_andn2_saveexec_b64 s[18:19], s[18:19]
	s_cbranch_execz .LBB70_51
; %bb.50:
	v_div_scale_f64 v[108:109], s[20:21], v[121:122], v[121:122], v[123:124]
	v_rcp_f64_e32 v[110:111], v[108:109]
	v_fma_f64 v[112:113], -v[108:109], v[110:111], 1.0
	v_fma_f64 v[110:111], v[110:111], v[112:113], v[110:111]
	v_div_scale_f64 v[112:113], vcc, v[123:124], v[121:122], v[123:124]
	v_fma_f64 v[114:115], -v[108:109], v[110:111], 1.0
	v_fma_f64 v[110:111], v[110:111], v[114:115], v[110:111]
	v_mul_f64 v[114:115], v[112:113], v[110:111]
	v_fma_f64 v[108:109], -v[108:109], v[114:115], v[112:113]
	v_div_fmas_f64 v[108:109], v[108:109], v[110:111], v[114:115]
	v_div_fixup_f64 v[108:109], v[108:109], v[121:122], v[123:124]
	v_fma_f64 v[110:111], v[123:124], v[108:109], v[121:122]
	v_div_scale_f64 v[112:113], s[20:21], v[110:111], v[110:111], 1.0
	s_waitcnt vmcnt(1)
	v_div_scale_f64 v[118:119], vcc, 1.0, v[110:111], 1.0
	v_rcp_f64_e32 v[114:115], v[112:113]
	v_fma_f64 v[116:117], -v[112:113], v[114:115], 1.0
	v_fma_f64 v[114:115], v[114:115], v[116:117], v[114:115]
	v_fma_f64 v[116:117], -v[112:113], v[114:115], 1.0
	v_fma_f64 v[114:115], v[114:115], v[116:117], v[114:115]
	v_mul_f64 v[116:117], v[118:119], v[114:115]
	v_fma_f64 v[112:113], -v[112:113], v[116:117], v[118:119]
	buffer_load_dword v119, off, s[24:27], 0 offset:160 ; 4-byte Folded Reload
	buffer_load_dword v120, off, s[24:27], 0 offset:164 ; 4-byte Folded Reload
	v_div_fmas_f64 v[112:113], v[112:113], v[114:115], v[116:117]
	v_div_fixup_f64 v[121:122], v[112:113], v[110:111], 1.0
	v_mul_f64 v[123:124], v[108:109], -v[121:122]
.LBB70_51:
	s_or_b64 exec, exec, s[18:19]
.LBB70_52:
	s_or_b64 exec, exec, s[0:1]
	v_cmp_ne_u32_e32 vcc, v100, v105
	s_and_saveexec_b64 s[0:1], vcc
	s_xor_b64 s[0:1], exec, s[0:1]
	s_cbranch_execz .LBB70_58
; %bb.53:
	v_cmp_eq_u32_e32 vcc, 2, v100
	s_and_saveexec_b64 s[18:19], vcc
	s_cbranch_execz .LBB70_57
; %bb.54:
	v_cmp_ne_u32_e32 vcc, 2, v105
	s_xor_b64 s[20:21], s[6:7], -1
	s_and_b64 s[22:23], s[20:21], vcc
	s_and_saveexec_b64 s[20:21], s[22:23]
	s_cbranch_execz .LBB70_56
; %bb.55:
	v_ashrrev_i32_e32 v106, 31, v105
	v_lshlrev_b64 v[108:109], 2, v[105:106]
	s_waitcnt vmcnt(1)
	v_add_co_u32_e32 v108, vcc, v119, v108
	s_waitcnt vmcnt(0)
	v_addc_co_u32_e32 v109, vcc, v120, v109, vcc
	global_load_dword v0, v[108:109], off
	global_load_dword v100, v[119:120], off offset:8
	s_waitcnt vmcnt(1)
	global_store_dword v[119:120], v0, off offset:8
	s_waitcnt vmcnt(1)
	global_store_dword v[108:109], v100, off
.LBB70_56:
	s_or_b64 exec, exec, s[20:21]
	v_mov_b32_e32 v100, v105
	v_mov_b32_e32 v0, v105
.LBB70_57:
	s_or_b64 exec, exec, s[18:19]
.LBB70_58:
	s_andn2_saveexec_b64 s[0:1], s[0:1]
	s_cbranch_execz .LBB70_60
; %bb.59:
	buffer_load_dword v108, off, s[24:27], 0 offset:112 ; 4-byte Folded Reload
	buffer_load_dword v109, off, s[24:27], 0 offset:116 ; 4-byte Folded Reload
	;; [unrolled: 1-line block ×4, first 2 shown]
	v_mov_b32_e32 v100, 2
	s_waitcnt vmcnt(0)
	ds_write2_b64 v98, v[108:109], v[110:111] offset0:6 offset1:7
	buffer_load_dword v108, off, s[24:27], 0 offset:96 ; 4-byte Folded Reload
	buffer_load_dword v109, off, s[24:27], 0 offset:100 ; 4-byte Folded Reload
	buffer_load_dword v110, off, s[24:27], 0 offset:104 ; 4-byte Folded Reload
	buffer_load_dword v111, off, s[24:27], 0 offset:108 ; 4-byte Folded Reload
	s_waitcnt vmcnt(0)
	ds_write2_b64 v98, v[108:109], v[110:111] offset0:8 offset1:9
	buffer_load_dword v108, off, s[24:27], 0 offset:80 ; 4-byte Folded Reload
	buffer_load_dword v109, off, s[24:27], 0 offset:84 ; 4-byte Folded Reload
	buffer_load_dword v110, off, s[24:27], 0 offset:88 ; 4-byte Folded Reload
	buffer_load_dword v111, off, s[24:27], 0 offset:92 ; 4-byte Folded Reload
	;; [unrolled: 6-line block ×6, first 2 shown]
	s_waitcnt vmcnt(0)
	ds_write2_b64 v98, v[108:109], v[110:111] offset0:18 offset1:19
	buffer_load_dword v108, off, s[24:27], 0 ; 4-byte Folded Reload
	buffer_load_dword v109, off, s[24:27], 0 offset:4 ; 4-byte Folded Reload
	buffer_load_dword v110, off, s[24:27], 0 offset:8 ; 4-byte Folded Reload
	buffer_load_dword v111, off, s[24:27], 0 offset:12 ; 4-byte Folded Reload
	s_waitcnt vmcnt(0)
	ds_write2_b64 v98, v[108:109], v[110:111] offset0:20 offset1:21
	ds_write2_b64 v98, v[93:94], v[95:96] offset0:22 offset1:23
	;; [unrolled: 1-line block ×26, first 2 shown]
.LBB70_60:
	s_or_b64 exec, exec, s[0:1]
	v_cmp_lt_i32_e32 vcc, 2, v100
	s_waitcnt vmcnt(0) lgkmcnt(0)
	s_barrier
	s_and_saveexec_b64 s[0:1], vcc
	s_cbranch_execz .LBB70_62
; %bb.61:
	buffer_load_dword v112, off, s[24:27], 0 offset:128 ; 4-byte Folded Reload
	buffer_load_dword v113, off, s[24:27], 0 offset:132 ; 4-byte Folded Reload
	;; [unrolled: 1-line block ×4, first 2 shown]
	ds_read2_b64 v[108:111], v98 offset0:6 offset1:7
	s_waitcnt vmcnt(0)
	v_mul_f64 v[105:106], v[123:124], v[114:115]
	v_fma_f64 v[125:126], v[121:122], v[112:113], -v[105:106]
	v_mul_f64 v[105:106], v[121:122], v[114:115]
	v_fma_f64 v[114:115], v[123:124], v[112:113], v[105:106]
	s_waitcnt lgkmcnt(0)
	v_mul_f64 v[105:106], v[110:111], v[114:115]
	v_fma_f64 v[105:106], v[108:109], v[125:126], -v[105:106]
	v_mul_f64 v[108:109], v[108:109], v[114:115]
	v_fma_f64 v[108:109], v[110:111], v[125:126], v[108:109]
	buffer_load_dword v110, off, s[24:27], 0 offset:112 ; 4-byte Folded Reload
	buffer_load_dword v111, off, s[24:27], 0 offset:116 ; 4-byte Folded Reload
	buffer_load_dword v112, off, s[24:27], 0 offset:120 ; 4-byte Folded Reload
	buffer_load_dword v113, off, s[24:27], 0 offset:124 ; 4-byte Folded Reload
	s_waitcnt vmcnt(2)
	v_add_f64 v[110:111], v[110:111], -v[105:106]
	s_waitcnt vmcnt(0)
	v_add_f64 v[112:113], v[112:113], -v[108:109]
	buffer_store_dword v110, off, s[24:27], 0 offset:112 ; 4-byte Folded Spill
	s_nop 0
	buffer_store_dword v111, off, s[24:27], 0 offset:116 ; 4-byte Folded Spill
	buffer_store_dword v112, off, s[24:27], 0 offset:120 ; 4-byte Folded Spill
	buffer_store_dword v113, off, s[24:27], 0 offset:124 ; 4-byte Folded Spill
	ds_read2_b64 v[108:111], v98 offset0:8 offset1:9
	s_waitcnt lgkmcnt(0)
	v_mul_f64 v[105:106], v[110:111], v[114:115]
	v_fma_f64 v[105:106], v[108:109], v[125:126], -v[105:106]
	v_mul_f64 v[108:109], v[108:109], v[114:115]
	v_fma_f64 v[108:109], v[110:111], v[125:126], v[108:109]
	buffer_load_dword v110, off, s[24:27], 0 offset:96 ; 4-byte Folded Reload
	buffer_load_dword v111, off, s[24:27], 0 offset:100 ; 4-byte Folded Reload
	buffer_load_dword v112, off, s[24:27], 0 offset:104 ; 4-byte Folded Reload
	buffer_load_dword v113, off, s[24:27], 0 offset:108 ; 4-byte Folded Reload
	s_waitcnt vmcnt(2)
	v_add_f64 v[110:111], v[110:111], -v[105:106]
	s_waitcnt vmcnt(0)
	v_add_f64 v[112:113], v[112:113], -v[108:109]
	buffer_store_dword v110, off, s[24:27], 0 offset:96 ; 4-byte Folded Spill
	s_nop 0
	buffer_store_dword v111, off, s[24:27], 0 offset:100 ; 4-byte Folded Spill
	buffer_store_dword v112, off, s[24:27], 0 offset:104 ; 4-byte Folded Spill
	buffer_store_dword v113, off, s[24:27], 0 offset:108 ; 4-byte Folded Spill
	ds_read2_b64 v[108:111], v98 offset0:10 offset1:11
	s_waitcnt lgkmcnt(0)
	v_mul_f64 v[105:106], v[110:111], v[114:115]
	v_fma_f64 v[105:106], v[108:109], v[125:126], -v[105:106]
	v_mul_f64 v[108:109], v[108:109], v[114:115]
	v_fma_f64 v[108:109], v[110:111], v[125:126], v[108:109]
	buffer_load_dword v110, off, s[24:27], 0 offset:80 ; 4-byte Folded Reload
	buffer_load_dword v111, off, s[24:27], 0 offset:84 ; 4-byte Folded Reload
	buffer_load_dword v112, off, s[24:27], 0 offset:88 ; 4-byte Folded Reload
	buffer_load_dword v113, off, s[24:27], 0 offset:92 ; 4-byte Folded Reload
	s_waitcnt vmcnt(2)
	v_add_f64 v[110:111], v[110:111], -v[105:106]
	s_waitcnt vmcnt(0)
	v_add_f64 v[112:113], v[112:113], -v[108:109]
	buffer_store_dword v110, off, s[24:27], 0 offset:80 ; 4-byte Folded Spill
	s_nop 0
	buffer_store_dword v111, off, s[24:27], 0 offset:84 ; 4-byte Folded Spill
	buffer_store_dword v112, off, s[24:27], 0 offset:88 ; 4-byte Folded Spill
	buffer_store_dword v113, off, s[24:27], 0 offset:92 ; 4-byte Folded Spill
	ds_read2_b64 v[108:111], v98 offset0:12 offset1:13
	s_waitcnt lgkmcnt(0)
	v_mul_f64 v[105:106], v[110:111], v[114:115]
	v_fma_f64 v[105:106], v[108:109], v[125:126], -v[105:106]
	v_mul_f64 v[108:109], v[108:109], v[114:115]
	v_fma_f64 v[108:109], v[110:111], v[125:126], v[108:109]
	buffer_load_dword v110, off, s[24:27], 0 offset:64 ; 4-byte Folded Reload
	buffer_load_dword v111, off, s[24:27], 0 offset:68 ; 4-byte Folded Reload
	buffer_load_dword v112, off, s[24:27], 0 offset:72 ; 4-byte Folded Reload
	buffer_load_dword v113, off, s[24:27], 0 offset:76 ; 4-byte Folded Reload
	s_waitcnt vmcnt(2)
	v_add_f64 v[110:111], v[110:111], -v[105:106]
	s_waitcnt vmcnt(0)
	v_add_f64 v[112:113], v[112:113], -v[108:109]
	buffer_store_dword v110, off, s[24:27], 0 offset:64 ; 4-byte Folded Spill
	s_nop 0
	buffer_store_dword v111, off, s[24:27], 0 offset:68 ; 4-byte Folded Spill
	buffer_store_dword v112, off, s[24:27], 0 offset:72 ; 4-byte Folded Spill
	buffer_store_dword v113, off, s[24:27], 0 offset:76 ; 4-byte Folded Spill
	ds_read2_b64 v[108:111], v98 offset0:14 offset1:15
	s_waitcnt lgkmcnt(0)
	v_mul_f64 v[105:106], v[110:111], v[114:115]
	v_fma_f64 v[105:106], v[108:109], v[125:126], -v[105:106]
	v_mul_f64 v[108:109], v[108:109], v[114:115]
	v_fma_f64 v[108:109], v[110:111], v[125:126], v[108:109]
	buffer_load_dword v110, off, s[24:27], 0 offset:48 ; 4-byte Folded Reload
	buffer_load_dword v111, off, s[24:27], 0 offset:52 ; 4-byte Folded Reload
	buffer_load_dword v112, off, s[24:27], 0 offset:56 ; 4-byte Folded Reload
	buffer_load_dword v113, off, s[24:27], 0 offset:60 ; 4-byte Folded Reload
	s_waitcnt vmcnt(2)
	v_add_f64 v[110:111], v[110:111], -v[105:106]
	s_waitcnt vmcnt(0)
	v_add_f64 v[112:113], v[112:113], -v[108:109]
	buffer_store_dword v110, off, s[24:27], 0 offset:48 ; 4-byte Folded Spill
	s_nop 0
	buffer_store_dword v111, off, s[24:27], 0 offset:52 ; 4-byte Folded Spill
	buffer_store_dword v112, off, s[24:27], 0 offset:56 ; 4-byte Folded Spill
	buffer_store_dword v113, off, s[24:27], 0 offset:60 ; 4-byte Folded Spill
	ds_read2_b64 v[108:111], v98 offset0:16 offset1:17
	s_waitcnt lgkmcnt(0)
	v_mul_f64 v[105:106], v[110:111], v[114:115]
	v_fma_f64 v[105:106], v[108:109], v[125:126], -v[105:106]
	v_mul_f64 v[108:109], v[108:109], v[114:115]
	v_fma_f64 v[108:109], v[110:111], v[125:126], v[108:109]
	buffer_load_dword v110, off, s[24:27], 0 offset:32 ; 4-byte Folded Reload
	buffer_load_dword v111, off, s[24:27], 0 offset:36 ; 4-byte Folded Reload
	buffer_load_dword v112, off, s[24:27], 0 offset:40 ; 4-byte Folded Reload
	buffer_load_dword v113, off, s[24:27], 0 offset:44 ; 4-byte Folded Reload
	s_waitcnt vmcnt(2)
	v_add_f64 v[110:111], v[110:111], -v[105:106]
	s_waitcnt vmcnt(0)
	v_add_f64 v[112:113], v[112:113], -v[108:109]
	buffer_store_dword v110, off, s[24:27], 0 offset:32 ; 4-byte Folded Spill
	s_nop 0
	buffer_store_dword v111, off, s[24:27], 0 offset:36 ; 4-byte Folded Spill
	buffer_store_dword v112, off, s[24:27], 0 offset:40 ; 4-byte Folded Spill
	buffer_store_dword v113, off, s[24:27], 0 offset:44 ; 4-byte Folded Spill
	ds_read2_b64 v[108:111], v98 offset0:18 offset1:19
	s_waitcnt lgkmcnt(0)
	v_mul_f64 v[105:106], v[110:111], v[114:115]
	v_fma_f64 v[105:106], v[108:109], v[125:126], -v[105:106]
	v_mul_f64 v[108:109], v[108:109], v[114:115]
	v_fma_f64 v[108:109], v[110:111], v[125:126], v[108:109]
	buffer_load_dword v110, off, s[24:27], 0 offset:16 ; 4-byte Folded Reload
	buffer_load_dword v111, off, s[24:27], 0 offset:20 ; 4-byte Folded Reload
	buffer_load_dword v112, off, s[24:27], 0 offset:24 ; 4-byte Folded Reload
	buffer_load_dword v113, off, s[24:27], 0 offset:28 ; 4-byte Folded Reload
	s_waitcnt vmcnt(2)
	v_add_f64 v[110:111], v[110:111], -v[105:106]
	s_waitcnt vmcnt(0)
	v_add_f64 v[112:113], v[112:113], -v[108:109]
	buffer_store_dword v110, off, s[24:27], 0 offset:16 ; 4-byte Folded Spill
	s_nop 0
	buffer_store_dword v111, off, s[24:27], 0 offset:20 ; 4-byte Folded Spill
	buffer_store_dword v112, off, s[24:27], 0 offset:24 ; 4-byte Folded Spill
	buffer_store_dword v113, off, s[24:27], 0 offset:28 ; 4-byte Folded Spill
	ds_read2_b64 v[108:111], v98 offset0:20 offset1:21
	s_waitcnt lgkmcnt(0)
	v_mul_f64 v[105:106], v[110:111], v[114:115]
	v_fma_f64 v[105:106], v[108:109], v[125:126], -v[105:106]
	v_mul_f64 v[108:109], v[108:109], v[114:115]
	v_fma_f64 v[108:109], v[110:111], v[125:126], v[108:109]
	buffer_load_dword v110, off, s[24:27], 0 ; 4-byte Folded Reload
	buffer_load_dword v111, off, s[24:27], 0 offset:4 ; 4-byte Folded Reload
	buffer_load_dword v112, off, s[24:27], 0 offset:8 ; 4-byte Folded Reload
	buffer_load_dword v113, off, s[24:27], 0 offset:12 ; 4-byte Folded Reload
	s_waitcnt vmcnt(2)
	v_add_f64 v[110:111], v[110:111], -v[105:106]
	s_waitcnt vmcnt(0)
	v_add_f64 v[112:113], v[112:113], -v[108:109]
	buffer_store_dword v110, off, s[24:27], 0 ; 4-byte Folded Spill
	s_nop 0
	buffer_store_dword v111, off, s[24:27], 0 offset:4 ; 4-byte Folded Spill
	buffer_store_dword v112, off, s[24:27], 0 offset:8 ; 4-byte Folded Spill
	;; [unrolled: 1-line block ×3, first 2 shown]
	ds_read2_b64 v[108:111], v98 offset0:22 offset1:23
	v_mov_b32_e32 v112, v125
	v_mov_b32_e32 v113, v126
	s_waitcnt lgkmcnt(0)
	v_mul_f64 v[105:106], v[110:111], v[114:115]
	v_fma_f64 v[105:106], v[108:109], v[125:126], -v[105:106]
	v_mul_f64 v[108:109], v[108:109], v[114:115]
	v_add_f64 v[93:94], v[93:94], -v[105:106]
	v_fma_f64 v[108:109], v[110:111], v[125:126], v[108:109]
	v_add_f64 v[95:96], v[95:96], -v[108:109]
	ds_read2_b64 v[108:111], v98 offset0:24 offset1:25
	s_waitcnt lgkmcnt(0)
	v_mul_f64 v[105:106], v[110:111], v[114:115]
	v_fma_f64 v[105:106], v[108:109], v[125:126], -v[105:106]
	v_mul_f64 v[108:109], v[108:109], v[114:115]
	v_add_f64 v[89:90], v[89:90], -v[105:106]
	v_fma_f64 v[108:109], v[110:111], v[125:126], v[108:109]
	v_add_f64 v[91:92], v[91:92], -v[108:109]
	ds_read2_b64 v[108:111], v98 offset0:26 offset1:27
	;; [unrolled: 8-line block ×24, first 2 shown]
	s_waitcnt lgkmcnt(0)
	v_mul_f64 v[105:106], v[110:111], v[114:115]
	v_fma_f64 v[105:106], v[108:109], v[125:126], -v[105:106]
	v_mul_f64 v[108:109], v[108:109], v[114:115]
	buffer_store_dword v112, off, s[24:27], 0 offset:128 ; 4-byte Folded Spill
	s_nop 0
	buffer_store_dword v113, off, s[24:27], 0 offset:132 ; 4-byte Folded Spill
	buffer_store_dword v114, off, s[24:27], 0 offset:136 ; 4-byte Folded Spill
	;; [unrolled: 1-line block ×3, first 2 shown]
	v_add_f64 v[101:102], v[101:102], -v[105:106]
	v_fma_f64 v[108:109], v[110:111], v[125:126], v[108:109]
	v_add_f64 v[103:104], v[103:104], -v[108:109]
.LBB70_62:
	s_or_b64 exec, exec, s[0:1]
	s_waitcnt vmcnt(0)
	s_barrier
	buffer_load_dword v108, off, s[24:27], 0 offset:112 ; 4-byte Folded Reload
	buffer_load_dword v109, off, s[24:27], 0 offset:116 ; 4-byte Folded Reload
	;; [unrolled: 1-line block ×4, first 2 shown]
	v_lshl_add_u32 v105, v100, 4, v98
	s_mov_b32 s0, 4
	s_cmp_lt_i32 s3, 5
	s_waitcnt vmcnt(0)
	ds_write2_b64 v105, v[108:109], v[110:111] offset1:1
	s_waitcnt lgkmcnt(0)
	s_barrier
	ds_read2_b64 v[121:124], v98 offset0:6 offset1:7
	v_mov_b32_e32 v105, 3
	s_cbranch_scc1 .LBB70_65
; %bb.63:
	v_add3_u32 v106, v107, 0, 64
	v_mov_b32_e32 v105, 3
.LBB70_64:                              ; =>This Inner Loop Header: Depth=1
	s_waitcnt lgkmcnt(0)
	v_cmp_gt_f64_e32 vcc, 0, v[121:122]
	v_xor_b32_e32 v111, 0x80000000, v122
	ds_read2_b64 v[107:110], v106 offset1:1
	v_xor_b32_e32 v113, 0x80000000, v124
	v_add_u32_e32 v106, 16, v106
	s_waitcnt lgkmcnt(0)
	v_xor_b32_e32 v115, 0x80000000, v110
	v_cndmask_b32_e32 v112, v122, v111, vcc
	v_cmp_gt_f64_e32 vcc, 0, v[123:124]
	v_mov_b32_e32 v111, v121
	v_cndmask_b32_e32 v114, v124, v113, vcc
	v_cmp_gt_f64_e32 vcc, 0, v[107:108]
	v_mov_b32_e32 v113, v123
	v_add_f64 v[111:112], v[111:112], v[113:114]
	v_xor_b32_e32 v113, 0x80000000, v108
	v_cndmask_b32_e32 v114, v108, v113, vcc
	v_cmp_gt_f64_e32 vcc, 0, v[109:110]
	v_mov_b32_e32 v113, v107
	v_cndmask_b32_e32 v116, v110, v115, vcc
	v_mov_b32_e32 v115, v109
	v_add_f64 v[113:114], v[113:114], v[115:116]
	v_cmp_lt_f64_e32 vcc, v[111:112], v[113:114]
	v_cndmask_b32_e32 v121, v121, v107, vcc
	v_mov_b32_e32 v107, s0
	s_add_i32 s0, s0, 1
	v_cndmask_b32_e32 v122, v122, v108, vcc
	v_cndmask_b32_e32 v124, v124, v110, vcc
	;; [unrolled: 1-line block ×4, first 2 shown]
	s_cmp_lg_u32 s3, s0
	s_cbranch_scc1 .LBB70_64
.LBB70_65:
	s_waitcnt lgkmcnt(0)
	v_cmp_eq_f64_e32 vcc, 0, v[121:122]
	v_cmp_eq_f64_e64 s[0:1], 0, v[123:124]
	s_and_b64 s[0:1], vcc, s[0:1]
	s_and_saveexec_b64 s[18:19], s[0:1]
	s_xor_b64 s[0:1], exec, s[18:19]
; %bb.66:
	v_cmp_ne_u32_e32 vcc, 0, v99
	v_cndmask_b32_e32 v99, 4, v99, vcc
; %bb.67:
	s_andn2_saveexec_b64 s[0:1], s[0:1]
	s_cbranch_execz .LBB70_73
; %bb.68:
	v_cmp_ngt_f64_e64 s[18:19], |v[121:122]|, |v[123:124]|
	s_and_saveexec_b64 s[20:21], s[18:19]
	s_xor_b64 s[18:19], exec, s[20:21]
	s_cbranch_execz .LBB70_70
; %bb.69:
	v_div_scale_f64 v[106:107], s[20:21], v[123:124], v[123:124], v[121:122]
	v_rcp_f64_e32 v[108:109], v[106:107]
	v_fma_f64 v[110:111], -v[106:107], v[108:109], 1.0
	v_fma_f64 v[108:109], v[108:109], v[110:111], v[108:109]
	v_div_scale_f64 v[110:111], vcc, v[121:122], v[123:124], v[121:122]
	v_fma_f64 v[112:113], -v[106:107], v[108:109], 1.0
	v_fma_f64 v[108:109], v[108:109], v[112:113], v[108:109]
	v_mul_f64 v[112:113], v[110:111], v[108:109]
	v_fma_f64 v[106:107], -v[106:107], v[112:113], v[110:111]
	v_div_fmas_f64 v[106:107], v[106:107], v[108:109], v[112:113]
	v_div_fixup_f64 v[106:107], v[106:107], v[123:124], v[121:122]
	v_fma_f64 v[108:109], v[121:122], v[106:107], v[123:124]
	v_div_scale_f64 v[110:111], s[20:21], v[108:109], v[108:109], 1.0
	v_div_scale_f64 v[116:117], vcc, 1.0, v[108:109], 1.0
	v_rcp_f64_e32 v[112:113], v[110:111]
	v_fma_f64 v[114:115], -v[110:111], v[112:113], 1.0
	v_fma_f64 v[112:113], v[112:113], v[114:115], v[112:113]
	v_fma_f64 v[114:115], -v[110:111], v[112:113], 1.0
	v_fma_f64 v[112:113], v[112:113], v[114:115], v[112:113]
	v_mul_f64 v[114:115], v[116:117], v[112:113]
	v_fma_f64 v[110:111], -v[110:111], v[114:115], v[116:117]
	v_div_fmas_f64 v[110:111], v[110:111], v[112:113], v[114:115]
	v_div_fixup_f64 v[123:124], v[110:111], v[108:109], 1.0
	v_mul_f64 v[121:122], v[106:107], v[123:124]
	v_xor_b32_e32 v124, 0x80000000, v124
.LBB70_70:
	s_andn2_saveexec_b64 s[18:19], s[18:19]
	s_cbranch_execz .LBB70_72
; %bb.71:
	v_div_scale_f64 v[106:107], s[20:21], v[121:122], v[121:122], v[123:124]
	v_rcp_f64_e32 v[108:109], v[106:107]
	v_fma_f64 v[110:111], -v[106:107], v[108:109], 1.0
	v_fma_f64 v[108:109], v[108:109], v[110:111], v[108:109]
	v_div_scale_f64 v[110:111], vcc, v[123:124], v[121:122], v[123:124]
	v_fma_f64 v[112:113], -v[106:107], v[108:109], 1.0
	v_fma_f64 v[108:109], v[108:109], v[112:113], v[108:109]
	v_mul_f64 v[112:113], v[110:111], v[108:109]
	v_fma_f64 v[106:107], -v[106:107], v[112:113], v[110:111]
	v_div_fmas_f64 v[106:107], v[106:107], v[108:109], v[112:113]
	v_div_fixup_f64 v[106:107], v[106:107], v[121:122], v[123:124]
	v_fma_f64 v[108:109], v[123:124], v[106:107], v[121:122]
	v_div_scale_f64 v[110:111], s[20:21], v[108:109], v[108:109], 1.0
	v_div_scale_f64 v[116:117], vcc, 1.0, v[108:109], 1.0
	v_rcp_f64_e32 v[112:113], v[110:111]
	v_fma_f64 v[114:115], -v[110:111], v[112:113], 1.0
	v_fma_f64 v[112:113], v[112:113], v[114:115], v[112:113]
	v_fma_f64 v[114:115], -v[110:111], v[112:113], 1.0
	v_fma_f64 v[112:113], v[112:113], v[114:115], v[112:113]
	v_mul_f64 v[114:115], v[116:117], v[112:113]
	v_fma_f64 v[110:111], -v[110:111], v[114:115], v[116:117]
	v_div_fmas_f64 v[110:111], v[110:111], v[112:113], v[114:115]
	v_div_fixup_f64 v[121:122], v[110:111], v[108:109], 1.0
	v_mul_f64 v[123:124], v[106:107], -v[121:122]
.LBB70_72:
	s_or_b64 exec, exec, s[18:19]
.LBB70_73:
	s_or_b64 exec, exec, s[0:1]
	v_cmp_ne_u32_e32 vcc, v100, v105
	s_and_saveexec_b64 s[0:1], vcc
	s_xor_b64 s[0:1], exec, s[0:1]
	s_cbranch_execz .LBB70_79
; %bb.74:
	v_cmp_eq_u32_e32 vcc, 3, v100
	s_and_saveexec_b64 s[18:19], vcc
	s_cbranch_execz .LBB70_78
; %bb.75:
	v_cmp_ne_u32_e32 vcc, 3, v105
	s_xor_b64 s[20:21], s[6:7], -1
	s_and_b64 s[22:23], s[20:21], vcc
	s_and_saveexec_b64 s[20:21], s[22:23]
	s_cbranch_execz .LBB70_77
; %bb.76:
	v_ashrrev_i32_e32 v106, 31, v105
	v_lshlrev_b64 v[106:107], 2, v[105:106]
	v_add_co_u32_e32 v106, vcc, v119, v106
	v_addc_co_u32_e32 v107, vcc, v120, v107, vcc
	global_load_dword v0, v[106:107], off
	global_load_dword v100, v[119:120], off offset:12
	s_waitcnt vmcnt(1)
	global_store_dword v[119:120], v0, off offset:12
	s_waitcnt vmcnt(1)
	global_store_dword v[106:107], v100, off
.LBB70_77:
	s_or_b64 exec, exec, s[20:21]
	v_mov_b32_e32 v100, v105
	v_mov_b32_e32 v0, v105
.LBB70_78:
	s_or_b64 exec, exec, s[18:19]
.LBB70_79:
	s_andn2_saveexec_b64 s[0:1], s[0:1]
	s_cbranch_execz .LBB70_81
; %bb.80:
	buffer_load_dword v105, off, s[24:27], 0 offset:96 ; 4-byte Folded Reload
	buffer_load_dword v106, off, s[24:27], 0 offset:100 ; 4-byte Folded Reload
	;; [unrolled: 1-line block ×4, first 2 shown]
	v_mov_b32_e32 v100, 3
	s_waitcnt vmcnt(0)
	ds_write2_b64 v98, v[105:106], v[107:108] offset0:8 offset1:9
	buffer_load_dword v105, off, s[24:27], 0 offset:80 ; 4-byte Folded Reload
	buffer_load_dword v106, off, s[24:27], 0 offset:84 ; 4-byte Folded Reload
	buffer_load_dword v107, off, s[24:27], 0 offset:88 ; 4-byte Folded Reload
	buffer_load_dword v108, off, s[24:27], 0 offset:92 ; 4-byte Folded Reload
	s_waitcnt vmcnt(0)
	ds_write2_b64 v98, v[105:106], v[107:108] offset0:10 offset1:11
	buffer_load_dword v105, off, s[24:27], 0 offset:64 ; 4-byte Folded Reload
	buffer_load_dword v106, off, s[24:27], 0 offset:68 ; 4-byte Folded Reload
	buffer_load_dword v107, off, s[24:27], 0 offset:72 ; 4-byte Folded Reload
	buffer_load_dword v108, off, s[24:27], 0 offset:76 ; 4-byte Folded Reload
	;; [unrolled: 6-line block ×5, first 2 shown]
	s_waitcnt vmcnt(0)
	ds_write2_b64 v98, v[105:106], v[107:108] offset0:18 offset1:19
	buffer_load_dword v105, off, s[24:27], 0 ; 4-byte Folded Reload
	buffer_load_dword v106, off, s[24:27], 0 offset:4 ; 4-byte Folded Reload
	buffer_load_dword v107, off, s[24:27], 0 offset:8 ; 4-byte Folded Reload
	;; [unrolled: 1-line block ×3, first 2 shown]
	s_waitcnt vmcnt(0)
	ds_write2_b64 v98, v[105:106], v[107:108] offset0:20 offset1:21
	ds_write2_b64 v98, v[93:94], v[95:96] offset0:22 offset1:23
	;; [unrolled: 1-line block ×26, first 2 shown]
.LBB70_81:
	s_or_b64 exec, exec, s[0:1]
	v_cmp_lt_i32_e32 vcc, 3, v100
	s_waitcnt vmcnt(0) lgkmcnt(0)
	s_barrier
	s_and_saveexec_b64 s[0:1], vcc
	s_cbranch_execz .LBB70_83
; %bb.82:
	buffer_load_dword v113, off, s[24:27], 0 offset:112 ; 4-byte Folded Reload
	buffer_load_dword v114, off, s[24:27], 0 offset:116 ; 4-byte Folded Reload
	;; [unrolled: 1-line block ×4, first 2 shown]
	s_waitcnt vmcnt(0)
	v_mul_f64 v[105:106], v[123:124], v[115:116]
	v_fma_f64 v[125:126], v[121:122], v[113:114], -v[105:106]
	v_mul_f64 v[105:106], v[121:122], v[115:116]
	v_fma_f64 v[115:116], v[123:124], v[113:114], v[105:106]
	ds_read2_b64 v[105:108], v98 offset0:8 offset1:9
	buffer_load_dword v111, off, s[24:27], 0 offset:96 ; 4-byte Folded Reload
	buffer_load_dword v112, off, s[24:27], 0 offset:100 ; 4-byte Folded Reload
	buffer_load_dword v113, off, s[24:27], 0 offset:104 ; 4-byte Folded Reload
	buffer_load_dword v114, off, s[24:27], 0 offset:108 ; 4-byte Folded Reload
	s_waitcnt lgkmcnt(0)
	v_mul_f64 v[109:110], v[107:108], v[115:116]
	v_fma_f64 v[109:110], v[105:106], v[125:126], -v[109:110]
	v_mul_f64 v[105:106], v[105:106], v[115:116]
	v_fma_f64 v[105:106], v[107:108], v[125:126], v[105:106]
	s_waitcnt vmcnt(2)
	v_add_f64 v[111:112], v[111:112], -v[109:110]
	s_waitcnt vmcnt(0)
	v_add_f64 v[113:114], v[113:114], -v[105:106]
	buffer_store_dword v111, off, s[24:27], 0 offset:96 ; 4-byte Folded Spill
	s_nop 0
	buffer_store_dword v112, off, s[24:27], 0 offset:100 ; 4-byte Folded Spill
	buffer_store_dword v113, off, s[24:27], 0 offset:104 ; 4-byte Folded Spill
	buffer_store_dword v114, off, s[24:27], 0 offset:108 ; 4-byte Folded Spill
	ds_read2_b64 v[105:108], v98 offset0:10 offset1:11
	buffer_load_dword v111, off, s[24:27], 0 offset:80 ; 4-byte Folded Reload
	buffer_load_dword v112, off, s[24:27], 0 offset:84 ; 4-byte Folded Reload
	buffer_load_dword v113, off, s[24:27], 0 offset:88 ; 4-byte Folded Reload
	buffer_load_dword v114, off, s[24:27], 0 offset:92 ; 4-byte Folded Reload
	s_waitcnt lgkmcnt(0)
	v_mul_f64 v[109:110], v[107:108], v[115:116]
	v_fma_f64 v[109:110], v[105:106], v[125:126], -v[109:110]
	v_mul_f64 v[105:106], v[105:106], v[115:116]
	v_fma_f64 v[105:106], v[107:108], v[125:126], v[105:106]
	s_waitcnt vmcnt(2)
	v_add_f64 v[111:112], v[111:112], -v[109:110]
	s_waitcnt vmcnt(0)
	v_add_f64 v[113:114], v[113:114], -v[105:106]
	buffer_store_dword v111, off, s[24:27], 0 offset:80 ; 4-byte Folded Spill
	s_nop 0
	buffer_store_dword v112, off, s[24:27], 0 offset:84 ; 4-byte Folded Spill
	buffer_store_dword v113, off, s[24:27], 0 offset:88 ; 4-byte Folded Spill
	buffer_store_dword v114, off, s[24:27], 0 offset:92 ; 4-byte Folded Spill
	;; [unrolled: 19-line block ×6, first 2 shown]
	ds_read2_b64 v[105:108], v98 offset0:20 offset1:21
	buffer_load_dword v111, off, s[24:27], 0 ; 4-byte Folded Reload
	buffer_load_dword v112, off, s[24:27], 0 offset:4 ; 4-byte Folded Reload
	buffer_load_dword v113, off, s[24:27], 0 offset:8 ; 4-byte Folded Reload
	;; [unrolled: 1-line block ×3, first 2 shown]
	s_waitcnt lgkmcnt(0)
	v_mul_f64 v[109:110], v[107:108], v[115:116]
	v_fma_f64 v[109:110], v[105:106], v[125:126], -v[109:110]
	v_mul_f64 v[105:106], v[105:106], v[115:116]
	v_fma_f64 v[105:106], v[107:108], v[125:126], v[105:106]
	s_waitcnt vmcnt(2)
	v_add_f64 v[111:112], v[111:112], -v[109:110]
	s_waitcnt vmcnt(0)
	v_add_f64 v[113:114], v[113:114], -v[105:106]
	buffer_store_dword v111, off, s[24:27], 0 ; 4-byte Folded Spill
	s_nop 0
	buffer_store_dword v112, off, s[24:27], 0 offset:4 ; 4-byte Folded Spill
	buffer_store_dword v113, off, s[24:27], 0 offset:8 ; 4-byte Folded Spill
	;; [unrolled: 1-line block ×3, first 2 shown]
	ds_read2_b64 v[105:108], v98 offset0:22 offset1:23
	v_mov_b32_e32 v113, v125
	v_mov_b32_e32 v114, v126
	s_waitcnt lgkmcnt(0)
	v_mul_f64 v[109:110], v[107:108], v[115:116]
	v_fma_f64 v[109:110], v[105:106], v[125:126], -v[109:110]
	v_mul_f64 v[105:106], v[105:106], v[115:116]
	v_add_f64 v[93:94], v[93:94], -v[109:110]
	v_fma_f64 v[105:106], v[107:108], v[125:126], v[105:106]
	v_add_f64 v[95:96], v[95:96], -v[105:106]
	ds_read2_b64 v[105:108], v98 offset0:24 offset1:25
	s_waitcnt lgkmcnt(0)
	v_mul_f64 v[109:110], v[107:108], v[115:116]
	v_fma_f64 v[109:110], v[105:106], v[125:126], -v[109:110]
	v_mul_f64 v[105:106], v[105:106], v[115:116]
	v_add_f64 v[89:90], v[89:90], -v[109:110]
	v_fma_f64 v[105:106], v[107:108], v[125:126], v[105:106]
	v_add_f64 v[91:92], v[91:92], -v[105:106]
	ds_read2_b64 v[105:108], v98 offset0:26 offset1:27
	;; [unrolled: 8-line block ×24, first 2 shown]
	s_waitcnt lgkmcnt(0)
	v_mul_f64 v[109:110], v[107:108], v[115:116]
	v_fma_f64 v[109:110], v[105:106], v[125:126], -v[109:110]
	v_mul_f64 v[105:106], v[105:106], v[115:116]
	buffer_store_dword v113, off, s[24:27], 0 offset:112 ; 4-byte Folded Spill
	s_nop 0
	buffer_store_dword v114, off, s[24:27], 0 offset:116 ; 4-byte Folded Spill
	buffer_store_dword v115, off, s[24:27], 0 offset:120 ; 4-byte Folded Spill
	;; [unrolled: 1-line block ×3, first 2 shown]
	v_add_f64 v[101:102], v[101:102], -v[109:110]
	v_fma_f64 v[105:106], v[107:108], v[125:126], v[105:106]
	v_add_f64 v[103:104], v[103:104], -v[105:106]
.LBB70_83:
	s_or_b64 exec, exec, s[0:1]
	s_waitcnt vmcnt(0)
	s_barrier
	buffer_load_dword v106, off, s[24:27], 0 offset:96 ; 4-byte Folded Reload
	buffer_load_dword v107, off, s[24:27], 0 offset:100 ; 4-byte Folded Reload
	;; [unrolled: 1-line block ×4, first 2 shown]
	v_lshl_add_u32 v105, v100, 4, v98
	s_cmp_lt_i32 s3, 6
	s_waitcnt vmcnt(0)
	ds_write2_b64 v105, v[106:107], v[108:109] offset1:1
	s_waitcnt lgkmcnt(0)
	s_barrier
	ds_read2_b64 v[121:124], v98 offset0:8 offset1:9
	v_mov_b32_e32 v105, 4
	s_cbranch_scc1 .LBB70_86
; %bb.84:
	v_mov_b32_e32 v105, 4
	v_add_u32_e32 v106, 0x50, v98
	s_mov_b32 s0, 5
.LBB70_85:                              ; =>This Inner Loop Header: Depth=1
	s_waitcnt lgkmcnt(0)
	v_cmp_gt_f64_e32 vcc, 0, v[121:122]
	v_xor_b32_e32 v111, 0x80000000, v122
	ds_read2_b64 v[107:110], v106 offset1:1
	v_xor_b32_e32 v113, 0x80000000, v124
	v_add_u32_e32 v106, 16, v106
	s_waitcnt lgkmcnt(0)
	v_xor_b32_e32 v115, 0x80000000, v110
	v_cndmask_b32_e32 v112, v122, v111, vcc
	v_cmp_gt_f64_e32 vcc, 0, v[123:124]
	v_mov_b32_e32 v111, v121
	v_cndmask_b32_e32 v114, v124, v113, vcc
	v_cmp_gt_f64_e32 vcc, 0, v[107:108]
	v_mov_b32_e32 v113, v123
	v_add_f64 v[111:112], v[111:112], v[113:114]
	v_xor_b32_e32 v113, 0x80000000, v108
	v_cndmask_b32_e32 v114, v108, v113, vcc
	v_cmp_gt_f64_e32 vcc, 0, v[109:110]
	v_mov_b32_e32 v113, v107
	v_cndmask_b32_e32 v116, v110, v115, vcc
	v_mov_b32_e32 v115, v109
	v_add_f64 v[113:114], v[113:114], v[115:116]
	v_cmp_lt_f64_e32 vcc, v[111:112], v[113:114]
	v_cndmask_b32_e32 v121, v121, v107, vcc
	v_mov_b32_e32 v107, s0
	s_add_i32 s0, s0, 1
	v_cndmask_b32_e32 v122, v122, v108, vcc
	v_cndmask_b32_e32 v124, v124, v110, vcc
	;; [unrolled: 1-line block ×4, first 2 shown]
	s_cmp_lg_u32 s3, s0
	s_cbranch_scc1 .LBB70_85
.LBB70_86:
	s_waitcnt lgkmcnt(0)
	v_cmp_eq_f64_e32 vcc, 0, v[121:122]
	v_cmp_eq_f64_e64 s[0:1], 0, v[123:124]
	s_and_b64 s[0:1], vcc, s[0:1]
	s_and_saveexec_b64 s[18:19], s[0:1]
	s_xor_b64 s[0:1], exec, s[18:19]
; %bb.87:
	v_cmp_ne_u32_e32 vcc, 0, v99
	v_cndmask_b32_e32 v99, 5, v99, vcc
; %bb.88:
	s_andn2_saveexec_b64 s[0:1], s[0:1]
	s_cbranch_execz .LBB70_94
; %bb.89:
	v_cmp_ngt_f64_e64 s[18:19], |v[121:122]|, |v[123:124]|
	s_and_saveexec_b64 s[20:21], s[18:19]
	s_xor_b64 s[18:19], exec, s[20:21]
	s_cbranch_execz .LBB70_91
; %bb.90:
	v_div_scale_f64 v[106:107], s[20:21], v[123:124], v[123:124], v[121:122]
	v_rcp_f64_e32 v[108:109], v[106:107]
	v_fma_f64 v[110:111], -v[106:107], v[108:109], 1.0
	v_fma_f64 v[108:109], v[108:109], v[110:111], v[108:109]
	v_div_scale_f64 v[110:111], vcc, v[121:122], v[123:124], v[121:122]
	v_fma_f64 v[112:113], -v[106:107], v[108:109], 1.0
	v_fma_f64 v[108:109], v[108:109], v[112:113], v[108:109]
	v_mul_f64 v[112:113], v[110:111], v[108:109]
	v_fma_f64 v[106:107], -v[106:107], v[112:113], v[110:111]
	v_div_fmas_f64 v[106:107], v[106:107], v[108:109], v[112:113]
	v_div_fixup_f64 v[106:107], v[106:107], v[123:124], v[121:122]
	v_fma_f64 v[108:109], v[121:122], v[106:107], v[123:124]
	v_div_scale_f64 v[110:111], s[20:21], v[108:109], v[108:109], 1.0
	v_div_scale_f64 v[116:117], vcc, 1.0, v[108:109], 1.0
	v_rcp_f64_e32 v[112:113], v[110:111]
	v_fma_f64 v[114:115], -v[110:111], v[112:113], 1.0
	v_fma_f64 v[112:113], v[112:113], v[114:115], v[112:113]
	v_fma_f64 v[114:115], -v[110:111], v[112:113], 1.0
	v_fma_f64 v[112:113], v[112:113], v[114:115], v[112:113]
	v_mul_f64 v[114:115], v[116:117], v[112:113]
	v_fma_f64 v[110:111], -v[110:111], v[114:115], v[116:117]
	v_div_fmas_f64 v[110:111], v[110:111], v[112:113], v[114:115]
	v_div_fixup_f64 v[123:124], v[110:111], v[108:109], 1.0
	v_mul_f64 v[121:122], v[106:107], v[123:124]
	v_xor_b32_e32 v124, 0x80000000, v124
.LBB70_91:
	s_andn2_saveexec_b64 s[18:19], s[18:19]
	s_cbranch_execz .LBB70_93
; %bb.92:
	v_div_scale_f64 v[106:107], s[20:21], v[121:122], v[121:122], v[123:124]
	v_rcp_f64_e32 v[108:109], v[106:107]
	v_fma_f64 v[110:111], -v[106:107], v[108:109], 1.0
	v_fma_f64 v[108:109], v[108:109], v[110:111], v[108:109]
	v_div_scale_f64 v[110:111], vcc, v[123:124], v[121:122], v[123:124]
	v_fma_f64 v[112:113], -v[106:107], v[108:109], 1.0
	v_fma_f64 v[108:109], v[108:109], v[112:113], v[108:109]
	v_mul_f64 v[112:113], v[110:111], v[108:109]
	v_fma_f64 v[106:107], -v[106:107], v[112:113], v[110:111]
	v_div_fmas_f64 v[106:107], v[106:107], v[108:109], v[112:113]
	v_div_fixup_f64 v[106:107], v[106:107], v[121:122], v[123:124]
	v_fma_f64 v[108:109], v[123:124], v[106:107], v[121:122]
	v_div_scale_f64 v[110:111], s[20:21], v[108:109], v[108:109], 1.0
	v_div_scale_f64 v[116:117], vcc, 1.0, v[108:109], 1.0
	v_rcp_f64_e32 v[112:113], v[110:111]
	v_fma_f64 v[114:115], -v[110:111], v[112:113], 1.0
	v_fma_f64 v[112:113], v[112:113], v[114:115], v[112:113]
	v_fma_f64 v[114:115], -v[110:111], v[112:113], 1.0
	v_fma_f64 v[112:113], v[112:113], v[114:115], v[112:113]
	v_mul_f64 v[114:115], v[116:117], v[112:113]
	v_fma_f64 v[110:111], -v[110:111], v[114:115], v[116:117]
	v_div_fmas_f64 v[110:111], v[110:111], v[112:113], v[114:115]
	v_div_fixup_f64 v[121:122], v[110:111], v[108:109], 1.0
	v_mul_f64 v[123:124], v[106:107], -v[121:122]
.LBB70_93:
	s_or_b64 exec, exec, s[18:19]
.LBB70_94:
	s_or_b64 exec, exec, s[0:1]
	v_cmp_ne_u32_e32 vcc, v100, v105
	s_and_saveexec_b64 s[0:1], vcc
	s_xor_b64 s[0:1], exec, s[0:1]
	s_cbranch_execz .LBB70_100
; %bb.95:
	v_cmp_eq_u32_e32 vcc, 4, v100
	s_and_saveexec_b64 s[18:19], vcc
	s_cbranch_execz .LBB70_99
; %bb.96:
	v_cmp_ne_u32_e32 vcc, 4, v105
	s_xor_b64 s[20:21], s[6:7], -1
	s_and_b64 s[22:23], s[20:21], vcc
	s_and_saveexec_b64 s[20:21], s[22:23]
	s_cbranch_execz .LBB70_98
; %bb.97:
	v_ashrrev_i32_e32 v106, 31, v105
	v_lshlrev_b64 v[106:107], 2, v[105:106]
	v_add_co_u32_e32 v106, vcc, v119, v106
	v_addc_co_u32_e32 v107, vcc, v120, v107, vcc
	global_load_dword v0, v[106:107], off
	global_load_dword v100, v[119:120], off offset:16
	s_waitcnt vmcnt(1)
	global_store_dword v[119:120], v0, off offset:16
	s_waitcnt vmcnt(1)
	global_store_dword v[106:107], v100, off
.LBB70_98:
	s_or_b64 exec, exec, s[20:21]
	v_mov_b32_e32 v100, v105
	v_mov_b32_e32 v0, v105
.LBB70_99:
	s_or_b64 exec, exec, s[18:19]
.LBB70_100:
	s_andn2_saveexec_b64 s[0:1], s[0:1]
	s_cbranch_execz .LBB70_102
; %bb.101:
	buffer_load_dword v105, off, s[24:27], 0 offset:80 ; 4-byte Folded Reload
	buffer_load_dword v106, off, s[24:27], 0 offset:84 ; 4-byte Folded Reload
	buffer_load_dword v107, off, s[24:27], 0 offset:88 ; 4-byte Folded Reload
	buffer_load_dword v108, off, s[24:27], 0 offset:92 ; 4-byte Folded Reload
	v_mov_b32_e32 v100, 4
	s_waitcnt vmcnt(0)
	ds_write2_b64 v98, v[105:106], v[107:108] offset0:10 offset1:11
	buffer_load_dword v105, off, s[24:27], 0 offset:64 ; 4-byte Folded Reload
	buffer_load_dword v106, off, s[24:27], 0 offset:68 ; 4-byte Folded Reload
	buffer_load_dword v107, off, s[24:27], 0 offset:72 ; 4-byte Folded Reload
	buffer_load_dword v108, off, s[24:27], 0 offset:76 ; 4-byte Folded Reload
	s_waitcnt vmcnt(0)
	ds_write2_b64 v98, v[105:106], v[107:108] offset0:12 offset1:13
	buffer_load_dword v105, off, s[24:27], 0 offset:48 ; 4-byte Folded Reload
	buffer_load_dword v106, off, s[24:27], 0 offset:52 ; 4-byte Folded Reload
	buffer_load_dword v107, off, s[24:27], 0 offset:56 ; 4-byte Folded Reload
	buffer_load_dword v108, off, s[24:27], 0 offset:60 ; 4-byte Folded Reload
	;; [unrolled: 6-line block ×4, first 2 shown]
	s_waitcnt vmcnt(0)
	ds_write2_b64 v98, v[105:106], v[107:108] offset0:18 offset1:19
	buffer_load_dword v105, off, s[24:27], 0 ; 4-byte Folded Reload
	buffer_load_dword v106, off, s[24:27], 0 offset:4 ; 4-byte Folded Reload
	buffer_load_dword v107, off, s[24:27], 0 offset:8 ; 4-byte Folded Reload
	;; [unrolled: 1-line block ×3, first 2 shown]
	s_waitcnt vmcnt(0)
	ds_write2_b64 v98, v[105:106], v[107:108] offset0:20 offset1:21
	ds_write2_b64 v98, v[93:94], v[95:96] offset0:22 offset1:23
	;; [unrolled: 1-line block ×26, first 2 shown]
.LBB70_102:
	s_or_b64 exec, exec, s[0:1]
	v_cmp_lt_i32_e32 vcc, 4, v100
	s_waitcnt vmcnt(0) lgkmcnt(0)
	s_barrier
	s_and_saveexec_b64 s[0:1], vcc
	s_cbranch_execz .LBB70_104
; %bb.103:
	buffer_load_dword v113, off, s[24:27], 0 offset:96 ; 4-byte Folded Reload
	buffer_load_dword v114, off, s[24:27], 0 offset:100 ; 4-byte Folded Reload
	;; [unrolled: 1-line block ×4, first 2 shown]
	s_waitcnt vmcnt(0)
	v_mul_f64 v[105:106], v[123:124], v[115:116]
	v_fma_f64 v[125:126], v[121:122], v[113:114], -v[105:106]
	v_mul_f64 v[105:106], v[121:122], v[115:116]
	v_fma_f64 v[115:116], v[123:124], v[113:114], v[105:106]
	ds_read2_b64 v[105:108], v98 offset0:10 offset1:11
	buffer_load_dword v111, off, s[24:27], 0 offset:80 ; 4-byte Folded Reload
	buffer_load_dword v112, off, s[24:27], 0 offset:84 ; 4-byte Folded Reload
	buffer_load_dword v113, off, s[24:27], 0 offset:88 ; 4-byte Folded Reload
	buffer_load_dword v114, off, s[24:27], 0 offset:92 ; 4-byte Folded Reload
	s_waitcnt lgkmcnt(0)
	v_mul_f64 v[109:110], v[107:108], v[115:116]
	v_fma_f64 v[109:110], v[105:106], v[125:126], -v[109:110]
	v_mul_f64 v[105:106], v[105:106], v[115:116]
	v_fma_f64 v[105:106], v[107:108], v[125:126], v[105:106]
	s_waitcnt vmcnt(2)
	v_add_f64 v[111:112], v[111:112], -v[109:110]
	s_waitcnt vmcnt(0)
	v_add_f64 v[113:114], v[113:114], -v[105:106]
	buffer_store_dword v111, off, s[24:27], 0 offset:80 ; 4-byte Folded Spill
	s_nop 0
	buffer_store_dword v112, off, s[24:27], 0 offset:84 ; 4-byte Folded Spill
	buffer_store_dword v113, off, s[24:27], 0 offset:88 ; 4-byte Folded Spill
	buffer_store_dword v114, off, s[24:27], 0 offset:92 ; 4-byte Folded Spill
	ds_read2_b64 v[105:108], v98 offset0:12 offset1:13
	buffer_load_dword v111, off, s[24:27], 0 offset:64 ; 4-byte Folded Reload
	buffer_load_dword v112, off, s[24:27], 0 offset:68 ; 4-byte Folded Reload
	buffer_load_dword v113, off, s[24:27], 0 offset:72 ; 4-byte Folded Reload
	buffer_load_dword v114, off, s[24:27], 0 offset:76 ; 4-byte Folded Reload
	s_waitcnt lgkmcnt(0)
	v_mul_f64 v[109:110], v[107:108], v[115:116]
	v_fma_f64 v[109:110], v[105:106], v[125:126], -v[109:110]
	v_mul_f64 v[105:106], v[105:106], v[115:116]
	v_fma_f64 v[105:106], v[107:108], v[125:126], v[105:106]
	s_waitcnt vmcnt(2)
	v_add_f64 v[111:112], v[111:112], -v[109:110]
	s_waitcnt vmcnt(0)
	v_add_f64 v[113:114], v[113:114], -v[105:106]
	buffer_store_dword v111, off, s[24:27], 0 offset:64 ; 4-byte Folded Spill
	s_nop 0
	buffer_store_dword v112, off, s[24:27], 0 offset:68 ; 4-byte Folded Spill
	buffer_store_dword v113, off, s[24:27], 0 offset:72 ; 4-byte Folded Spill
	buffer_store_dword v114, off, s[24:27], 0 offset:76 ; 4-byte Folded Spill
	;; [unrolled: 19-line block ×5, first 2 shown]
	ds_read2_b64 v[105:108], v98 offset0:20 offset1:21
	buffer_load_dword v111, off, s[24:27], 0 ; 4-byte Folded Reload
	buffer_load_dword v112, off, s[24:27], 0 offset:4 ; 4-byte Folded Reload
	buffer_load_dword v113, off, s[24:27], 0 offset:8 ; 4-byte Folded Reload
	;; [unrolled: 1-line block ×3, first 2 shown]
	s_waitcnt lgkmcnt(0)
	v_mul_f64 v[109:110], v[107:108], v[115:116]
	v_fma_f64 v[109:110], v[105:106], v[125:126], -v[109:110]
	v_mul_f64 v[105:106], v[105:106], v[115:116]
	v_fma_f64 v[105:106], v[107:108], v[125:126], v[105:106]
	s_waitcnt vmcnt(2)
	v_add_f64 v[111:112], v[111:112], -v[109:110]
	s_waitcnt vmcnt(0)
	v_add_f64 v[113:114], v[113:114], -v[105:106]
	buffer_store_dword v111, off, s[24:27], 0 ; 4-byte Folded Spill
	s_nop 0
	buffer_store_dword v112, off, s[24:27], 0 offset:4 ; 4-byte Folded Spill
	buffer_store_dword v113, off, s[24:27], 0 offset:8 ; 4-byte Folded Spill
	;; [unrolled: 1-line block ×3, first 2 shown]
	ds_read2_b64 v[105:108], v98 offset0:22 offset1:23
	v_mov_b32_e32 v113, v125
	v_mov_b32_e32 v114, v126
	s_waitcnt lgkmcnt(0)
	v_mul_f64 v[109:110], v[107:108], v[115:116]
	v_fma_f64 v[109:110], v[105:106], v[125:126], -v[109:110]
	v_mul_f64 v[105:106], v[105:106], v[115:116]
	v_add_f64 v[93:94], v[93:94], -v[109:110]
	v_fma_f64 v[105:106], v[107:108], v[125:126], v[105:106]
	v_add_f64 v[95:96], v[95:96], -v[105:106]
	ds_read2_b64 v[105:108], v98 offset0:24 offset1:25
	s_waitcnt lgkmcnt(0)
	v_mul_f64 v[109:110], v[107:108], v[115:116]
	v_fma_f64 v[109:110], v[105:106], v[125:126], -v[109:110]
	v_mul_f64 v[105:106], v[105:106], v[115:116]
	v_add_f64 v[89:90], v[89:90], -v[109:110]
	v_fma_f64 v[105:106], v[107:108], v[125:126], v[105:106]
	v_add_f64 v[91:92], v[91:92], -v[105:106]
	ds_read2_b64 v[105:108], v98 offset0:26 offset1:27
	;; [unrolled: 8-line block ×24, first 2 shown]
	s_waitcnt lgkmcnt(0)
	v_mul_f64 v[109:110], v[107:108], v[115:116]
	v_fma_f64 v[109:110], v[105:106], v[125:126], -v[109:110]
	v_mul_f64 v[105:106], v[105:106], v[115:116]
	buffer_store_dword v113, off, s[24:27], 0 offset:96 ; 4-byte Folded Spill
	s_nop 0
	buffer_store_dword v114, off, s[24:27], 0 offset:100 ; 4-byte Folded Spill
	buffer_store_dword v115, off, s[24:27], 0 offset:104 ; 4-byte Folded Spill
	;; [unrolled: 1-line block ×3, first 2 shown]
	v_add_f64 v[101:102], v[101:102], -v[109:110]
	v_fma_f64 v[105:106], v[107:108], v[125:126], v[105:106]
	v_add_f64 v[103:104], v[103:104], -v[105:106]
.LBB70_104:
	s_or_b64 exec, exec, s[0:1]
	s_waitcnt vmcnt(0)
	s_barrier
	buffer_load_dword v106, off, s[24:27], 0 offset:80 ; 4-byte Folded Reload
	buffer_load_dword v107, off, s[24:27], 0 offset:84 ; 4-byte Folded Reload
	;; [unrolled: 1-line block ×4, first 2 shown]
	v_lshl_add_u32 v105, v100, 4, v98
	s_cmp_lt_i32 s3, 7
	s_waitcnt vmcnt(0)
	ds_write2_b64 v105, v[106:107], v[108:109] offset1:1
	s_waitcnt lgkmcnt(0)
	s_barrier
	ds_read2_b64 v[121:124], v98 offset0:10 offset1:11
	v_mov_b32_e32 v105, 5
	s_cbranch_scc1 .LBB70_107
; %bb.105:
	v_add_u32_e32 v106, 0x60, v98
	s_mov_b32 s0, 6
	v_mov_b32_e32 v105, 5
.LBB70_106:                             ; =>This Inner Loop Header: Depth=1
	s_waitcnt lgkmcnt(0)
	v_cmp_gt_f64_e32 vcc, 0, v[121:122]
	v_xor_b32_e32 v111, 0x80000000, v122
	ds_read2_b64 v[107:110], v106 offset1:1
	v_xor_b32_e32 v113, 0x80000000, v124
	v_add_u32_e32 v106, 16, v106
	s_waitcnt lgkmcnt(0)
	v_xor_b32_e32 v115, 0x80000000, v110
	v_cndmask_b32_e32 v112, v122, v111, vcc
	v_cmp_gt_f64_e32 vcc, 0, v[123:124]
	v_mov_b32_e32 v111, v121
	v_cndmask_b32_e32 v114, v124, v113, vcc
	v_cmp_gt_f64_e32 vcc, 0, v[107:108]
	v_mov_b32_e32 v113, v123
	v_add_f64 v[111:112], v[111:112], v[113:114]
	v_xor_b32_e32 v113, 0x80000000, v108
	v_cndmask_b32_e32 v114, v108, v113, vcc
	v_cmp_gt_f64_e32 vcc, 0, v[109:110]
	v_mov_b32_e32 v113, v107
	v_cndmask_b32_e32 v116, v110, v115, vcc
	v_mov_b32_e32 v115, v109
	v_add_f64 v[113:114], v[113:114], v[115:116]
	v_cmp_lt_f64_e32 vcc, v[111:112], v[113:114]
	v_cndmask_b32_e32 v121, v121, v107, vcc
	v_mov_b32_e32 v107, s0
	s_add_i32 s0, s0, 1
	v_cndmask_b32_e32 v122, v122, v108, vcc
	v_cndmask_b32_e32 v124, v124, v110, vcc
	;; [unrolled: 1-line block ×4, first 2 shown]
	s_cmp_lg_u32 s3, s0
	s_cbranch_scc1 .LBB70_106
.LBB70_107:
	s_waitcnt lgkmcnt(0)
	v_cmp_eq_f64_e32 vcc, 0, v[121:122]
	v_cmp_eq_f64_e64 s[0:1], 0, v[123:124]
	s_and_b64 s[0:1], vcc, s[0:1]
	s_and_saveexec_b64 s[18:19], s[0:1]
	s_xor_b64 s[0:1], exec, s[18:19]
; %bb.108:
	v_cmp_ne_u32_e32 vcc, 0, v99
	v_cndmask_b32_e32 v99, 6, v99, vcc
; %bb.109:
	s_andn2_saveexec_b64 s[0:1], s[0:1]
	s_cbranch_execz .LBB70_115
; %bb.110:
	v_cmp_ngt_f64_e64 s[18:19], |v[121:122]|, |v[123:124]|
	s_and_saveexec_b64 s[20:21], s[18:19]
	s_xor_b64 s[18:19], exec, s[20:21]
	s_cbranch_execz .LBB70_112
; %bb.111:
	v_div_scale_f64 v[106:107], s[20:21], v[123:124], v[123:124], v[121:122]
	v_rcp_f64_e32 v[108:109], v[106:107]
	v_fma_f64 v[110:111], -v[106:107], v[108:109], 1.0
	v_fma_f64 v[108:109], v[108:109], v[110:111], v[108:109]
	v_div_scale_f64 v[110:111], vcc, v[121:122], v[123:124], v[121:122]
	v_fma_f64 v[112:113], -v[106:107], v[108:109], 1.0
	v_fma_f64 v[108:109], v[108:109], v[112:113], v[108:109]
	v_mul_f64 v[112:113], v[110:111], v[108:109]
	v_fma_f64 v[106:107], -v[106:107], v[112:113], v[110:111]
	v_div_fmas_f64 v[106:107], v[106:107], v[108:109], v[112:113]
	v_div_fixup_f64 v[106:107], v[106:107], v[123:124], v[121:122]
	v_fma_f64 v[108:109], v[121:122], v[106:107], v[123:124]
	v_div_scale_f64 v[110:111], s[20:21], v[108:109], v[108:109], 1.0
	v_div_scale_f64 v[116:117], vcc, 1.0, v[108:109], 1.0
	v_rcp_f64_e32 v[112:113], v[110:111]
	v_fma_f64 v[114:115], -v[110:111], v[112:113], 1.0
	v_fma_f64 v[112:113], v[112:113], v[114:115], v[112:113]
	v_fma_f64 v[114:115], -v[110:111], v[112:113], 1.0
	v_fma_f64 v[112:113], v[112:113], v[114:115], v[112:113]
	v_mul_f64 v[114:115], v[116:117], v[112:113]
	v_fma_f64 v[110:111], -v[110:111], v[114:115], v[116:117]
	v_div_fmas_f64 v[110:111], v[110:111], v[112:113], v[114:115]
	v_div_fixup_f64 v[123:124], v[110:111], v[108:109], 1.0
	v_mul_f64 v[121:122], v[106:107], v[123:124]
	v_xor_b32_e32 v124, 0x80000000, v124
.LBB70_112:
	s_andn2_saveexec_b64 s[18:19], s[18:19]
	s_cbranch_execz .LBB70_114
; %bb.113:
	v_div_scale_f64 v[106:107], s[20:21], v[121:122], v[121:122], v[123:124]
	v_rcp_f64_e32 v[108:109], v[106:107]
	v_fma_f64 v[110:111], -v[106:107], v[108:109], 1.0
	v_fma_f64 v[108:109], v[108:109], v[110:111], v[108:109]
	v_div_scale_f64 v[110:111], vcc, v[123:124], v[121:122], v[123:124]
	v_fma_f64 v[112:113], -v[106:107], v[108:109], 1.0
	v_fma_f64 v[108:109], v[108:109], v[112:113], v[108:109]
	v_mul_f64 v[112:113], v[110:111], v[108:109]
	v_fma_f64 v[106:107], -v[106:107], v[112:113], v[110:111]
	v_div_fmas_f64 v[106:107], v[106:107], v[108:109], v[112:113]
	v_div_fixup_f64 v[106:107], v[106:107], v[121:122], v[123:124]
	v_fma_f64 v[108:109], v[123:124], v[106:107], v[121:122]
	v_div_scale_f64 v[110:111], s[20:21], v[108:109], v[108:109], 1.0
	v_div_scale_f64 v[116:117], vcc, 1.0, v[108:109], 1.0
	v_rcp_f64_e32 v[112:113], v[110:111]
	v_fma_f64 v[114:115], -v[110:111], v[112:113], 1.0
	v_fma_f64 v[112:113], v[112:113], v[114:115], v[112:113]
	v_fma_f64 v[114:115], -v[110:111], v[112:113], 1.0
	v_fma_f64 v[112:113], v[112:113], v[114:115], v[112:113]
	v_mul_f64 v[114:115], v[116:117], v[112:113]
	v_fma_f64 v[110:111], -v[110:111], v[114:115], v[116:117]
	v_div_fmas_f64 v[110:111], v[110:111], v[112:113], v[114:115]
	v_div_fixup_f64 v[121:122], v[110:111], v[108:109], 1.0
	v_mul_f64 v[123:124], v[106:107], -v[121:122]
.LBB70_114:
	s_or_b64 exec, exec, s[18:19]
.LBB70_115:
	s_or_b64 exec, exec, s[0:1]
	v_cmp_ne_u32_e32 vcc, v100, v105
	s_and_saveexec_b64 s[0:1], vcc
	s_xor_b64 s[0:1], exec, s[0:1]
	s_cbranch_execz .LBB70_121
; %bb.116:
	v_cmp_eq_u32_e32 vcc, 5, v100
	s_and_saveexec_b64 s[18:19], vcc
	s_cbranch_execz .LBB70_120
; %bb.117:
	v_cmp_ne_u32_e32 vcc, 5, v105
	s_xor_b64 s[20:21], s[6:7], -1
	s_and_b64 s[22:23], s[20:21], vcc
	s_and_saveexec_b64 s[20:21], s[22:23]
	s_cbranch_execz .LBB70_119
; %bb.118:
	v_ashrrev_i32_e32 v106, 31, v105
	v_lshlrev_b64 v[106:107], 2, v[105:106]
	v_add_co_u32_e32 v106, vcc, v119, v106
	v_addc_co_u32_e32 v107, vcc, v120, v107, vcc
	global_load_dword v0, v[106:107], off
	global_load_dword v100, v[119:120], off offset:20
	s_waitcnt vmcnt(1)
	global_store_dword v[119:120], v0, off offset:20
	s_waitcnt vmcnt(1)
	global_store_dword v[106:107], v100, off
.LBB70_119:
	s_or_b64 exec, exec, s[20:21]
	v_mov_b32_e32 v100, v105
	v_mov_b32_e32 v0, v105
.LBB70_120:
	s_or_b64 exec, exec, s[18:19]
.LBB70_121:
	s_andn2_saveexec_b64 s[0:1], s[0:1]
	s_cbranch_execz .LBB70_123
; %bb.122:
	buffer_load_dword v105, off, s[24:27], 0 offset:64 ; 4-byte Folded Reload
	buffer_load_dword v106, off, s[24:27], 0 offset:68 ; 4-byte Folded Reload
	;; [unrolled: 1-line block ×4, first 2 shown]
	v_mov_b32_e32 v100, 5
	s_waitcnt vmcnt(0)
	ds_write2_b64 v98, v[105:106], v[107:108] offset0:12 offset1:13
	buffer_load_dword v105, off, s[24:27], 0 offset:48 ; 4-byte Folded Reload
	buffer_load_dword v106, off, s[24:27], 0 offset:52 ; 4-byte Folded Reload
	buffer_load_dword v107, off, s[24:27], 0 offset:56 ; 4-byte Folded Reload
	buffer_load_dword v108, off, s[24:27], 0 offset:60 ; 4-byte Folded Reload
	s_waitcnt vmcnt(0)
	ds_write2_b64 v98, v[105:106], v[107:108] offset0:14 offset1:15
	buffer_load_dword v105, off, s[24:27], 0 offset:32 ; 4-byte Folded Reload
	buffer_load_dword v106, off, s[24:27], 0 offset:36 ; 4-byte Folded Reload
	buffer_load_dword v107, off, s[24:27], 0 offset:40 ; 4-byte Folded Reload
	buffer_load_dword v108, off, s[24:27], 0 offset:44 ; 4-byte Folded Reload
	s_waitcnt vmcnt(0)
	ds_write2_b64 v98, v[105:106], v[107:108] offset0:16 offset1:17
	buffer_load_dword v105, off, s[24:27], 0 offset:16 ; 4-byte Folded Reload
	buffer_load_dword v106, off, s[24:27], 0 offset:20 ; 4-byte Folded Reload
	buffer_load_dword v107, off, s[24:27], 0 offset:24 ; 4-byte Folded Reload
	buffer_load_dword v108, off, s[24:27], 0 offset:28 ; 4-byte Folded Reload
	s_waitcnt vmcnt(0)
	ds_write2_b64 v98, v[105:106], v[107:108] offset0:18 offset1:19
	buffer_load_dword v105, off, s[24:27], 0 ; 4-byte Folded Reload
	buffer_load_dword v106, off, s[24:27], 0 offset:4 ; 4-byte Folded Reload
	buffer_load_dword v107, off, s[24:27], 0 offset:8 ; 4-byte Folded Reload
	;; [unrolled: 1-line block ×3, first 2 shown]
	s_waitcnt vmcnt(0)
	ds_write2_b64 v98, v[105:106], v[107:108] offset0:20 offset1:21
	ds_write2_b64 v98, v[93:94], v[95:96] offset0:22 offset1:23
	;; [unrolled: 1-line block ×26, first 2 shown]
.LBB70_123:
	s_or_b64 exec, exec, s[0:1]
	v_cmp_lt_i32_e32 vcc, 5, v100
	s_waitcnt vmcnt(0) lgkmcnt(0)
	s_barrier
	s_and_saveexec_b64 s[0:1], vcc
	s_cbranch_execz .LBB70_125
; %bb.124:
	buffer_load_dword v113, off, s[24:27], 0 offset:80 ; 4-byte Folded Reload
	buffer_load_dword v114, off, s[24:27], 0 offset:84 ; 4-byte Folded Reload
	;; [unrolled: 1-line block ×4, first 2 shown]
	s_waitcnt vmcnt(0)
	v_mul_f64 v[105:106], v[123:124], v[115:116]
	v_fma_f64 v[125:126], v[121:122], v[113:114], -v[105:106]
	v_mul_f64 v[105:106], v[121:122], v[115:116]
	v_fma_f64 v[115:116], v[123:124], v[113:114], v[105:106]
	ds_read2_b64 v[105:108], v98 offset0:12 offset1:13
	buffer_load_dword v111, off, s[24:27], 0 offset:64 ; 4-byte Folded Reload
	buffer_load_dword v112, off, s[24:27], 0 offset:68 ; 4-byte Folded Reload
	buffer_load_dword v113, off, s[24:27], 0 offset:72 ; 4-byte Folded Reload
	buffer_load_dword v114, off, s[24:27], 0 offset:76 ; 4-byte Folded Reload
	s_waitcnt lgkmcnt(0)
	v_mul_f64 v[109:110], v[107:108], v[115:116]
	v_fma_f64 v[109:110], v[105:106], v[125:126], -v[109:110]
	v_mul_f64 v[105:106], v[105:106], v[115:116]
	v_fma_f64 v[105:106], v[107:108], v[125:126], v[105:106]
	s_waitcnt vmcnt(2)
	v_add_f64 v[111:112], v[111:112], -v[109:110]
	s_waitcnt vmcnt(0)
	v_add_f64 v[113:114], v[113:114], -v[105:106]
	buffer_store_dword v111, off, s[24:27], 0 offset:64 ; 4-byte Folded Spill
	s_nop 0
	buffer_store_dword v112, off, s[24:27], 0 offset:68 ; 4-byte Folded Spill
	buffer_store_dword v113, off, s[24:27], 0 offset:72 ; 4-byte Folded Spill
	buffer_store_dword v114, off, s[24:27], 0 offset:76 ; 4-byte Folded Spill
	ds_read2_b64 v[105:108], v98 offset0:14 offset1:15
	buffer_load_dword v111, off, s[24:27], 0 offset:48 ; 4-byte Folded Reload
	buffer_load_dword v112, off, s[24:27], 0 offset:52 ; 4-byte Folded Reload
	buffer_load_dword v113, off, s[24:27], 0 offset:56 ; 4-byte Folded Reload
	buffer_load_dword v114, off, s[24:27], 0 offset:60 ; 4-byte Folded Reload
	s_waitcnt lgkmcnt(0)
	v_mul_f64 v[109:110], v[107:108], v[115:116]
	v_fma_f64 v[109:110], v[105:106], v[125:126], -v[109:110]
	v_mul_f64 v[105:106], v[105:106], v[115:116]
	v_fma_f64 v[105:106], v[107:108], v[125:126], v[105:106]
	s_waitcnt vmcnt(2)
	v_add_f64 v[111:112], v[111:112], -v[109:110]
	s_waitcnt vmcnt(0)
	v_add_f64 v[113:114], v[113:114], -v[105:106]
	buffer_store_dword v111, off, s[24:27], 0 offset:48 ; 4-byte Folded Spill
	s_nop 0
	buffer_store_dword v112, off, s[24:27], 0 offset:52 ; 4-byte Folded Spill
	buffer_store_dword v113, off, s[24:27], 0 offset:56 ; 4-byte Folded Spill
	buffer_store_dword v114, off, s[24:27], 0 offset:60 ; 4-byte Folded Spill
	ds_read2_b64 v[105:108], v98 offset0:16 offset1:17
	buffer_load_dword v111, off, s[24:27], 0 offset:32 ; 4-byte Folded Reload
	buffer_load_dword v112, off, s[24:27], 0 offset:36 ; 4-byte Folded Reload
	buffer_load_dword v113, off, s[24:27], 0 offset:40 ; 4-byte Folded Reload
	buffer_load_dword v114, off, s[24:27], 0 offset:44 ; 4-byte Folded Reload
	s_waitcnt lgkmcnt(0)
	v_mul_f64 v[109:110], v[107:108], v[115:116]
	v_fma_f64 v[109:110], v[105:106], v[125:126], -v[109:110]
	v_mul_f64 v[105:106], v[105:106], v[115:116]
	v_fma_f64 v[105:106], v[107:108], v[125:126], v[105:106]
	s_waitcnt vmcnt(2)
	v_add_f64 v[111:112], v[111:112], -v[109:110]
	s_waitcnt vmcnt(0)
	v_add_f64 v[113:114], v[113:114], -v[105:106]
	buffer_store_dword v111, off, s[24:27], 0 offset:32 ; 4-byte Folded Spill
	s_nop 0
	buffer_store_dword v112, off, s[24:27], 0 offset:36 ; 4-byte Folded Spill
	buffer_store_dword v113, off, s[24:27], 0 offset:40 ; 4-byte Folded Spill
	buffer_store_dword v114, off, s[24:27], 0 offset:44 ; 4-byte Folded Spill
	ds_read2_b64 v[105:108], v98 offset0:18 offset1:19
	buffer_load_dword v111, off, s[24:27], 0 offset:16 ; 4-byte Folded Reload
	buffer_load_dword v112, off, s[24:27], 0 offset:20 ; 4-byte Folded Reload
	buffer_load_dword v113, off, s[24:27], 0 offset:24 ; 4-byte Folded Reload
	buffer_load_dword v114, off, s[24:27], 0 offset:28 ; 4-byte Folded Reload
	s_waitcnt lgkmcnt(0)
	v_mul_f64 v[109:110], v[107:108], v[115:116]
	v_fma_f64 v[109:110], v[105:106], v[125:126], -v[109:110]
	v_mul_f64 v[105:106], v[105:106], v[115:116]
	v_fma_f64 v[105:106], v[107:108], v[125:126], v[105:106]
	s_waitcnt vmcnt(2)
	v_add_f64 v[111:112], v[111:112], -v[109:110]
	s_waitcnt vmcnt(0)
	v_add_f64 v[113:114], v[113:114], -v[105:106]
	buffer_store_dword v111, off, s[24:27], 0 offset:16 ; 4-byte Folded Spill
	s_nop 0
	buffer_store_dword v112, off, s[24:27], 0 offset:20 ; 4-byte Folded Spill
	buffer_store_dword v113, off, s[24:27], 0 offset:24 ; 4-byte Folded Spill
	buffer_store_dword v114, off, s[24:27], 0 offset:28 ; 4-byte Folded Spill
	ds_read2_b64 v[105:108], v98 offset0:20 offset1:21
	buffer_load_dword v111, off, s[24:27], 0 ; 4-byte Folded Reload
	buffer_load_dword v112, off, s[24:27], 0 offset:4 ; 4-byte Folded Reload
	buffer_load_dword v113, off, s[24:27], 0 offset:8 ; 4-byte Folded Reload
	;; [unrolled: 1-line block ×3, first 2 shown]
	s_waitcnt lgkmcnt(0)
	v_mul_f64 v[109:110], v[107:108], v[115:116]
	v_fma_f64 v[109:110], v[105:106], v[125:126], -v[109:110]
	v_mul_f64 v[105:106], v[105:106], v[115:116]
	v_fma_f64 v[105:106], v[107:108], v[125:126], v[105:106]
	s_waitcnt vmcnt(2)
	v_add_f64 v[111:112], v[111:112], -v[109:110]
	s_waitcnt vmcnt(0)
	v_add_f64 v[113:114], v[113:114], -v[105:106]
	buffer_store_dword v111, off, s[24:27], 0 ; 4-byte Folded Spill
	s_nop 0
	buffer_store_dword v112, off, s[24:27], 0 offset:4 ; 4-byte Folded Spill
	buffer_store_dword v113, off, s[24:27], 0 offset:8 ; 4-byte Folded Spill
	;; [unrolled: 1-line block ×3, first 2 shown]
	ds_read2_b64 v[105:108], v98 offset0:22 offset1:23
	v_mov_b32_e32 v113, v125
	v_mov_b32_e32 v114, v126
	s_waitcnt lgkmcnt(0)
	v_mul_f64 v[109:110], v[107:108], v[115:116]
	v_fma_f64 v[109:110], v[105:106], v[125:126], -v[109:110]
	v_mul_f64 v[105:106], v[105:106], v[115:116]
	v_add_f64 v[93:94], v[93:94], -v[109:110]
	v_fma_f64 v[105:106], v[107:108], v[125:126], v[105:106]
	v_add_f64 v[95:96], v[95:96], -v[105:106]
	ds_read2_b64 v[105:108], v98 offset0:24 offset1:25
	s_waitcnt lgkmcnt(0)
	v_mul_f64 v[109:110], v[107:108], v[115:116]
	v_fma_f64 v[109:110], v[105:106], v[125:126], -v[109:110]
	v_mul_f64 v[105:106], v[105:106], v[115:116]
	v_add_f64 v[89:90], v[89:90], -v[109:110]
	v_fma_f64 v[105:106], v[107:108], v[125:126], v[105:106]
	v_add_f64 v[91:92], v[91:92], -v[105:106]
	ds_read2_b64 v[105:108], v98 offset0:26 offset1:27
	;; [unrolled: 8-line block ×24, first 2 shown]
	s_waitcnt lgkmcnt(0)
	v_mul_f64 v[109:110], v[107:108], v[115:116]
	v_fma_f64 v[109:110], v[105:106], v[125:126], -v[109:110]
	v_mul_f64 v[105:106], v[105:106], v[115:116]
	buffer_store_dword v113, off, s[24:27], 0 offset:80 ; 4-byte Folded Spill
	s_nop 0
	buffer_store_dword v114, off, s[24:27], 0 offset:84 ; 4-byte Folded Spill
	buffer_store_dword v115, off, s[24:27], 0 offset:88 ; 4-byte Folded Spill
	;; [unrolled: 1-line block ×3, first 2 shown]
	v_add_f64 v[101:102], v[101:102], -v[109:110]
	v_fma_f64 v[105:106], v[107:108], v[125:126], v[105:106]
	v_add_f64 v[103:104], v[103:104], -v[105:106]
.LBB70_125:
	s_or_b64 exec, exec, s[0:1]
	s_waitcnt vmcnt(0)
	s_barrier
	buffer_load_dword v106, off, s[24:27], 0 offset:64 ; 4-byte Folded Reload
	buffer_load_dword v107, off, s[24:27], 0 offset:68 ; 4-byte Folded Reload
	buffer_load_dword v108, off, s[24:27], 0 offset:72 ; 4-byte Folded Reload
	buffer_load_dword v109, off, s[24:27], 0 offset:76 ; 4-byte Folded Reload
	v_lshl_add_u32 v105, v100, 4, v98
	s_cmp_lt_i32 s3, 8
	s_waitcnt vmcnt(0)
	ds_write2_b64 v105, v[106:107], v[108:109] offset1:1
	s_waitcnt lgkmcnt(0)
	s_barrier
	ds_read2_b64 v[121:124], v98 offset0:12 offset1:13
	v_mov_b32_e32 v105, 6
	s_cbranch_scc1 .LBB70_128
; %bb.126:
	v_add_u32_e32 v106, 0x70, v98
	s_mov_b32 s0, 7
	v_mov_b32_e32 v105, 6
.LBB70_127:                             ; =>This Inner Loop Header: Depth=1
	s_waitcnt lgkmcnt(0)
	v_cmp_gt_f64_e32 vcc, 0, v[121:122]
	v_xor_b32_e32 v111, 0x80000000, v122
	ds_read2_b64 v[107:110], v106 offset1:1
	v_xor_b32_e32 v113, 0x80000000, v124
	v_add_u32_e32 v106, 16, v106
	s_waitcnt lgkmcnt(0)
	v_xor_b32_e32 v115, 0x80000000, v110
	v_cndmask_b32_e32 v112, v122, v111, vcc
	v_cmp_gt_f64_e32 vcc, 0, v[123:124]
	v_mov_b32_e32 v111, v121
	v_cndmask_b32_e32 v114, v124, v113, vcc
	v_cmp_gt_f64_e32 vcc, 0, v[107:108]
	v_mov_b32_e32 v113, v123
	v_add_f64 v[111:112], v[111:112], v[113:114]
	v_xor_b32_e32 v113, 0x80000000, v108
	v_cndmask_b32_e32 v114, v108, v113, vcc
	v_cmp_gt_f64_e32 vcc, 0, v[109:110]
	v_mov_b32_e32 v113, v107
	v_cndmask_b32_e32 v116, v110, v115, vcc
	v_mov_b32_e32 v115, v109
	v_add_f64 v[113:114], v[113:114], v[115:116]
	v_cmp_lt_f64_e32 vcc, v[111:112], v[113:114]
	v_cndmask_b32_e32 v121, v121, v107, vcc
	v_mov_b32_e32 v107, s0
	s_add_i32 s0, s0, 1
	v_cndmask_b32_e32 v122, v122, v108, vcc
	v_cndmask_b32_e32 v124, v124, v110, vcc
	;; [unrolled: 1-line block ×4, first 2 shown]
	s_cmp_lg_u32 s3, s0
	s_cbranch_scc1 .LBB70_127
.LBB70_128:
	s_waitcnt lgkmcnt(0)
	v_cmp_eq_f64_e32 vcc, 0, v[121:122]
	v_cmp_eq_f64_e64 s[0:1], 0, v[123:124]
	s_and_b64 s[0:1], vcc, s[0:1]
	s_and_saveexec_b64 s[18:19], s[0:1]
	s_xor_b64 s[0:1], exec, s[18:19]
; %bb.129:
	v_cmp_ne_u32_e32 vcc, 0, v99
	v_cndmask_b32_e32 v99, 7, v99, vcc
; %bb.130:
	s_andn2_saveexec_b64 s[0:1], s[0:1]
	s_cbranch_execz .LBB70_136
; %bb.131:
	v_cmp_ngt_f64_e64 s[18:19], |v[121:122]|, |v[123:124]|
	s_and_saveexec_b64 s[20:21], s[18:19]
	s_xor_b64 s[18:19], exec, s[20:21]
	s_cbranch_execz .LBB70_133
; %bb.132:
	v_div_scale_f64 v[106:107], s[20:21], v[123:124], v[123:124], v[121:122]
	v_rcp_f64_e32 v[108:109], v[106:107]
	v_fma_f64 v[110:111], -v[106:107], v[108:109], 1.0
	v_fma_f64 v[108:109], v[108:109], v[110:111], v[108:109]
	v_div_scale_f64 v[110:111], vcc, v[121:122], v[123:124], v[121:122]
	v_fma_f64 v[112:113], -v[106:107], v[108:109], 1.0
	v_fma_f64 v[108:109], v[108:109], v[112:113], v[108:109]
	v_mul_f64 v[112:113], v[110:111], v[108:109]
	v_fma_f64 v[106:107], -v[106:107], v[112:113], v[110:111]
	v_div_fmas_f64 v[106:107], v[106:107], v[108:109], v[112:113]
	v_div_fixup_f64 v[106:107], v[106:107], v[123:124], v[121:122]
	v_fma_f64 v[108:109], v[121:122], v[106:107], v[123:124]
	v_div_scale_f64 v[110:111], s[20:21], v[108:109], v[108:109], 1.0
	v_div_scale_f64 v[116:117], vcc, 1.0, v[108:109], 1.0
	v_rcp_f64_e32 v[112:113], v[110:111]
	v_fma_f64 v[114:115], -v[110:111], v[112:113], 1.0
	v_fma_f64 v[112:113], v[112:113], v[114:115], v[112:113]
	v_fma_f64 v[114:115], -v[110:111], v[112:113], 1.0
	v_fma_f64 v[112:113], v[112:113], v[114:115], v[112:113]
	v_mul_f64 v[114:115], v[116:117], v[112:113]
	v_fma_f64 v[110:111], -v[110:111], v[114:115], v[116:117]
	v_div_fmas_f64 v[110:111], v[110:111], v[112:113], v[114:115]
	v_div_fixup_f64 v[123:124], v[110:111], v[108:109], 1.0
	v_mul_f64 v[121:122], v[106:107], v[123:124]
	v_xor_b32_e32 v124, 0x80000000, v124
.LBB70_133:
	s_andn2_saveexec_b64 s[18:19], s[18:19]
	s_cbranch_execz .LBB70_135
; %bb.134:
	v_div_scale_f64 v[106:107], s[20:21], v[121:122], v[121:122], v[123:124]
	v_rcp_f64_e32 v[108:109], v[106:107]
	v_fma_f64 v[110:111], -v[106:107], v[108:109], 1.0
	v_fma_f64 v[108:109], v[108:109], v[110:111], v[108:109]
	v_div_scale_f64 v[110:111], vcc, v[123:124], v[121:122], v[123:124]
	v_fma_f64 v[112:113], -v[106:107], v[108:109], 1.0
	v_fma_f64 v[108:109], v[108:109], v[112:113], v[108:109]
	v_mul_f64 v[112:113], v[110:111], v[108:109]
	v_fma_f64 v[106:107], -v[106:107], v[112:113], v[110:111]
	v_div_fmas_f64 v[106:107], v[106:107], v[108:109], v[112:113]
	v_div_fixup_f64 v[106:107], v[106:107], v[121:122], v[123:124]
	v_fma_f64 v[108:109], v[123:124], v[106:107], v[121:122]
	v_div_scale_f64 v[110:111], s[20:21], v[108:109], v[108:109], 1.0
	v_div_scale_f64 v[116:117], vcc, 1.0, v[108:109], 1.0
	v_rcp_f64_e32 v[112:113], v[110:111]
	v_fma_f64 v[114:115], -v[110:111], v[112:113], 1.0
	v_fma_f64 v[112:113], v[112:113], v[114:115], v[112:113]
	v_fma_f64 v[114:115], -v[110:111], v[112:113], 1.0
	v_fma_f64 v[112:113], v[112:113], v[114:115], v[112:113]
	v_mul_f64 v[114:115], v[116:117], v[112:113]
	v_fma_f64 v[110:111], -v[110:111], v[114:115], v[116:117]
	v_div_fmas_f64 v[110:111], v[110:111], v[112:113], v[114:115]
	v_div_fixup_f64 v[121:122], v[110:111], v[108:109], 1.0
	v_mul_f64 v[123:124], v[106:107], -v[121:122]
.LBB70_135:
	s_or_b64 exec, exec, s[18:19]
.LBB70_136:
	s_or_b64 exec, exec, s[0:1]
	v_cmp_ne_u32_e32 vcc, v100, v105
	s_and_saveexec_b64 s[0:1], vcc
	s_xor_b64 s[0:1], exec, s[0:1]
	s_cbranch_execz .LBB70_142
; %bb.137:
	v_cmp_eq_u32_e32 vcc, 6, v100
	s_and_saveexec_b64 s[18:19], vcc
	s_cbranch_execz .LBB70_141
; %bb.138:
	v_cmp_ne_u32_e32 vcc, 6, v105
	s_xor_b64 s[20:21], s[6:7], -1
	s_and_b64 s[22:23], s[20:21], vcc
	s_and_saveexec_b64 s[20:21], s[22:23]
	s_cbranch_execz .LBB70_140
; %bb.139:
	v_ashrrev_i32_e32 v106, 31, v105
	v_lshlrev_b64 v[106:107], 2, v[105:106]
	v_add_co_u32_e32 v106, vcc, v119, v106
	v_addc_co_u32_e32 v107, vcc, v120, v107, vcc
	global_load_dword v0, v[106:107], off
	global_load_dword v100, v[119:120], off offset:24
	s_waitcnt vmcnt(1)
	global_store_dword v[119:120], v0, off offset:24
	s_waitcnt vmcnt(1)
	global_store_dword v[106:107], v100, off
.LBB70_140:
	s_or_b64 exec, exec, s[20:21]
	v_mov_b32_e32 v100, v105
	v_mov_b32_e32 v0, v105
.LBB70_141:
	s_or_b64 exec, exec, s[18:19]
.LBB70_142:
	s_andn2_saveexec_b64 s[0:1], s[0:1]
	s_cbranch_execz .LBB70_144
; %bb.143:
	buffer_load_dword v105, off, s[24:27], 0 offset:48 ; 4-byte Folded Reload
	buffer_load_dword v106, off, s[24:27], 0 offset:52 ; 4-byte Folded Reload
	;; [unrolled: 1-line block ×4, first 2 shown]
	v_mov_b32_e32 v100, 6
	s_waitcnt vmcnt(0)
	ds_write2_b64 v98, v[105:106], v[107:108] offset0:14 offset1:15
	buffer_load_dword v105, off, s[24:27], 0 offset:32 ; 4-byte Folded Reload
	buffer_load_dword v106, off, s[24:27], 0 offset:36 ; 4-byte Folded Reload
	;; [unrolled: 1-line block ×4, first 2 shown]
	s_waitcnt vmcnt(0)
	ds_write2_b64 v98, v[105:106], v[107:108] offset0:16 offset1:17
	buffer_load_dword v105, off, s[24:27], 0 offset:16 ; 4-byte Folded Reload
	buffer_load_dword v106, off, s[24:27], 0 offset:20 ; 4-byte Folded Reload
	;; [unrolled: 1-line block ×4, first 2 shown]
	s_waitcnt vmcnt(0)
	ds_write2_b64 v98, v[105:106], v[107:108] offset0:18 offset1:19
	buffer_load_dword v105, off, s[24:27], 0 ; 4-byte Folded Reload
	buffer_load_dword v106, off, s[24:27], 0 offset:4 ; 4-byte Folded Reload
	buffer_load_dword v107, off, s[24:27], 0 offset:8 ; 4-byte Folded Reload
	;; [unrolled: 1-line block ×3, first 2 shown]
	s_waitcnt vmcnt(0)
	ds_write2_b64 v98, v[105:106], v[107:108] offset0:20 offset1:21
	ds_write2_b64 v98, v[93:94], v[95:96] offset0:22 offset1:23
	;; [unrolled: 1-line block ×26, first 2 shown]
.LBB70_144:
	s_or_b64 exec, exec, s[0:1]
	v_cmp_lt_i32_e32 vcc, 6, v100
	s_waitcnt vmcnt(0) lgkmcnt(0)
	s_barrier
	s_and_saveexec_b64 s[0:1], vcc
	s_cbranch_execz .LBB70_146
; %bb.145:
	buffer_load_dword v113, off, s[24:27], 0 offset:64 ; 4-byte Folded Reload
	buffer_load_dword v114, off, s[24:27], 0 offset:68 ; 4-byte Folded Reload
	;; [unrolled: 1-line block ×4, first 2 shown]
	s_waitcnt vmcnt(0)
	v_mul_f64 v[105:106], v[123:124], v[115:116]
	v_fma_f64 v[125:126], v[121:122], v[113:114], -v[105:106]
	v_mul_f64 v[105:106], v[121:122], v[115:116]
	v_fma_f64 v[115:116], v[123:124], v[113:114], v[105:106]
	ds_read2_b64 v[105:108], v98 offset0:14 offset1:15
	buffer_load_dword v111, off, s[24:27], 0 offset:48 ; 4-byte Folded Reload
	buffer_load_dword v112, off, s[24:27], 0 offset:52 ; 4-byte Folded Reload
	buffer_load_dword v113, off, s[24:27], 0 offset:56 ; 4-byte Folded Reload
	buffer_load_dword v114, off, s[24:27], 0 offset:60 ; 4-byte Folded Reload
	s_waitcnt lgkmcnt(0)
	v_mul_f64 v[109:110], v[107:108], v[115:116]
	v_fma_f64 v[109:110], v[105:106], v[125:126], -v[109:110]
	v_mul_f64 v[105:106], v[105:106], v[115:116]
	v_fma_f64 v[105:106], v[107:108], v[125:126], v[105:106]
	s_waitcnt vmcnt(2)
	v_add_f64 v[111:112], v[111:112], -v[109:110]
	s_waitcnt vmcnt(0)
	v_add_f64 v[113:114], v[113:114], -v[105:106]
	buffer_store_dword v111, off, s[24:27], 0 offset:48 ; 4-byte Folded Spill
	s_nop 0
	buffer_store_dword v112, off, s[24:27], 0 offset:52 ; 4-byte Folded Spill
	buffer_store_dword v113, off, s[24:27], 0 offset:56 ; 4-byte Folded Spill
	buffer_store_dword v114, off, s[24:27], 0 offset:60 ; 4-byte Folded Spill
	ds_read2_b64 v[105:108], v98 offset0:16 offset1:17
	buffer_load_dword v111, off, s[24:27], 0 offset:32 ; 4-byte Folded Reload
	buffer_load_dword v112, off, s[24:27], 0 offset:36 ; 4-byte Folded Reload
	buffer_load_dword v113, off, s[24:27], 0 offset:40 ; 4-byte Folded Reload
	buffer_load_dword v114, off, s[24:27], 0 offset:44 ; 4-byte Folded Reload
	s_waitcnt lgkmcnt(0)
	v_mul_f64 v[109:110], v[107:108], v[115:116]
	v_fma_f64 v[109:110], v[105:106], v[125:126], -v[109:110]
	v_mul_f64 v[105:106], v[105:106], v[115:116]
	v_fma_f64 v[105:106], v[107:108], v[125:126], v[105:106]
	s_waitcnt vmcnt(2)
	v_add_f64 v[111:112], v[111:112], -v[109:110]
	s_waitcnt vmcnt(0)
	v_add_f64 v[113:114], v[113:114], -v[105:106]
	buffer_store_dword v111, off, s[24:27], 0 offset:32 ; 4-byte Folded Spill
	s_nop 0
	buffer_store_dword v112, off, s[24:27], 0 offset:36 ; 4-byte Folded Spill
	buffer_store_dword v113, off, s[24:27], 0 offset:40 ; 4-byte Folded Spill
	buffer_store_dword v114, off, s[24:27], 0 offset:44 ; 4-byte Folded Spill
	;; [unrolled: 19-line block ×3, first 2 shown]
	ds_read2_b64 v[105:108], v98 offset0:20 offset1:21
	buffer_load_dword v111, off, s[24:27], 0 ; 4-byte Folded Reload
	buffer_load_dword v112, off, s[24:27], 0 offset:4 ; 4-byte Folded Reload
	buffer_load_dword v113, off, s[24:27], 0 offset:8 ; 4-byte Folded Reload
	buffer_load_dword v114, off, s[24:27], 0 offset:12 ; 4-byte Folded Reload
	s_waitcnt lgkmcnt(0)
	v_mul_f64 v[109:110], v[107:108], v[115:116]
	v_fma_f64 v[109:110], v[105:106], v[125:126], -v[109:110]
	v_mul_f64 v[105:106], v[105:106], v[115:116]
	v_fma_f64 v[105:106], v[107:108], v[125:126], v[105:106]
	s_waitcnt vmcnt(2)
	v_add_f64 v[111:112], v[111:112], -v[109:110]
	s_waitcnt vmcnt(0)
	v_add_f64 v[113:114], v[113:114], -v[105:106]
	buffer_store_dword v111, off, s[24:27], 0 ; 4-byte Folded Spill
	s_nop 0
	buffer_store_dword v112, off, s[24:27], 0 offset:4 ; 4-byte Folded Spill
	buffer_store_dword v113, off, s[24:27], 0 offset:8 ; 4-byte Folded Spill
	;; [unrolled: 1-line block ×3, first 2 shown]
	ds_read2_b64 v[105:108], v98 offset0:22 offset1:23
	v_mov_b32_e32 v113, v125
	v_mov_b32_e32 v114, v126
	s_waitcnt lgkmcnt(0)
	v_mul_f64 v[109:110], v[107:108], v[115:116]
	v_fma_f64 v[109:110], v[105:106], v[125:126], -v[109:110]
	v_mul_f64 v[105:106], v[105:106], v[115:116]
	v_add_f64 v[93:94], v[93:94], -v[109:110]
	v_fma_f64 v[105:106], v[107:108], v[125:126], v[105:106]
	v_add_f64 v[95:96], v[95:96], -v[105:106]
	ds_read2_b64 v[105:108], v98 offset0:24 offset1:25
	s_waitcnt lgkmcnt(0)
	v_mul_f64 v[109:110], v[107:108], v[115:116]
	v_fma_f64 v[109:110], v[105:106], v[125:126], -v[109:110]
	v_mul_f64 v[105:106], v[105:106], v[115:116]
	v_add_f64 v[89:90], v[89:90], -v[109:110]
	v_fma_f64 v[105:106], v[107:108], v[125:126], v[105:106]
	v_add_f64 v[91:92], v[91:92], -v[105:106]
	ds_read2_b64 v[105:108], v98 offset0:26 offset1:27
	;; [unrolled: 8-line block ×24, first 2 shown]
	s_waitcnt lgkmcnt(0)
	v_mul_f64 v[109:110], v[107:108], v[115:116]
	v_fma_f64 v[109:110], v[105:106], v[125:126], -v[109:110]
	v_mul_f64 v[105:106], v[105:106], v[115:116]
	buffer_store_dword v113, off, s[24:27], 0 offset:64 ; 4-byte Folded Spill
	s_nop 0
	buffer_store_dword v114, off, s[24:27], 0 offset:68 ; 4-byte Folded Spill
	buffer_store_dword v115, off, s[24:27], 0 offset:72 ; 4-byte Folded Spill
	;; [unrolled: 1-line block ×3, first 2 shown]
	v_add_f64 v[101:102], v[101:102], -v[109:110]
	v_fma_f64 v[105:106], v[107:108], v[125:126], v[105:106]
	v_add_f64 v[103:104], v[103:104], -v[105:106]
.LBB70_146:
	s_or_b64 exec, exec, s[0:1]
	s_waitcnt vmcnt(0)
	s_barrier
	buffer_load_dword v106, off, s[24:27], 0 offset:48 ; 4-byte Folded Reload
	buffer_load_dword v107, off, s[24:27], 0 offset:52 ; 4-byte Folded Reload
	;; [unrolled: 1-line block ×4, first 2 shown]
	v_lshl_add_u32 v105, v100, 4, v98
	s_cmp_lt_i32 s3, 9
	s_waitcnt vmcnt(0)
	ds_write2_b64 v105, v[106:107], v[108:109] offset1:1
	s_waitcnt lgkmcnt(0)
	s_barrier
	ds_read2_b64 v[121:124], v98 offset0:14 offset1:15
	v_mov_b32_e32 v105, 7
	s_cbranch_scc1 .LBB70_149
; %bb.147:
	v_add_u32_e32 v106, 0x80, v98
	s_mov_b32 s0, 8
	v_mov_b32_e32 v105, 7
.LBB70_148:                             ; =>This Inner Loop Header: Depth=1
	s_waitcnt lgkmcnt(0)
	v_cmp_gt_f64_e32 vcc, 0, v[121:122]
	v_xor_b32_e32 v111, 0x80000000, v122
	ds_read2_b64 v[107:110], v106 offset1:1
	v_xor_b32_e32 v113, 0x80000000, v124
	v_add_u32_e32 v106, 16, v106
	s_waitcnt lgkmcnt(0)
	v_xor_b32_e32 v115, 0x80000000, v110
	v_cndmask_b32_e32 v112, v122, v111, vcc
	v_cmp_gt_f64_e32 vcc, 0, v[123:124]
	v_mov_b32_e32 v111, v121
	v_cndmask_b32_e32 v114, v124, v113, vcc
	v_cmp_gt_f64_e32 vcc, 0, v[107:108]
	v_mov_b32_e32 v113, v123
	v_add_f64 v[111:112], v[111:112], v[113:114]
	v_xor_b32_e32 v113, 0x80000000, v108
	v_cndmask_b32_e32 v114, v108, v113, vcc
	v_cmp_gt_f64_e32 vcc, 0, v[109:110]
	v_mov_b32_e32 v113, v107
	v_cndmask_b32_e32 v116, v110, v115, vcc
	v_mov_b32_e32 v115, v109
	v_add_f64 v[113:114], v[113:114], v[115:116]
	v_cmp_lt_f64_e32 vcc, v[111:112], v[113:114]
	v_cndmask_b32_e32 v121, v121, v107, vcc
	v_mov_b32_e32 v107, s0
	s_add_i32 s0, s0, 1
	v_cndmask_b32_e32 v122, v122, v108, vcc
	v_cndmask_b32_e32 v124, v124, v110, vcc
	;; [unrolled: 1-line block ×4, first 2 shown]
	s_cmp_lg_u32 s3, s0
	s_cbranch_scc1 .LBB70_148
.LBB70_149:
	s_waitcnt lgkmcnt(0)
	v_cmp_eq_f64_e32 vcc, 0, v[121:122]
	v_cmp_eq_f64_e64 s[0:1], 0, v[123:124]
	s_and_b64 s[0:1], vcc, s[0:1]
	s_and_saveexec_b64 s[18:19], s[0:1]
	s_xor_b64 s[0:1], exec, s[18:19]
; %bb.150:
	v_cmp_ne_u32_e32 vcc, 0, v99
	v_cndmask_b32_e32 v99, 8, v99, vcc
; %bb.151:
	s_andn2_saveexec_b64 s[0:1], s[0:1]
	s_cbranch_execz .LBB70_157
; %bb.152:
	v_cmp_ngt_f64_e64 s[18:19], |v[121:122]|, |v[123:124]|
	s_and_saveexec_b64 s[20:21], s[18:19]
	s_xor_b64 s[18:19], exec, s[20:21]
	s_cbranch_execz .LBB70_154
; %bb.153:
	v_div_scale_f64 v[106:107], s[20:21], v[123:124], v[123:124], v[121:122]
	v_rcp_f64_e32 v[108:109], v[106:107]
	v_fma_f64 v[110:111], -v[106:107], v[108:109], 1.0
	v_fma_f64 v[108:109], v[108:109], v[110:111], v[108:109]
	v_div_scale_f64 v[110:111], vcc, v[121:122], v[123:124], v[121:122]
	v_fma_f64 v[112:113], -v[106:107], v[108:109], 1.0
	v_fma_f64 v[108:109], v[108:109], v[112:113], v[108:109]
	v_mul_f64 v[112:113], v[110:111], v[108:109]
	v_fma_f64 v[106:107], -v[106:107], v[112:113], v[110:111]
	v_div_fmas_f64 v[106:107], v[106:107], v[108:109], v[112:113]
	v_div_fixup_f64 v[106:107], v[106:107], v[123:124], v[121:122]
	v_fma_f64 v[108:109], v[121:122], v[106:107], v[123:124]
	v_div_scale_f64 v[110:111], s[20:21], v[108:109], v[108:109], 1.0
	v_div_scale_f64 v[116:117], vcc, 1.0, v[108:109], 1.0
	v_rcp_f64_e32 v[112:113], v[110:111]
	v_fma_f64 v[114:115], -v[110:111], v[112:113], 1.0
	v_fma_f64 v[112:113], v[112:113], v[114:115], v[112:113]
	v_fma_f64 v[114:115], -v[110:111], v[112:113], 1.0
	v_fma_f64 v[112:113], v[112:113], v[114:115], v[112:113]
	v_mul_f64 v[114:115], v[116:117], v[112:113]
	v_fma_f64 v[110:111], -v[110:111], v[114:115], v[116:117]
	v_div_fmas_f64 v[110:111], v[110:111], v[112:113], v[114:115]
	v_div_fixup_f64 v[123:124], v[110:111], v[108:109], 1.0
	v_mul_f64 v[121:122], v[106:107], v[123:124]
	v_xor_b32_e32 v124, 0x80000000, v124
.LBB70_154:
	s_andn2_saveexec_b64 s[18:19], s[18:19]
	s_cbranch_execz .LBB70_156
; %bb.155:
	v_div_scale_f64 v[106:107], s[20:21], v[121:122], v[121:122], v[123:124]
	v_rcp_f64_e32 v[108:109], v[106:107]
	v_fma_f64 v[110:111], -v[106:107], v[108:109], 1.0
	v_fma_f64 v[108:109], v[108:109], v[110:111], v[108:109]
	v_div_scale_f64 v[110:111], vcc, v[123:124], v[121:122], v[123:124]
	v_fma_f64 v[112:113], -v[106:107], v[108:109], 1.0
	v_fma_f64 v[108:109], v[108:109], v[112:113], v[108:109]
	v_mul_f64 v[112:113], v[110:111], v[108:109]
	v_fma_f64 v[106:107], -v[106:107], v[112:113], v[110:111]
	v_div_fmas_f64 v[106:107], v[106:107], v[108:109], v[112:113]
	v_div_fixup_f64 v[106:107], v[106:107], v[121:122], v[123:124]
	v_fma_f64 v[108:109], v[123:124], v[106:107], v[121:122]
	v_div_scale_f64 v[110:111], s[20:21], v[108:109], v[108:109], 1.0
	v_div_scale_f64 v[116:117], vcc, 1.0, v[108:109], 1.0
	v_rcp_f64_e32 v[112:113], v[110:111]
	v_fma_f64 v[114:115], -v[110:111], v[112:113], 1.0
	v_fma_f64 v[112:113], v[112:113], v[114:115], v[112:113]
	v_fma_f64 v[114:115], -v[110:111], v[112:113], 1.0
	v_fma_f64 v[112:113], v[112:113], v[114:115], v[112:113]
	v_mul_f64 v[114:115], v[116:117], v[112:113]
	v_fma_f64 v[110:111], -v[110:111], v[114:115], v[116:117]
	v_div_fmas_f64 v[110:111], v[110:111], v[112:113], v[114:115]
	v_div_fixup_f64 v[121:122], v[110:111], v[108:109], 1.0
	v_mul_f64 v[123:124], v[106:107], -v[121:122]
.LBB70_156:
	s_or_b64 exec, exec, s[18:19]
.LBB70_157:
	s_or_b64 exec, exec, s[0:1]
	v_cmp_ne_u32_e32 vcc, v100, v105
	s_and_saveexec_b64 s[0:1], vcc
	s_xor_b64 s[0:1], exec, s[0:1]
	s_cbranch_execz .LBB70_163
; %bb.158:
	v_cmp_eq_u32_e32 vcc, 7, v100
	s_and_saveexec_b64 s[18:19], vcc
	s_cbranch_execz .LBB70_162
; %bb.159:
	v_cmp_ne_u32_e32 vcc, 7, v105
	s_xor_b64 s[20:21], s[6:7], -1
	s_and_b64 s[22:23], s[20:21], vcc
	s_and_saveexec_b64 s[20:21], s[22:23]
	s_cbranch_execz .LBB70_161
; %bb.160:
	v_ashrrev_i32_e32 v106, 31, v105
	v_lshlrev_b64 v[106:107], 2, v[105:106]
	v_add_co_u32_e32 v106, vcc, v119, v106
	v_addc_co_u32_e32 v107, vcc, v120, v107, vcc
	global_load_dword v0, v[106:107], off
	global_load_dword v100, v[119:120], off offset:28
	s_waitcnt vmcnt(1)
	global_store_dword v[119:120], v0, off offset:28
	s_waitcnt vmcnt(1)
	global_store_dword v[106:107], v100, off
.LBB70_161:
	s_or_b64 exec, exec, s[20:21]
	v_mov_b32_e32 v100, v105
	v_mov_b32_e32 v0, v105
.LBB70_162:
	s_or_b64 exec, exec, s[18:19]
.LBB70_163:
	s_andn2_saveexec_b64 s[0:1], s[0:1]
	s_cbranch_execz .LBB70_165
; %bb.164:
	buffer_load_dword v105, off, s[24:27], 0 offset:32 ; 4-byte Folded Reload
	buffer_load_dword v106, off, s[24:27], 0 offset:36 ; 4-byte Folded Reload
	;; [unrolled: 1-line block ×4, first 2 shown]
	v_mov_b32_e32 v100, 7
	s_waitcnt vmcnt(0)
	ds_write2_b64 v98, v[105:106], v[107:108] offset0:16 offset1:17
	buffer_load_dword v105, off, s[24:27], 0 offset:16 ; 4-byte Folded Reload
	buffer_load_dword v106, off, s[24:27], 0 offset:20 ; 4-byte Folded Reload
	;; [unrolled: 1-line block ×4, first 2 shown]
	s_waitcnt vmcnt(0)
	ds_write2_b64 v98, v[105:106], v[107:108] offset0:18 offset1:19
	buffer_load_dword v105, off, s[24:27], 0 ; 4-byte Folded Reload
	buffer_load_dword v106, off, s[24:27], 0 offset:4 ; 4-byte Folded Reload
	buffer_load_dword v107, off, s[24:27], 0 offset:8 ; 4-byte Folded Reload
	;; [unrolled: 1-line block ×3, first 2 shown]
	s_waitcnt vmcnt(0)
	ds_write2_b64 v98, v[105:106], v[107:108] offset0:20 offset1:21
	ds_write2_b64 v98, v[93:94], v[95:96] offset0:22 offset1:23
	ds_write2_b64 v98, v[89:90], v[91:92] offset0:24 offset1:25
	ds_write2_b64 v98, v[85:86], v[87:88] offset0:26 offset1:27
	ds_write2_b64 v98, v[81:82], v[83:84] offset0:28 offset1:29
	ds_write2_b64 v98, v[77:78], v[79:80] offset0:30 offset1:31
	ds_write2_b64 v98, v[73:74], v[75:76] offset0:32 offset1:33
	ds_write2_b64 v98, v[69:70], v[71:72] offset0:34 offset1:35
	ds_write2_b64 v98, v[65:66], v[67:68] offset0:36 offset1:37
	ds_write2_b64 v98, v[61:62], v[63:64] offset0:38 offset1:39
	ds_write2_b64 v98, v[57:58], v[59:60] offset0:40 offset1:41
	ds_write2_b64 v98, v[53:54], v[55:56] offset0:42 offset1:43
	ds_write2_b64 v98, v[49:50], v[51:52] offset0:44 offset1:45
	ds_write2_b64 v98, v[45:46], v[47:48] offset0:46 offset1:47
	ds_write2_b64 v98, v[41:42], v[43:44] offset0:48 offset1:49
	ds_write2_b64 v98, v[37:38], v[39:40] offset0:50 offset1:51
	ds_write2_b64 v98, v[33:34], v[35:36] offset0:52 offset1:53
	ds_write2_b64 v98, v[29:30], v[31:32] offset0:54 offset1:55
	ds_write2_b64 v98, v[25:26], v[27:28] offset0:56 offset1:57
	ds_write2_b64 v98, v[21:22], v[23:24] offset0:58 offset1:59
	ds_write2_b64 v98, v[17:18], v[19:20] offset0:60 offset1:61
	ds_write2_b64 v98, v[13:14], v[15:16] offset0:62 offset1:63
	ds_write2_b64 v98, v[9:10], v[11:12] offset0:64 offset1:65
	ds_write2_b64 v98, v[5:6], v[7:8] offset0:66 offset1:67
	ds_write2_b64 v98, v[1:2], v[3:4] offset0:68 offset1:69
	ds_write2_b64 v98, v[101:102], v[103:104] offset0:70 offset1:71
.LBB70_165:
	s_or_b64 exec, exec, s[0:1]
	v_cmp_lt_i32_e32 vcc, 7, v100
	s_waitcnt vmcnt(0) lgkmcnt(0)
	s_barrier
	s_and_saveexec_b64 s[0:1], vcc
	s_cbranch_execz .LBB70_167
; %bb.166:
	buffer_load_dword v113, off, s[24:27], 0 offset:48 ; 4-byte Folded Reload
	buffer_load_dword v114, off, s[24:27], 0 offset:52 ; 4-byte Folded Reload
	;; [unrolled: 1-line block ×4, first 2 shown]
	s_waitcnt vmcnt(0)
	v_mul_f64 v[105:106], v[123:124], v[115:116]
	v_fma_f64 v[125:126], v[121:122], v[113:114], -v[105:106]
	v_mul_f64 v[105:106], v[121:122], v[115:116]
	v_fma_f64 v[115:116], v[123:124], v[113:114], v[105:106]
	ds_read2_b64 v[105:108], v98 offset0:16 offset1:17
	buffer_load_dword v111, off, s[24:27], 0 offset:32 ; 4-byte Folded Reload
	buffer_load_dword v112, off, s[24:27], 0 offset:36 ; 4-byte Folded Reload
	;; [unrolled: 1-line block ×4, first 2 shown]
	s_waitcnt lgkmcnt(0)
	v_mul_f64 v[109:110], v[107:108], v[115:116]
	v_fma_f64 v[109:110], v[105:106], v[125:126], -v[109:110]
	v_mul_f64 v[105:106], v[105:106], v[115:116]
	v_fma_f64 v[105:106], v[107:108], v[125:126], v[105:106]
	s_waitcnt vmcnt(2)
	v_add_f64 v[111:112], v[111:112], -v[109:110]
	s_waitcnt vmcnt(0)
	v_add_f64 v[113:114], v[113:114], -v[105:106]
	buffer_store_dword v111, off, s[24:27], 0 offset:32 ; 4-byte Folded Spill
	s_nop 0
	buffer_store_dword v112, off, s[24:27], 0 offset:36 ; 4-byte Folded Spill
	buffer_store_dword v113, off, s[24:27], 0 offset:40 ; 4-byte Folded Spill
	buffer_store_dword v114, off, s[24:27], 0 offset:44 ; 4-byte Folded Spill
	ds_read2_b64 v[105:108], v98 offset0:18 offset1:19
	buffer_load_dword v111, off, s[24:27], 0 offset:16 ; 4-byte Folded Reload
	buffer_load_dword v112, off, s[24:27], 0 offset:20 ; 4-byte Folded Reload
	;; [unrolled: 1-line block ×4, first 2 shown]
	s_waitcnt lgkmcnt(0)
	v_mul_f64 v[109:110], v[107:108], v[115:116]
	v_fma_f64 v[109:110], v[105:106], v[125:126], -v[109:110]
	v_mul_f64 v[105:106], v[105:106], v[115:116]
	v_fma_f64 v[105:106], v[107:108], v[125:126], v[105:106]
	s_waitcnt vmcnt(2)
	v_add_f64 v[111:112], v[111:112], -v[109:110]
	s_waitcnt vmcnt(0)
	v_add_f64 v[113:114], v[113:114], -v[105:106]
	buffer_store_dword v111, off, s[24:27], 0 offset:16 ; 4-byte Folded Spill
	s_nop 0
	buffer_store_dword v112, off, s[24:27], 0 offset:20 ; 4-byte Folded Spill
	buffer_store_dword v113, off, s[24:27], 0 offset:24 ; 4-byte Folded Spill
	;; [unrolled: 1-line block ×3, first 2 shown]
	ds_read2_b64 v[105:108], v98 offset0:20 offset1:21
	buffer_load_dword v111, off, s[24:27], 0 ; 4-byte Folded Reload
	buffer_load_dword v112, off, s[24:27], 0 offset:4 ; 4-byte Folded Reload
	buffer_load_dword v113, off, s[24:27], 0 offset:8 ; 4-byte Folded Reload
	;; [unrolled: 1-line block ×3, first 2 shown]
	s_waitcnt lgkmcnt(0)
	v_mul_f64 v[109:110], v[107:108], v[115:116]
	v_fma_f64 v[109:110], v[105:106], v[125:126], -v[109:110]
	v_mul_f64 v[105:106], v[105:106], v[115:116]
	v_fma_f64 v[105:106], v[107:108], v[125:126], v[105:106]
	s_waitcnt vmcnt(2)
	v_add_f64 v[111:112], v[111:112], -v[109:110]
	s_waitcnt vmcnt(0)
	v_add_f64 v[113:114], v[113:114], -v[105:106]
	buffer_store_dword v111, off, s[24:27], 0 ; 4-byte Folded Spill
	s_nop 0
	buffer_store_dword v112, off, s[24:27], 0 offset:4 ; 4-byte Folded Spill
	buffer_store_dword v113, off, s[24:27], 0 offset:8 ; 4-byte Folded Spill
	;; [unrolled: 1-line block ×3, first 2 shown]
	ds_read2_b64 v[105:108], v98 offset0:22 offset1:23
	v_mov_b32_e32 v113, v125
	v_mov_b32_e32 v114, v126
	s_waitcnt lgkmcnt(0)
	v_mul_f64 v[109:110], v[107:108], v[115:116]
	v_fma_f64 v[109:110], v[105:106], v[125:126], -v[109:110]
	v_mul_f64 v[105:106], v[105:106], v[115:116]
	v_add_f64 v[93:94], v[93:94], -v[109:110]
	v_fma_f64 v[105:106], v[107:108], v[125:126], v[105:106]
	v_add_f64 v[95:96], v[95:96], -v[105:106]
	ds_read2_b64 v[105:108], v98 offset0:24 offset1:25
	s_waitcnt lgkmcnt(0)
	v_mul_f64 v[109:110], v[107:108], v[115:116]
	v_fma_f64 v[109:110], v[105:106], v[125:126], -v[109:110]
	v_mul_f64 v[105:106], v[105:106], v[115:116]
	v_add_f64 v[89:90], v[89:90], -v[109:110]
	v_fma_f64 v[105:106], v[107:108], v[125:126], v[105:106]
	v_add_f64 v[91:92], v[91:92], -v[105:106]
	ds_read2_b64 v[105:108], v98 offset0:26 offset1:27
	;; [unrolled: 8-line block ×24, first 2 shown]
	s_waitcnt lgkmcnt(0)
	v_mul_f64 v[109:110], v[107:108], v[115:116]
	v_fma_f64 v[109:110], v[105:106], v[125:126], -v[109:110]
	v_mul_f64 v[105:106], v[105:106], v[115:116]
	buffer_store_dword v113, off, s[24:27], 0 offset:48 ; 4-byte Folded Spill
	s_nop 0
	buffer_store_dword v114, off, s[24:27], 0 offset:52 ; 4-byte Folded Spill
	buffer_store_dword v115, off, s[24:27], 0 offset:56 ; 4-byte Folded Spill
	;; [unrolled: 1-line block ×3, first 2 shown]
	v_add_f64 v[101:102], v[101:102], -v[109:110]
	v_fma_f64 v[105:106], v[107:108], v[125:126], v[105:106]
	v_add_f64 v[103:104], v[103:104], -v[105:106]
.LBB70_167:
	s_or_b64 exec, exec, s[0:1]
	s_waitcnt vmcnt(0)
	s_barrier
	buffer_load_dword v106, off, s[24:27], 0 offset:32 ; 4-byte Folded Reload
	buffer_load_dword v107, off, s[24:27], 0 offset:36 ; 4-byte Folded Reload
	;; [unrolled: 1-line block ×4, first 2 shown]
	v_lshl_add_u32 v105, v100, 4, v98
	s_cmp_lt_i32 s3, 10
	s_waitcnt vmcnt(0)
	ds_write2_b64 v105, v[106:107], v[108:109] offset1:1
	s_waitcnt lgkmcnt(0)
	s_barrier
	ds_read2_b64 v[121:124], v98 offset0:16 offset1:17
	v_mov_b32_e32 v105, 8
	s_cbranch_scc1 .LBB70_170
; %bb.168:
	v_add_u32_e32 v106, 0x90, v98
	s_mov_b32 s0, 9
	v_mov_b32_e32 v105, 8
.LBB70_169:                             ; =>This Inner Loop Header: Depth=1
	s_waitcnt lgkmcnt(0)
	v_cmp_gt_f64_e32 vcc, 0, v[121:122]
	v_xor_b32_e32 v111, 0x80000000, v122
	ds_read2_b64 v[107:110], v106 offset1:1
	v_xor_b32_e32 v113, 0x80000000, v124
	v_add_u32_e32 v106, 16, v106
	s_waitcnt lgkmcnt(0)
	v_xor_b32_e32 v115, 0x80000000, v110
	v_cndmask_b32_e32 v112, v122, v111, vcc
	v_cmp_gt_f64_e32 vcc, 0, v[123:124]
	v_mov_b32_e32 v111, v121
	v_cndmask_b32_e32 v114, v124, v113, vcc
	v_cmp_gt_f64_e32 vcc, 0, v[107:108]
	v_mov_b32_e32 v113, v123
	v_add_f64 v[111:112], v[111:112], v[113:114]
	v_xor_b32_e32 v113, 0x80000000, v108
	v_cndmask_b32_e32 v114, v108, v113, vcc
	v_cmp_gt_f64_e32 vcc, 0, v[109:110]
	v_mov_b32_e32 v113, v107
	v_cndmask_b32_e32 v116, v110, v115, vcc
	v_mov_b32_e32 v115, v109
	v_add_f64 v[113:114], v[113:114], v[115:116]
	v_cmp_lt_f64_e32 vcc, v[111:112], v[113:114]
	v_cndmask_b32_e32 v121, v121, v107, vcc
	v_mov_b32_e32 v107, s0
	s_add_i32 s0, s0, 1
	v_cndmask_b32_e32 v122, v122, v108, vcc
	v_cndmask_b32_e32 v124, v124, v110, vcc
	;; [unrolled: 1-line block ×4, first 2 shown]
	s_cmp_lg_u32 s3, s0
	s_cbranch_scc1 .LBB70_169
.LBB70_170:
	s_waitcnt lgkmcnt(0)
	v_cmp_eq_f64_e32 vcc, 0, v[121:122]
	v_cmp_eq_f64_e64 s[0:1], 0, v[123:124]
	s_and_b64 s[0:1], vcc, s[0:1]
	s_and_saveexec_b64 s[18:19], s[0:1]
	s_xor_b64 s[0:1], exec, s[18:19]
; %bb.171:
	v_cmp_ne_u32_e32 vcc, 0, v99
	v_cndmask_b32_e32 v99, 9, v99, vcc
; %bb.172:
	s_andn2_saveexec_b64 s[0:1], s[0:1]
	s_cbranch_execz .LBB70_178
; %bb.173:
	v_cmp_ngt_f64_e64 s[18:19], |v[121:122]|, |v[123:124]|
	s_and_saveexec_b64 s[20:21], s[18:19]
	s_xor_b64 s[18:19], exec, s[20:21]
	s_cbranch_execz .LBB70_175
; %bb.174:
	v_div_scale_f64 v[106:107], s[20:21], v[123:124], v[123:124], v[121:122]
	v_rcp_f64_e32 v[108:109], v[106:107]
	v_fma_f64 v[110:111], -v[106:107], v[108:109], 1.0
	v_fma_f64 v[108:109], v[108:109], v[110:111], v[108:109]
	v_div_scale_f64 v[110:111], vcc, v[121:122], v[123:124], v[121:122]
	v_fma_f64 v[112:113], -v[106:107], v[108:109], 1.0
	v_fma_f64 v[108:109], v[108:109], v[112:113], v[108:109]
	v_mul_f64 v[112:113], v[110:111], v[108:109]
	v_fma_f64 v[106:107], -v[106:107], v[112:113], v[110:111]
	v_div_fmas_f64 v[106:107], v[106:107], v[108:109], v[112:113]
	v_div_fixup_f64 v[106:107], v[106:107], v[123:124], v[121:122]
	v_fma_f64 v[108:109], v[121:122], v[106:107], v[123:124]
	v_div_scale_f64 v[110:111], s[20:21], v[108:109], v[108:109], 1.0
	v_div_scale_f64 v[116:117], vcc, 1.0, v[108:109], 1.0
	v_rcp_f64_e32 v[112:113], v[110:111]
	v_fma_f64 v[114:115], -v[110:111], v[112:113], 1.0
	v_fma_f64 v[112:113], v[112:113], v[114:115], v[112:113]
	v_fma_f64 v[114:115], -v[110:111], v[112:113], 1.0
	v_fma_f64 v[112:113], v[112:113], v[114:115], v[112:113]
	v_mul_f64 v[114:115], v[116:117], v[112:113]
	v_fma_f64 v[110:111], -v[110:111], v[114:115], v[116:117]
	v_div_fmas_f64 v[110:111], v[110:111], v[112:113], v[114:115]
	v_div_fixup_f64 v[123:124], v[110:111], v[108:109], 1.0
	v_mul_f64 v[121:122], v[106:107], v[123:124]
	v_xor_b32_e32 v124, 0x80000000, v124
.LBB70_175:
	s_andn2_saveexec_b64 s[18:19], s[18:19]
	s_cbranch_execz .LBB70_177
; %bb.176:
	v_div_scale_f64 v[106:107], s[20:21], v[121:122], v[121:122], v[123:124]
	v_rcp_f64_e32 v[108:109], v[106:107]
	v_fma_f64 v[110:111], -v[106:107], v[108:109], 1.0
	v_fma_f64 v[108:109], v[108:109], v[110:111], v[108:109]
	v_div_scale_f64 v[110:111], vcc, v[123:124], v[121:122], v[123:124]
	v_fma_f64 v[112:113], -v[106:107], v[108:109], 1.0
	v_fma_f64 v[108:109], v[108:109], v[112:113], v[108:109]
	v_mul_f64 v[112:113], v[110:111], v[108:109]
	v_fma_f64 v[106:107], -v[106:107], v[112:113], v[110:111]
	v_div_fmas_f64 v[106:107], v[106:107], v[108:109], v[112:113]
	v_div_fixup_f64 v[106:107], v[106:107], v[121:122], v[123:124]
	v_fma_f64 v[108:109], v[123:124], v[106:107], v[121:122]
	v_div_scale_f64 v[110:111], s[20:21], v[108:109], v[108:109], 1.0
	v_div_scale_f64 v[116:117], vcc, 1.0, v[108:109], 1.0
	v_rcp_f64_e32 v[112:113], v[110:111]
	v_fma_f64 v[114:115], -v[110:111], v[112:113], 1.0
	v_fma_f64 v[112:113], v[112:113], v[114:115], v[112:113]
	v_fma_f64 v[114:115], -v[110:111], v[112:113], 1.0
	v_fma_f64 v[112:113], v[112:113], v[114:115], v[112:113]
	v_mul_f64 v[114:115], v[116:117], v[112:113]
	v_fma_f64 v[110:111], -v[110:111], v[114:115], v[116:117]
	v_div_fmas_f64 v[110:111], v[110:111], v[112:113], v[114:115]
	v_div_fixup_f64 v[121:122], v[110:111], v[108:109], 1.0
	v_mul_f64 v[123:124], v[106:107], -v[121:122]
.LBB70_177:
	s_or_b64 exec, exec, s[18:19]
.LBB70_178:
	s_or_b64 exec, exec, s[0:1]
	v_cmp_ne_u32_e32 vcc, v100, v105
	s_and_saveexec_b64 s[0:1], vcc
	s_xor_b64 s[0:1], exec, s[0:1]
	s_cbranch_execz .LBB70_184
; %bb.179:
	v_cmp_eq_u32_e32 vcc, 8, v100
	s_and_saveexec_b64 s[18:19], vcc
	s_cbranch_execz .LBB70_183
; %bb.180:
	v_cmp_ne_u32_e32 vcc, 8, v105
	s_xor_b64 s[20:21], s[6:7], -1
	s_and_b64 s[22:23], s[20:21], vcc
	s_and_saveexec_b64 s[20:21], s[22:23]
	s_cbranch_execz .LBB70_182
; %bb.181:
	v_ashrrev_i32_e32 v106, 31, v105
	v_lshlrev_b64 v[106:107], 2, v[105:106]
	v_add_co_u32_e32 v106, vcc, v119, v106
	v_addc_co_u32_e32 v107, vcc, v120, v107, vcc
	global_load_dword v0, v[106:107], off
	global_load_dword v100, v[119:120], off offset:32
	s_waitcnt vmcnt(1)
	global_store_dword v[119:120], v0, off offset:32
	s_waitcnt vmcnt(1)
	global_store_dword v[106:107], v100, off
.LBB70_182:
	s_or_b64 exec, exec, s[20:21]
	v_mov_b32_e32 v100, v105
	v_mov_b32_e32 v0, v105
.LBB70_183:
	s_or_b64 exec, exec, s[18:19]
.LBB70_184:
	s_andn2_saveexec_b64 s[0:1], s[0:1]
	s_cbranch_execz .LBB70_186
; %bb.185:
	buffer_load_dword v105, off, s[24:27], 0 offset:16 ; 4-byte Folded Reload
	buffer_load_dword v106, off, s[24:27], 0 offset:20 ; 4-byte Folded Reload
	;; [unrolled: 1-line block ×4, first 2 shown]
	v_mov_b32_e32 v100, 8
	s_waitcnt vmcnt(0)
	ds_write2_b64 v98, v[105:106], v[107:108] offset0:18 offset1:19
	buffer_load_dword v105, off, s[24:27], 0 ; 4-byte Folded Reload
	buffer_load_dword v106, off, s[24:27], 0 offset:4 ; 4-byte Folded Reload
	buffer_load_dword v107, off, s[24:27], 0 offset:8 ; 4-byte Folded Reload
	;; [unrolled: 1-line block ×3, first 2 shown]
	s_waitcnt vmcnt(0)
	ds_write2_b64 v98, v[105:106], v[107:108] offset0:20 offset1:21
	ds_write2_b64 v98, v[93:94], v[95:96] offset0:22 offset1:23
	;; [unrolled: 1-line block ×26, first 2 shown]
.LBB70_186:
	s_or_b64 exec, exec, s[0:1]
	v_cmp_lt_i32_e32 vcc, 8, v100
	s_waitcnt vmcnt(0) lgkmcnt(0)
	s_barrier
	s_and_saveexec_b64 s[0:1], vcc
	s_cbranch_execz .LBB70_188
; %bb.187:
	buffer_load_dword v113, off, s[24:27], 0 offset:32 ; 4-byte Folded Reload
	buffer_load_dword v114, off, s[24:27], 0 offset:36 ; 4-byte Folded Reload
	;; [unrolled: 1-line block ×4, first 2 shown]
	s_waitcnt vmcnt(0)
	v_mul_f64 v[105:106], v[123:124], v[115:116]
	v_fma_f64 v[125:126], v[121:122], v[113:114], -v[105:106]
	v_mul_f64 v[105:106], v[121:122], v[115:116]
	v_fma_f64 v[115:116], v[123:124], v[113:114], v[105:106]
	ds_read2_b64 v[105:108], v98 offset0:18 offset1:19
	buffer_load_dword v111, off, s[24:27], 0 offset:16 ; 4-byte Folded Reload
	buffer_load_dword v112, off, s[24:27], 0 offset:20 ; 4-byte Folded Reload
	;; [unrolled: 1-line block ×4, first 2 shown]
	s_waitcnt lgkmcnt(0)
	v_mul_f64 v[109:110], v[107:108], v[115:116]
	v_fma_f64 v[109:110], v[105:106], v[125:126], -v[109:110]
	v_mul_f64 v[105:106], v[105:106], v[115:116]
	v_fma_f64 v[105:106], v[107:108], v[125:126], v[105:106]
	s_waitcnt vmcnt(2)
	v_add_f64 v[111:112], v[111:112], -v[109:110]
	s_waitcnt vmcnt(0)
	v_add_f64 v[113:114], v[113:114], -v[105:106]
	buffer_store_dword v111, off, s[24:27], 0 offset:16 ; 4-byte Folded Spill
	s_nop 0
	buffer_store_dword v112, off, s[24:27], 0 offset:20 ; 4-byte Folded Spill
	buffer_store_dword v113, off, s[24:27], 0 offset:24 ; 4-byte Folded Spill
	;; [unrolled: 1-line block ×3, first 2 shown]
	ds_read2_b64 v[105:108], v98 offset0:20 offset1:21
	buffer_load_dword v111, off, s[24:27], 0 ; 4-byte Folded Reload
	buffer_load_dword v112, off, s[24:27], 0 offset:4 ; 4-byte Folded Reload
	buffer_load_dword v113, off, s[24:27], 0 offset:8 ; 4-byte Folded Reload
	;; [unrolled: 1-line block ×3, first 2 shown]
	s_waitcnt lgkmcnt(0)
	v_mul_f64 v[109:110], v[107:108], v[115:116]
	v_fma_f64 v[109:110], v[105:106], v[125:126], -v[109:110]
	v_mul_f64 v[105:106], v[105:106], v[115:116]
	v_fma_f64 v[105:106], v[107:108], v[125:126], v[105:106]
	s_waitcnt vmcnt(2)
	v_add_f64 v[111:112], v[111:112], -v[109:110]
	s_waitcnt vmcnt(0)
	v_add_f64 v[113:114], v[113:114], -v[105:106]
	buffer_store_dword v111, off, s[24:27], 0 ; 4-byte Folded Spill
	s_nop 0
	buffer_store_dword v112, off, s[24:27], 0 offset:4 ; 4-byte Folded Spill
	buffer_store_dword v113, off, s[24:27], 0 offset:8 ; 4-byte Folded Spill
	;; [unrolled: 1-line block ×3, first 2 shown]
	ds_read2_b64 v[105:108], v98 offset0:22 offset1:23
	v_mov_b32_e32 v113, v125
	v_mov_b32_e32 v114, v126
	s_waitcnt lgkmcnt(0)
	v_mul_f64 v[109:110], v[107:108], v[115:116]
	v_fma_f64 v[109:110], v[105:106], v[125:126], -v[109:110]
	v_mul_f64 v[105:106], v[105:106], v[115:116]
	v_add_f64 v[93:94], v[93:94], -v[109:110]
	v_fma_f64 v[105:106], v[107:108], v[125:126], v[105:106]
	v_add_f64 v[95:96], v[95:96], -v[105:106]
	ds_read2_b64 v[105:108], v98 offset0:24 offset1:25
	s_waitcnt lgkmcnt(0)
	v_mul_f64 v[109:110], v[107:108], v[115:116]
	v_fma_f64 v[109:110], v[105:106], v[125:126], -v[109:110]
	v_mul_f64 v[105:106], v[105:106], v[115:116]
	v_add_f64 v[89:90], v[89:90], -v[109:110]
	v_fma_f64 v[105:106], v[107:108], v[125:126], v[105:106]
	v_add_f64 v[91:92], v[91:92], -v[105:106]
	ds_read2_b64 v[105:108], v98 offset0:26 offset1:27
	;; [unrolled: 8-line block ×24, first 2 shown]
	s_waitcnt lgkmcnt(0)
	v_mul_f64 v[109:110], v[107:108], v[115:116]
	v_fma_f64 v[109:110], v[105:106], v[125:126], -v[109:110]
	v_mul_f64 v[105:106], v[105:106], v[115:116]
	buffer_store_dword v113, off, s[24:27], 0 offset:32 ; 4-byte Folded Spill
	s_nop 0
	buffer_store_dword v114, off, s[24:27], 0 offset:36 ; 4-byte Folded Spill
	buffer_store_dword v115, off, s[24:27], 0 offset:40 ; 4-byte Folded Spill
	;; [unrolled: 1-line block ×3, first 2 shown]
	v_add_f64 v[101:102], v[101:102], -v[109:110]
	v_fma_f64 v[105:106], v[107:108], v[125:126], v[105:106]
	v_add_f64 v[103:104], v[103:104], -v[105:106]
.LBB70_188:
	s_or_b64 exec, exec, s[0:1]
	s_waitcnt vmcnt(0)
	s_barrier
	buffer_load_dword v106, off, s[24:27], 0 offset:16 ; 4-byte Folded Reload
	buffer_load_dword v107, off, s[24:27], 0 offset:20 ; 4-byte Folded Reload
	;; [unrolled: 1-line block ×4, first 2 shown]
	v_lshl_add_u32 v105, v100, 4, v98
	s_cmp_lt_i32 s3, 11
	s_waitcnt vmcnt(0)
	ds_write2_b64 v105, v[106:107], v[108:109] offset1:1
	s_waitcnt lgkmcnt(0)
	s_barrier
	ds_read2_b64 v[121:124], v98 offset0:18 offset1:19
	v_mov_b32_e32 v105, 9
	s_cbranch_scc1 .LBB70_191
; %bb.189:
	v_add_u32_e32 v106, 0xa0, v98
	s_mov_b32 s0, 10
	v_mov_b32_e32 v105, 9
.LBB70_190:                             ; =>This Inner Loop Header: Depth=1
	s_waitcnt lgkmcnt(0)
	v_cmp_gt_f64_e32 vcc, 0, v[121:122]
	v_xor_b32_e32 v111, 0x80000000, v122
	ds_read2_b64 v[107:110], v106 offset1:1
	v_xor_b32_e32 v113, 0x80000000, v124
	v_add_u32_e32 v106, 16, v106
	s_waitcnt lgkmcnt(0)
	v_xor_b32_e32 v115, 0x80000000, v110
	v_cndmask_b32_e32 v112, v122, v111, vcc
	v_cmp_gt_f64_e32 vcc, 0, v[123:124]
	v_mov_b32_e32 v111, v121
	v_cndmask_b32_e32 v114, v124, v113, vcc
	v_cmp_gt_f64_e32 vcc, 0, v[107:108]
	v_mov_b32_e32 v113, v123
	v_add_f64 v[111:112], v[111:112], v[113:114]
	v_xor_b32_e32 v113, 0x80000000, v108
	v_cndmask_b32_e32 v114, v108, v113, vcc
	v_cmp_gt_f64_e32 vcc, 0, v[109:110]
	v_mov_b32_e32 v113, v107
	v_cndmask_b32_e32 v116, v110, v115, vcc
	v_mov_b32_e32 v115, v109
	v_add_f64 v[113:114], v[113:114], v[115:116]
	v_cmp_lt_f64_e32 vcc, v[111:112], v[113:114]
	v_cndmask_b32_e32 v121, v121, v107, vcc
	v_mov_b32_e32 v107, s0
	s_add_i32 s0, s0, 1
	v_cndmask_b32_e32 v122, v122, v108, vcc
	v_cndmask_b32_e32 v124, v124, v110, vcc
	;; [unrolled: 1-line block ×4, first 2 shown]
	s_cmp_lg_u32 s3, s0
	s_cbranch_scc1 .LBB70_190
.LBB70_191:
	s_waitcnt lgkmcnt(0)
	v_cmp_eq_f64_e32 vcc, 0, v[121:122]
	v_cmp_eq_f64_e64 s[0:1], 0, v[123:124]
	s_and_b64 s[0:1], vcc, s[0:1]
	s_and_saveexec_b64 s[18:19], s[0:1]
	s_xor_b64 s[0:1], exec, s[18:19]
; %bb.192:
	v_cmp_ne_u32_e32 vcc, 0, v99
	v_cndmask_b32_e32 v99, 10, v99, vcc
; %bb.193:
	s_andn2_saveexec_b64 s[0:1], s[0:1]
	s_cbranch_execz .LBB70_199
; %bb.194:
	v_cmp_ngt_f64_e64 s[18:19], |v[121:122]|, |v[123:124]|
	s_and_saveexec_b64 s[20:21], s[18:19]
	s_xor_b64 s[18:19], exec, s[20:21]
	s_cbranch_execz .LBB70_196
; %bb.195:
	v_div_scale_f64 v[106:107], s[20:21], v[123:124], v[123:124], v[121:122]
	v_rcp_f64_e32 v[108:109], v[106:107]
	v_fma_f64 v[110:111], -v[106:107], v[108:109], 1.0
	v_fma_f64 v[108:109], v[108:109], v[110:111], v[108:109]
	v_div_scale_f64 v[110:111], vcc, v[121:122], v[123:124], v[121:122]
	v_fma_f64 v[112:113], -v[106:107], v[108:109], 1.0
	v_fma_f64 v[108:109], v[108:109], v[112:113], v[108:109]
	v_mul_f64 v[112:113], v[110:111], v[108:109]
	v_fma_f64 v[106:107], -v[106:107], v[112:113], v[110:111]
	v_div_fmas_f64 v[106:107], v[106:107], v[108:109], v[112:113]
	v_div_fixup_f64 v[106:107], v[106:107], v[123:124], v[121:122]
	v_fma_f64 v[108:109], v[121:122], v[106:107], v[123:124]
	v_div_scale_f64 v[110:111], s[20:21], v[108:109], v[108:109], 1.0
	v_div_scale_f64 v[116:117], vcc, 1.0, v[108:109], 1.0
	v_rcp_f64_e32 v[112:113], v[110:111]
	v_fma_f64 v[114:115], -v[110:111], v[112:113], 1.0
	v_fma_f64 v[112:113], v[112:113], v[114:115], v[112:113]
	v_fma_f64 v[114:115], -v[110:111], v[112:113], 1.0
	v_fma_f64 v[112:113], v[112:113], v[114:115], v[112:113]
	v_mul_f64 v[114:115], v[116:117], v[112:113]
	v_fma_f64 v[110:111], -v[110:111], v[114:115], v[116:117]
	v_div_fmas_f64 v[110:111], v[110:111], v[112:113], v[114:115]
	v_div_fixup_f64 v[123:124], v[110:111], v[108:109], 1.0
	v_mul_f64 v[121:122], v[106:107], v[123:124]
	v_xor_b32_e32 v124, 0x80000000, v124
.LBB70_196:
	s_andn2_saveexec_b64 s[18:19], s[18:19]
	s_cbranch_execz .LBB70_198
; %bb.197:
	v_div_scale_f64 v[106:107], s[20:21], v[121:122], v[121:122], v[123:124]
	v_rcp_f64_e32 v[108:109], v[106:107]
	v_fma_f64 v[110:111], -v[106:107], v[108:109], 1.0
	v_fma_f64 v[108:109], v[108:109], v[110:111], v[108:109]
	v_div_scale_f64 v[110:111], vcc, v[123:124], v[121:122], v[123:124]
	v_fma_f64 v[112:113], -v[106:107], v[108:109], 1.0
	v_fma_f64 v[108:109], v[108:109], v[112:113], v[108:109]
	v_mul_f64 v[112:113], v[110:111], v[108:109]
	v_fma_f64 v[106:107], -v[106:107], v[112:113], v[110:111]
	v_div_fmas_f64 v[106:107], v[106:107], v[108:109], v[112:113]
	v_div_fixup_f64 v[106:107], v[106:107], v[121:122], v[123:124]
	v_fma_f64 v[108:109], v[123:124], v[106:107], v[121:122]
	v_div_scale_f64 v[110:111], s[20:21], v[108:109], v[108:109], 1.0
	v_div_scale_f64 v[116:117], vcc, 1.0, v[108:109], 1.0
	v_rcp_f64_e32 v[112:113], v[110:111]
	v_fma_f64 v[114:115], -v[110:111], v[112:113], 1.0
	v_fma_f64 v[112:113], v[112:113], v[114:115], v[112:113]
	v_fma_f64 v[114:115], -v[110:111], v[112:113], 1.0
	v_fma_f64 v[112:113], v[112:113], v[114:115], v[112:113]
	v_mul_f64 v[114:115], v[116:117], v[112:113]
	v_fma_f64 v[110:111], -v[110:111], v[114:115], v[116:117]
	v_div_fmas_f64 v[110:111], v[110:111], v[112:113], v[114:115]
	v_div_fixup_f64 v[121:122], v[110:111], v[108:109], 1.0
	v_mul_f64 v[123:124], v[106:107], -v[121:122]
.LBB70_198:
	s_or_b64 exec, exec, s[18:19]
.LBB70_199:
	s_or_b64 exec, exec, s[0:1]
	v_cmp_ne_u32_e32 vcc, v100, v105
	s_and_saveexec_b64 s[0:1], vcc
	s_xor_b64 s[0:1], exec, s[0:1]
	s_cbranch_execz .LBB70_205
; %bb.200:
	v_cmp_eq_u32_e32 vcc, 9, v100
	s_and_saveexec_b64 s[18:19], vcc
	s_cbranch_execz .LBB70_204
; %bb.201:
	v_cmp_ne_u32_e32 vcc, 9, v105
	s_xor_b64 s[20:21], s[6:7], -1
	s_and_b64 s[22:23], s[20:21], vcc
	s_and_saveexec_b64 s[20:21], s[22:23]
	s_cbranch_execz .LBB70_203
; %bb.202:
	v_ashrrev_i32_e32 v106, 31, v105
	v_lshlrev_b64 v[106:107], 2, v[105:106]
	v_add_co_u32_e32 v106, vcc, v119, v106
	v_addc_co_u32_e32 v107, vcc, v120, v107, vcc
	global_load_dword v0, v[106:107], off
	global_load_dword v100, v[119:120], off offset:36
	s_waitcnt vmcnt(1)
	global_store_dword v[119:120], v0, off offset:36
	s_waitcnt vmcnt(1)
	global_store_dword v[106:107], v100, off
.LBB70_203:
	s_or_b64 exec, exec, s[20:21]
	v_mov_b32_e32 v100, v105
	v_mov_b32_e32 v0, v105
.LBB70_204:
	s_or_b64 exec, exec, s[18:19]
.LBB70_205:
	s_andn2_saveexec_b64 s[0:1], s[0:1]
	s_cbranch_execz .LBB70_207
; %bb.206:
	buffer_load_dword v105, off, s[24:27], 0 ; 4-byte Folded Reload
	buffer_load_dword v106, off, s[24:27], 0 offset:4 ; 4-byte Folded Reload
	buffer_load_dword v107, off, s[24:27], 0 offset:8 ; 4-byte Folded Reload
	;; [unrolled: 1-line block ×3, first 2 shown]
	v_mov_b32_e32 v100, 9
	s_waitcnt vmcnt(0)
	ds_write2_b64 v98, v[105:106], v[107:108] offset0:20 offset1:21
	ds_write2_b64 v98, v[93:94], v[95:96] offset0:22 offset1:23
	;; [unrolled: 1-line block ×26, first 2 shown]
.LBB70_207:
	s_or_b64 exec, exec, s[0:1]
	v_cmp_lt_i32_e32 vcc, 9, v100
	s_waitcnt vmcnt(0) lgkmcnt(0)
	s_barrier
	s_and_saveexec_b64 s[0:1], vcc
	s_cbranch_execz .LBB70_209
; %bb.208:
	buffer_load_dword v113, off, s[24:27], 0 offset:16 ; 4-byte Folded Reload
	buffer_load_dword v114, off, s[24:27], 0 offset:20 ; 4-byte Folded Reload
	;; [unrolled: 1-line block ×4, first 2 shown]
	s_waitcnt vmcnt(0)
	v_mul_f64 v[105:106], v[123:124], v[115:116]
	v_fma_f64 v[125:126], v[121:122], v[113:114], -v[105:106]
	v_mul_f64 v[105:106], v[121:122], v[115:116]
	v_fma_f64 v[115:116], v[123:124], v[113:114], v[105:106]
	ds_read2_b64 v[105:108], v98 offset0:20 offset1:21
	buffer_load_dword v111, off, s[24:27], 0 ; 4-byte Folded Reload
	buffer_load_dword v112, off, s[24:27], 0 offset:4 ; 4-byte Folded Reload
	buffer_load_dword v113, off, s[24:27], 0 offset:8 ; 4-byte Folded Reload
	;; [unrolled: 1-line block ×3, first 2 shown]
	s_waitcnt lgkmcnt(0)
	v_mul_f64 v[109:110], v[107:108], v[115:116]
	v_fma_f64 v[109:110], v[105:106], v[125:126], -v[109:110]
	v_mul_f64 v[105:106], v[105:106], v[115:116]
	v_fma_f64 v[105:106], v[107:108], v[125:126], v[105:106]
	s_waitcnt vmcnt(2)
	v_add_f64 v[111:112], v[111:112], -v[109:110]
	s_waitcnt vmcnt(0)
	v_add_f64 v[113:114], v[113:114], -v[105:106]
	buffer_store_dword v111, off, s[24:27], 0 ; 4-byte Folded Spill
	s_nop 0
	buffer_store_dword v112, off, s[24:27], 0 offset:4 ; 4-byte Folded Spill
	buffer_store_dword v113, off, s[24:27], 0 offset:8 ; 4-byte Folded Spill
	;; [unrolled: 1-line block ×3, first 2 shown]
	ds_read2_b64 v[105:108], v98 offset0:22 offset1:23
	v_mov_b32_e32 v113, v125
	v_mov_b32_e32 v114, v126
	s_waitcnt lgkmcnt(0)
	v_mul_f64 v[109:110], v[107:108], v[115:116]
	v_fma_f64 v[109:110], v[105:106], v[125:126], -v[109:110]
	v_mul_f64 v[105:106], v[105:106], v[115:116]
	v_add_f64 v[93:94], v[93:94], -v[109:110]
	v_fma_f64 v[105:106], v[107:108], v[125:126], v[105:106]
	v_add_f64 v[95:96], v[95:96], -v[105:106]
	ds_read2_b64 v[105:108], v98 offset0:24 offset1:25
	s_waitcnt lgkmcnt(0)
	v_mul_f64 v[109:110], v[107:108], v[115:116]
	v_fma_f64 v[109:110], v[105:106], v[125:126], -v[109:110]
	v_mul_f64 v[105:106], v[105:106], v[115:116]
	v_add_f64 v[89:90], v[89:90], -v[109:110]
	v_fma_f64 v[105:106], v[107:108], v[125:126], v[105:106]
	v_add_f64 v[91:92], v[91:92], -v[105:106]
	ds_read2_b64 v[105:108], v98 offset0:26 offset1:27
	;; [unrolled: 8-line block ×24, first 2 shown]
	s_waitcnt lgkmcnt(0)
	v_mul_f64 v[109:110], v[107:108], v[115:116]
	v_fma_f64 v[109:110], v[105:106], v[125:126], -v[109:110]
	v_mul_f64 v[105:106], v[105:106], v[115:116]
	buffer_store_dword v113, off, s[24:27], 0 offset:16 ; 4-byte Folded Spill
	s_nop 0
	buffer_store_dword v114, off, s[24:27], 0 offset:20 ; 4-byte Folded Spill
	buffer_store_dword v115, off, s[24:27], 0 offset:24 ; 4-byte Folded Spill
	;; [unrolled: 1-line block ×3, first 2 shown]
	v_add_f64 v[101:102], v[101:102], -v[109:110]
	v_fma_f64 v[105:106], v[107:108], v[125:126], v[105:106]
	v_add_f64 v[103:104], v[103:104], -v[105:106]
.LBB70_209:
	s_or_b64 exec, exec, s[0:1]
	s_waitcnt vmcnt(0)
	s_barrier
	buffer_load_dword v106, off, s[24:27], 0 ; 4-byte Folded Reload
	buffer_load_dword v107, off, s[24:27], 0 offset:4 ; 4-byte Folded Reload
	buffer_load_dword v108, off, s[24:27], 0 offset:8 ; 4-byte Folded Reload
	;; [unrolled: 1-line block ×3, first 2 shown]
	v_lshl_add_u32 v105, v100, 4, v98
	s_cmp_lt_i32 s3, 12
	s_waitcnt vmcnt(0)
	ds_write2_b64 v105, v[106:107], v[108:109] offset1:1
	s_waitcnt lgkmcnt(0)
	s_barrier
	ds_read2_b64 v[121:124], v98 offset0:20 offset1:21
	v_mov_b32_e32 v105, 10
	s_cbranch_scc1 .LBB70_212
; %bb.210:
	v_add_u32_e32 v106, 0xb0, v98
	s_mov_b32 s0, 11
	v_mov_b32_e32 v105, 10
.LBB70_211:                             ; =>This Inner Loop Header: Depth=1
	s_waitcnt lgkmcnt(0)
	v_cmp_gt_f64_e32 vcc, 0, v[121:122]
	v_xor_b32_e32 v111, 0x80000000, v122
	ds_read2_b64 v[107:110], v106 offset1:1
	v_xor_b32_e32 v113, 0x80000000, v124
	v_add_u32_e32 v106, 16, v106
	s_waitcnt lgkmcnt(0)
	v_xor_b32_e32 v115, 0x80000000, v110
	v_cndmask_b32_e32 v112, v122, v111, vcc
	v_cmp_gt_f64_e32 vcc, 0, v[123:124]
	v_mov_b32_e32 v111, v121
	v_cndmask_b32_e32 v114, v124, v113, vcc
	v_cmp_gt_f64_e32 vcc, 0, v[107:108]
	v_mov_b32_e32 v113, v123
	v_add_f64 v[111:112], v[111:112], v[113:114]
	v_xor_b32_e32 v113, 0x80000000, v108
	v_cndmask_b32_e32 v114, v108, v113, vcc
	v_cmp_gt_f64_e32 vcc, 0, v[109:110]
	v_mov_b32_e32 v113, v107
	v_cndmask_b32_e32 v116, v110, v115, vcc
	v_mov_b32_e32 v115, v109
	v_add_f64 v[113:114], v[113:114], v[115:116]
	v_cmp_lt_f64_e32 vcc, v[111:112], v[113:114]
	v_cndmask_b32_e32 v121, v121, v107, vcc
	v_mov_b32_e32 v107, s0
	s_add_i32 s0, s0, 1
	v_cndmask_b32_e32 v122, v122, v108, vcc
	v_cndmask_b32_e32 v124, v124, v110, vcc
	;; [unrolled: 1-line block ×4, first 2 shown]
	s_cmp_lg_u32 s3, s0
	s_cbranch_scc1 .LBB70_211
.LBB70_212:
	s_waitcnt lgkmcnt(0)
	v_cmp_eq_f64_e32 vcc, 0, v[121:122]
	v_cmp_eq_f64_e64 s[0:1], 0, v[123:124]
	s_and_b64 s[0:1], vcc, s[0:1]
	s_and_saveexec_b64 s[18:19], s[0:1]
	s_xor_b64 s[0:1], exec, s[18:19]
; %bb.213:
	v_cmp_ne_u32_e32 vcc, 0, v99
	v_cndmask_b32_e32 v99, 11, v99, vcc
; %bb.214:
	s_andn2_saveexec_b64 s[0:1], s[0:1]
	s_cbranch_execz .LBB70_220
; %bb.215:
	v_cmp_ngt_f64_e64 s[18:19], |v[121:122]|, |v[123:124]|
	s_and_saveexec_b64 s[20:21], s[18:19]
	s_xor_b64 s[18:19], exec, s[20:21]
	s_cbranch_execz .LBB70_217
; %bb.216:
	v_div_scale_f64 v[106:107], s[20:21], v[123:124], v[123:124], v[121:122]
	v_rcp_f64_e32 v[108:109], v[106:107]
	v_fma_f64 v[110:111], -v[106:107], v[108:109], 1.0
	v_fma_f64 v[108:109], v[108:109], v[110:111], v[108:109]
	v_div_scale_f64 v[110:111], vcc, v[121:122], v[123:124], v[121:122]
	v_fma_f64 v[112:113], -v[106:107], v[108:109], 1.0
	v_fma_f64 v[108:109], v[108:109], v[112:113], v[108:109]
	v_mul_f64 v[112:113], v[110:111], v[108:109]
	v_fma_f64 v[106:107], -v[106:107], v[112:113], v[110:111]
	v_div_fmas_f64 v[106:107], v[106:107], v[108:109], v[112:113]
	v_div_fixup_f64 v[106:107], v[106:107], v[123:124], v[121:122]
	v_fma_f64 v[108:109], v[121:122], v[106:107], v[123:124]
	v_div_scale_f64 v[110:111], s[20:21], v[108:109], v[108:109], 1.0
	v_div_scale_f64 v[116:117], vcc, 1.0, v[108:109], 1.0
	v_rcp_f64_e32 v[112:113], v[110:111]
	v_fma_f64 v[114:115], -v[110:111], v[112:113], 1.0
	v_fma_f64 v[112:113], v[112:113], v[114:115], v[112:113]
	v_fma_f64 v[114:115], -v[110:111], v[112:113], 1.0
	v_fma_f64 v[112:113], v[112:113], v[114:115], v[112:113]
	v_mul_f64 v[114:115], v[116:117], v[112:113]
	v_fma_f64 v[110:111], -v[110:111], v[114:115], v[116:117]
	v_div_fmas_f64 v[110:111], v[110:111], v[112:113], v[114:115]
	v_div_fixup_f64 v[123:124], v[110:111], v[108:109], 1.0
	v_mul_f64 v[121:122], v[106:107], v[123:124]
	v_xor_b32_e32 v124, 0x80000000, v124
.LBB70_217:
	s_andn2_saveexec_b64 s[18:19], s[18:19]
	s_cbranch_execz .LBB70_219
; %bb.218:
	v_div_scale_f64 v[106:107], s[20:21], v[121:122], v[121:122], v[123:124]
	v_rcp_f64_e32 v[108:109], v[106:107]
	v_fma_f64 v[110:111], -v[106:107], v[108:109], 1.0
	v_fma_f64 v[108:109], v[108:109], v[110:111], v[108:109]
	v_div_scale_f64 v[110:111], vcc, v[123:124], v[121:122], v[123:124]
	v_fma_f64 v[112:113], -v[106:107], v[108:109], 1.0
	v_fma_f64 v[108:109], v[108:109], v[112:113], v[108:109]
	v_mul_f64 v[112:113], v[110:111], v[108:109]
	v_fma_f64 v[106:107], -v[106:107], v[112:113], v[110:111]
	v_div_fmas_f64 v[106:107], v[106:107], v[108:109], v[112:113]
	v_div_fixup_f64 v[106:107], v[106:107], v[121:122], v[123:124]
	v_fma_f64 v[108:109], v[123:124], v[106:107], v[121:122]
	v_div_scale_f64 v[110:111], s[20:21], v[108:109], v[108:109], 1.0
	v_div_scale_f64 v[116:117], vcc, 1.0, v[108:109], 1.0
	v_rcp_f64_e32 v[112:113], v[110:111]
	v_fma_f64 v[114:115], -v[110:111], v[112:113], 1.0
	v_fma_f64 v[112:113], v[112:113], v[114:115], v[112:113]
	v_fma_f64 v[114:115], -v[110:111], v[112:113], 1.0
	v_fma_f64 v[112:113], v[112:113], v[114:115], v[112:113]
	v_mul_f64 v[114:115], v[116:117], v[112:113]
	v_fma_f64 v[110:111], -v[110:111], v[114:115], v[116:117]
	v_div_fmas_f64 v[110:111], v[110:111], v[112:113], v[114:115]
	v_div_fixup_f64 v[121:122], v[110:111], v[108:109], 1.0
	v_mul_f64 v[123:124], v[106:107], -v[121:122]
.LBB70_219:
	s_or_b64 exec, exec, s[18:19]
.LBB70_220:
	s_or_b64 exec, exec, s[0:1]
	v_cmp_ne_u32_e32 vcc, v100, v105
	s_and_saveexec_b64 s[0:1], vcc
	s_xor_b64 s[0:1], exec, s[0:1]
	s_cbranch_execz .LBB70_226
; %bb.221:
	v_cmp_eq_u32_e32 vcc, 10, v100
	s_and_saveexec_b64 s[18:19], vcc
	s_cbranch_execz .LBB70_225
; %bb.222:
	v_cmp_ne_u32_e32 vcc, 10, v105
	s_xor_b64 s[20:21], s[6:7], -1
	s_and_b64 s[22:23], s[20:21], vcc
	s_and_saveexec_b64 s[20:21], s[22:23]
	s_cbranch_execz .LBB70_224
; %bb.223:
	v_ashrrev_i32_e32 v106, 31, v105
	v_lshlrev_b64 v[106:107], 2, v[105:106]
	v_add_co_u32_e32 v106, vcc, v119, v106
	v_addc_co_u32_e32 v107, vcc, v120, v107, vcc
	global_load_dword v0, v[106:107], off
	global_load_dword v100, v[119:120], off offset:40
	s_waitcnt vmcnt(1)
	global_store_dword v[119:120], v0, off offset:40
	s_waitcnt vmcnt(1)
	global_store_dword v[106:107], v100, off
.LBB70_224:
	s_or_b64 exec, exec, s[20:21]
	v_mov_b32_e32 v100, v105
	v_mov_b32_e32 v0, v105
.LBB70_225:
	s_or_b64 exec, exec, s[18:19]
.LBB70_226:
	s_andn2_saveexec_b64 s[0:1], s[0:1]
	s_cbranch_execz .LBB70_228
; %bb.227:
	v_mov_b32_e32 v100, 10
	ds_write2_b64 v98, v[93:94], v[95:96] offset0:22 offset1:23
	ds_write2_b64 v98, v[89:90], v[91:92] offset0:24 offset1:25
	;; [unrolled: 1-line block ×25, first 2 shown]
.LBB70_228:
	s_or_b64 exec, exec, s[0:1]
	v_cmp_lt_i32_e32 vcc, 10, v100
	s_waitcnt vmcnt(0) lgkmcnt(0)
	s_barrier
	s_and_saveexec_b64 s[0:1], vcc
	s_cbranch_execz .LBB70_230
; %bb.229:
	buffer_load_dword v109, off, s[24:27], 0 ; 4-byte Folded Reload
	buffer_load_dword v110, off, s[24:27], 0 offset:4 ; 4-byte Folded Reload
	buffer_load_dword v111, off, s[24:27], 0 offset:8 ; 4-byte Folded Reload
	;; [unrolled: 1-line block ×3, first 2 shown]
	s_waitcnt vmcnt(0)
	v_mul_f64 v[105:106], v[123:124], v[111:112]
	v_fma_f64 v[125:126], v[121:122], v[109:110], -v[105:106]
	v_mul_f64 v[105:106], v[121:122], v[111:112]
	v_fma_f64 v[111:112], v[123:124], v[109:110], v[105:106]
	ds_read2_b64 v[105:108], v98 offset0:22 offset1:23
	s_waitcnt lgkmcnt(0)
	v_mul_f64 v[109:110], v[107:108], v[111:112]
	v_fma_f64 v[109:110], v[105:106], v[125:126], -v[109:110]
	v_mul_f64 v[105:106], v[105:106], v[111:112]
	v_add_f64 v[93:94], v[93:94], -v[109:110]
	v_fma_f64 v[105:106], v[107:108], v[125:126], v[105:106]
	v_add_f64 v[95:96], v[95:96], -v[105:106]
	ds_read2_b64 v[105:108], v98 offset0:24 offset1:25
	s_waitcnt lgkmcnt(0)
	v_mul_f64 v[109:110], v[107:108], v[111:112]
	v_fma_f64 v[109:110], v[105:106], v[125:126], -v[109:110]
	v_mul_f64 v[105:106], v[105:106], v[111:112]
	v_add_f64 v[89:90], v[89:90], -v[109:110]
	v_fma_f64 v[105:106], v[107:108], v[125:126], v[105:106]
	v_add_f64 v[91:92], v[91:92], -v[105:106]
	;; [unrolled: 8-line block ×24, first 2 shown]
	ds_read2_b64 v[105:108], v98 offset0:70 offset1:71
	s_waitcnt lgkmcnt(0)
	v_mul_f64 v[109:110], v[107:108], v[111:112]
	v_fma_f64 v[109:110], v[105:106], v[125:126], -v[109:110]
	v_mul_f64 v[105:106], v[105:106], v[111:112]
	v_add_f64 v[101:102], v[101:102], -v[109:110]
	v_fma_f64 v[105:106], v[107:108], v[125:126], v[105:106]
	v_mov_b32_e32 v109, v125
	v_mov_b32_e32 v110, v126
	buffer_store_dword v109, off, s[24:27], 0 ; 4-byte Folded Spill
	s_nop 0
	buffer_store_dword v110, off, s[24:27], 0 offset:4 ; 4-byte Folded Spill
	buffer_store_dword v111, off, s[24:27], 0 offset:8 ; 4-byte Folded Spill
	;; [unrolled: 1-line block ×3, first 2 shown]
	v_add_f64 v[103:104], v[103:104], -v[105:106]
.LBB70_230:
	s_or_b64 exec, exec, s[0:1]
	v_lshl_add_u32 v105, v100, 4, v98
	s_waitcnt vmcnt(0)
	s_barrier
	ds_write2_b64 v105, v[93:94], v[95:96] offset1:1
	s_waitcnt lgkmcnt(0)
	s_barrier
	ds_read2_b64 v[121:124], v98 offset0:22 offset1:23
	s_cmp_lt_i32 s3, 13
	v_mov_b32_e32 v105, 11
	s_cbranch_scc1 .LBB70_233
; %bb.231:
	v_add_u32_e32 v106, 0xc0, v98
	s_mov_b32 s0, 12
	v_mov_b32_e32 v105, 11
.LBB70_232:                             ; =>This Inner Loop Header: Depth=1
	s_waitcnt lgkmcnt(0)
	v_cmp_gt_f64_e32 vcc, 0, v[121:122]
	v_xor_b32_e32 v111, 0x80000000, v122
	ds_read2_b64 v[107:110], v106 offset1:1
	v_xor_b32_e32 v113, 0x80000000, v124
	v_add_u32_e32 v106, 16, v106
	s_waitcnt lgkmcnt(0)
	v_xor_b32_e32 v115, 0x80000000, v110
	v_cndmask_b32_e32 v112, v122, v111, vcc
	v_cmp_gt_f64_e32 vcc, 0, v[123:124]
	v_mov_b32_e32 v111, v121
	v_cndmask_b32_e32 v114, v124, v113, vcc
	v_cmp_gt_f64_e32 vcc, 0, v[107:108]
	v_mov_b32_e32 v113, v123
	v_add_f64 v[111:112], v[111:112], v[113:114]
	v_xor_b32_e32 v113, 0x80000000, v108
	v_cndmask_b32_e32 v114, v108, v113, vcc
	v_cmp_gt_f64_e32 vcc, 0, v[109:110]
	v_mov_b32_e32 v113, v107
	v_cndmask_b32_e32 v116, v110, v115, vcc
	v_mov_b32_e32 v115, v109
	v_add_f64 v[113:114], v[113:114], v[115:116]
	v_cmp_lt_f64_e32 vcc, v[111:112], v[113:114]
	v_cndmask_b32_e32 v121, v121, v107, vcc
	v_mov_b32_e32 v107, s0
	s_add_i32 s0, s0, 1
	v_cndmask_b32_e32 v122, v122, v108, vcc
	v_cndmask_b32_e32 v124, v124, v110, vcc
	;; [unrolled: 1-line block ×4, first 2 shown]
	s_cmp_lg_u32 s3, s0
	s_cbranch_scc1 .LBB70_232
.LBB70_233:
	s_waitcnt lgkmcnt(0)
	v_cmp_eq_f64_e32 vcc, 0, v[121:122]
	v_cmp_eq_f64_e64 s[0:1], 0, v[123:124]
	s_and_b64 s[0:1], vcc, s[0:1]
	s_and_saveexec_b64 s[18:19], s[0:1]
	s_xor_b64 s[0:1], exec, s[18:19]
; %bb.234:
	v_cmp_ne_u32_e32 vcc, 0, v99
	v_cndmask_b32_e32 v99, 12, v99, vcc
; %bb.235:
	s_andn2_saveexec_b64 s[0:1], s[0:1]
	s_cbranch_execz .LBB70_241
; %bb.236:
	v_cmp_ngt_f64_e64 s[18:19], |v[121:122]|, |v[123:124]|
	s_and_saveexec_b64 s[20:21], s[18:19]
	s_xor_b64 s[18:19], exec, s[20:21]
	s_cbranch_execz .LBB70_238
; %bb.237:
	v_div_scale_f64 v[106:107], s[20:21], v[123:124], v[123:124], v[121:122]
	v_rcp_f64_e32 v[108:109], v[106:107]
	v_fma_f64 v[110:111], -v[106:107], v[108:109], 1.0
	v_fma_f64 v[108:109], v[108:109], v[110:111], v[108:109]
	v_div_scale_f64 v[110:111], vcc, v[121:122], v[123:124], v[121:122]
	v_fma_f64 v[112:113], -v[106:107], v[108:109], 1.0
	v_fma_f64 v[108:109], v[108:109], v[112:113], v[108:109]
	v_mul_f64 v[112:113], v[110:111], v[108:109]
	v_fma_f64 v[106:107], -v[106:107], v[112:113], v[110:111]
	v_div_fmas_f64 v[106:107], v[106:107], v[108:109], v[112:113]
	v_div_fixup_f64 v[106:107], v[106:107], v[123:124], v[121:122]
	v_fma_f64 v[108:109], v[121:122], v[106:107], v[123:124]
	v_div_scale_f64 v[110:111], s[20:21], v[108:109], v[108:109], 1.0
	v_div_scale_f64 v[116:117], vcc, 1.0, v[108:109], 1.0
	v_rcp_f64_e32 v[112:113], v[110:111]
	v_fma_f64 v[114:115], -v[110:111], v[112:113], 1.0
	v_fma_f64 v[112:113], v[112:113], v[114:115], v[112:113]
	v_fma_f64 v[114:115], -v[110:111], v[112:113], 1.0
	v_fma_f64 v[112:113], v[112:113], v[114:115], v[112:113]
	v_mul_f64 v[114:115], v[116:117], v[112:113]
	v_fma_f64 v[110:111], -v[110:111], v[114:115], v[116:117]
	v_div_fmas_f64 v[110:111], v[110:111], v[112:113], v[114:115]
	v_div_fixup_f64 v[123:124], v[110:111], v[108:109], 1.0
	v_mul_f64 v[121:122], v[106:107], v[123:124]
	v_xor_b32_e32 v124, 0x80000000, v124
.LBB70_238:
	s_andn2_saveexec_b64 s[18:19], s[18:19]
	s_cbranch_execz .LBB70_240
; %bb.239:
	v_div_scale_f64 v[106:107], s[20:21], v[121:122], v[121:122], v[123:124]
	v_rcp_f64_e32 v[108:109], v[106:107]
	v_fma_f64 v[110:111], -v[106:107], v[108:109], 1.0
	v_fma_f64 v[108:109], v[108:109], v[110:111], v[108:109]
	v_div_scale_f64 v[110:111], vcc, v[123:124], v[121:122], v[123:124]
	v_fma_f64 v[112:113], -v[106:107], v[108:109], 1.0
	v_fma_f64 v[108:109], v[108:109], v[112:113], v[108:109]
	v_mul_f64 v[112:113], v[110:111], v[108:109]
	v_fma_f64 v[106:107], -v[106:107], v[112:113], v[110:111]
	v_div_fmas_f64 v[106:107], v[106:107], v[108:109], v[112:113]
	v_div_fixup_f64 v[106:107], v[106:107], v[121:122], v[123:124]
	v_fma_f64 v[108:109], v[123:124], v[106:107], v[121:122]
	v_div_scale_f64 v[110:111], s[20:21], v[108:109], v[108:109], 1.0
	v_div_scale_f64 v[116:117], vcc, 1.0, v[108:109], 1.0
	v_rcp_f64_e32 v[112:113], v[110:111]
	v_fma_f64 v[114:115], -v[110:111], v[112:113], 1.0
	v_fma_f64 v[112:113], v[112:113], v[114:115], v[112:113]
	v_fma_f64 v[114:115], -v[110:111], v[112:113], 1.0
	v_fma_f64 v[112:113], v[112:113], v[114:115], v[112:113]
	v_mul_f64 v[114:115], v[116:117], v[112:113]
	v_fma_f64 v[110:111], -v[110:111], v[114:115], v[116:117]
	v_div_fmas_f64 v[110:111], v[110:111], v[112:113], v[114:115]
	v_div_fixup_f64 v[121:122], v[110:111], v[108:109], 1.0
	v_mul_f64 v[123:124], v[106:107], -v[121:122]
.LBB70_240:
	s_or_b64 exec, exec, s[18:19]
.LBB70_241:
	s_or_b64 exec, exec, s[0:1]
	v_cmp_ne_u32_e32 vcc, v100, v105
	s_and_saveexec_b64 s[0:1], vcc
	s_xor_b64 s[0:1], exec, s[0:1]
	s_cbranch_execz .LBB70_247
; %bb.242:
	v_cmp_eq_u32_e32 vcc, 11, v100
	s_and_saveexec_b64 s[18:19], vcc
	s_cbranch_execz .LBB70_246
; %bb.243:
	v_cmp_ne_u32_e32 vcc, 11, v105
	s_xor_b64 s[20:21], s[6:7], -1
	s_and_b64 s[22:23], s[20:21], vcc
	s_and_saveexec_b64 s[20:21], s[22:23]
	s_cbranch_execz .LBB70_245
; %bb.244:
	v_ashrrev_i32_e32 v106, 31, v105
	v_lshlrev_b64 v[106:107], 2, v[105:106]
	v_add_co_u32_e32 v106, vcc, v119, v106
	v_addc_co_u32_e32 v107, vcc, v120, v107, vcc
	global_load_dword v0, v[106:107], off
	global_load_dword v100, v[119:120], off offset:44
	s_waitcnt vmcnt(1)
	global_store_dword v[119:120], v0, off offset:44
	s_waitcnt vmcnt(1)
	global_store_dword v[106:107], v100, off
.LBB70_245:
	s_or_b64 exec, exec, s[20:21]
	v_mov_b32_e32 v100, v105
	v_mov_b32_e32 v0, v105
.LBB70_246:
	s_or_b64 exec, exec, s[18:19]
.LBB70_247:
	s_andn2_saveexec_b64 s[0:1], s[0:1]
	s_cbranch_execz .LBB70_249
; %bb.248:
	v_mov_b32_e32 v100, 11
	ds_write2_b64 v98, v[89:90], v[91:92] offset0:24 offset1:25
	ds_write2_b64 v98, v[85:86], v[87:88] offset0:26 offset1:27
	;; [unrolled: 1-line block ×24, first 2 shown]
.LBB70_249:
	s_or_b64 exec, exec, s[0:1]
	v_cmp_lt_i32_e32 vcc, 11, v100
	s_waitcnt vmcnt(0) lgkmcnt(0)
	s_barrier
	s_and_saveexec_b64 s[0:1], vcc
	s_cbranch_execz .LBB70_251
; %bb.250:
	v_mul_f64 v[105:106], v[123:124], v[95:96]
	v_mul_f64 v[95:96], v[121:122], v[95:96]
	v_fma_f64 v[125:126], v[121:122], v[93:94], -v[105:106]
	v_fma_f64 v[95:96], v[123:124], v[93:94], v[95:96]
	ds_read2_b64 v[105:108], v98 offset0:24 offset1:25
	s_waitcnt lgkmcnt(0)
	v_mul_f64 v[93:94], v[107:108], v[95:96]
	v_fma_f64 v[93:94], v[105:106], v[125:126], -v[93:94]
	v_mul_f64 v[105:106], v[105:106], v[95:96]
	v_add_f64 v[89:90], v[89:90], -v[93:94]
	v_fma_f64 v[105:106], v[107:108], v[125:126], v[105:106]
	v_add_f64 v[91:92], v[91:92], -v[105:106]
	ds_read2_b64 v[105:108], v98 offset0:26 offset1:27
	s_waitcnt lgkmcnt(0)
	v_mul_f64 v[93:94], v[107:108], v[95:96]
	v_fma_f64 v[93:94], v[105:106], v[125:126], -v[93:94]
	v_mul_f64 v[105:106], v[105:106], v[95:96]
	v_add_f64 v[85:86], v[85:86], -v[93:94]
	v_fma_f64 v[105:106], v[107:108], v[125:126], v[105:106]
	v_add_f64 v[87:88], v[87:88], -v[105:106]
	;; [unrolled: 8-line block ×23, first 2 shown]
	ds_read2_b64 v[105:108], v98 offset0:70 offset1:71
	s_waitcnt lgkmcnt(0)
	v_mul_f64 v[93:94], v[107:108], v[95:96]
	v_fma_f64 v[93:94], v[105:106], v[125:126], -v[93:94]
	v_mul_f64 v[105:106], v[105:106], v[95:96]
	v_add_f64 v[101:102], v[101:102], -v[93:94]
	v_fma_f64 v[105:106], v[107:108], v[125:126], v[105:106]
	v_mov_b32_e32 v93, v125
	v_mov_b32_e32 v94, v126
	v_add_f64 v[103:104], v[103:104], -v[105:106]
.LBB70_251:
	s_or_b64 exec, exec, s[0:1]
	v_lshl_add_u32 v105, v100, 4, v98
	s_barrier
	ds_write2_b64 v105, v[89:90], v[91:92] offset1:1
	s_waitcnt lgkmcnt(0)
	s_barrier
	ds_read2_b64 v[121:124], v98 offset0:24 offset1:25
	s_cmp_lt_i32 s3, 14
	v_mov_b32_e32 v105, 12
	s_cbranch_scc1 .LBB70_254
; %bb.252:
	v_add_u32_e32 v106, 0xd0, v98
	s_mov_b32 s0, 13
	v_mov_b32_e32 v105, 12
.LBB70_253:                             ; =>This Inner Loop Header: Depth=1
	s_waitcnt lgkmcnt(0)
	v_cmp_gt_f64_e32 vcc, 0, v[121:122]
	v_xor_b32_e32 v111, 0x80000000, v122
	ds_read2_b64 v[107:110], v106 offset1:1
	v_xor_b32_e32 v113, 0x80000000, v124
	v_add_u32_e32 v106, 16, v106
	s_waitcnt lgkmcnt(0)
	v_xor_b32_e32 v115, 0x80000000, v110
	v_cndmask_b32_e32 v112, v122, v111, vcc
	v_cmp_gt_f64_e32 vcc, 0, v[123:124]
	v_mov_b32_e32 v111, v121
	v_cndmask_b32_e32 v114, v124, v113, vcc
	v_cmp_gt_f64_e32 vcc, 0, v[107:108]
	v_mov_b32_e32 v113, v123
	v_add_f64 v[111:112], v[111:112], v[113:114]
	v_xor_b32_e32 v113, 0x80000000, v108
	v_cndmask_b32_e32 v114, v108, v113, vcc
	v_cmp_gt_f64_e32 vcc, 0, v[109:110]
	v_mov_b32_e32 v113, v107
	v_cndmask_b32_e32 v116, v110, v115, vcc
	v_mov_b32_e32 v115, v109
	v_add_f64 v[113:114], v[113:114], v[115:116]
	v_cmp_lt_f64_e32 vcc, v[111:112], v[113:114]
	v_cndmask_b32_e32 v121, v121, v107, vcc
	v_mov_b32_e32 v107, s0
	s_add_i32 s0, s0, 1
	v_cndmask_b32_e32 v122, v122, v108, vcc
	v_cndmask_b32_e32 v124, v124, v110, vcc
	;; [unrolled: 1-line block ×4, first 2 shown]
	s_cmp_lg_u32 s3, s0
	s_cbranch_scc1 .LBB70_253
.LBB70_254:
	s_waitcnt lgkmcnt(0)
	v_cmp_eq_f64_e32 vcc, 0, v[121:122]
	v_cmp_eq_f64_e64 s[0:1], 0, v[123:124]
	s_and_b64 s[0:1], vcc, s[0:1]
	s_and_saveexec_b64 s[18:19], s[0:1]
	s_xor_b64 s[0:1], exec, s[18:19]
; %bb.255:
	v_cmp_ne_u32_e32 vcc, 0, v99
	v_cndmask_b32_e32 v99, 13, v99, vcc
; %bb.256:
	s_andn2_saveexec_b64 s[0:1], s[0:1]
	s_cbranch_execz .LBB70_262
; %bb.257:
	v_cmp_ngt_f64_e64 s[18:19], |v[121:122]|, |v[123:124]|
	s_and_saveexec_b64 s[20:21], s[18:19]
	s_xor_b64 s[18:19], exec, s[20:21]
	s_cbranch_execz .LBB70_259
; %bb.258:
	v_div_scale_f64 v[106:107], s[20:21], v[123:124], v[123:124], v[121:122]
	v_rcp_f64_e32 v[108:109], v[106:107]
	v_fma_f64 v[110:111], -v[106:107], v[108:109], 1.0
	v_fma_f64 v[108:109], v[108:109], v[110:111], v[108:109]
	v_div_scale_f64 v[110:111], vcc, v[121:122], v[123:124], v[121:122]
	v_fma_f64 v[112:113], -v[106:107], v[108:109], 1.0
	v_fma_f64 v[108:109], v[108:109], v[112:113], v[108:109]
	v_mul_f64 v[112:113], v[110:111], v[108:109]
	v_fma_f64 v[106:107], -v[106:107], v[112:113], v[110:111]
	v_div_fmas_f64 v[106:107], v[106:107], v[108:109], v[112:113]
	v_div_fixup_f64 v[106:107], v[106:107], v[123:124], v[121:122]
	v_fma_f64 v[108:109], v[121:122], v[106:107], v[123:124]
	v_div_scale_f64 v[110:111], s[20:21], v[108:109], v[108:109], 1.0
	v_div_scale_f64 v[116:117], vcc, 1.0, v[108:109], 1.0
	v_rcp_f64_e32 v[112:113], v[110:111]
	v_fma_f64 v[114:115], -v[110:111], v[112:113], 1.0
	v_fma_f64 v[112:113], v[112:113], v[114:115], v[112:113]
	v_fma_f64 v[114:115], -v[110:111], v[112:113], 1.0
	v_fma_f64 v[112:113], v[112:113], v[114:115], v[112:113]
	v_mul_f64 v[114:115], v[116:117], v[112:113]
	v_fma_f64 v[110:111], -v[110:111], v[114:115], v[116:117]
	v_div_fmas_f64 v[110:111], v[110:111], v[112:113], v[114:115]
	v_div_fixup_f64 v[123:124], v[110:111], v[108:109], 1.0
	v_mul_f64 v[121:122], v[106:107], v[123:124]
	v_xor_b32_e32 v124, 0x80000000, v124
.LBB70_259:
	s_andn2_saveexec_b64 s[18:19], s[18:19]
	s_cbranch_execz .LBB70_261
; %bb.260:
	v_div_scale_f64 v[106:107], s[20:21], v[121:122], v[121:122], v[123:124]
	v_rcp_f64_e32 v[108:109], v[106:107]
	v_fma_f64 v[110:111], -v[106:107], v[108:109], 1.0
	v_fma_f64 v[108:109], v[108:109], v[110:111], v[108:109]
	v_div_scale_f64 v[110:111], vcc, v[123:124], v[121:122], v[123:124]
	v_fma_f64 v[112:113], -v[106:107], v[108:109], 1.0
	v_fma_f64 v[108:109], v[108:109], v[112:113], v[108:109]
	v_mul_f64 v[112:113], v[110:111], v[108:109]
	v_fma_f64 v[106:107], -v[106:107], v[112:113], v[110:111]
	v_div_fmas_f64 v[106:107], v[106:107], v[108:109], v[112:113]
	v_div_fixup_f64 v[106:107], v[106:107], v[121:122], v[123:124]
	v_fma_f64 v[108:109], v[123:124], v[106:107], v[121:122]
	v_div_scale_f64 v[110:111], s[20:21], v[108:109], v[108:109], 1.0
	v_div_scale_f64 v[116:117], vcc, 1.0, v[108:109], 1.0
	v_rcp_f64_e32 v[112:113], v[110:111]
	v_fma_f64 v[114:115], -v[110:111], v[112:113], 1.0
	v_fma_f64 v[112:113], v[112:113], v[114:115], v[112:113]
	v_fma_f64 v[114:115], -v[110:111], v[112:113], 1.0
	v_fma_f64 v[112:113], v[112:113], v[114:115], v[112:113]
	v_mul_f64 v[114:115], v[116:117], v[112:113]
	v_fma_f64 v[110:111], -v[110:111], v[114:115], v[116:117]
	v_div_fmas_f64 v[110:111], v[110:111], v[112:113], v[114:115]
	v_div_fixup_f64 v[121:122], v[110:111], v[108:109], 1.0
	v_mul_f64 v[123:124], v[106:107], -v[121:122]
.LBB70_261:
	s_or_b64 exec, exec, s[18:19]
.LBB70_262:
	s_or_b64 exec, exec, s[0:1]
	v_cmp_ne_u32_e32 vcc, v100, v105
	s_and_saveexec_b64 s[0:1], vcc
	s_xor_b64 s[0:1], exec, s[0:1]
	s_cbranch_execz .LBB70_268
; %bb.263:
	v_cmp_eq_u32_e32 vcc, 12, v100
	s_and_saveexec_b64 s[18:19], vcc
	s_cbranch_execz .LBB70_267
; %bb.264:
	v_cmp_ne_u32_e32 vcc, 12, v105
	s_xor_b64 s[20:21], s[6:7], -1
	s_and_b64 s[22:23], s[20:21], vcc
	s_and_saveexec_b64 s[20:21], s[22:23]
	s_cbranch_execz .LBB70_266
; %bb.265:
	v_ashrrev_i32_e32 v106, 31, v105
	v_lshlrev_b64 v[106:107], 2, v[105:106]
	v_add_co_u32_e32 v106, vcc, v119, v106
	v_addc_co_u32_e32 v107, vcc, v120, v107, vcc
	global_load_dword v0, v[106:107], off
	global_load_dword v100, v[119:120], off offset:48
	s_waitcnt vmcnt(1)
	global_store_dword v[119:120], v0, off offset:48
	s_waitcnt vmcnt(1)
	global_store_dword v[106:107], v100, off
.LBB70_266:
	s_or_b64 exec, exec, s[20:21]
	v_mov_b32_e32 v100, v105
	v_mov_b32_e32 v0, v105
.LBB70_267:
	s_or_b64 exec, exec, s[18:19]
.LBB70_268:
	s_andn2_saveexec_b64 s[0:1], s[0:1]
	s_cbranch_execz .LBB70_270
; %bb.269:
	v_mov_b32_e32 v100, 12
	ds_write2_b64 v98, v[85:86], v[87:88] offset0:26 offset1:27
	ds_write2_b64 v98, v[81:82], v[83:84] offset0:28 offset1:29
	;; [unrolled: 1-line block ×23, first 2 shown]
.LBB70_270:
	s_or_b64 exec, exec, s[0:1]
	v_cmp_lt_i32_e32 vcc, 12, v100
	s_waitcnt vmcnt(0) lgkmcnt(0)
	s_barrier
	s_and_saveexec_b64 s[0:1], vcc
	s_cbranch_execz .LBB70_272
; %bb.271:
	v_mul_f64 v[105:106], v[123:124], v[91:92]
	v_mul_f64 v[91:92], v[121:122], v[91:92]
	v_fma_f64 v[125:126], v[121:122], v[89:90], -v[105:106]
	v_fma_f64 v[91:92], v[123:124], v[89:90], v[91:92]
	ds_read2_b64 v[105:108], v98 offset0:26 offset1:27
	s_waitcnt lgkmcnt(0)
	v_mul_f64 v[89:90], v[107:108], v[91:92]
	v_fma_f64 v[89:90], v[105:106], v[125:126], -v[89:90]
	v_mul_f64 v[105:106], v[105:106], v[91:92]
	v_add_f64 v[85:86], v[85:86], -v[89:90]
	v_fma_f64 v[105:106], v[107:108], v[125:126], v[105:106]
	v_add_f64 v[87:88], v[87:88], -v[105:106]
	ds_read2_b64 v[105:108], v98 offset0:28 offset1:29
	s_waitcnt lgkmcnt(0)
	v_mul_f64 v[89:90], v[107:108], v[91:92]
	v_fma_f64 v[89:90], v[105:106], v[125:126], -v[89:90]
	v_mul_f64 v[105:106], v[105:106], v[91:92]
	v_add_f64 v[81:82], v[81:82], -v[89:90]
	v_fma_f64 v[105:106], v[107:108], v[125:126], v[105:106]
	v_add_f64 v[83:84], v[83:84], -v[105:106]
	;; [unrolled: 8-line block ×22, first 2 shown]
	ds_read2_b64 v[105:108], v98 offset0:70 offset1:71
	s_waitcnt lgkmcnt(0)
	v_mul_f64 v[89:90], v[107:108], v[91:92]
	v_fma_f64 v[89:90], v[105:106], v[125:126], -v[89:90]
	v_mul_f64 v[105:106], v[105:106], v[91:92]
	v_add_f64 v[101:102], v[101:102], -v[89:90]
	v_fma_f64 v[105:106], v[107:108], v[125:126], v[105:106]
	v_mov_b32_e32 v89, v125
	v_mov_b32_e32 v90, v126
	v_add_f64 v[103:104], v[103:104], -v[105:106]
.LBB70_272:
	s_or_b64 exec, exec, s[0:1]
	v_lshl_add_u32 v105, v100, 4, v98
	s_barrier
	ds_write2_b64 v105, v[85:86], v[87:88] offset1:1
	s_waitcnt lgkmcnt(0)
	s_barrier
	ds_read2_b64 v[121:124], v98 offset0:26 offset1:27
	s_cmp_lt_i32 s3, 15
	v_mov_b32_e32 v105, 13
	s_cbranch_scc1 .LBB70_275
; %bb.273:
	v_add_u32_e32 v106, 0xe0, v98
	s_mov_b32 s0, 14
	v_mov_b32_e32 v105, 13
.LBB70_274:                             ; =>This Inner Loop Header: Depth=1
	s_waitcnt lgkmcnt(0)
	v_cmp_gt_f64_e32 vcc, 0, v[121:122]
	v_xor_b32_e32 v111, 0x80000000, v122
	ds_read2_b64 v[107:110], v106 offset1:1
	v_xor_b32_e32 v113, 0x80000000, v124
	v_add_u32_e32 v106, 16, v106
	s_waitcnt lgkmcnt(0)
	v_xor_b32_e32 v115, 0x80000000, v110
	v_cndmask_b32_e32 v112, v122, v111, vcc
	v_cmp_gt_f64_e32 vcc, 0, v[123:124]
	v_mov_b32_e32 v111, v121
	v_cndmask_b32_e32 v114, v124, v113, vcc
	v_cmp_gt_f64_e32 vcc, 0, v[107:108]
	v_mov_b32_e32 v113, v123
	v_add_f64 v[111:112], v[111:112], v[113:114]
	v_xor_b32_e32 v113, 0x80000000, v108
	v_cndmask_b32_e32 v114, v108, v113, vcc
	v_cmp_gt_f64_e32 vcc, 0, v[109:110]
	v_mov_b32_e32 v113, v107
	v_cndmask_b32_e32 v116, v110, v115, vcc
	v_mov_b32_e32 v115, v109
	v_add_f64 v[113:114], v[113:114], v[115:116]
	v_cmp_lt_f64_e32 vcc, v[111:112], v[113:114]
	v_cndmask_b32_e32 v121, v121, v107, vcc
	v_mov_b32_e32 v107, s0
	s_add_i32 s0, s0, 1
	v_cndmask_b32_e32 v122, v122, v108, vcc
	v_cndmask_b32_e32 v124, v124, v110, vcc
	;; [unrolled: 1-line block ×4, first 2 shown]
	s_cmp_lg_u32 s3, s0
	s_cbranch_scc1 .LBB70_274
.LBB70_275:
	s_waitcnt lgkmcnt(0)
	v_cmp_eq_f64_e32 vcc, 0, v[121:122]
	v_cmp_eq_f64_e64 s[0:1], 0, v[123:124]
	s_and_b64 s[0:1], vcc, s[0:1]
	s_and_saveexec_b64 s[18:19], s[0:1]
	s_xor_b64 s[0:1], exec, s[18:19]
; %bb.276:
	v_cmp_ne_u32_e32 vcc, 0, v99
	v_cndmask_b32_e32 v99, 14, v99, vcc
; %bb.277:
	s_andn2_saveexec_b64 s[0:1], s[0:1]
	s_cbranch_execz .LBB70_283
; %bb.278:
	v_cmp_ngt_f64_e64 s[18:19], |v[121:122]|, |v[123:124]|
	s_and_saveexec_b64 s[20:21], s[18:19]
	s_xor_b64 s[18:19], exec, s[20:21]
	s_cbranch_execz .LBB70_280
; %bb.279:
	v_div_scale_f64 v[106:107], s[20:21], v[123:124], v[123:124], v[121:122]
	v_rcp_f64_e32 v[108:109], v[106:107]
	v_fma_f64 v[110:111], -v[106:107], v[108:109], 1.0
	v_fma_f64 v[108:109], v[108:109], v[110:111], v[108:109]
	v_div_scale_f64 v[110:111], vcc, v[121:122], v[123:124], v[121:122]
	v_fma_f64 v[112:113], -v[106:107], v[108:109], 1.0
	v_fma_f64 v[108:109], v[108:109], v[112:113], v[108:109]
	v_mul_f64 v[112:113], v[110:111], v[108:109]
	v_fma_f64 v[106:107], -v[106:107], v[112:113], v[110:111]
	v_div_fmas_f64 v[106:107], v[106:107], v[108:109], v[112:113]
	v_div_fixup_f64 v[106:107], v[106:107], v[123:124], v[121:122]
	v_fma_f64 v[108:109], v[121:122], v[106:107], v[123:124]
	v_div_scale_f64 v[110:111], s[20:21], v[108:109], v[108:109], 1.0
	v_div_scale_f64 v[116:117], vcc, 1.0, v[108:109], 1.0
	v_rcp_f64_e32 v[112:113], v[110:111]
	v_fma_f64 v[114:115], -v[110:111], v[112:113], 1.0
	v_fma_f64 v[112:113], v[112:113], v[114:115], v[112:113]
	v_fma_f64 v[114:115], -v[110:111], v[112:113], 1.0
	v_fma_f64 v[112:113], v[112:113], v[114:115], v[112:113]
	v_mul_f64 v[114:115], v[116:117], v[112:113]
	v_fma_f64 v[110:111], -v[110:111], v[114:115], v[116:117]
	v_div_fmas_f64 v[110:111], v[110:111], v[112:113], v[114:115]
	v_div_fixup_f64 v[123:124], v[110:111], v[108:109], 1.0
	v_mul_f64 v[121:122], v[106:107], v[123:124]
	v_xor_b32_e32 v124, 0x80000000, v124
.LBB70_280:
	s_andn2_saveexec_b64 s[18:19], s[18:19]
	s_cbranch_execz .LBB70_282
; %bb.281:
	v_div_scale_f64 v[106:107], s[20:21], v[121:122], v[121:122], v[123:124]
	v_rcp_f64_e32 v[108:109], v[106:107]
	v_fma_f64 v[110:111], -v[106:107], v[108:109], 1.0
	v_fma_f64 v[108:109], v[108:109], v[110:111], v[108:109]
	v_div_scale_f64 v[110:111], vcc, v[123:124], v[121:122], v[123:124]
	v_fma_f64 v[112:113], -v[106:107], v[108:109], 1.0
	v_fma_f64 v[108:109], v[108:109], v[112:113], v[108:109]
	v_mul_f64 v[112:113], v[110:111], v[108:109]
	v_fma_f64 v[106:107], -v[106:107], v[112:113], v[110:111]
	v_div_fmas_f64 v[106:107], v[106:107], v[108:109], v[112:113]
	v_div_fixup_f64 v[106:107], v[106:107], v[121:122], v[123:124]
	v_fma_f64 v[108:109], v[123:124], v[106:107], v[121:122]
	v_div_scale_f64 v[110:111], s[20:21], v[108:109], v[108:109], 1.0
	v_div_scale_f64 v[116:117], vcc, 1.0, v[108:109], 1.0
	v_rcp_f64_e32 v[112:113], v[110:111]
	v_fma_f64 v[114:115], -v[110:111], v[112:113], 1.0
	v_fma_f64 v[112:113], v[112:113], v[114:115], v[112:113]
	v_fma_f64 v[114:115], -v[110:111], v[112:113], 1.0
	v_fma_f64 v[112:113], v[112:113], v[114:115], v[112:113]
	v_mul_f64 v[114:115], v[116:117], v[112:113]
	v_fma_f64 v[110:111], -v[110:111], v[114:115], v[116:117]
	v_div_fmas_f64 v[110:111], v[110:111], v[112:113], v[114:115]
	v_div_fixup_f64 v[121:122], v[110:111], v[108:109], 1.0
	v_mul_f64 v[123:124], v[106:107], -v[121:122]
.LBB70_282:
	s_or_b64 exec, exec, s[18:19]
.LBB70_283:
	s_or_b64 exec, exec, s[0:1]
	v_cmp_ne_u32_e32 vcc, v100, v105
	s_and_saveexec_b64 s[0:1], vcc
	s_xor_b64 s[0:1], exec, s[0:1]
	s_cbranch_execz .LBB70_289
; %bb.284:
	v_cmp_eq_u32_e32 vcc, 13, v100
	s_and_saveexec_b64 s[18:19], vcc
	s_cbranch_execz .LBB70_288
; %bb.285:
	v_cmp_ne_u32_e32 vcc, 13, v105
	s_xor_b64 s[20:21], s[6:7], -1
	s_and_b64 s[22:23], s[20:21], vcc
	s_and_saveexec_b64 s[20:21], s[22:23]
	s_cbranch_execz .LBB70_287
; %bb.286:
	v_ashrrev_i32_e32 v106, 31, v105
	v_lshlrev_b64 v[106:107], 2, v[105:106]
	v_add_co_u32_e32 v106, vcc, v119, v106
	v_addc_co_u32_e32 v107, vcc, v120, v107, vcc
	global_load_dword v0, v[106:107], off
	global_load_dword v100, v[119:120], off offset:52
	s_waitcnt vmcnt(1)
	global_store_dword v[119:120], v0, off offset:52
	s_waitcnt vmcnt(1)
	global_store_dword v[106:107], v100, off
.LBB70_287:
	s_or_b64 exec, exec, s[20:21]
	v_mov_b32_e32 v100, v105
	v_mov_b32_e32 v0, v105
.LBB70_288:
	s_or_b64 exec, exec, s[18:19]
.LBB70_289:
	s_andn2_saveexec_b64 s[0:1], s[0:1]
	s_cbranch_execz .LBB70_291
; %bb.290:
	v_mov_b32_e32 v100, 13
	ds_write2_b64 v98, v[81:82], v[83:84] offset0:28 offset1:29
	ds_write2_b64 v98, v[77:78], v[79:80] offset0:30 offset1:31
	;; [unrolled: 1-line block ×22, first 2 shown]
.LBB70_291:
	s_or_b64 exec, exec, s[0:1]
	v_cmp_lt_i32_e32 vcc, 13, v100
	s_waitcnt vmcnt(0) lgkmcnt(0)
	s_barrier
	s_and_saveexec_b64 s[0:1], vcc
	s_cbranch_execz .LBB70_293
; %bb.292:
	v_mul_f64 v[105:106], v[123:124], v[87:88]
	v_mul_f64 v[87:88], v[121:122], v[87:88]
	v_fma_f64 v[125:126], v[121:122], v[85:86], -v[105:106]
	v_fma_f64 v[87:88], v[123:124], v[85:86], v[87:88]
	ds_read2_b64 v[105:108], v98 offset0:28 offset1:29
	s_waitcnt lgkmcnt(0)
	v_mul_f64 v[85:86], v[107:108], v[87:88]
	v_fma_f64 v[85:86], v[105:106], v[125:126], -v[85:86]
	v_mul_f64 v[105:106], v[105:106], v[87:88]
	v_add_f64 v[81:82], v[81:82], -v[85:86]
	v_fma_f64 v[105:106], v[107:108], v[125:126], v[105:106]
	v_add_f64 v[83:84], v[83:84], -v[105:106]
	ds_read2_b64 v[105:108], v98 offset0:30 offset1:31
	s_waitcnt lgkmcnt(0)
	v_mul_f64 v[85:86], v[107:108], v[87:88]
	v_fma_f64 v[85:86], v[105:106], v[125:126], -v[85:86]
	v_mul_f64 v[105:106], v[105:106], v[87:88]
	v_add_f64 v[77:78], v[77:78], -v[85:86]
	v_fma_f64 v[105:106], v[107:108], v[125:126], v[105:106]
	v_add_f64 v[79:80], v[79:80], -v[105:106]
	;; [unrolled: 8-line block ×21, first 2 shown]
	ds_read2_b64 v[105:108], v98 offset0:70 offset1:71
	s_waitcnt lgkmcnt(0)
	v_mul_f64 v[85:86], v[107:108], v[87:88]
	v_fma_f64 v[85:86], v[105:106], v[125:126], -v[85:86]
	v_mul_f64 v[105:106], v[105:106], v[87:88]
	v_add_f64 v[101:102], v[101:102], -v[85:86]
	v_fma_f64 v[105:106], v[107:108], v[125:126], v[105:106]
	v_mov_b32_e32 v85, v125
	v_mov_b32_e32 v86, v126
	v_add_f64 v[103:104], v[103:104], -v[105:106]
.LBB70_293:
	s_or_b64 exec, exec, s[0:1]
	v_lshl_add_u32 v105, v100, 4, v98
	s_barrier
	ds_write2_b64 v105, v[81:82], v[83:84] offset1:1
	s_waitcnt lgkmcnt(0)
	s_barrier
	ds_read2_b64 v[121:124], v98 offset0:28 offset1:29
	s_cmp_lt_i32 s3, 16
	v_mov_b32_e32 v105, 14
	s_cbranch_scc1 .LBB70_296
; %bb.294:
	v_add_u32_e32 v106, 0xf0, v98
	s_mov_b32 s0, 15
	v_mov_b32_e32 v105, 14
.LBB70_295:                             ; =>This Inner Loop Header: Depth=1
	s_waitcnt lgkmcnt(0)
	v_cmp_gt_f64_e32 vcc, 0, v[121:122]
	v_xor_b32_e32 v111, 0x80000000, v122
	ds_read2_b64 v[107:110], v106 offset1:1
	v_xor_b32_e32 v113, 0x80000000, v124
	v_add_u32_e32 v106, 16, v106
	s_waitcnt lgkmcnt(0)
	v_xor_b32_e32 v115, 0x80000000, v110
	v_cndmask_b32_e32 v112, v122, v111, vcc
	v_cmp_gt_f64_e32 vcc, 0, v[123:124]
	v_mov_b32_e32 v111, v121
	v_cndmask_b32_e32 v114, v124, v113, vcc
	v_cmp_gt_f64_e32 vcc, 0, v[107:108]
	v_mov_b32_e32 v113, v123
	v_add_f64 v[111:112], v[111:112], v[113:114]
	v_xor_b32_e32 v113, 0x80000000, v108
	v_cndmask_b32_e32 v114, v108, v113, vcc
	v_cmp_gt_f64_e32 vcc, 0, v[109:110]
	v_mov_b32_e32 v113, v107
	v_cndmask_b32_e32 v116, v110, v115, vcc
	v_mov_b32_e32 v115, v109
	v_add_f64 v[113:114], v[113:114], v[115:116]
	v_cmp_lt_f64_e32 vcc, v[111:112], v[113:114]
	v_cndmask_b32_e32 v121, v121, v107, vcc
	v_mov_b32_e32 v107, s0
	s_add_i32 s0, s0, 1
	v_cndmask_b32_e32 v122, v122, v108, vcc
	v_cndmask_b32_e32 v124, v124, v110, vcc
	;; [unrolled: 1-line block ×4, first 2 shown]
	s_cmp_lg_u32 s3, s0
	s_cbranch_scc1 .LBB70_295
.LBB70_296:
	s_waitcnt lgkmcnt(0)
	v_cmp_eq_f64_e32 vcc, 0, v[121:122]
	v_cmp_eq_f64_e64 s[0:1], 0, v[123:124]
	s_and_b64 s[0:1], vcc, s[0:1]
	s_and_saveexec_b64 s[18:19], s[0:1]
	s_xor_b64 s[0:1], exec, s[18:19]
; %bb.297:
	v_cmp_ne_u32_e32 vcc, 0, v99
	v_cndmask_b32_e32 v99, 15, v99, vcc
; %bb.298:
	s_andn2_saveexec_b64 s[0:1], s[0:1]
	s_cbranch_execz .LBB70_304
; %bb.299:
	v_cmp_ngt_f64_e64 s[18:19], |v[121:122]|, |v[123:124]|
	s_and_saveexec_b64 s[20:21], s[18:19]
	s_xor_b64 s[18:19], exec, s[20:21]
	s_cbranch_execz .LBB70_301
; %bb.300:
	v_div_scale_f64 v[106:107], s[20:21], v[123:124], v[123:124], v[121:122]
	v_rcp_f64_e32 v[108:109], v[106:107]
	v_fma_f64 v[110:111], -v[106:107], v[108:109], 1.0
	v_fma_f64 v[108:109], v[108:109], v[110:111], v[108:109]
	v_div_scale_f64 v[110:111], vcc, v[121:122], v[123:124], v[121:122]
	v_fma_f64 v[112:113], -v[106:107], v[108:109], 1.0
	v_fma_f64 v[108:109], v[108:109], v[112:113], v[108:109]
	v_mul_f64 v[112:113], v[110:111], v[108:109]
	v_fma_f64 v[106:107], -v[106:107], v[112:113], v[110:111]
	v_div_fmas_f64 v[106:107], v[106:107], v[108:109], v[112:113]
	v_div_fixup_f64 v[106:107], v[106:107], v[123:124], v[121:122]
	v_fma_f64 v[108:109], v[121:122], v[106:107], v[123:124]
	v_div_scale_f64 v[110:111], s[20:21], v[108:109], v[108:109], 1.0
	v_div_scale_f64 v[116:117], vcc, 1.0, v[108:109], 1.0
	v_rcp_f64_e32 v[112:113], v[110:111]
	v_fma_f64 v[114:115], -v[110:111], v[112:113], 1.0
	v_fma_f64 v[112:113], v[112:113], v[114:115], v[112:113]
	v_fma_f64 v[114:115], -v[110:111], v[112:113], 1.0
	v_fma_f64 v[112:113], v[112:113], v[114:115], v[112:113]
	v_mul_f64 v[114:115], v[116:117], v[112:113]
	v_fma_f64 v[110:111], -v[110:111], v[114:115], v[116:117]
	v_div_fmas_f64 v[110:111], v[110:111], v[112:113], v[114:115]
	v_div_fixup_f64 v[123:124], v[110:111], v[108:109], 1.0
	v_mul_f64 v[121:122], v[106:107], v[123:124]
	v_xor_b32_e32 v124, 0x80000000, v124
.LBB70_301:
	s_andn2_saveexec_b64 s[18:19], s[18:19]
	s_cbranch_execz .LBB70_303
; %bb.302:
	v_div_scale_f64 v[106:107], s[20:21], v[121:122], v[121:122], v[123:124]
	v_rcp_f64_e32 v[108:109], v[106:107]
	v_fma_f64 v[110:111], -v[106:107], v[108:109], 1.0
	v_fma_f64 v[108:109], v[108:109], v[110:111], v[108:109]
	v_div_scale_f64 v[110:111], vcc, v[123:124], v[121:122], v[123:124]
	v_fma_f64 v[112:113], -v[106:107], v[108:109], 1.0
	v_fma_f64 v[108:109], v[108:109], v[112:113], v[108:109]
	v_mul_f64 v[112:113], v[110:111], v[108:109]
	v_fma_f64 v[106:107], -v[106:107], v[112:113], v[110:111]
	v_div_fmas_f64 v[106:107], v[106:107], v[108:109], v[112:113]
	v_div_fixup_f64 v[106:107], v[106:107], v[121:122], v[123:124]
	v_fma_f64 v[108:109], v[123:124], v[106:107], v[121:122]
	v_div_scale_f64 v[110:111], s[20:21], v[108:109], v[108:109], 1.0
	v_div_scale_f64 v[116:117], vcc, 1.0, v[108:109], 1.0
	v_rcp_f64_e32 v[112:113], v[110:111]
	v_fma_f64 v[114:115], -v[110:111], v[112:113], 1.0
	v_fma_f64 v[112:113], v[112:113], v[114:115], v[112:113]
	v_fma_f64 v[114:115], -v[110:111], v[112:113], 1.0
	v_fma_f64 v[112:113], v[112:113], v[114:115], v[112:113]
	v_mul_f64 v[114:115], v[116:117], v[112:113]
	v_fma_f64 v[110:111], -v[110:111], v[114:115], v[116:117]
	v_div_fmas_f64 v[110:111], v[110:111], v[112:113], v[114:115]
	v_div_fixup_f64 v[121:122], v[110:111], v[108:109], 1.0
	v_mul_f64 v[123:124], v[106:107], -v[121:122]
.LBB70_303:
	s_or_b64 exec, exec, s[18:19]
.LBB70_304:
	s_or_b64 exec, exec, s[0:1]
	v_cmp_ne_u32_e32 vcc, v100, v105
	s_and_saveexec_b64 s[0:1], vcc
	s_xor_b64 s[0:1], exec, s[0:1]
	s_cbranch_execz .LBB70_310
; %bb.305:
	v_cmp_eq_u32_e32 vcc, 14, v100
	s_and_saveexec_b64 s[18:19], vcc
	s_cbranch_execz .LBB70_309
; %bb.306:
	v_cmp_ne_u32_e32 vcc, 14, v105
	s_xor_b64 s[20:21], s[6:7], -1
	s_and_b64 s[22:23], s[20:21], vcc
	s_and_saveexec_b64 s[20:21], s[22:23]
	s_cbranch_execz .LBB70_308
; %bb.307:
	v_ashrrev_i32_e32 v106, 31, v105
	v_lshlrev_b64 v[106:107], 2, v[105:106]
	v_add_co_u32_e32 v106, vcc, v119, v106
	v_addc_co_u32_e32 v107, vcc, v120, v107, vcc
	global_load_dword v0, v[106:107], off
	global_load_dword v100, v[119:120], off offset:56
	s_waitcnt vmcnt(1)
	global_store_dword v[119:120], v0, off offset:56
	s_waitcnt vmcnt(1)
	global_store_dword v[106:107], v100, off
.LBB70_308:
	s_or_b64 exec, exec, s[20:21]
	v_mov_b32_e32 v100, v105
	v_mov_b32_e32 v0, v105
.LBB70_309:
	s_or_b64 exec, exec, s[18:19]
.LBB70_310:
	s_andn2_saveexec_b64 s[0:1], s[0:1]
	s_cbranch_execz .LBB70_312
; %bb.311:
	v_mov_b32_e32 v100, 14
	ds_write2_b64 v98, v[77:78], v[79:80] offset0:30 offset1:31
	ds_write2_b64 v98, v[73:74], v[75:76] offset0:32 offset1:33
	ds_write2_b64 v98, v[69:70], v[71:72] offset0:34 offset1:35
	ds_write2_b64 v98, v[65:66], v[67:68] offset0:36 offset1:37
	ds_write2_b64 v98, v[61:62], v[63:64] offset0:38 offset1:39
	ds_write2_b64 v98, v[57:58], v[59:60] offset0:40 offset1:41
	ds_write2_b64 v98, v[53:54], v[55:56] offset0:42 offset1:43
	ds_write2_b64 v98, v[49:50], v[51:52] offset0:44 offset1:45
	ds_write2_b64 v98, v[45:46], v[47:48] offset0:46 offset1:47
	ds_write2_b64 v98, v[41:42], v[43:44] offset0:48 offset1:49
	ds_write2_b64 v98, v[37:38], v[39:40] offset0:50 offset1:51
	ds_write2_b64 v98, v[33:34], v[35:36] offset0:52 offset1:53
	ds_write2_b64 v98, v[29:30], v[31:32] offset0:54 offset1:55
	ds_write2_b64 v98, v[25:26], v[27:28] offset0:56 offset1:57
	ds_write2_b64 v98, v[21:22], v[23:24] offset0:58 offset1:59
	ds_write2_b64 v98, v[17:18], v[19:20] offset0:60 offset1:61
	ds_write2_b64 v98, v[13:14], v[15:16] offset0:62 offset1:63
	ds_write2_b64 v98, v[9:10], v[11:12] offset0:64 offset1:65
	ds_write2_b64 v98, v[5:6], v[7:8] offset0:66 offset1:67
	ds_write2_b64 v98, v[1:2], v[3:4] offset0:68 offset1:69
	ds_write2_b64 v98, v[101:102], v[103:104] offset0:70 offset1:71
.LBB70_312:
	s_or_b64 exec, exec, s[0:1]
	v_cmp_lt_i32_e32 vcc, 14, v100
	s_waitcnt vmcnt(0) lgkmcnt(0)
	s_barrier
	s_and_saveexec_b64 s[0:1], vcc
	s_cbranch_execz .LBB70_314
; %bb.313:
	v_mul_f64 v[105:106], v[123:124], v[83:84]
	v_mul_f64 v[83:84], v[121:122], v[83:84]
	v_fma_f64 v[125:126], v[121:122], v[81:82], -v[105:106]
	v_fma_f64 v[83:84], v[123:124], v[81:82], v[83:84]
	ds_read2_b64 v[105:108], v98 offset0:30 offset1:31
	s_waitcnt lgkmcnt(0)
	v_mul_f64 v[81:82], v[107:108], v[83:84]
	v_fma_f64 v[81:82], v[105:106], v[125:126], -v[81:82]
	v_mul_f64 v[105:106], v[105:106], v[83:84]
	v_add_f64 v[77:78], v[77:78], -v[81:82]
	v_fma_f64 v[105:106], v[107:108], v[125:126], v[105:106]
	v_add_f64 v[79:80], v[79:80], -v[105:106]
	ds_read2_b64 v[105:108], v98 offset0:32 offset1:33
	s_waitcnt lgkmcnt(0)
	v_mul_f64 v[81:82], v[107:108], v[83:84]
	v_fma_f64 v[81:82], v[105:106], v[125:126], -v[81:82]
	v_mul_f64 v[105:106], v[105:106], v[83:84]
	v_add_f64 v[73:74], v[73:74], -v[81:82]
	v_fma_f64 v[105:106], v[107:108], v[125:126], v[105:106]
	v_add_f64 v[75:76], v[75:76], -v[105:106]
	;; [unrolled: 8-line block ×20, first 2 shown]
	ds_read2_b64 v[105:108], v98 offset0:70 offset1:71
	s_waitcnt lgkmcnt(0)
	v_mul_f64 v[81:82], v[107:108], v[83:84]
	v_fma_f64 v[81:82], v[105:106], v[125:126], -v[81:82]
	v_mul_f64 v[105:106], v[105:106], v[83:84]
	v_add_f64 v[101:102], v[101:102], -v[81:82]
	v_fma_f64 v[105:106], v[107:108], v[125:126], v[105:106]
	v_mov_b32_e32 v81, v125
	v_mov_b32_e32 v82, v126
	v_add_f64 v[103:104], v[103:104], -v[105:106]
.LBB70_314:
	s_or_b64 exec, exec, s[0:1]
	v_lshl_add_u32 v105, v100, 4, v98
	s_barrier
	ds_write2_b64 v105, v[77:78], v[79:80] offset1:1
	s_waitcnt lgkmcnt(0)
	s_barrier
	ds_read2_b64 v[121:124], v98 offset0:30 offset1:31
	s_cmp_lt_i32 s3, 17
	v_mov_b32_e32 v105, 15
	s_cbranch_scc1 .LBB70_317
; %bb.315:
	v_add_u32_e32 v106, 0x100, v98
	s_mov_b32 s0, 16
	v_mov_b32_e32 v105, 15
.LBB70_316:                             ; =>This Inner Loop Header: Depth=1
	s_waitcnt lgkmcnt(0)
	v_cmp_gt_f64_e32 vcc, 0, v[121:122]
	v_xor_b32_e32 v111, 0x80000000, v122
	ds_read2_b64 v[107:110], v106 offset1:1
	v_xor_b32_e32 v113, 0x80000000, v124
	v_add_u32_e32 v106, 16, v106
	s_waitcnt lgkmcnt(0)
	v_xor_b32_e32 v115, 0x80000000, v110
	v_cndmask_b32_e32 v112, v122, v111, vcc
	v_cmp_gt_f64_e32 vcc, 0, v[123:124]
	v_mov_b32_e32 v111, v121
	v_cndmask_b32_e32 v114, v124, v113, vcc
	v_cmp_gt_f64_e32 vcc, 0, v[107:108]
	v_mov_b32_e32 v113, v123
	v_add_f64 v[111:112], v[111:112], v[113:114]
	v_xor_b32_e32 v113, 0x80000000, v108
	v_cndmask_b32_e32 v114, v108, v113, vcc
	v_cmp_gt_f64_e32 vcc, 0, v[109:110]
	v_mov_b32_e32 v113, v107
	v_cndmask_b32_e32 v116, v110, v115, vcc
	v_mov_b32_e32 v115, v109
	v_add_f64 v[113:114], v[113:114], v[115:116]
	v_cmp_lt_f64_e32 vcc, v[111:112], v[113:114]
	v_cndmask_b32_e32 v121, v121, v107, vcc
	v_mov_b32_e32 v107, s0
	s_add_i32 s0, s0, 1
	v_cndmask_b32_e32 v122, v122, v108, vcc
	v_cndmask_b32_e32 v124, v124, v110, vcc
	;; [unrolled: 1-line block ×4, first 2 shown]
	s_cmp_lg_u32 s3, s0
	s_cbranch_scc1 .LBB70_316
.LBB70_317:
	s_waitcnt lgkmcnt(0)
	v_cmp_eq_f64_e32 vcc, 0, v[121:122]
	v_cmp_eq_f64_e64 s[0:1], 0, v[123:124]
	s_and_b64 s[0:1], vcc, s[0:1]
	s_and_saveexec_b64 s[18:19], s[0:1]
	s_xor_b64 s[0:1], exec, s[18:19]
; %bb.318:
	v_cmp_ne_u32_e32 vcc, 0, v99
	v_cndmask_b32_e32 v99, 16, v99, vcc
; %bb.319:
	s_andn2_saveexec_b64 s[0:1], s[0:1]
	s_cbranch_execz .LBB70_325
; %bb.320:
	v_cmp_ngt_f64_e64 s[18:19], |v[121:122]|, |v[123:124]|
	s_and_saveexec_b64 s[20:21], s[18:19]
	s_xor_b64 s[18:19], exec, s[20:21]
	s_cbranch_execz .LBB70_322
; %bb.321:
	v_div_scale_f64 v[106:107], s[20:21], v[123:124], v[123:124], v[121:122]
	v_rcp_f64_e32 v[108:109], v[106:107]
	v_fma_f64 v[110:111], -v[106:107], v[108:109], 1.0
	v_fma_f64 v[108:109], v[108:109], v[110:111], v[108:109]
	v_div_scale_f64 v[110:111], vcc, v[121:122], v[123:124], v[121:122]
	v_fma_f64 v[112:113], -v[106:107], v[108:109], 1.0
	v_fma_f64 v[108:109], v[108:109], v[112:113], v[108:109]
	v_mul_f64 v[112:113], v[110:111], v[108:109]
	v_fma_f64 v[106:107], -v[106:107], v[112:113], v[110:111]
	v_div_fmas_f64 v[106:107], v[106:107], v[108:109], v[112:113]
	v_div_fixup_f64 v[106:107], v[106:107], v[123:124], v[121:122]
	v_fma_f64 v[108:109], v[121:122], v[106:107], v[123:124]
	v_div_scale_f64 v[110:111], s[20:21], v[108:109], v[108:109], 1.0
	v_div_scale_f64 v[116:117], vcc, 1.0, v[108:109], 1.0
	v_rcp_f64_e32 v[112:113], v[110:111]
	v_fma_f64 v[114:115], -v[110:111], v[112:113], 1.0
	v_fma_f64 v[112:113], v[112:113], v[114:115], v[112:113]
	v_fma_f64 v[114:115], -v[110:111], v[112:113], 1.0
	v_fma_f64 v[112:113], v[112:113], v[114:115], v[112:113]
	v_mul_f64 v[114:115], v[116:117], v[112:113]
	v_fma_f64 v[110:111], -v[110:111], v[114:115], v[116:117]
	v_div_fmas_f64 v[110:111], v[110:111], v[112:113], v[114:115]
	v_div_fixup_f64 v[123:124], v[110:111], v[108:109], 1.0
	v_mul_f64 v[121:122], v[106:107], v[123:124]
	v_xor_b32_e32 v124, 0x80000000, v124
.LBB70_322:
	s_andn2_saveexec_b64 s[18:19], s[18:19]
	s_cbranch_execz .LBB70_324
; %bb.323:
	v_div_scale_f64 v[106:107], s[20:21], v[121:122], v[121:122], v[123:124]
	v_rcp_f64_e32 v[108:109], v[106:107]
	v_fma_f64 v[110:111], -v[106:107], v[108:109], 1.0
	v_fma_f64 v[108:109], v[108:109], v[110:111], v[108:109]
	v_div_scale_f64 v[110:111], vcc, v[123:124], v[121:122], v[123:124]
	v_fma_f64 v[112:113], -v[106:107], v[108:109], 1.0
	v_fma_f64 v[108:109], v[108:109], v[112:113], v[108:109]
	v_mul_f64 v[112:113], v[110:111], v[108:109]
	v_fma_f64 v[106:107], -v[106:107], v[112:113], v[110:111]
	v_div_fmas_f64 v[106:107], v[106:107], v[108:109], v[112:113]
	v_div_fixup_f64 v[106:107], v[106:107], v[121:122], v[123:124]
	v_fma_f64 v[108:109], v[123:124], v[106:107], v[121:122]
	v_div_scale_f64 v[110:111], s[20:21], v[108:109], v[108:109], 1.0
	v_div_scale_f64 v[116:117], vcc, 1.0, v[108:109], 1.0
	v_rcp_f64_e32 v[112:113], v[110:111]
	v_fma_f64 v[114:115], -v[110:111], v[112:113], 1.0
	v_fma_f64 v[112:113], v[112:113], v[114:115], v[112:113]
	v_fma_f64 v[114:115], -v[110:111], v[112:113], 1.0
	v_fma_f64 v[112:113], v[112:113], v[114:115], v[112:113]
	v_mul_f64 v[114:115], v[116:117], v[112:113]
	v_fma_f64 v[110:111], -v[110:111], v[114:115], v[116:117]
	v_div_fmas_f64 v[110:111], v[110:111], v[112:113], v[114:115]
	v_div_fixup_f64 v[121:122], v[110:111], v[108:109], 1.0
	v_mul_f64 v[123:124], v[106:107], -v[121:122]
.LBB70_324:
	s_or_b64 exec, exec, s[18:19]
.LBB70_325:
	s_or_b64 exec, exec, s[0:1]
	v_cmp_ne_u32_e32 vcc, v100, v105
	s_and_saveexec_b64 s[0:1], vcc
	s_xor_b64 s[0:1], exec, s[0:1]
	s_cbranch_execz .LBB70_331
; %bb.326:
	v_cmp_eq_u32_e32 vcc, 15, v100
	s_and_saveexec_b64 s[18:19], vcc
	s_cbranch_execz .LBB70_330
; %bb.327:
	v_cmp_ne_u32_e32 vcc, 15, v105
	s_xor_b64 s[20:21], s[6:7], -1
	s_and_b64 s[22:23], s[20:21], vcc
	s_and_saveexec_b64 s[20:21], s[22:23]
	s_cbranch_execz .LBB70_329
; %bb.328:
	v_ashrrev_i32_e32 v106, 31, v105
	v_lshlrev_b64 v[106:107], 2, v[105:106]
	v_add_co_u32_e32 v106, vcc, v119, v106
	v_addc_co_u32_e32 v107, vcc, v120, v107, vcc
	global_load_dword v0, v[106:107], off
	global_load_dword v100, v[119:120], off offset:60
	s_waitcnt vmcnt(1)
	global_store_dword v[119:120], v0, off offset:60
	s_waitcnt vmcnt(1)
	global_store_dword v[106:107], v100, off
.LBB70_329:
	s_or_b64 exec, exec, s[20:21]
	v_mov_b32_e32 v100, v105
	v_mov_b32_e32 v0, v105
.LBB70_330:
	s_or_b64 exec, exec, s[18:19]
.LBB70_331:
	s_andn2_saveexec_b64 s[0:1], s[0:1]
	s_cbranch_execz .LBB70_333
; %bb.332:
	v_mov_b32_e32 v100, 15
	ds_write2_b64 v98, v[73:74], v[75:76] offset0:32 offset1:33
	ds_write2_b64 v98, v[69:70], v[71:72] offset0:34 offset1:35
	;; [unrolled: 1-line block ×20, first 2 shown]
.LBB70_333:
	s_or_b64 exec, exec, s[0:1]
	v_cmp_lt_i32_e32 vcc, 15, v100
	s_waitcnt vmcnt(0) lgkmcnt(0)
	s_barrier
	s_and_saveexec_b64 s[0:1], vcc
	s_cbranch_execz .LBB70_335
; %bb.334:
	v_mul_f64 v[105:106], v[123:124], v[79:80]
	v_mul_f64 v[79:80], v[121:122], v[79:80]
	v_fma_f64 v[125:126], v[121:122], v[77:78], -v[105:106]
	v_fma_f64 v[79:80], v[123:124], v[77:78], v[79:80]
	ds_read2_b64 v[105:108], v98 offset0:32 offset1:33
	s_waitcnt lgkmcnt(0)
	v_mul_f64 v[77:78], v[107:108], v[79:80]
	v_fma_f64 v[77:78], v[105:106], v[125:126], -v[77:78]
	v_mul_f64 v[105:106], v[105:106], v[79:80]
	v_add_f64 v[73:74], v[73:74], -v[77:78]
	v_fma_f64 v[105:106], v[107:108], v[125:126], v[105:106]
	v_add_f64 v[75:76], v[75:76], -v[105:106]
	ds_read2_b64 v[105:108], v98 offset0:34 offset1:35
	s_waitcnt lgkmcnt(0)
	v_mul_f64 v[77:78], v[107:108], v[79:80]
	v_fma_f64 v[77:78], v[105:106], v[125:126], -v[77:78]
	v_mul_f64 v[105:106], v[105:106], v[79:80]
	v_add_f64 v[69:70], v[69:70], -v[77:78]
	v_fma_f64 v[105:106], v[107:108], v[125:126], v[105:106]
	v_add_f64 v[71:72], v[71:72], -v[105:106]
	;; [unrolled: 8-line block ×19, first 2 shown]
	ds_read2_b64 v[105:108], v98 offset0:70 offset1:71
	s_waitcnt lgkmcnt(0)
	v_mul_f64 v[77:78], v[107:108], v[79:80]
	v_fma_f64 v[77:78], v[105:106], v[125:126], -v[77:78]
	v_mul_f64 v[105:106], v[105:106], v[79:80]
	v_add_f64 v[101:102], v[101:102], -v[77:78]
	v_fma_f64 v[105:106], v[107:108], v[125:126], v[105:106]
	v_mov_b32_e32 v77, v125
	v_mov_b32_e32 v78, v126
	v_add_f64 v[103:104], v[103:104], -v[105:106]
.LBB70_335:
	s_or_b64 exec, exec, s[0:1]
	v_lshl_add_u32 v105, v100, 4, v98
	s_barrier
	ds_write2_b64 v105, v[73:74], v[75:76] offset1:1
	s_waitcnt lgkmcnt(0)
	s_barrier
	ds_read2_b64 v[121:124], v98 offset0:32 offset1:33
	s_cmp_lt_i32 s3, 18
	v_mov_b32_e32 v105, 16
	s_cbranch_scc1 .LBB70_338
; %bb.336:
	v_add_u32_e32 v106, 0x110, v98
	s_mov_b32 s0, 17
	v_mov_b32_e32 v105, 16
.LBB70_337:                             ; =>This Inner Loop Header: Depth=1
	s_waitcnt lgkmcnt(0)
	v_cmp_gt_f64_e32 vcc, 0, v[121:122]
	v_xor_b32_e32 v111, 0x80000000, v122
	ds_read2_b64 v[107:110], v106 offset1:1
	v_xor_b32_e32 v113, 0x80000000, v124
	v_add_u32_e32 v106, 16, v106
	s_waitcnt lgkmcnt(0)
	v_xor_b32_e32 v115, 0x80000000, v110
	v_cndmask_b32_e32 v112, v122, v111, vcc
	v_cmp_gt_f64_e32 vcc, 0, v[123:124]
	v_mov_b32_e32 v111, v121
	v_cndmask_b32_e32 v114, v124, v113, vcc
	v_cmp_gt_f64_e32 vcc, 0, v[107:108]
	v_mov_b32_e32 v113, v123
	v_add_f64 v[111:112], v[111:112], v[113:114]
	v_xor_b32_e32 v113, 0x80000000, v108
	v_cndmask_b32_e32 v114, v108, v113, vcc
	v_cmp_gt_f64_e32 vcc, 0, v[109:110]
	v_mov_b32_e32 v113, v107
	v_cndmask_b32_e32 v116, v110, v115, vcc
	v_mov_b32_e32 v115, v109
	v_add_f64 v[113:114], v[113:114], v[115:116]
	v_cmp_lt_f64_e32 vcc, v[111:112], v[113:114]
	v_cndmask_b32_e32 v121, v121, v107, vcc
	v_mov_b32_e32 v107, s0
	s_add_i32 s0, s0, 1
	v_cndmask_b32_e32 v122, v122, v108, vcc
	v_cndmask_b32_e32 v124, v124, v110, vcc
	;; [unrolled: 1-line block ×4, first 2 shown]
	s_cmp_lg_u32 s3, s0
	s_cbranch_scc1 .LBB70_337
.LBB70_338:
	s_waitcnt lgkmcnt(0)
	v_cmp_eq_f64_e32 vcc, 0, v[121:122]
	v_cmp_eq_f64_e64 s[0:1], 0, v[123:124]
	s_and_b64 s[0:1], vcc, s[0:1]
	s_and_saveexec_b64 s[18:19], s[0:1]
	s_xor_b64 s[0:1], exec, s[18:19]
; %bb.339:
	v_cmp_ne_u32_e32 vcc, 0, v99
	v_cndmask_b32_e32 v99, 17, v99, vcc
; %bb.340:
	s_andn2_saveexec_b64 s[0:1], s[0:1]
	s_cbranch_execz .LBB70_346
; %bb.341:
	v_cmp_ngt_f64_e64 s[18:19], |v[121:122]|, |v[123:124]|
	s_and_saveexec_b64 s[20:21], s[18:19]
	s_xor_b64 s[18:19], exec, s[20:21]
	s_cbranch_execz .LBB70_343
; %bb.342:
	v_div_scale_f64 v[106:107], s[20:21], v[123:124], v[123:124], v[121:122]
	v_rcp_f64_e32 v[108:109], v[106:107]
	v_fma_f64 v[110:111], -v[106:107], v[108:109], 1.0
	v_fma_f64 v[108:109], v[108:109], v[110:111], v[108:109]
	v_div_scale_f64 v[110:111], vcc, v[121:122], v[123:124], v[121:122]
	v_fma_f64 v[112:113], -v[106:107], v[108:109], 1.0
	v_fma_f64 v[108:109], v[108:109], v[112:113], v[108:109]
	v_mul_f64 v[112:113], v[110:111], v[108:109]
	v_fma_f64 v[106:107], -v[106:107], v[112:113], v[110:111]
	v_div_fmas_f64 v[106:107], v[106:107], v[108:109], v[112:113]
	v_div_fixup_f64 v[106:107], v[106:107], v[123:124], v[121:122]
	v_fma_f64 v[108:109], v[121:122], v[106:107], v[123:124]
	v_div_scale_f64 v[110:111], s[20:21], v[108:109], v[108:109], 1.0
	v_div_scale_f64 v[116:117], vcc, 1.0, v[108:109], 1.0
	v_rcp_f64_e32 v[112:113], v[110:111]
	v_fma_f64 v[114:115], -v[110:111], v[112:113], 1.0
	v_fma_f64 v[112:113], v[112:113], v[114:115], v[112:113]
	v_fma_f64 v[114:115], -v[110:111], v[112:113], 1.0
	v_fma_f64 v[112:113], v[112:113], v[114:115], v[112:113]
	v_mul_f64 v[114:115], v[116:117], v[112:113]
	v_fma_f64 v[110:111], -v[110:111], v[114:115], v[116:117]
	v_div_fmas_f64 v[110:111], v[110:111], v[112:113], v[114:115]
	v_div_fixup_f64 v[123:124], v[110:111], v[108:109], 1.0
	v_mul_f64 v[121:122], v[106:107], v[123:124]
	v_xor_b32_e32 v124, 0x80000000, v124
.LBB70_343:
	s_andn2_saveexec_b64 s[18:19], s[18:19]
	s_cbranch_execz .LBB70_345
; %bb.344:
	v_div_scale_f64 v[106:107], s[20:21], v[121:122], v[121:122], v[123:124]
	v_rcp_f64_e32 v[108:109], v[106:107]
	v_fma_f64 v[110:111], -v[106:107], v[108:109], 1.0
	v_fma_f64 v[108:109], v[108:109], v[110:111], v[108:109]
	v_div_scale_f64 v[110:111], vcc, v[123:124], v[121:122], v[123:124]
	v_fma_f64 v[112:113], -v[106:107], v[108:109], 1.0
	v_fma_f64 v[108:109], v[108:109], v[112:113], v[108:109]
	v_mul_f64 v[112:113], v[110:111], v[108:109]
	v_fma_f64 v[106:107], -v[106:107], v[112:113], v[110:111]
	v_div_fmas_f64 v[106:107], v[106:107], v[108:109], v[112:113]
	v_div_fixup_f64 v[106:107], v[106:107], v[121:122], v[123:124]
	v_fma_f64 v[108:109], v[123:124], v[106:107], v[121:122]
	v_div_scale_f64 v[110:111], s[20:21], v[108:109], v[108:109], 1.0
	v_div_scale_f64 v[116:117], vcc, 1.0, v[108:109], 1.0
	v_rcp_f64_e32 v[112:113], v[110:111]
	v_fma_f64 v[114:115], -v[110:111], v[112:113], 1.0
	v_fma_f64 v[112:113], v[112:113], v[114:115], v[112:113]
	v_fma_f64 v[114:115], -v[110:111], v[112:113], 1.0
	v_fma_f64 v[112:113], v[112:113], v[114:115], v[112:113]
	v_mul_f64 v[114:115], v[116:117], v[112:113]
	v_fma_f64 v[110:111], -v[110:111], v[114:115], v[116:117]
	v_div_fmas_f64 v[110:111], v[110:111], v[112:113], v[114:115]
	v_div_fixup_f64 v[121:122], v[110:111], v[108:109], 1.0
	v_mul_f64 v[123:124], v[106:107], -v[121:122]
.LBB70_345:
	s_or_b64 exec, exec, s[18:19]
.LBB70_346:
	s_or_b64 exec, exec, s[0:1]
	v_cmp_ne_u32_e32 vcc, v100, v105
	s_and_saveexec_b64 s[0:1], vcc
	s_xor_b64 s[0:1], exec, s[0:1]
	s_cbranch_execz .LBB70_352
; %bb.347:
	v_cmp_eq_u32_e32 vcc, 16, v100
	s_and_saveexec_b64 s[18:19], vcc
	s_cbranch_execz .LBB70_351
; %bb.348:
	v_cmp_ne_u32_e32 vcc, 16, v105
	s_xor_b64 s[20:21], s[6:7], -1
	s_and_b64 s[22:23], s[20:21], vcc
	s_and_saveexec_b64 s[20:21], s[22:23]
	s_cbranch_execz .LBB70_350
; %bb.349:
	v_ashrrev_i32_e32 v106, 31, v105
	v_lshlrev_b64 v[106:107], 2, v[105:106]
	v_add_co_u32_e32 v106, vcc, v119, v106
	v_addc_co_u32_e32 v107, vcc, v120, v107, vcc
	global_load_dword v0, v[106:107], off
	global_load_dword v100, v[119:120], off offset:64
	s_waitcnt vmcnt(1)
	global_store_dword v[119:120], v0, off offset:64
	s_waitcnt vmcnt(1)
	global_store_dword v[106:107], v100, off
.LBB70_350:
	s_or_b64 exec, exec, s[20:21]
	v_mov_b32_e32 v100, v105
	v_mov_b32_e32 v0, v105
.LBB70_351:
	s_or_b64 exec, exec, s[18:19]
.LBB70_352:
	s_andn2_saveexec_b64 s[0:1], s[0:1]
	s_cbranch_execz .LBB70_354
; %bb.353:
	v_mov_b32_e32 v100, 16
	ds_write2_b64 v98, v[69:70], v[71:72] offset0:34 offset1:35
	ds_write2_b64 v98, v[65:66], v[67:68] offset0:36 offset1:37
	;; [unrolled: 1-line block ×19, first 2 shown]
.LBB70_354:
	s_or_b64 exec, exec, s[0:1]
	v_cmp_lt_i32_e32 vcc, 16, v100
	s_waitcnt vmcnt(0) lgkmcnt(0)
	s_barrier
	s_and_saveexec_b64 s[0:1], vcc
	s_cbranch_execz .LBB70_356
; %bb.355:
	v_mul_f64 v[105:106], v[123:124], v[75:76]
	v_mul_f64 v[75:76], v[121:122], v[75:76]
	v_fma_f64 v[125:126], v[121:122], v[73:74], -v[105:106]
	v_fma_f64 v[75:76], v[123:124], v[73:74], v[75:76]
	ds_read2_b64 v[105:108], v98 offset0:34 offset1:35
	s_waitcnt lgkmcnt(0)
	v_mul_f64 v[73:74], v[107:108], v[75:76]
	v_fma_f64 v[73:74], v[105:106], v[125:126], -v[73:74]
	v_mul_f64 v[105:106], v[105:106], v[75:76]
	v_add_f64 v[69:70], v[69:70], -v[73:74]
	v_fma_f64 v[105:106], v[107:108], v[125:126], v[105:106]
	v_add_f64 v[71:72], v[71:72], -v[105:106]
	ds_read2_b64 v[105:108], v98 offset0:36 offset1:37
	s_waitcnt lgkmcnt(0)
	v_mul_f64 v[73:74], v[107:108], v[75:76]
	v_fma_f64 v[73:74], v[105:106], v[125:126], -v[73:74]
	v_mul_f64 v[105:106], v[105:106], v[75:76]
	v_add_f64 v[65:66], v[65:66], -v[73:74]
	v_fma_f64 v[105:106], v[107:108], v[125:126], v[105:106]
	v_add_f64 v[67:68], v[67:68], -v[105:106]
	;; [unrolled: 8-line block ×18, first 2 shown]
	ds_read2_b64 v[105:108], v98 offset0:70 offset1:71
	s_waitcnt lgkmcnt(0)
	v_mul_f64 v[73:74], v[107:108], v[75:76]
	v_fma_f64 v[73:74], v[105:106], v[125:126], -v[73:74]
	v_mul_f64 v[105:106], v[105:106], v[75:76]
	v_add_f64 v[101:102], v[101:102], -v[73:74]
	v_fma_f64 v[105:106], v[107:108], v[125:126], v[105:106]
	v_mov_b32_e32 v73, v125
	v_mov_b32_e32 v74, v126
	v_add_f64 v[103:104], v[103:104], -v[105:106]
.LBB70_356:
	s_or_b64 exec, exec, s[0:1]
	v_lshl_add_u32 v105, v100, 4, v98
	s_barrier
	ds_write2_b64 v105, v[69:70], v[71:72] offset1:1
	s_waitcnt lgkmcnt(0)
	s_barrier
	ds_read2_b64 v[121:124], v98 offset0:34 offset1:35
	s_cmp_lt_i32 s3, 19
	v_mov_b32_e32 v105, 17
	s_cbranch_scc1 .LBB70_359
; %bb.357:
	v_add_u32_e32 v106, 0x120, v98
	s_mov_b32 s0, 18
	v_mov_b32_e32 v105, 17
.LBB70_358:                             ; =>This Inner Loop Header: Depth=1
	s_waitcnt lgkmcnt(0)
	v_cmp_gt_f64_e32 vcc, 0, v[121:122]
	v_xor_b32_e32 v111, 0x80000000, v122
	ds_read2_b64 v[107:110], v106 offset1:1
	v_xor_b32_e32 v113, 0x80000000, v124
	v_add_u32_e32 v106, 16, v106
	s_waitcnt lgkmcnt(0)
	v_xor_b32_e32 v115, 0x80000000, v110
	v_cndmask_b32_e32 v112, v122, v111, vcc
	v_cmp_gt_f64_e32 vcc, 0, v[123:124]
	v_mov_b32_e32 v111, v121
	v_cndmask_b32_e32 v114, v124, v113, vcc
	v_cmp_gt_f64_e32 vcc, 0, v[107:108]
	v_mov_b32_e32 v113, v123
	v_add_f64 v[111:112], v[111:112], v[113:114]
	v_xor_b32_e32 v113, 0x80000000, v108
	v_cndmask_b32_e32 v114, v108, v113, vcc
	v_cmp_gt_f64_e32 vcc, 0, v[109:110]
	v_mov_b32_e32 v113, v107
	v_cndmask_b32_e32 v116, v110, v115, vcc
	v_mov_b32_e32 v115, v109
	v_add_f64 v[113:114], v[113:114], v[115:116]
	v_cmp_lt_f64_e32 vcc, v[111:112], v[113:114]
	v_cndmask_b32_e32 v121, v121, v107, vcc
	v_mov_b32_e32 v107, s0
	s_add_i32 s0, s0, 1
	v_cndmask_b32_e32 v122, v122, v108, vcc
	v_cndmask_b32_e32 v124, v124, v110, vcc
	;; [unrolled: 1-line block ×4, first 2 shown]
	s_cmp_lg_u32 s3, s0
	s_cbranch_scc1 .LBB70_358
.LBB70_359:
	s_waitcnt lgkmcnt(0)
	v_cmp_eq_f64_e32 vcc, 0, v[121:122]
	v_cmp_eq_f64_e64 s[0:1], 0, v[123:124]
	s_and_b64 s[0:1], vcc, s[0:1]
	s_and_saveexec_b64 s[18:19], s[0:1]
	s_xor_b64 s[0:1], exec, s[18:19]
; %bb.360:
	v_cmp_ne_u32_e32 vcc, 0, v99
	v_cndmask_b32_e32 v99, 18, v99, vcc
; %bb.361:
	s_andn2_saveexec_b64 s[0:1], s[0:1]
	s_cbranch_execz .LBB70_367
; %bb.362:
	v_cmp_ngt_f64_e64 s[18:19], |v[121:122]|, |v[123:124]|
	s_and_saveexec_b64 s[20:21], s[18:19]
	s_xor_b64 s[18:19], exec, s[20:21]
	s_cbranch_execz .LBB70_364
; %bb.363:
	v_div_scale_f64 v[106:107], s[20:21], v[123:124], v[123:124], v[121:122]
	v_rcp_f64_e32 v[108:109], v[106:107]
	v_fma_f64 v[110:111], -v[106:107], v[108:109], 1.0
	v_fma_f64 v[108:109], v[108:109], v[110:111], v[108:109]
	v_div_scale_f64 v[110:111], vcc, v[121:122], v[123:124], v[121:122]
	v_fma_f64 v[112:113], -v[106:107], v[108:109], 1.0
	v_fma_f64 v[108:109], v[108:109], v[112:113], v[108:109]
	v_mul_f64 v[112:113], v[110:111], v[108:109]
	v_fma_f64 v[106:107], -v[106:107], v[112:113], v[110:111]
	v_div_fmas_f64 v[106:107], v[106:107], v[108:109], v[112:113]
	v_div_fixup_f64 v[106:107], v[106:107], v[123:124], v[121:122]
	v_fma_f64 v[108:109], v[121:122], v[106:107], v[123:124]
	v_div_scale_f64 v[110:111], s[20:21], v[108:109], v[108:109], 1.0
	v_div_scale_f64 v[116:117], vcc, 1.0, v[108:109], 1.0
	v_rcp_f64_e32 v[112:113], v[110:111]
	v_fma_f64 v[114:115], -v[110:111], v[112:113], 1.0
	v_fma_f64 v[112:113], v[112:113], v[114:115], v[112:113]
	v_fma_f64 v[114:115], -v[110:111], v[112:113], 1.0
	v_fma_f64 v[112:113], v[112:113], v[114:115], v[112:113]
	v_mul_f64 v[114:115], v[116:117], v[112:113]
	v_fma_f64 v[110:111], -v[110:111], v[114:115], v[116:117]
	v_div_fmas_f64 v[110:111], v[110:111], v[112:113], v[114:115]
	v_div_fixup_f64 v[123:124], v[110:111], v[108:109], 1.0
	v_mul_f64 v[121:122], v[106:107], v[123:124]
	v_xor_b32_e32 v124, 0x80000000, v124
.LBB70_364:
	s_andn2_saveexec_b64 s[18:19], s[18:19]
	s_cbranch_execz .LBB70_366
; %bb.365:
	v_div_scale_f64 v[106:107], s[20:21], v[121:122], v[121:122], v[123:124]
	v_rcp_f64_e32 v[108:109], v[106:107]
	v_fma_f64 v[110:111], -v[106:107], v[108:109], 1.0
	v_fma_f64 v[108:109], v[108:109], v[110:111], v[108:109]
	v_div_scale_f64 v[110:111], vcc, v[123:124], v[121:122], v[123:124]
	v_fma_f64 v[112:113], -v[106:107], v[108:109], 1.0
	v_fma_f64 v[108:109], v[108:109], v[112:113], v[108:109]
	v_mul_f64 v[112:113], v[110:111], v[108:109]
	v_fma_f64 v[106:107], -v[106:107], v[112:113], v[110:111]
	v_div_fmas_f64 v[106:107], v[106:107], v[108:109], v[112:113]
	v_div_fixup_f64 v[106:107], v[106:107], v[121:122], v[123:124]
	v_fma_f64 v[108:109], v[123:124], v[106:107], v[121:122]
	v_div_scale_f64 v[110:111], s[20:21], v[108:109], v[108:109], 1.0
	v_div_scale_f64 v[116:117], vcc, 1.0, v[108:109], 1.0
	v_rcp_f64_e32 v[112:113], v[110:111]
	v_fma_f64 v[114:115], -v[110:111], v[112:113], 1.0
	v_fma_f64 v[112:113], v[112:113], v[114:115], v[112:113]
	v_fma_f64 v[114:115], -v[110:111], v[112:113], 1.0
	v_fma_f64 v[112:113], v[112:113], v[114:115], v[112:113]
	v_mul_f64 v[114:115], v[116:117], v[112:113]
	v_fma_f64 v[110:111], -v[110:111], v[114:115], v[116:117]
	v_div_fmas_f64 v[110:111], v[110:111], v[112:113], v[114:115]
	v_div_fixup_f64 v[121:122], v[110:111], v[108:109], 1.0
	v_mul_f64 v[123:124], v[106:107], -v[121:122]
.LBB70_366:
	s_or_b64 exec, exec, s[18:19]
.LBB70_367:
	s_or_b64 exec, exec, s[0:1]
	v_cmp_ne_u32_e32 vcc, v100, v105
	s_and_saveexec_b64 s[0:1], vcc
	s_xor_b64 s[0:1], exec, s[0:1]
	s_cbranch_execz .LBB70_373
; %bb.368:
	v_cmp_eq_u32_e32 vcc, 17, v100
	s_and_saveexec_b64 s[18:19], vcc
	s_cbranch_execz .LBB70_372
; %bb.369:
	v_cmp_ne_u32_e32 vcc, 17, v105
	s_xor_b64 s[20:21], s[6:7], -1
	s_and_b64 s[22:23], s[20:21], vcc
	s_and_saveexec_b64 s[20:21], s[22:23]
	s_cbranch_execz .LBB70_371
; %bb.370:
	v_ashrrev_i32_e32 v106, 31, v105
	v_lshlrev_b64 v[106:107], 2, v[105:106]
	v_add_co_u32_e32 v106, vcc, v119, v106
	v_addc_co_u32_e32 v107, vcc, v120, v107, vcc
	global_load_dword v0, v[106:107], off
	global_load_dword v100, v[119:120], off offset:68
	s_waitcnt vmcnt(1)
	global_store_dword v[119:120], v0, off offset:68
	s_waitcnt vmcnt(1)
	global_store_dword v[106:107], v100, off
.LBB70_371:
	s_or_b64 exec, exec, s[20:21]
	v_mov_b32_e32 v100, v105
	v_mov_b32_e32 v0, v105
.LBB70_372:
	s_or_b64 exec, exec, s[18:19]
.LBB70_373:
	s_andn2_saveexec_b64 s[0:1], s[0:1]
	s_cbranch_execz .LBB70_375
; %bb.374:
	v_mov_b32_e32 v100, 17
	ds_write2_b64 v98, v[65:66], v[67:68] offset0:36 offset1:37
	ds_write2_b64 v98, v[61:62], v[63:64] offset0:38 offset1:39
	;; [unrolled: 1-line block ×18, first 2 shown]
.LBB70_375:
	s_or_b64 exec, exec, s[0:1]
	v_cmp_lt_i32_e32 vcc, 17, v100
	s_waitcnt vmcnt(0) lgkmcnt(0)
	s_barrier
	s_and_saveexec_b64 s[0:1], vcc
	s_cbranch_execz .LBB70_377
; %bb.376:
	v_mul_f64 v[105:106], v[123:124], v[71:72]
	v_mul_f64 v[71:72], v[121:122], v[71:72]
	v_fma_f64 v[125:126], v[121:122], v[69:70], -v[105:106]
	v_fma_f64 v[71:72], v[123:124], v[69:70], v[71:72]
	ds_read2_b64 v[105:108], v98 offset0:36 offset1:37
	s_waitcnt lgkmcnt(0)
	v_mul_f64 v[69:70], v[107:108], v[71:72]
	v_fma_f64 v[69:70], v[105:106], v[125:126], -v[69:70]
	v_mul_f64 v[105:106], v[105:106], v[71:72]
	v_add_f64 v[65:66], v[65:66], -v[69:70]
	v_fma_f64 v[105:106], v[107:108], v[125:126], v[105:106]
	v_add_f64 v[67:68], v[67:68], -v[105:106]
	ds_read2_b64 v[105:108], v98 offset0:38 offset1:39
	s_waitcnt lgkmcnt(0)
	v_mul_f64 v[69:70], v[107:108], v[71:72]
	v_fma_f64 v[69:70], v[105:106], v[125:126], -v[69:70]
	v_mul_f64 v[105:106], v[105:106], v[71:72]
	v_add_f64 v[61:62], v[61:62], -v[69:70]
	v_fma_f64 v[105:106], v[107:108], v[125:126], v[105:106]
	v_add_f64 v[63:64], v[63:64], -v[105:106]
	;; [unrolled: 8-line block ×17, first 2 shown]
	ds_read2_b64 v[105:108], v98 offset0:70 offset1:71
	s_waitcnt lgkmcnt(0)
	v_mul_f64 v[69:70], v[107:108], v[71:72]
	v_fma_f64 v[69:70], v[105:106], v[125:126], -v[69:70]
	v_mul_f64 v[105:106], v[105:106], v[71:72]
	v_add_f64 v[101:102], v[101:102], -v[69:70]
	v_fma_f64 v[105:106], v[107:108], v[125:126], v[105:106]
	v_mov_b32_e32 v69, v125
	v_mov_b32_e32 v70, v126
	v_add_f64 v[103:104], v[103:104], -v[105:106]
.LBB70_377:
	s_or_b64 exec, exec, s[0:1]
	v_lshl_add_u32 v105, v100, 4, v98
	s_barrier
	ds_write2_b64 v105, v[65:66], v[67:68] offset1:1
	s_waitcnt lgkmcnt(0)
	s_barrier
	ds_read2_b64 v[121:124], v98 offset0:36 offset1:37
	s_cmp_lt_i32 s3, 20
	v_mov_b32_e32 v105, 18
	s_cbranch_scc1 .LBB70_380
; %bb.378:
	v_add_u32_e32 v106, 0x130, v98
	s_mov_b32 s0, 19
	v_mov_b32_e32 v105, 18
.LBB70_379:                             ; =>This Inner Loop Header: Depth=1
	s_waitcnt lgkmcnt(0)
	v_cmp_gt_f64_e32 vcc, 0, v[121:122]
	v_xor_b32_e32 v111, 0x80000000, v122
	ds_read2_b64 v[107:110], v106 offset1:1
	v_xor_b32_e32 v113, 0x80000000, v124
	v_add_u32_e32 v106, 16, v106
	s_waitcnt lgkmcnt(0)
	v_xor_b32_e32 v115, 0x80000000, v110
	v_cndmask_b32_e32 v112, v122, v111, vcc
	v_cmp_gt_f64_e32 vcc, 0, v[123:124]
	v_mov_b32_e32 v111, v121
	v_cndmask_b32_e32 v114, v124, v113, vcc
	v_cmp_gt_f64_e32 vcc, 0, v[107:108]
	v_mov_b32_e32 v113, v123
	v_add_f64 v[111:112], v[111:112], v[113:114]
	v_xor_b32_e32 v113, 0x80000000, v108
	v_cndmask_b32_e32 v114, v108, v113, vcc
	v_cmp_gt_f64_e32 vcc, 0, v[109:110]
	v_mov_b32_e32 v113, v107
	v_cndmask_b32_e32 v116, v110, v115, vcc
	v_mov_b32_e32 v115, v109
	v_add_f64 v[113:114], v[113:114], v[115:116]
	v_cmp_lt_f64_e32 vcc, v[111:112], v[113:114]
	v_cndmask_b32_e32 v121, v121, v107, vcc
	v_mov_b32_e32 v107, s0
	s_add_i32 s0, s0, 1
	v_cndmask_b32_e32 v122, v122, v108, vcc
	v_cndmask_b32_e32 v124, v124, v110, vcc
	;; [unrolled: 1-line block ×4, first 2 shown]
	s_cmp_lg_u32 s3, s0
	s_cbranch_scc1 .LBB70_379
.LBB70_380:
	s_waitcnt lgkmcnt(0)
	v_cmp_eq_f64_e32 vcc, 0, v[121:122]
	v_cmp_eq_f64_e64 s[0:1], 0, v[123:124]
	s_and_b64 s[0:1], vcc, s[0:1]
	s_and_saveexec_b64 s[18:19], s[0:1]
	s_xor_b64 s[0:1], exec, s[18:19]
; %bb.381:
	v_cmp_ne_u32_e32 vcc, 0, v99
	v_cndmask_b32_e32 v99, 19, v99, vcc
; %bb.382:
	s_andn2_saveexec_b64 s[0:1], s[0:1]
	s_cbranch_execz .LBB70_388
; %bb.383:
	v_cmp_ngt_f64_e64 s[18:19], |v[121:122]|, |v[123:124]|
	s_and_saveexec_b64 s[20:21], s[18:19]
	s_xor_b64 s[18:19], exec, s[20:21]
	s_cbranch_execz .LBB70_385
; %bb.384:
	v_div_scale_f64 v[106:107], s[20:21], v[123:124], v[123:124], v[121:122]
	v_rcp_f64_e32 v[108:109], v[106:107]
	v_fma_f64 v[110:111], -v[106:107], v[108:109], 1.0
	v_fma_f64 v[108:109], v[108:109], v[110:111], v[108:109]
	v_div_scale_f64 v[110:111], vcc, v[121:122], v[123:124], v[121:122]
	v_fma_f64 v[112:113], -v[106:107], v[108:109], 1.0
	v_fma_f64 v[108:109], v[108:109], v[112:113], v[108:109]
	v_mul_f64 v[112:113], v[110:111], v[108:109]
	v_fma_f64 v[106:107], -v[106:107], v[112:113], v[110:111]
	v_div_fmas_f64 v[106:107], v[106:107], v[108:109], v[112:113]
	v_div_fixup_f64 v[106:107], v[106:107], v[123:124], v[121:122]
	v_fma_f64 v[108:109], v[121:122], v[106:107], v[123:124]
	v_div_scale_f64 v[110:111], s[20:21], v[108:109], v[108:109], 1.0
	v_div_scale_f64 v[116:117], vcc, 1.0, v[108:109], 1.0
	v_rcp_f64_e32 v[112:113], v[110:111]
	v_fma_f64 v[114:115], -v[110:111], v[112:113], 1.0
	v_fma_f64 v[112:113], v[112:113], v[114:115], v[112:113]
	v_fma_f64 v[114:115], -v[110:111], v[112:113], 1.0
	v_fma_f64 v[112:113], v[112:113], v[114:115], v[112:113]
	v_mul_f64 v[114:115], v[116:117], v[112:113]
	v_fma_f64 v[110:111], -v[110:111], v[114:115], v[116:117]
	v_div_fmas_f64 v[110:111], v[110:111], v[112:113], v[114:115]
	v_div_fixup_f64 v[123:124], v[110:111], v[108:109], 1.0
	v_mul_f64 v[121:122], v[106:107], v[123:124]
	v_xor_b32_e32 v124, 0x80000000, v124
.LBB70_385:
	s_andn2_saveexec_b64 s[18:19], s[18:19]
	s_cbranch_execz .LBB70_387
; %bb.386:
	v_div_scale_f64 v[106:107], s[20:21], v[121:122], v[121:122], v[123:124]
	v_rcp_f64_e32 v[108:109], v[106:107]
	v_fma_f64 v[110:111], -v[106:107], v[108:109], 1.0
	v_fma_f64 v[108:109], v[108:109], v[110:111], v[108:109]
	v_div_scale_f64 v[110:111], vcc, v[123:124], v[121:122], v[123:124]
	v_fma_f64 v[112:113], -v[106:107], v[108:109], 1.0
	v_fma_f64 v[108:109], v[108:109], v[112:113], v[108:109]
	v_mul_f64 v[112:113], v[110:111], v[108:109]
	v_fma_f64 v[106:107], -v[106:107], v[112:113], v[110:111]
	v_div_fmas_f64 v[106:107], v[106:107], v[108:109], v[112:113]
	v_div_fixup_f64 v[106:107], v[106:107], v[121:122], v[123:124]
	v_fma_f64 v[108:109], v[123:124], v[106:107], v[121:122]
	v_div_scale_f64 v[110:111], s[20:21], v[108:109], v[108:109], 1.0
	v_div_scale_f64 v[116:117], vcc, 1.0, v[108:109], 1.0
	v_rcp_f64_e32 v[112:113], v[110:111]
	v_fma_f64 v[114:115], -v[110:111], v[112:113], 1.0
	v_fma_f64 v[112:113], v[112:113], v[114:115], v[112:113]
	v_fma_f64 v[114:115], -v[110:111], v[112:113], 1.0
	v_fma_f64 v[112:113], v[112:113], v[114:115], v[112:113]
	v_mul_f64 v[114:115], v[116:117], v[112:113]
	v_fma_f64 v[110:111], -v[110:111], v[114:115], v[116:117]
	v_div_fmas_f64 v[110:111], v[110:111], v[112:113], v[114:115]
	v_div_fixup_f64 v[121:122], v[110:111], v[108:109], 1.0
	v_mul_f64 v[123:124], v[106:107], -v[121:122]
.LBB70_387:
	s_or_b64 exec, exec, s[18:19]
.LBB70_388:
	s_or_b64 exec, exec, s[0:1]
	v_cmp_ne_u32_e32 vcc, v100, v105
	s_and_saveexec_b64 s[0:1], vcc
	s_xor_b64 s[0:1], exec, s[0:1]
	s_cbranch_execz .LBB70_394
; %bb.389:
	v_cmp_eq_u32_e32 vcc, 18, v100
	s_and_saveexec_b64 s[18:19], vcc
	s_cbranch_execz .LBB70_393
; %bb.390:
	v_cmp_ne_u32_e32 vcc, 18, v105
	s_xor_b64 s[20:21], s[6:7], -1
	s_and_b64 s[22:23], s[20:21], vcc
	s_and_saveexec_b64 s[20:21], s[22:23]
	s_cbranch_execz .LBB70_392
; %bb.391:
	v_ashrrev_i32_e32 v106, 31, v105
	v_lshlrev_b64 v[106:107], 2, v[105:106]
	v_add_co_u32_e32 v106, vcc, v119, v106
	v_addc_co_u32_e32 v107, vcc, v120, v107, vcc
	global_load_dword v0, v[106:107], off
	global_load_dword v100, v[119:120], off offset:72
	s_waitcnt vmcnt(1)
	global_store_dword v[119:120], v0, off offset:72
	s_waitcnt vmcnt(1)
	global_store_dword v[106:107], v100, off
.LBB70_392:
	s_or_b64 exec, exec, s[20:21]
	v_mov_b32_e32 v100, v105
	v_mov_b32_e32 v0, v105
.LBB70_393:
	s_or_b64 exec, exec, s[18:19]
.LBB70_394:
	s_andn2_saveexec_b64 s[0:1], s[0:1]
	s_cbranch_execz .LBB70_396
; %bb.395:
	v_mov_b32_e32 v100, 18
	ds_write2_b64 v98, v[61:62], v[63:64] offset0:38 offset1:39
	ds_write2_b64 v98, v[57:58], v[59:60] offset0:40 offset1:41
	;; [unrolled: 1-line block ×17, first 2 shown]
.LBB70_396:
	s_or_b64 exec, exec, s[0:1]
	v_cmp_lt_i32_e32 vcc, 18, v100
	s_waitcnt vmcnt(0) lgkmcnt(0)
	s_barrier
	s_and_saveexec_b64 s[0:1], vcc
	s_cbranch_execz .LBB70_398
; %bb.397:
	v_mul_f64 v[105:106], v[123:124], v[67:68]
	v_mul_f64 v[67:68], v[121:122], v[67:68]
	v_fma_f64 v[125:126], v[121:122], v[65:66], -v[105:106]
	v_fma_f64 v[67:68], v[123:124], v[65:66], v[67:68]
	ds_read2_b64 v[105:108], v98 offset0:38 offset1:39
	s_waitcnt lgkmcnt(0)
	v_mul_f64 v[65:66], v[107:108], v[67:68]
	v_fma_f64 v[65:66], v[105:106], v[125:126], -v[65:66]
	v_mul_f64 v[105:106], v[105:106], v[67:68]
	v_add_f64 v[61:62], v[61:62], -v[65:66]
	v_fma_f64 v[105:106], v[107:108], v[125:126], v[105:106]
	v_add_f64 v[63:64], v[63:64], -v[105:106]
	ds_read2_b64 v[105:108], v98 offset0:40 offset1:41
	s_waitcnt lgkmcnt(0)
	v_mul_f64 v[65:66], v[107:108], v[67:68]
	v_fma_f64 v[65:66], v[105:106], v[125:126], -v[65:66]
	v_mul_f64 v[105:106], v[105:106], v[67:68]
	v_add_f64 v[57:58], v[57:58], -v[65:66]
	v_fma_f64 v[105:106], v[107:108], v[125:126], v[105:106]
	v_add_f64 v[59:60], v[59:60], -v[105:106]
	;; [unrolled: 8-line block ×16, first 2 shown]
	ds_read2_b64 v[105:108], v98 offset0:70 offset1:71
	s_waitcnt lgkmcnt(0)
	v_mul_f64 v[65:66], v[107:108], v[67:68]
	v_fma_f64 v[65:66], v[105:106], v[125:126], -v[65:66]
	v_mul_f64 v[105:106], v[105:106], v[67:68]
	v_add_f64 v[101:102], v[101:102], -v[65:66]
	v_fma_f64 v[105:106], v[107:108], v[125:126], v[105:106]
	v_mov_b32_e32 v65, v125
	v_mov_b32_e32 v66, v126
	v_add_f64 v[103:104], v[103:104], -v[105:106]
.LBB70_398:
	s_or_b64 exec, exec, s[0:1]
	v_lshl_add_u32 v105, v100, 4, v98
	s_barrier
	ds_write2_b64 v105, v[61:62], v[63:64] offset1:1
	s_waitcnt lgkmcnt(0)
	s_barrier
	ds_read2_b64 v[121:124], v98 offset0:38 offset1:39
	s_cmp_lt_i32 s3, 21
	v_mov_b32_e32 v105, 19
	s_cbranch_scc1 .LBB70_401
; %bb.399:
	v_add_u32_e32 v106, 0x140, v98
	s_mov_b32 s0, 20
	v_mov_b32_e32 v105, 19
.LBB70_400:                             ; =>This Inner Loop Header: Depth=1
	s_waitcnt lgkmcnt(0)
	v_cmp_gt_f64_e32 vcc, 0, v[121:122]
	v_xor_b32_e32 v111, 0x80000000, v122
	ds_read2_b64 v[107:110], v106 offset1:1
	v_xor_b32_e32 v113, 0x80000000, v124
	v_add_u32_e32 v106, 16, v106
	s_waitcnt lgkmcnt(0)
	v_xor_b32_e32 v115, 0x80000000, v110
	v_cndmask_b32_e32 v112, v122, v111, vcc
	v_cmp_gt_f64_e32 vcc, 0, v[123:124]
	v_mov_b32_e32 v111, v121
	v_cndmask_b32_e32 v114, v124, v113, vcc
	v_cmp_gt_f64_e32 vcc, 0, v[107:108]
	v_mov_b32_e32 v113, v123
	v_add_f64 v[111:112], v[111:112], v[113:114]
	v_xor_b32_e32 v113, 0x80000000, v108
	v_cndmask_b32_e32 v114, v108, v113, vcc
	v_cmp_gt_f64_e32 vcc, 0, v[109:110]
	v_mov_b32_e32 v113, v107
	v_cndmask_b32_e32 v116, v110, v115, vcc
	v_mov_b32_e32 v115, v109
	v_add_f64 v[113:114], v[113:114], v[115:116]
	v_cmp_lt_f64_e32 vcc, v[111:112], v[113:114]
	v_cndmask_b32_e32 v121, v121, v107, vcc
	v_mov_b32_e32 v107, s0
	s_add_i32 s0, s0, 1
	v_cndmask_b32_e32 v122, v122, v108, vcc
	v_cndmask_b32_e32 v124, v124, v110, vcc
	;; [unrolled: 1-line block ×4, first 2 shown]
	s_cmp_lg_u32 s3, s0
	s_cbranch_scc1 .LBB70_400
.LBB70_401:
	s_waitcnt lgkmcnt(0)
	v_cmp_eq_f64_e32 vcc, 0, v[121:122]
	v_cmp_eq_f64_e64 s[0:1], 0, v[123:124]
	s_and_b64 s[0:1], vcc, s[0:1]
	s_and_saveexec_b64 s[18:19], s[0:1]
	s_xor_b64 s[0:1], exec, s[18:19]
; %bb.402:
	v_cmp_ne_u32_e32 vcc, 0, v99
	v_cndmask_b32_e32 v99, 20, v99, vcc
; %bb.403:
	s_andn2_saveexec_b64 s[0:1], s[0:1]
	s_cbranch_execz .LBB70_409
; %bb.404:
	v_cmp_ngt_f64_e64 s[18:19], |v[121:122]|, |v[123:124]|
	s_and_saveexec_b64 s[20:21], s[18:19]
	s_xor_b64 s[18:19], exec, s[20:21]
	s_cbranch_execz .LBB70_406
; %bb.405:
	v_div_scale_f64 v[106:107], s[20:21], v[123:124], v[123:124], v[121:122]
	v_rcp_f64_e32 v[108:109], v[106:107]
	v_fma_f64 v[110:111], -v[106:107], v[108:109], 1.0
	v_fma_f64 v[108:109], v[108:109], v[110:111], v[108:109]
	v_div_scale_f64 v[110:111], vcc, v[121:122], v[123:124], v[121:122]
	v_fma_f64 v[112:113], -v[106:107], v[108:109], 1.0
	v_fma_f64 v[108:109], v[108:109], v[112:113], v[108:109]
	v_mul_f64 v[112:113], v[110:111], v[108:109]
	v_fma_f64 v[106:107], -v[106:107], v[112:113], v[110:111]
	v_div_fmas_f64 v[106:107], v[106:107], v[108:109], v[112:113]
	v_div_fixup_f64 v[106:107], v[106:107], v[123:124], v[121:122]
	v_fma_f64 v[108:109], v[121:122], v[106:107], v[123:124]
	v_div_scale_f64 v[110:111], s[20:21], v[108:109], v[108:109], 1.0
	v_div_scale_f64 v[116:117], vcc, 1.0, v[108:109], 1.0
	v_rcp_f64_e32 v[112:113], v[110:111]
	v_fma_f64 v[114:115], -v[110:111], v[112:113], 1.0
	v_fma_f64 v[112:113], v[112:113], v[114:115], v[112:113]
	v_fma_f64 v[114:115], -v[110:111], v[112:113], 1.0
	v_fma_f64 v[112:113], v[112:113], v[114:115], v[112:113]
	v_mul_f64 v[114:115], v[116:117], v[112:113]
	v_fma_f64 v[110:111], -v[110:111], v[114:115], v[116:117]
	v_div_fmas_f64 v[110:111], v[110:111], v[112:113], v[114:115]
	v_div_fixup_f64 v[123:124], v[110:111], v[108:109], 1.0
	v_mul_f64 v[121:122], v[106:107], v[123:124]
	v_xor_b32_e32 v124, 0x80000000, v124
.LBB70_406:
	s_andn2_saveexec_b64 s[18:19], s[18:19]
	s_cbranch_execz .LBB70_408
; %bb.407:
	v_div_scale_f64 v[106:107], s[20:21], v[121:122], v[121:122], v[123:124]
	v_rcp_f64_e32 v[108:109], v[106:107]
	v_fma_f64 v[110:111], -v[106:107], v[108:109], 1.0
	v_fma_f64 v[108:109], v[108:109], v[110:111], v[108:109]
	v_div_scale_f64 v[110:111], vcc, v[123:124], v[121:122], v[123:124]
	v_fma_f64 v[112:113], -v[106:107], v[108:109], 1.0
	v_fma_f64 v[108:109], v[108:109], v[112:113], v[108:109]
	v_mul_f64 v[112:113], v[110:111], v[108:109]
	v_fma_f64 v[106:107], -v[106:107], v[112:113], v[110:111]
	v_div_fmas_f64 v[106:107], v[106:107], v[108:109], v[112:113]
	v_div_fixup_f64 v[106:107], v[106:107], v[121:122], v[123:124]
	v_fma_f64 v[108:109], v[123:124], v[106:107], v[121:122]
	v_div_scale_f64 v[110:111], s[20:21], v[108:109], v[108:109], 1.0
	v_div_scale_f64 v[116:117], vcc, 1.0, v[108:109], 1.0
	v_rcp_f64_e32 v[112:113], v[110:111]
	v_fma_f64 v[114:115], -v[110:111], v[112:113], 1.0
	v_fma_f64 v[112:113], v[112:113], v[114:115], v[112:113]
	v_fma_f64 v[114:115], -v[110:111], v[112:113], 1.0
	v_fma_f64 v[112:113], v[112:113], v[114:115], v[112:113]
	v_mul_f64 v[114:115], v[116:117], v[112:113]
	v_fma_f64 v[110:111], -v[110:111], v[114:115], v[116:117]
	v_div_fmas_f64 v[110:111], v[110:111], v[112:113], v[114:115]
	v_div_fixup_f64 v[121:122], v[110:111], v[108:109], 1.0
	v_mul_f64 v[123:124], v[106:107], -v[121:122]
.LBB70_408:
	s_or_b64 exec, exec, s[18:19]
.LBB70_409:
	s_or_b64 exec, exec, s[0:1]
	v_cmp_ne_u32_e32 vcc, v100, v105
	s_and_saveexec_b64 s[0:1], vcc
	s_xor_b64 s[0:1], exec, s[0:1]
	s_cbranch_execz .LBB70_415
; %bb.410:
	v_cmp_eq_u32_e32 vcc, 19, v100
	s_and_saveexec_b64 s[18:19], vcc
	s_cbranch_execz .LBB70_414
; %bb.411:
	v_cmp_ne_u32_e32 vcc, 19, v105
	s_xor_b64 s[20:21], s[6:7], -1
	s_and_b64 s[22:23], s[20:21], vcc
	s_and_saveexec_b64 s[20:21], s[22:23]
	s_cbranch_execz .LBB70_413
; %bb.412:
	v_ashrrev_i32_e32 v106, 31, v105
	v_lshlrev_b64 v[106:107], 2, v[105:106]
	v_add_co_u32_e32 v106, vcc, v119, v106
	v_addc_co_u32_e32 v107, vcc, v120, v107, vcc
	global_load_dword v0, v[106:107], off
	global_load_dword v100, v[119:120], off offset:76
	s_waitcnt vmcnt(1)
	global_store_dword v[119:120], v0, off offset:76
	s_waitcnt vmcnt(1)
	global_store_dword v[106:107], v100, off
.LBB70_413:
	s_or_b64 exec, exec, s[20:21]
	v_mov_b32_e32 v100, v105
	v_mov_b32_e32 v0, v105
.LBB70_414:
	s_or_b64 exec, exec, s[18:19]
.LBB70_415:
	s_andn2_saveexec_b64 s[0:1], s[0:1]
	s_cbranch_execz .LBB70_417
; %bb.416:
	v_mov_b32_e32 v100, 19
	ds_write2_b64 v98, v[57:58], v[59:60] offset0:40 offset1:41
	ds_write2_b64 v98, v[53:54], v[55:56] offset0:42 offset1:43
	;; [unrolled: 1-line block ×16, first 2 shown]
.LBB70_417:
	s_or_b64 exec, exec, s[0:1]
	v_cmp_lt_i32_e32 vcc, 19, v100
	s_waitcnt vmcnt(0) lgkmcnt(0)
	s_barrier
	s_and_saveexec_b64 s[0:1], vcc
	s_cbranch_execz .LBB70_419
; %bb.418:
	v_mul_f64 v[105:106], v[121:122], v[63:64]
	v_mul_f64 v[63:64], v[123:124], v[63:64]
	ds_read2_b64 v[107:110], v98 offset0:40 offset1:41
	v_fma_f64 v[105:106], v[123:124], v[61:62], v[105:106]
	v_fma_f64 v[61:62], v[121:122], v[61:62], -v[63:64]
	s_waitcnt lgkmcnt(0)
	v_mul_f64 v[63:64], v[109:110], v[105:106]
	v_fma_f64 v[63:64], v[107:108], v[61:62], -v[63:64]
	v_mul_f64 v[107:108], v[107:108], v[105:106]
	v_add_f64 v[57:58], v[57:58], -v[63:64]
	v_fma_f64 v[107:108], v[109:110], v[61:62], v[107:108]
	v_add_f64 v[59:60], v[59:60], -v[107:108]
	ds_read2_b64 v[107:110], v98 offset0:42 offset1:43
	s_waitcnt lgkmcnt(0)
	v_mul_f64 v[63:64], v[109:110], v[105:106]
	v_fma_f64 v[63:64], v[107:108], v[61:62], -v[63:64]
	v_mul_f64 v[107:108], v[107:108], v[105:106]
	v_add_f64 v[53:54], v[53:54], -v[63:64]
	v_fma_f64 v[107:108], v[109:110], v[61:62], v[107:108]
	v_add_f64 v[55:56], v[55:56], -v[107:108]
	ds_read2_b64 v[107:110], v98 offset0:44 offset1:45
	;; [unrolled: 8-line block ×15, first 2 shown]
	s_waitcnt lgkmcnt(0)
	v_mul_f64 v[63:64], v[109:110], v[105:106]
	v_fma_f64 v[63:64], v[107:108], v[61:62], -v[63:64]
	v_mul_f64 v[107:108], v[107:108], v[105:106]
	v_add_f64 v[101:102], v[101:102], -v[63:64]
	v_fma_f64 v[107:108], v[109:110], v[61:62], v[107:108]
	v_mov_b32_e32 v63, v105
	v_mov_b32_e32 v64, v106
	v_add_f64 v[103:104], v[103:104], -v[107:108]
.LBB70_419:
	s_or_b64 exec, exec, s[0:1]
	v_lshl_add_u32 v105, v100, 4, v98
	s_barrier
	ds_write2_b64 v105, v[57:58], v[59:60] offset1:1
	s_waitcnt lgkmcnt(0)
	s_barrier
	ds_read2_b64 v[121:124], v98 offset0:40 offset1:41
	s_cmp_lt_i32 s3, 22
	v_mov_b32_e32 v105, 20
	s_cbranch_scc1 .LBB70_422
; %bb.420:
	v_add_u32_e32 v106, 0x150, v98
	s_mov_b32 s0, 21
	v_mov_b32_e32 v105, 20
.LBB70_421:                             ; =>This Inner Loop Header: Depth=1
	s_waitcnt lgkmcnt(0)
	v_cmp_gt_f64_e32 vcc, 0, v[121:122]
	v_xor_b32_e32 v111, 0x80000000, v122
	ds_read2_b64 v[107:110], v106 offset1:1
	v_xor_b32_e32 v113, 0x80000000, v124
	v_add_u32_e32 v106, 16, v106
	s_waitcnt lgkmcnt(0)
	v_xor_b32_e32 v115, 0x80000000, v110
	v_cndmask_b32_e32 v112, v122, v111, vcc
	v_cmp_gt_f64_e32 vcc, 0, v[123:124]
	v_mov_b32_e32 v111, v121
	v_cndmask_b32_e32 v114, v124, v113, vcc
	v_cmp_gt_f64_e32 vcc, 0, v[107:108]
	v_mov_b32_e32 v113, v123
	v_add_f64 v[111:112], v[111:112], v[113:114]
	v_xor_b32_e32 v113, 0x80000000, v108
	v_cndmask_b32_e32 v114, v108, v113, vcc
	v_cmp_gt_f64_e32 vcc, 0, v[109:110]
	v_mov_b32_e32 v113, v107
	v_cndmask_b32_e32 v116, v110, v115, vcc
	v_mov_b32_e32 v115, v109
	v_add_f64 v[113:114], v[113:114], v[115:116]
	v_cmp_lt_f64_e32 vcc, v[111:112], v[113:114]
	v_cndmask_b32_e32 v121, v121, v107, vcc
	v_mov_b32_e32 v107, s0
	s_add_i32 s0, s0, 1
	v_cndmask_b32_e32 v122, v122, v108, vcc
	v_cndmask_b32_e32 v124, v124, v110, vcc
	;; [unrolled: 1-line block ×4, first 2 shown]
	s_cmp_lg_u32 s3, s0
	s_cbranch_scc1 .LBB70_421
.LBB70_422:
	s_waitcnt lgkmcnt(0)
	v_cmp_eq_f64_e32 vcc, 0, v[121:122]
	v_cmp_eq_f64_e64 s[0:1], 0, v[123:124]
	s_and_b64 s[0:1], vcc, s[0:1]
	s_and_saveexec_b64 s[18:19], s[0:1]
	s_xor_b64 s[0:1], exec, s[18:19]
; %bb.423:
	v_cmp_ne_u32_e32 vcc, 0, v99
	v_cndmask_b32_e32 v99, 21, v99, vcc
; %bb.424:
	s_andn2_saveexec_b64 s[0:1], s[0:1]
	s_cbranch_execz .LBB70_430
; %bb.425:
	v_cmp_ngt_f64_e64 s[18:19], |v[121:122]|, |v[123:124]|
	s_and_saveexec_b64 s[20:21], s[18:19]
	s_xor_b64 s[18:19], exec, s[20:21]
	s_cbranch_execz .LBB70_427
; %bb.426:
	v_div_scale_f64 v[106:107], s[20:21], v[123:124], v[123:124], v[121:122]
	v_rcp_f64_e32 v[108:109], v[106:107]
	v_fma_f64 v[110:111], -v[106:107], v[108:109], 1.0
	v_fma_f64 v[108:109], v[108:109], v[110:111], v[108:109]
	v_div_scale_f64 v[110:111], vcc, v[121:122], v[123:124], v[121:122]
	v_fma_f64 v[112:113], -v[106:107], v[108:109], 1.0
	v_fma_f64 v[108:109], v[108:109], v[112:113], v[108:109]
	v_mul_f64 v[112:113], v[110:111], v[108:109]
	v_fma_f64 v[106:107], -v[106:107], v[112:113], v[110:111]
	v_div_fmas_f64 v[106:107], v[106:107], v[108:109], v[112:113]
	v_div_fixup_f64 v[106:107], v[106:107], v[123:124], v[121:122]
	v_fma_f64 v[108:109], v[121:122], v[106:107], v[123:124]
	v_div_scale_f64 v[110:111], s[20:21], v[108:109], v[108:109], 1.0
	v_div_scale_f64 v[116:117], vcc, 1.0, v[108:109], 1.0
	v_rcp_f64_e32 v[112:113], v[110:111]
	v_fma_f64 v[114:115], -v[110:111], v[112:113], 1.0
	v_fma_f64 v[112:113], v[112:113], v[114:115], v[112:113]
	v_fma_f64 v[114:115], -v[110:111], v[112:113], 1.0
	v_fma_f64 v[112:113], v[112:113], v[114:115], v[112:113]
	v_mul_f64 v[114:115], v[116:117], v[112:113]
	v_fma_f64 v[110:111], -v[110:111], v[114:115], v[116:117]
	v_div_fmas_f64 v[110:111], v[110:111], v[112:113], v[114:115]
	v_div_fixup_f64 v[123:124], v[110:111], v[108:109], 1.0
	v_mul_f64 v[121:122], v[106:107], v[123:124]
	v_xor_b32_e32 v124, 0x80000000, v124
.LBB70_427:
	s_andn2_saveexec_b64 s[18:19], s[18:19]
	s_cbranch_execz .LBB70_429
; %bb.428:
	v_div_scale_f64 v[106:107], s[20:21], v[121:122], v[121:122], v[123:124]
	v_rcp_f64_e32 v[108:109], v[106:107]
	v_fma_f64 v[110:111], -v[106:107], v[108:109], 1.0
	v_fma_f64 v[108:109], v[108:109], v[110:111], v[108:109]
	v_div_scale_f64 v[110:111], vcc, v[123:124], v[121:122], v[123:124]
	v_fma_f64 v[112:113], -v[106:107], v[108:109], 1.0
	v_fma_f64 v[108:109], v[108:109], v[112:113], v[108:109]
	v_mul_f64 v[112:113], v[110:111], v[108:109]
	v_fma_f64 v[106:107], -v[106:107], v[112:113], v[110:111]
	v_div_fmas_f64 v[106:107], v[106:107], v[108:109], v[112:113]
	v_div_fixup_f64 v[106:107], v[106:107], v[121:122], v[123:124]
	v_fma_f64 v[108:109], v[123:124], v[106:107], v[121:122]
	v_div_scale_f64 v[110:111], s[20:21], v[108:109], v[108:109], 1.0
	v_div_scale_f64 v[116:117], vcc, 1.0, v[108:109], 1.0
	v_rcp_f64_e32 v[112:113], v[110:111]
	v_fma_f64 v[114:115], -v[110:111], v[112:113], 1.0
	v_fma_f64 v[112:113], v[112:113], v[114:115], v[112:113]
	v_fma_f64 v[114:115], -v[110:111], v[112:113], 1.0
	v_fma_f64 v[112:113], v[112:113], v[114:115], v[112:113]
	v_mul_f64 v[114:115], v[116:117], v[112:113]
	v_fma_f64 v[110:111], -v[110:111], v[114:115], v[116:117]
	v_div_fmas_f64 v[110:111], v[110:111], v[112:113], v[114:115]
	v_div_fixup_f64 v[121:122], v[110:111], v[108:109], 1.0
	v_mul_f64 v[123:124], v[106:107], -v[121:122]
.LBB70_429:
	s_or_b64 exec, exec, s[18:19]
.LBB70_430:
	s_or_b64 exec, exec, s[0:1]
	v_cmp_ne_u32_e32 vcc, v100, v105
	s_and_saveexec_b64 s[0:1], vcc
	s_xor_b64 s[0:1], exec, s[0:1]
	s_cbranch_execz .LBB70_436
; %bb.431:
	v_cmp_eq_u32_e32 vcc, 20, v100
	s_and_saveexec_b64 s[18:19], vcc
	s_cbranch_execz .LBB70_435
; %bb.432:
	v_cmp_ne_u32_e32 vcc, 20, v105
	s_xor_b64 s[20:21], s[6:7], -1
	s_and_b64 s[22:23], s[20:21], vcc
	s_and_saveexec_b64 s[20:21], s[22:23]
	s_cbranch_execz .LBB70_434
; %bb.433:
	v_ashrrev_i32_e32 v106, 31, v105
	v_lshlrev_b64 v[106:107], 2, v[105:106]
	v_add_co_u32_e32 v106, vcc, v119, v106
	v_addc_co_u32_e32 v107, vcc, v120, v107, vcc
	global_load_dword v0, v[106:107], off
	global_load_dword v100, v[119:120], off offset:80
	s_waitcnt vmcnt(1)
	global_store_dword v[119:120], v0, off offset:80
	s_waitcnt vmcnt(1)
	global_store_dword v[106:107], v100, off
.LBB70_434:
	s_or_b64 exec, exec, s[20:21]
	v_mov_b32_e32 v100, v105
	v_mov_b32_e32 v0, v105
.LBB70_435:
	s_or_b64 exec, exec, s[18:19]
.LBB70_436:
	s_andn2_saveexec_b64 s[0:1], s[0:1]
	s_cbranch_execz .LBB70_438
; %bb.437:
	v_mov_b32_e32 v100, 20
	ds_write2_b64 v98, v[53:54], v[55:56] offset0:42 offset1:43
	ds_write2_b64 v98, v[49:50], v[51:52] offset0:44 offset1:45
	;; [unrolled: 1-line block ×15, first 2 shown]
.LBB70_438:
	s_or_b64 exec, exec, s[0:1]
	v_cmp_lt_i32_e32 vcc, 20, v100
	s_waitcnt vmcnt(0) lgkmcnt(0)
	s_barrier
	s_and_saveexec_b64 s[0:1], vcc
	s_cbranch_execz .LBB70_440
; %bb.439:
	v_mul_f64 v[105:106], v[121:122], v[59:60]
	v_mul_f64 v[59:60], v[123:124], v[59:60]
	ds_read2_b64 v[107:110], v98 offset0:42 offset1:43
	v_fma_f64 v[105:106], v[123:124], v[57:58], v[105:106]
	v_fma_f64 v[57:58], v[121:122], v[57:58], -v[59:60]
	s_waitcnt lgkmcnt(0)
	v_mul_f64 v[59:60], v[109:110], v[105:106]
	v_fma_f64 v[59:60], v[107:108], v[57:58], -v[59:60]
	v_mul_f64 v[107:108], v[107:108], v[105:106]
	v_add_f64 v[53:54], v[53:54], -v[59:60]
	v_fma_f64 v[107:108], v[109:110], v[57:58], v[107:108]
	v_add_f64 v[55:56], v[55:56], -v[107:108]
	ds_read2_b64 v[107:110], v98 offset0:44 offset1:45
	s_waitcnt lgkmcnt(0)
	v_mul_f64 v[59:60], v[109:110], v[105:106]
	v_fma_f64 v[59:60], v[107:108], v[57:58], -v[59:60]
	v_mul_f64 v[107:108], v[107:108], v[105:106]
	v_add_f64 v[49:50], v[49:50], -v[59:60]
	v_fma_f64 v[107:108], v[109:110], v[57:58], v[107:108]
	v_add_f64 v[51:52], v[51:52], -v[107:108]
	ds_read2_b64 v[107:110], v98 offset0:46 offset1:47
	s_waitcnt lgkmcnt(0)
	v_mul_f64 v[59:60], v[109:110], v[105:106]
	v_fma_f64 v[59:60], v[107:108], v[57:58], -v[59:60]
	v_mul_f64 v[107:108], v[107:108], v[105:106]
	v_add_f64 v[45:46], v[45:46], -v[59:60]
	v_fma_f64 v[107:108], v[109:110], v[57:58], v[107:108]
	v_add_f64 v[47:48], v[47:48], -v[107:108]
	ds_read2_b64 v[107:110], v98 offset0:48 offset1:49
	s_waitcnt lgkmcnt(0)
	v_mul_f64 v[59:60], v[109:110], v[105:106]
	v_fma_f64 v[59:60], v[107:108], v[57:58], -v[59:60]
	v_mul_f64 v[107:108], v[107:108], v[105:106]
	v_add_f64 v[41:42], v[41:42], -v[59:60]
	v_fma_f64 v[107:108], v[109:110], v[57:58], v[107:108]
	v_add_f64 v[43:44], v[43:44], -v[107:108]
	ds_read2_b64 v[107:110], v98 offset0:50 offset1:51
	s_waitcnt lgkmcnt(0)
	v_mul_f64 v[59:60], v[109:110], v[105:106]
	v_fma_f64 v[59:60], v[107:108], v[57:58], -v[59:60]
	v_mul_f64 v[107:108], v[107:108], v[105:106]
	v_add_f64 v[37:38], v[37:38], -v[59:60]
	v_fma_f64 v[107:108], v[109:110], v[57:58], v[107:108]
	v_add_f64 v[39:40], v[39:40], -v[107:108]
	ds_read2_b64 v[107:110], v98 offset0:52 offset1:53
	s_waitcnt lgkmcnt(0)
	v_mul_f64 v[59:60], v[109:110], v[105:106]
	v_fma_f64 v[59:60], v[107:108], v[57:58], -v[59:60]
	v_mul_f64 v[107:108], v[107:108], v[105:106]
	v_add_f64 v[33:34], v[33:34], -v[59:60]
	v_fma_f64 v[107:108], v[109:110], v[57:58], v[107:108]
	v_add_f64 v[35:36], v[35:36], -v[107:108]
	ds_read2_b64 v[107:110], v98 offset0:54 offset1:55
	s_waitcnt lgkmcnt(0)
	v_mul_f64 v[59:60], v[109:110], v[105:106]
	v_fma_f64 v[59:60], v[107:108], v[57:58], -v[59:60]
	v_mul_f64 v[107:108], v[107:108], v[105:106]
	v_add_f64 v[29:30], v[29:30], -v[59:60]
	v_fma_f64 v[107:108], v[109:110], v[57:58], v[107:108]
	v_add_f64 v[31:32], v[31:32], -v[107:108]
	ds_read2_b64 v[107:110], v98 offset0:56 offset1:57
	s_waitcnt lgkmcnt(0)
	v_mul_f64 v[59:60], v[109:110], v[105:106]
	v_fma_f64 v[59:60], v[107:108], v[57:58], -v[59:60]
	v_mul_f64 v[107:108], v[107:108], v[105:106]
	v_add_f64 v[25:26], v[25:26], -v[59:60]
	v_fma_f64 v[107:108], v[109:110], v[57:58], v[107:108]
	v_add_f64 v[27:28], v[27:28], -v[107:108]
	ds_read2_b64 v[107:110], v98 offset0:58 offset1:59
	s_waitcnt lgkmcnt(0)
	v_mul_f64 v[59:60], v[109:110], v[105:106]
	v_fma_f64 v[59:60], v[107:108], v[57:58], -v[59:60]
	v_mul_f64 v[107:108], v[107:108], v[105:106]
	v_add_f64 v[21:22], v[21:22], -v[59:60]
	v_fma_f64 v[107:108], v[109:110], v[57:58], v[107:108]
	v_add_f64 v[23:24], v[23:24], -v[107:108]
	ds_read2_b64 v[107:110], v98 offset0:60 offset1:61
	s_waitcnt lgkmcnt(0)
	v_mul_f64 v[59:60], v[109:110], v[105:106]
	v_fma_f64 v[59:60], v[107:108], v[57:58], -v[59:60]
	v_mul_f64 v[107:108], v[107:108], v[105:106]
	v_add_f64 v[17:18], v[17:18], -v[59:60]
	v_fma_f64 v[107:108], v[109:110], v[57:58], v[107:108]
	v_add_f64 v[19:20], v[19:20], -v[107:108]
	ds_read2_b64 v[107:110], v98 offset0:62 offset1:63
	s_waitcnt lgkmcnt(0)
	v_mul_f64 v[59:60], v[109:110], v[105:106]
	v_fma_f64 v[59:60], v[107:108], v[57:58], -v[59:60]
	v_mul_f64 v[107:108], v[107:108], v[105:106]
	v_add_f64 v[13:14], v[13:14], -v[59:60]
	v_fma_f64 v[107:108], v[109:110], v[57:58], v[107:108]
	v_add_f64 v[15:16], v[15:16], -v[107:108]
	ds_read2_b64 v[107:110], v98 offset0:64 offset1:65
	s_waitcnt lgkmcnt(0)
	v_mul_f64 v[59:60], v[109:110], v[105:106]
	v_fma_f64 v[59:60], v[107:108], v[57:58], -v[59:60]
	v_mul_f64 v[107:108], v[107:108], v[105:106]
	v_add_f64 v[9:10], v[9:10], -v[59:60]
	v_fma_f64 v[107:108], v[109:110], v[57:58], v[107:108]
	v_add_f64 v[11:12], v[11:12], -v[107:108]
	ds_read2_b64 v[107:110], v98 offset0:66 offset1:67
	s_waitcnt lgkmcnt(0)
	v_mul_f64 v[59:60], v[109:110], v[105:106]
	v_fma_f64 v[59:60], v[107:108], v[57:58], -v[59:60]
	v_mul_f64 v[107:108], v[107:108], v[105:106]
	v_add_f64 v[5:6], v[5:6], -v[59:60]
	v_fma_f64 v[107:108], v[109:110], v[57:58], v[107:108]
	v_add_f64 v[7:8], v[7:8], -v[107:108]
	ds_read2_b64 v[107:110], v98 offset0:68 offset1:69
	s_waitcnt lgkmcnt(0)
	v_mul_f64 v[59:60], v[109:110], v[105:106]
	v_fma_f64 v[59:60], v[107:108], v[57:58], -v[59:60]
	v_mul_f64 v[107:108], v[107:108], v[105:106]
	v_add_f64 v[1:2], v[1:2], -v[59:60]
	v_fma_f64 v[107:108], v[109:110], v[57:58], v[107:108]
	v_add_f64 v[3:4], v[3:4], -v[107:108]
	ds_read2_b64 v[107:110], v98 offset0:70 offset1:71
	s_waitcnt lgkmcnt(0)
	v_mul_f64 v[59:60], v[109:110], v[105:106]
	v_fma_f64 v[59:60], v[107:108], v[57:58], -v[59:60]
	v_mul_f64 v[107:108], v[107:108], v[105:106]
	v_add_f64 v[101:102], v[101:102], -v[59:60]
	v_fma_f64 v[107:108], v[109:110], v[57:58], v[107:108]
	v_mov_b32_e32 v59, v105
	v_mov_b32_e32 v60, v106
	v_add_f64 v[103:104], v[103:104], -v[107:108]
.LBB70_440:
	s_or_b64 exec, exec, s[0:1]
	v_lshl_add_u32 v105, v100, 4, v98
	s_barrier
	ds_write2_b64 v105, v[53:54], v[55:56] offset1:1
	s_waitcnt lgkmcnt(0)
	s_barrier
	ds_read2_b64 v[121:124], v98 offset0:42 offset1:43
	s_cmp_lt_i32 s3, 23
	v_mov_b32_e32 v105, 21
	s_cbranch_scc1 .LBB70_443
; %bb.441:
	v_add_u32_e32 v106, 0x160, v98
	s_mov_b32 s0, 22
	v_mov_b32_e32 v105, 21
.LBB70_442:                             ; =>This Inner Loop Header: Depth=1
	s_waitcnt lgkmcnt(0)
	v_cmp_gt_f64_e32 vcc, 0, v[121:122]
	v_xor_b32_e32 v111, 0x80000000, v122
	ds_read2_b64 v[107:110], v106 offset1:1
	v_xor_b32_e32 v113, 0x80000000, v124
	v_add_u32_e32 v106, 16, v106
	s_waitcnt lgkmcnt(0)
	v_xor_b32_e32 v115, 0x80000000, v110
	v_cndmask_b32_e32 v112, v122, v111, vcc
	v_cmp_gt_f64_e32 vcc, 0, v[123:124]
	v_mov_b32_e32 v111, v121
	v_cndmask_b32_e32 v114, v124, v113, vcc
	v_cmp_gt_f64_e32 vcc, 0, v[107:108]
	v_mov_b32_e32 v113, v123
	v_add_f64 v[111:112], v[111:112], v[113:114]
	v_xor_b32_e32 v113, 0x80000000, v108
	v_cndmask_b32_e32 v114, v108, v113, vcc
	v_cmp_gt_f64_e32 vcc, 0, v[109:110]
	v_mov_b32_e32 v113, v107
	v_cndmask_b32_e32 v116, v110, v115, vcc
	v_mov_b32_e32 v115, v109
	v_add_f64 v[113:114], v[113:114], v[115:116]
	v_cmp_lt_f64_e32 vcc, v[111:112], v[113:114]
	v_cndmask_b32_e32 v121, v121, v107, vcc
	v_mov_b32_e32 v107, s0
	s_add_i32 s0, s0, 1
	v_cndmask_b32_e32 v122, v122, v108, vcc
	v_cndmask_b32_e32 v124, v124, v110, vcc
	;; [unrolled: 1-line block ×4, first 2 shown]
	s_cmp_lg_u32 s3, s0
	s_cbranch_scc1 .LBB70_442
.LBB70_443:
	s_waitcnt lgkmcnt(0)
	v_cmp_eq_f64_e32 vcc, 0, v[121:122]
	v_cmp_eq_f64_e64 s[0:1], 0, v[123:124]
	s_and_b64 s[0:1], vcc, s[0:1]
	s_and_saveexec_b64 s[18:19], s[0:1]
	s_xor_b64 s[0:1], exec, s[18:19]
; %bb.444:
	v_cmp_ne_u32_e32 vcc, 0, v99
	v_cndmask_b32_e32 v99, 22, v99, vcc
; %bb.445:
	s_andn2_saveexec_b64 s[0:1], s[0:1]
	s_cbranch_execz .LBB70_451
; %bb.446:
	v_cmp_ngt_f64_e64 s[18:19], |v[121:122]|, |v[123:124]|
	s_and_saveexec_b64 s[20:21], s[18:19]
	s_xor_b64 s[18:19], exec, s[20:21]
	s_cbranch_execz .LBB70_448
; %bb.447:
	v_div_scale_f64 v[106:107], s[20:21], v[123:124], v[123:124], v[121:122]
	v_rcp_f64_e32 v[108:109], v[106:107]
	v_fma_f64 v[110:111], -v[106:107], v[108:109], 1.0
	v_fma_f64 v[108:109], v[108:109], v[110:111], v[108:109]
	v_div_scale_f64 v[110:111], vcc, v[121:122], v[123:124], v[121:122]
	v_fma_f64 v[112:113], -v[106:107], v[108:109], 1.0
	v_fma_f64 v[108:109], v[108:109], v[112:113], v[108:109]
	v_mul_f64 v[112:113], v[110:111], v[108:109]
	v_fma_f64 v[106:107], -v[106:107], v[112:113], v[110:111]
	v_div_fmas_f64 v[106:107], v[106:107], v[108:109], v[112:113]
	v_div_fixup_f64 v[106:107], v[106:107], v[123:124], v[121:122]
	v_fma_f64 v[108:109], v[121:122], v[106:107], v[123:124]
	v_div_scale_f64 v[110:111], s[20:21], v[108:109], v[108:109], 1.0
	v_div_scale_f64 v[116:117], vcc, 1.0, v[108:109], 1.0
	v_rcp_f64_e32 v[112:113], v[110:111]
	v_fma_f64 v[114:115], -v[110:111], v[112:113], 1.0
	v_fma_f64 v[112:113], v[112:113], v[114:115], v[112:113]
	v_fma_f64 v[114:115], -v[110:111], v[112:113], 1.0
	v_fma_f64 v[112:113], v[112:113], v[114:115], v[112:113]
	v_mul_f64 v[114:115], v[116:117], v[112:113]
	v_fma_f64 v[110:111], -v[110:111], v[114:115], v[116:117]
	v_div_fmas_f64 v[110:111], v[110:111], v[112:113], v[114:115]
	v_div_fixup_f64 v[123:124], v[110:111], v[108:109], 1.0
	v_mul_f64 v[121:122], v[106:107], v[123:124]
	v_xor_b32_e32 v124, 0x80000000, v124
.LBB70_448:
	s_andn2_saveexec_b64 s[18:19], s[18:19]
	s_cbranch_execz .LBB70_450
; %bb.449:
	v_div_scale_f64 v[106:107], s[20:21], v[121:122], v[121:122], v[123:124]
	v_rcp_f64_e32 v[108:109], v[106:107]
	v_fma_f64 v[110:111], -v[106:107], v[108:109], 1.0
	v_fma_f64 v[108:109], v[108:109], v[110:111], v[108:109]
	v_div_scale_f64 v[110:111], vcc, v[123:124], v[121:122], v[123:124]
	v_fma_f64 v[112:113], -v[106:107], v[108:109], 1.0
	v_fma_f64 v[108:109], v[108:109], v[112:113], v[108:109]
	v_mul_f64 v[112:113], v[110:111], v[108:109]
	v_fma_f64 v[106:107], -v[106:107], v[112:113], v[110:111]
	v_div_fmas_f64 v[106:107], v[106:107], v[108:109], v[112:113]
	v_div_fixup_f64 v[106:107], v[106:107], v[121:122], v[123:124]
	v_fma_f64 v[108:109], v[123:124], v[106:107], v[121:122]
	v_div_scale_f64 v[110:111], s[20:21], v[108:109], v[108:109], 1.0
	v_div_scale_f64 v[116:117], vcc, 1.0, v[108:109], 1.0
	v_rcp_f64_e32 v[112:113], v[110:111]
	v_fma_f64 v[114:115], -v[110:111], v[112:113], 1.0
	v_fma_f64 v[112:113], v[112:113], v[114:115], v[112:113]
	v_fma_f64 v[114:115], -v[110:111], v[112:113], 1.0
	v_fma_f64 v[112:113], v[112:113], v[114:115], v[112:113]
	v_mul_f64 v[114:115], v[116:117], v[112:113]
	v_fma_f64 v[110:111], -v[110:111], v[114:115], v[116:117]
	v_div_fmas_f64 v[110:111], v[110:111], v[112:113], v[114:115]
	v_div_fixup_f64 v[121:122], v[110:111], v[108:109], 1.0
	v_mul_f64 v[123:124], v[106:107], -v[121:122]
.LBB70_450:
	s_or_b64 exec, exec, s[18:19]
.LBB70_451:
	s_or_b64 exec, exec, s[0:1]
	v_cmp_ne_u32_e32 vcc, v100, v105
	s_and_saveexec_b64 s[0:1], vcc
	s_xor_b64 s[0:1], exec, s[0:1]
	s_cbranch_execz .LBB70_457
; %bb.452:
	v_cmp_eq_u32_e32 vcc, 21, v100
	s_and_saveexec_b64 s[18:19], vcc
	s_cbranch_execz .LBB70_456
; %bb.453:
	v_cmp_ne_u32_e32 vcc, 21, v105
	s_xor_b64 s[20:21], s[6:7], -1
	s_and_b64 s[22:23], s[20:21], vcc
	s_and_saveexec_b64 s[20:21], s[22:23]
	s_cbranch_execz .LBB70_455
; %bb.454:
	v_ashrrev_i32_e32 v106, 31, v105
	v_lshlrev_b64 v[106:107], 2, v[105:106]
	v_add_co_u32_e32 v106, vcc, v119, v106
	v_addc_co_u32_e32 v107, vcc, v120, v107, vcc
	global_load_dword v0, v[106:107], off
	global_load_dword v100, v[119:120], off offset:84
	s_waitcnt vmcnt(1)
	global_store_dword v[119:120], v0, off offset:84
	s_waitcnt vmcnt(1)
	global_store_dword v[106:107], v100, off
.LBB70_455:
	s_or_b64 exec, exec, s[20:21]
	v_mov_b32_e32 v100, v105
	v_mov_b32_e32 v0, v105
.LBB70_456:
	s_or_b64 exec, exec, s[18:19]
.LBB70_457:
	s_andn2_saveexec_b64 s[0:1], s[0:1]
	s_cbranch_execz .LBB70_459
; %bb.458:
	v_mov_b32_e32 v100, 21
	ds_write2_b64 v98, v[49:50], v[51:52] offset0:44 offset1:45
	ds_write2_b64 v98, v[45:46], v[47:48] offset0:46 offset1:47
	;; [unrolled: 1-line block ×14, first 2 shown]
.LBB70_459:
	s_or_b64 exec, exec, s[0:1]
	v_cmp_lt_i32_e32 vcc, 21, v100
	s_waitcnt vmcnt(0) lgkmcnt(0)
	s_barrier
	s_and_saveexec_b64 s[0:1], vcc
	s_cbranch_execz .LBB70_461
; %bb.460:
	v_mul_f64 v[105:106], v[121:122], v[55:56]
	v_mul_f64 v[55:56], v[123:124], v[55:56]
	ds_read2_b64 v[107:110], v98 offset0:44 offset1:45
	v_fma_f64 v[105:106], v[123:124], v[53:54], v[105:106]
	v_fma_f64 v[53:54], v[121:122], v[53:54], -v[55:56]
	s_waitcnt lgkmcnt(0)
	v_mul_f64 v[55:56], v[109:110], v[105:106]
	v_fma_f64 v[55:56], v[107:108], v[53:54], -v[55:56]
	v_mul_f64 v[107:108], v[107:108], v[105:106]
	v_add_f64 v[49:50], v[49:50], -v[55:56]
	v_fma_f64 v[107:108], v[109:110], v[53:54], v[107:108]
	v_add_f64 v[51:52], v[51:52], -v[107:108]
	ds_read2_b64 v[107:110], v98 offset0:46 offset1:47
	s_waitcnt lgkmcnt(0)
	v_mul_f64 v[55:56], v[109:110], v[105:106]
	v_fma_f64 v[55:56], v[107:108], v[53:54], -v[55:56]
	v_mul_f64 v[107:108], v[107:108], v[105:106]
	v_add_f64 v[45:46], v[45:46], -v[55:56]
	v_fma_f64 v[107:108], v[109:110], v[53:54], v[107:108]
	v_add_f64 v[47:48], v[47:48], -v[107:108]
	ds_read2_b64 v[107:110], v98 offset0:48 offset1:49
	s_waitcnt lgkmcnt(0)
	v_mul_f64 v[55:56], v[109:110], v[105:106]
	v_fma_f64 v[55:56], v[107:108], v[53:54], -v[55:56]
	v_mul_f64 v[107:108], v[107:108], v[105:106]
	v_add_f64 v[41:42], v[41:42], -v[55:56]
	v_fma_f64 v[107:108], v[109:110], v[53:54], v[107:108]
	v_add_f64 v[43:44], v[43:44], -v[107:108]
	ds_read2_b64 v[107:110], v98 offset0:50 offset1:51
	s_waitcnt lgkmcnt(0)
	v_mul_f64 v[55:56], v[109:110], v[105:106]
	v_fma_f64 v[55:56], v[107:108], v[53:54], -v[55:56]
	v_mul_f64 v[107:108], v[107:108], v[105:106]
	v_add_f64 v[37:38], v[37:38], -v[55:56]
	v_fma_f64 v[107:108], v[109:110], v[53:54], v[107:108]
	v_add_f64 v[39:40], v[39:40], -v[107:108]
	ds_read2_b64 v[107:110], v98 offset0:52 offset1:53
	s_waitcnt lgkmcnt(0)
	v_mul_f64 v[55:56], v[109:110], v[105:106]
	v_fma_f64 v[55:56], v[107:108], v[53:54], -v[55:56]
	v_mul_f64 v[107:108], v[107:108], v[105:106]
	v_add_f64 v[33:34], v[33:34], -v[55:56]
	v_fma_f64 v[107:108], v[109:110], v[53:54], v[107:108]
	v_add_f64 v[35:36], v[35:36], -v[107:108]
	ds_read2_b64 v[107:110], v98 offset0:54 offset1:55
	s_waitcnt lgkmcnt(0)
	v_mul_f64 v[55:56], v[109:110], v[105:106]
	v_fma_f64 v[55:56], v[107:108], v[53:54], -v[55:56]
	v_mul_f64 v[107:108], v[107:108], v[105:106]
	v_add_f64 v[29:30], v[29:30], -v[55:56]
	v_fma_f64 v[107:108], v[109:110], v[53:54], v[107:108]
	v_add_f64 v[31:32], v[31:32], -v[107:108]
	ds_read2_b64 v[107:110], v98 offset0:56 offset1:57
	s_waitcnt lgkmcnt(0)
	v_mul_f64 v[55:56], v[109:110], v[105:106]
	v_fma_f64 v[55:56], v[107:108], v[53:54], -v[55:56]
	v_mul_f64 v[107:108], v[107:108], v[105:106]
	v_add_f64 v[25:26], v[25:26], -v[55:56]
	v_fma_f64 v[107:108], v[109:110], v[53:54], v[107:108]
	v_add_f64 v[27:28], v[27:28], -v[107:108]
	ds_read2_b64 v[107:110], v98 offset0:58 offset1:59
	s_waitcnt lgkmcnt(0)
	v_mul_f64 v[55:56], v[109:110], v[105:106]
	v_fma_f64 v[55:56], v[107:108], v[53:54], -v[55:56]
	v_mul_f64 v[107:108], v[107:108], v[105:106]
	v_add_f64 v[21:22], v[21:22], -v[55:56]
	v_fma_f64 v[107:108], v[109:110], v[53:54], v[107:108]
	v_add_f64 v[23:24], v[23:24], -v[107:108]
	ds_read2_b64 v[107:110], v98 offset0:60 offset1:61
	s_waitcnt lgkmcnt(0)
	v_mul_f64 v[55:56], v[109:110], v[105:106]
	v_fma_f64 v[55:56], v[107:108], v[53:54], -v[55:56]
	v_mul_f64 v[107:108], v[107:108], v[105:106]
	v_add_f64 v[17:18], v[17:18], -v[55:56]
	v_fma_f64 v[107:108], v[109:110], v[53:54], v[107:108]
	v_add_f64 v[19:20], v[19:20], -v[107:108]
	ds_read2_b64 v[107:110], v98 offset0:62 offset1:63
	s_waitcnt lgkmcnt(0)
	v_mul_f64 v[55:56], v[109:110], v[105:106]
	v_fma_f64 v[55:56], v[107:108], v[53:54], -v[55:56]
	v_mul_f64 v[107:108], v[107:108], v[105:106]
	v_add_f64 v[13:14], v[13:14], -v[55:56]
	v_fma_f64 v[107:108], v[109:110], v[53:54], v[107:108]
	v_add_f64 v[15:16], v[15:16], -v[107:108]
	ds_read2_b64 v[107:110], v98 offset0:64 offset1:65
	s_waitcnt lgkmcnt(0)
	v_mul_f64 v[55:56], v[109:110], v[105:106]
	v_fma_f64 v[55:56], v[107:108], v[53:54], -v[55:56]
	v_mul_f64 v[107:108], v[107:108], v[105:106]
	v_add_f64 v[9:10], v[9:10], -v[55:56]
	v_fma_f64 v[107:108], v[109:110], v[53:54], v[107:108]
	v_add_f64 v[11:12], v[11:12], -v[107:108]
	ds_read2_b64 v[107:110], v98 offset0:66 offset1:67
	s_waitcnt lgkmcnt(0)
	v_mul_f64 v[55:56], v[109:110], v[105:106]
	v_fma_f64 v[55:56], v[107:108], v[53:54], -v[55:56]
	v_mul_f64 v[107:108], v[107:108], v[105:106]
	v_add_f64 v[5:6], v[5:6], -v[55:56]
	v_fma_f64 v[107:108], v[109:110], v[53:54], v[107:108]
	v_add_f64 v[7:8], v[7:8], -v[107:108]
	ds_read2_b64 v[107:110], v98 offset0:68 offset1:69
	s_waitcnt lgkmcnt(0)
	v_mul_f64 v[55:56], v[109:110], v[105:106]
	v_fma_f64 v[55:56], v[107:108], v[53:54], -v[55:56]
	v_mul_f64 v[107:108], v[107:108], v[105:106]
	v_add_f64 v[1:2], v[1:2], -v[55:56]
	v_fma_f64 v[107:108], v[109:110], v[53:54], v[107:108]
	v_add_f64 v[3:4], v[3:4], -v[107:108]
	ds_read2_b64 v[107:110], v98 offset0:70 offset1:71
	s_waitcnt lgkmcnt(0)
	v_mul_f64 v[55:56], v[109:110], v[105:106]
	v_fma_f64 v[55:56], v[107:108], v[53:54], -v[55:56]
	v_mul_f64 v[107:108], v[107:108], v[105:106]
	v_add_f64 v[101:102], v[101:102], -v[55:56]
	v_fma_f64 v[107:108], v[109:110], v[53:54], v[107:108]
	v_mov_b32_e32 v55, v105
	v_mov_b32_e32 v56, v106
	v_add_f64 v[103:104], v[103:104], -v[107:108]
.LBB70_461:
	s_or_b64 exec, exec, s[0:1]
	v_lshl_add_u32 v105, v100, 4, v98
	s_barrier
	ds_write2_b64 v105, v[49:50], v[51:52] offset1:1
	s_waitcnt lgkmcnt(0)
	s_barrier
	ds_read2_b64 v[121:124], v98 offset0:44 offset1:45
	s_cmp_lt_i32 s3, 24
	v_mov_b32_e32 v105, 22
	s_cbranch_scc1 .LBB70_464
; %bb.462:
	v_add_u32_e32 v106, 0x170, v98
	s_mov_b32 s0, 23
	v_mov_b32_e32 v105, 22
.LBB70_463:                             ; =>This Inner Loop Header: Depth=1
	s_waitcnt lgkmcnt(0)
	v_cmp_gt_f64_e32 vcc, 0, v[121:122]
	v_xor_b32_e32 v111, 0x80000000, v122
	ds_read2_b64 v[107:110], v106 offset1:1
	v_xor_b32_e32 v113, 0x80000000, v124
	v_add_u32_e32 v106, 16, v106
	s_waitcnt lgkmcnt(0)
	v_xor_b32_e32 v115, 0x80000000, v110
	v_cndmask_b32_e32 v112, v122, v111, vcc
	v_cmp_gt_f64_e32 vcc, 0, v[123:124]
	v_mov_b32_e32 v111, v121
	v_cndmask_b32_e32 v114, v124, v113, vcc
	v_cmp_gt_f64_e32 vcc, 0, v[107:108]
	v_mov_b32_e32 v113, v123
	v_add_f64 v[111:112], v[111:112], v[113:114]
	v_xor_b32_e32 v113, 0x80000000, v108
	v_cndmask_b32_e32 v114, v108, v113, vcc
	v_cmp_gt_f64_e32 vcc, 0, v[109:110]
	v_mov_b32_e32 v113, v107
	v_cndmask_b32_e32 v116, v110, v115, vcc
	v_mov_b32_e32 v115, v109
	v_add_f64 v[113:114], v[113:114], v[115:116]
	v_cmp_lt_f64_e32 vcc, v[111:112], v[113:114]
	v_cndmask_b32_e32 v121, v121, v107, vcc
	v_mov_b32_e32 v107, s0
	s_add_i32 s0, s0, 1
	v_cndmask_b32_e32 v122, v122, v108, vcc
	v_cndmask_b32_e32 v124, v124, v110, vcc
	;; [unrolled: 1-line block ×4, first 2 shown]
	s_cmp_lg_u32 s3, s0
	s_cbranch_scc1 .LBB70_463
.LBB70_464:
	s_waitcnt lgkmcnt(0)
	v_cmp_eq_f64_e32 vcc, 0, v[121:122]
	v_cmp_eq_f64_e64 s[0:1], 0, v[123:124]
	s_and_b64 s[0:1], vcc, s[0:1]
	s_and_saveexec_b64 s[18:19], s[0:1]
	s_xor_b64 s[0:1], exec, s[18:19]
; %bb.465:
	v_cmp_ne_u32_e32 vcc, 0, v99
	v_cndmask_b32_e32 v99, 23, v99, vcc
; %bb.466:
	s_andn2_saveexec_b64 s[0:1], s[0:1]
	s_cbranch_execz .LBB70_472
; %bb.467:
	v_cmp_ngt_f64_e64 s[18:19], |v[121:122]|, |v[123:124]|
	s_and_saveexec_b64 s[20:21], s[18:19]
	s_xor_b64 s[18:19], exec, s[20:21]
	s_cbranch_execz .LBB70_469
; %bb.468:
	v_div_scale_f64 v[106:107], s[20:21], v[123:124], v[123:124], v[121:122]
	v_rcp_f64_e32 v[108:109], v[106:107]
	v_fma_f64 v[110:111], -v[106:107], v[108:109], 1.0
	v_fma_f64 v[108:109], v[108:109], v[110:111], v[108:109]
	v_div_scale_f64 v[110:111], vcc, v[121:122], v[123:124], v[121:122]
	v_fma_f64 v[112:113], -v[106:107], v[108:109], 1.0
	v_fma_f64 v[108:109], v[108:109], v[112:113], v[108:109]
	v_mul_f64 v[112:113], v[110:111], v[108:109]
	v_fma_f64 v[106:107], -v[106:107], v[112:113], v[110:111]
	v_div_fmas_f64 v[106:107], v[106:107], v[108:109], v[112:113]
	v_div_fixup_f64 v[106:107], v[106:107], v[123:124], v[121:122]
	v_fma_f64 v[108:109], v[121:122], v[106:107], v[123:124]
	v_div_scale_f64 v[110:111], s[20:21], v[108:109], v[108:109], 1.0
	v_div_scale_f64 v[116:117], vcc, 1.0, v[108:109], 1.0
	v_rcp_f64_e32 v[112:113], v[110:111]
	v_fma_f64 v[114:115], -v[110:111], v[112:113], 1.0
	v_fma_f64 v[112:113], v[112:113], v[114:115], v[112:113]
	v_fma_f64 v[114:115], -v[110:111], v[112:113], 1.0
	v_fma_f64 v[112:113], v[112:113], v[114:115], v[112:113]
	v_mul_f64 v[114:115], v[116:117], v[112:113]
	v_fma_f64 v[110:111], -v[110:111], v[114:115], v[116:117]
	v_div_fmas_f64 v[110:111], v[110:111], v[112:113], v[114:115]
	v_div_fixup_f64 v[123:124], v[110:111], v[108:109], 1.0
	v_mul_f64 v[121:122], v[106:107], v[123:124]
	v_xor_b32_e32 v124, 0x80000000, v124
.LBB70_469:
	s_andn2_saveexec_b64 s[18:19], s[18:19]
	s_cbranch_execz .LBB70_471
; %bb.470:
	v_div_scale_f64 v[106:107], s[20:21], v[121:122], v[121:122], v[123:124]
	v_rcp_f64_e32 v[108:109], v[106:107]
	v_fma_f64 v[110:111], -v[106:107], v[108:109], 1.0
	v_fma_f64 v[108:109], v[108:109], v[110:111], v[108:109]
	v_div_scale_f64 v[110:111], vcc, v[123:124], v[121:122], v[123:124]
	v_fma_f64 v[112:113], -v[106:107], v[108:109], 1.0
	v_fma_f64 v[108:109], v[108:109], v[112:113], v[108:109]
	v_mul_f64 v[112:113], v[110:111], v[108:109]
	v_fma_f64 v[106:107], -v[106:107], v[112:113], v[110:111]
	v_div_fmas_f64 v[106:107], v[106:107], v[108:109], v[112:113]
	v_div_fixup_f64 v[106:107], v[106:107], v[121:122], v[123:124]
	v_fma_f64 v[108:109], v[123:124], v[106:107], v[121:122]
	v_div_scale_f64 v[110:111], s[20:21], v[108:109], v[108:109], 1.0
	v_div_scale_f64 v[116:117], vcc, 1.0, v[108:109], 1.0
	v_rcp_f64_e32 v[112:113], v[110:111]
	v_fma_f64 v[114:115], -v[110:111], v[112:113], 1.0
	v_fma_f64 v[112:113], v[112:113], v[114:115], v[112:113]
	v_fma_f64 v[114:115], -v[110:111], v[112:113], 1.0
	v_fma_f64 v[112:113], v[112:113], v[114:115], v[112:113]
	v_mul_f64 v[114:115], v[116:117], v[112:113]
	v_fma_f64 v[110:111], -v[110:111], v[114:115], v[116:117]
	v_div_fmas_f64 v[110:111], v[110:111], v[112:113], v[114:115]
	v_div_fixup_f64 v[121:122], v[110:111], v[108:109], 1.0
	v_mul_f64 v[123:124], v[106:107], -v[121:122]
.LBB70_471:
	s_or_b64 exec, exec, s[18:19]
.LBB70_472:
	s_or_b64 exec, exec, s[0:1]
	v_cmp_ne_u32_e32 vcc, v100, v105
	s_and_saveexec_b64 s[0:1], vcc
	s_xor_b64 s[0:1], exec, s[0:1]
	s_cbranch_execz .LBB70_478
; %bb.473:
	v_cmp_eq_u32_e32 vcc, 22, v100
	s_and_saveexec_b64 s[18:19], vcc
	s_cbranch_execz .LBB70_477
; %bb.474:
	v_cmp_ne_u32_e32 vcc, 22, v105
	s_xor_b64 s[20:21], s[6:7], -1
	s_and_b64 s[22:23], s[20:21], vcc
	s_and_saveexec_b64 s[20:21], s[22:23]
	s_cbranch_execz .LBB70_476
; %bb.475:
	v_ashrrev_i32_e32 v106, 31, v105
	v_lshlrev_b64 v[106:107], 2, v[105:106]
	v_add_co_u32_e32 v106, vcc, v119, v106
	v_addc_co_u32_e32 v107, vcc, v120, v107, vcc
	global_load_dword v0, v[106:107], off
	global_load_dword v100, v[119:120], off offset:88
	s_waitcnt vmcnt(1)
	global_store_dword v[119:120], v0, off offset:88
	s_waitcnt vmcnt(1)
	global_store_dword v[106:107], v100, off
.LBB70_476:
	s_or_b64 exec, exec, s[20:21]
	v_mov_b32_e32 v100, v105
	v_mov_b32_e32 v0, v105
.LBB70_477:
	s_or_b64 exec, exec, s[18:19]
.LBB70_478:
	s_andn2_saveexec_b64 s[0:1], s[0:1]
	s_cbranch_execz .LBB70_480
; %bb.479:
	v_mov_b32_e32 v100, 22
	ds_write2_b64 v98, v[45:46], v[47:48] offset0:46 offset1:47
	ds_write2_b64 v98, v[41:42], v[43:44] offset0:48 offset1:49
	;; [unrolled: 1-line block ×13, first 2 shown]
.LBB70_480:
	s_or_b64 exec, exec, s[0:1]
	v_cmp_lt_i32_e32 vcc, 22, v100
	s_waitcnt vmcnt(0) lgkmcnt(0)
	s_barrier
	s_and_saveexec_b64 s[0:1], vcc
	s_cbranch_execz .LBB70_482
; %bb.481:
	v_mul_f64 v[105:106], v[121:122], v[51:52]
	v_mul_f64 v[51:52], v[123:124], v[51:52]
	ds_read2_b64 v[107:110], v98 offset0:46 offset1:47
	v_fma_f64 v[105:106], v[123:124], v[49:50], v[105:106]
	v_fma_f64 v[49:50], v[121:122], v[49:50], -v[51:52]
	s_waitcnt lgkmcnt(0)
	v_mul_f64 v[51:52], v[109:110], v[105:106]
	v_fma_f64 v[51:52], v[107:108], v[49:50], -v[51:52]
	v_mul_f64 v[107:108], v[107:108], v[105:106]
	v_add_f64 v[45:46], v[45:46], -v[51:52]
	v_fma_f64 v[107:108], v[109:110], v[49:50], v[107:108]
	v_add_f64 v[47:48], v[47:48], -v[107:108]
	ds_read2_b64 v[107:110], v98 offset0:48 offset1:49
	s_waitcnt lgkmcnt(0)
	v_mul_f64 v[51:52], v[109:110], v[105:106]
	v_fma_f64 v[51:52], v[107:108], v[49:50], -v[51:52]
	v_mul_f64 v[107:108], v[107:108], v[105:106]
	v_add_f64 v[41:42], v[41:42], -v[51:52]
	v_fma_f64 v[107:108], v[109:110], v[49:50], v[107:108]
	v_add_f64 v[43:44], v[43:44], -v[107:108]
	ds_read2_b64 v[107:110], v98 offset0:50 offset1:51
	;; [unrolled: 8-line block ×12, first 2 shown]
	s_waitcnt lgkmcnt(0)
	v_mul_f64 v[51:52], v[109:110], v[105:106]
	v_fma_f64 v[51:52], v[107:108], v[49:50], -v[51:52]
	v_mul_f64 v[107:108], v[107:108], v[105:106]
	v_add_f64 v[101:102], v[101:102], -v[51:52]
	v_fma_f64 v[107:108], v[109:110], v[49:50], v[107:108]
	v_mov_b32_e32 v51, v105
	v_mov_b32_e32 v52, v106
	v_add_f64 v[103:104], v[103:104], -v[107:108]
.LBB70_482:
	s_or_b64 exec, exec, s[0:1]
	v_lshl_add_u32 v105, v100, 4, v98
	s_barrier
	ds_write2_b64 v105, v[45:46], v[47:48] offset1:1
	s_waitcnt lgkmcnt(0)
	s_barrier
	ds_read2_b64 v[121:124], v98 offset0:46 offset1:47
	s_cmp_lt_i32 s3, 25
	v_mov_b32_e32 v105, 23
	s_cbranch_scc1 .LBB70_485
; %bb.483:
	v_add_u32_e32 v106, 0x180, v98
	s_mov_b32 s0, 24
	v_mov_b32_e32 v105, 23
.LBB70_484:                             ; =>This Inner Loop Header: Depth=1
	s_waitcnt lgkmcnt(0)
	v_cmp_gt_f64_e32 vcc, 0, v[121:122]
	v_xor_b32_e32 v111, 0x80000000, v122
	ds_read2_b64 v[107:110], v106 offset1:1
	v_xor_b32_e32 v113, 0x80000000, v124
	v_add_u32_e32 v106, 16, v106
	s_waitcnt lgkmcnt(0)
	v_xor_b32_e32 v115, 0x80000000, v110
	v_cndmask_b32_e32 v112, v122, v111, vcc
	v_cmp_gt_f64_e32 vcc, 0, v[123:124]
	v_mov_b32_e32 v111, v121
	v_cndmask_b32_e32 v114, v124, v113, vcc
	v_cmp_gt_f64_e32 vcc, 0, v[107:108]
	v_mov_b32_e32 v113, v123
	v_add_f64 v[111:112], v[111:112], v[113:114]
	v_xor_b32_e32 v113, 0x80000000, v108
	v_cndmask_b32_e32 v114, v108, v113, vcc
	v_cmp_gt_f64_e32 vcc, 0, v[109:110]
	v_mov_b32_e32 v113, v107
	v_cndmask_b32_e32 v116, v110, v115, vcc
	v_mov_b32_e32 v115, v109
	v_add_f64 v[113:114], v[113:114], v[115:116]
	v_cmp_lt_f64_e32 vcc, v[111:112], v[113:114]
	v_cndmask_b32_e32 v121, v121, v107, vcc
	v_mov_b32_e32 v107, s0
	s_add_i32 s0, s0, 1
	v_cndmask_b32_e32 v122, v122, v108, vcc
	v_cndmask_b32_e32 v124, v124, v110, vcc
	;; [unrolled: 1-line block ×4, first 2 shown]
	s_cmp_lg_u32 s3, s0
	s_cbranch_scc1 .LBB70_484
.LBB70_485:
	s_waitcnt lgkmcnt(0)
	v_cmp_eq_f64_e32 vcc, 0, v[121:122]
	v_cmp_eq_f64_e64 s[0:1], 0, v[123:124]
	s_and_b64 s[0:1], vcc, s[0:1]
	s_and_saveexec_b64 s[18:19], s[0:1]
	s_xor_b64 s[0:1], exec, s[18:19]
; %bb.486:
	v_cmp_ne_u32_e32 vcc, 0, v99
	v_cndmask_b32_e32 v99, 24, v99, vcc
; %bb.487:
	s_andn2_saveexec_b64 s[0:1], s[0:1]
	s_cbranch_execz .LBB70_493
; %bb.488:
	v_cmp_ngt_f64_e64 s[18:19], |v[121:122]|, |v[123:124]|
	s_and_saveexec_b64 s[20:21], s[18:19]
	s_xor_b64 s[18:19], exec, s[20:21]
	s_cbranch_execz .LBB70_490
; %bb.489:
	v_div_scale_f64 v[106:107], s[20:21], v[123:124], v[123:124], v[121:122]
	v_rcp_f64_e32 v[108:109], v[106:107]
	v_fma_f64 v[110:111], -v[106:107], v[108:109], 1.0
	v_fma_f64 v[108:109], v[108:109], v[110:111], v[108:109]
	v_div_scale_f64 v[110:111], vcc, v[121:122], v[123:124], v[121:122]
	v_fma_f64 v[112:113], -v[106:107], v[108:109], 1.0
	v_fma_f64 v[108:109], v[108:109], v[112:113], v[108:109]
	v_mul_f64 v[112:113], v[110:111], v[108:109]
	v_fma_f64 v[106:107], -v[106:107], v[112:113], v[110:111]
	v_div_fmas_f64 v[106:107], v[106:107], v[108:109], v[112:113]
	v_div_fixup_f64 v[106:107], v[106:107], v[123:124], v[121:122]
	v_fma_f64 v[108:109], v[121:122], v[106:107], v[123:124]
	v_div_scale_f64 v[110:111], s[20:21], v[108:109], v[108:109], 1.0
	v_div_scale_f64 v[116:117], vcc, 1.0, v[108:109], 1.0
	v_rcp_f64_e32 v[112:113], v[110:111]
	v_fma_f64 v[114:115], -v[110:111], v[112:113], 1.0
	v_fma_f64 v[112:113], v[112:113], v[114:115], v[112:113]
	v_fma_f64 v[114:115], -v[110:111], v[112:113], 1.0
	v_fma_f64 v[112:113], v[112:113], v[114:115], v[112:113]
	v_mul_f64 v[114:115], v[116:117], v[112:113]
	v_fma_f64 v[110:111], -v[110:111], v[114:115], v[116:117]
	v_div_fmas_f64 v[110:111], v[110:111], v[112:113], v[114:115]
	v_div_fixup_f64 v[123:124], v[110:111], v[108:109], 1.0
	v_mul_f64 v[121:122], v[106:107], v[123:124]
	v_xor_b32_e32 v124, 0x80000000, v124
.LBB70_490:
	s_andn2_saveexec_b64 s[18:19], s[18:19]
	s_cbranch_execz .LBB70_492
; %bb.491:
	v_div_scale_f64 v[106:107], s[20:21], v[121:122], v[121:122], v[123:124]
	v_rcp_f64_e32 v[108:109], v[106:107]
	v_fma_f64 v[110:111], -v[106:107], v[108:109], 1.0
	v_fma_f64 v[108:109], v[108:109], v[110:111], v[108:109]
	v_div_scale_f64 v[110:111], vcc, v[123:124], v[121:122], v[123:124]
	v_fma_f64 v[112:113], -v[106:107], v[108:109], 1.0
	v_fma_f64 v[108:109], v[108:109], v[112:113], v[108:109]
	v_mul_f64 v[112:113], v[110:111], v[108:109]
	v_fma_f64 v[106:107], -v[106:107], v[112:113], v[110:111]
	v_div_fmas_f64 v[106:107], v[106:107], v[108:109], v[112:113]
	v_div_fixup_f64 v[106:107], v[106:107], v[121:122], v[123:124]
	v_fma_f64 v[108:109], v[123:124], v[106:107], v[121:122]
	v_div_scale_f64 v[110:111], s[20:21], v[108:109], v[108:109], 1.0
	v_div_scale_f64 v[116:117], vcc, 1.0, v[108:109], 1.0
	v_rcp_f64_e32 v[112:113], v[110:111]
	v_fma_f64 v[114:115], -v[110:111], v[112:113], 1.0
	v_fma_f64 v[112:113], v[112:113], v[114:115], v[112:113]
	v_fma_f64 v[114:115], -v[110:111], v[112:113], 1.0
	v_fma_f64 v[112:113], v[112:113], v[114:115], v[112:113]
	v_mul_f64 v[114:115], v[116:117], v[112:113]
	v_fma_f64 v[110:111], -v[110:111], v[114:115], v[116:117]
	v_div_fmas_f64 v[110:111], v[110:111], v[112:113], v[114:115]
	v_div_fixup_f64 v[121:122], v[110:111], v[108:109], 1.0
	v_mul_f64 v[123:124], v[106:107], -v[121:122]
.LBB70_492:
	s_or_b64 exec, exec, s[18:19]
.LBB70_493:
	s_or_b64 exec, exec, s[0:1]
	v_cmp_ne_u32_e32 vcc, v100, v105
	s_and_saveexec_b64 s[0:1], vcc
	s_xor_b64 s[0:1], exec, s[0:1]
	s_cbranch_execz .LBB70_499
; %bb.494:
	v_cmp_eq_u32_e32 vcc, 23, v100
	s_and_saveexec_b64 s[18:19], vcc
	s_cbranch_execz .LBB70_498
; %bb.495:
	v_cmp_ne_u32_e32 vcc, 23, v105
	s_xor_b64 s[20:21], s[6:7], -1
	s_and_b64 s[22:23], s[20:21], vcc
	s_and_saveexec_b64 s[20:21], s[22:23]
	s_cbranch_execz .LBB70_497
; %bb.496:
	v_ashrrev_i32_e32 v106, 31, v105
	v_lshlrev_b64 v[106:107], 2, v[105:106]
	v_add_co_u32_e32 v106, vcc, v119, v106
	v_addc_co_u32_e32 v107, vcc, v120, v107, vcc
	global_load_dword v0, v[106:107], off
	global_load_dword v100, v[119:120], off offset:92
	s_waitcnt vmcnt(1)
	global_store_dword v[119:120], v0, off offset:92
	s_waitcnt vmcnt(1)
	global_store_dword v[106:107], v100, off
.LBB70_497:
	s_or_b64 exec, exec, s[20:21]
	v_mov_b32_e32 v100, v105
	v_mov_b32_e32 v0, v105
.LBB70_498:
	s_or_b64 exec, exec, s[18:19]
.LBB70_499:
	s_andn2_saveexec_b64 s[0:1], s[0:1]
	s_cbranch_execz .LBB70_501
; %bb.500:
	v_mov_b32_e32 v100, 23
	ds_write2_b64 v98, v[41:42], v[43:44] offset0:48 offset1:49
	ds_write2_b64 v98, v[37:38], v[39:40] offset0:50 offset1:51
	;; [unrolled: 1-line block ×12, first 2 shown]
.LBB70_501:
	s_or_b64 exec, exec, s[0:1]
	v_cmp_lt_i32_e32 vcc, 23, v100
	s_waitcnt vmcnt(0) lgkmcnt(0)
	s_barrier
	s_and_saveexec_b64 s[0:1], vcc
	s_cbranch_execz .LBB70_503
; %bb.502:
	v_mul_f64 v[105:106], v[121:122], v[47:48]
	v_mul_f64 v[47:48], v[123:124], v[47:48]
	ds_read2_b64 v[107:110], v98 offset0:48 offset1:49
	v_fma_f64 v[105:106], v[123:124], v[45:46], v[105:106]
	v_fma_f64 v[45:46], v[121:122], v[45:46], -v[47:48]
	s_waitcnt lgkmcnt(0)
	v_mul_f64 v[47:48], v[109:110], v[105:106]
	v_fma_f64 v[47:48], v[107:108], v[45:46], -v[47:48]
	v_mul_f64 v[107:108], v[107:108], v[105:106]
	v_add_f64 v[41:42], v[41:42], -v[47:48]
	v_fma_f64 v[107:108], v[109:110], v[45:46], v[107:108]
	v_add_f64 v[43:44], v[43:44], -v[107:108]
	ds_read2_b64 v[107:110], v98 offset0:50 offset1:51
	s_waitcnt lgkmcnt(0)
	v_mul_f64 v[47:48], v[109:110], v[105:106]
	v_fma_f64 v[47:48], v[107:108], v[45:46], -v[47:48]
	v_mul_f64 v[107:108], v[107:108], v[105:106]
	v_add_f64 v[37:38], v[37:38], -v[47:48]
	v_fma_f64 v[107:108], v[109:110], v[45:46], v[107:108]
	v_add_f64 v[39:40], v[39:40], -v[107:108]
	ds_read2_b64 v[107:110], v98 offset0:52 offset1:53
	;; [unrolled: 8-line block ×11, first 2 shown]
	s_waitcnt lgkmcnt(0)
	v_mul_f64 v[47:48], v[109:110], v[105:106]
	v_fma_f64 v[47:48], v[107:108], v[45:46], -v[47:48]
	v_mul_f64 v[107:108], v[107:108], v[105:106]
	v_add_f64 v[101:102], v[101:102], -v[47:48]
	v_fma_f64 v[107:108], v[109:110], v[45:46], v[107:108]
	v_mov_b32_e32 v47, v105
	v_mov_b32_e32 v48, v106
	v_add_f64 v[103:104], v[103:104], -v[107:108]
.LBB70_503:
	s_or_b64 exec, exec, s[0:1]
	v_lshl_add_u32 v105, v100, 4, v98
	s_barrier
	ds_write2_b64 v105, v[41:42], v[43:44] offset1:1
	s_waitcnt lgkmcnt(0)
	s_barrier
	ds_read2_b64 v[121:124], v98 offset0:48 offset1:49
	s_cmp_lt_i32 s3, 26
	v_mov_b32_e32 v105, 24
	s_cbranch_scc1 .LBB70_506
; %bb.504:
	v_add_u32_e32 v106, 0x190, v98
	s_mov_b32 s0, 25
	v_mov_b32_e32 v105, 24
.LBB70_505:                             ; =>This Inner Loop Header: Depth=1
	s_waitcnt lgkmcnt(0)
	v_cmp_gt_f64_e32 vcc, 0, v[121:122]
	v_xor_b32_e32 v111, 0x80000000, v122
	ds_read2_b64 v[107:110], v106 offset1:1
	v_xor_b32_e32 v113, 0x80000000, v124
	v_add_u32_e32 v106, 16, v106
	s_waitcnt lgkmcnt(0)
	v_xor_b32_e32 v115, 0x80000000, v110
	v_cndmask_b32_e32 v112, v122, v111, vcc
	v_cmp_gt_f64_e32 vcc, 0, v[123:124]
	v_mov_b32_e32 v111, v121
	v_cndmask_b32_e32 v114, v124, v113, vcc
	v_cmp_gt_f64_e32 vcc, 0, v[107:108]
	v_mov_b32_e32 v113, v123
	v_add_f64 v[111:112], v[111:112], v[113:114]
	v_xor_b32_e32 v113, 0x80000000, v108
	v_cndmask_b32_e32 v114, v108, v113, vcc
	v_cmp_gt_f64_e32 vcc, 0, v[109:110]
	v_mov_b32_e32 v113, v107
	v_cndmask_b32_e32 v116, v110, v115, vcc
	v_mov_b32_e32 v115, v109
	v_add_f64 v[113:114], v[113:114], v[115:116]
	v_cmp_lt_f64_e32 vcc, v[111:112], v[113:114]
	v_cndmask_b32_e32 v121, v121, v107, vcc
	v_mov_b32_e32 v107, s0
	s_add_i32 s0, s0, 1
	v_cndmask_b32_e32 v122, v122, v108, vcc
	v_cndmask_b32_e32 v124, v124, v110, vcc
	;; [unrolled: 1-line block ×4, first 2 shown]
	s_cmp_lg_u32 s3, s0
	s_cbranch_scc1 .LBB70_505
.LBB70_506:
	s_waitcnt lgkmcnt(0)
	v_cmp_eq_f64_e32 vcc, 0, v[121:122]
	v_cmp_eq_f64_e64 s[0:1], 0, v[123:124]
	s_and_b64 s[0:1], vcc, s[0:1]
	s_and_saveexec_b64 s[18:19], s[0:1]
	s_xor_b64 s[0:1], exec, s[18:19]
; %bb.507:
	v_cmp_ne_u32_e32 vcc, 0, v99
	v_cndmask_b32_e32 v99, 25, v99, vcc
; %bb.508:
	s_andn2_saveexec_b64 s[0:1], s[0:1]
	s_cbranch_execz .LBB70_514
; %bb.509:
	v_cmp_ngt_f64_e64 s[18:19], |v[121:122]|, |v[123:124]|
	s_and_saveexec_b64 s[20:21], s[18:19]
	s_xor_b64 s[18:19], exec, s[20:21]
	s_cbranch_execz .LBB70_511
; %bb.510:
	v_div_scale_f64 v[106:107], s[20:21], v[123:124], v[123:124], v[121:122]
	v_rcp_f64_e32 v[108:109], v[106:107]
	v_fma_f64 v[110:111], -v[106:107], v[108:109], 1.0
	v_fma_f64 v[108:109], v[108:109], v[110:111], v[108:109]
	v_div_scale_f64 v[110:111], vcc, v[121:122], v[123:124], v[121:122]
	v_fma_f64 v[112:113], -v[106:107], v[108:109], 1.0
	v_fma_f64 v[108:109], v[108:109], v[112:113], v[108:109]
	v_mul_f64 v[112:113], v[110:111], v[108:109]
	v_fma_f64 v[106:107], -v[106:107], v[112:113], v[110:111]
	v_div_fmas_f64 v[106:107], v[106:107], v[108:109], v[112:113]
	v_div_fixup_f64 v[106:107], v[106:107], v[123:124], v[121:122]
	v_fma_f64 v[108:109], v[121:122], v[106:107], v[123:124]
	v_div_scale_f64 v[110:111], s[20:21], v[108:109], v[108:109], 1.0
	v_div_scale_f64 v[116:117], vcc, 1.0, v[108:109], 1.0
	v_rcp_f64_e32 v[112:113], v[110:111]
	v_fma_f64 v[114:115], -v[110:111], v[112:113], 1.0
	v_fma_f64 v[112:113], v[112:113], v[114:115], v[112:113]
	v_fma_f64 v[114:115], -v[110:111], v[112:113], 1.0
	v_fma_f64 v[112:113], v[112:113], v[114:115], v[112:113]
	v_mul_f64 v[114:115], v[116:117], v[112:113]
	v_fma_f64 v[110:111], -v[110:111], v[114:115], v[116:117]
	v_div_fmas_f64 v[110:111], v[110:111], v[112:113], v[114:115]
	v_div_fixup_f64 v[123:124], v[110:111], v[108:109], 1.0
	v_mul_f64 v[121:122], v[106:107], v[123:124]
	v_xor_b32_e32 v124, 0x80000000, v124
.LBB70_511:
	s_andn2_saveexec_b64 s[18:19], s[18:19]
	s_cbranch_execz .LBB70_513
; %bb.512:
	v_div_scale_f64 v[106:107], s[20:21], v[121:122], v[121:122], v[123:124]
	v_rcp_f64_e32 v[108:109], v[106:107]
	v_fma_f64 v[110:111], -v[106:107], v[108:109], 1.0
	v_fma_f64 v[108:109], v[108:109], v[110:111], v[108:109]
	v_div_scale_f64 v[110:111], vcc, v[123:124], v[121:122], v[123:124]
	v_fma_f64 v[112:113], -v[106:107], v[108:109], 1.0
	v_fma_f64 v[108:109], v[108:109], v[112:113], v[108:109]
	v_mul_f64 v[112:113], v[110:111], v[108:109]
	v_fma_f64 v[106:107], -v[106:107], v[112:113], v[110:111]
	v_div_fmas_f64 v[106:107], v[106:107], v[108:109], v[112:113]
	v_div_fixup_f64 v[106:107], v[106:107], v[121:122], v[123:124]
	v_fma_f64 v[108:109], v[123:124], v[106:107], v[121:122]
	v_div_scale_f64 v[110:111], s[20:21], v[108:109], v[108:109], 1.0
	v_div_scale_f64 v[116:117], vcc, 1.0, v[108:109], 1.0
	v_rcp_f64_e32 v[112:113], v[110:111]
	v_fma_f64 v[114:115], -v[110:111], v[112:113], 1.0
	v_fma_f64 v[112:113], v[112:113], v[114:115], v[112:113]
	v_fma_f64 v[114:115], -v[110:111], v[112:113], 1.0
	v_fma_f64 v[112:113], v[112:113], v[114:115], v[112:113]
	v_mul_f64 v[114:115], v[116:117], v[112:113]
	v_fma_f64 v[110:111], -v[110:111], v[114:115], v[116:117]
	v_div_fmas_f64 v[110:111], v[110:111], v[112:113], v[114:115]
	v_div_fixup_f64 v[121:122], v[110:111], v[108:109], 1.0
	v_mul_f64 v[123:124], v[106:107], -v[121:122]
.LBB70_513:
	s_or_b64 exec, exec, s[18:19]
.LBB70_514:
	s_or_b64 exec, exec, s[0:1]
	v_cmp_ne_u32_e32 vcc, v100, v105
	s_and_saveexec_b64 s[0:1], vcc
	s_xor_b64 s[0:1], exec, s[0:1]
	s_cbranch_execz .LBB70_520
; %bb.515:
	v_cmp_eq_u32_e32 vcc, 24, v100
	s_and_saveexec_b64 s[18:19], vcc
	s_cbranch_execz .LBB70_519
; %bb.516:
	v_cmp_ne_u32_e32 vcc, 24, v105
	s_xor_b64 s[20:21], s[6:7], -1
	s_and_b64 s[22:23], s[20:21], vcc
	s_and_saveexec_b64 s[20:21], s[22:23]
	s_cbranch_execz .LBB70_518
; %bb.517:
	v_ashrrev_i32_e32 v106, 31, v105
	v_lshlrev_b64 v[106:107], 2, v[105:106]
	v_add_co_u32_e32 v106, vcc, v119, v106
	v_addc_co_u32_e32 v107, vcc, v120, v107, vcc
	global_load_dword v0, v[106:107], off
	global_load_dword v100, v[119:120], off offset:96
	s_waitcnt vmcnt(1)
	global_store_dword v[119:120], v0, off offset:96
	s_waitcnt vmcnt(1)
	global_store_dword v[106:107], v100, off
.LBB70_518:
	s_or_b64 exec, exec, s[20:21]
	v_mov_b32_e32 v100, v105
	v_mov_b32_e32 v0, v105
.LBB70_519:
	s_or_b64 exec, exec, s[18:19]
.LBB70_520:
	s_andn2_saveexec_b64 s[0:1], s[0:1]
	s_cbranch_execz .LBB70_522
; %bb.521:
	v_mov_b32_e32 v100, 24
	ds_write2_b64 v98, v[37:38], v[39:40] offset0:50 offset1:51
	ds_write2_b64 v98, v[33:34], v[35:36] offset0:52 offset1:53
	;; [unrolled: 1-line block ×11, first 2 shown]
.LBB70_522:
	s_or_b64 exec, exec, s[0:1]
	v_cmp_lt_i32_e32 vcc, 24, v100
	s_waitcnt vmcnt(0) lgkmcnt(0)
	s_barrier
	s_and_saveexec_b64 s[0:1], vcc
	s_cbranch_execz .LBB70_524
; %bb.523:
	v_mul_f64 v[105:106], v[121:122], v[43:44]
	v_mul_f64 v[43:44], v[123:124], v[43:44]
	ds_read2_b64 v[107:110], v98 offset0:50 offset1:51
	v_fma_f64 v[105:106], v[123:124], v[41:42], v[105:106]
	v_fma_f64 v[41:42], v[121:122], v[41:42], -v[43:44]
	s_waitcnt lgkmcnt(0)
	v_mul_f64 v[43:44], v[109:110], v[105:106]
	v_fma_f64 v[43:44], v[107:108], v[41:42], -v[43:44]
	v_mul_f64 v[107:108], v[107:108], v[105:106]
	v_add_f64 v[37:38], v[37:38], -v[43:44]
	v_fma_f64 v[107:108], v[109:110], v[41:42], v[107:108]
	v_add_f64 v[39:40], v[39:40], -v[107:108]
	ds_read2_b64 v[107:110], v98 offset0:52 offset1:53
	s_waitcnt lgkmcnt(0)
	v_mul_f64 v[43:44], v[109:110], v[105:106]
	v_fma_f64 v[43:44], v[107:108], v[41:42], -v[43:44]
	v_mul_f64 v[107:108], v[107:108], v[105:106]
	v_add_f64 v[33:34], v[33:34], -v[43:44]
	v_fma_f64 v[107:108], v[109:110], v[41:42], v[107:108]
	v_add_f64 v[35:36], v[35:36], -v[107:108]
	ds_read2_b64 v[107:110], v98 offset0:54 offset1:55
	;; [unrolled: 8-line block ×10, first 2 shown]
	s_waitcnt lgkmcnt(0)
	v_mul_f64 v[43:44], v[109:110], v[105:106]
	v_fma_f64 v[43:44], v[107:108], v[41:42], -v[43:44]
	v_mul_f64 v[107:108], v[107:108], v[105:106]
	v_add_f64 v[101:102], v[101:102], -v[43:44]
	v_fma_f64 v[107:108], v[109:110], v[41:42], v[107:108]
	v_mov_b32_e32 v43, v105
	v_mov_b32_e32 v44, v106
	v_add_f64 v[103:104], v[103:104], -v[107:108]
.LBB70_524:
	s_or_b64 exec, exec, s[0:1]
	v_lshl_add_u32 v105, v100, 4, v98
	s_barrier
	ds_write2_b64 v105, v[37:38], v[39:40] offset1:1
	s_waitcnt lgkmcnt(0)
	s_barrier
	ds_read2_b64 v[121:124], v98 offset0:50 offset1:51
	s_cmp_lt_i32 s3, 27
	v_mov_b32_e32 v105, 25
	s_cbranch_scc1 .LBB70_527
; %bb.525:
	v_add_u32_e32 v106, 0x1a0, v98
	s_mov_b32 s0, 26
	v_mov_b32_e32 v105, 25
.LBB70_526:                             ; =>This Inner Loop Header: Depth=1
	s_waitcnt lgkmcnt(0)
	v_cmp_gt_f64_e32 vcc, 0, v[121:122]
	v_xor_b32_e32 v111, 0x80000000, v122
	ds_read2_b64 v[107:110], v106 offset1:1
	v_xor_b32_e32 v113, 0x80000000, v124
	v_add_u32_e32 v106, 16, v106
	s_waitcnt lgkmcnt(0)
	v_xor_b32_e32 v115, 0x80000000, v110
	v_cndmask_b32_e32 v112, v122, v111, vcc
	v_cmp_gt_f64_e32 vcc, 0, v[123:124]
	v_mov_b32_e32 v111, v121
	v_cndmask_b32_e32 v114, v124, v113, vcc
	v_cmp_gt_f64_e32 vcc, 0, v[107:108]
	v_mov_b32_e32 v113, v123
	v_add_f64 v[111:112], v[111:112], v[113:114]
	v_xor_b32_e32 v113, 0x80000000, v108
	v_cndmask_b32_e32 v114, v108, v113, vcc
	v_cmp_gt_f64_e32 vcc, 0, v[109:110]
	v_mov_b32_e32 v113, v107
	v_cndmask_b32_e32 v116, v110, v115, vcc
	v_mov_b32_e32 v115, v109
	v_add_f64 v[113:114], v[113:114], v[115:116]
	v_cmp_lt_f64_e32 vcc, v[111:112], v[113:114]
	v_cndmask_b32_e32 v121, v121, v107, vcc
	v_mov_b32_e32 v107, s0
	s_add_i32 s0, s0, 1
	v_cndmask_b32_e32 v122, v122, v108, vcc
	v_cndmask_b32_e32 v124, v124, v110, vcc
	;; [unrolled: 1-line block ×4, first 2 shown]
	s_cmp_lg_u32 s3, s0
	s_cbranch_scc1 .LBB70_526
.LBB70_527:
	s_waitcnt lgkmcnt(0)
	v_cmp_eq_f64_e32 vcc, 0, v[121:122]
	v_cmp_eq_f64_e64 s[0:1], 0, v[123:124]
	s_and_b64 s[0:1], vcc, s[0:1]
	s_and_saveexec_b64 s[18:19], s[0:1]
	s_xor_b64 s[0:1], exec, s[18:19]
; %bb.528:
	v_cmp_ne_u32_e32 vcc, 0, v99
	v_cndmask_b32_e32 v99, 26, v99, vcc
; %bb.529:
	s_andn2_saveexec_b64 s[0:1], s[0:1]
	s_cbranch_execz .LBB70_535
; %bb.530:
	v_cmp_ngt_f64_e64 s[18:19], |v[121:122]|, |v[123:124]|
	s_and_saveexec_b64 s[20:21], s[18:19]
	s_xor_b64 s[18:19], exec, s[20:21]
	s_cbranch_execz .LBB70_532
; %bb.531:
	v_div_scale_f64 v[106:107], s[20:21], v[123:124], v[123:124], v[121:122]
	v_rcp_f64_e32 v[108:109], v[106:107]
	v_fma_f64 v[110:111], -v[106:107], v[108:109], 1.0
	v_fma_f64 v[108:109], v[108:109], v[110:111], v[108:109]
	v_div_scale_f64 v[110:111], vcc, v[121:122], v[123:124], v[121:122]
	v_fma_f64 v[112:113], -v[106:107], v[108:109], 1.0
	v_fma_f64 v[108:109], v[108:109], v[112:113], v[108:109]
	v_mul_f64 v[112:113], v[110:111], v[108:109]
	v_fma_f64 v[106:107], -v[106:107], v[112:113], v[110:111]
	v_div_fmas_f64 v[106:107], v[106:107], v[108:109], v[112:113]
	v_div_fixup_f64 v[106:107], v[106:107], v[123:124], v[121:122]
	v_fma_f64 v[108:109], v[121:122], v[106:107], v[123:124]
	v_div_scale_f64 v[110:111], s[20:21], v[108:109], v[108:109], 1.0
	v_div_scale_f64 v[116:117], vcc, 1.0, v[108:109], 1.0
	v_rcp_f64_e32 v[112:113], v[110:111]
	v_fma_f64 v[114:115], -v[110:111], v[112:113], 1.0
	v_fma_f64 v[112:113], v[112:113], v[114:115], v[112:113]
	v_fma_f64 v[114:115], -v[110:111], v[112:113], 1.0
	v_fma_f64 v[112:113], v[112:113], v[114:115], v[112:113]
	v_mul_f64 v[114:115], v[116:117], v[112:113]
	v_fma_f64 v[110:111], -v[110:111], v[114:115], v[116:117]
	v_div_fmas_f64 v[110:111], v[110:111], v[112:113], v[114:115]
	v_div_fixup_f64 v[123:124], v[110:111], v[108:109], 1.0
	v_mul_f64 v[121:122], v[106:107], v[123:124]
	v_xor_b32_e32 v124, 0x80000000, v124
.LBB70_532:
	s_andn2_saveexec_b64 s[18:19], s[18:19]
	s_cbranch_execz .LBB70_534
; %bb.533:
	v_div_scale_f64 v[106:107], s[20:21], v[121:122], v[121:122], v[123:124]
	v_rcp_f64_e32 v[108:109], v[106:107]
	v_fma_f64 v[110:111], -v[106:107], v[108:109], 1.0
	v_fma_f64 v[108:109], v[108:109], v[110:111], v[108:109]
	v_div_scale_f64 v[110:111], vcc, v[123:124], v[121:122], v[123:124]
	v_fma_f64 v[112:113], -v[106:107], v[108:109], 1.0
	v_fma_f64 v[108:109], v[108:109], v[112:113], v[108:109]
	v_mul_f64 v[112:113], v[110:111], v[108:109]
	v_fma_f64 v[106:107], -v[106:107], v[112:113], v[110:111]
	v_div_fmas_f64 v[106:107], v[106:107], v[108:109], v[112:113]
	v_div_fixup_f64 v[106:107], v[106:107], v[121:122], v[123:124]
	v_fma_f64 v[108:109], v[123:124], v[106:107], v[121:122]
	v_div_scale_f64 v[110:111], s[20:21], v[108:109], v[108:109], 1.0
	v_div_scale_f64 v[116:117], vcc, 1.0, v[108:109], 1.0
	v_rcp_f64_e32 v[112:113], v[110:111]
	v_fma_f64 v[114:115], -v[110:111], v[112:113], 1.0
	v_fma_f64 v[112:113], v[112:113], v[114:115], v[112:113]
	v_fma_f64 v[114:115], -v[110:111], v[112:113], 1.0
	v_fma_f64 v[112:113], v[112:113], v[114:115], v[112:113]
	v_mul_f64 v[114:115], v[116:117], v[112:113]
	v_fma_f64 v[110:111], -v[110:111], v[114:115], v[116:117]
	v_div_fmas_f64 v[110:111], v[110:111], v[112:113], v[114:115]
	v_div_fixup_f64 v[121:122], v[110:111], v[108:109], 1.0
	v_mul_f64 v[123:124], v[106:107], -v[121:122]
.LBB70_534:
	s_or_b64 exec, exec, s[18:19]
.LBB70_535:
	s_or_b64 exec, exec, s[0:1]
	v_cmp_ne_u32_e32 vcc, v100, v105
	s_and_saveexec_b64 s[0:1], vcc
	s_xor_b64 s[0:1], exec, s[0:1]
	s_cbranch_execz .LBB70_541
; %bb.536:
	v_cmp_eq_u32_e32 vcc, 25, v100
	s_and_saveexec_b64 s[18:19], vcc
	s_cbranch_execz .LBB70_540
; %bb.537:
	v_cmp_ne_u32_e32 vcc, 25, v105
	s_xor_b64 s[20:21], s[6:7], -1
	s_and_b64 s[22:23], s[20:21], vcc
	s_and_saveexec_b64 s[20:21], s[22:23]
	s_cbranch_execz .LBB70_539
; %bb.538:
	v_ashrrev_i32_e32 v106, 31, v105
	v_lshlrev_b64 v[106:107], 2, v[105:106]
	v_add_co_u32_e32 v106, vcc, v119, v106
	v_addc_co_u32_e32 v107, vcc, v120, v107, vcc
	global_load_dword v0, v[106:107], off
	global_load_dword v100, v[119:120], off offset:100
	s_waitcnt vmcnt(1)
	global_store_dword v[119:120], v0, off offset:100
	s_waitcnt vmcnt(1)
	global_store_dword v[106:107], v100, off
.LBB70_539:
	s_or_b64 exec, exec, s[20:21]
	v_mov_b32_e32 v100, v105
	v_mov_b32_e32 v0, v105
.LBB70_540:
	s_or_b64 exec, exec, s[18:19]
.LBB70_541:
	s_andn2_saveexec_b64 s[0:1], s[0:1]
	s_cbranch_execz .LBB70_543
; %bb.542:
	v_mov_b32_e32 v100, 25
	ds_write2_b64 v98, v[33:34], v[35:36] offset0:52 offset1:53
	ds_write2_b64 v98, v[29:30], v[31:32] offset0:54 offset1:55
	;; [unrolled: 1-line block ×10, first 2 shown]
.LBB70_543:
	s_or_b64 exec, exec, s[0:1]
	v_cmp_lt_i32_e32 vcc, 25, v100
	s_waitcnt vmcnt(0) lgkmcnt(0)
	s_barrier
	s_and_saveexec_b64 s[0:1], vcc
	s_cbranch_execz .LBB70_545
; %bb.544:
	v_mul_f64 v[105:106], v[121:122], v[39:40]
	v_mul_f64 v[39:40], v[123:124], v[39:40]
	ds_read2_b64 v[107:110], v98 offset0:52 offset1:53
	v_fma_f64 v[105:106], v[123:124], v[37:38], v[105:106]
	v_fma_f64 v[37:38], v[121:122], v[37:38], -v[39:40]
	s_waitcnt lgkmcnt(0)
	v_mul_f64 v[39:40], v[109:110], v[105:106]
	v_fma_f64 v[39:40], v[107:108], v[37:38], -v[39:40]
	v_mul_f64 v[107:108], v[107:108], v[105:106]
	v_add_f64 v[33:34], v[33:34], -v[39:40]
	v_fma_f64 v[107:108], v[109:110], v[37:38], v[107:108]
	v_add_f64 v[35:36], v[35:36], -v[107:108]
	ds_read2_b64 v[107:110], v98 offset0:54 offset1:55
	s_waitcnt lgkmcnt(0)
	v_mul_f64 v[39:40], v[109:110], v[105:106]
	v_fma_f64 v[39:40], v[107:108], v[37:38], -v[39:40]
	v_mul_f64 v[107:108], v[107:108], v[105:106]
	v_add_f64 v[29:30], v[29:30], -v[39:40]
	v_fma_f64 v[107:108], v[109:110], v[37:38], v[107:108]
	v_add_f64 v[31:32], v[31:32], -v[107:108]
	ds_read2_b64 v[107:110], v98 offset0:56 offset1:57
	;; [unrolled: 8-line block ×9, first 2 shown]
	s_waitcnt lgkmcnt(0)
	v_mul_f64 v[39:40], v[109:110], v[105:106]
	v_fma_f64 v[39:40], v[107:108], v[37:38], -v[39:40]
	v_mul_f64 v[107:108], v[107:108], v[105:106]
	v_add_f64 v[101:102], v[101:102], -v[39:40]
	v_fma_f64 v[107:108], v[109:110], v[37:38], v[107:108]
	v_mov_b32_e32 v39, v105
	v_mov_b32_e32 v40, v106
	v_add_f64 v[103:104], v[103:104], -v[107:108]
.LBB70_545:
	s_or_b64 exec, exec, s[0:1]
	v_lshl_add_u32 v105, v100, 4, v98
	s_barrier
	ds_write2_b64 v105, v[33:34], v[35:36] offset1:1
	s_waitcnt lgkmcnt(0)
	s_barrier
	ds_read2_b64 v[121:124], v98 offset0:52 offset1:53
	s_cmp_lt_i32 s3, 28
	v_mov_b32_e32 v105, 26
	s_cbranch_scc1 .LBB70_548
; %bb.546:
	v_add_u32_e32 v106, 0x1b0, v98
	s_mov_b32 s0, 27
	v_mov_b32_e32 v105, 26
.LBB70_547:                             ; =>This Inner Loop Header: Depth=1
	s_waitcnt lgkmcnt(0)
	v_cmp_gt_f64_e32 vcc, 0, v[121:122]
	v_xor_b32_e32 v111, 0x80000000, v122
	ds_read2_b64 v[107:110], v106 offset1:1
	v_xor_b32_e32 v113, 0x80000000, v124
	v_add_u32_e32 v106, 16, v106
	s_waitcnt lgkmcnt(0)
	v_xor_b32_e32 v115, 0x80000000, v110
	v_cndmask_b32_e32 v112, v122, v111, vcc
	v_cmp_gt_f64_e32 vcc, 0, v[123:124]
	v_mov_b32_e32 v111, v121
	v_cndmask_b32_e32 v114, v124, v113, vcc
	v_cmp_gt_f64_e32 vcc, 0, v[107:108]
	v_mov_b32_e32 v113, v123
	v_add_f64 v[111:112], v[111:112], v[113:114]
	v_xor_b32_e32 v113, 0x80000000, v108
	v_cndmask_b32_e32 v114, v108, v113, vcc
	v_cmp_gt_f64_e32 vcc, 0, v[109:110]
	v_mov_b32_e32 v113, v107
	v_cndmask_b32_e32 v116, v110, v115, vcc
	v_mov_b32_e32 v115, v109
	v_add_f64 v[113:114], v[113:114], v[115:116]
	v_cmp_lt_f64_e32 vcc, v[111:112], v[113:114]
	v_cndmask_b32_e32 v121, v121, v107, vcc
	v_mov_b32_e32 v107, s0
	s_add_i32 s0, s0, 1
	v_cndmask_b32_e32 v122, v122, v108, vcc
	v_cndmask_b32_e32 v124, v124, v110, vcc
	;; [unrolled: 1-line block ×4, first 2 shown]
	s_cmp_lg_u32 s3, s0
	s_cbranch_scc1 .LBB70_547
.LBB70_548:
	s_waitcnt lgkmcnt(0)
	v_cmp_eq_f64_e32 vcc, 0, v[121:122]
	v_cmp_eq_f64_e64 s[0:1], 0, v[123:124]
	s_and_b64 s[0:1], vcc, s[0:1]
	s_and_saveexec_b64 s[18:19], s[0:1]
	s_xor_b64 s[0:1], exec, s[18:19]
; %bb.549:
	v_cmp_ne_u32_e32 vcc, 0, v99
	v_cndmask_b32_e32 v99, 27, v99, vcc
; %bb.550:
	s_andn2_saveexec_b64 s[0:1], s[0:1]
	s_cbranch_execz .LBB70_556
; %bb.551:
	v_cmp_ngt_f64_e64 s[18:19], |v[121:122]|, |v[123:124]|
	s_and_saveexec_b64 s[20:21], s[18:19]
	s_xor_b64 s[18:19], exec, s[20:21]
	s_cbranch_execz .LBB70_553
; %bb.552:
	v_div_scale_f64 v[106:107], s[20:21], v[123:124], v[123:124], v[121:122]
	v_rcp_f64_e32 v[108:109], v[106:107]
	v_fma_f64 v[110:111], -v[106:107], v[108:109], 1.0
	v_fma_f64 v[108:109], v[108:109], v[110:111], v[108:109]
	v_div_scale_f64 v[110:111], vcc, v[121:122], v[123:124], v[121:122]
	v_fma_f64 v[112:113], -v[106:107], v[108:109], 1.0
	v_fma_f64 v[108:109], v[108:109], v[112:113], v[108:109]
	v_mul_f64 v[112:113], v[110:111], v[108:109]
	v_fma_f64 v[106:107], -v[106:107], v[112:113], v[110:111]
	v_div_fmas_f64 v[106:107], v[106:107], v[108:109], v[112:113]
	v_div_fixup_f64 v[106:107], v[106:107], v[123:124], v[121:122]
	v_fma_f64 v[108:109], v[121:122], v[106:107], v[123:124]
	v_div_scale_f64 v[110:111], s[20:21], v[108:109], v[108:109], 1.0
	v_div_scale_f64 v[116:117], vcc, 1.0, v[108:109], 1.0
	v_rcp_f64_e32 v[112:113], v[110:111]
	v_fma_f64 v[114:115], -v[110:111], v[112:113], 1.0
	v_fma_f64 v[112:113], v[112:113], v[114:115], v[112:113]
	v_fma_f64 v[114:115], -v[110:111], v[112:113], 1.0
	v_fma_f64 v[112:113], v[112:113], v[114:115], v[112:113]
	v_mul_f64 v[114:115], v[116:117], v[112:113]
	v_fma_f64 v[110:111], -v[110:111], v[114:115], v[116:117]
	v_div_fmas_f64 v[110:111], v[110:111], v[112:113], v[114:115]
	v_div_fixup_f64 v[123:124], v[110:111], v[108:109], 1.0
	v_mul_f64 v[121:122], v[106:107], v[123:124]
	v_xor_b32_e32 v124, 0x80000000, v124
.LBB70_553:
	s_andn2_saveexec_b64 s[18:19], s[18:19]
	s_cbranch_execz .LBB70_555
; %bb.554:
	v_div_scale_f64 v[106:107], s[20:21], v[121:122], v[121:122], v[123:124]
	v_rcp_f64_e32 v[108:109], v[106:107]
	v_fma_f64 v[110:111], -v[106:107], v[108:109], 1.0
	v_fma_f64 v[108:109], v[108:109], v[110:111], v[108:109]
	v_div_scale_f64 v[110:111], vcc, v[123:124], v[121:122], v[123:124]
	v_fma_f64 v[112:113], -v[106:107], v[108:109], 1.0
	v_fma_f64 v[108:109], v[108:109], v[112:113], v[108:109]
	v_mul_f64 v[112:113], v[110:111], v[108:109]
	v_fma_f64 v[106:107], -v[106:107], v[112:113], v[110:111]
	v_div_fmas_f64 v[106:107], v[106:107], v[108:109], v[112:113]
	v_div_fixup_f64 v[106:107], v[106:107], v[121:122], v[123:124]
	v_fma_f64 v[108:109], v[123:124], v[106:107], v[121:122]
	v_div_scale_f64 v[110:111], s[20:21], v[108:109], v[108:109], 1.0
	v_div_scale_f64 v[116:117], vcc, 1.0, v[108:109], 1.0
	v_rcp_f64_e32 v[112:113], v[110:111]
	v_fma_f64 v[114:115], -v[110:111], v[112:113], 1.0
	v_fma_f64 v[112:113], v[112:113], v[114:115], v[112:113]
	v_fma_f64 v[114:115], -v[110:111], v[112:113], 1.0
	v_fma_f64 v[112:113], v[112:113], v[114:115], v[112:113]
	v_mul_f64 v[114:115], v[116:117], v[112:113]
	v_fma_f64 v[110:111], -v[110:111], v[114:115], v[116:117]
	v_div_fmas_f64 v[110:111], v[110:111], v[112:113], v[114:115]
	v_div_fixup_f64 v[121:122], v[110:111], v[108:109], 1.0
	v_mul_f64 v[123:124], v[106:107], -v[121:122]
.LBB70_555:
	s_or_b64 exec, exec, s[18:19]
.LBB70_556:
	s_or_b64 exec, exec, s[0:1]
	v_cmp_ne_u32_e32 vcc, v100, v105
	s_and_saveexec_b64 s[0:1], vcc
	s_xor_b64 s[0:1], exec, s[0:1]
	s_cbranch_execz .LBB70_562
; %bb.557:
	v_cmp_eq_u32_e32 vcc, 26, v100
	s_and_saveexec_b64 s[18:19], vcc
	s_cbranch_execz .LBB70_561
; %bb.558:
	v_cmp_ne_u32_e32 vcc, 26, v105
	s_xor_b64 s[20:21], s[6:7], -1
	s_and_b64 s[22:23], s[20:21], vcc
	s_and_saveexec_b64 s[20:21], s[22:23]
	s_cbranch_execz .LBB70_560
; %bb.559:
	v_ashrrev_i32_e32 v106, 31, v105
	v_lshlrev_b64 v[106:107], 2, v[105:106]
	v_add_co_u32_e32 v106, vcc, v119, v106
	v_addc_co_u32_e32 v107, vcc, v120, v107, vcc
	global_load_dword v0, v[106:107], off
	global_load_dword v100, v[119:120], off offset:104
	s_waitcnt vmcnt(1)
	global_store_dword v[119:120], v0, off offset:104
	s_waitcnt vmcnt(1)
	global_store_dword v[106:107], v100, off
.LBB70_560:
	s_or_b64 exec, exec, s[20:21]
	v_mov_b32_e32 v100, v105
	v_mov_b32_e32 v0, v105
.LBB70_561:
	s_or_b64 exec, exec, s[18:19]
.LBB70_562:
	s_andn2_saveexec_b64 s[0:1], s[0:1]
	s_cbranch_execz .LBB70_564
; %bb.563:
	v_mov_b32_e32 v100, 26
	ds_write2_b64 v98, v[29:30], v[31:32] offset0:54 offset1:55
	ds_write2_b64 v98, v[25:26], v[27:28] offset0:56 offset1:57
	;; [unrolled: 1-line block ×9, first 2 shown]
.LBB70_564:
	s_or_b64 exec, exec, s[0:1]
	v_cmp_lt_i32_e32 vcc, 26, v100
	s_waitcnt vmcnt(0) lgkmcnt(0)
	s_barrier
	s_and_saveexec_b64 s[0:1], vcc
	s_cbranch_execz .LBB70_566
; %bb.565:
	v_mul_f64 v[105:106], v[121:122], v[35:36]
	v_mul_f64 v[35:36], v[123:124], v[35:36]
	ds_read2_b64 v[107:110], v98 offset0:54 offset1:55
	v_fma_f64 v[105:106], v[123:124], v[33:34], v[105:106]
	v_fma_f64 v[33:34], v[121:122], v[33:34], -v[35:36]
	s_waitcnt lgkmcnt(0)
	v_mul_f64 v[35:36], v[109:110], v[105:106]
	v_fma_f64 v[35:36], v[107:108], v[33:34], -v[35:36]
	v_mul_f64 v[107:108], v[107:108], v[105:106]
	v_add_f64 v[29:30], v[29:30], -v[35:36]
	v_fma_f64 v[107:108], v[109:110], v[33:34], v[107:108]
	v_add_f64 v[31:32], v[31:32], -v[107:108]
	ds_read2_b64 v[107:110], v98 offset0:56 offset1:57
	s_waitcnt lgkmcnt(0)
	v_mul_f64 v[35:36], v[109:110], v[105:106]
	v_fma_f64 v[35:36], v[107:108], v[33:34], -v[35:36]
	v_mul_f64 v[107:108], v[107:108], v[105:106]
	v_add_f64 v[25:26], v[25:26], -v[35:36]
	v_fma_f64 v[107:108], v[109:110], v[33:34], v[107:108]
	v_add_f64 v[27:28], v[27:28], -v[107:108]
	ds_read2_b64 v[107:110], v98 offset0:58 offset1:59
	;; [unrolled: 8-line block ×8, first 2 shown]
	s_waitcnt lgkmcnt(0)
	v_mul_f64 v[35:36], v[109:110], v[105:106]
	v_fma_f64 v[35:36], v[107:108], v[33:34], -v[35:36]
	v_mul_f64 v[107:108], v[107:108], v[105:106]
	v_add_f64 v[101:102], v[101:102], -v[35:36]
	v_fma_f64 v[107:108], v[109:110], v[33:34], v[107:108]
	v_mov_b32_e32 v35, v105
	v_mov_b32_e32 v36, v106
	v_add_f64 v[103:104], v[103:104], -v[107:108]
.LBB70_566:
	s_or_b64 exec, exec, s[0:1]
	v_lshl_add_u32 v105, v100, 4, v98
	s_barrier
	ds_write2_b64 v105, v[29:30], v[31:32] offset1:1
	s_waitcnt lgkmcnt(0)
	s_barrier
	ds_read2_b64 v[121:124], v98 offset0:54 offset1:55
	s_cmp_lt_i32 s3, 29
	v_mov_b32_e32 v105, 27
	s_cbranch_scc1 .LBB70_569
; %bb.567:
	v_add_u32_e32 v106, 0x1c0, v98
	s_mov_b32 s0, 28
	v_mov_b32_e32 v105, 27
.LBB70_568:                             ; =>This Inner Loop Header: Depth=1
	s_waitcnt lgkmcnt(0)
	v_cmp_gt_f64_e32 vcc, 0, v[121:122]
	v_xor_b32_e32 v111, 0x80000000, v122
	ds_read2_b64 v[107:110], v106 offset1:1
	v_xor_b32_e32 v113, 0x80000000, v124
	v_add_u32_e32 v106, 16, v106
	s_waitcnt lgkmcnt(0)
	v_xor_b32_e32 v115, 0x80000000, v110
	v_cndmask_b32_e32 v112, v122, v111, vcc
	v_cmp_gt_f64_e32 vcc, 0, v[123:124]
	v_mov_b32_e32 v111, v121
	v_cndmask_b32_e32 v114, v124, v113, vcc
	v_cmp_gt_f64_e32 vcc, 0, v[107:108]
	v_mov_b32_e32 v113, v123
	v_add_f64 v[111:112], v[111:112], v[113:114]
	v_xor_b32_e32 v113, 0x80000000, v108
	v_cndmask_b32_e32 v114, v108, v113, vcc
	v_cmp_gt_f64_e32 vcc, 0, v[109:110]
	v_mov_b32_e32 v113, v107
	v_cndmask_b32_e32 v116, v110, v115, vcc
	v_mov_b32_e32 v115, v109
	v_add_f64 v[113:114], v[113:114], v[115:116]
	v_cmp_lt_f64_e32 vcc, v[111:112], v[113:114]
	v_cndmask_b32_e32 v121, v121, v107, vcc
	v_mov_b32_e32 v107, s0
	s_add_i32 s0, s0, 1
	v_cndmask_b32_e32 v122, v122, v108, vcc
	v_cndmask_b32_e32 v124, v124, v110, vcc
	;; [unrolled: 1-line block ×4, first 2 shown]
	s_cmp_lg_u32 s3, s0
	s_cbranch_scc1 .LBB70_568
.LBB70_569:
	s_waitcnt lgkmcnt(0)
	v_cmp_eq_f64_e32 vcc, 0, v[121:122]
	v_cmp_eq_f64_e64 s[0:1], 0, v[123:124]
	s_and_b64 s[0:1], vcc, s[0:1]
	s_and_saveexec_b64 s[18:19], s[0:1]
	s_xor_b64 s[0:1], exec, s[18:19]
; %bb.570:
	v_cmp_ne_u32_e32 vcc, 0, v99
	v_cndmask_b32_e32 v99, 28, v99, vcc
; %bb.571:
	s_andn2_saveexec_b64 s[0:1], s[0:1]
	s_cbranch_execz .LBB70_577
; %bb.572:
	v_cmp_ngt_f64_e64 s[18:19], |v[121:122]|, |v[123:124]|
	s_and_saveexec_b64 s[20:21], s[18:19]
	s_xor_b64 s[18:19], exec, s[20:21]
	s_cbranch_execz .LBB70_574
; %bb.573:
	v_div_scale_f64 v[106:107], s[20:21], v[123:124], v[123:124], v[121:122]
	v_rcp_f64_e32 v[108:109], v[106:107]
	v_fma_f64 v[110:111], -v[106:107], v[108:109], 1.0
	v_fma_f64 v[108:109], v[108:109], v[110:111], v[108:109]
	v_div_scale_f64 v[110:111], vcc, v[121:122], v[123:124], v[121:122]
	v_fma_f64 v[112:113], -v[106:107], v[108:109], 1.0
	v_fma_f64 v[108:109], v[108:109], v[112:113], v[108:109]
	v_mul_f64 v[112:113], v[110:111], v[108:109]
	v_fma_f64 v[106:107], -v[106:107], v[112:113], v[110:111]
	v_div_fmas_f64 v[106:107], v[106:107], v[108:109], v[112:113]
	v_div_fixup_f64 v[106:107], v[106:107], v[123:124], v[121:122]
	v_fma_f64 v[108:109], v[121:122], v[106:107], v[123:124]
	v_div_scale_f64 v[110:111], s[20:21], v[108:109], v[108:109], 1.0
	v_div_scale_f64 v[116:117], vcc, 1.0, v[108:109], 1.0
	v_rcp_f64_e32 v[112:113], v[110:111]
	v_fma_f64 v[114:115], -v[110:111], v[112:113], 1.0
	v_fma_f64 v[112:113], v[112:113], v[114:115], v[112:113]
	v_fma_f64 v[114:115], -v[110:111], v[112:113], 1.0
	v_fma_f64 v[112:113], v[112:113], v[114:115], v[112:113]
	v_mul_f64 v[114:115], v[116:117], v[112:113]
	v_fma_f64 v[110:111], -v[110:111], v[114:115], v[116:117]
	v_div_fmas_f64 v[110:111], v[110:111], v[112:113], v[114:115]
	v_div_fixup_f64 v[123:124], v[110:111], v[108:109], 1.0
	v_mul_f64 v[121:122], v[106:107], v[123:124]
	v_xor_b32_e32 v124, 0x80000000, v124
.LBB70_574:
	s_andn2_saveexec_b64 s[18:19], s[18:19]
	s_cbranch_execz .LBB70_576
; %bb.575:
	v_div_scale_f64 v[106:107], s[20:21], v[121:122], v[121:122], v[123:124]
	v_rcp_f64_e32 v[108:109], v[106:107]
	v_fma_f64 v[110:111], -v[106:107], v[108:109], 1.0
	v_fma_f64 v[108:109], v[108:109], v[110:111], v[108:109]
	v_div_scale_f64 v[110:111], vcc, v[123:124], v[121:122], v[123:124]
	v_fma_f64 v[112:113], -v[106:107], v[108:109], 1.0
	v_fma_f64 v[108:109], v[108:109], v[112:113], v[108:109]
	v_mul_f64 v[112:113], v[110:111], v[108:109]
	v_fma_f64 v[106:107], -v[106:107], v[112:113], v[110:111]
	v_div_fmas_f64 v[106:107], v[106:107], v[108:109], v[112:113]
	v_div_fixup_f64 v[106:107], v[106:107], v[121:122], v[123:124]
	v_fma_f64 v[108:109], v[123:124], v[106:107], v[121:122]
	v_div_scale_f64 v[110:111], s[20:21], v[108:109], v[108:109], 1.0
	v_div_scale_f64 v[116:117], vcc, 1.0, v[108:109], 1.0
	v_rcp_f64_e32 v[112:113], v[110:111]
	v_fma_f64 v[114:115], -v[110:111], v[112:113], 1.0
	v_fma_f64 v[112:113], v[112:113], v[114:115], v[112:113]
	v_fma_f64 v[114:115], -v[110:111], v[112:113], 1.0
	v_fma_f64 v[112:113], v[112:113], v[114:115], v[112:113]
	v_mul_f64 v[114:115], v[116:117], v[112:113]
	v_fma_f64 v[110:111], -v[110:111], v[114:115], v[116:117]
	v_div_fmas_f64 v[110:111], v[110:111], v[112:113], v[114:115]
	v_div_fixup_f64 v[121:122], v[110:111], v[108:109], 1.0
	v_mul_f64 v[123:124], v[106:107], -v[121:122]
.LBB70_576:
	s_or_b64 exec, exec, s[18:19]
.LBB70_577:
	s_or_b64 exec, exec, s[0:1]
	v_cmp_ne_u32_e32 vcc, v100, v105
	s_and_saveexec_b64 s[0:1], vcc
	s_xor_b64 s[0:1], exec, s[0:1]
	s_cbranch_execz .LBB70_583
; %bb.578:
	v_cmp_eq_u32_e32 vcc, 27, v100
	s_and_saveexec_b64 s[18:19], vcc
	s_cbranch_execz .LBB70_582
; %bb.579:
	v_cmp_ne_u32_e32 vcc, 27, v105
	s_xor_b64 s[20:21], s[6:7], -1
	s_and_b64 s[22:23], s[20:21], vcc
	s_and_saveexec_b64 s[20:21], s[22:23]
	s_cbranch_execz .LBB70_581
; %bb.580:
	v_ashrrev_i32_e32 v106, 31, v105
	v_lshlrev_b64 v[106:107], 2, v[105:106]
	v_add_co_u32_e32 v106, vcc, v119, v106
	v_addc_co_u32_e32 v107, vcc, v120, v107, vcc
	global_load_dword v0, v[106:107], off
	global_load_dword v100, v[119:120], off offset:108
	s_waitcnt vmcnt(1)
	global_store_dword v[119:120], v0, off offset:108
	s_waitcnt vmcnt(1)
	global_store_dword v[106:107], v100, off
.LBB70_581:
	s_or_b64 exec, exec, s[20:21]
	v_mov_b32_e32 v100, v105
	v_mov_b32_e32 v0, v105
.LBB70_582:
	s_or_b64 exec, exec, s[18:19]
.LBB70_583:
	s_andn2_saveexec_b64 s[0:1], s[0:1]
	s_cbranch_execz .LBB70_585
; %bb.584:
	v_mov_b32_e32 v100, 27
	ds_write2_b64 v98, v[25:26], v[27:28] offset0:56 offset1:57
	ds_write2_b64 v98, v[21:22], v[23:24] offset0:58 offset1:59
	;; [unrolled: 1-line block ×8, first 2 shown]
.LBB70_585:
	s_or_b64 exec, exec, s[0:1]
	v_cmp_lt_i32_e32 vcc, 27, v100
	s_waitcnt vmcnt(0) lgkmcnt(0)
	s_barrier
	s_and_saveexec_b64 s[0:1], vcc
	s_cbranch_execz .LBB70_587
; %bb.586:
	v_mul_f64 v[105:106], v[121:122], v[31:32]
	v_mul_f64 v[31:32], v[123:124], v[31:32]
	ds_read2_b64 v[107:110], v98 offset0:56 offset1:57
	v_fma_f64 v[105:106], v[123:124], v[29:30], v[105:106]
	v_fma_f64 v[29:30], v[121:122], v[29:30], -v[31:32]
	s_waitcnt lgkmcnt(0)
	v_mul_f64 v[31:32], v[109:110], v[105:106]
	v_fma_f64 v[31:32], v[107:108], v[29:30], -v[31:32]
	v_mul_f64 v[107:108], v[107:108], v[105:106]
	v_add_f64 v[25:26], v[25:26], -v[31:32]
	v_fma_f64 v[107:108], v[109:110], v[29:30], v[107:108]
	v_add_f64 v[27:28], v[27:28], -v[107:108]
	ds_read2_b64 v[107:110], v98 offset0:58 offset1:59
	s_waitcnt lgkmcnt(0)
	v_mul_f64 v[31:32], v[109:110], v[105:106]
	v_fma_f64 v[31:32], v[107:108], v[29:30], -v[31:32]
	v_mul_f64 v[107:108], v[107:108], v[105:106]
	v_add_f64 v[21:22], v[21:22], -v[31:32]
	v_fma_f64 v[107:108], v[109:110], v[29:30], v[107:108]
	v_add_f64 v[23:24], v[23:24], -v[107:108]
	ds_read2_b64 v[107:110], v98 offset0:60 offset1:61
	;; [unrolled: 8-line block ×7, first 2 shown]
	s_waitcnt lgkmcnt(0)
	v_mul_f64 v[31:32], v[109:110], v[105:106]
	v_fma_f64 v[31:32], v[107:108], v[29:30], -v[31:32]
	v_mul_f64 v[107:108], v[107:108], v[105:106]
	v_add_f64 v[101:102], v[101:102], -v[31:32]
	v_fma_f64 v[107:108], v[109:110], v[29:30], v[107:108]
	v_mov_b32_e32 v31, v105
	v_mov_b32_e32 v32, v106
	v_add_f64 v[103:104], v[103:104], -v[107:108]
.LBB70_587:
	s_or_b64 exec, exec, s[0:1]
	v_lshl_add_u32 v105, v100, 4, v98
	s_barrier
	ds_write2_b64 v105, v[25:26], v[27:28] offset1:1
	s_waitcnt lgkmcnt(0)
	s_barrier
	ds_read2_b64 v[121:124], v98 offset0:56 offset1:57
	s_cmp_lt_i32 s3, 30
	v_mov_b32_e32 v105, 28
	s_cbranch_scc1 .LBB70_590
; %bb.588:
	v_add_u32_e32 v106, 0x1d0, v98
	s_mov_b32 s0, 29
	v_mov_b32_e32 v105, 28
.LBB70_589:                             ; =>This Inner Loop Header: Depth=1
	s_waitcnt lgkmcnt(0)
	v_cmp_gt_f64_e32 vcc, 0, v[121:122]
	v_xor_b32_e32 v111, 0x80000000, v122
	ds_read2_b64 v[107:110], v106 offset1:1
	v_xor_b32_e32 v113, 0x80000000, v124
	v_add_u32_e32 v106, 16, v106
	s_waitcnt lgkmcnt(0)
	v_xor_b32_e32 v115, 0x80000000, v110
	v_cndmask_b32_e32 v112, v122, v111, vcc
	v_cmp_gt_f64_e32 vcc, 0, v[123:124]
	v_mov_b32_e32 v111, v121
	v_cndmask_b32_e32 v114, v124, v113, vcc
	v_cmp_gt_f64_e32 vcc, 0, v[107:108]
	v_mov_b32_e32 v113, v123
	v_add_f64 v[111:112], v[111:112], v[113:114]
	v_xor_b32_e32 v113, 0x80000000, v108
	v_cndmask_b32_e32 v114, v108, v113, vcc
	v_cmp_gt_f64_e32 vcc, 0, v[109:110]
	v_mov_b32_e32 v113, v107
	v_cndmask_b32_e32 v116, v110, v115, vcc
	v_mov_b32_e32 v115, v109
	v_add_f64 v[113:114], v[113:114], v[115:116]
	v_cmp_lt_f64_e32 vcc, v[111:112], v[113:114]
	v_cndmask_b32_e32 v121, v121, v107, vcc
	v_mov_b32_e32 v107, s0
	s_add_i32 s0, s0, 1
	v_cndmask_b32_e32 v122, v122, v108, vcc
	v_cndmask_b32_e32 v124, v124, v110, vcc
	;; [unrolled: 1-line block ×4, first 2 shown]
	s_cmp_lg_u32 s3, s0
	s_cbranch_scc1 .LBB70_589
.LBB70_590:
	s_waitcnt lgkmcnt(0)
	v_cmp_eq_f64_e32 vcc, 0, v[121:122]
	v_cmp_eq_f64_e64 s[0:1], 0, v[123:124]
	s_and_b64 s[0:1], vcc, s[0:1]
	s_and_saveexec_b64 s[18:19], s[0:1]
	s_xor_b64 s[0:1], exec, s[18:19]
; %bb.591:
	v_cmp_ne_u32_e32 vcc, 0, v99
	v_cndmask_b32_e32 v99, 29, v99, vcc
; %bb.592:
	s_andn2_saveexec_b64 s[0:1], s[0:1]
	s_cbranch_execz .LBB70_598
; %bb.593:
	v_cmp_ngt_f64_e64 s[18:19], |v[121:122]|, |v[123:124]|
	s_and_saveexec_b64 s[20:21], s[18:19]
	s_xor_b64 s[18:19], exec, s[20:21]
	s_cbranch_execz .LBB70_595
; %bb.594:
	v_div_scale_f64 v[106:107], s[20:21], v[123:124], v[123:124], v[121:122]
	v_rcp_f64_e32 v[108:109], v[106:107]
	v_fma_f64 v[110:111], -v[106:107], v[108:109], 1.0
	v_fma_f64 v[108:109], v[108:109], v[110:111], v[108:109]
	v_div_scale_f64 v[110:111], vcc, v[121:122], v[123:124], v[121:122]
	v_fma_f64 v[112:113], -v[106:107], v[108:109], 1.0
	v_fma_f64 v[108:109], v[108:109], v[112:113], v[108:109]
	v_mul_f64 v[112:113], v[110:111], v[108:109]
	v_fma_f64 v[106:107], -v[106:107], v[112:113], v[110:111]
	v_div_fmas_f64 v[106:107], v[106:107], v[108:109], v[112:113]
	v_div_fixup_f64 v[106:107], v[106:107], v[123:124], v[121:122]
	v_fma_f64 v[108:109], v[121:122], v[106:107], v[123:124]
	v_div_scale_f64 v[110:111], s[20:21], v[108:109], v[108:109], 1.0
	v_div_scale_f64 v[116:117], vcc, 1.0, v[108:109], 1.0
	v_rcp_f64_e32 v[112:113], v[110:111]
	v_fma_f64 v[114:115], -v[110:111], v[112:113], 1.0
	v_fma_f64 v[112:113], v[112:113], v[114:115], v[112:113]
	v_fma_f64 v[114:115], -v[110:111], v[112:113], 1.0
	v_fma_f64 v[112:113], v[112:113], v[114:115], v[112:113]
	v_mul_f64 v[114:115], v[116:117], v[112:113]
	v_fma_f64 v[110:111], -v[110:111], v[114:115], v[116:117]
	v_div_fmas_f64 v[110:111], v[110:111], v[112:113], v[114:115]
	v_div_fixup_f64 v[123:124], v[110:111], v[108:109], 1.0
	v_mul_f64 v[121:122], v[106:107], v[123:124]
	v_xor_b32_e32 v124, 0x80000000, v124
.LBB70_595:
	s_andn2_saveexec_b64 s[18:19], s[18:19]
	s_cbranch_execz .LBB70_597
; %bb.596:
	v_div_scale_f64 v[106:107], s[20:21], v[121:122], v[121:122], v[123:124]
	v_rcp_f64_e32 v[108:109], v[106:107]
	v_fma_f64 v[110:111], -v[106:107], v[108:109], 1.0
	v_fma_f64 v[108:109], v[108:109], v[110:111], v[108:109]
	v_div_scale_f64 v[110:111], vcc, v[123:124], v[121:122], v[123:124]
	v_fma_f64 v[112:113], -v[106:107], v[108:109], 1.0
	v_fma_f64 v[108:109], v[108:109], v[112:113], v[108:109]
	v_mul_f64 v[112:113], v[110:111], v[108:109]
	v_fma_f64 v[106:107], -v[106:107], v[112:113], v[110:111]
	v_div_fmas_f64 v[106:107], v[106:107], v[108:109], v[112:113]
	v_div_fixup_f64 v[106:107], v[106:107], v[121:122], v[123:124]
	v_fma_f64 v[108:109], v[123:124], v[106:107], v[121:122]
	v_div_scale_f64 v[110:111], s[20:21], v[108:109], v[108:109], 1.0
	v_div_scale_f64 v[116:117], vcc, 1.0, v[108:109], 1.0
	v_rcp_f64_e32 v[112:113], v[110:111]
	v_fma_f64 v[114:115], -v[110:111], v[112:113], 1.0
	v_fma_f64 v[112:113], v[112:113], v[114:115], v[112:113]
	v_fma_f64 v[114:115], -v[110:111], v[112:113], 1.0
	v_fma_f64 v[112:113], v[112:113], v[114:115], v[112:113]
	v_mul_f64 v[114:115], v[116:117], v[112:113]
	v_fma_f64 v[110:111], -v[110:111], v[114:115], v[116:117]
	v_div_fmas_f64 v[110:111], v[110:111], v[112:113], v[114:115]
	v_div_fixup_f64 v[121:122], v[110:111], v[108:109], 1.0
	v_mul_f64 v[123:124], v[106:107], -v[121:122]
.LBB70_597:
	s_or_b64 exec, exec, s[18:19]
.LBB70_598:
	s_or_b64 exec, exec, s[0:1]
	v_cmp_ne_u32_e32 vcc, v100, v105
	s_and_saveexec_b64 s[0:1], vcc
	s_xor_b64 s[0:1], exec, s[0:1]
	s_cbranch_execz .LBB70_604
; %bb.599:
	v_cmp_eq_u32_e32 vcc, 28, v100
	s_and_saveexec_b64 s[18:19], vcc
	s_cbranch_execz .LBB70_603
; %bb.600:
	v_cmp_ne_u32_e32 vcc, 28, v105
	s_xor_b64 s[20:21], s[6:7], -1
	s_and_b64 s[22:23], s[20:21], vcc
	s_and_saveexec_b64 s[20:21], s[22:23]
	s_cbranch_execz .LBB70_602
; %bb.601:
	v_ashrrev_i32_e32 v106, 31, v105
	v_lshlrev_b64 v[106:107], 2, v[105:106]
	v_add_co_u32_e32 v106, vcc, v119, v106
	v_addc_co_u32_e32 v107, vcc, v120, v107, vcc
	global_load_dword v0, v[106:107], off
	global_load_dword v100, v[119:120], off offset:112
	s_waitcnt vmcnt(1)
	global_store_dword v[119:120], v0, off offset:112
	s_waitcnt vmcnt(1)
	global_store_dword v[106:107], v100, off
.LBB70_602:
	s_or_b64 exec, exec, s[20:21]
	v_mov_b32_e32 v100, v105
	v_mov_b32_e32 v0, v105
.LBB70_603:
	s_or_b64 exec, exec, s[18:19]
.LBB70_604:
	s_andn2_saveexec_b64 s[0:1], s[0:1]
	s_cbranch_execz .LBB70_606
; %bb.605:
	v_mov_b32_e32 v100, 28
	ds_write2_b64 v98, v[21:22], v[23:24] offset0:58 offset1:59
	ds_write2_b64 v98, v[17:18], v[19:20] offset0:60 offset1:61
	;; [unrolled: 1-line block ×7, first 2 shown]
.LBB70_606:
	s_or_b64 exec, exec, s[0:1]
	v_cmp_lt_i32_e32 vcc, 28, v100
	s_waitcnt vmcnt(0) lgkmcnt(0)
	s_barrier
	s_and_saveexec_b64 s[0:1], vcc
	s_cbranch_execz .LBB70_608
; %bb.607:
	v_mul_f64 v[105:106], v[121:122], v[27:28]
	v_mul_f64 v[27:28], v[123:124], v[27:28]
	ds_read2_b64 v[107:110], v98 offset0:58 offset1:59
	v_fma_f64 v[105:106], v[123:124], v[25:26], v[105:106]
	v_fma_f64 v[25:26], v[121:122], v[25:26], -v[27:28]
	s_waitcnt lgkmcnt(0)
	v_mul_f64 v[27:28], v[109:110], v[105:106]
	v_fma_f64 v[27:28], v[107:108], v[25:26], -v[27:28]
	v_mul_f64 v[107:108], v[107:108], v[105:106]
	v_add_f64 v[21:22], v[21:22], -v[27:28]
	v_fma_f64 v[107:108], v[109:110], v[25:26], v[107:108]
	v_add_f64 v[23:24], v[23:24], -v[107:108]
	ds_read2_b64 v[107:110], v98 offset0:60 offset1:61
	s_waitcnt lgkmcnt(0)
	v_mul_f64 v[27:28], v[109:110], v[105:106]
	v_fma_f64 v[27:28], v[107:108], v[25:26], -v[27:28]
	v_mul_f64 v[107:108], v[107:108], v[105:106]
	v_add_f64 v[17:18], v[17:18], -v[27:28]
	v_fma_f64 v[107:108], v[109:110], v[25:26], v[107:108]
	v_add_f64 v[19:20], v[19:20], -v[107:108]
	ds_read2_b64 v[107:110], v98 offset0:62 offset1:63
	;; [unrolled: 8-line block ×6, first 2 shown]
	s_waitcnt lgkmcnt(0)
	v_mul_f64 v[27:28], v[109:110], v[105:106]
	v_fma_f64 v[27:28], v[107:108], v[25:26], -v[27:28]
	v_mul_f64 v[107:108], v[107:108], v[105:106]
	v_add_f64 v[101:102], v[101:102], -v[27:28]
	v_fma_f64 v[107:108], v[109:110], v[25:26], v[107:108]
	v_mov_b32_e32 v27, v105
	v_mov_b32_e32 v28, v106
	v_add_f64 v[103:104], v[103:104], -v[107:108]
.LBB70_608:
	s_or_b64 exec, exec, s[0:1]
	v_lshl_add_u32 v105, v100, 4, v98
	s_barrier
	ds_write2_b64 v105, v[21:22], v[23:24] offset1:1
	s_waitcnt lgkmcnt(0)
	s_barrier
	ds_read2_b64 v[121:124], v98 offset0:58 offset1:59
	s_cmp_lt_i32 s3, 31
	v_mov_b32_e32 v105, 29
	s_cbranch_scc1 .LBB70_611
; %bb.609:
	v_add_u32_e32 v106, 0x1e0, v98
	s_mov_b32 s0, 30
	v_mov_b32_e32 v105, 29
.LBB70_610:                             ; =>This Inner Loop Header: Depth=1
	s_waitcnt lgkmcnt(0)
	v_cmp_gt_f64_e32 vcc, 0, v[121:122]
	v_xor_b32_e32 v111, 0x80000000, v122
	ds_read2_b64 v[107:110], v106 offset1:1
	v_xor_b32_e32 v113, 0x80000000, v124
	v_add_u32_e32 v106, 16, v106
	s_waitcnt lgkmcnt(0)
	v_xor_b32_e32 v115, 0x80000000, v110
	v_cndmask_b32_e32 v112, v122, v111, vcc
	v_cmp_gt_f64_e32 vcc, 0, v[123:124]
	v_mov_b32_e32 v111, v121
	v_cndmask_b32_e32 v114, v124, v113, vcc
	v_cmp_gt_f64_e32 vcc, 0, v[107:108]
	v_mov_b32_e32 v113, v123
	v_add_f64 v[111:112], v[111:112], v[113:114]
	v_xor_b32_e32 v113, 0x80000000, v108
	v_cndmask_b32_e32 v114, v108, v113, vcc
	v_cmp_gt_f64_e32 vcc, 0, v[109:110]
	v_mov_b32_e32 v113, v107
	v_cndmask_b32_e32 v116, v110, v115, vcc
	v_mov_b32_e32 v115, v109
	v_add_f64 v[113:114], v[113:114], v[115:116]
	v_cmp_lt_f64_e32 vcc, v[111:112], v[113:114]
	v_cndmask_b32_e32 v121, v121, v107, vcc
	v_mov_b32_e32 v107, s0
	s_add_i32 s0, s0, 1
	v_cndmask_b32_e32 v122, v122, v108, vcc
	v_cndmask_b32_e32 v124, v124, v110, vcc
	;; [unrolled: 1-line block ×4, first 2 shown]
	s_cmp_lg_u32 s3, s0
	s_cbranch_scc1 .LBB70_610
.LBB70_611:
	s_waitcnt lgkmcnt(0)
	v_cmp_eq_f64_e32 vcc, 0, v[121:122]
	v_cmp_eq_f64_e64 s[0:1], 0, v[123:124]
	s_and_b64 s[0:1], vcc, s[0:1]
	s_and_saveexec_b64 s[18:19], s[0:1]
	s_xor_b64 s[0:1], exec, s[18:19]
; %bb.612:
	v_cmp_ne_u32_e32 vcc, 0, v99
	v_cndmask_b32_e32 v99, 30, v99, vcc
; %bb.613:
	s_andn2_saveexec_b64 s[0:1], s[0:1]
	s_cbranch_execz .LBB70_619
; %bb.614:
	v_cmp_ngt_f64_e64 s[18:19], |v[121:122]|, |v[123:124]|
	s_and_saveexec_b64 s[20:21], s[18:19]
	s_xor_b64 s[18:19], exec, s[20:21]
	s_cbranch_execz .LBB70_616
; %bb.615:
	v_div_scale_f64 v[106:107], s[20:21], v[123:124], v[123:124], v[121:122]
	v_rcp_f64_e32 v[108:109], v[106:107]
	v_fma_f64 v[110:111], -v[106:107], v[108:109], 1.0
	v_fma_f64 v[108:109], v[108:109], v[110:111], v[108:109]
	v_div_scale_f64 v[110:111], vcc, v[121:122], v[123:124], v[121:122]
	v_fma_f64 v[112:113], -v[106:107], v[108:109], 1.0
	v_fma_f64 v[108:109], v[108:109], v[112:113], v[108:109]
	v_mul_f64 v[112:113], v[110:111], v[108:109]
	v_fma_f64 v[106:107], -v[106:107], v[112:113], v[110:111]
	v_div_fmas_f64 v[106:107], v[106:107], v[108:109], v[112:113]
	v_div_fixup_f64 v[106:107], v[106:107], v[123:124], v[121:122]
	v_fma_f64 v[108:109], v[121:122], v[106:107], v[123:124]
	v_div_scale_f64 v[110:111], s[20:21], v[108:109], v[108:109], 1.0
	v_div_scale_f64 v[116:117], vcc, 1.0, v[108:109], 1.0
	v_rcp_f64_e32 v[112:113], v[110:111]
	v_fma_f64 v[114:115], -v[110:111], v[112:113], 1.0
	v_fma_f64 v[112:113], v[112:113], v[114:115], v[112:113]
	v_fma_f64 v[114:115], -v[110:111], v[112:113], 1.0
	v_fma_f64 v[112:113], v[112:113], v[114:115], v[112:113]
	v_mul_f64 v[114:115], v[116:117], v[112:113]
	v_fma_f64 v[110:111], -v[110:111], v[114:115], v[116:117]
	v_div_fmas_f64 v[110:111], v[110:111], v[112:113], v[114:115]
	v_div_fixup_f64 v[123:124], v[110:111], v[108:109], 1.0
	v_mul_f64 v[121:122], v[106:107], v[123:124]
	v_xor_b32_e32 v124, 0x80000000, v124
.LBB70_616:
	s_andn2_saveexec_b64 s[18:19], s[18:19]
	s_cbranch_execz .LBB70_618
; %bb.617:
	v_div_scale_f64 v[106:107], s[20:21], v[121:122], v[121:122], v[123:124]
	v_rcp_f64_e32 v[108:109], v[106:107]
	v_fma_f64 v[110:111], -v[106:107], v[108:109], 1.0
	v_fma_f64 v[108:109], v[108:109], v[110:111], v[108:109]
	v_div_scale_f64 v[110:111], vcc, v[123:124], v[121:122], v[123:124]
	v_fma_f64 v[112:113], -v[106:107], v[108:109], 1.0
	v_fma_f64 v[108:109], v[108:109], v[112:113], v[108:109]
	v_mul_f64 v[112:113], v[110:111], v[108:109]
	v_fma_f64 v[106:107], -v[106:107], v[112:113], v[110:111]
	v_div_fmas_f64 v[106:107], v[106:107], v[108:109], v[112:113]
	v_div_fixup_f64 v[106:107], v[106:107], v[121:122], v[123:124]
	v_fma_f64 v[108:109], v[123:124], v[106:107], v[121:122]
	v_div_scale_f64 v[110:111], s[20:21], v[108:109], v[108:109], 1.0
	v_div_scale_f64 v[116:117], vcc, 1.0, v[108:109], 1.0
	v_rcp_f64_e32 v[112:113], v[110:111]
	v_fma_f64 v[114:115], -v[110:111], v[112:113], 1.0
	v_fma_f64 v[112:113], v[112:113], v[114:115], v[112:113]
	v_fma_f64 v[114:115], -v[110:111], v[112:113], 1.0
	v_fma_f64 v[112:113], v[112:113], v[114:115], v[112:113]
	v_mul_f64 v[114:115], v[116:117], v[112:113]
	v_fma_f64 v[110:111], -v[110:111], v[114:115], v[116:117]
	v_div_fmas_f64 v[110:111], v[110:111], v[112:113], v[114:115]
	v_div_fixup_f64 v[121:122], v[110:111], v[108:109], 1.0
	v_mul_f64 v[123:124], v[106:107], -v[121:122]
.LBB70_618:
	s_or_b64 exec, exec, s[18:19]
.LBB70_619:
	s_or_b64 exec, exec, s[0:1]
	v_cmp_ne_u32_e32 vcc, v100, v105
	s_and_saveexec_b64 s[0:1], vcc
	s_xor_b64 s[0:1], exec, s[0:1]
	s_cbranch_execz .LBB70_625
; %bb.620:
	v_cmp_eq_u32_e32 vcc, 29, v100
	s_and_saveexec_b64 s[18:19], vcc
	s_cbranch_execz .LBB70_624
; %bb.621:
	v_cmp_ne_u32_e32 vcc, 29, v105
	s_xor_b64 s[20:21], s[6:7], -1
	s_and_b64 s[22:23], s[20:21], vcc
	s_and_saveexec_b64 s[20:21], s[22:23]
	s_cbranch_execz .LBB70_623
; %bb.622:
	v_ashrrev_i32_e32 v106, 31, v105
	v_lshlrev_b64 v[106:107], 2, v[105:106]
	v_add_co_u32_e32 v106, vcc, v119, v106
	v_addc_co_u32_e32 v107, vcc, v120, v107, vcc
	global_load_dword v0, v[106:107], off
	global_load_dword v100, v[119:120], off offset:116
	s_waitcnt vmcnt(1)
	global_store_dword v[119:120], v0, off offset:116
	s_waitcnt vmcnt(1)
	global_store_dword v[106:107], v100, off
.LBB70_623:
	s_or_b64 exec, exec, s[20:21]
	v_mov_b32_e32 v100, v105
	v_mov_b32_e32 v0, v105
.LBB70_624:
	s_or_b64 exec, exec, s[18:19]
.LBB70_625:
	s_andn2_saveexec_b64 s[0:1], s[0:1]
	s_cbranch_execz .LBB70_627
; %bb.626:
	v_mov_b32_e32 v100, 29
	ds_write2_b64 v98, v[17:18], v[19:20] offset0:60 offset1:61
	ds_write2_b64 v98, v[13:14], v[15:16] offset0:62 offset1:63
	;; [unrolled: 1-line block ×6, first 2 shown]
.LBB70_627:
	s_or_b64 exec, exec, s[0:1]
	v_cmp_lt_i32_e32 vcc, 29, v100
	s_waitcnt vmcnt(0) lgkmcnt(0)
	s_barrier
	s_and_saveexec_b64 s[0:1], vcc
	s_cbranch_execz .LBB70_629
; %bb.628:
	v_mul_f64 v[105:106], v[121:122], v[23:24]
	v_mul_f64 v[23:24], v[123:124], v[23:24]
	ds_read2_b64 v[107:110], v98 offset0:60 offset1:61
	v_fma_f64 v[105:106], v[123:124], v[21:22], v[105:106]
	v_fma_f64 v[21:22], v[121:122], v[21:22], -v[23:24]
	s_waitcnt lgkmcnt(0)
	v_mul_f64 v[23:24], v[109:110], v[105:106]
	v_fma_f64 v[23:24], v[107:108], v[21:22], -v[23:24]
	v_mul_f64 v[107:108], v[107:108], v[105:106]
	v_add_f64 v[17:18], v[17:18], -v[23:24]
	v_fma_f64 v[107:108], v[109:110], v[21:22], v[107:108]
	v_add_f64 v[19:20], v[19:20], -v[107:108]
	ds_read2_b64 v[107:110], v98 offset0:62 offset1:63
	s_waitcnt lgkmcnt(0)
	v_mul_f64 v[23:24], v[109:110], v[105:106]
	v_fma_f64 v[23:24], v[107:108], v[21:22], -v[23:24]
	v_mul_f64 v[107:108], v[107:108], v[105:106]
	v_add_f64 v[13:14], v[13:14], -v[23:24]
	v_fma_f64 v[107:108], v[109:110], v[21:22], v[107:108]
	v_add_f64 v[15:16], v[15:16], -v[107:108]
	ds_read2_b64 v[107:110], v98 offset0:64 offset1:65
	;; [unrolled: 8-line block ×5, first 2 shown]
	s_waitcnt lgkmcnt(0)
	v_mul_f64 v[23:24], v[109:110], v[105:106]
	v_fma_f64 v[23:24], v[107:108], v[21:22], -v[23:24]
	v_mul_f64 v[107:108], v[107:108], v[105:106]
	v_add_f64 v[101:102], v[101:102], -v[23:24]
	v_fma_f64 v[107:108], v[109:110], v[21:22], v[107:108]
	v_mov_b32_e32 v23, v105
	v_mov_b32_e32 v24, v106
	v_add_f64 v[103:104], v[103:104], -v[107:108]
.LBB70_629:
	s_or_b64 exec, exec, s[0:1]
	v_lshl_add_u32 v105, v100, 4, v98
	s_barrier
	ds_write2_b64 v105, v[17:18], v[19:20] offset1:1
	s_waitcnt lgkmcnt(0)
	s_barrier
	ds_read2_b64 v[121:124], v98 offset0:60 offset1:61
	s_cmp_lt_i32 s3, 32
	v_mov_b32_e32 v105, 30
	s_cbranch_scc1 .LBB70_632
; %bb.630:
	v_add_u32_e32 v106, 0x1f0, v98
	s_mov_b32 s0, 31
	v_mov_b32_e32 v105, 30
.LBB70_631:                             ; =>This Inner Loop Header: Depth=1
	s_waitcnt lgkmcnt(0)
	v_cmp_gt_f64_e32 vcc, 0, v[121:122]
	v_xor_b32_e32 v111, 0x80000000, v122
	ds_read2_b64 v[107:110], v106 offset1:1
	v_xor_b32_e32 v113, 0x80000000, v124
	v_add_u32_e32 v106, 16, v106
	s_waitcnt lgkmcnt(0)
	v_xor_b32_e32 v115, 0x80000000, v110
	v_cndmask_b32_e32 v112, v122, v111, vcc
	v_cmp_gt_f64_e32 vcc, 0, v[123:124]
	v_mov_b32_e32 v111, v121
	v_cndmask_b32_e32 v114, v124, v113, vcc
	v_cmp_gt_f64_e32 vcc, 0, v[107:108]
	v_mov_b32_e32 v113, v123
	v_add_f64 v[111:112], v[111:112], v[113:114]
	v_xor_b32_e32 v113, 0x80000000, v108
	v_cndmask_b32_e32 v114, v108, v113, vcc
	v_cmp_gt_f64_e32 vcc, 0, v[109:110]
	v_mov_b32_e32 v113, v107
	v_cndmask_b32_e32 v116, v110, v115, vcc
	v_mov_b32_e32 v115, v109
	v_add_f64 v[113:114], v[113:114], v[115:116]
	v_cmp_lt_f64_e32 vcc, v[111:112], v[113:114]
	v_cndmask_b32_e32 v121, v121, v107, vcc
	v_mov_b32_e32 v107, s0
	s_add_i32 s0, s0, 1
	v_cndmask_b32_e32 v122, v122, v108, vcc
	v_cndmask_b32_e32 v124, v124, v110, vcc
	;; [unrolled: 1-line block ×4, first 2 shown]
	s_cmp_lg_u32 s3, s0
	s_cbranch_scc1 .LBB70_631
.LBB70_632:
	s_waitcnt lgkmcnt(0)
	v_cmp_eq_f64_e32 vcc, 0, v[121:122]
	v_cmp_eq_f64_e64 s[0:1], 0, v[123:124]
	s_and_b64 s[0:1], vcc, s[0:1]
	s_and_saveexec_b64 s[18:19], s[0:1]
	s_xor_b64 s[0:1], exec, s[18:19]
; %bb.633:
	v_cmp_ne_u32_e32 vcc, 0, v99
	v_cndmask_b32_e32 v99, 31, v99, vcc
; %bb.634:
	s_andn2_saveexec_b64 s[0:1], s[0:1]
	s_cbranch_execz .LBB70_640
; %bb.635:
	v_cmp_ngt_f64_e64 s[18:19], |v[121:122]|, |v[123:124]|
	s_and_saveexec_b64 s[20:21], s[18:19]
	s_xor_b64 s[18:19], exec, s[20:21]
	s_cbranch_execz .LBB70_637
; %bb.636:
	v_div_scale_f64 v[106:107], s[20:21], v[123:124], v[123:124], v[121:122]
	v_rcp_f64_e32 v[108:109], v[106:107]
	v_fma_f64 v[110:111], -v[106:107], v[108:109], 1.0
	v_fma_f64 v[108:109], v[108:109], v[110:111], v[108:109]
	v_div_scale_f64 v[110:111], vcc, v[121:122], v[123:124], v[121:122]
	v_fma_f64 v[112:113], -v[106:107], v[108:109], 1.0
	v_fma_f64 v[108:109], v[108:109], v[112:113], v[108:109]
	v_mul_f64 v[112:113], v[110:111], v[108:109]
	v_fma_f64 v[106:107], -v[106:107], v[112:113], v[110:111]
	v_div_fmas_f64 v[106:107], v[106:107], v[108:109], v[112:113]
	v_div_fixup_f64 v[106:107], v[106:107], v[123:124], v[121:122]
	v_fma_f64 v[108:109], v[121:122], v[106:107], v[123:124]
	v_div_scale_f64 v[110:111], s[20:21], v[108:109], v[108:109], 1.0
	v_div_scale_f64 v[116:117], vcc, 1.0, v[108:109], 1.0
	v_rcp_f64_e32 v[112:113], v[110:111]
	v_fma_f64 v[114:115], -v[110:111], v[112:113], 1.0
	v_fma_f64 v[112:113], v[112:113], v[114:115], v[112:113]
	v_fma_f64 v[114:115], -v[110:111], v[112:113], 1.0
	v_fma_f64 v[112:113], v[112:113], v[114:115], v[112:113]
	v_mul_f64 v[114:115], v[116:117], v[112:113]
	v_fma_f64 v[110:111], -v[110:111], v[114:115], v[116:117]
	v_div_fmas_f64 v[110:111], v[110:111], v[112:113], v[114:115]
	v_div_fixup_f64 v[123:124], v[110:111], v[108:109], 1.0
	v_mul_f64 v[121:122], v[106:107], v[123:124]
	v_xor_b32_e32 v124, 0x80000000, v124
.LBB70_637:
	s_andn2_saveexec_b64 s[18:19], s[18:19]
	s_cbranch_execz .LBB70_639
; %bb.638:
	v_div_scale_f64 v[106:107], s[20:21], v[121:122], v[121:122], v[123:124]
	v_rcp_f64_e32 v[108:109], v[106:107]
	v_fma_f64 v[110:111], -v[106:107], v[108:109], 1.0
	v_fma_f64 v[108:109], v[108:109], v[110:111], v[108:109]
	v_div_scale_f64 v[110:111], vcc, v[123:124], v[121:122], v[123:124]
	v_fma_f64 v[112:113], -v[106:107], v[108:109], 1.0
	v_fma_f64 v[108:109], v[108:109], v[112:113], v[108:109]
	v_mul_f64 v[112:113], v[110:111], v[108:109]
	v_fma_f64 v[106:107], -v[106:107], v[112:113], v[110:111]
	v_div_fmas_f64 v[106:107], v[106:107], v[108:109], v[112:113]
	v_div_fixup_f64 v[106:107], v[106:107], v[121:122], v[123:124]
	v_fma_f64 v[108:109], v[123:124], v[106:107], v[121:122]
	v_div_scale_f64 v[110:111], s[20:21], v[108:109], v[108:109], 1.0
	v_div_scale_f64 v[116:117], vcc, 1.0, v[108:109], 1.0
	v_rcp_f64_e32 v[112:113], v[110:111]
	v_fma_f64 v[114:115], -v[110:111], v[112:113], 1.0
	v_fma_f64 v[112:113], v[112:113], v[114:115], v[112:113]
	v_fma_f64 v[114:115], -v[110:111], v[112:113], 1.0
	v_fma_f64 v[112:113], v[112:113], v[114:115], v[112:113]
	v_mul_f64 v[114:115], v[116:117], v[112:113]
	v_fma_f64 v[110:111], -v[110:111], v[114:115], v[116:117]
	v_div_fmas_f64 v[110:111], v[110:111], v[112:113], v[114:115]
	v_div_fixup_f64 v[121:122], v[110:111], v[108:109], 1.0
	v_mul_f64 v[123:124], v[106:107], -v[121:122]
.LBB70_639:
	s_or_b64 exec, exec, s[18:19]
.LBB70_640:
	s_or_b64 exec, exec, s[0:1]
	v_cmp_ne_u32_e32 vcc, v100, v105
	s_and_saveexec_b64 s[0:1], vcc
	s_xor_b64 s[0:1], exec, s[0:1]
	s_cbranch_execz .LBB70_646
; %bb.641:
	v_cmp_eq_u32_e32 vcc, 30, v100
	s_and_saveexec_b64 s[18:19], vcc
	s_cbranch_execz .LBB70_645
; %bb.642:
	v_cmp_ne_u32_e32 vcc, 30, v105
	s_xor_b64 s[20:21], s[6:7], -1
	s_and_b64 s[22:23], s[20:21], vcc
	s_and_saveexec_b64 s[20:21], s[22:23]
	s_cbranch_execz .LBB70_644
; %bb.643:
	v_ashrrev_i32_e32 v106, 31, v105
	v_lshlrev_b64 v[106:107], 2, v[105:106]
	v_add_co_u32_e32 v106, vcc, v119, v106
	v_addc_co_u32_e32 v107, vcc, v120, v107, vcc
	global_load_dword v0, v[106:107], off
	global_load_dword v100, v[119:120], off offset:120
	s_waitcnt vmcnt(1)
	global_store_dword v[119:120], v0, off offset:120
	s_waitcnt vmcnt(1)
	global_store_dword v[106:107], v100, off
.LBB70_644:
	s_or_b64 exec, exec, s[20:21]
	v_mov_b32_e32 v100, v105
	v_mov_b32_e32 v0, v105
.LBB70_645:
	s_or_b64 exec, exec, s[18:19]
.LBB70_646:
	s_andn2_saveexec_b64 s[0:1], s[0:1]
	s_cbranch_execz .LBB70_648
; %bb.647:
	v_mov_b32_e32 v100, 30
	ds_write2_b64 v98, v[13:14], v[15:16] offset0:62 offset1:63
	ds_write2_b64 v98, v[9:10], v[11:12] offset0:64 offset1:65
	;; [unrolled: 1-line block ×5, first 2 shown]
.LBB70_648:
	s_or_b64 exec, exec, s[0:1]
	v_cmp_lt_i32_e32 vcc, 30, v100
	s_waitcnt vmcnt(0) lgkmcnt(0)
	s_barrier
	s_and_saveexec_b64 s[0:1], vcc
	s_cbranch_execz .LBB70_650
; %bb.649:
	v_mul_f64 v[105:106], v[121:122], v[19:20]
	v_mul_f64 v[19:20], v[123:124], v[19:20]
	v_fma_f64 v[109:110], v[123:124], v[17:18], v[105:106]
	ds_read2_b64 v[105:108], v98 offset0:62 offset1:63
	v_fma_f64 v[17:18], v[121:122], v[17:18], -v[19:20]
	s_waitcnt lgkmcnt(0)
	v_mul_f64 v[19:20], v[107:108], v[109:110]
	v_fma_f64 v[19:20], v[105:106], v[17:18], -v[19:20]
	v_mul_f64 v[105:106], v[105:106], v[109:110]
	v_add_f64 v[13:14], v[13:14], -v[19:20]
	v_fma_f64 v[105:106], v[107:108], v[17:18], v[105:106]
	v_add_f64 v[15:16], v[15:16], -v[105:106]
	ds_read2_b64 v[105:108], v98 offset0:64 offset1:65
	s_waitcnt lgkmcnt(0)
	v_mul_f64 v[19:20], v[107:108], v[109:110]
	v_fma_f64 v[19:20], v[105:106], v[17:18], -v[19:20]
	v_mul_f64 v[105:106], v[105:106], v[109:110]
	v_add_f64 v[9:10], v[9:10], -v[19:20]
	v_fma_f64 v[105:106], v[107:108], v[17:18], v[105:106]
	v_add_f64 v[11:12], v[11:12], -v[105:106]
	ds_read2_b64 v[105:108], v98 offset0:66 offset1:67
	;; [unrolled: 8-line block ×4, first 2 shown]
	s_waitcnt lgkmcnt(0)
	v_mul_f64 v[19:20], v[107:108], v[109:110]
	v_fma_f64 v[19:20], v[105:106], v[17:18], -v[19:20]
	v_mul_f64 v[105:106], v[105:106], v[109:110]
	v_add_f64 v[101:102], v[101:102], -v[19:20]
	v_fma_f64 v[105:106], v[107:108], v[17:18], v[105:106]
	v_mov_b32_e32 v19, v109
	v_mov_b32_e32 v20, v110
	v_add_f64 v[103:104], v[103:104], -v[105:106]
.LBB70_650:
	s_or_b64 exec, exec, s[0:1]
	v_lshl_add_u32 v105, v100, 4, v98
	s_barrier
	ds_write2_b64 v105, v[13:14], v[15:16] offset1:1
	s_waitcnt lgkmcnt(0)
	s_barrier
	ds_read2_b64 v[121:124], v98 offset0:62 offset1:63
	s_cmp_lt_i32 s3, 33
	v_mov_b32_e32 v105, 31
	s_cbranch_scc1 .LBB70_653
; %bb.651:
	v_add_u32_e32 v106, 0x200, v98
	s_mov_b32 s0, 32
	v_mov_b32_e32 v105, 31
.LBB70_652:                             ; =>This Inner Loop Header: Depth=1
	s_waitcnt lgkmcnt(0)
	v_cmp_gt_f64_e32 vcc, 0, v[121:122]
	v_xor_b32_e32 v111, 0x80000000, v122
	ds_read2_b64 v[107:110], v106 offset1:1
	v_xor_b32_e32 v113, 0x80000000, v124
	v_add_u32_e32 v106, 16, v106
	s_waitcnt lgkmcnt(0)
	v_xor_b32_e32 v115, 0x80000000, v110
	v_cndmask_b32_e32 v112, v122, v111, vcc
	v_cmp_gt_f64_e32 vcc, 0, v[123:124]
	v_mov_b32_e32 v111, v121
	v_cndmask_b32_e32 v114, v124, v113, vcc
	v_cmp_gt_f64_e32 vcc, 0, v[107:108]
	v_mov_b32_e32 v113, v123
	v_add_f64 v[111:112], v[111:112], v[113:114]
	v_xor_b32_e32 v113, 0x80000000, v108
	v_cndmask_b32_e32 v114, v108, v113, vcc
	v_cmp_gt_f64_e32 vcc, 0, v[109:110]
	v_mov_b32_e32 v113, v107
	v_cndmask_b32_e32 v116, v110, v115, vcc
	v_mov_b32_e32 v115, v109
	v_add_f64 v[113:114], v[113:114], v[115:116]
	v_cmp_lt_f64_e32 vcc, v[111:112], v[113:114]
	v_cndmask_b32_e32 v121, v121, v107, vcc
	v_mov_b32_e32 v107, s0
	s_add_i32 s0, s0, 1
	v_cndmask_b32_e32 v122, v122, v108, vcc
	v_cndmask_b32_e32 v124, v124, v110, vcc
	;; [unrolled: 1-line block ×4, first 2 shown]
	s_cmp_lg_u32 s3, s0
	s_cbranch_scc1 .LBB70_652
.LBB70_653:
	s_waitcnt lgkmcnt(0)
	v_cmp_eq_f64_e32 vcc, 0, v[121:122]
	v_cmp_eq_f64_e64 s[0:1], 0, v[123:124]
	s_and_b64 s[0:1], vcc, s[0:1]
	s_and_saveexec_b64 s[18:19], s[0:1]
	s_xor_b64 s[0:1], exec, s[18:19]
; %bb.654:
	v_cmp_ne_u32_e32 vcc, 0, v99
	v_cndmask_b32_e32 v99, 32, v99, vcc
; %bb.655:
	s_andn2_saveexec_b64 s[0:1], s[0:1]
	s_cbranch_execz .LBB70_661
; %bb.656:
	v_cmp_ngt_f64_e64 s[18:19], |v[121:122]|, |v[123:124]|
	s_and_saveexec_b64 s[20:21], s[18:19]
	s_xor_b64 s[18:19], exec, s[20:21]
	s_cbranch_execz .LBB70_658
; %bb.657:
	v_div_scale_f64 v[106:107], s[20:21], v[123:124], v[123:124], v[121:122]
	v_rcp_f64_e32 v[108:109], v[106:107]
	v_fma_f64 v[110:111], -v[106:107], v[108:109], 1.0
	v_fma_f64 v[108:109], v[108:109], v[110:111], v[108:109]
	v_div_scale_f64 v[110:111], vcc, v[121:122], v[123:124], v[121:122]
	v_fma_f64 v[112:113], -v[106:107], v[108:109], 1.0
	v_fma_f64 v[108:109], v[108:109], v[112:113], v[108:109]
	v_mul_f64 v[112:113], v[110:111], v[108:109]
	v_fma_f64 v[106:107], -v[106:107], v[112:113], v[110:111]
	v_div_fmas_f64 v[106:107], v[106:107], v[108:109], v[112:113]
	v_div_fixup_f64 v[106:107], v[106:107], v[123:124], v[121:122]
	v_fma_f64 v[108:109], v[121:122], v[106:107], v[123:124]
	v_div_scale_f64 v[110:111], s[20:21], v[108:109], v[108:109], 1.0
	v_div_scale_f64 v[116:117], vcc, 1.0, v[108:109], 1.0
	v_rcp_f64_e32 v[112:113], v[110:111]
	v_fma_f64 v[114:115], -v[110:111], v[112:113], 1.0
	v_fma_f64 v[112:113], v[112:113], v[114:115], v[112:113]
	v_fma_f64 v[114:115], -v[110:111], v[112:113], 1.0
	v_fma_f64 v[112:113], v[112:113], v[114:115], v[112:113]
	v_mul_f64 v[114:115], v[116:117], v[112:113]
	v_fma_f64 v[110:111], -v[110:111], v[114:115], v[116:117]
	v_div_fmas_f64 v[110:111], v[110:111], v[112:113], v[114:115]
	v_div_fixup_f64 v[123:124], v[110:111], v[108:109], 1.0
	v_mul_f64 v[121:122], v[106:107], v[123:124]
	v_xor_b32_e32 v124, 0x80000000, v124
.LBB70_658:
	s_andn2_saveexec_b64 s[18:19], s[18:19]
	s_cbranch_execz .LBB70_660
; %bb.659:
	v_div_scale_f64 v[106:107], s[20:21], v[121:122], v[121:122], v[123:124]
	v_rcp_f64_e32 v[108:109], v[106:107]
	v_fma_f64 v[110:111], -v[106:107], v[108:109], 1.0
	v_fma_f64 v[108:109], v[108:109], v[110:111], v[108:109]
	v_div_scale_f64 v[110:111], vcc, v[123:124], v[121:122], v[123:124]
	v_fma_f64 v[112:113], -v[106:107], v[108:109], 1.0
	v_fma_f64 v[108:109], v[108:109], v[112:113], v[108:109]
	v_mul_f64 v[112:113], v[110:111], v[108:109]
	v_fma_f64 v[106:107], -v[106:107], v[112:113], v[110:111]
	v_div_fmas_f64 v[106:107], v[106:107], v[108:109], v[112:113]
	v_div_fixup_f64 v[106:107], v[106:107], v[121:122], v[123:124]
	v_fma_f64 v[108:109], v[123:124], v[106:107], v[121:122]
	v_div_scale_f64 v[110:111], s[20:21], v[108:109], v[108:109], 1.0
	v_div_scale_f64 v[116:117], vcc, 1.0, v[108:109], 1.0
	v_rcp_f64_e32 v[112:113], v[110:111]
	v_fma_f64 v[114:115], -v[110:111], v[112:113], 1.0
	v_fma_f64 v[112:113], v[112:113], v[114:115], v[112:113]
	v_fma_f64 v[114:115], -v[110:111], v[112:113], 1.0
	v_fma_f64 v[112:113], v[112:113], v[114:115], v[112:113]
	v_mul_f64 v[114:115], v[116:117], v[112:113]
	v_fma_f64 v[110:111], -v[110:111], v[114:115], v[116:117]
	v_div_fmas_f64 v[110:111], v[110:111], v[112:113], v[114:115]
	v_div_fixup_f64 v[121:122], v[110:111], v[108:109], 1.0
	v_mul_f64 v[123:124], v[106:107], -v[121:122]
.LBB70_660:
	s_or_b64 exec, exec, s[18:19]
.LBB70_661:
	s_or_b64 exec, exec, s[0:1]
	v_cmp_ne_u32_e32 vcc, v100, v105
	s_and_saveexec_b64 s[0:1], vcc
	s_xor_b64 s[0:1], exec, s[0:1]
	s_cbranch_execz .LBB70_667
; %bb.662:
	v_cmp_eq_u32_e32 vcc, 31, v100
	s_and_saveexec_b64 s[18:19], vcc
	s_cbranch_execz .LBB70_666
; %bb.663:
	v_cmp_ne_u32_e32 vcc, 31, v105
	s_xor_b64 s[20:21], s[6:7], -1
	s_and_b64 s[22:23], s[20:21], vcc
	s_and_saveexec_b64 s[20:21], s[22:23]
	s_cbranch_execz .LBB70_665
; %bb.664:
	v_ashrrev_i32_e32 v106, 31, v105
	v_lshlrev_b64 v[106:107], 2, v[105:106]
	v_add_co_u32_e32 v106, vcc, v119, v106
	v_addc_co_u32_e32 v107, vcc, v120, v107, vcc
	global_load_dword v0, v[106:107], off
	global_load_dword v100, v[119:120], off offset:124
	s_waitcnt vmcnt(1)
	global_store_dword v[119:120], v0, off offset:124
	s_waitcnt vmcnt(1)
	global_store_dword v[106:107], v100, off
.LBB70_665:
	s_or_b64 exec, exec, s[20:21]
	v_mov_b32_e32 v100, v105
	v_mov_b32_e32 v0, v105
.LBB70_666:
	s_or_b64 exec, exec, s[18:19]
.LBB70_667:
	s_andn2_saveexec_b64 s[0:1], s[0:1]
	s_cbranch_execz .LBB70_669
; %bb.668:
	v_mov_b32_e32 v100, 31
	ds_write2_b64 v98, v[9:10], v[11:12] offset0:64 offset1:65
	ds_write2_b64 v98, v[5:6], v[7:8] offset0:66 offset1:67
	;; [unrolled: 1-line block ×4, first 2 shown]
.LBB70_669:
	s_or_b64 exec, exec, s[0:1]
	v_cmp_lt_i32_e32 vcc, 31, v100
	s_waitcnt vmcnt(0) lgkmcnt(0)
	s_barrier
	s_and_saveexec_b64 s[0:1], vcc
	s_cbranch_execz .LBB70_671
; %bb.670:
	v_mul_f64 v[105:106], v[121:122], v[15:16]
	v_mul_f64 v[15:16], v[123:124], v[15:16]
	v_fma_f64 v[109:110], v[123:124], v[13:14], v[105:106]
	ds_read2_b64 v[105:108], v98 offset0:64 offset1:65
	v_fma_f64 v[13:14], v[121:122], v[13:14], -v[15:16]
	s_waitcnt lgkmcnt(0)
	v_mul_f64 v[15:16], v[107:108], v[109:110]
	v_fma_f64 v[15:16], v[105:106], v[13:14], -v[15:16]
	v_mul_f64 v[105:106], v[105:106], v[109:110]
	v_add_f64 v[9:10], v[9:10], -v[15:16]
	v_fma_f64 v[105:106], v[107:108], v[13:14], v[105:106]
	v_add_f64 v[11:12], v[11:12], -v[105:106]
	ds_read2_b64 v[105:108], v98 offset0:66 offset1:67
	s_waitcnt lgkmcnt(0)
	v_mul_f64 v[15:16], v[107:108], v[109:110]
	v_fma_f64 v[15:16], v[105:106], v[13:14], -v[15:16]
	v_mul_f64 v[105:106], v[105:106], v[109:110]
	v_add_f64 v[5:6], v[5:6], -v[15:16]
	v_fma_f64 v[105:106], v[107:108], v[13:14], v[105:106]
	v_add_f64 v[7:8], v[7:8], -v[105:106]
	ds_read2_b64 v[105:108], v98 offset0:68 offset1:69
	;; [unrolled: 8-line block ×3, first 2 shown]
	s_waitcnt lgkmcnt(0)
	v_mul_f64 v[15:16], v[107:108], v[109:110]
	v_fma_f64 v[15:16], v[105:106], v[13:14], -v[15:16]
	v_mul_f64 v[105:106], v[105:106], v[109:110]
	v_add_f64 v[101:102], v[101:102], -v[15:16]
	v_fma_f64 v[105:106], v[107:108], v[13:14], v[105:106]
	v_mov_b32_e32 v15, v109
	v_mov_b32_e32 v16, v110
	v_add_f64 v[103:104], v[103:104], -v[105:106]
.LBB70_671:
	s_or_b64 exec, exec, s[0:1]
	v_lshl_add_u32 v105, v100, 4, v98
	s_barrier
	ds_write2_b64 v105, v[9:10], v[11:12] offset1:1
	s_waitcnt lgkmcnt(0)
	s_barrier
	ds_read2_b64 v[121:124], v98 offset0:64 offset1:65
	s_cmp_lt_i32 s3, 34
	v_mov_b32_e32 v105, 32
	s_cbranch_scc1 .LBB70_674
; %bb.672:
	v_add_u32_e32 v106, 0x210, v98
	s_mov_b32 s0, 33
	v_mov_b32_e32 v105, 32
.LBB70_673:                             ; =>This Inner Loop Header: Depth=1
	s_waitcnt lgkmcnt(0)
	v_cmp_gt_f64_e32 vcc, 0, v[121:122]
	v_xor_b32_e32 v111, 0x80000000, v122
	ds_read2_b64 v[107:110], v106 offset1:1
	v_xor_b32_e32 v113, 0x80000000, v124
	v_add_u32_e32 v106, 16, v106
	s_waitcnt lgkmcnt(0)
	v_xor_b32_e32 v115, 0x80000000, v110
	v_cndmask_b32_e32 v112, v122, v111, vcc
	v_cmp_gt_f64_e32 vcc, 0, v[123:124]
	v_mov_b32_e32 v111, v121
	v_cndmask_b32_e32 v114, v124, v113, vcc
	v_cmp_gt_f64_e32 vcc, 0, v[107:108]
	v_mov_b32_e32 v113, v123
	v_add_f64 v[111:112], v[111:112], v[113:114]
	v_xor_b32_e32 v113, 0x80000000, v108
	v_cndmask_b32_e32 v114, v108, v113, vcc
	v_cmp_gt_f64_e32 vcc, 0, v[109:110]
	v_mov_b32_e32 v113, v107
	v_cndmask_b32_e32 v116, v110, v115, vcc
	v_mov_b32_e32 v115, v109
	v_add_f64 v[113:114], v[113:114], v[115:116]
	v_cmp_lt_f64_e32 vcc, v[111:112], v[113:114]
	v_cndmask_b32_e32 v121, v121, v107, vcc
	v_mov_b32_e32 v107, s0
	s_add_i32 s0, s0, 1
	v_cndmask_b32_e32 v122, v122, v108, vcc
	v_cndmask_b32_e32 v124, v124, v110, vcc
	v_cndmask_b32_e32 v123, v123, v109, vcc
	v_cndmask_b32_e32 v105, v105, v107, vcc
	s_cmp_lg_u32 s3, s0
	s_cbranch_scc1 .LBB70_673
.LBB70_674:
	s_waitcnt lgkmcnt(0)
	v_cmp_eq_f64_e32 vcc, 0, v[121:122]
	v_cmp_eq_f64_e64 s[0:1], 0, v[123:124]
	s_and_b64 s[0:1], vcc, s[0:1]
	s_and_saveexec_b64 s[18:19], s[0:1]
	s_xor_b64 s[0:1], exec, s[18:19]
; %bb.675:
	v_cmp_ne_u32_e32 vcc, 0, v99
	v_cndmask_b32_e32 v99, 33, v99, vcc
; %bb.676:
	s_andn2_saveexec_b64 s[0:1], s[0:1]
	s_cbranch_execz .LBB70_682
; %bb.677:
	v_cmp_ngt_f64_e64 s[18:19], |v[121:122]|, |v[123:124]|
	s_and_saveexec_b64 s[20:21], s[18:19]
	s_xor_b64 s[18:19], exec, s[20:21]
	s_cbranch_execz .LBB70_679
; %bb.678:
	v_div_scale_f64 v[106:107], s[20:21], v[123:124], v[123:124], v[121:122]
	v_rcp_f64_e32 v[108:109], v[106:107]
	v_fma_f64 v[110:111], -v[106:107], v[108:109], 1.0
	v_fma_f64 v[108:109], v[108:109], v[110:111], v[108:109]
	v_div_scale_f64 v[110:111], vcc, v[121:122], v[123:124], v[121:122]
	v_fma_f64 v[112:113], -v[106:107], v[108:109], 1.0
	v_fma_f64 v[108:109], v[108:109], v[112:113], v[108:109]
	v_mul_f64 v[112:113], v[110:111], v[108:109]
	v_fma_f64 v[106:107], -v[106:107], v[112:113], v[110:111]
	v_div_fmas_f64 v[106:107], v[106:107], v[108:109], v[112:113]
	v_div_fixup_f64 v[106:107], v[106:107], v[123:124], v[121:122]
	v_fma_f64 v[108:109], v[121:122], v[106:107], v[123:124]
	v_div_scale_f64 v[110:111], s[20:21], v[108:109], v[108:109], 1.0
	v_div_scale_f64 v[116:117], vcc, 1.0, v[108:109], 1.0
	v_rcp_f64_e32 v[112:113], v[110:111]
	v_fma_f64 v[114:115], -v[110:111], v[112:113], 1.0
	v_fma_f64 v[112:113], v[112:113], v[114:115], v[112:113]
	v_fma_f64 v[114:115], -v[110:111], v[112:113], 1.0
	v_fma_f64 v[112:113], v[112:113], v[114:115], v[112:113]
	v_mul_f64 v[114:115], v[116:117], v[112:113]
	v_fma_f64 v[110:111], -v[110:111], v[114:115], v[116:117]
	v_div_fmas_f64 v[110:111], v[110:111], v[112:113], v[114:115]
	v_div_fixup_f64 v[123:124], v[110:111], v[108:109], 1.0
	v_mul_f64 v[121:122], v[106:107], v[123:124]
	v_xor_b32_e32 v124, 0x80000000, v124
.LBB70_679:
	s_andn2_saveexec_b64 s[18:19], s[18:19]
	s_cbranch_execz .LBB70_681
; %bb.680:
	v_div_scale_f64 v[106:107], s[20:21], v[121:122], v[121:122], v[123:124]
	v_rcp_f64_e32 v[108:109], v[106:107]
	v_fma_f64 v[110:111], -v[106:107], v[108:109], 1.0
	v_fma_f64 v[108:109], v[108:109], v[110:111], v[108:109]
	v_div_scale_f64 v[110:111], vcc, v[123:124], v[121:122], v[123:124]
	v_fma_f64 v[112:113], -v[106:107], v[108:109], 1.0
	v_fma_f64 v[108:109], v[108:109], v[112:113], v[108:109]
	v_mul_f64 v[112:113], v[110:111], v[108:109]
	v_fma_f64 v[106:107], -v[106:107], v[112:113], v[110:111]
	v_div_fmas_f64 v[106:107], v[106:107], v[108:109], v[112:113]
	v_div_fixup_f64 v[106:107], v[106:107], v[121:122], v[123:124]
	v_fma_f64 v[108:109], v[123:124], v[106:107], v[121:122]
	v_div_scale_f64 v[110:111], s[20:21], v[108:109], v[108:109], 1.0
	v_div_scale_f64 v[116:117], vcc, 1.0, v[108:109], 1.0
	v_rcp_f64_e32 v[112:113], v[110:111]
	v_fma_f64 v[114:115], -v[110:111], v[112:113], 1.0
	v_fma_f64 v[112:113], v[112:113], v[114:115], v[112:113]
	v_fma_f64 v[114:115], -v[110:111], v[112:113], 1.0
	v_fma_f64 v[112:113], v[112:113], v[114:115], v[112:113]
	v_mul_f64 v[114:115], v[116:117], v[112:113]
	v_fma_f64 v[110:111], -v[110:111], v[114:115], v[116:117]
	v_div_fmas_f64 v[110:111], v[110:111], v[112:113], v[114:115]
	v_div_fixup_f64 v[121:122], v[110:111], v[108:109], 1.0
	v_mul_f64 v[123:124], v[106:107], -v[121:122]
.LBB70_681:
	s_or_b64 exec, exec, s[18:19]
.LBB70_682:
	s_or_b64 exec, exec, s[0:1]
	v_cmp_ne_u32_e32 vcc, v100, v105
	s_and_saveexec_b64 s[0:1], vcc
	s_xor_b64 s[0:1], exec, s[0:1]
	s_cbranch_execz .LBB70_688
; %bb.683:
	v_cmp_eq_u32_e32 vcc, 32, v100
	s_and_saveexec_b64 s[18:19], vcc
	s_cbranch_execz .LBB70_687
; %bb.684:
	v_cmp_ne_u32_e32 vcc, 32, v105
	s_xor_b64 s[20:21], s[6:7], -1
	s_and_b64 s[22:23], s[20:21], vcc
	s_and_saveexec_b64 s[20:21], s[22:23]
	s_cbranch_execz .LBB70_686
; %bb.685:
	v_ashrrev_i32_e32 v106, 31, v105
	v_lshlrev_b64 v[106:107], 2, v[105:106]
	v_add_co_u32_e32 v106, vcc, v119, v106
	v_addc_co_u32_e32 v107, vcc, v120, v107, vcc
	global_load_dword v0, v[106:107], off
	global_load_dword v100, v[119:120], off offset:128
	s_waitcnt vmcnt(1)
	global_store_dword v[119:120], v0, off offset:128
	s_waitcnt vmcnt(1)
	global_store_dword v[106:107], v100, off
.LBB70_686:
	s_or_b64 exec, exec, s[20:21]
	v_mov_b32_e32 v100, v105
	v_mov_b32_e32 v0, v105
.LBB70_687:
	s_or_b64 exec, exec, s[18:19]
.LBB70_688:
	s_andn2_saveexec_b64 s[0:1], s[0:1]
	s_cbranch_execz .LBB70_690
; %bb.689:
	v_mov_b32_e32 v100, 32
	ds_write2_b64 v98, v[5:6], v[7:8] offset0:66 offset1:67
	ds_write2_b64 v98, v[1:2], v[3:4] offset0:68 offset1:69
	;; [unrolled: 1-line block ×3, first 2 shown]
.LBB70_690:
	s_or_b64 exec, exec, s[0:1]
	v_cmp_lt_i32_e32 vcc, 32, v100
	s_waitcnt vmcnt(0) lgkmcnt(0)
	s_barrier
	s_and_saveexec_b64 s[0:1], vcc
	s_cbranch_execz .LBB70_692
; %bb.691:
	v_mul_f64 v[105:106], v[121:122], v[11:12]
	v_mul_f64 v[11:12], v[123:124], v[11:12]
	v_fma_f64 v[109:110], v[123:124], v[9:10], v[105:106]
	ds_read2_b64 v[105:108], v98 offset0:66 offset1:67
	v_fma_f64 v[9:10], v[121:122], v[9:10], -v[11:12]
	s_waitcnt lgkmcnt(0)
	v_mul_f64 v[11:12], v[107:108], v[109:110]
	v_fma_f64 v[11:12], v[105:106], v[9:10], -v[11:12]
	v_mul_f64 v[105:106], v[105:106], v[109:110]
	v_add_f64 v[5:6], v[5:6], -v[11:12]
	v_fma_f64 v[105:106], v[107:108], v[9:10], v[105:106]
	v_add_f64 v[7:8], v[7:8], -v[105:106]
	ds_read2_b64 v[105:108], v98 offset0:68 offset1:69
	s_waitcnt lgkmcnt(0)
	v_mul_f64 v[11:12], v[107:108], v[109:110]
	v_fma_f64 v[11:12], v[105:106], v[9:10], -v[11:12]
	v_mul_f64 v[105:106], v[105:106], v[109:110]
	v_add_f64 v[1:2], v[1:2], -v[11:12]
	v_fma_f64 v[105:106], v[107:108], v[9:10], v[105:106]
	v_add_f64 v[3:4], v[3:4], -v[105:106]
	ds_read2_b64 v[105:108], v98 offset0:70 offset1:71
	s_waitcnt lgkmcnt(0)
	v_mul_f64 v[11:12], v[107:108], v[109:110]
	v_fma_f64 v[11:12], v[105:106], v[9:10], -v[11:12]
	v_mul_f64 v[105:106], v[105:106], v[109:110]
	v_add_f64 v[101:102], v[101:102], -v[11:12]
	v_fma_f64 v[105:106], v[107:108], v[9:10], v[105:106]
	v_mov_b32_e32 v11, v109
	v_mov_b32_e32 v12, v110
	v_add_f64 v[103:104], v[103:104], -v[105:106]
.LBB70_692:
	s_or_b64 exec, exec, s[0:1]
	v_lshl_add_u32 v105, v100, 4, v98
	s_barrier
	ds_write2_b64 v105, v[5:6], v[7:8] offset1:1
	s_waitcnt lgkmcnt(0)
	s_barrier
	ds_read2_b64 v[121:124], v98 offset0:66 offset1:67
	s_cmp_lt_i32 s3, 35
	v_mov_b32_e32 v105, 33
	s_cbranch_scc1 .LBB70_695
; %bb.693:
	v_add_u32_e32 v106, 0x220, v98
	s_mov_b32 s0, 34
	v_mov_b32_e32 v105, 33
.LBB70_694:                             ; =>This Inner Loop Header: Depth=1
	s_waitcnt lgkmcnt(0)
	v_cmp_gt_f64_e32 vcc, 0, v[121:122]
	v_xor_b32_e32 v111, 0x80000000, v122
	ds_read2_b64 v[107:110], v106 offset1:1
	v_xor_b32_e32 v113, 0x80000000, v124
	v_add_u32_e32 v106, 16, v106
	s_waitcnt lgkmcnt(0)
	v_xor_b32_e32 v115, 0x80000000, v110
	v_cndmask_b32_e32 v112, v122, v111, vcc
	v_cmp_gt_f64_e32 vcc, 0, v[123:124]
	v_mov_b32_e32 v111, v121
	v_cndmask_b32_e32 v114, v124, v113, vcc
	v_cmp_gt_f64_e32 vcc, 0, v[107:108]
	v_mov_b32_e32 v113, v123
	v_add_f64 v[111:112], v[111:112], v[113:114]
	v_xor_b32_e32 v113, 0x80000000, v108
	v_cndmask_b32_e32 v114, v108, v113, vcc
	v_cmp_gt_f64_e32 vcc, 0, v[109:110]
	v_mov_b32_e32 v113, v107
	v_cndmask_b32_e32 v116, v110, v115, vcc
	v_mov_b32_e32 v115, v109
	v_add_f64 v[113:114], v[113:114], v[115:116]
	v_cmp_lt_f64_e32 vcc, v[111:112], v[113:114]
	v_cndmask_b32_e32 v121, v121, v107, vcc
	v_mov_b32_e32 v107, s0
	s_add_i32 s0, s0, 1
	v_cndmask_b32_e32 v122, v122, v108, vcc
	v_cndmask_b32_e32 v124, v124, v110, vcc
	;; [unrolled: 1-line block ×4, first 2 shown]
	s_cmp_lg_u32 s3, s0
	s_cbranch_scc1 .LBB70_694
.LBB70_695:
	s_waitcnt lgkmcnt(0)
	v_cmp_eq_f64_e32 vcc, 0, v[121:122]
	v_cmp_eq_f64_e64 s[0:1], 0, v[123:124]
	s_and_b64 s[0:1], vcc, s[0:1]
	s_and_saveexec_b64 s[18:19], s[0:1]
	s_xor_b64 s[0:1], exec, s[18:19]
; %bb.696:
	v_cmp_ne_u32_e32 vcc, 0, v99
	v_cndmask_b32_e32 v99, 34, v99, vcc
; %bb.697:
	s_andn2_saveexec_b64 s[0:1], s[0:1]
	s_cbranch_execz .LBB70_703
; %bb.698:
	v_cmp_ngt_f64_e64 s[18:19], |v[121:122]|, |v[123:124]|
	s_and_saveexec_b64 s[20:21], s[18:19]
	s_xor_b64 s[18:19], exec, s[20:21]
	s_cbranch_execz .LBB70_700
; %bb.699:
	v_div_scale_f64 v[106:107], s[20:21], v[123:124], v[123:124], v[121:122]
	v_rcp_f64_e32 v[108:109], v[106:107]
	v_fma_f64 v[110:111], -v[106:107], v[108:109], 1.0
	v_fma_f64 v[108:109], v[108:109], v[110:111], v[108:109]
	v_div_scale_f64 v[110:111], vcc, v[121:122], v[123:124], v[121:122]
	v_fma_f64 v[112:113], -v[106:107], v[108:109], 1.0
	v_fma_f64 v[108:109], v[108:109], v[112:113], v[108:109]
	v_mul_f64 v[112:113], v[110:111], v[108:109]
	v_fma_f64 v[106:107], -v[106:107], v[112:113], v[110:111]
	v_div_fmas_f64 v[106:107], v[106:107], v[108:109], v[112:113]
	v_div_fixup_f64 v[106:107], v[106:107], v[123:124], v[121:122]
	v_fma_f64 v[108:109], v[121:122], v[106:107], v[123:124]
	v_div_scale_f64 v[110:111], s[20:21], v[108:109], v[108:109], 1.0
	v_div_scale_f64 v[116:117], vcc, 1.0, v[108:109], 1.0
	v_rcp_f64_e32 v[112:113], v[110:111]
	v_fma_f64 v[114:115], -v[110:111], v[112:113], 1.0
	v_fma_f64 v[112:113], v[112:113], v[114:115], v[112:113]
	v_fma_f64 v[114:115], -v[110:111], v[112:113], 1.0
	v_fma_f64 v[112:113], v[112:113], v[114:115], v[112:113]
	v_mul_f64 v[114:115], v[116:117], v[112:113]
	v_fma_f64 v[110:111], -v[110:111], v[114:115], v[116:117]
	v_div_fmas_f64 v[110:111], v[110:111], v[112:113], v[114:115]
	v_div_fixup_f64 v[123:124], v[110:111], v[108:109], 1.0
	v_mul_f64 v[121:122], v[106:107], v[123:124]
	v_xor_b32_e32 v124, 0x80000000, v124
.LBB70_700:
	s_andn2_saveexec_b64 s[18:19], s[18:19]
	s_cbranch_execz .LBB70_702
; %bb.701:
	v_div_scale_f64 v[106:107], s[20:21], v[121:122], v[121:122], v[123:124]
	v_rcp_f64_e32 v[108:109], v[106:107]
	v_fma_f64 v[110:111], -v[106:107], v[108:109], 1.0
	v_fma_f64 v[108:109], v[108:109], v[110:111], v[108:109]
	v_div_scale_f64 v[110:111], vcc, v[123:124], v[121:122], v[123:124]
	v_fma_f64 v[112:113], -v[106:107], v[108:109], 1.0
	v_fma_f64 v[108:109], v[108:109], v[112:113], v[108:109]
	v_mul_f64 v[112:113], v[110:111], v[108:109]
	v_fma_f64 v[106:107], -v[106:107], v[112:113], v[110:111]
	v_div_fmas_f64 v[106:107], v[106:107], v[108:109], v[112:113]
	v_div_fixup_f64 v[106:107], v[106:107], v[121:122], v[123:124]
	v_fma_f64 v[108:109], v[123:124], v[106:107], v[121:122]
	v_div_scale_f64 v[110:111], s[20:21], v[108:109], v[108:109], 1.0
	v_div_scale_f64 v[116:117], vcc, 1.0, v[108:109], 1.0
	v_rcp_f64_e32 v[112:113], v[110:111]
	v_fma_f64 v[114:115], -v[110:111], v[112:113], 1.0
	v_fma_f64 v[112:113], v[112:113], v[114:115], v[112:113]
	v_fma_f64 v[114:115], -v[110:111], v[112:113], 1.0
	v_fma_f64 v[112:113], v[112:113], v[114:115], v[112:113]
	v_mul_f64 v[114:115], v[116:117], v[112:113]
	v_fma_f64 v[110:111], -v[110:111], v[114:115], v[116:117]
	v_div_fmas_f64 v[110:111], v[110:111], v[112:113], v[114:115]
	v_div_fixup_f64 v[121:122], v[110:111], v[108:109], 1.0
	v_mul_f64 v[123:124], v[106:107], -v[121:122]
.LBB70_702:
	s_or_b64 exec, exec, s[18:19]
.LBB70_703:
	s_or_b64 exec, exec, s[0:1]
	v_cmp_ne_u32_e32 vcc, v100, v105
	s_and_saveexec_b64 s[0:1], vcc
	s_xor_b64 s[0:1], exec, s[0:1]
	s_cbranch_execz .LBB70_709
; %bb.704:
	v_cmp_eq_u32_e32 vcc, 33, v100
	s_and_saveexec_b64 s[18:19], vcc
	s_cbranch_execz .LBB70_708
; %bb.705:
	v_cmp_ne_u32_e32 vcc, 33, v105
	s_xor_b64 s[20:21], s[6:7], -1
	s_and_b64 s[22:23], s[20:21], vcc
	s_and_saveexec_b64 s[20:21], s[22:23]
	s_cbranch_execz .LBB70_707
; %bb.706:
	v_ashrrev_i32_e32 v106, 31, v105
	v_lshlrev_b64 v[106:107], 2, v[105:106]
	v_add_co_u32_e32 v106, vcc, v119, v106
	v_addc_co_u32_e32 v107, vcc, v120, v107, vcc
	global_load_dword v0, v[106:107], off
	global_load_dword v100, v[119:120], off offset:132
	s_waitcnt vmcnt(1)
	global_store_dword v[119:120], v0, off offset:132
	s_waitcnt vmcnt(1)
	global_store_dword v[106:107], v100, off
.LBB70_707:
	s_or_b64 exec, exec, s[20:21]
	v_mov_b32_e32 v100, v105
	v_mov_b32_e32 v0, v105
.LBB70_708:
	s_or_b64 exec, exec, s[18:19]
.LBB70_709:
	s_andn2_saveexec_b64 s[0:1], s[0:1]
	s_cbranch_execz .LBB70_711
; %bb.710:
	v_mov_b32_e32 v100, 33
	ds_write2_b64 v98, v[1:2], v[3:4] offset0:68 offset1:69
	ds_write2_b64 v98, v[101:102], v[103:104] offset0:70 offset1:71
.LBB70_711:
	s_or_b64 exec, exec, s[0:1]
	v_cmp_lt_i32_e32 vcc, 33, v100
	s_waitcnt vmcnt(0) lgkmcnt(0)
	s_barrier
	s_and_saveexec_b64 s[0:1], vcc
	s_cbranch_execz .LBB70_713
; %bb.712:
	v_mul_f64 v[105:106], v[121:122], v[7:8]
	v_mul_f64 v[7:8], v[123:124], v[7:8]
	v_fma_f64 v[109:110], v[123:124], v[5:6], v[105:106]
	ds_read2_b64 v[105:108], v98 offset0:68 offset1:69
	v_fma_f64 v[5:6], v[121:122], v[5:6], -v[7:8]
	s_waitcnt lgkmcnt(0)
	v_mul_f64 v[7:8], v[107:108], v[109:110]
	v_fma_f64 v[7:8], v[105:106], v[5:6], -v[7:8]
	v_mul_f64 v[105:106], v[105:106], v[109:110]
	v_add_f64 v[1:2], v[1:2], -v[7:8]
	v_fma_f64 v[105:106], v[107:108], v[5:6], v[105:106]
	v_add_f64 v[3:4], v[3:4], -v[105:106]
	ds_read2_b64 v[105:108], v98 offset0:70 offset1:71
	s_waitcnt lgkmcnt(0)
	v_mul_f64 v[7:8], v[107:108], v[109:110]
	v_fma_f64 v[7:8], v[105:106], v[5:6], -v[7:8]
	v_mul_f64 v[105:106], v[105:106], v[109:110]
	v_add_f64 v[101:102], v[101:102], -v[7:8]
	v_fma_f64 v[105:106], v[107:108], v[5:6], v[105:106]
	v_mov_b32_e32 v7, v109
	v_mov_b32_e32 v8, v110
	v_add_f64 v[103:104], v[103:104], -v[105:106]
.LBB70_713:
	s_or_b64 exec, exec, s[0:1]
	v_lshl_add_u32 v105, v100, 4, v98
	s_barrier
	ds_write2_b64 v105, v[1:2], v[3:4] offset1:1
	s_waitcnt lgkmcnt(0)
	s_barrier
	ds_read2_b64 v[121:124], v98 offset0:68 offset1:69
	s_cmp_lt_i32 s3, 36
	v_mov_b32_e32 v105, 34
	s_cbranch_scc1 .LBB70_716
; %bb.714:
	v_add_u32_e32 v106, 0x230, v98
	s_mov_b32 s0, 35
	v_mov_b32_e32 v105, 34
.LBB70_715:                             ; =>This Inner Loop Header: Depth=1
	s_waitcnt lgkmcnt(0)
	v_cmp_gt_f64_e32 vcc, 0, v[121:122]
	v_xor_b32_e32 v111, 0x80000000, v122
	ds_read2_b64 v[107:110], v106 offset1:1
	v_xor_b32_e32 v113, 0x80000000, v124
	v_add_u32_e32 v106, 16, v106
	s_waitcnt lgkmcnt(0)
	v_xor_b32_e32 v115, 0x80000000, v110
	v_cndmask_b32_e32 v112, v122, v111, vcc
	v_cmp_gt_f64_e32 vcc, 0, v[123:124]
	v_mov_b32_e32 v111, v121
	v_cndmask_b32_e32 v114, v124, v113, vcc
	v_cmp_gt_f64_e32 vcc, 0, v[107:108]
	v_mov_b32_e32 v113, v123
	v_add_f64 v[111:112], v[111:112], v[113:114]
	v_xor_b32_e32 v113, 0x80000000, v108
	v_cndmask_b32_e32 v114, v108, v113, vcc
	v_cmp_gt_f64_e32 vcc, 0, v[109:110]
	v_mov_b32_e32 v113, v107
	v_cndmask_b32_e32 v116, v110, v115, vcc
	v_mov_b32_e32 v115, v109
	v_add_f64 v[113:114], v[113:114], v[115:116]
	v_cmp_lt_f64_e32 vcc, v[111:112], v[113:114]
	v_cndmask_b32_e32 v121, v121, v107, vcc
	v_mov_b32_e32 v107, s0
	s_add_i32 s0, s0, 1
	v_cndmask_b32_e32 v122, v122, v108, vcc
	v_cndmask_b32_e32 v124, v124, v110, vcc
	;; [unrolled: 1-line block ×4, first 2 shown]
	s_cmp_lg_u32 s3, s0
	s_cbranch_scc1 .LBB70_715
.LBB70_716:
	s_waitcnt lgkmcnt(0)
	v_cmp_eq_f64_e32 vcc, 0, v[121:122]
	v_cmp_eq_f64_e64 s[0:1], 0, v[123:124]
	s_and_b64 s[0:1], vcc, s[0:1]
	s_and_saveexec_b64 s[18:19], s[0:1]
	s_xor_b64 s[0:1], exec, s[18:19]
; %bb.717:
	v_cmp_ne_u32_e32 vcc, 0, v99
	v_cndmask_b32_e32 v99, 35, v99, vcc
; %bb.718:
	s_andn2_saveexec_b64 s[0:1], s[0:1]
	s_cbranch_execz .LBB70_724
; %bb.719:
	v_cmp_ngt_f64_e64 s[18:19], |v[121:122]|, |v[123:124]|
	s_and_saveexec_b64 s[20:21], s[18:19]
	s_xor_b64 s[18:19], exec, s[20:21]
	s_cbranch_execz .LBB70_721
; %bb.720:
	v_div_scale_f64 v[106:107], s[20:21], v[123:124], v[123:124], v[121:122]
	v_rcp_f64_e32 v[108:109], v[106:107]
	v_fma_f64 v[110:111], -v[106:107], v[108:109], 1.0
	v_fma_f64 v[108:109], v[108:109], v[110:111], v[108:109]
	v_div_scale_f64 v[110:111], vcc, v[121:122], v[123:124], v[121:122]
	v_fma_f64 v[112:113], -v[106:107], v[108:109], 1.0
	v_fma_f64 v[108:109], v[108:109], v[112:113], v[108:109]
	v_mul_f64 v[112:113], v[110:111], v[108:109]
	v_fma_f64 v[106:107], -v[106:107], v[112:113], v[110:111]
	v_div_fmas_f64 v[106:107], v[106:107], v[108:109], v[112:113]
	v_div_fixup_f64 v[106:107], v[106:107], v[123:124], v[121:122]
	v_fma_f64 v[108:109], v[121:122], v[106:107], v[123:124]
	v_div_scale_f64 v[110:111], s[20:21], v[108:109], v[108:109], 1.0
	v_div_scale_f64 v[116:117], vcc, 1.0, v[108:109], 1.0
	v_rcp_f64_e32 v[112:113], v[110:111]
	v_fma_f64 v[114:115], -v[110:111], v[112:113], 1.0
	v_fma_f64 v[112:113], v[112:113], v[114:115], v[112:113]
	v_fma_f64 v[114:115], -v[110:111], v[112:113], 1.0
	v_fma_f64 v[112:113], v[112:113], v[114:115], v[112:113]
	v_mul_f64 v[114:115], v[116:117], v[112:113]
	v_fma_f64 v[110:111], -v[110:111], v[114:115], v[116:117]
	v_div_fmas_f64 v[110:111], v[110:111], v[112:113], v[114:115]
	v_div_fixup_f64 v[123:124], v[110:111], v[108:109], 1.0
	v_mul_f64 v[121:122], v[106:107], v[123:124]
	v_xor_b32_e32 v124, 0x80000000, v124
.LBB70_721:
	s_andn2_saveexec_b64 s[18:19], s[18:19]
	s_cbranch_execz .LBB70_723
; %bb.722:
	v_div_scale_f64 v[106:107], s[20:21], v[121:122], v[121:122], v[123:124]
	v_rcp_f64_e32 v[108:109], v[106:107]
	v_fma_f64 v[110:111], -v[106:107], v[108:109], 1.0
	v_fma_f64 v[108:109], v[108:109], v[110:111], v[108:109]
	v_div_scale_f64 v[110:111], vcc, v[123:124], v[121:122], v[123:124]
	v_fma_f64 v[112:113], -v[106:107], v[108:109], 1.0
	v_fma_f64 v[108:109], v[108:109], v[112:113], v[108:109]
	v_mul_f64 v[112:113], v[110:111], v[108:109]
	v_fma_f64 v[106:107], -v[106:107], v[112:113], v[110:111]
	v_div_fmas_f64 v[106:107], v[106:107], v[108:109], v[112:113]
	v_div_fixup_f64 v[106:107], v[106:107], v[121:122], v[123:124]
	v_fma_f64 v[108:109], v[123:124], v[106:107], v[121:122]
	v_div_scale_f64 v[110:111], s[20:21], v[108:109], v[108:109], 1.0
	v_div_scale_f64 v[116:117], vcc, 1.0, v[108:109], 1.0
	v_rcp_f64_e32 v[112:113], v[110:111]
	v_fma_f64 v[114:115], -v[110:111], v[112:113], 1.0
	v_fma_f64 v[112:113], v[112:113], v[114:115], v[112:113]
	v_fma_f64 v[114:115], -v[110:111], v[112:113], 1.0
	v_fma_f64 v[112:113], v[112:113], v[114:115], v[112:113]
	v_mul_f64 v[114:115], v[116:117], v[112:113]
	v_fma_f64 v[110:111], -v[110:111], v[114:115], v[116:117]
	v_div_fmas_f64 v[110:111], v[110:111], v[112:113], v[114:115]
	v_div_fixup_f64 v[121:122], v[110:111], v[108:109], 1.0
	v_mul_f64 v[123:124], v[106:107], -v[121:122]
.LBB70_723:
	s_or_b64 exec, exec, s[18:19]
.LBB70_724:
	s_or_b64 exec, exec, s[0:1]
	v_cmp_ne_u32_e32 vcc, v100, v105
	s_and_saveexec_b64 s[0:1], vcc
	s_xor_b64 s[0:1], exec, s[0:1]
	s_cbranch_execz .LBB70_730
; %bb.725:
	v_cmp_eq_u32_e32 vcc, 34, v100
	s_and_saveexec_b64 s[18:19], vcc
	s_cbranch_execz .LBB70_729
; %bb.726:
	v_cmp_ne_u32_e32 vcc, 34, v105
	s_xor_b64 s[20:21], s[6:7], -1
	s_and_b64 s[22:23], s[20:21], vcc
	s_and_saveexec_b64 s[20:21], s[22:23]
	s_cbranch_execz .LBB70_728
; %bb.727:
	v_ashrrev_i32_e32 v106, 31, v105
	v_lshlrev_b64 v[106:107], 2, v[105:106]
	v_add_co_u32_e32 v106, vcc, v119, v106
	v_addc_co_u32_e32 v107, vcc, v120, v107, vcc
	global_load_dword v0, v[106:107], off
	global_load_dword v100, v[119:120], off offset:136
	s_waitcnt vmcnt(1)
	global_store_dword v[119:120], v0, off offset:136
	s_waitcnt vmcnt(1)
	global_store_dword v[106:107], v100, off
.LBB70_728:
	s_or_b64 exec, exec, s[20:21]
	v_mov_b32_e32 v100, v105
	v_mov_b32_e32 v0, v105
.LBB70_729:
	s_or_b64 exec, exec, s[18:19]
.LBB70_730:
	s_andn2_saveexec_b64 s[0:1], s[0:1]
; %bb.731:
	v_mov_b32_e32 v100, 34
	ds_write2_b64 v98, v[101:102], v[103:104] offset0:70 offset1:71
; %bb.732:
	s_or_b64 exec, exec, s[0:1]
	v_cmp_lt_i32_e32 vcc, 34, v100
	s_waitcnt vmcnt(0) lgkmcnt(0)
	s_barrier
	s_and_saveexec_b64 s[0:1], vcc
	s_cbranch_execz .LBB70_734
; %bb.733:
	v_mul_f64 v[105:106], v[121:122], v[3:4]
	v_mul_f64 v[3:4], v[123:124], v[3:4]
	v_fma_f64 v[109:110], v[123:124], v[1:2], v[105:106]
	ds_read2_b64 v[105:108], v98 offset0:70 offset1:71
	v_fma_f64 v[1:2], v[121:122], v[1:2], -v[3:4]
	s_waitcnt lgkmcnt(0)
	v_mul_f64 v[3:4], v[107:108], v[109:110]
	v_fma_f64 v[3:4], v[105:106], v[1:2], -v[3:4]
	v_mul_f64 v[105:106], v[105:106], v[109:110]
	v_add_f64 v[101:102], v[101:102], -v[3:4]
	v_fma_f64 v[105:106], v[107:108], v[1:2], v[105:106]
	v_mov_b32_e32 v3, v109
	v_mov_b32_e32 v4, v110
	v_add_f64 v[103:104], v[103:104], -v[105:106]
.LBB70_734:
	s_or_b64 exec, exec, s[0:1]
	v_lshl_add_u32 v105, v100, 4, v98
	s_barrier
	ds_write2_b64 v105, v[101:102], v[103:104] offset1:1
	s_waitcnt lgkmcnt(0)
	s_barrier
	ds_read2_b64 v[121:124], v98 offset0:70 offset1:71
	s_cmp_lt_i32 s3, 37
	v_mov_b32_e32 v105, 35
	s_cbranch_scc1 .LBB70_737
; %bb.735:
	v_add_u32_e32 v98, 0x240, v98
	s_mov_b32 s0, 36
	v_mov_b32_e32 v105, 35
.LBB70_736:                             ; =>This Inner Loop Header: Depth=1
	s_waitcnt lgkmcnt(0)
	v_cmp_gt_f64_e32 vcc, 0, v[121:122]
	v_xor_b32_e32 v110, 0x80000000, v122
	ds_read2_b64 v[106:109], v98 offset1:1
	v_xor_b32_e32 v112, 0x80000000, v124
	v_add_u32_e32 v98, 16, v98
	s_waitcnt lgkmcnt(0)
	v_xor_b32_e32 v114, 0x80000000, v109
	v_cndmask_b32_e32 v111, v122, v110, vcc
	v_cmp_gt_f64_e32 vcc, 0, v[123:124]
	v_mov_b32_e32 v110, v121
	v_cndmask_b32_e32 v113, v124, v112, vcc
	v_cmp_gt_f64_e32 vcc, 0, v[106:107]
	v_mov_b32_e32 v112, v123
	v_add_f64 v[110:111], v[110:111], v[112:113]
	v_xor_b32_e32 v112, 0x80000000, v107
	v_cndmask_b32_e32 v113, v107, v112, vcc
	v_cmp_gt_f64_e32 vcc, 0, v[108:109]
	v_mov_b32_e32 v112, v106
	v_cndmask_b32_e32 v115, v109, v114, vcc
	v_mov_b32_e32 v114, v108
	v_add_f64 v[112:113], v[112:113], v[114:115]
	v_cmp_lt_f64_e32 vcc, v[110:111], v[112:113]
	v_cndmask_b32_e32 v121, v121, v106, vcc
	v_mov_b32_e32 v106, s0
	s_add_i32 s0, s0, 1
	v_cndmask_b32_e32 v122, v122, v107, vcc
	v_cndmask_b32_e32 v124, v124, v109, vcc
	;; [unrolled: 1-line block ×4, first 2 shown]
	s_cmp_lg_u32 s3, s0
	s_cbranch_scc1 .LBB70_736
.LBB70_737:
	s_waitcnt lgkmcnt(0)
	v_cmp_eq_f64_e32 vcc, 0, v[121:122]
	v_cmp_eq_f64_e64 s[0:1], 0, v[123:124]
	s_and_b64 s[0:1], vcc, s[0:1]
	s_and_saveexec_b64 s[18:19], s[0:1]
	s_xor_b64 s[0:1], exec, s[18:19]
; %bb.738:
	v_cmp_ne_u32_e32 vcc, 0, v99
	v_cndmask_b32_e32 v99, 36, v99, vcc
; %bb.739:
	s_andn2_saveexec_b64 s[0:1], s[0:1]
	s_cbranch_execz .LBB70_745
; %bb.740:
	v_cmp_ngt_f64_e64 s[18:19], |v[121:122]|, |v[123:124]|
	s_and_saveexec_b64 s[20:21], s[18:19]
	s_xor_b64 s[18:19], exec, s[20:21]
	s_cbranch_execz .LBB70_742
; %bb.741:
	v_div_scale_f64 v[106:107], s[20:21], v[123:124], v[123:124], v[121:122]
	v_rcp_f64_e32 v[108:109], v[106:107]
	v_fma_f64 v[110:111], -v[106:107], v[108:109], 1.0
	v_fma_f64 v[108:109], v[108:109], v[110:111], v[108:109]
	v_div_scale_f64 v[110:111], vcc, v[121:122], v[123:124], v[121:122]
	v_fma_f64 v[112:113], -v[106:107], v[108:109], 1.0
	v_fma_f64 v[108:109], v[108:109], v[112:113], v[108:109]
	v_mul_f64 v[112:113], v[110:111], v[108:109]
	v_fma_f64 v[106:107], -v[106:107], v[112:113], v[110:111]
	v_div_fmas_f64 v[106:107], v[106:107], v[108:109], v[112:113]
	v_div_fixup_f64 v[106:107], v[106:107], v[123:124], v[121:122]
	v_fma_f64 v[108:109], v[121:122], v[106:107], v[123:124]
	v_div_scale_f64 v[110:111], s[20:21], v[108:109], v[108:109], 1.0
	v_div_scale_f64 v[116:117], vcc, 1.0, v[108:109], 1.0
	v_rcp_f64_e32 v[112:113], v[110:111]
	v_fma_f64 v[114:115], -v[110:111], v[112:113], 1.0
	v_fma_f64 v[112:113], v[112:113], v[114:115], v[112:113]
	v_fma_f64 v[114:115], -v[110:111], v[112:113], 1.0
	v_fma_f64 v[112:113], v[112:113], v[114:115], v[112:113]
	v_mul_f64 v[114:115], v[116:117], v[112:113]
	v_fma_f64 v[110:111], -v[110:111], v[114:115], v[116:117]
	v_div_fmas_f64 v[110:111], v[110:111], v[112:113], v[114:115]
	v_div_fixup_f64 v[123:124], v[110:111], v[108:109], 1.0
	v_mul_f64 v[121:122], v[106:107], v[123:124]
	v_xor_b32_e32 v124, 0x80000000, v124
.LBB70_742:
	s_andn2_saveexec_b64 s[18:19], s[18:19]
	s_cbranch_execz .LBB70_744
; %bb.743:
	v_div_scale_f64 v[106:107], s[20:21], v[121:122], v[121:122], v[123:124]
	v_rcp_f64_e32 v[108:109], v[106:107]
	v_fma_f64 v[110:111], -v[106:107], v[108:109], 1.0
	v_fma_f64 v[108:109], v[108:109], v[110:111], v[108:109]
	v_div_scale_f64 v[110:111], vcc, v[123:124], v[121:122], v[123:124]
	v_fma_f64 v[112:113], -v[106:107], v[108:109], 1.0
	v_fma_f64 v[108:109], v[108:109], v[112:113], v[108:109]
	v_mul_f64 v[112:113], v[110:111], v[108:109]
	v_fma_f64 v[106:107], -v[106:107], v[112:113], v[110:111]
	v_div_fmas_f64 v[106:107], v[106:107], v[108:109], v[112:113]
	v_div_fixup_f64 v[106:107], v[106:107], v[121:122], v[123:124]
	v_fma_f64 v[108:109], v[123:124], v[106:107], v[121:122]
	v_div_scale_f64 v[110:111], s[20:21], v[108:109], v[108:109], 1.0
	v_div_scale_f64 v[116:117], vcc, 1.0, v[108:109], 1.0
	v_rcp_f64_e32 v[112:113], v[110:111]
	v_fma_f64 v[114:115], -v[110:111], v[112:113], 1.0
	v_fma_f64 v[112:113], v[112:113], v[114:115], v[112:113]
	v_fma_f64 v[114:115], -v[110:111], v[112:113], 1.0
	v_fma_f64 v[112:113], v[112:113], v[114:115], v[112:113]
	v_mul_f64 v[114:115], v[116:117], v[112:113]
	v_fma_f64 v[110:111], -v[110:111], v[114:115], v[116:117]
	v_div_fmas_f64 v[110:111], v[110:111], v[112:113], v[114:115]
	v_div_fixup_f64 v[121:122], v[110:111], v[108:109], 1.0
	v_mul_f64 v[123:124], v[106:107], -v[121:122]
.LBB70_744:
	s_or_b64 exec, exec, s[18:19]
.LBB70_745:
	s_or_b64 exec, exec, s[0:1]
	v_cmp_ne_u32_e32 vcc, v100, v105
	v_mov_b32_e32 v106, 35
	s_and_saveexec_b64 s[0:1], vcc
	s_cbranch_execz .LBB70_751
; %bb.746:
	v_cmp_eq_u32_e32 vcc, 35, v100
	s_and_saveexec_b64 s[18:19], vcc
	s_cbranch_execz .LBB70_750
; %bb.747:
	v_cmp_ne_u32_e32 vcc, 35, v105
	s_xor_b64 s[6:7], s[6:7], -1
	s_and_b64 s[20:21], s[6:7], vcc
	s_and_saveexec_b64 s[6:7], s[20:21]
	s_cbranch_execz .LBB70_749
; %bb.748:
	v_ashrrev_i32_e32 v106, 31, v105
	v_lshlrev_b64 v[106:107], 2, v[105:106]
	v_add_co_u32_e32 v106, vcc, v119, v106
	v_addc_co_u32_e32 v107, vcc, v120, v107, vcc
	global_load_dword v0, v[106:107], off
	global_load_dword v98, v[119:120], off offset:140
	s_waitcnt vmcnt(1)
	global_store_dword v[119:120], v0, off offset:140
	s_waitcnt vmcnt(1)
	global_store_dword v[106:107], v98, off
.LBB70_749:
	s_or_b64 exec, exec, s[6:7]
	v_mov_b32_e32 v100, v105
	v_mov_b32_e32 v0, v105
.LBB70_750:
	s_or_b64 exec, exec, s[18:19]
	v_mov_b32_e32 v106, v100
.LBB70_751:
	s_or_b64 exec, exec, s[0:1]
	v_cmp_gt_i32_e32 vcc, 36, v106
	v_ashrrev_i32_e32 v107, 31, v106
	s_waitcnt vmcnt(0)
	s_barrier
	s_barrier
	s_and_saveexec_b64 s[0:1], vcc
	s_cbranch_execz .LBB70_753
; %bb.752:
	buffer_load_dword v108, off, s[24:27], 0 offset:184 ; 4-byte Folded Reload
	buffer_load_dword v109, off, s[24:27], 0 offset:188 ; 4-byte Folded Reload
	v_add3_u32 v0, v0, s17, 1
	s_waitcnt vmcnt(1)
	v_mul_lo_u32 v98, s15, v108
	s_waitcnt vmcnt(0)
	v_mul_lo_u32 v100, s14, v109
	v_mad_u64_u32 v[108:109], s[6:7], s14, v108, 0
	s_lshl_b64 s[6:7], s[12:13], 2
	v_mov_b32_e32 v105, s7
	v_add3_u32 v109, v109, v100, v98
	v_lshlrev_b64 v[108:109], 2, v[108:109]
	v_mov_b32_e32 v98, s11
	v_add_co_u32_e32 v100, vcc, s10, v108
	v_addc_co_u32_e32 v98, vcc, v98, v109, vcc
	v_add_co_u32_e32 v100, vcc, s6, v100
	v_lshlrev_b64 v[108:109], 2, v[106:107]
	v_addc_co_u32_e32 v98, vcc, v98, v105, vcc
	v_add_co_u32_e32 v108, vcc, v100, v108
	v_addc_co_u32_e32 v109, vcc, v98, v109, vcc
	global_store_dword v[108:109], v0, off
.LBB70_753:
	s_or_b64 exec, exec, s[0:1]
	v_cmp_eq_u32_e32 vcc, 0, v106
	s_and_saveexec_b64 s[6:7], vcc
	s_cbranch_execz .LBB70_756
; %bb.754:
	buffer_load_dword v108, off, s[24:27], 0 offset:184 ; 4-byte Folded Reload
	buffer_load_dword v109, off, s[24:27], 0 offset:188 ; 4-byte Folded Reload
	v_mov_b32_e32 v0, s5
	v_cmp_ne_u32_e64 s[0:1], 0, v99
	s_waitcnt vmcnt(0)
	v_lshlrev_b64 v[108:109], 2, v[108:109]
	v_add_co_u32_e32 v108, vcc, s4, v108
	v_addc_co_u32_e32 v109, vcc, v0, v109, vcc
	global_load_dword v0, v[108:109], off
	s_waitcnt vmcnt(0)
	v_cmp_eq_u32_e32 vcc, 0, v0
	s_and_b64 s[0:1], vcc, s[0:1]
	s_and_b64 exec, exec, s[0:1]
	s_cbranch_execz .LBB70_756
; %bb.755:
	v_add_u32_e32 v0, s17, v99
	global_store_dword v[108:109], v0, off
.LBB70_756:
	s_or_b64 exec, exec, s[6:7]
	v_mul_f64 v[98:99], v[121:122], v[103:104]
	v_mul_f64 v[108:109], v[123:124], v[103:104]
	v_cmp_lt_i32_e32 vcc, 35, v106
	v_mov_b32_e32 v0, s9
	v_fma_f64 v[98:99], v[123:124], v[101:102], v[98:99]
	v_fma_f64 v[108:109], v[121:122], v[101:102], -v[108:109]
	v_cndmask_b32_e32 v104, v104, v99, vcc
	v_cndmask_b32_e32 v103, v103, v98, vcc
	;; [unrolled: 1-line block ×4, first 2 shown]
	v_lshlrev_b64 v[98:99], 4, v[106:107]
	buffer_load_dword v107, off, s[24:27], 0 offset:168 ; 4-byte Folded Reload
	buffer_load_dword v108, off, s[24:27], 0 offset:172 ; 4-byte Folded Reload
	;; [unrolled: 1-line block ×4, first 2 shown]
	v_add_co_u32_e32 v98, vcc, v127, v98
	v_addc_co_u32_e32 v99, vcc, v97, v99, vcc
	s_waitcnt vmcnt(0)
	global_store_dwordx4 v[98:99], v[107:110], off
	buffer_load_dword v107, off, s[24:27], 0 offset:144 ; 4-byte Folded Reload
	s_nop 0
	buffer_load_dword v108, off, s[24:27], 0 offset:148 ; 4-byte Folded Reload
	buffer_load_dword v109, off, s[24:27], 0 offset:152 ; 4-byte Folded Reload
	;; [unrolled: 1-line block ×3, first 2 shown]
	v_add_co_u32_e32 v98, vcc, s8, v98
	v_addc_co_u32_e32 v99, vcc, v99, v0, vcc
	s_waitcnt vmcnt(0)
	global_store_dwordx4 v[98:99], v[107:110], off
	v_add_u32_e32 v98, s16, v106
	buffer_load_dword v105, off, s[24:27], 0 offset:128 ; 4-byte Folded Reload
	buffer_load_dword v106, off, s[24:27], 0 offset:132 ; 4-byte Folded Reload
	;; [unrolled: 1-line block ×4, first 2 shown]
	v_ashrrev_i32_e32 v99, 31, v98
	v_lshlrev_b64 v[99:100], 4, v[98:99]
	v_add_u32_e32 v98, s2, v98
	v_add_co_u32_e32 v99, vcc, v127, v99
	v_addc_co_u32_e32 v100, vcc, v97, v100, vcc
	s_waitcnt vmcnt(0)
	global_store_dwordx4 v[99:100], v[105:108], off
	buffer_load_dword v105, off, s[24:27], 0 offset:112 ; 4-byte Folded Reload
	s_nop 0
	buffer_load_dword v106, off, s[24:27], 0 offset:116 ; 4-byte Folded Reload
	buffer_load_dword v107, off, s[24:27], 0 offset:120 ; 4-byte Folded Reload
	buffer_load_dword v108, off, s[24:27], 0 offset:124 ; 4-byte Folded Reload
	v_ashrrev_i32_e32 v99, 31, v98
	v_lshlrev_b64 v[99:100], 4, v[98:99]
	v_add_u32_e32 v98, s2, v98
	v_add_co_u32_e32 v99, vcc, v127, v99
	v_addc_co_u32_e32 v100, vcc, v97, v100, vcc
	s_waitcnt vmcnt(0)
	global_store_dwordx4 v[99:100], v[105:108], off
	buffer_load_dword v105, off, s[24:27], 0 offset:96 ; 4-byte Folded Reload
	s_nop 0
	buffer_load_dword v106, off, s[24:27], 0 offset:100 ; 4-byte Folded Reload
	buffer_load_dword v107, off, s[24:27], 0 offset:104 ; 4-byte Folded Reload
	buffer_load_dword v108, off, s[24:27], 0 offset:108 ; 4-byte Folded Reload
	;; [unrolled: 12-line block ×7, first 2 shown]
	v_ashrrev_i32_e32 v99, 31, v98
	v_lshlrev_b64 v[99:100], 4, v[98:99]
	v_add_u32_e32 v98, s2, v98
	v_add_co_u32_e32 v99, vcc, v127, v99
	v_addc_co_u32_e32 v100, vcc, v97, v100, vcc
	s_waitcnt vmcnt(0)
	global_store_dwordx4 v[99:100], v[105:108], off
	buffer_load_dword v105, off, s[24:27], 0 ; 4-byte Folded Reload
	s_nop 0
	buffer_load_dword v106, off, s[24:27], 0 offset:4 ; 4-byte Folded Reload
	buffer_load_dword v107, off, s[24:27], 0 offset:8 ; 4-byte Folded Reload
	;; [unrolled: 1-line block ×3, first 2 shown]
	v_ashrrev_i32_e32 v99, 31, v98
	v_lshlrev_b64 v[99:100], 4, v[98:99]
	v_add_u32_e32 v98, s2, v98
	v_add_co_u32_e32 v99, vcc, v127, v99
	v_addc_co_u32_e32 v100, vcc, v97, v100, vcc
	s_waitcnt vmcnt(0)
	global_store_dwordx4 v[99:100], v[105:108], off
	v_ashrrev_i32_e32 v99, 31, v98
	v_lshlrev_b64 v[99:100], 4, v[98:99]
	v_add_co_u32_e32 v99, vcc, v127, v99
	v_addc_co_u32_e32 v100, vcc, v97, v100, vcc
	global_store_dwordx4 v[99:100], v[93:96], off
	s_nop 0
	v_add_u32_e32 v93, s2, v98
	v_ashrrev_i32_e32 v94, 31, v93
	v_lshlrev_b64 v[94:95], 4, v[93:94]
	v_add_co_u32_e32 v94, vcc, v127, v94
	v_addc_co_u32_e32 v95, vcc, v97, v95, vcc
	global_store_dwordx4 v[94:95], v[89:92], off
	s_nop 0
	v_add_u32_e32 v89, s2, v93
	v_ashrrev_i32_e32 v90, 31, v89
	v_lshlrev_b64 v[90:91], 4, v[89:90]
	v_add_co_u32_e32 v90, vcc, v127, v90
	v_addc_co_u32_e32 v91, vcc, v97, v91, vcc
	global_store_dwordx4 v[90:91], v[85:88], off
	s_nop 0
	v_add_u32_e32 v85, s2, v89
	v_ashrrev_i32_e32 v86, 31, v85
	v_lshlrev_b64 v[86:87], 4, v[85:86]
	v_add_co_u32_e32 v86, vcc, v127, v86
	v_addc_co_u32_e32 v87, vcc, v97, v87, vcc
	global_store_dwordx4 v[86:87], v[81:84], off
	s_nop 0
	v_add_u32_e32 v81, s2, v85
	v_ashrrev_i32_e32 v82, 31, v81
	v_lshlrev_b64 v[82:83], 4, v[81:82]
	v_add_co_u32_e32 v82, vcc, v127, v82
	v_addc_co_u32_e32 v83, vcc, v97, v83, vcc
	global_store_dwordx4 v[82:83], v[77:80], off
	s_nop 0
	v_add_u32_e32 v77, s2, v81
	v_ashrrev_i32_e32 v78, 31, v77
	v_lshlrev_b64 v[78:79], 4, v[77:78]
	v_add_co_u32_e32 v78, vcc, v127, v78
	v_addc_co_u32_e32 v79, vcc, v97, v79, vcc
	global_store_dwordx4 v[78:79], v[73:76], off
	s_nop 0
	v_add_u32_e32 v73, s2, v77
	v_ashrrev_i32_e32 v74, 31, v73
	v_lshlrev_b64 v[74:75], 4, v[73:74]
	v_add_co_u32_e32 v74, vcc, v127, v74
	v_addc_co_u32_e32 v75, vcc, v97, v75, vcc
	global_store_dwordx4 v[74:75], v[69:72], off
	s_nop 0
	v_add_u32_e32 v69, s2, v73
	v_ashrrev_i32_e32 v70, 31, v69
	v_lshlrev_b64 v[70:71], 4, v[69:70]
	v_add_co_u32_e32 v70, vcc, v127, v70
	v_addc_co_u32_e32 v71, vcc, v97, v71, vcc
	global_store_dwordx4 v[70:71], v[65:68], off
	s_nop 0
	v_add_u32_e32 v65, s2, v69
	v_ashrrev_i32_e32 v66, 31, v65
	v_lshlrev_b64 v[66:67], 4, v[65:66]
	v_add_co_u32_e32 v66, vcc, v127, v66
	v_addc_co_u32_e32 v67, vcc, v97, v67, vcc
	global_store_dwordx4 v[66:67], v[61:64], off
	s_nop 0
	v_add_u32_e32 v61, s2, v65
	v_ashrrev_i32_e32 v62, 31, v61
	v_lshlrev_b64 v[62:63], 4, v[61:62]
	v_add_co_u32_e32 v62, vcc, v127, v62
	v_addc_co_u32_e32 v63, vcc, v97, v63, vcc
	global_store_dwordx4 v[62:63], v[57:60], off
	s_nop 0
	v_add_u32_e32 v57, s2, v61
	v_ashrrev_i32_e32 v58, 31, v57
	v_lshlrev_b64 v[58:59], 4, v[57:58]
	v_add_co_u32_e32 v58, vcc, v127, v58
	v_addc_co_u32_e32 v59, vcc, v97, v59, vcc
	global_store_dwordx4 v[58:59], v[53:56], off
	s_nop 0
	v_add_u32_e32 v53, s2, v57
	v_ashrrev_i32_e32 v54, 31, v53
	v_lshlrev_b64 v[54:55], 4, v[53:54]
	v_add_co_u32_e32 v54, vcc, v127, v54
	v_addc_co_u32_e32 v55, vcc, v97, v55, vcc
	global_store_dwordx4 v[54:55], v[49:52], off
	s_nop 0
	v_add_u32_e32 v49, s2, v53
	v_ashrrev_i32_e32 v50, 31, v49
	v_lshlrev_b64 v[50:51], 4, v[49:50]
	v_add_co_u32_e32 v50, vcc, v127, v50
	v_addc_co_u32_e32 v51, vcc, v97, v51, vcc
	global_store_dwordx4 v[50:51], v[45:48], off
	s_nop 0
	v_add_u32_e32 v45, s2, v49
	v_ashrrev_i32_e32 v46, 31, v45
	v_lshlrev_b64 v[46:47], 4, v[45:46]
	v_add_co_u32_e32 v46, vcc, v127, v46
	v_addc_co_u32_e32 v47, vcc, v97, v47, vcc
	global_store_dwordx4 v[46:47], v[41:44], off
	s_nop 0
	v_add_u32_e32 v41, s2, v45
	v_ashrrev_i32_e32 v42, 31, v41
	v_lshlrev_b64 v[42:43], 4, v[41:42]
	v_add_co_u32_e32 v42, vcc, v127, v42
	v_addc_co_u32_e32 v43, vcc, v97, v43, vcc
	global_store_dwordx4 v[42:43], v[37:40], off
	s_nop 0
	v_add_u32_e32 v37, s2, v41
	v_ashrrev_i32_e32 v38, 31, v37
	v_lshlrev_b64 v[38:39], 4, v[37:38]
	v_add_co_u32_e32 v38, vcc, v127, v38
	v_addc_co_u32_e32 v39, vcc, v97, v39, vcc
	global_store_dwordx4 v[38:39], v[33:36], off
	s_nop 0
	v_add_u32_e32 v33, s2, v37
	v_ashrrev_i32_e32 v34, 31, v33
	v_lshlrev_b64 v[34:35], 4, v[33:34]
	v_add_co_u32_e32 v34, vcc, v127, v34
	v_addc_co_u32_e32 v35, vcc, v97, v35, vcc
	global_store_dwordx4 v[34:35], v[29:32], off
	s_nop 0
	v_add_u32_e32 v29, s2, v33
	v_ashrrev_i32_e32 v30, 31, v29
	v_lshlrev_b64 v[30:31], 4, v[29:30]
	v_add_co_u32_e32 v30, vcc, v127, v30
	v_addc_co_u32_e32 v31, vcc, v97, v31, vcc
	global_store_dwordx4 v[30:31], v[25:28], off
	s_nop 0
	v_add_u32_e32 v25, s2, v29
	v_ashrrev_i32_e32 v26, 31, v25
	v_lshlrev_b64 v[26:27], 4, v[25:26]
	v_add_co_u32_e32 v26, vcc, v127, v26
	v_addc_co_u32_e32 v27, vcc, v97, v27, vcc
	global_store_dwordx4 v[26:27], v[21:24], off
	s_nop 0
	v_add_u32_e32 v21, s2, v25
	v_ashrrev_i32_e32 v22, 31, v21
	v_lshlrev_b64 v[22:23], 4, v[21:22]
	v_add_co_u32_e32 v22, vcc, v127, v22
	v_addc_co_u32_e32 v23, vcc, v97, v23, vcc
	global_store_dwordx4 v[22:23], v[17:20], off
	s_nop 0
	v_add_u32_e32 v17, s2, v21
	v_ashrrev_i32_e32 v18, 31, v17
	v_lshlrev_b64 v[18:19], 4, v[17:18]
	v_add_co_u32_e32 v18, vcc, v127, v18
	v_addc_co_u32_e32 v19, vcc, v97, v19, vcc
	global_store_dwordx4 v[18:19], v[13:16], off
	s_nop 0
	v_add_u32_e32 v13, s2, v17
	v_ashrrev_i32_e32 v14, 31, v13
	v_lshlrev_b64 v[14:15], 4, v[13:14]
	v_add_co_u32_e32 v14, vcc, v127, v14
	v_addc_co_u32_e32 v15, vcc, v97, v15, vcc
	global_store_dwordx4 v[14:15], v[9:12], off
	s_nop 0
	v_add_u32_e32 v9, s2, v13
	v_ashrrev_i32_e32 v10, 31, v9
	v_lshlrev_b64 v[10:11], 4, v[9:10]
	v_add_co_u32_e32 v10, vcc, v127, v10
	v_addc_co_u32_e32 v11, vcc, v97, v11, vcc
	global_store_dwordx4 v[10:11], v[5:8], off
	s_nop 0
	v_add_u32_e32 v5, s2, v9
	v_ashrrev_i32_e32 v6, 31, v5
	v_lshlrev_b64 v[6:7], 4, v[5:6]
	v_add_u32_e32 v0, s2, v5
	v_add_co_u32_e32 v6, vcc, v127, v6
	v_addc_co_u32_e32 v7, vcc, v97, v7, vcc
	global_store_dwordx4 v[6:7], v[1:4], off
	s_nop 0
	v_ashrrev_i32_e32 v1, 31, v0
	v_lshlrev_b64 v[0:1], 4, v[0:1]
	v_add_co_u32_e32 v0, vcc, v127, v0
	v_addc_co_u32_e32 v1, vcc, v97, v1, vcc
	global_store_dwordx4 v[0:1], v[101:104], off
.LBB70_757:
	s_endpgm
	.section	.rodata,"a",@progbits
	.p2align	6, 0x0
	.amdhsa_kernel _ZN9rocsolver6v33100L18getf2_small_kernelILi36E19rocblas_complex_numIdEiiPS3_EEvT1_T3_lS5_lPS5_llPT2_S5_S5_S7_l
		.amdhsa_group_segment_fixed_size 0
		.amdhsa_private_segment_fixed_size 196
		.amdhsa_kernarg_size 352
		.amdhsa_user_sgpr_count 6
		.amdhsa_user_sgpr_private_segment_buffer 1
		.amdhsa_user_sgpr_dispatch_ptr 0
		.amdhsa_user_sgpr_queue_ptr 0
		.amdhsa_user_sgpr_kernarg_segment_ptr 1
		.amdhsa_user_sgpr_dispatch_id 0
		.amdhsa_user_sgpr_flat_scratch_init 0
		.amdhsa_user_sgpr_private_segment_size 0
		.amdhsa_uses_dynamic_stack 0
		.amdhsa_system_sgpr_private_segment_wavefront_offset 1
		.amdhsa_system_sgpr_workgroup_id_x 1
		.amdhsa_system_sgpr_workgroup_id_y 1
		.amdhsa_system_sgpr_workgroup_id_z 0
		.amdhsa_system_sgpr_workgroup_info 0
		.amdhsa_system_vgpr_workitem_id 1
		.amdhsa_next_free_vgpr 128
		.amdhsa_next_free_sgpr 28
		.amdhsa_reserve_vcc 1
		.amdhsa_reserve_flat_scratch 0
		.amdhsa_float_round_mode_32 0
		.amdhsa_float_round_mode_16_64 0
		.amdhsa_float_denorm_mode_32 3
		.amdhsa_float_denorm_mode_16_64 3
		.amdhsa_dx10_clamp 1
		.amdhsa_ieee_mode 1
		.amdhsa_fp16_overflow 0
		.amdhsa_exception_fp_ieee_invalid_op 0
		.amdhsa_exception_fp_denorm_src 0
		.amdhsa_exception_fp_ieee_div_zero 0
		.amdhsa_exception_fp_ieee_overflow 0
		.amdhsa_exception_fp_ieee_underflow 0
		.amdhsa_exception_fp_ieee_inexact 0
		.amdhsa_exception_int_div_zero 0
	.end_amdhsa_kernel
	.section	.text._ZN9rocsolver6v33100L18getf2_small_kernelILi36E19rocblas_complex_numIdEiiPS3_EEvT1_T3_lS5_lPS5_llPT2_S5_S5_S7_l,"axG",@progbits,_ZN9rocsolver6v33100L18getf2_small_kernelILi36E19rocblas_complex_numIdEiiPS3_EEvT1_T3_lS5_lPS5_llPT2_S5_S5_S7_l,comdat
.Lfunc_end70:
	.size	_ZN9rocsolver6v33100L18getf2_small_kernelILi36E19rocblas_complex_numIdEiiPS3_EEvT1_T3_lS5_lPS5_llPT2_S5_S5_S7_l, .Lfunc_end70-_ZN9rocsolver6v33100L18getf2_small_kernelILi36E19rocblas_complex_numIdEiiPS3_EEvT1_T3_lS5_lPS5_llPT2_S5_S5_S7_l
                                        ; -- End function
	.set _ZN9rocsolver6v33100L18getf2_small_kernelILi36E19rocblas_complex_numIdEiiPS3_EEvT1_T3_lS5_lPS5_llPT2_S5_S5_S7_l.num_vgpr, 128
	.set _ZN9rocsolver6v33100L18getf2_small_kernelILi36E19rocblas_complex_numIdEiiPS3_EEvT1_T3_lS5_lPS5_llPT2_S5_S5_S7_l.num_agpr, 0
	.set _ZN9rocsolver6v33100L18getf2_small_kernelILi36E19rocblas_complex_numIdEiiPS3_EEvT1_T3_lS5_lPS5_llPT2_S5_S5_S7_l.numbered_sgpr, 28
	.set _ZN9rocsolver6v33100L18getf2_small_kernelILi36E19rocblas_complex_numIdEiiPS3_EEvT1_T3_lS5_lPS5_llPT2_S5_S5_S7_l.num_named_barrier, 0
	.set _ZN9rocsolver6v33100L18getf2_small_kernelILi36E19rocblas_complex_numIdEiiPS3_EEvT1_T3_lS5_lPS5_llPT2_S5_S5_S7_l.private_seg_size, 196
	.set _ZN9rocsolver6v33100L18getf2_small_kernelILi36E19rocblas_complex_numIdEiiPS3_EEvT1_T3_lS5_lPS5_llPT2_S5_S5_S7_l.uses_vcc, 1
	.set _ZN9rocsolver6v33100L18getf2_small_kernelILi36E19rocblas_complex_numIdEiiPS3_EEvT1_T3_lS5_lPS5_llPT2_S5_S5_S7_l.uses_flat_scratch, 0
	.set _ZN9rocsolver6v33100L18getf2_small_kernelILi36E19rocblas_complex_numIdEiiPS3_EEvT1_T3_lS5_lPS5_llPT2_S5_S5_S7_l.has_dyn_sized_stack, 0
	.set _ZN9rocsolver6v33100L18getf2_small_kernelILi36E19rocblas_complex_numIdEiiPS3_EEvT1_T3_lS5_lPS5_llPT2_S5_S5_S7_l.has_recursion, 0
	.set _ZN9rocsolver6v33100L18getf2_small_kernelILi36E19rocblas_complex_numIdEiiPS3_EEvT1_T3_lS5_lPS5_llPT2_S5_S5_S7_l.has_indirect_call, 0
	.section	.AMDGPU.csdata,"",@progbits
; Kernel info:
; codeLenInByte = 85792
; TotalNumSgprs: 32
; NumVgprs: 128
; ScratchSize: 196
; MemoryBound: 0
; FloatMode: 240
; IeeeMode: 1
; LDSByteSize: 0 bytes/workgroup (compile time only)
; SGPRBlocks: 3
; VGPRBlocks: 31
; NumSGPRsForWavesPerEU: 32
; NumVGPRsForWavesPerEU: 128
; Occupancy: 2
; WaveLimiterHint : 0
; COMPUTE_PGM_RSRC2:SCRATCH_EN: 1
; COMPUTE_PGM_RSRC2:USER_SGPR: 6
; COMPUTE_PGM_RSRC2:TRAP_HANDLER: 0
; COMPUTE_PGM_RSRC2:TGID_X_EN: 1
; COMPUTE_PGM_RSRC2:TGID_Y_EN: 1
; COMPUTE_PGM_RSRC2:TGID_Z_EN: 0
; COMPUTE_PGM_RSRC2:TIDIG_COMP_CNT: 1
	.section	.text._ZN9rocsolver6v33100L23getf2_npvt_small_kernelILi36E19rocblas_complex_numIdEiiPS3_EEvT1_T3_lS5_lPT2_S5_S5_,"axG",@progbits,_ZN9rocsolver6v33100L23getf2_npvt_small_kernelILi36E19rocblas_complex_numIdEiiPS3_EEvT1_T3_lS5_lPT2_S5_S5_,comdat
	.globl	_ZN9rocsolver6v33100L23getf2_npvt_small_kernelILi36E19rocblas_complex_numIdEiiPS3_EEvT1_T3_lS5_lPT2_S5_S5_ ; -- Begin function _ZN9rocsolver6v33100L23getf2_npvt_small_kernelILi36E19rocblas_complex_numIdEiiPS3_EEvT1_T3_lS5_lPT2_S5_S5_
	.p2align	8
	.type	_ZN9rocsolver6v33100L23getf2_npvt_small_kernelILi36E19rocblas_complex_numIdEiiPS3_EEvT1_T3_lS5_lPT2_S5_S5_,@function
_ZN9rocsolver6v33100L23getf2_npvt_small_kernelILi36E19rocblas_complex_numIdEiiPS3_EEvT1_T3_lS5_lPT2_S5_S5_: ; @_ZN9rocsolver6v33100L23getf2_npvt_small_kernelILi36E19rocblas_complex_numIdEiiPS3_EEvT1_T3_lS5_lPT2_S5_S5_
; %bb.0:
	s_mov_b64 s[22:23], s[2:3]
	s_mov_b64 s[20:21], s[0:1]
	s_load_dword s0, s[4:5], 0x44
	s_load_dwordx2 s[12:13], s[4:5], 0x30
	s_add_u32 s20, s20, s8
	s_addc_u32 s21, s21, 0
	s_waitcnt lgkmcnt(0)
	s_lshr_b32 s2, s0, 16
	s_mul_i32 s7, s7, s2
	v_add_u32_e32 v3, s7, v1
	v_mov_b32_e32 v2, v3
	v_cmp_gt_i32_e32 vcc, s12, v3
	s_and_saveexec_b64 s[0:1], vcc
	s_cbranch_execz .LBB71_327
; %bb.1:
	s_load_dwordx4 s[8:11], s[4:5], 0x20
	s_load_dwordx4 s[16:19], s[4:5], 0x8
	v_ashrrev_i32_e32 v3, 31, v2
	s_mulk_i32 s2, 0x240
	s_waitcnt lgkmcnt(0)
	v_mul_lo_u32 v4, s9, v2
	v_mul_lo_u32 v5, s8, v3
	buffer_store_dword v2, off, s[20:23], 0 offset:976 ; 4-byte Folded Spill
	s_nop 0
	buffer_store_dword v3, off, s[20:23], 0 offset:980 ; 4-byte Folded Spill
	v_mov_b32_e32 v6, s17
	v_mad_u64_u32 v[2:3], s[0:1], s8, v2, 0
	s_load_dword s0, s[4:5], 0x18
	s_lshl_b64 s[4:5], s[18:19], 4
	v_add3_u32 v3, v3, v5, v4
	v_lshlrev_b64 v[2:3], 4, v[2:3]
	v_mov_b32_e32 v4, s5
	v_add_co_u32_e32 v2, vcc, s16, v2
	v_addc_co_u32_e32 v3, vcc, v6, v3, vcc
	v_add_co_u32_e32 v2, vcc, s4, v2
	s_waitcnt lgkmcnt(0)
	s_add_i32 s1, s0, s0
	v_addc_co_u32_e32 v3, vcc, v3, v4, vcc
	v_add_u32_e32 v4, s1, v0
	v_ashrrev_i32_e32 v5, 31, v4
	v_lshlrev_b64 v[5:6], 4, v[4:5]
	v_add_u32_e32 v4, s0, v4
	v_add_co_u32_e32 v49, vcc, v2, v5
	v_ashrrev_i32_e32 v5, 31, v4
	v_addc_co_u32_e32 v50, vcc, v3, v6, vcc
	v_lshlrev_b64 v[5:6], 4, v[4:5]
	v_add_u32_e32 v4, s0, v4
	v_add_co_u32_e32 v7, vcc, v2, v5
	v_ashrrev_i32_e32 v5, 31, v4
	v_addc_co_u32_e32 v8, vcc, v3, v6, vcc
	;; [unrolled: 5-line block ×32, first 2 shown]
	v_lshlrev_b64 v[5:6], 4, v[4:5]
	v_add_u32_e32 v4, s0, v4
	v_add_co_u32_e32 v109, vcc, v2, v5
	v_ashrrev_i32_e32 v5, 31, v4
	v_lshlrev_b64 v[4:5], 4, v[4:5]
	v_addc_co_u32_e32 v110, vcc, v3, v6, vcc
	v_add_co_u32_e32 v111, vcc, v2, v4
	v_addc_co_u32_e32 v112, vcc, v3, v5, vcc
	v_lshlrev_b32_e32 v4, 4, v0
	v_add_co_u32_e32 v4, vcc, v2, v4
	s_ashr_i32 s1, s0, 31
	v_addc_co_u32_e32 v5, vcc, 0, v3, vcc
	s_lshl_b64 s[0:1], s[0:1], 4
	v_mov_b32_e32 v2, s1
	v_add_co_u32_e32 v51, vcc, s0, v4
	v_addc_co_u32_e32 v52, vcc, v5, v2, vcc
	buffer_store_dword v4, off, s[20:23], 0 offset:496 ; 4-byte Folded Spill
	s_nop 0
	buffer_store_dword v5, off, s[20:23], 0 offset:500 ; 4-byte Folded Spill
	s_movk_i32 s0, 0x240
	s_add_i32 s1, s2, 0
	v_mad_u32_u24 v125, v1, s0, 0
	v_lshl_add_u32 v127, v1, 4, s1
	v_cmp_ne_u32_e64 s[2:3], 0, v0
	v_cmp_eq_u32_e64 s[0:1], 0, v0
	global_load_dwordx4 v[1:4], v[4:5], off
	s_waitcnt vmcnt(0)
	buffer_store_dword v1, off, s[20:23], 0 offset:160 ; 4-byte Folded Spill
	s_nop 0
	buffer_store_dword v2, off, s[20:23], 0 offset:164 ; 4-byte Folded Spill
	buffer_store_dword v3, off, s[20:23], 0 offset:168 ; 4-byte Folded Spill
	buffer_store_dword v4, off, s[20:23], 0 offset:172 ; 4-byte Folded Spill
	buffer_store_dword v51, off, s[20:23], 0 offset:504 ; 4-byte Folded Spill
	s_nop 0
	buffer_store_dword v52, off, s[20:23], 0 offset:508 ; 4-byte Folded Spill
	global_load_dwordx4 v[1:4], v[51:52], off
	s_waitcnt vmcnt(0)
	buffer_store_dword v1, off, s[20:23], 0 offset:144 ; 4-byte Folded Spill
	s_nop 0
	buffer_store_dword v2, off, s[20:23], 0 offset:148 ; 4-byte Folded Spill
	buffer_store_dword v3, off, s[20:23], 0 offset:152 ; 4-byte Folded Spill
	buffer_store_dword v4, off, s[20:23], 0 offset:156 ; 4-byte Folded Spill
	buffer_store_dword v49, off, s[20:23], 0 offset:472 ; 4-byte Folded Spill
	s_nop 0
	buffer_store_dword v50, off, s[20:23], 0 offset:476 ; 4-byte Folded Spill
	;; [unrolled: 10-line block ×6, first 2 shown]
	global_load_dwordx4 v[73:76], v[11:12], off
	s_nop 0
	buffer_store_dword v13, off, s[20:23], 0 offset:216 ; 4-byte Folded Spill
	s_nop 0
	buffer_store_dword v14, off, s[20:23], 0 offset:220 ; 4-byte Folded Spill
	global_load_dwordx4 v[77:80], v[13:14], off
	s_nop 0
	buffer_store_dword v15, off, s[20:23], 0 offset:224 ; 4-byte Folded Spill
	s_nop 0
	buffer_store_dword v16, off, s[20:23], 0 offset:228 ; 4-byte Folded Spill
	global_load_dwordx4 v[1:4], v[15:16], off
	s_waitcnt vmcnt(0)
	buffer_store_dword v1, off, s[20:23], 0 offset:64 ; 4-byte Folded Spill
	s_nop 0
	buffer_store_dword v2, off, s[20:23], 0 offset:68 ; 4-byte Folded Spill
	buffer_store_dword v3, off, s[20:23], 0 offset:72 ; 4-byte Folded Spill
	buffer_store_dword v4, off, s[20:23], 0 offset:76 ; 4-byte Folded Spill
	buffer_store_dword v17, off, s[20:23], 0 offset:232 ; 4-byte Folded Spill
	s_nop 0
	buffer_store_dword v18, off, s[20:23], 0 offset:236 ; 4-byte Folded Spill
	global_load_dwordx4 v[113:116], v[17:18], off
	s_nop 0
	buffer_store_dword v19, off, s[20:23], 0 offset:240 ; 4-byte Folded Spill
	s_nop 0
	buffer_store_dword v20, off, s[20:23], 0 offset:244 ; 4-byte Folded Spill
	global_load_dwordx4 v[1:4], v[19:20], off
	s_waitcnt vmcnt(0)
	buffer_store_dword v1, off, s[20:23], 0 offset:48 ; 4-byte Folded Spill
	s_nop 0
	buffer_store_dword v2, off, s[20:23], 0 offset:52 ; 4-byte Folded Spill
	buffer_store_dword v3, off, s[20:23], 0 offset:56 ; 4-byte Folded Spill
	;; [unrolled: 1-line block ×4, first 2 shown]
	s_nop 0
	buffer_store_dword v22, off, s[20:23], 0 offset:252 ; 4-byte Folded Spill
	global_load_dwordx4 v[121:124], v[21:22], off
	s_nop 0
	buffer_store_dword v23, off, s[20:23], 0 offset:256 ; 4-byte Folded Spill
	s_nop 0
	buffer_store_dword v24, off, s[20:23], 0 offset:260 ; 4-byte Folded Spill
	global_load_dwordx4 v[117:120], v[23:24], off
	s_nop 0
	buffer_store_dword v25, off, s[20:23], 0 offset:264 ; 4-byte Folded Spill
	s_nop 0
	buffer_store_dword v26, off, s[20:23], 0 offset:268 ; 4-byte Folded Spill
	global_load_dwordx4 v[1:4], v[25:26], off
	s_waitcnt vmcnt(0)
	buffer_store_dword v1, off, s[20:23], 0 offset:32 ; 4-byte Folded Spill
	s_nop 0
	buffer_store_dword v2, off, s[20:23], 0 offset:36 ; 4-byte Folded Spill
	buffer_store_dword v3, off, s[20:23], 0 offset:40 ; 4-byte Folded Spill
	;; [unrolled: 1-line block ×4, first 2 shown]
	s_nop 0
	buffer_store_dword v28, off, s[20:23], 0 offset:276 ; 4-byte Folded Spill
	global_load_dwordx4 v[1:4], v[27:28], off
	s_nop 0
	buffer_store_dword v29, off, s[20:23], 0 offset:280 ; 4-byte Folded Spill
	s_nop 0
	buffer_store_dword v30, off, s[20:23], 0 offset:284 ; 4-byte Folded Spill
	global_load_dwordx4 v[5:8], v[29:30], off
	s_waitcnt vmcnt(0)
	buffer_store_dword v5, off, s[20:23], 0 offset:16 ; 4-byte Folded Spill
	s_nop 0
	buffer_store_dword v6, off, s[20:23], 0 offset:20 ; 4-byte Folded Spill
	buffer_store_dword v7, off, s[20:23], 0 offset:24 ; 4-byte Folded Spill
	;; [unrolled: 1-line block ×4, first 2 shown]
	s_nop 0
	buffer_store_dword v32, off, s[20:23], 0 offset:292 ; 4-byte Folded Spill
	global_load_dwordx4 v[5:8], v[31:32], off
	s_waitcnt vmcnt(0)
	buffer_store_dword v5, off, s[20:23], 0 ; 4-byte Folded Spill
	s_nop 0
	buffer_store_dword v6, off, s[20:23], 0 offset:4 ; 4-byte Folded Spill
	buffer_store_dword v7, off, s[20:23], 0 offset:8 ; 4-byte Folded Spill
	;; [unrolled: 1-line block ×4, first 2 shown]
	s_nop 0
	buffer_store_dword v34, off, s[20:23], 0 offset:300 ; 4-byte Folded Spill
	global_load_dwordx4 v[69:72], v[33:34], off
	s_nop 0
	buffer_store_dword v35, off, s[20:23], 0 offset:304 ; 4-byte Folded Spill
	s_nop 0
	buffer_store_dword v36, off, s[20:23], 0 offset:308 ; 4-byte Folded Spill
	global_load_dwordx4 v[65:68], v[35:36], off
	s_nop 0
	buffer_store_dword v37, off, s[20:23], 0 offset:312 ; 4-byte Folded Spill
	;; [unrolled: 5-line block ×8, first 2 shown]
	s_nop 0
	buffer_store_dword v92, off, s[20:23], 0 offset:356 ; 4-byte Folded Spill
	v_mov_b32_e32 v81, v113
	v_mov_b32_e32 v82, v114
	;; [unrolled: 1-line block ×4, first 2 shown]
	global_load_dwordx4 v[37:40], v[91:92], off
	s_nop 0
	buffer_store_dword v93, off, s[20:23], 0 offset:360 ; 4-byte Folded Spill
	s_nop 0
	buffer_store_dword v94, off, s[20:23], 0 offset:364 ; 4-byte Folded Spill
	v_mov_b32_e32 v92, v76
	v_mov_b32_e32 v91, v75
	;; [unrolled: 1-line block ×4, first 2 shown]
	global_load_dwordx4 v[33:36], v[93:94], off
	s_nop 0
	buffer_store_dword v95, off, s[20:23], 0 offset:368 ; 4-byte Folded Spill
	s_nop 0
	buffer_store_dword v96, off, s[20:23], 0 offset:372 ; 4-byte Folded Spill
	global_load_dwordx4 v[29:32], v[95:96], off
	s_nop 0
	buffer_store_dword v97, off, s[20:23], 0 offset:376 ; 4-byte Folded Spill
	s_nop 0
	buffer_store_dword v98, off, s[20:23], 0 offset:380 ; 4-byte Folded Spill
	v_mov_b32_e32 v96, v4
	v_mov_b32_e32 v95, v3
	;; [unrolled: 1-line block ×4, first 2 shown]
	global_load_dwordx4 v[25:28], v[97:98], off
	s_nop 0
	buffer_store_dword v99, off, s[20:23], 0 offset:384 ; 4-byte Folded Spill
	s_nop 0
	buffer_store_dword v100, off, s[20:23], 0 offset:388 ; 4-byte Folded Spill
	global_load_dwordx4 v[21:24], v[99:100], off
	s_nop 0
	buffer_store_dword v101, off, s[20:23], 0 offset:392 ; 4-byte Folded Spill
	s_nop 0
	buffer_store_dword v102, off, s[20:23], 0 offset:396 ; 4-byte Folded Spill
	global_load_dwordx4 v[17:20], v[101:102], off
	s_nop 0
	buffer_store_dword v103, off, s[20:23], 0 offset:400 ; 4-byte Folded Spill
	s_nop 0
	buffer_store_dword v104, off, s[20:23], 0 offset:404 ; 4-byte Folded Spill
	global_load_dwordx4 v[13:16], v[103:104], off
	s_nop 0
	buffer_store_dword v105, off, s[20:23], 0 offset:408 ; 4-byte Folded Spill
	s_nop 0
	buffer_store_dword v106, off, s[20:23], 0 offset:412 ; 4-byte Folded Spill
	global_load_dwordx4 v[9:12], v[105:106], off
	s_nop 0
	buffer_store_dword v107, off, s[20:23], 0 offset:416 ; 4-byte Folded Spill
	s_nop 0
	buffer_store_dword v108, off, s[20:23], 0 offset:420 ; 4-byte Folded Spill
	global_load_dwordx4 v[5:8], v[107:108], off
	s_nop 0
	buffer_store_dword v109, off, s[20:23], 0 offset:424 ; 4-byte Folded Spill
	s_nop 0
	buffer_store_dword v110, off, s[20:23], 0 offset:428 ; 4-byte Folded Spill
	global_load_dwordx4 v[1:4], v[109:110], off
	s_nop 0
	buffer_store_dword v111, off, s[20:23], 0 offset:432 ; 4-byte Folded Spill
	s_nop 0
	buffer_store_dword v112, off, s[20:23], 0 offset:436 ; 4-byte Folded Spill
	global_load_dwordx4 v[85:88], v[111:112], off
	v_mov_b32_e32 v109, v117
	v_mov_b32_e32 v110, v118
	;; [unrolled: 1-line block ×8, first 2 shown]
	s_waitcnt vmcnt(0)
	v_mov_b32_e32 v116, v88
	v_mov_b32_e32 v115, v87
	;; [unrolled: 1-line block ×8, first 2 shown]
	s_and_saveexec_b64 s[6:7], s[0:1]
	s_cbranch_execz .LBB71_8
; %bb.2:
	buffer_load_dword v73, off, s[20:23], 0 offset:160 ; 4-byte Folded Reload
	buffer_load_dword v74, off, s[20:23], 0 offset:164 ; 4-byte Folded Reload
	;; [unrolled: 1-line block ×4, first 2 shown]
	s_waitcnt vmcnt(0)
	ds_write2_b64 v127, v[73:74], v[75:76] offset1:1
	buffer_load_dword v73, off, s[20:23], 0 offset:144 ; 4-byte Folded Reload
	buffer_load_dword v74, off, s[20:23], 0 offset:148 ; 4-byte Folded Reload
	buffer_load_dword v75, off, s[20:23], 0 offset:152 ; 4-byte Folded Reload
	buffer_load_dword v76, off, s[20:23], 0 offset:156 ; 4-byte Folded Reload
	s_waitcnt vmcnt(0)
	ds_write2_b64 v125, v[73:74], v[75:76] offset0:2 offset1:3
	buffer_load_dword v73, off, s[20:23], 0 offset:128 ; 4-byte Folded Reload
	buffer_load_dword v74, off, s[20:23], 0 offset:132 ; 4-byte Folded Reload
	buffer_load_dword v75, off, s[20:23], 0 offset:136 ; 4-byte Folded Reload
	buffer_load_dword v76, off, s[20:23], 0 offset:140 ; 4-byte Folded Reload
	s_waitcnt vmcnt(0)
	ds_write2_b64 v125, v[73:74], v[75:76] offset0:4 offset1:5
	;; [unrolled: 6-line block ×5, first 2 shown]
	ds_write2_b64 v125, v[89:90], v[91:92] offset0:12 offset1:13
	ds_write2_b64 v125, v[85:86], v[87:88] offset0:14 offset1:15
	buffer_load_dword v73, off, s[20:23], 0 offset:64 ; 4-byte Folded Reload
	buffer_load_dword v74, off, s[20:23], 0 offset:68 ; 4-byte Folded Reload
	;; [unrolled: 1-line block ×4, first 2 shown]
	s_waitcnt vmcnt(0)
	ds_write2_b64 v125, v[73:74], v[75:76] offset0:16 offset1:17
	ds_write2_b64 v125, v[81:82], v[83:84] offset0:18 offset1:19
	buffer_load_dword v73, off, s[20:23], 0 offset:48 ; 4-byte Folded Reload
	buffer_load_dword v74, off, s[20:23], 0 offset:52 ; 4-byte Folded Reload
	;; [unrolled: 1-line block ×4, first 2 shown]
	s_waitcnt vmcnt(0)
	ds_write2_b64 v125, v[73:74], v[75:76] offset0:20 offset1:21
	ds_write2_b64 v125, v[117:118], v[119:120] offset0:22 offset1:23
	;; [unrolled: 1-line block ×3, first 2 shown]
	buffer_load_dword v97, off, s[20:23], 0 offset:32 ; 4-byte Folded Reload
	buffer_load_dword v98, off, s[20:23], 0 offset:36 ; 4-byte Folded Reload
	buffer_load_dword v99, off, s[20:23], 0 offset:40 ; 4-byte Folded Reload
	buffer_load_dword v100, off, s[20:23], 0 offset:44 ; 4-byte Folded Reload
	s_waitcnt vmcnt(0)
	ds_write2_b64 v125, v[97:98], v[99:100] offset0:26 offset1:27
	ds_write2_b64 v125, v[93:94], v[95:96] offset0:28 offset1:29
	buffer_load_dword v77, off, s[20:23], 0 offset:16 ; 4-byte Folded Reload
	buffer_load_dword v78, off, s[20:23], 0 offset:20 ; 4-byte Folded Reload
	;; [unrolled: 1-line block ×4, first 2 shown]
	s_waitcnt vmcnt(0)
	ds_write2_b64 v125, v[77:78], v[79:80] offset0:30 offset1:31
	buffer_load_dword v73, off, s[20:23], 0 ; 4-byte Folded Reload
	buffer_load_dword v74, off, s[20:23], 0 offset:4 ; 4-byte Folded Reload
	buffer_load_dword v75, off, s[20:23], 0 offset:8 ; 4-byte Folded Reload
	;; [unrolled: 1-line block ×3, first 2 shown]
	s_waitcnt vmcnt(0)
	ds_write2_b64 v125, v[73:74], v[75:76] offset0:32 offset1:33
	ds_write2_b64 v125, v[69:70], v[71:72] offset0:34 offset1:35
	;; [unrolled: 1-line block ×20, first 2 shown]
	ds_read2_b64 v[97:100], v127 offset1:1
	s_waitcnt lgkmcnt(0)
	v_cmp_neq_f64_e32 vcc, 0, v[97:98]
	v_cmp_neq_f64_e64 s[4:5], 0, v[99:100]
	s_or_b64 s[4:5], vcc, s[4:5]
	s_and_b64 exec, exec, s[4:5]
	s_cbranch_execz .LBB71_8
; %bb.3:
	v_cmp_ngt_f64_e64 s[4:5], |v[97:98]|, |v[99:100]|
                                        ; implicit-def: $vgpr101_vgpr102
	s_and_saveexec_b64 s[8:9], s[4:5]
	s_xor_b64 s[4:5], exec, s[8:9]
                                        ; implicit-def: $vgpr103_vgpr104
	s_cbranch_execz .LBB71_5
; %bb.4:
	v_div_scale_f64 v[101:102], s[8:9], v[99:100], v[99:100], v[97:98]
	v_rcp_f64_e32 v[103:104], v[101:102]
	v_fma_f64 v[105:106], -v[101:102], v[103:104], 1.0
	v_fma_f64 v[103:104], v[103:104], v[105:106], v[103:104]
	v_div_scale_f64 v[105:106], vcc, v[97:98], v[99:100], v[97:98]
	v_fma_f64 v[107:108], -v[101:102], v[103:104], 1.0
	v_fma_f64 v[103:104], v[103:104], v[107:108], v[103:104]
	v_mul_f64 v[107:108], v[105:106], v[103:104]
	v_fma_f64 v[101:102], -v[101:102], v[107:108], v[105:106]
	v_div_fmas_f64 v[101:102], v[101:102], v[103:104], v[107:108]
	v_div_fixup_f64 v[101:102], v[101:102], v[99:100], v[97:98]
	v_fma_f64 v[97:98], v[97:98], v[101:102], v[99:100]
	v_div_scale_f64 v[99:100], s[8:9], v[97:98], v[97:98], 1.0
	v_div_scale_f64 v[107:108], vcc, 1.0, v[97:98], 1.0
	v_rcp_f64_e32 v[103:104], v[99:100]
	v_fma_f64 v[105:106], -v[99:100], v[103:104], 1.0
	v_fma_f64 v[103:104], v[103:104], v[105:106], v[103:104]
	v_fma_f64 v[105:106], -v[99:100], v[103:104], 1.0
	v_fma_f64 v[103:104], v[103:104], v[105:106], v[103:104]
	v_mul_f64 v[105:106], v[107:108], v[103:104]
	v_fma_f64 v[99:100], -v[99:100], v[105:106], v[107:108]
	v_div_fmas_f64 v[99:100], v[99:100], v[103:104], v[105:106]
	v_div_fixup_f64 v[103:104], v[99:100], v[97:98], 1.0
                                        ; implicit-def: $vgpr97_vgpr98
	v_mul_f64 v[101:102], v[101:102], v[103:104]
	v_xor_b32_e32 v104, 0x80000000, v104
.LBB71_5:
	s_andn2_saveexec_b64 s[4:5], s[4:5]
	s_cbranch_execz .LBB71_7
; %bb.6:
	v_div_scale_f64 v[101:102], s[8:9], v[97:98], v[97:98], v[99:100]
	v_rcp_f64_e32 v[103:104], v[101:102]
	v_fma_f64 v[105:106], -v[101:102], v[103:104], 1.0
	v_fma_f64 v[103:104], v[103:104], v[105:106], v[103:104]
	v_div_scale_f64 v[105:106], vcc, v[99:100], v[97:98], v[99:100]
	v_fma_f64 v[107:108], -v[101:102], v[103:104], 1.0
	v_fma_f64 v[103:104], v[103:104], v[107:108], v[103:104]
	v_mul_f64 v[107:108], v[105:106], v[103:104]
	v_fma_f64 v[101:102], -v[101:102], v[107:108], v[105:106]
	v_div_fmas_f64 v[101:102], v[101:102], v[103:104], v[107:108]
	v_div_fixup_f64 v[103:104], v[101:102], v[97:98], v[99:100]
	v_fma_f64 v[97:98], v[99:100], v[103:104], v[97:98]
	v_div_scale_f64 v[99:100], s[8:9], v[97:98], v[97:98], 1.0
	v_div_scale_f64 v[107:108], vcc, 1.0, v[97:98], 1.0
	v_rcp_f64_e32 v[101:102], v[99:100]
	v_fma_f64 v[105:106], -v[99:100], v[101:102], 1.0
	v_fma_f64 v[101:102], v[101:102], v[105:106], v[101:102]
	v_fma_f64 v[105:106], -v[99:100], v[101:102], 1.0
	v_fma_f64 v[101:102], v[101:102], v[105:106], v[101:102]
	v_mul_f64 v[105:106], v[107:108], v[101:102]
	v_fma_f64 v[99:100], -v[99:100], v[105:106], v[107:108]
	v_div_fmas_f64 v[99:100], v[99:100], v[101:102], v[105:106]
	v_div_fixup_f64 v[101:102], v[99:100], v[97:98], 1.0
	v_mul_f64 v[103:104], v[103:104], -v[101:102]
.LBB71_7:
	s_or_b64 exec, exec, s[4:5]
	ds_write2_b64 v127, v[101:102], v[103:104] offset1:1
.LBB71_8:
	s_or_b64 exec, exec, s[6:7]
	s_waitcnt lgkmcnt(0)
	s_barrier
	ds_read2_b64 v[73:76], v127 offset1:1
	s_waitcnt lgkmcnt(0)
	buffer_store_dword v73, off, s[20:23], 0 offset:512 ; 4-byte Folded Spill
	s_nop 0
	buffer_store_dword v74, off, s[20:23], 0 offset:516 ; 4-byte Folded Spill
	buffer_store_dword v75, off, s[20:23], 0 offset:520 ; 4-byte Folded Spill
	;; [unrolled: 1-line block ×3, first 2 shown]
	s_and_saveexec_b64 s[4:5], s[2:3]
	s_cbranch_execz .LBB71_10
; %bb.9:
	buffer_load_dword v121, off, s[20:23], 0 offset:160 ; 4-byte Folded Reload
	buffer_load_dword v122, off, s[20:23], 0 offset:164 ; 4-byte Folded Reload
	;; [unrolled: 1-line block ×8, first 2 shown]
	s_waitcnt vmcnt(2)
	v_mul_f64 v[99:100], v[73:74], v[123:124]
	s_waitcnt vmcnt(0)
	v_mul_f64 v[97:98], v[75:76], v[123:124]
	v_fma_f64 v[123:124], v[75:76], v[121:122], v[99:100]
	ds_read2_b64 v[99:102], v125 offset0:2 offset1:3
	v_fma_f64 v[97:98], v[73:74], v[121:122], -v[97:98]
	buffer_load_dword v73, off, s[20:23], 0 offset:144 ; 4-byte Folded Reload
	buffer_load_dword v74, off, s[20:23], 0 offset:148 ; 4-byte Folded Reload
	;; [unrolled: 1-line block ×4, first 2 shown]
	s_waitcnt lgkmcnt(0)
	v_mul_f64 v[103:104], v[101:102], v[123:124]
	v_mov_b32_e32 v122, v98
	v_mov_b32_e32 v121, v97
	v_fma_f64 v[103:104], v[99:100], v[97:98], -v[103:104]
	v_mul_f64 v[99:100], v[99:100], v[123:124]
	v_fma_f64 v[99:100], v[101:102], v[97:98], v[99:100]
	s_waitcnt vmcnt(2)
	v_add_f64 v[73:74], v[73:74], -v[103:104]
	s_waitcnt vmcnt(0)
	v_add_f64 v[75:76], v[75:76], -v[99:100]
	buffer_store_dword v73, off, s[20:23], 0 offset:144 ; 4-byte Folded Spill
	s_nop 0
	buffer_store_dword v74, off, s[20:23], 0 offset:148 ; 4-byte Folded Spill
	buffer_store_dword v75, off, s[20:23], 0 offset:152 ; 4-byte Folded Spill
	buffer_store_dword v76, off, s[20:23], 0 offset:156 ; 4-byte Folded Spill
	ds_read2_b64 v[99:102], v125 offset0:4 offset1:5
	buffer_load_dword v73, off, s[20:23], 0 offset:128 ; 4-byte Folded Reload
	buffer_load_dword v74, off, s[20:23], 0 offset:132 ; 4-byte Folded Reload
	buffer_load_dword v75, off, s[20:23], 0 offset:136 ; 4-byte Folded Reload
	buffer_load_dword v76, off, s[20:23], 0 offset:140 ; 4-byte Folded Reload
	s_waitcnt lgkmcnt(0)
	v_mul_f64 v[103:104], v[101:102], v[123:124]
	v_fma_f64 v[103:104], v[99:100], v[97:98], -v[103:104]
	v_mul_f64 v[99:100], v[99:100], v[123:124]
	v_fma_f64 v[99:100], v[101:102], v[97:98], v[99:100]
	s_waitcnt vmcnt(2)
	v_add_f64 v[73:74], v[73:74], -v[103:104]
	s_waitcnt vmcnt(0)
	v_add_f64 v[75:76], v[75:76], -v[99:100]
	buffer_store_dword v73, off, s[20:23], 0 offset:128 ; 4-byte Folded Spill
	s_nop 0
	buffer_store_dword v74, off, s[20:23], 0 offset:132 ; 4-byte Folded Spill
	buffer_store_dword v75, off, s[20:23], 0 offset:136 ; 4-byte Folded Spill
	buffer_store_dword v76, off, s[20:23], 0 offset:140 ; 4-byte Folded Spill
	ds_read2_b64 v[99:102], v125 offset0:6 offset1:7
	buffer_load_dword v73, off, s[20:23], 0 offset:112 ; 4-byte Folded Reload
	buffer_load_dword v74, off, s[20:23], 0 offset:116 ; 4-byte Folded Reload
	buffer_load_dword v75, off, s[20:23], 0 offset:120 ; 4-byte Folded Reload
	buffer_load_dword v76, off, s[20:23], 0 offset:124 ; 4-byte Folded Reload
	s_waitcnt lgkmcnt(0)
	v_mul_f64 v[103:104], v[101:102], v[123:124]
	;; [unrolled: 19-line block ×4, first 2 shown]
	v_fma_f64 v[103:104], v[99:100], v[97:98], -v[103:104]
	v_mul_f64 v[99:100], v[99:100], v[123:124]
	v_fma_f64 v[99:100], v[101:102], v[97:98], v[99:100]
	s_waitcnt vmcnt(2)
	v_add_f64 v[73:74], v[73:74], -v[103:104]
	s_waitcnt vmcnt(0)
	v_add_f64 v[75:76], v[75:76], -v[99:100]
	buffer_store_dword v73, off, s[20:23], 0 offset:80 ; 4-byte Folded Spill
	s_nop 0
	buffer_store_dword v74, off, s[20:23], 0 offset:84 ; 4-byte Folded Spill
	buffer_store_dword v75, off, s[20:23], 0 offset:88 ; 4-byte Folded Spill
	;; [unrolled: 1-line block ×3, first 2 shown]
	ds_read2_b64 v[99:102], v125 offset0:12 offset1:13
	s_waitcnt lgkmcnt(0)
	v_mul_f64 v[103:104], v[101:102], v[123:124]
	v_fma_f64 v[103:104], v[99:100], v[97:98], -v[103:104]
	v_mul_f64 v[99:100], v[99:100], v[123:124]
	v_add_f64 v[89:90], v[89:90], -v[103:104]
	v_fma_f64 v[99:100], v[101:102], v[97:98], v[99:100]
	v_add_f64 v[91:92], v[91:92], -v[99:100]
	ds_read2_b64 v[99:102], v125 offset0:14 offset1:15
	s_waitcnt lgkmcnt(0)
	v_mul_f64 v[103:104], v[101:102], v[123:124]
	v_fma_f64 v[103:104], v[99:100], v[97:98], -v[103:104]
	v_mul_f64 v[99:100], v[99:100], v[123:124]
	v_add_f64 v[85:86], v[85:86], -v[103:104]
	v_fma_f64 v[99:100], v[101:102], v[97:98], v[99:100]
	v_add_f64 v[87:88], v[87:88], -v[99:100]
	ds_read2_b64 v[99:102], v125 offset0:16 offset1:17
	buffer_load_dword v73, off, s[20:23], 0 offset:64 ; 4-byte Folded Reload
	buffer_load_dword v74, off, s[20:23], 0 offset:68 ; 4-byte Folded Reload
	buffer_load_dword v75, off, s[20:23], 0 offset:72 ; 4-byte Folded Reload
	buffer_load_dword v76, off, s[20:23], 0 offset:76 ; 4-byte Folded Reload
	s_waitcnt lgkmcnt(0)
	v_mul_f64 v[103:104], v[101:102], v[123:124]
	v_fma_f64 v[103:104], v[99:100], v[97:98], -v[103:104]
	v_mul_f64 v[99:100], v[99:100], v[123:124]
	v_fma_f64 v[99:100], v[101:102], v[97:98], v[99:100]
	s_waitcnt vmcnt(2)
	v_add_f64 v[73:74], v[73:74], -v[103:104]
	s_waitcnt vmcnt(0)
	v_add_f64 v[75:76], v[75:76], -v[99:100]
	buffer_store_dword v73, off, s[20:23], 0 offset:64 ; 4-byte Folded Spill
	s_nop 0
	buffer_store_dword v74, off, s[20:23], 0 offset:68 ; 4-byte Folded Spill
	buffer_store_dword v75, off, s[20:23], 0 offset:72 ; 4-byte Folded Spill
	;; [unrolled: 1-line block ×3, first 2 shown]
	ds_read2_b64 v[99:102], v125 offset0:18 offset1:19
	s_waitcnt lgkmcnt(0)
	v_mul_f64 v[103:104], v[101:102], v[123:124]
	v_fma_f64 v[103:104], v[99:100], v[97:98], -v[103:104]
	v_mul_f64 v[99:100], v[99:100], v[123:124]
	v_add_f64 v[81:82], v[81:82], -v[103:104]
	v_fma_f64 v[99:100], v[101:102], v[97:98], v[99:100]
	v_add_f64 v[83:84], v[83:84], -v[99:100]
	ds_read2_b64 v[99:102], v125 offset0:20 offset1:21
	buffer_load_dword v73, off, s[20:23], 0 offset:48 ; 4-byte Folded Reload
	buffer_load_dword v74, off, s[20:23], 0 offset:52 ; 4-byte Folded Reload
	;; [unrolled: 1-line block ×4, first 2 shown]
	s_waitcnt lgkmcnt(0)
	v_mul_f64 v[103:104], v[101:102], v[123:124]
	v_fma_f64 v[103:104], v[99:100], v[97:98], -v[103:104]
	v_mul_f64 v[99:100], v[99:100], v[123:124]
	v_fma_f64 v[99:100], v[101:102], v[97:98], v[99:100]
	s_waitcnt vmcnt(2)
	v_add_f64 v[73:74], v[73:74], -v[103:104]
	s_waitcnt vmcnt(0)
	v_add_f64 v[75:76], v[75:76], -v[99:100]
	buffer_store_dword v73, off, s[20:23], 0 offset:48 ; 4-byte Folded Spill
	s_nop 0
	buffer_store_dword v74, off, s[20:23], 0 offset:52 ; 4-byte Folded Spill
	buffer_store_dword v75, off, s[20:23], 0 offset:56 ; 4-byte Folded Spill
	;; [unrolled: 1-line block ×3, first 2 shown]
	ds_read2_b64 v[99:102], v125 offset0:22 offset1:23
	s_waitcnt lgkmcnt(0)
	v_mul_f64 v[103:104], v[101:102], v[123:124]
	v_fma_f64 v[103:104], v[99:100], v[97:98], -v[103:104]
	v_mul_f64 v[99:100], v[99:100], v[123:124]
	v_add_f64 v[117:118], v[117:118], -v[103:104]
	v_fma_f64 v[99:100], v[101:102], v[97:98], v[99:100]
	v_add_f64 v[119:120], v[119:120], -v[99:100]
	ds_read2_b64 v[99:102], v125 offset0:24 offset1:25
	s_waitcnt lgkmcnt(0)
	v_mul_f64 v[103:104], v[101:102], v[123:124]
	v_fma_f64 v[103:104], v[99:100], v[97:98], -v[103:104]
	v_mul_f64 v[99:100], v[99:100], v[123:124]
	v_add_f64 v[109:110], v[109:110], -v[103:104]
	v_fma_f64 v[99:100], v[101:102], v[97:98], v[99:100]
	v_add_f64 v[111:112], v[111:112], -v[99:100]
	ds_read2_b64 v[99:102], v125 offset0:26 offset1:27
	buffer_load_dword v105, off, s[20:23], 0 offset:32 ; 4-byte Folded Reload
	buffer_load_dword v106, off, s[20:23], 0 offset:36 ; 4-byte Folded Reload
	;; [unrolled: 1-line block ×4, first 2 shown]
	s_waitcnt lgkmcnt(0)
	v_mul_f64 v[103:104], v[101:102], v[123:124]
	v_fma_f64 v[103:104], v[99:100], v[97:98], -v[103:104]
	v_mul_f64 v[99:100], v[99:100], v[123:124]
	v_fma_f64 v[99:100], v[101:102], v[97:98], v[99:100]
	s_waitcnt vmcnt(2)
	v_add_f64 v[105:106], v[105:106], -v[103:104]
	s_waitcnt vmcnt(0)
	v_add_f64 v[107:108], v[107:108], -v[99:100]
	buffer_store_dword v105, off, s[20:23], 0 offset:32 ; 4-byte Folded Spill
	s_nop 0
	buffer_store_dword v106, off, s[20:23], 0 offset:36 ; 4-byte Folded Spill
	buffer_store_dword v107, off, s[20:23], 0 offset:40 ; 4-byte Folded Spill
	;; [unrolled: 1-line block ×3, first 2 shown]
	ds_read2_b64 v[99:102], v125 offset0:28 offset1:29
	s_waitcnt lgkmcnt(0)
	v_mul_f64 v[103:104], v[101:102], v[123:124]
	v_fma_f64 v[103:104], v[99:100], v[97:98], -v[103:104]
	v_mul_f64 v[99:100], v[99:100], v[123:124]
	v_add_f64 v[93:94], v[93:94], -v[103:104]
	v_fma_f64 v[99:100], v[101:102], v[97:98], v[99:100]
	v_add_f64 v[95:96], v[95:96], -v[99:100]
	ds_read2_b64 v[99:102], v125 offset0:30 offset1:31
	buffer_load_dword v77, off, s[20:23], 0 offset:16 ; 4-byte Folded Reload
	buffer_load_dword v78, off, s[20:23], 0 offset:20 ; 4-byte Folded Reload
	;; [unrolled: 1-line block ×4, first 2 shown]
	s_waitcnt lgkmcnt(0)
	v_mul_f64 v[103:104], v[101:102], v[123:124]
	v_fma_f64 v[103:104], v[99:100], v[97:98], -v[103:104]
	v_mul_f64 v[99:100], v[99:100], v[123:124]
	v_fma_f64 v[99:100], v[101:102], v[97:98], v[99:100]
	s_waitcnt vmcnt(2)
	v_add_f64 v[77:78], v[77:78], -v[103:104]
	s_waitcnt vmcnt(0)
	v_add_f64 v[79:80], v[79:80], -v[99:100]
	buffer_store_dword v77, off, s[20:23], 0 offset:16 ; 4-byte Folded Spill
	s_nop 0
	buffer_store_dword v78, off, s[20:23], 0 offset:20 ; 4-byte Folded Spill
	buffer_store_dword v79, off, s[20:23], 0 offset:24 ; 4-byte Folded Spill
	;; [unrolled: 1-line block ×3, first 2 shown]
	ds_read2_b64 v[99:102], v125 offset0:32 offset1:33
	buffer_load_dword v73, off, s[20:23], 0 ; 4-byte Folded Reload
	buffer_load_dword v74, off, s[20:23], 0 offset:4 ; 4-byte Folded Reload
	buffer_load_dword v75, off, s[20:23], 0 offset:8 ; 4-byte Folded Reload
	;; [unrolled: 1-line block ×3, first 2 shown]
	s_waitcnt lgkmcnt(0)
	v_mul_f64 v[103:104], v[101:102], v[123:124]
	v_fma_f64 v[103:104], v[99:100], v[97:98], -v[103:104]
	v_mul_f64 v[99:100], v[99:100], v[123:124]
	v_fma_f64 v[99:100], v[101:102], v[97:98], v[99:100]
	s_waitcnt vmcnt(2)
	v_add_f64 v[73:74], v[73:74], -v[103:104]
	s_waitcnt vmcnt(0)
	v_add_f64 v[75:76], v[75:76], -v[99:100]
	buffer_store_dword v73, off, s[20:23], 0 ; 4-byte Folded Spill
	s_nop 0
	buffer_store_dword v74, off, s[20:23], 0 offset:4 ; 4-byte Folded Spill
	buffer_store_dword v75, off, s[20:23], 0 offset:8 ; 4-byte Folded Spill
	;; [unrolled: 1-line block ×3, first 2 shown]
	ds_read2_b64 v[99:102], v125 offset0:34 offset1:35
	s_waitcnt lgkmcnt(0)
	v_mul_f64 v[103:104], v[101:102], v[123:124]
	v_fma_f64 v[103:104], v[99:100], v[97:98], -v[103:104]
	v_mul_f64 v[99:100], v[99:100], v[123:124]
	v_add_f64 v[69:70], v[69:70], -v[103:104]
	v_fma_f64 v[99:100], v[101:102], v[97:98], v[99:100]
	v_add_f64 v[71:72], v[71:72], -v[99:100]
	ds_read2_b64 v[99:102], v125 offset0:36 offset1:37
	s_waitcnt lgkmcnt(0)
	v_mul_f64 v[103:104], v[101:102], v[123:124]
	v_fma_f64 v[103:104], v[99:100], v[97:98], -v[103:104]
	v_mul_f64 v[99:100], v[99:100], v[123:124]
	v_add_f64 v[65:66], v[65:66], -v[103:104]
	v_fma_f64 v[99:100], v[101:102], v[97:98], v[99:100]
	v_add_f64 v[67:68], v[67:68], -v[99:100]
	;; [unrolled: 8-line block ×18, first 2 shown]
	ds_read2_b64 v[99:102], v125 offset0:70 offset1:71
	s_waitcnt lgkmcnt(0)
	v_mul_f64 v[103:104], v[101:102], v[123:124]
	v_fma_f64 v[103:104], v[99:100], v[97:98], -v[103:104]
	v_mul_f64 v[99:100], v[99:100], v[123:124]
	buffer_store_dword v121, off, s[20:23], 0 offset:160 ; 4-byte Folded Spill
	s_nop 0
	buffer_store_dword v122, off, s[20:23], 0 offset:164 ; 4-byte Folded Spill
	buffer_store_dword v123, off, s[20:23], 0 offset:168 ; 4-byte Folded Spill
	;; [unrolled: 1-line block ×3, first 2 shown]
	v_add_f64 v[113:114], v[113:114], -v[103:104]
	v_fma_f64 v[99:100], v[101:102], v[97:98], v[99:100]
	v_add_f64 v[115:116], v[115:116], -v[99:100]
.LBB71_10:
	s_or_b64 exec, exec, s[4:5]
	v_cmp_eq_u32_e32 vcc, 1, v0
	s_waitcnt vmcnt(0)
	s_barrier
	s_and_saveexec_b64 s[4:5], vcc
	s_cbranch_execz .LBB71_17
; %bb.11:
	buffer_load_dword v73, off, s[20:23], 0 offset:144 ; 4-byte Folded Reload
	buffer_load_dword v74, off, s[20:23], 0 offset:148 ; 4-byte Folded Reload
	;; [unrolled: 1-line block ×4, first 2 shown]
	s_waitcnt vmcnt(0)
	ds_write2_b64 v127, v[73:74], v[75:76] offset1:1
	buffer_load_dword v73, off, s[20:23], 0 offset:128 ; 4-byte Folded Reload
	buffer_load_dword v74, off, s[20:23], 0 offset:132 ; 4-byte Folded Reload
	buffer_load_dword v75, off, s[20:23], 0 offset:136 ; 4-byte Folded Reload
	buffer_load_dword v76, off, s[20:23], 0 offset:140 ; 4-byte Folded Reload
	s_waitcnt vmcnt(0)
	ds_write2_b64 v125, v[73:74], v[75:76] offset0:4 offset1:5
	buffer_load_dword v73, off, s[20:23], 0 offset:112 ; 4-byte Folded Reload
	buffer_load_dword v74, off, s[20:23], 0 offset:116 ; 4-byte Folded Reload
	buffer_load_dword v75, off, s[20:23], 0 offset:120 ; 4-byte Folded Reload
	buffer_load_dword v76, off, s[20:23], 0 offset:124 ; 4-byte Folded Reload
	s_waitcnt vmcnt(0)
	ds_write2_b64 v125, v[73:74], v[75:76] offset0:6 offset1:7
	buffer_load_dword v73, off, s[20:23], 0 offset:96 ; 4-byte Folded Reload
	buffer_load_dword v74, off, s[20:23], 0 offset:100 ; 4-byte Folded Reload
	buffer_load_dword v75, off, s[20:23], 0 offset:104 ; 4-byte Folded Reload
	buffer_load_dword v76, off, s[20:23], 0 offset:108 ; 4-byte Folded Reload
	s_waitcnt vmcnt(0)
	ds_write2_b64 v125, v[73:74], v[75:76] offset0:8 offset1:9
	buffer_load_dword v73, off, s[20:23], 0 offset:80 ; 4-byte Folded Reload
	buffer_load_dword v74, off, s[20:23], 0 offset:84 ; 4-byte Folded Reload
	buffer_load_dword v75, off, s[20:23], 0 offset:88 ; 4-byte Folded Reload
	buffer_load_dword v76, off, s[20:23], 0 offset:92 ; 4-byte Folded Reload
	s_waitcnt vmcnt(0)
	ds_write2_b64 v125, v[73:74], v[75:76] offset0:10 offset1:11
	ds_write2_b64 v125, v[89:90], v[91:92] offset0:12 offset1:13
	ds_write2_b64 v125, v[85:86], v[87:88] offset0:14 offset1:15
	buffer_load_dword v73, off, s[20:23], 0 offset:64 ; 4-byte Folded Reload
	buffer_load_dword v74, off, s[20:23], 0 offset:68 ; 4-byte Folded Reload
	;; [unrolled: 1-line block ×4, first 2 shown]
	s_waitcnt vmcnt(0)
	ds_write2_b64 v125, v[73:74], v[75:76] offset0:16 offset1:17
	ds_write2_b64 v125, v[81:82], v[83:84] offset0:18 offset1:19
	buffer_load_dword v73, off, s[20:23], 0 offset:48 ; 4-byte Folded Reload
	buffer_load_dword v74, off, s[20:23], 0 offset:52 ; 4-byte Folded Reload
	;; [unrolled: 1-line block ×4, first 2 shown]
	s_waitcnt vmcnt(0)
	ds_write2_b64 v125, v[73:74], v[75:76] offset0:20 offset1:21
	ds_write2_b64 v125, v[117:118], v[119:120] offset0:22 offset1:23
	;; [unrolled: 1-line block ×3, first 2 shown]
	buffer_load_dword v97, off, s[20:23], 0 offset:32 ; 4-byte Folded Reload
	buffer_load_dword v98, off, s[20:23], 0 offset:36 ; 4-byte Folded Reload
	;; [unrolled: 1-line block ×4, first 2 shown]
	s_waitcnt vmcnt(0)
	ds_write2_b64 v125, v[97:98], v[99:100] offset0:26 offset1:27
	ds_write2_b64 v125, v[93:94], v[95:96] offset0:28 offset1:29
	buffer_load_dword v77, off, s[20:23], 0 offset:16 ; 4-byte Folded Reload
	buffer_load_dword v78, off, s[20:23], 0 offset:20 ; 4-byte Folded Reload
	;; [unrolled: 1-line block ×4, first 2 shown]
	s_waitcnt vmcnt(0)
	ds_write2_b64 v125, v[77:78], v[79:80] offset0:30 offset1:31
	buffer_load_dword v73, off, s[20:23], 0 ; 4-byte Folded Reload
	buffer_load_dword v74, off, s[20:23], 0 offset:4 ; 4-byte Folded Reload
	buffer_load_dword v75, off, s[20:23], 0 offset:8 ; 4-byte Folded Reload
	;; [unrolled: 1-line block ×3, first 2 shown]
	s_waitcnt vmcnt(0)
	ds_write2_b64 v125, v[73:74], v[75:76] offset0:32 offset1:33
	ds_write2_b64 v125, v[69:70], v[71:72] offset0:34 offset1:35
	;; [unrolled: 1-line block ×20, first 2 shown]
	ds_read2_b64 v[97:100], v127 offset1:1
	s_waitcnt lgkmcnt(0)
	v_cmp_neq_f64_e32 vcc, 0, v[97:98]
	v_cmp_neq_f64_e64 s[2:3], 0, v[99:100]
	s_or_b64 s[2:3], vcc, s[2:3]
	s_and_b64 exec, exec, s[2:3]
	s_cbranch_execz .LBB71_17
; %bb.12:
	v_cmp_ngt_f64_e64 s[2:3], |v[97:98]|, |v[99:100]|
                                        ; implicit-def: $vgpr101_vgpr102
	s_and_saveexec_b64 s[6:7], s[2:3]
	s_xor_b64 s[2:3], exec, s[6:7]
                                        ; implicit-def: $vgpr103_vgpr104
	s_cbranch_execz .LBB71_14
; %bb.13:
	v_div_scale_f64 v[101:102], s[6:7], v[99:100], v[99:100], v[97:98]
	v_rcp_f64_e32 v[103:104], v[101:102]
	v_fma_f64 v[105:106], -v[101:102], v[103:104], 1.0
	v_fma_f64 v[103:104], v[103:104], v[105:106], v[103:104]
	v_div_scale_f64 v[105:106], vcc, v[97:98], v[99:100], v[97:98]
	v_fma_f64 v[107:108], -v[101:102], v[103:104], 1.0
	v_fma_f64 v[103:104], v[103:104], v[107:108], v[103:104]
	v_mul_f64 v[107:108], v[105:106], v[103:104]
	v_fma_f64 v[101:102], -v[101:102], v[107:108], v[105:106]
	v_div_fmas_f64 v[101:102], v[101:102], v[103:104], v[107:108]
	v_div_fixup_f64 v[101:102], v[101:102], v[99:100], v[97:98]
	v_fma_f64 v[97:98], v[97:98], v[101:102], v[99:100]
	v_div_scale_f64 v[99:100], s[6:7], v[97:98], v[97:98], 1.0
	v_div_scale_f64 v[107:108], vcc, 1.0, v[97:98], 1.0
	v_rcp_f64_e32 v[103:104], v[99:100]
	v_fma_f64 v[105:106], -v[99:100], v[103:104], 1.0
	v_fma_f64 v[103:104], v[103:104], v[105:106], v[103:104]
	v_fma_f64 v[105:106], -v[99:100], v[103:104], 1.0
	v_fma_f64 v[103:104], v[103:104], v[105:106], v[103:104]
	v_mul_f64 v[105:106], v[107:108], v[103:104]
	v_fma_f64 v[99:100], -v[99:100], v[105:106], v[107:108]
	v_div_fmas_f64 v[99:100], v[99:100], v[103:104], v[105:106]
	v_div_fixup_f64 v[103:104], v[99:100], v[97:98], 1.0
                                        ; implicit-def: $vgpr97_vgpr98
	v_mul_f64 v[101:102], v[101:102], v[103:104]
	v_xor_b32_e32 v104, 0x80000000, v104
.LBB71_14:
	s_andn2_saveexec_b64 s[2:3], s[2:3]
	s_cbranch_execz .LBB71_16
; %bb.15:
	v_div_scale_f64 v[101:102], s[6:7], v[97:98], v[97:98], v[99:100]
	v_rcp_f64_e32 v[103:104], v[101:102]
	v_fma_f64 v[105:106], -v[101:102], v[103:104], 1.0
	v_fma_f64 v[103:104], v[103:104], v[105:106], v[103:104]
	v_div_scale_f64 v[105:106], vcc, v[99:100], v[97:98], v[99:100]
	v_fma_f64 v[107:108], -v[101:102], v[103:104], 1.0
	v_fma_f64 v[103:104], v[103:104], v[107:108], v[103:104]
	v_mul_f64 v[107:108], v[105:106], v[103:104]
	v_fma_f64 v[101:102], -v[101:102], v[107:108], v[105:106]
	v_div_fmas_f64 v[101:102], v[101:102], v[103:104], v[107:108]
	v_div_fixup_f64 v[103:104], v[101:102], v[97:98], v[99:100]
	v_fma_f64 v[97:98], v[99:100], v[103:104], v[97:98]
	v_div_scale_f64 v[99:100], s[6:7], v[97:98], v[97:98], 1.0
	v_div_scale_f64 v[107:108], vcc, 1.0, v[97:98], 1.0
	v_rcp_f64_e32 v[101:102], v[99:100]
	v_fma_f64 v[105:106], -v[99:100], v[101:102], 1.0
	v_fma_f64 v[101:102], v[101:102], v[105:106], v[101:102]
	v_fma_f64 v[105:106], -v[99:100], v[101:102], 1.0
	v_fma_f64 v[101:102], v[101:102], v[105:106], v[101:102]
	v_mul_f64 v[105:106], v[107:108], v[101:102]
	v_fma_f64 v[99:100], -v[99:100], v[105:106], v[107:108]
	v_div_fmas_f64 v[99:100], v[99:100], v[101:102], v[105:106]
	v_div_fixup_f64 v[101:102], v[99:100], v[97:98], 1.0
	v_mul_f64 v[103:104], v[103:104], -v[101:102]
.LBB71_16:
	s_or_b64 exec, exec, s[2:3]
	ds_write2_b64 v127, v[101:102], v[103:104] offset1:1
.LBB71_17:
	s_or_b64 exec, exec, s[4:5]
	s_waitcnt lgkmcnt(0)
	s_barrier
	ds_read2_b64 v[73:76], v127 offset1:1
	v_cmp_lt_u32_e32 vcc, 1, v0
	s_waitcnt lgkmcnt(0)
	buffer_store_dword v73, off, s[20:23], 0 offset:528 ; 4-byte Folded Spill
	s_nop 0
	buffer_store_dword v74, off, s[20:23], 0 offset:532 ; 4-byte Folded Spill
	buffer_store_dword v75, off, s[20:23], 0 offset:536 ; 4-byte Folded Spill
	;; [unrolled: 1-line block ×3, first 2 shown]
	s_and_saveexec_b64 s[2:3], vcc
	s_cbranch_execz .LBB71_19
; %bb.18:
	buffer_load_dword v121, off, s[20:23], 0 offset:144 ; 4-byte Folded Reload
	buffer_load_dword v122, off, s[20:23], 0 offset:148 ; 4-byte Folded Reload
	buffer_load_dword v123, off, s[20:23], 0 offset:152 ; 4-byte Folded Reload
	buffer_load_dword v124, off, s[20:23], 0 offset:156 ; 4-byte Folded Reload
	buffer_load_dword v73, off, s[20:23], 0 offset:528 ; 4-byte Folded Reload
	buffer_load_dword v74, off, s[20:23], 0 offset:532 ; 4-byte Folded Reload
	buffer_load_dword v75, off, s[20:23], 0 offset:536 ; 4-byte Folded Reload
	buffer_load_dword v76, off, s[20:23], 0 offset:540 ; 4-byte Folded Reload
	s_waitcnt vmcnt(2)
	v_mul_f64 v[99:100], v[73:74], v[123:124]
	s_waitcnt vmcnt(0)
	v_mul_f64 v[97:98], v[75:76], v[123:124]
	v_fma_f64 v[123:124], v[75:76], v[121:122], v[99:100]
	ds_read2_b64 v[99:102], v125 offset0:4 offset1:5
	v_fma_f64 v[97:98], v[73:74], v[121:122], -v[97:98]
	buffer_load_dword v73, off, s[20:23], 0 offset:128 ; 4-byte Folded Reload
	buffer_load_dword v74, off, s[20:23], 0 offset:132 ; 4-byte Folded Reload
	;; [unrolled: 1-line block ×4, first 2 shown]
	s_waitcnt lgkmcnt(0)
	v_mul_f64 v[103:104], v[101:102], v[123:124]
	v_mov_b32_e32 v122, v98
	v_mov_b32_e32 v121, v97
	v_fma_f64 v[103:104], v[99:100], v[97:98], -v[103:104]
	v_mul_f64 v[99:100], v[99:100], v[123:124]
	v_fma_f64 v[99:100], v[101:102], v[97:98], v[99:100]
	s_waitcnt vmcnt(2)
	v_add_f64 v[73:74], v[73:74], -v[103:104]
	s_waitcnt vmcnt(0)
	v_add_f64 v[75:76], v[75:76], -v[99:100]
	buffer_store_dword v73, off, s[20:23], 0 offset:128 ; 4-byte Folded Spill
	s_nop 0
	buffer_store_dword v74, off, s[20:23], 0 offset:132 ; 4-byte Folded Spill
	buffer_store_dword v75, off, s[20:23], 0 offset:136 ; 4-byte Folded Spill
	buffer_store_dword v76, off, s[20:23], 0 offset:140 ; 4-byte Folded Spill
	ds_read2_b64 v[99:102], v125 offset0:6 offset1:7
	buffer_load_dword v73, off, s[20:23], 0 offset:112 ; 4-byte Folded Reload
	buffer_load_dword v74, off, s[20:23], 0 offset:116 ; 4-byte Folded Reload
	buffer_load_dword v75, off, s[20:23], 0 offset:120 ; 4-byte Folded Reload
	buffer_load_dword v76, off, s[20:23], 0 offset:124 ; 4-byte Folded Reload
	s_waitcnt lgkmcnt(0)
	v_mul_f64 v[103:104], v[101:102], v[123:124]
	v_fma_f64 v[103:104], v[99:100], v[97:98], -v[103:104]
	v_mul_f64 v[99:100], v[99:100], v[123:124]
	v_fma_f64 v[99:100], v[101:102], v[97:98], v[99:100]
	s_waitcnt vmcnt(2)
	v_add_f64 v[73:74], v[73:74], -v[103:104]
	s_waitcnt vmcnt(0)
	v_add_f64 v[75:76], v[75:76], -v[99:100]
	buffer_store_dword v73, off, s[20:23], 0 offset:112 ; 4-byte Folded Spill
	s_nop 0
	buffer_store_dword v74, off, s[20:23], 0 offset:116 ; 4-byte Folded Spill
	buffer_store_dword v75, off, s[20:23], 0 offset:120 ; 4-byte Folded Spill
	buffer_store_dword v76, off, s[20:23], 0 offset:124 ; 4-byte Folded Spill
	ds_read2_b64 v[99:102], v125 offset0:8 offset1:9
	buffer_load_dword v73, off, s[20:23], 0 offset:96 ; 4-byte Folded Reload
	buffer_load_dword v74, off, s[20:23], 0 offset:100 ; 4-byte Folded Reload
	buffer_load_dword v75, off, s[20:23], 0 offset:104 ; 4-byte Folded Reload
	buffer_load_dword v76, off, s[20:23], 0 offset:108 ; 4-byte Folded Reload
	s_waitcnt lgkmcnt(0)
	v_mul_f64 v[103:104], v[101:102], v[123:124]
	v_fma_f64 v[103:104], v[99:100], v[97:98], -v[103:104]
	v_mul_f64 v[99:100], v[99:100], v[123:124]
	v_fma_f64 v[99:100], v[101:102], v[97:98], v[99:100]
	s_waitcnt vmcnt(2)
	v_add_f64 v[73:74], v[73:74], -v[103:104]
	s_waitcnt vmcnt(0)
	v_add_f64 v[75:76], v[75:76], -v[99:100]
	buffer_store_dword v73, off, s[20:23], 0 offset:96 ; 4-byte Folded Spill
	s_nop 0
	buffer_store_dword v74, off, s[20:23], 0 offset:100 ; 4-byte Folded Spill
	buffer_store_dword v75, off, s[20:23], 0 offset:104 ; 4-byte Folded Spill
	buffer_store_dword v76, off, s[20:23], 0 offset:108 ; 4-byte Folded Spill
	ds_read2_b64 v[99:102], v125 offset0:10 offset1:11
	buffer_load_dword v73, off, s[20:23], 0 offset:80 ; 4-byte Folded Reload
	buffer_load_dword v74, off, s[20:23], 0 offset:84 ; 4-byte Folded Reload
	buffer_load_dword v75, off, s[20:23], 0 offset:88 ; 4-byte Folded Reload
	buffer_load_dword v76, off, s[20:23], 0 offset:92 ; 4-byte Folded Reload
	s_waitcnt lgkmcnt(0)
	v_mul_f64 v[103:104], v[101:102], v[123:124]
	v_fma_f64 v[103:104], v[99:100], v[97:98], -v[103:104]
	v_mul_f64 v[99:100], v[99:100], v[123:124]
	v_fma_f64 v[99:100], v[101:102], v[97:98], v[99:100]
	s_waitcnt vmcnt(2)
	v_add_f64 v[73:74], v[73:74], -v[103:104]
	s_waitcnt vmcnt(0)
	v_add_f64 v[75:76], v[75:76], -v[99:100]
	buffer_store_dword v73, off, s[20:23], 0 offset:80 ; 4-byte Folded Spill
	s_nop 0
	buffer_store_dword v74, off, s[20:23], 0 offset:84 ; 4-byte Folded Spill
	buffer_store_dword v75, off, s[20:23], 0 offset:88 ; 4-byte Folded Spill
	;; [unrolled: 1-line block ×3, first 2 shown]
	ds_read2_b64 v[99:102], v125 offset0:12 offset1:13
	s_waitcnt lgkmcnt(0)
	v_mul_f64 v[103:104], v[101:102], v[123:124]
	v_fma_f64 v[103:104], v[99:100], v[97:98], -v[103:104]
	v_mul_f64 v[99:100], v[99:100], v[123:124]
	v_add_f64 v[89:90], v[89:90], -v[103:104]
	v_fma_f64 v[99:100], v[101:102], v[97:98], v[99:100]
	v_add_f64 v[91:92], v[91:92], -v[99:100]
	ds_read2_b64 v[99:102], v125 offset0:14 offset1:15
	s_waitcnt lgkmcnt(0)
	v_mul_f64 v[103:104], v[101:102], v[123:124]
	v_fma_f64 v[103:104], v[99:100], v[97:98], -v[103:104]
	v_mul_f64 v[99:100], v[99:100], v[123:124]
	v_add_f64 v[85:86], v[85:86], -v[103:104]
	v_fma_f64 v[99:100], v[101:102], v[97:98], v[99:100]
	v_add_f64 v[87:88], v[87:88], -v[99:100]
	ds_read2_b64 v[99:102], v125 offset0:16 offset1:17
	buffer_load_dword v73, off, s[20:23], 0 offset:64 ; 4-byte Folded Reload
	buffer_load_dword v74, off, s[20:23], 0 offset:68 ; 4-byte Folded Reload
	;; [unrolled: 1-line block ×4, first 2 shown]
	s_waitcnt lgkmcnt(0)
	v_mul_f64 v[103:104], v[101:102], v[123:124]
	v_fma_f64 v[103:104], v[99:100], v[97:98], -v[103:104]
	v_mul_f64 v[99:100], v[99:100], v[123:124]
	v_fma_f64 v[99:100], v[101:102], v[97:98], v[99:100]
	s_waitcnt vmcnt(2)
	v_add_f64 v[73:74], v[73:74], -v[103:104]
	s_waitcnt vmcnt(0)
	v_add_f64 v[75:76], v[75:76], -v[99:100]
	buffer_store_dword v73, off, s[20:23], 0 offset:64 ; 4-byte Folded Spill
	s_nop 0
	buffer_store_dword v74, off, s[20:23], 0 offset:68 ; 4-byte Folded Spill
	buffer_store_dword v75, off, s[20:23], 0 offset:72 ; 4-byte Folded Spill
	;; [unrolled: 1-line block ×3, first 2 shown]
	ds_read2_b64 v[99:102], v125 offset0:18 offset1:19
	s_waitcnt lgkmcnt(0)
	v_mul_f64 v[103:104], v[101:102], v[123:124]
	v_fma_f64 v[103:104], v[99:100], v[97:98], -v[103:104]
	v_mul_f64 v[99:100], v[99:100], v[123:124]
	v_add_f64 v[81:82], v[81:82], -v[103:104]
	v_fma_f64 v[99:100], v[101:102], v[97:98], v[99:100]
	v_add_f64 v[83:84], v[83:84], -v[99:100]
	ds_read2_b64 v[99:102], v125 offset0:20 offset1:21
	buffer_load_dword v73, off, s[20:23], 0 offset:48 ; 4-byte Folded Reload
	buffer_load_dword v74, off, s[20:23], 0 offset:52 ; 4-byte Folded Reload
	;; [unrolled: 1-line block ×4, first 2 shown]
	s_waitcnt lgkmcnt(0)
	v_mul_f64 v[103:104], v[101:102], v[123:124]
	v_fma_f64 v[103:104], v[99:100], v[97:98], -v[103:104]
	v_mul_f64 v[99:100], v[99:100], v[123:124]
	v_fma_f64 v[99:100], v[101:102], v[97:98], v[99:100]
	s_waitcnt vmcnt(2)
	v_add_f64 v[73:74], v[73:74], -v[103:104]
	s_waitcnt vmcnt(0)
	v_add_f64 v[75:76], v[75:76], -v[99:100]
	buffer_store_dword v73, off, s[20:23], 0 offset:48 ; 4-byte Folded Spill
	s_nop 0
	buffer_store_dword v74, off, s[20:23], 0 offset:52 ; 4-byte Folded Spill
	buffer_store_dword v75, off, s[20:23], 0 offset:56 ; 4-byte Folded Spill
	;; [unrolled: 1-line block ×3, first 2 shown]
	ds_read2_b64 v[99:102], v125 offset0:22 offset1:23
	s_waitcnt lgkmcnt(0)
	v_mul_f64 v[103:104], v[101:102], v[123:124]
	v_fma_f64 v[103:104], v[99:100], v[97:98], -v[103:104]
	v_mul_f64 v[99:100], v[99:100], v[123:124]
	v_add_f64 v[117:118], v[117:118], -v[103:104]
	v_fma_f64 v[99:100], v[101:102], v[97:98], v[99:100]
	v_add_f64 v[119:120], v[119:120], -v[99:100]
	ds_read2_b64 v[99:102], v125 offset0:24 offset1:25
	s_waitcnt lgkmcnt(0)
	v_mul_f64 v[103:104], v[101:102], v[123:124]
	v_fma_f64 v[103:104], v[99:100], v[97:98], -v[103:104]
	v_mul_f64 v[99:100], v[99:100], v[123:124]
	v_add_f64 v[109:110], v[109:110], -v[103:104]
	v_fma_f64 v[99:100], v[101:102], v[97:98], v[99:100]
	v_add_f64 v[111:112], v[111:112], -v[99:100]
	ds_read2_b64 v[99:102], v125 offset0:26 offset1:27
	buffer_load_dword v105, off, s[20:23], 0 offset:32 ; 4-byte Folded Reload
	buffer_load_dword v106, off, s[20:23], 0 offset:36 ; 4-byte Folded Reload
	buffer_load_dword v107, off, s[20:23], 0 offset:40 ; 4-byte Folded Reload
	buffer_load_dword v108, off, s[20:23], 0 offset:44 ; 4-byte Folded Reload
	s_waitcnt lgkmcnt(0)
	v_mul_f64 v[103:104], v[101:102], v[123:124]
	v_fma_f64 v[103:104], v[99:100], v[97:98], -v[103:104]
	v_mul_f64 v[99:100], v[99:100], v[123:124]
	v_fma_f64 v[99:100], v[101:102], v[97:98], v[99:100]
	s_waitcnt vmcnt(2)
	v_add_f64 v[105:106], v[105:106], -v[103:104]
	s_waitcnt vmcnt(0)
	v_add_f64 v[107:108], v[107:108], -v[99:100]
	buffer_store_dword v105, off, s[20:23], 0 offset:32 ; 4-byte Folded Spill
	s_nop 0
	buffer_store_dword v106, off, s[20:23], 0 offset:36 ; 4-byte Folded Spill
	buffer_store_dword v107, off, s[20:23], 0 offset:40 ; 4-byte Folded Spill
	;; [unrolled: 1-line block ×3, first 2 shown]
	ds_read2_b64 v[99:102], v125 offset0:28 offset1:29
	s_waitcnt lgkmcnt(0)
	v_mul_f64 v[103:104], v[101:102], v[123:124]
	v_fma_f64 v[103:104], v[99:100], v[97:98], -v[103:104]
	v_mul_f64 v[99:100], v[99:100], v[123:124]
	v_add_f64 v[93:94], v[93:94], -v[103:104]
	v_fma_f64 v[99:100], v[101:102], v[97:98], v[99:100]
	v_add_f64 v[95:96], v[95:96], -v[99:100]
	ds_read2_b64 v[99:102], v125 offset0:30 offset1:31
	buffer_load_dword v77, off, s[20:23], 0 offset:16 ; 4-byte Folded Reload
	buffer_load_dword v78, off, s[20:23], 0 offset:20 ; 4-byte Folded Reload
	;; [unrolled: 1-line block ×4, first 2 shown]
	s_waitcnt lgkmcnt(0)
	v_mul_f64 v[103:104], v[101:102], v[123:124]
	v_fma_f64 v[103:104], v[99:100], v[97:98], -v[103:104]
	v_mul_f64 v[99:100], v[99:100], v[123:124]
	v_fma_f64 v[99:100], v[101:102], v[97:98], v[99:100]
	s_waitcnt vmcnt(2)
	v_add_f64 v[77:78], v[77:78], -v[103:104]
	s_waitcnt vmcnt(0)
	v_add_f64 v[79:80], v[79:80], -v[99:100]
	buffer_store_dword v77, off, s[20:23], 0 offset:16 ; 4-byte Folded Spill
	s_nop 0
	buffer_store_dword v78, off, s[20:23], 0 offset:20 ; 4-byte Folded Spill
	buffer_store_dword v79, off, s[20:23], 0 offset:24 ; 4-byte Folded Spill
	;; [unrolled: 1-line block ×3, first 2 shown]
	ds_read2_b64 v[99:102], v125 offset0:32 offset1:33
	buffer_load_dword v73, off, s[20:23], 0 ; 4-byte Folded Reload
	buffer_load_dword v74, off, s[20:23], 0 offset:4 ; 4-byte Folded Reload
	buffer_load_dword v75, off, s[20:23], 0 offset:8 ; 4-byte Folded Reload
	;; [unrolled: 1-line block ×3, first 2 shown]
	s_waitcnt lgkmcnt(0)
	v_mul_f64 v[103:104], v[101:102], v[123:124]
	v_fma_f64 v[103:104], v[99:100], v[97:98], -v[103:104]
	v_mul_f64 v[99:100], v[99:100], v[123:124]
	v_fma_f64 v[99:100], v[101:102], v[97:98], v[99:100]
	s_waitcnt vmcnt(2)
	v_add_f64 v[73:74], v[73:74], -v[103:104]
	s_waitcnt vmcnt(0)
	v_add_f64 v[75:76], v[75:76], -v[99:100]
	buffer_store_dword v73, off, s[20:23], 0 ; 4-byte Folded Spill
	s_nop 0
	buffer_store_dword v74, off, s[20:23], 0 offset:4 ; 4-byte Folded Spill
	buffer_store_dword v75, off, s[20:23], 0 offset:8 ; 4-byte Folded Spill
	;; [unrolled: 1-line block ×3, first 2 shown]
	ds_read2_b64 v[99:102], v125 offset0:34 offset1:35
	s_waitcnt lgkmcnt(0)
	v_mul_f64 v[103:104], v[101:102], v[123:124]
	v_fma_f64 v[103:104], v[99:100], v[97:98], -v[103:104]
	v_mul_f64 v[99:100], v[99:100], v[123:124]
	v_add_f64 v[69:70], v[69:70], -v[103:104]
	v_fma_f64 v[99:100], v[101:102], v[97:98], v[99:100]
	v_add_f64 v[71:72], v[71:72], -v[99:100]
	ds_read2_b64 v[99:102], v125 offset0:36 offset1:37
	s_waitcnt lgkmcnt(0)
	v_mul_f64 v[103:104], v[101:102], v[123:124]
	v_fma_f64 v[103:104], v[99:100], v[97:98], -v[103:104]
	v_mul_f64 v[99:100], v[99:100], v[123:124]
	v_add_f64 v[65:66], v[65:66], -v[103:104]
	v_fma_f64 v[99:100], v[101:102], v[97:98], v[99:100]
	v_add_f64 v[67:68], v[67:68], -v[99:100]
	;; [unrolled: 8-line block ×18, first 2 shown]
	ds_read2_b64 v[99:102], v125 offset0:70 offset1:71
	s_waitcnt lgkmcnt(0)
	v_mul_f64 v[103:104], v[101:102], v[123:124]
	v_fma_f64 v[103:104], v[99:100], v[97:98], -v[103:104]
	v_mul_f64 v[99:100], v[99:100], v[123:124]
	buffer_store_dword v121, off, s[20:23], 0 offset:144 ; 4-byte Folded Spill
	s_nop 0
	buffer_store_dword v122, off, s[20:23], 0 offset:148 ; 4-byte Folded Spill
	buffer_store_dword v123, off, s[20:23], 0 offset:152 ; 4-byte Folded Spill
	;; [unrolled: 1-line block ×3, first 2 shown]
	v_add_f64 v[113:114], v[113:114], -v[103:104]
	v_fma_f64 v[99:100], v[101:102], v[97:98], v[99:100]
	v_add_f64 v[115:116], v[115:116], -v[99:100]
.LBB71_19:
	s_or_b64 exec, exec, s[2:3]
	v_cmp_eq_u32_e32 vcc, 2, v0
	s_waitcnt vmcnt(0)
	s_barrier
	s_and_saveexec_b64 s[4:5], vcc
	s_cbranch_execz .LBB71_26
; %bb.20:
	buffer_load_dword v73, off, s[20:23], 0 offset:128 ; 4-byte Folded Reload
	buffer_load_dword v74, off, s[20:23], 0 offset:132 ; 4-byte Folded Reload
	;; [unrolled: 1-line block ×4, first 2 shown]
	s_waitcnt vmcnt(0)
	ds_write2_b64 v127, v[73:74], v[75:76] offset1:1
	buffer_load_dword v73, off, s[20:23], 0 offset:112 ; 4-byte Folded Reload
	buffer_load_dword v74, off, s[20:23], 0 offset:116 ; 4-byte Folded Reload
	buffer_load_dword v75, off, s[20:23], 0 offset:120 ; 4-byte Folded Reload
	buffer_load_dword v76, off, s[20:23], 0 offset:124 ; 4-byte Folded Reload
	s_waitcnt vmcnt(0)
	ds_write2_b64 v125, v[73:74], v[75:76] offset0:6 offset1:7
	buffer_load_dword v73, off, s[20:23], 0 offset:96 ; 4-byte Folded Reload
	buffer_load_dword v74, off, s[20:23], 0 offset:100 ; 4-byte Folded Reload
	buffer_load_dword v75, off, s[20:23], 0 offset:104 ; 4-byte Folded Reload
	buffer_load_dword v76, off, s[20:23], 0 offset:108 ; 4-byte Folded Reload
	s_waitcnt vmcnt(0)
	ds_write2_b64 v125, v[73:74], v[75:76] offset0:8 offset1:9
	;; [unrolled: 6-line block ×3, first 2 shown]
	ds_write2_b64 v125, v[89:90], v[91:92] offset0:12 offset1:13
	ds_write2_b64 v125, v[85:86], v[87:88] offset0:14 offset1:15
	buffer_load_dword v73, off, s[20:23], 0 offset:64 ; 4-byte Folded Reload
	buffer_load_dword v74, off, s[20:23], 0 offset:68 ; 4-byte Folded Reload
	;; [unrolled: 1-line block ×4, first 2 shown]
	s_waitcnt vmcnt(0)
	ds_write2_b64 v125, v[73:74], v[75:76] offset0:16 offset1:17
	ds_write2_b64 v125, v[81:82], v[83:84] offset0:18 offset1:19
	buffer_load_dword v73, off, s[20:23], 0 offset:48 ; 4-byte Folded Reload
	buffer_load_dword v74, off, s[20:23], 0 offset:52 ; 4-byte Folded Reload
	;; [unrolled: 1-line block ×4, first 2 shown]
	s_waitcnt vmcnt(0)
	ds_write2_b64 v125, v[73:74], v[75:76] offset0:20 offset1:21
	ds_write2_b64 v125, v[117:118], v[119:120] offset0:22 offset1:23
	;; [unrolled: 1-line block ×3, first 2 shown]
	buffer_load_dword v97, off, s[20:23], 0 offset:32 ; 4-byte Folded Reload
	buffer_load_dword v98, off, s[20:23], 0 offset:36 ; 4-byte Folded Reload
	;; [unrolled: 1-line block ×4, first 2 shown]
	s_waitcnt vmcnt(0)
	ds_write2_b64 v125, v[97:98], v[99:100] offset0:26 offset1:27
	ds_write2_b64 v125, v[93:94], v[95:96] offset0:28 offset1:29
	buffer_load_dword v77, off, s[20:23], 0 offset:16 ; 4-byte Folded Reload
	buffer_load_dword v78, off, s[20:23], 0 offset:20 ; 4-byte Folded Reload
	;; [unrolled: 1-line block ×4, first 2 shown]
	s_waitcnt vmcnt(0)
	ds_write2_b64 v125, v[77:78], v[79:80] offset0:30 offset1:31
	buffer_load_dword v73, off, s[20:23], 0 ; 4-byte Folded Reload
	buffer_load_dword v74, off, s[20:23], 0 offset:4 ; 4-byte Folded Reload
	buffer_load_dword v75, off, s[20:23], 0 offset:8 ; 4-byte Folded Reload
	;; [unrolled: 1-line block ×3, first 2 shown]
	s_waitcnt vmcnt(0)
	ds_write2_b64 v125, v[73:74], v[75:76] offset0:32 offset1:33
	ds_write2_b64 v125, v[69:70], v[71:72] offset0:34 offset1:35
	;; [unrolled: 1-line block ×20, first 2 shown]
	ds_read2_b64 v[97:100], v127 offset1:1
	s_waitcnt lgkmcnt(0)
	v_cmp_neq_f64_e32 vcc, 0, v[97:98]
	v_cmp_neq_f64_e64 s[2:3], 0, v[99:100]
	s_or_b64 s[2:3], vcc, s[2:3]
	s_and_b64 exec, exec, s[2:3]
	s_cbranch_execz .LBB71_26
; %bb.21:
	v_cmp_ngt_f64_e64 s[2:3], |v[97:98]|, |v[99:100]|
                                        ; implicit-def: $vgpr101_vgpr102
	s_and_saveexec_b64 s[6:7], s[2:3]
	s_xor_b64 s[2:3], exec, s[6:7]
                                        ; implicit-def: $vgpr103_vgpr104
	s_cbranch_execz .LBB71_23
; %bb.22:
	v_div_scale_f64 v[101:102], s[6:7], v[99:100], v[99:100], v[97:98]
	v_rcp_f64_e32 v[103:104], v[101:102]
	v_fma_f64 v[105:106], -v[101:102], v[103:104], 1.0
	v_fma_f64 v[103:104], v[103:104], v[105:106], v[103:104]
	v_div_scale_f64 v[105:106], vcc, v[97:98], v[99:100], v[97:98]
	v_fma_f64 v[107:108], -v[101:102], v[103:104], 1.0
	v_fma_f64 v[103:104], v[103:104], v[107:108], v[103:104]
	v_mul_f64 v[107:108], v[105:106], v[103:104]
	v_fma_f64 v[101:102], -v[101:102], v[107:108], v[105:106]
	v_div_fmas_f64 v[101:102], v[101:102], v[103:104], v[107:108]
	v_div_fixup_f64 v[101:102], v[101:102], v[99:100], v[97:98]
	v_fma_f64 v[97:98], v[97:98], v[101:102], v[99:100]
	v_div_scale_f64 v[99:100], s[6:7], v[97:98], v[97:98], 1.0
	v_div_scale_f64 v[107:108], vcc, 1.0, v[97:98], 1.0
	v_rcp_f64_e32 v[103:104], v[99:100]
	v_fma_f64 v[105:106], -v[99:100], v[103:104], 1.0
	v_fma_f64 v[103:104], v[103:104], v[105:106], v[103:104]
	v_fma_f64 v[105:106], -v[99:100], v[103:104], 1.0
	v_fma_f64 v[103:104], v[103:104], v[105:106], v[103:104]
	v_mul_f64 v[105:106], v[107:108], v[103:104]
	v_fma_f64 v[99:100], -v[99:100], v[105:106], v[107:108]
	v_div_fmas_f64 v[99:100], v[99:100], v[103:104], v[105:106]
	v_div_fixup_f64 v[103:104], v[99:100], v[97:98], 1.0
                                        ; implicit-def: $vgpr97_vgpr98
	v_mul_f64 v[101:102], v[101:102], v[103:104]
	v_xor_b32_e32 v104, 0x80000000, v104
.LBB71_23:
	s_andn2_saveexec_b64 s[2:3], s[2:3]
	s_cbranch_execz .LBB71_25
; %bb.24:
	v_div_scale_f64 v[101:102], s[6:7], v[97:98], v[97:98], v[99:100]
	v_rcp_f64_e32 v[103:104], v[101:102]
	v_fma_f64 v[105:106], -v[101:102], v[103:104], 1.0
	v_fma_f64 v[103:104], v[103:104], v[105:106], v[103:104]
	v_div_scale_f64 v[105:106], vcc, v[99:100], v[97:98], v[99:100]
	v_fma_f64 v[107:108], -v[101:102], v[103:104], 1.0
	v_fma_f64 v[103:104], v[103:104], v[107:108], v[103:104]
	v_mul_f64 v[107:108], v[105:106], v[103:104]
	v_fma_f64 v[101:102], -v[101:102], v[107:108], v[105:106]
	v_div_fmas_f64 v[101:102], v[101:102], v[103:104], v[107:108]
	v_div_fixup_f64 v[103:104], v[101:102], v[97:98], v[99:100]
	v_fma_f64 v[97:98], v[99:100], v[103:104], v[97:98]
	v_div_scale_f64 v[99:100], s[6:7], v[97:98], v[97:98], 1.0
	v_div_scale_f64 v[107:108], vcc, 1.0, v[97:98], 1.0
	v_rcp_f64_e32 v[101:102], v[99:100]
	v_fma_f64 v[105:106], -v[99:100], v[101:102], 1.0
	v_fma_f64 v[101:102], v[101:102], v[105:106], v[101:102]
	v_fma_f64 v[105:106], -v[99:100], v[101:102], 1.0
	v_fma_f64 v[101:102], v[101:102], v[105:106], v[101:102]
	v_mul_f64 v[105:106], v[107:108], v[101:102]
	v_fma_f64 v[99:100], -v[99:100], v[105:106], v[107:108]
	v_div_fmas_f64 v[99:100], v[99:100], v[101:102], v[105:106]
	v_div_fixup_f64 v[101:102], v[99:100], v[97:98], 1.0
	v_mul_f64 v[103:104], v[103:104], -v[101:102]
.LBB71_25:
	s_or_b64 exec, exec, s[2:3]
	ds_write2_b64 v127, v[101:102], v[103:104] offset1:1
.LBB71_26:
	s_or_b64 exec, exec, s[4:5]
	s_waitcnt lgkmcnt(0)
	s_barrier
	ds_read2_b64 v[73:76], v127 offset1:1
	v_cmp_lt_u32_e32 vcc, 2, v0
	s_waitcnt lgkmcnt(0)
	buffer_store_dword v73, off, s[20:23], 0 offset:544 ; 4-byte Folded Spill
	s_nop 0
	buffer_store_dword v74, off, s[20:23], 0 offset:548 ; 4-byte Folded Spill
	buffer_store_dword v75, off, s[20:23], 0 offset:552 ; 4-byte Folded Spill
	;; [unrolled: 1-line block ×3, first 2 shown]
	s_and_saveexec_b64 s[2:3], vcc
	s_cbranch_execz .LBB71_28
; %bb.27:
	buffer_load_dword v121, off, s[20:23], 0 offset:128 ; 4-byte Folded Reload
	buffer_load_dword v122, off, s[20:23], 0 offset:132 ; 4-byte Folded Reload
	;; [unrolled: 1-line block ×8, first 2 shown]
	s_waitcnt vmcnt(2)
	v_mul_f64 v[99:100], v[73:74], v[123:124]
	s_waitcnt vmcnt(0)
	v_mul_f64 v[97:98], v[75:76], v[123:124]
	v_fma_f64 v[123:124], v[75:76], v[121:122], v[99:100]
	ds_read2_b64 v[99:102], v125 offset0:6 offset1:7
	v_fma_f64 v[97:98], v[73:74], v[121:122], -v[97:98]
	buffer_load_dword v73, off, s[20:23], 0 offset:112 ; 4-byte Folded Reload
	buffer_load_dword v74, off, s[20:23], 0 offset:116 ; 4-byte Folded Reload
	buffer_load_dword v75, off, s[20:23], 0 offset:120 ; 4-byte Folded Reload
	buffer_load_dword v76, off, s[20:23], 0 offset:124 ; 4-byte Folded Reload
	s_waitcnt lgkmcnt(0)
	v_mul_f64 v[103:104], v[101:102], v[123:124]
	v_mov_b32_e32 v122, v98
	v_mov_b32_e32 v121, v97
	v_fma_f64 v[103:104], v[99:100], v[97:98], -v[103:104]
	v_mul_f64 v[99:100], v[99:100], v[123:124]
	v_fma_f64 v[99:100], v[101:102], v[97:98], v[99:100]
	s_waitcnt vmcnt(2)
	v_add_f64 v[73:74], v[73:74], -v[103:104]
	s_waitcnt vmcnt(0)
	v_add_f64 v[75:76], v[75:76], -v[99:100]
	buffer_store_dword v73, off, s[20:23], 0 offset:112 ; 4-byte Folded Spill
	s_nop 0
	buffer_store_dword v74, off, s[20:23], 0 offset:116 ; 4-byte Folded Spill
	buffer_store_dword v75, off, s[20:23], 0 offset:120 ; 4-byte Folded Spill
	;; [unrolled: 1-line block ×3, first 2 shown]
	ds_read2_b64 v[99:102], v125 offset0:8 offset1:9
	buffer_load_dword v73, off, s[20:23], 0 offset:96 ; 4-byte Folded Reload
	buffer_load_dword v74, off, s[20:23], 0 offset:100 ; 4-byte Folded Reload
	;; [unrolled: 1-line block ×4, first 2 shown]
	s_waitcnt lgkmcnt(0)
	v_mul_f64 v[103:104], v[101:102], v[123:124]
	v_fma_f64 v[103:104], v[99:100], v[97:98], -v[103:104]
	v_mul_f64 v[99:100], v[99:100], v[123:124]
	v_fma_f64 v[99:100], v[101:102], v[97:98], v[99:100]
	s_waitcnt vmcnt(2)
	v_add_f64 v[73:74], v[73:74], -v[103:104]
	s_waitcnt vmcnt(0)
	v_add_f64 v[75:76], v[75:76], -v[99:100]
	buffer_store_dword v73, off, s[20:23], 0 offset:96 ; 4-byte Folded Spill
	s_nop 0
	buffer_store_dword v74, off, s[20:23], 0 offset:100 ; 4-byte Folded Spill
	buffer_store_dword v75, off, s[20:23], 0 offset:104 ; 4-byte Folded Spill
	;; [unrolled: 1-line block ×3, first 2 shown]
	ds_read2_b64 v[99:102], v125 offset0:10 offset1:11
	buffer_load_dword v73, off, s[20:23], 0 offset:80 ; 4-byte Folded Reload
	buffer_load_dword v74, off, s[20:23], 0 offset:84 ; 4-byte Folded Reload
	;; [unrolled: 1-line block ×4, first 2 shown]
	s_waitcnt lgkmcnt(0)
	v_mul_f64 v[103:104], v[101:102], v[123:124]
	v_fma_f64 v[103:104], v[99:100], v[97:98], -v[103:104]
	v_mul_f64 v[99:100], v[99:100], v[123:124]
	v_fma_f64 v[99:100], v[101:102], v[97:98], v[99:100]
	s_waitcnt vmcnt(2)
	v_add_f64 v[73:74], v[73:74], -v[103:104]
	s_waitcnt vmcnt(0)
	v_add_f64 v[75:76], v[75:76], -v[99:100]
	buffer_store_dword v73, off, s[20:23], 0 offset:80 ; 4-byte Folded Spill
	s_nop 0
	buffer_store_dword v74, off, s[20:23], 0 offset:84 ; 4-byte Folded Spill
	buffer_store_dword v75, off, s[20:23], 0 offset:88 ; 4-byte Folded Spill
	;; [unrolled: 1-line block ×3, first 2 shown]
	ds_read2_b64 v[99:102], v125 offset0:12 offset1:13
	s_waitcnt lgkmcnt(0)
	v_mul_f64 v[103:104], v[101:102], v[123:124]
	v_fma_f64 v[103:104], v[99:100], v[97:98], -v[103:104]
	v_mul_f64 v[99:100], v[99:100], v[123:124]
	v_add_f64 v[89:90], v[89:90], -v[103:104]
	v_fma_f64 v[99:100], v[101:102], v[97:98], v[99:100]
	v_add_f64 v[91:92], v[91:92], -v[99:100]
	ds_read2_b64 v[99:102], v125 offset0:14 offset1:15
	s_waitcnt lgkmcnt(0)
	v_mul_f64 v[103:104], v[101:102], v[123:124]
	v_fma_f64 v[103:104], v[99:100], v[97:98], -v[103:104]
	v_mul_f64 v[99:100], v[99:100], v[123:124]
	v_add_f64 v[85:86], v[85:86], -v[103:104]
	v_fma_f64 v[99:100], v[101:102], v[97:98], v[99:100]
	v_add_f64 v[87:88], v[87:88], -v[99:100]
	ds_read2_b64 v[99:102], v125 offset0:16 offset1:17
	buffer_load_dword v73, off, s[20:23], 0 offset:64 ; 4-byte Folded Reload
	buffer_load_dword v74, off, s[20:23], 0 offset:68 ; 4-byte Folded Reload
	;; [unrolled: 1-line block ×4, first 2 shown]
	s_waitcnt lgkmcnt(0)
	v_mul_f64 v[103:104], v[101:102], v[123:124]
	v_fma_f64 v[103:104], v[99:100], v[97:98], -v[103:104]
	v_mul_f64 v[99:100], v[99:100], v[123:124]
	v_fma_f64 v[99:100], v[101:102], v[97:98], v[99:100]
	s_waitcnt vmcnt(2)
	v_add_f64 v[73:74], v[73:74], -v[103:104]
	s_waitcnt vmcnt(0)
	v_add_f64 v[75:76], v[75:76], -v[99:100]
	buffer_store_dword v73, off, s[20:23], 0 offset:64 ; 4-byte Folded Spill
	s_nop 0
	buffer_store_dword v74, off, s[20:23], 0 offset:68 ; 4-byte Folded Spill
	buffer_store_dword v75, off, s[20:23], 0 offset:72 ; 4-byte Folded Spill
	;; [unrolled: 1-line block ×3, first 2 shown]
	ds_read2_b64 v[99:102], v125 offset0:18 offset1:19
	s_waitcnt lgkmcnt(0)
	v_mul_f64 v[103:104], v[101:102], v[123:124]
	v_fma_f64 v[103:104], v[99:100], v[97:98], -v[103:104]
	v_mul_f64 v[99:100], v[99:100], v[123:124]
	v_add_f64 v[81:82], v[81:82], -v[103:104]
	v_fma_f64 v[99:100], v[101:102], v[97:98], v[99:100]
	v_add_f64 v[83:84], v[83:84], -v[99:100]
	ds_read2_b64 v[99:102], v125 offset0:20 offset1:21
	buffer_load_dword v73, off, s[20:23], 0 offset:48 ; 4-byte Folded Reload
	buffer_load_dword v74, off, s[20:23], 0 offset:52 ; 4-byte Folded Reload
	buffer_load_dword v75, off, s[20:23], 0 offset:56 ; 4-byte Folded Reload
	buffer_load_dword v76, off, s[20:23], 0 offset:60 ; 4-byte Folded Reload
	s_waitcnt lgkmcnt(0)
	v_mul_f64 v[103:104], v[101:102], v[123:124]
	v_fma_f64 v[103:104], v[99:100], v[97:98], -v[103:104]
	v_mul_f64 v[99:100], v[99:100], v[123:124]
	v_fma_f64 v[99:100], v[101:102], v[97:98], v[99:100]
	s_waitcnt vmcnt(2)
	v_add_f64 v[73:74], v[73:74], -v[103:104]
	s_waitcnt vmcnt(0)
	v_add_f64 v[75:76], v[75:76], -v[99:100]
	buffer_store_dword v73, off, s[20:23], 0 offset:48 ; 4-byte Folded Spill
	s_nop 0
	buffer_store_dword v74, off, s[20:23], 0 offset:52 ; 4-byte Folded Spill
	buffer_store_dword v75, off, s[20:23], 0 offset:56 ; 4-byte Folded Spill
	;; [unrolled: 1-line block ×3, first 2 shown]
	ds_read2_b64 v[99:102], v125 offset0:22 offset1:23
	s_waitcnt lgkmcnt(0)
	v_mul_f64 v[103:104], v[101:102], v[123:124]
	v_fma_f64 v[103:104], v[99:100], v[97:98], -v[103:104]
	v_mul_f64 v[99:100], v[99:100], v[123:124]
	v_add_f64 v[117:118], v[117:118], -v[103:104]
	v_fma_f64 v[99:100], v[101:102], v[97:98], v[99:100]
	v_add_f64 v[119:120], v[119:120], -v[99:100]
	ds_read2_b64 v[99:102], v125 offset0:24 offset1:25
	s_waitcnt lgkmcnt(0)
	v_mul_f64 v[103:104], v[101:102], v[123:124]
	v_fma_f64 v[103:104], v[99:100], v[97:98], -v[103:104]
	v_mul_f64 v[99:100], v[99:100], v[123:124]
	v_add_f64 v[109:110], v[109:110], -v[103:104]
	v_fma_f64 v[99:100], v[101:102], v[97:98], v[99:100]
	v_add_f64 v[111:112], v[111:112], -v[99:100]
	ds_read2_b64 v[99:102], v125 offset0:26 offset1:27
	buffer_load_dword v105, off, s[20:23], 0 offset:32 ; 4-byte Folded Reload
	buffer_load_dword v106, off, s[20:23], 0 offset:36 ; 4-byte Folded Reload
	;; [unrolled: 1-line block ×4, first 2 shown]
	s_waitcnt lgkmcnt(0)
	v_mul_f64 v[103:104], v[101:102], v[123:124]
	v_fma_f64 v[103:104], v[99:100], v[97:98], -v[103:104]
	v_mul_f64 v[99:100], v[99:100], v[123:124]
	v_fma_f64 v[99:100], v[101:102], v[97:98], v[99:100]
	s_waitcnt vmcnt(2)
	v_add_f64 v[105:106], v[105:106], -v[103:104]
	s_waitcnt vmcnt(0)
	v_add_f64 v[107:108], v[107:108], -v[99:100]
	buffer_store_dword v105, off, s[20:23], 0 offset:32 ; 4-byte Folded Spill
	s_nop 0
	buffer_store_dword v106, off, s[20:23], 0 offset:36 ; 4-byte Folded Spill
	buffer_store_dword v107, off, s[20:23], 0 offset:40 ; 4-byte Folded Spill
	;; [unrolled: 1-line block ×3, first 2 shown]
	ds_read2_b64 v[99:102], v125 offset0:28 offset1:29
	s_waitcnt lgkmcnt(0)
	v_mul_f64 v[103:104], v[101:102], v[123:124]
	v_fma_f64 v[103:104], v[99:100], v[97:98], -v[103:104]
	v_mul_f64 v[99:100], v[99:100], v[123:124]
	v_add_f64 v[93:94], v[93:94], -v[103:104]
	v_fma_f64 v[99:100], v[101:102], v[97:98], v[99:100]
	v_add_f64 v[95:96], v[95:96], -v[99:100]
	ds_read2_b64 v[99:102], v125 offset0:30 offset1:31
	buffer_load_dword v77, off, s[20:23], 0 offset:16 ; 4-byte Folded Reload
	buffer_load_dword v78, off, s[20:23], 0 offset:20 ; 4-byte Folded Reload
	;; [unrolled: 1-line block ×4, first 2 shown]
	s_waitcnt lgkmcnt(0)
	v_mul_f64 v[103:104], v[101:102], v[123:124]
	v_fma_f64 v[103:104], v[99:100], v[97:98], -v[103:104]
	v_mul_f64 v[99:100], v[99:100], v[123:124]
	v_fma_f64 v[99:100], v[101:102], v[97:98], v[99:100]
	s_waitcnt vmcnt(2)
	v_add_f64 v[77:78], v[77:78], -v[103:104]
	s_waitcnt vmcnt(0)
	v_add_f64 v[79:80], v[79:80], -v[99:100]
	buffer_store_dword v77, off, s[20:23], 0 offset:16 ; 4-byte Folded Spill
	s_nop 0
	buffer_store_dword v78, off, s[20:23], 0 offset:20 ; 4-byte Folded Spill
	buffer_store_dword v79, off, s[20:23], 0 offset:24 ; 4-byte Folded Spill
	buffer_store_dword v80, off, s[20:23], 0 offset:28 ; 4-byte Folded Spill
	ds_read2_b64 v[99:102], v125 offset0:32 offset1:33
	buffer_load_dword v73, off, s[20:23], 0 ; 4-byte Folded Reload
	buffer_load_dword v74, off, s[20:23], 0 offset:4 ; 4-byte Folded Reload
	buffer_load_dword v75, off, s[20:23], 0 offset:8 ; 4-byte Folded Reload
	;; [unrolled: 1-line block ×3, first 2 shown]
	s_waitcnt lgkmcnt(0)
	v_mul_f64 v[103:104], v[101:102], v[123:124]
	v_fma_f64 v[103:104], v[99:100], v[97:98], -v[103:104]
	v_mul_f64 v[99:100], v[99:100], v[123:124]
	v_fma_f64 v[99:100], v[101:102], v[97:98], v[99:100]
	s_waitcnt vmcnt(2)
	v_add_f64 v[73:74], v[73:74], -v[103:104]
	s_waitcnt vmcnt(0)
	v_add_f64 v[75:76], v[75:76], -v[99:100]
	buffer_store_dword v73, off, s[20:23], 0 ; 4-byte Folded Spill
	s_nop 0
	buffer_store_dword v74, off, s[20:23], 0 offset:4 ; 4-byte Folded Spill
	buffer_store_dword v75, off, s[20:23], 0 offset:8 ; 4-byte Folded Spill
	;; [unrolled: 1-line block ×3, first 2 shown]
	ds_read2_b64 v[99:102], v125 offset0:34 offset1:35
	s_waitcnt lgkmcnt(0)
	v_mul_f64 v[103:104], v[101:102], v[123:124]
	v_fma_f64 v[103:104], v[99:100], v[97:98], -v[103:104]
	v_mul_f64 v[99:100], v[99:100], v[123:124]
	v_add_f64 v[69:70], v[69:70], -v[103:104]
	v_fma_f64 v[99:100], v[101:102], v[97:98], v[99:100]
	v_add_f64 v[71:72], v[71:72], -v[99:100]
	ds_read2_b64 v[99:102], v125 offset0:36 offset1:37
	s_waitcnt lgkmcnt(0)
	v_mul_f64 v[103:104], v[101:102], v[123:124]
	v_fma_f64 v[103:104], v[99:100], v[97:98], -v[103:104]
	v_mul_f64 v[99:100], v[99:100], v[123:124]
	v_add_f64 v[65:66], v[65:66], -v[103:104]
	v_fma_f64 v[99:100], v[101:102], v[97:98], v[99:100]
	v_add_f64 v[67:68], v[67:68], -v[99:100]
	;; [unrolled: 8-line block ×18, first 2 shown]
	ds_read2_b64 v[99:102], v125 offset0:70 offset1:71
	s_waitcnt lgkmcnt(0)
	v_mul_f64 v[103:104], v[101:102], v[123:124]
	v_fma_f64 v[103:104], v[99:100], v[97:98], -v[103:104]
	v_mul_f64 v[99:100], v[99:100], v[123:124]
	buffer_store_dword v121, off, s[20:23], 0 offset:128 ; 4-byte Folded Spill
	s_nop 0
	buffer_store_dword v122, off, s[20:23], 0 offset:132 ; 4-byte Folded Spill
	buffer_store_dword v123, off, s[20:23], 0 offset:136 ; 4-byte Folded Spill
	;; [unrolled: 1-line block ×3, first 2 shown]
	v_add_f64 v[113:114], v[113:114], -v[103:104]
	v_fma_f64 v[99:100], v[101:102], v[97:98], v[99:100]
	v_add_f64 v[115:116], v[115:116], -v[99:100]
.LBB71_28:
	s_or_b64 exec, exec, s[2:3]
	v_cmp_eq_u32_e32 vcc, 3, v0
	s_waitcnt vmcnt(0)
	s_barrier
	s_and_saveexec_b64 s[4:5], vcc
	s_cbranch_execz .LBB71_35
; %bb.29:
	buffer_load_dword v73, off, s[20:23], 0 offset:112 ; 4-byte Folded Reload
	buffer_load_dword v74, off, s[20:23], 0 offset:116 ; 4-byte Folded Reload
	;; [unrolled: 1-line block ×4, first 2 shown]
	s_waitcnt vmcnt(0)
	ds_write2_b64 v127, v[73:74], v[75:76] offset1:1
	buffer_load_dword v73, off, s[20:23], 0 offset:96 ; 4-byte Folded Reload
	buffer_load_dword v74, off, s[20:23], 0 offset:100 ; 4-byte Folded Reload
	;; [unrolled: 1-line block ×4, first 2 shown]
	s_waitcnt vmcnt(0)
	ds_write2_b64 v125, v[73:74], v[75:76] offset0:8 offset1:9
	buffer_load_dword v73, off, s[20:23], 0 offset:80 ; 4-byte Folded Reload
	buffer_load_dword v74, off, s[20:23], 0 offset:84 ; 4-byte Folded Reload
	;; [unrolled: 1-line block ×4, first 2 shown]
	s_waitcnt vmcnt(0)
	ds_write2_b64 v125, v[73:74], v[75:76] offset0:10 offset1:11
	ds_write2_b64 v125, v[89:90], v[91:92] offset0:12 offset1:13
	;; [unrolled: 1-line block ×3, first 2 shown]
	buffer_load_dword v73, off, s[20:23], 0 offset:64 ; 4-byte Folded Reload
	buffer_load_dword v74, off, s[20:23], 0 offset:68 ; 4-byte Folded Reload
	buffer_load_dword v75, off, s[20:23], 0 offset:72 ; 4-byte Folded Reload
	buffer_load_dword v76, off, s[20:23], 0 offset:76 ; 4-byte Folded Reload
	s_waitcnt vmcnt(0)
	ds_write2_b64 v125, v[73:74], v[75:76] offset0:16 offset1:17
	ds_write2_b64 v125, v[81:82], v[83:84] offset0:18 offset1:19
	buffer_load_dword v73, off, s[20:23], 0 offset:48 ; 4-byte Folded Reload
	buffer_load_dword v74, off, s[20:23], 0 offset:52 ; 4-byte Folded Reload
	;; [unrolled: 1-line block ×4, first 2 shown]
	s_waitcnt vmcnt(0)
	ds_write2_b64 v125, v[73:74], v[75:76] offset0:20 offset1:21
	ds_write2_b64 v125, v[117:118], v[119:120] offset0:22 offset1:23
	;; [unrolled: 1-line block ×3, first 2 shown]
	buffer_load_dword v97, off, s[20:23], 0 offset:32 ; 4-byte Folded Reload
	buffer_load_dword v98, off, s[20:23], 0 offset:36 ; 4-byte Folded Reload
	;; [unrolled: 1-line block ×4, first 2 shown]
	s_waitcnt vmcnt(0)
	ds_write2_b64 v125, v[97:98], v[99:100] offset0:26 offset1:27
	ds_write2_b64 v125, v[93:94], v[95:96] offset0:28 offset1:29
	buffer_load_dword v77, off, s[20:23], 0 offset:16 ; 4-byte Folded Reload
	buffer_load_dword v78, off, s[20:23], 0 offset:20 ; 4-byte Folded Reload
	;; [unrolled: 1-line block ×4, first 2 shown]
	s_waitcnt vmcnt(0)
	ds_write2_b64 v125, v[77:78], v[79:80] offset0:30 offset1:31
	buffer_load_dword v73, off, s[20:23], 0 ; 4-byte Folded Reload
	buffer_load_dword v74, off, s[20:23], 0 offset:4 ; 4-byte Folded Reload
	buffer_load_dword v75, off, s[20:23], 0 offset:8 ; 4-byte Folded Reload
	;; [unrolled: 1-line block ×3, first 2 shown]
	s_waitcnt vmcnt(0)
	ds_write2_b64 v125, v[73:74], v[75:76] offset0:32 offset1:33
	ds_write2_b64 v125, v[69:70], v[71:72] offset0:34 offset1:35
	;; [unrolled: 1-line block ×20, first 2 shown]
	ds_read2_b64 v[97:100], v127 offset1:1
	s_waitcnt lgkmcnt(0)
	v_cmp_neq_f64_e32 vcc, 0, v[97:98]
	v_cmp_neq_f64_e64 s[2:3], 0, v[99:100]
	s_or_b64 s[2:3], vcc, s[2:3]
	s_and_b64 exec, exec, s[2:3]
	s_cbranch_execz .LBB71_35
; %bb.30:
	v_cmp_ngt_f64_e64 s[2:3], |v[97:98]|, |v[99:100]|
                                        ; implicit-def: $vgpr101_vgpr102
	s_and_saveexec_b64 s[6:7], s[2:3]
	s_xor_b64 s[2:3], exec, s[6:7]
                                        ; implicit-def: $vgpr103_vgpr104
	s_cbranch_execz .LBB71_32
; %bb.31:
	v_div_scale_f64 v[101:102], s[6:7], v[99:100], v[99:100], v[97:98]
	v_rcp_f64_e32 v[103:104], v[101:102]
	v_fma_f64 v[105:106], -v[101:102], v[103:104], 1.0
	v_fma_f64 v[103:104], v[103:104], v[105:106], v[103:104]
	v_div_scale_f64 v[105:106], vcc, v[97:98], v[99:100], v[97:98]
	v_fma_f64 v[107:108], -v[101:102], v[103:104], 1.0
	v_fma_f64 v[103:104], v[103:104], v[107:108], v[103:104]
	v_mul_f64 v[107:108], v[105:106], v[103:104]
	v_fma_f64 v[101:102], -v[101:102], v[107:108], v[105:106]
	v_div_fmas_f64 v[101:102], v[101:102], v[103:104], v[107:108]
	v_div_fixup_f64 v[101:102], v[101:102], v[99:100], v[97:98]
	v_fma_f64 v[97:98], v[97:98], v[101:102], v[99:100]
	v_div_scale_f64 v[99:100], s[6:7], v[97:98], v[97:98], 1.0
	v_div_scale_f64 v[107:108], vcc, 1.0, v[97:98], 1.0
	v_rcp_f64_e32 v[103:104], v[99:100]
	v_fma_f64 v[105:106], -v[99:100], v[103:104], 1.0
	v_fma_f64 v[103:104], v[103:104], v[105:106], v[103:104]
	v_fma_f64 v[105:106], -v[99:100], v[103:104], 1.0
	v_fma_f64 v[103:104], v[103:104], v[105:106], v[103:104]
	v_mul_f64 v[105:106], v[107:108], v[103:104]
	v_fma_f64 v[99:100], -v[99:100], v[105:106], v[107:108]
	v_div_fmas_f64 v[99:100], v[99:100], v[103:104], v[105:106]
	v_div_fixup_f64 v[103:104], v[99:100], v[97:98], 1.0
                                        ; implicit-def: $vgpr97_vgpr98
	v_mul_f64 v[101:102], v[101:102], v[103:104]
	v_xor_b32_e32 v104, 0x80000000, v104
.LBB71_32:
	s_andn2_saveexec_b64 s[2:3], s[2:3]
	s_cbranch_execz .LBB71_34
; %bb.33:
	v_div_scale_f64 v[101:102], s[6:7], v[97:98], v[97:98], v[99:100]
	v_rcp_f64_e32 v[103:104], v[101:102]
	v_fma_f64 v[105:106], -v[101:102], v[103:104], 1.0
	v_fma_f64 v[103:104], v[103:104], v[105:106], v[103:104]
	v_div_scale_f64 v[105:106], vcc, v[99:100], v[97:98], v[99:100]
	v_fma_f64 v[107:108], -v[101:102], v[103:104], 1.0
	v_fma_f64 v[103:104], v[103:104], v[107:108], v[103:104]
	v_mul_f64 v[107:108], v[105:106], v[103:104]
	v_fma_f64 v[101:102], -v[101:102], v[107:108], v[105:106]
	v_div_fmas_f64 v[101:102], v[101:102], v[103:104], v[107:108]
	v_div_fixup_f64 v[103:104], v[101:102], v[97:98], v[99:100]
	v_fma_f64 v[97:98], v[99:100], v[103:104], v[97:98]
	v_div_scale_f64 v[99:100], s[6:7], v[97:98], v[97:98], 1.0
	v_div_scale_f64 v[107:108], vcc, 1.0, v[97:98], 1.0
	v_rcp_f64_e32 v[101:102], v[99:100]
	v_fma_f64 v[105:106], -v[99:100], v[101:102], 1.0
	v_fma_f64 v[101:102], v[101:102], v[105:106], v[101:102]
	v_fma_f64 v[105:106], -v[99:100], v[101:102], 1.0
	v_fma_f64 v[101:102], v[101:102], v[105:106], v[101:102]
	v_mul_f64 v[105:106], v[107:108], v[101:102]
	v_fma_f64 v[99:100], -v[99:100], v[105:106], v[107:108]
	v_div_fmas_f64 v[99:100], v[99:100], v[101:102], v[105:106]
	v_div_fixup_f64 v[101:102], v[99:100], v[97:98], 1.0
	v_mul_f64 v[103:104], v[103:104], -v[101:102]
.LBB71_34:
	s_or_b64 exec, exec, s[2:3]
	ds_write2_b64 v127, v[101:102], v[103:104] offset1:1
.LBB71_35:
	s_or_b64 exec, exec, s[4:5]
	s_waitcnt lgkmcnt(0)
	s_barrier
	ds_read2_b64 v[73:76], v127 offset1:1
	v_cmp_lt_u32_e32 vcc, 3, v0
	s_waitcnt lgkmcnt(0)
	buffer_store_dword v73, off, s[20:23], 0 offset:560 ; 4-byte Folded Spill
	s_nop 0
	buffer_store_dword v74, off, s[20:23], 0 offset:564 ; 4-byte Folded Spill
	buffer_store_dword v75, off, s[20:23], 0 offset:568 ; 4-byte Folded Spill
	;; [unrolled: 1-line block ×3, first 2 shown]
	s_and_saveexec_b64 s[2:3], vcc
	s_cbranch_execz .LBB71_37
; %bb.36:
	v_mov_b32_e32 v124, v116
	v_mov_b32_e32 v123, v115
	;; [unrolled: 1-line block ×4, first 2 shown]
	buffer_load_dword v113, off, s[20:23], 0 offset:112 ; 4-byte Folded Reload
	buffer_load_dword v114, off, s[20:23], 0 offset:116 ; 4-byte Folded Reload
	;; [unrolled: 1-line block ×8, first 2 shown]
	s_waitcnt vmcnt(2)
	v_mul_f64 v[99:100], v[73:74], v[115:116]
	s_waitcnt vmcnt(0)
	v_mul_f64 v[97:98], v[75:76], v[115:116]
	v_fma_f64 v[115:116], v[75:76], v[113:114], v[99:100]
	ds_read2_b64 v[99:102], v125 offset0:8 offset1:9
	v_fma_f64 v[97:98], v[73:74], v[113:114], -v[97:98]
	buffer_load_dword v73, off, s[20:23], 0 offset:96 ; 4-byte Folded Reload
	buffer_load_dword v74, off, s[20:23], 0 offset:100 ; 4-byte Folded Reload
	;; [unrolled: 1-line block ×4, first 2 shown]
	s_waitcnt lgkmcnt(0)
	v_mul_f64 v[103:104], v[101:102], v[115:116]
	v_mov_b32_e32 v114, v98
	v_mov_b32_e32 v113, v97
	v_fma_f64 v[103:104], v[99:100], v[97:98], -v[103:104]
	v_mul_f64 v[99:100], v[99:100], v[115:116]
	v_fma_f64 v[99:100], v[101:102], v[97:98], v[99:100]
	s_waitcnt vmcnt(2)
	v_add_f64 v[73:74], v[73:74], -v[103:104]
	s_waitcnt vmcnt(0)
	v_add_f64 v[75:76], v[75:76], -v[99:100]
	buffer_store_dword v73, off, s[20:23], 0 offset:96 ; 4-byte Folded Spill
	s_nop 0
	buffer_store_dword v74, off, s[20:23], 0 offset:100 ; 4-byte Folded Spill
	buffer_store_dword v75, off, s[20:23], 0 offset:104 ; 4-byte Folded Spill
	;; [unrolled: 1-line block ×3, first 2 shown]
	ds_read2_b64 v[99:102], v125 offset0:10 offset1:11
	buffer_load_dword v73, off, s[20:23], 0 offset:80 ; 4-byte Folded Reload
	buffer_load_dword v74, off, s[20:23], 0 offset:84 ; 4-byte Folded Reload
	;; [unrolled: 1-line block ×4, first 2 shown]
	s_waitcnt lgkmcnt(0)
	v_mul_f64 v[103:104], v[101:102], v[115:116]
	v_fma_f64 v[103:104], v[99:100], v[97:98], -v[103:104]
	v_mul_f64 v[99:100], v[99:100], v[115:116]
	v_fma_f64 v[99:100], v[101:102], v[97:98], v[99:100]
	s_waitcnt vmcnt(2)
	v_add_f64 v[73:74], v[73:74], -v[103:104]
	s_waitcnt vmcnt(0)
	v_add_f64 v[75:76], v[75:76], -v[99:100]
	buffer_store_dword v73, off, s[20:23], 0 offset:80 ; 4-byte Folded Spill
	s_nop 0
	buffer_store_dword v74, off, s[20:23], 0 offset:84 ; 4-byte Folded Spill
	buffer_store_dword v75, off, s[20:23], 0 offset:88 ; 4-byte Folded Spill
	;; [unrolled: 1-line block ×3, first 2 shown]
	ds_read2_b64 v[99:102], v125 offset0:12 offset1:13
	s_waitcnt lgkmcnt(0)
	v_mul_f64 v[103:104], v[101:102], v[115:116]
	v_fma_f64 v[103:104], v[99:100], v[97:98], -v[103:104]
	v_mul_f64 v[99:100], v[99:100], v[115:116]
	v_add_f64 v[89:90], v[89:90], -v[103:104]
	v_fma_f64 v[99:100], v[101:102], v[97:98], v[99:100]
	v_add_f64 v[91:92], v[91:92], -v[99:100]
	ds_read2_b64 v[99:102], v125 offset0:14 offset1:15
	s_waitcnt lgkmcnt(0)
	v_mul_f64 v[103:104], v[101:102], v[115:116]
	v_fma_f64 v[103:104], v[99:100], v[97:98], -v[103:104]
	v_mul_f64 v[99:100], v[99:100], v[115:116]
	v_add_f64 v[85:86], v[85:86], -v[103:104]
	v_fma_f64 v[99:100], v[101:102], v[97:98], v[99:100]
	v_add_f64 v[87:88], v[87:88], -v[99:100]
	ds_read2_b64 v[99:102], v125 offset0:16 offset1:17
	buffer_load_dword v73, off, s[20:23], 0 offset:64 ; 4-byte Folded Reload
	buffer_load_dword v74, off, s[20:23], 0 offset:68 ; 4-byte Folded Reload
	;; [unrolled: 1-line block ×4, first 2 shown]
	s_waitcnt lgkmcnt(0)
	v_mul_f64 v[103:104], v[101:102], v[115:116]
	v_fma_f64 v[103:104], v[99:100], v[97:98], -v[103:104]
	v_mul_f64 v[99:100], v[99:100], v[115:116]
	v_fma_f64 v[99:100], v[101:102], v[97:98], v[99:100]
	s_waitcnt vmcnt(2)
	v_add_f64 v[73:74], v[73:74], -v[103:104]
	s_waitcnt vmcnt(0)
	v_add_f64 v[75:76], v[75:76], -v[99:100]
	buffer_store_dword v73, off, s[20:23], 0 offset:64 ; 4-byte Folded Spill
	s_nop 0
	buffer_store_dword v74, off, s[20:23], 0 offset:68 ; 4-byte Folded Spill
	buffer_store_dword v75, off, s[20:23], 0 offset:72 ; 4-byte Folded Spill
	;; [unrolled: 1-line block ×3, first 2 shown]
	ds_read2_b64 v[99:102], v125 offset0:18 offset1:19
	s_waitcnt lgkmcnt(0)
	v_mul_f64 v[103:104], v[101:102], v[115:116]
	v_fma_f64 v[103:104], v[99:100], v[97:98], -v[103:104]
	v_mul_f64 v[99:100], v[99:100], v[115:116]
	v_add_f64 v[81:82], v[81:82], -v[103:104]
	v_fma_f64 v[99:100], v[101:102], v[97:98], v[99:100]
	v_add_f64 v[83:84], v[83:84], -v[99:100]
	ds_read2_b64 v[99:102], v125 offset0:20 offset1:21
	buffer_load_dword v73, off, s[20:23], 0 offset:48 ; 4-byte Folded Reload
	buffer_load_dword v74, off, s[20:23], 0 offset:52 ; 4-byte Folded Reload
	;; [unrolled: 1-line block ×4, first 2 shown]
	s_waitcnt lgkmcnt(0)
	v_mul_f64 v[103:104], v[101:102], v[115:116]
	v_fma_f64 v[103:104], v[99:100], v[97:98], -v[103:104]
	v_mul_f64 v[99:100], v[99:100], v[115:116]
	v_fma_f64 v[99:100], v[101:102], v[97:98], v[99:100]
	s_waitcnt vmcnt(2)
	v_add_f64 v[73:74], v[73:74], -v[103:104]
	s_waitcnt vmcnt(0)
	v_add_f64 v[75:76], v[75:76], -v[99:100]
	buffer_store_dword v73, off, s[20:23], 0 offset:48 ; 4-byte Folded Spill
	s_nop 0
	buffer_store_dword v74, off, s[20:23], 0 offset:52 ; 4-byte Folded Spill
	buffer_store_dword v75, off, s[20:23], 0 offset:56 ; 4-byte Folded Spill
	;; [unrolled: 1-line block ×3, first 2 shown]
	ds_read2_b64 v[99:102], v125 offset0:22 offset1:23
	s_waitcnt lgkmcnt(0)
	v_mul_f64 v[103:104], v[101:102], v[115:116]
	v_fma_f64 v[103:104], v[99:100], v[97:98], -v[103:104]
	v_mul_f64 v[99:100], v[99:100], v[115:116]
	v_add_f64 v[117:118], v[117:118], -v[103:104]
	v_fma_f64 v[99:100], v[101:102], v[97:98], v[99:100]
	v_add_f64 v[119:120], v[119:120], -v[99:100]
	ds_read2_b64 v[99:102], v125 offset0:24 offset1:25
	s_waitcnt lgkmcnt(0)
	v_mul_f64 v[103:104], v[101:102], v[115:116]
	v_fma_f64 v[103:104], v[99:100], v[97:98], -v[103:104]
	v_mul_f64 v[99:100], v[99:100], v[115:116]
	v_add_f64 v[109:110], v[109:110], -v[103:104]
	v_fma_f64 v[99:100], v[101:102], v[97:98], v[99:100]
	v_add_f64 v[111:112], v[111:112], -v[99:100]
	ds_read2_b64 v[99:102], v125 offset0:26 offset1:27
	buffer_load_dword v105, off, s[20:23], 0 offset:32 ; 4-byte Folded Reload
	buffer_load_dword v106, off, s[20:23], 0 offset:36 ; 4-byte Folded Reload
	;; [unrolled: 1-line block ×4, first 2 shown]
	s_waitcnt lgkmcnt(0)
	v_mul_f64 v[103:104], v[101:102], v[115:116]
	v_fma_f64 v[103:104], v[99:100], v[97:98], -v[103:104]
	v_mul_f64 v[99:100], v[99:100], v[115:116]
	v_fma_f64 v[99:100], v[101:102], v[97:98], v[99:100]
	s_waitcnt vmcnt(2)
	v_add_f64 v[105:106], v[105:106], -v[103:104]
	s_waitcnt vmcnt(0)
	v_add_f64 v[107:108], v[107:108], -v[99:100]
	buffer_store_dword v105, off, s[20:23], 0 offset:32 ; 4-byte Folded Spill
	s_nop 0
	buffer_store_dword v106, off, s[20:23], 0 offset:36 ; 4-byte Folded Spill
	buffer_store_dword v107, off, s[20:23], 0 offset:40 ; 4-byte Folded Spill
	buffer_store_dword v108, off, s[20:23], 0 offset:44 ; 4-byte Folded Spill
	ds_read2_b64 v[99:102], v125 offset0:28 offset1:29
	s_waitcnt lgkmcnt(0)
	v_mul_f64 v[103:104], v[101:102], v[115:116]
	v_fma_f64 v[103:104], v[99:100], v[97:98], -v[103:104]
	v_mul_f64 v[99:100], v[99:100], v[115:116]
	v_add_f64 v[93:94], v[93:94], -v[103:104]
	v_fma_f64 v[99:100], v[101:102], v[97:98], v[99:100]
	v_add_f64 v[95:96], v[95:96], -v[99:100]
	ds_read2_b64 v[99:102], v125 offset0:30 offset1:31
	buffer_load_dword v77, off, s[20:23], 0 offset:16 ; 4-byte Folded Reload
	buffer_load_dword v78, off, s[20:23], 0 offset:20 ; 4-byte Folded Reload
	;; [unrolled: 1-line block ×4, first 2 shown]
	s_waitcnt lgkmcnt(0)
	v_mul_f64 v[103:104], v[101:102], v[115:116]
	v_fma_f64 v[103:104], v[99:100], v[97:98], -v[103:104]
	v_mul_f64 v[99:100], v[99:100], v[115:116]
	v_fma_f64 v[99:100], v[101:102], v[97:98], v[99:100]
	s_waitcnt vmcnt(2)
	v_add_f64 v[77:78], v[77:78], -v[103:104]
	s_waitcnt vmcnt(0)
	v_add_f64 v[79:80], v[79:80], -v[99:100]
	buffer_store_dword v77, off, s[20:23], 0 offset:16 ; 4-byte Folded Spill
	s_nop 0
	buffer_store_dword v78, off, s[20:23], 0 offset:20 ; 4-byte Folded Spill
	buffer_store_dword v79, off, s[20:23], 0 offset:24 ; 4-byte Folded Spill
	;; [unrolled: 1-line block ×3, first 2 shown]
	ds_read2_b64 v[99:102], v125 offset0:32 offset1:33
	buffer_load_dword v73, off, s[20:23], 0 ; 4-byte Folded Reload
	buffer_load_dword v74, off, s[20:23], 0 offset:4 ; 4-byte Folded Reload
	buffer_load_dword v75, off, s[20:23], 0 offset:8 ; 4-byte Folded Reload
	;; [unrolled: 1-line block ×3, first 2 shown]
	s_waitcnt lgkmcnt(0)
	v_mul_f64 v[103:104], v[101:102], v[115:116]
	v_fma_f64 v[103:104], v[99:100], v[97:98], -v[103:104]
	v_mul_f64 v[99:100], v[99:100], v[115:116]
	v_fma_f64 v[99:100], v[101:102], v[97:98], v[99:100]
	s_waitcnt vmcnt(2)
	v_add_f64 v[73:74], v[73:74], -v[103:104]
	s_waitcnt vmcnt(0)
	v_add_f64 v[75:76], v[75:76], -v[99:100]
	buffer_store_dword v73, off, s[20:23], 0 ; 4-byte Folded Spill
	s_nop 0
	buffer_store_dword v74, off, s[20:23], 0 offset:4 ; 4-byte Folded Spill
	buffer_store_dword v75, off, s[20:23], 0 offset:8 ; 4-byte Folded Spill
	;; [unrolled: 1-line block ×3, first 2 shown]
	ds_read2_b64 v[99:102], v125 offset0:34 offset1:35
	s_waitcnt lgkmcnt(0)
	v_mul_f64 v[103:104], v[101:102], v[115:116]
	v_fma_f64 v[103:104], v[99:100], v[97:98], -v[103:104]
	v_mul_f64 v[99:100], v[99:100], v[115:116]
	v_add_f64 v[69:70], v[69:70], -v[103:104]
	v_fma_f64 v[99:100], v[101:102], v[97:98], v[99:100]
	v_add_f64 v[71:72], v[71:72], -v[99:100]
	ds_read2_b64 v[99:102], v125 offset0:36 offset1:37
	s_waitcnt lgkmcnt(0)
	v_mul_f64 v[103:104], v[101:102], v[115:116]
	v_fma_f64 v[103:104], v[99:100], v[97:98], -v[103:104]
	v_mul_f64 v[99:100], v[99:100], v[115:116]
	v_add_f64 v[65:66], v[65:66], -v[103:104]
	v_fma_f64 v[99:100], v[101:102], v[97:98], v[99:100]
	v_add_f64 v[67:68], v[67:68], -v[99:100]
	;; [unrolled: 8-line block ×18, first 2 shown]
	ds_read2_b64 v[99:102], v125 offset0:70 offset1:71
	s_waitcnt lgkmcnt(0)
	v_mul_f64 v[103:104], v[101:102], v[115:116]
	v_fma_f64 v[103:104], v[99:100], v[97:98], -v[103:104]
	v_mul_f64 v[99:100], v[99:100], v[115:116]
	buffer_store_dword v113, off, s[20:23], 0 offset:112 ; 4-byte Folded Spill
	s_nop 0
	buffer_store_dword v114, off, s[20:23], 0 offset:116 ; 4-byte Folded Spill
	buffer_store_dword v115, off, s[20:23], 0 offset:120 ; 4-byte Folded Spill
	;; [unrolled: 1-line block ×3, first 2 shown]
	v_add_f64 v[121:122], v[121:122], -v[103:104]
	v_fma_f64 v[99:100], v[101:102], v[97:98], v[99:100]
	v_add_f64 v[123:124], v[123:124], -v[99:100]
	v_mov_b32_e32 v113, v121
	v_mov_b32_e32 v114, v122
	;; [unrolled: 1-line block ×4, first 2 shown]
.LBB71_37:
	s_or_b64 exec, exec, s[2:3]
	v_cmp_eq_u32_e32 vcc, 4, v0
	s_waitcnt vmcnt(0)
	s_barrier
	s_and_saveexec_b64 s[4:5], vcc
	s_cbranch_execz .LBB71_44
; %bb.38:
	buffer_load_dword v73, off, s[20:23], 0 offset:96 ; 4-byte Folded Reload
	buffer_load_dword v74, off, s[20:23], 0 offset:100 ; 4-byte Folded Reload
	;; [unrolled: 1-line block ×4, first 2 shown]
	s_waitcnt vmcnt(0)
	ds_write2_b64 v127, v[73:74], v[75:76] offset1:1
	buffer_load_dword v73, off, s[20:23], 0 offset:80 ; 4-byte Folded Reload
	buffer_load_dword v74, off, s[20:23], 0 offset:84 ; 4-byte Folded Reload
	;; [unrolled: 1-line block ×4, first 2 shown]
	s_waitcnt vmcnt(0)
	ds_write2_b64 v125, v[73:74], v[75:76] offset0:10 offset1:11
	ds_write2_b64 v125, v[89:90], v[91:92] offset0:12 offset1:13
	;; [unrolled: 1-line block ×3, first 2 shown]
	buffer_load_dword v73, off, s[20:23], 0 offset:64 ; 4-byte Folded Reload
	buffer_load_dword v74, off, s[20:23], 0 offset:68 ; 4-byte Folded Reload
	;; [unrolled: 1-line block ×4, first 2 shown]
	s_waitcnt vmcnt(0)
	ds_write2_b64 v125, v[73:74], v[75:76] offset0:16 offset1:17
	ds_write2_b64 v125, v[81:82], v[83:84] offset0:18 offset1:19
	buffer_load_dword v73, off, s[20:23], 0 offset:48 ; 4-byte Folded Reload
	buffer_load_dword v74, off, s[20:23], 0 offset:52 ; 4-byte Folded Reload
	;; [unrolled: 1-line block ×4, first 2 shown]
	s_waitcnt vmcnt(0)
	ds_write2_b64 v125, v[73:74], v[75:76] offset0:20 offset1:21
	ds_write2_b64 v125, v[117:118], v[119:120] offset0:22 offset1:23
	;; [unrolled: 1-line block ×3, first 2 shown]
	buffer_load_dword v97, off, s[20:23], 0 offset:32 ; 4-byte Folded Reload
	buffer_load_dword v98, off, s[20:23], 0 offset:36 ; 4-byte Folded Reload
	;; [unrolled: 1-line block ×4, first 2 shown]
	s_waitcnt vmcnt(0)
	ds_write2_b64 v125, v[97:98], v[99:100] offset0:26 offset1:27
	ds_write2_b64 v125, v[93:94], v[95:96] offset0:28 offset1:29
	buffer_load_dword v77, off, s[20:23], 0 offset:16 ; 4-byte Folded Reload
	buffer_load_dword v78, off, s[20:23], 0 offset:20 ; 4-byte Folded Reload
	;; [unrolled: 1-line block ×4, first 2 shown]
	s_waitcnt vmcnt(0)
	ds_write2_b64 v125, v[77:78], v[79:80] offset0:30 offset1:31
	buffer_load_dword v73, off, s[20:23], 0 ; 4-byte Folded Reload
	buffer_load_dword v74, off, s[20:23], 0 offset:4 ; 4-byte Folded Reload
	buffer_load_dword v75, off, s[20:23], 0 offset:8 ; 4-byte Folded Reload
	;; [unrolled: 1-line block ×3, first 2 shown]
	s_waitcnt vmcnt(0)
	ds_write2_b64 v125, v[73:74], v[75:76] offset0:32 offset1:33
	ds_write2_b64 v125, v[69:70], v[71:72] offset0:34 offset1:35
	;; [unrolled: 1-line block ×20, first 2 shown]
	ds_read2_b64 v[97:100], v127 offset1:1
	s_waitcnt lgkmcnt(0)
	v_cmp_neq_f64_e32 vcc, 0, v[97:98]
	v_cmp_neq_f64_e64 s[2:3], 0, v[99:100]
	s_or_b64 s[2:3], vcc, s[2:3]
	s_and_b64 exec, exec, s[2:3]
	s_cbranch_execz .LBB71_44
; %bb.39:
	v_cmp_ngt_f64_e64 s[2:3], |v[97:98]|, |v[99:100]|
                                        ; implicit-def: $vgpr101_vgpr102
	s_and_saveexec_b64 s[6:7], s[2:3]
	s_xor_b64 s[2:3], exec, s[6:7]
                                        ; implicit-def: $vgpr103_vgpr104
	s_cbranch_execz .LBB71_41
; %bb.40:
	v_div_scale_f64 v[101:102], s[6:7], v[99:100], v[99:100], v[97:98]
	v_rcp_f64_e32 v[103:104], v[101:102]
	v_fma_f64 v[105:106], -v[101:102], v[103:104], 1.0
	v_fma_f64 v[103:104], v[103:104], v[105:106], v[103:104]
	v_div_scale_f64 v[105:106], vcc, v[97:98], v[99:100], v[97:98]
	v_fma_f64 v[107:108], -v[101:102], v[103:104], 1.0
	v_fma_f64 v[103:104], v[103:104], v[107:108], v[103:104]
	v_mul_f64 v[107:108], v[105:106], v[103:104]
	v_fma_f64 v[101:102], -v[101:102], v[107:108], v[105:106]
	v_div_fmas_f64 v[101:102], v[101:102], v[103:104], v[107:108]
	v_div_fixup_f64 v[101:102], v[101:102], v[99:100], v[97:98]
	v_fma_f64 v[97:98], v[97:98], v[101:102], v[99:100]
	v_div_scale_f64 v[99:100], s[6:7], v[97:98], v[97:98], 1.0
	v_div_scale_f64 v[107:108], vcc, 1.0, v[97:98], 1.0
	v_rcp_f64_e32 v[103:104], v[99:100]
	v_fma_f64 v[105:106], -v[99:100], v[103:104], 1.0
	v_fma_f64 v[103:104], v[103:104], v[105:106], v[103:104]
	v_fma_f64 v[105:106], -v[99:100], v[103:104], 1.0
	v_fma_f64 v[103:104], v[103:104], v[105:106], v[103:104]
	v_mul_f64 v[105:106], v[107:108], v[103:104]
	v_fma_f64 v[99:100], -v[99:100], v[105:106], v[107:108]
	v_div_fmas_f64 v[99:100], v[99:100], v[103:104], v[105:106]
	v_div_fixup_f64 v[103:104], v[99:100], v[97:98], 1.0
                                        ; implicit-def: $vgpr97_vgpr98
	v_mul_f64 v[101:102], v[101:102], v[103:104]
	v_xor_b32_e32 v104, 0x80000000, v104
.LBB71_41:
	s_andn2_saveexec_b64 s[2:3], s[2:3]
	s_cbranch_execz .LBB71_43
; %bb.42:
	v_div_scale_f64 v[101:102], s[6:7], v[97:98], v[97:98], v[99:100]
	v_rcp_f64_e32 v[103:104], v[101:102]
	v_fma_f64 v[105:106], -v[101:102], v[103:104], 1.0
	v_fma_f64 v[103:104], v[103:104], v[105:106], v[103:104]
	v_div_scale_f64 v[105:106], vcc, v[99:100], v[97:98], v[99:100]
	v_fma_f64 v[107:108], -v[101:102], v[103:104], 1.0
	v_fma_f64 v[103:104], v[103:104], v[107:108], v[103:104]
	v_mul_f64 v[107:108], v[105:106], v[103:104]
	v_fma_f64 v[101:102], -v[101:102], v[107:108], v[105:106]
	v_div_fmas_f64 v[101:102], v[101:102], v[103:104], v[107:108]
	v_div_fixup_f64 v[103:104], v[101:102], v[97:98], v[99:100]
	v_fma_f64 v[97:98], v[99:100], v[103:104], v[97:98]
	v_div_scale_f64 v[99:100], s[6:7], v[97:98], v[97:98], 1.0
	v_div_scale_f64 v[107:108], vcc, 1.0, v[97:98], 1.0
	v_rcp_f64_e32 v[101:102], v[99:100]
	v_fma_f64 v[105:106], -v[99:100], v[101:102], 1.0
	v_fma_f64 v[101:102], v[101:102], v[105:106], v[101:102]
	v_fma_f64 v[105:106], -v[99:100], v[101:102], 1.0
	v_fma_f64 v[101:102], v[101:102], v[105:106], v[101:102]
	v_mul_f64 v[105:106], v[107:108], v[101:102]
	v_fma_f64 v[99:100], -v[99:100], v[105:106], v[107:108]
	v_div_fmas_f64 v[99:100], v[99:100], v[101:102], v[105:106]
	v_div_fixup_f64 v[101:102], v[99:100], v[97:98], 1.0
	v_mul_f64 v[103:104], v[103:104], -v[101:102]
.LBB71_43:
	s_or_b64 exec, exec, s[2:3]
	ds_write2_b64 v127, v[101:102], v[103:104] offset1:1
.LBB71_44:
	s_or_b64 exec, exec, s[4:5]
	s_waitcnt lgkmcnt(0)
	s_barrier
	ds_read2_b64 v[73:76], v127 offset1:1
	v_cmp_lt_u32_e32 vcc, 4, v0
	s_waitcnt lgkmcnt(0)
	buffer_store_dword v73, off, s[20:23], 0 offset:576 ; 4-byte Folded Spill
	s_nop 0
	buffer_store_dword v74, off, s[20:23], 0 offset:580 ; 4-byte Folded Spill
	buffer_store_dword v75, off, s[20:23], 0 offset:584 ; 4-byte Folded Spill
	;; [unrolled: 1-line block ×3, first 2 shown]
	s_and_saveexec_b64 s[2:3], vcc
	s_cbranch_execz .LBB71_46
; %bb.45:
	v_mov_b32_e32 v124, v116
	v_mov_b32_e32 v123, v115
	;; [unrolled: 1-line block ×4, first 2 shown]
	buffer_load_dword v113, off, s[20:23], 0 offset:96 ; 4-byte Folded Reload
	buffer_load_dword v114, off, s[20:23], 0 offset:100 ; 4-byte Folded Reload
	;; [unrolled: 1-line block ×8, first 2 shown]
	s_waitcnt vmcnt(2)
	v_mul_f64 v[99:100], v[73:74], v[115:116]
	s_waitcnt vmcnt(0)
	v_mul_f64 v[97:98], v[75:76], v[115:116]
	v_fma_f64 v[115:116], v[75:76], v[113:114], v[99:100]
	ds_read2_b64 v[99:102], v125 offset0:10 offset1:11
	v_fma_f64 v[97:98], v[73:74], v[113:114], -v[97:98]
	buffer_load_dword v73, off, s[20:23], 0 offset:80 ; 4-byte Folded Reload
	buffer_load_dword v74, off, s[20:23], 0 offset:84 ; 4-byte Folded Reload
	;; [unrolled: 1-line block ×4, first 2 shown]
	s_waitcnt lgkmcnt(0)
	v_mul_f64 v[103:104], v[101:102], v[115:116]
	v_mov_b32_e32 v114, v98
	v_mov_b32_e32 v113, v97
	v_fma_f64 v[103:104], v[99:100], v[97:98], -v[103:104]
	v_mul_f64 v[99:100], v[99:100], v[115:116]
	v_fma_f64 v[99:100], v[101:102], v[97:98], v[99:100]
	s_waitcnt vmcnt(2)
	v_add_f64 v[73:74], v[73:74], -v[103:104]
	s_waitcnt vmcnt(0)
	v_add_f64 v[75:76], v[75:76], -v[99:100]
	buffer_store_dword v73, off, s[20:23], 0 offset:80 ; 4-byte Folded Spill
	s_nop 0
	buffer_store_dword v74, off, s[20:23], 0 offset:84 ; 4-byte Folded Spill
	buffer_store_dword v75, off, s[20:23], 0 offset:88 ; 4-byte Folded Spill
	;; [unrolled: 1-line block ×3, first 2 shown]
	ds_read2_b64 v[99:102], v125 offset0:12 offset1:13
	s_waitcnt lgkmcnt(0)
	v_mul_f64 v[103:104], v[101:102], v[115:116]
	v_fma_f64 v[103:104], v[99:100], v[97:98], -v[103:104]
	v_mul_f64 v[99:100], v[99:100], v[115:116]
	v_add_f64 v[89:90], v[89:90], -v[103:104]
	v_fma_f64 v[99:100], v[101:102], v[97:98], v[99:100]
	v_add_f64 v[91:92], v[91:92], -v[99:100]
	ds_read2_b64 v[99:102], v125 offset0:14 offset1:15
	s_waitcnt lgkmcnt(0)
	v_mul_f64 v[103:104], v[101:102], v[115:116]
	v_fma_f64 v[103:104], v[99:100], v[97:98], -v[103:104]
	v_mul_f64 v[99:100], v[99:100], v[115:116]
	v_add_f64 v[85:86], v[85:86], -v[103:104]
	v_fma_f64 v[99:100], v[101:102], v[97:98], v[99:100]
	v_add_f64 v[87:88], v[87:88], -v[99:100]
	ds_read2_b64 v[99:102], v125 offset0:16 offset1:17
	buffer_load_dword v73, off, s[20:23], 0 offset:64 ; 4-byte Folded Reload
	buffer_load_dword v74, off, s[20:23], 0 offset:68 ; 4-byte Folded Reload
	;; [unrolled: 1-line block ×4, first 2 shown]
	s_waitcnt lgkmcnt(0)
	v_mul_f64 v[103:104], v[101:102], v[115:116]
	v_fma_f64 v[103:104], v[99:100], v[97:98], -v[103:104]
	v_mul_f64 v[99:100], v[99:100], v[115:116]
	v_fma_f64 v[99:100], v[101:102], v[97:98], v[99:100]
	s_waitcnt vmcnt(2)
	v_add_f64 v[73:74], v[73:74], -v[103:104]
	s_waitcnt vmcnt(0)
	v_add_f64 v[75:76], v[75:76], -v[99:100]
	buffer_store_dword v73, off, s[20:23], 0 offset:64 ; 4-byte Folded Spill
	s_nop 0
	buffer_store_dword v74, off, s[20:23], 0 offset:68 ; 4-byte Folded Spill
	buffer_store_dword v75, off, s[20:23], 0 offset:72 ; 4-byte Folded Spill
	;; [unrolled: 1-line block ×3, first 2 shown]
	ds_read2_b64 v[99:102], v125 offset0:18 offset1:19
	s_waitcnt lgkmcnt(0)
	v_mul_f64 v[103:104], v[101:102], v[115:116]
	v_fma_f64 v[103:104], v[99:100], v[97:98], -v[103:104]
	v_mul_f64 v[99:100], v[99:100], v[115:116]
	v_add_f64 v[81:82], v[81:82], -v[103:104]
	v_fma_f64 v[99:100], v[101:102], v[97:98], v[99:100]
	v_add_f64 v[83:84], v[83:84], -v[99:100]
	ds_read2_b64 v[99:102], v125 offset0:20 offset1:21
	buffer_load_dword v73, off, s[20:23], 0 offset:48 ; 4-byte Folded Reload
	buffer_load_dword v74, off, s[20:23], 0 offset:52 ; 4-byte Folded Reload
	;; [unrolled: 1-line block ×4, first 2 shown]
	s_waitcnt lgkmcnt(0)
	v_mul_f64 v[103:104], v[101:102], v[115:116]
	v_fma_f64 v[103:104], v[99:100], v[97:98], -v[103:104]
	v_mul_f64 v[99:100], v[99:100], v[115:116]
	v_fma_f64 v[99:100], v[101:102], v[97:98], v[99:100]
	s_waitcnt vmcnt(2)
	v_add_f64 v[73:74], v[73:74], -v[103:104]
	s_waitcnt vmcnt(0)
	v_add_f64 v[75:76], v[75:76], -v[99:100]
	buffer_store_dword v73, off, s[20:23], 0 offset:48 ; 4-byte Folded Spill
	s_nop 0
	buffer_store_dword v74, off, s[20:23], 0 offset:52 ; 4-byte Folded Spill
	buffer_store_dword v75, off, s[20:23], 0 offset:56 ; 4-byte Folded Spill
	;; [unrolled: 1-line block ×3, first 2 shown]
	ds_read2_b64 v[99:102], v125 offset0:22 offset1:23
	s_waitcnt lgkmcnt(0)
	v_mul_f64 v[103:104], v[101:102], v[115:116]
	v_fma_f64 v[103:104], v[99:100], v[97:98], -v[103:104]
	v_mul_f64 v[99:100], v[99:100], v[115:116]
	v_add_f64 v[117:118], v[117:118], -v[103:104]
	v_fma_f64 v[99:100], v[101:102], v[97:98], v[99:100]
	v_add_f64 v[119:120], v[119:120], -v[99:100]
	ds_read2_b64 v[99:102], v125 offset0:24 offset1:25
	s_waitcnt lgkmcnt(0)
	v_mul_f64 v[103:104], v[101:102], v[115:116]
	v_fma_f64 v[103:104], v[99:100], v[97:98], -v[103:104]
	v_mul_f64 v[99:100], v[99:100], v[115:116]
	v_add_f64 v[109:110], v[109:110], -v[103:104]
	v_fma_f64 v[99:100], v[101:102], v[97:98], v[99:100]
	v_add_f64 v[111:112], v[111:112], -v[99:100]
	ds_read2_b64 v[99:102], v125 offset0:26 offset1:27
	buffer_load_dword v105, off, s[20:23], 0 offset:32 ; 4-byte Folded Reload
	buffer_load_dword v106, off, s[20:23], 0 offset:36 ; 4-byte Folded Reload
	;; [unrolled: 1-line block ×4, first 2 shown]
	s_waitcnt lgkmcnt(0)
	v_mul_f64 v[103:104], v[101:102], v[115:116]
	v_fma_f64 v[103:104], v[99:100], v[97:98], -v[103:104]
	v_mul_f64 v[99:100], v[99:100], v[115:116]
	v_fma_f64 v[99:100], v[101:102], v[97:98], v[99:100]
	s_waitcnt vmcnt(2)
	v_add_f64 v[105:106], v[105:106], -v[103:104]
	s_waitcnt vmcnt(0)
	v_add_f64 v[107:108], v[107:108], -v[99:100]
	buffer_store_dword v105, off, s[20:23], 0 offset:32 ; 4-byte Folded Spill
	s_nop 0
	buffer_store_dword v106, off, s[20:23], 0 offset:36 ; 4-byte Folded Spill
	buffer_store_dword v107, off, s[20:23], 0 offset:40 ; 4-byte Folded Spill
	;; [unrolled: 1-line block ×3, first 2 shown]
	ds_read2_b64 v[99:102], v125 offset0:28 offset1:29
	s_waitcnt lgkmcnt(0)
	v_mul_f64 v[103:104], v[101:102], v[115:116]
	v_fma_f64 v[103:104], v[99:100], v[97:98], -v[103:104]
	v_mul_f64 v[99:100], v[99:100], v[115:116]
	v_add_f64 v[93:94], v[93:94], -v[103:104]
	v_fma_f64 v[99:100], v[101:102], v[97:98], v[99:100]
	v_add_f64 v[95:96], v[95:96], -v[99:100]
	ds_read2_b64 v[99:102], v125 offset0:30 offset1:31
	buffer_load_dword v77, off, s[20:23], 0 offset:16 ; 4-byte Folded Reload
	buffer_load_dword v78, off, s[20:23], 0 offset:20 ; 4-byte Folded Reload
	;; [unrolled: 1-line block ×4, first 2 shown]
	s_waitcnt lgkmcnt(0)
	v_mul_f64 v[103:104], v[101:102], v[115:116]
	v_fma_f64 v[103:104], v[99:100], v[97:98], -v[103:104]
	v_mul_f64 v[99:100], v[99:100], v[115:116]
	v_fma_f64 v[99:100], v[101:102], v[97:98], v[99:100]
	s_waitcnt vmcnt(2)
	v_add_f64 v[77:78], v[77:78], -v[103:104]
	s_waitcnt vmcnt(0)
	v_add_f64 v[79:80], v[79:80], -v[99:100]
	buffer_store_dword v77, off, s[20:23], 0 offset:16 ; 4-byte Folded Spill
	s_nop 0
	buffer_store_dword v78, off, s[20:23], 0 offset:20 ; 4-byte Folded Spill
	buffer_store_dword v79, off, s[20:23], 0 offset:24 ; 4-byte Folded Spill
	;; [unrolled: 1-line block ×3, first 2 shown]
	ds_read2_b64 v[99:102], v125 offset0:32 offset1:33
	buffer_load_dword v73, off, s[20:23], 0 ; 4-byte Folded Reload
	buffer_load_dword v74, off, s[20:23], 0 offset:4 ; 4-byte Folded Reload
	buffer_load_dword v75, off, s[20:23], 0 offset:8 ; 4-byte Folded Reload
	;; [unrolled: 1-line block ×3, first 2 shown]
	s_waitcnt lgkmcnt(0)
	v_mul_f64 v[103:104], v[101:102], v[115:116]
	v_fma_f64 v[103:104], v[99:100], v[97:98], -v[103:104]
	v_mul_f64 v[99:100], v[99:100], v[115:116]
	v_fma_f64 v[99:100], v[101:102], v[97:98], v[99:100]
	s_waitcnt vmcnt(2)
	v_add_f64 v[73:74], v[73:74], -v[103:104]
	s_waitcnt vmcnt(0)
	v_add_f64 v[75:76], v[75:76], -v[99:100]
	buffer_store_dword v73, off, s[20:23], 0 ; 4-byte Folded Spill
	s_nop 0
	buffer_store_dword v74, off, s[20:23], 0 offset:4 ; 4-byte Folded Spill
	buffer_store_dword v75, off, s[20:23], 0 offset:8 ; 4-byte Folded Spill
	;; [unrolled: 1-line block ×3, first 2 shown]
	ds_read2_b64 v[99:102], v125 offset0:34 offset1:35
	s_waitcnt lgkmcnt(0)
	v_mul_f64 v[103:104], v[101:102], v[115:116]
	v_fma_f64 v[103:104], v[99:100], v[97:98], -v[103:104]
	v_mul_f64 v[99:100], v[99:100], v[115:116]
	v_add_f64 v[69:70], v[69:70], -v[103:104]
	v_fma_f64 v[99:100], v[101:102], v[97:98], v[99:100]
	v_add_f64 v[71:72], v[71:72], -v[99:100]
	ds_read2_b64 v[99:102], v125 offset0:36 offset1:37
	s_waitcnt lgkmcnt(0)
	v_mul_f64 v[103:104], v[101:102], v[115:116]
	v_fma_f64 v[103:104], v[99:100], v[97:98], -v[103:104]
	v_mul_f64 v[99:100], v[99:100], v[115:116]
	v_add_f64 v[65:66], v[65:66], -v[103:104]
	v_fma_f64 v[99:100], v[101:102], v[97:98], v[99:100]
	v_add_f64 v[67:68], v[67:68], -v[99:100]
	;; [unrolled: 8-line block ×18, first 2 shown]
	ds_read2_b64 v[99:102], v125 offset0:70 offset1:71
	s_waitcnt lgkmcnt(0)
	v_mul_f64 v[103:104], v[101:102], v[115:116]
	v_fma_f64 v[103:104], v[99:100], v[97:98], -v[103:104]
	v_mul_f64 v[99:100], v[99:100], v[115:116]
	buffer_store_dword v113, off, s[20:23], 0 offset:96 ; 4-byte Folded Spill
	s_nop 0
	buffer_store_dword v114, off, s[20:23], 0 offset:100 ; 4-byte Folded Spill
	buffer_store_dword v115, off, s[20:23], 0 offset:104 ; 4-byte Folded Spill
	;; [unrolled: 1-line block ×3, first 2 shown]
	v_add_f64 v[121:122], v[121:122], -v[103:104]
	v_fma_f64 v[99:100], v[101:102], v[97:98], v[99:100]
	v_add_f64 v[123:124], v[123:124], -v[99:100]
	v_mov_b32_e32 v113, v121
	v_mov_b32_e32 v114, v122
	;; [unrolled: 1-line block ×4, first 2 shown]
.LBB71_46:
	s_or_b64 exec, exec, s[2:3]
	v_cmp_eq_u32_e32 vcc, 5, v0
	s_waitcnt vmcnt(0)
	s_barrier
	s_and_saveexec_b64 s[4:5], vcc
	s_cbranch_execz .LBB71_53
; %bb.47:
	buffer_load_dword v73, off, s[20:23], 0 offset:80 ; 4-byte Folded Reload
	buffer_load_dword v74, off, s[20:23], 0 offset:84 ; 4-byte Folded Reload
	;; [unrolled: 1-line block ×4, first 2 shown]
	s_waitcnt vmcnt(0)
	ds_write2_b64 v127, v[73:74], v[75:76] offset1:1
	ds_write2_b64 v125, v[89:90], v[91:92] offset0:12 offset1:13
	ds_write2_b64 v125, v[85:86], v[87:88] offset0:14 offset1:15
	buffer_load_dword v73, off, s[20:23], 0 offset:64 ; 4-byte Folded Reload
	buffer_load_dword v74, off, s[20:23], 0 offset:68 ; 4-byte Folded Reload
	;; [unrolled: 1-line block ×4, first 2 shown]
	s_waitcnt vmcnt(0)
	ds_write2_b64 v125, v[73:74], v[75:76] offset0:16 offset1:17
	ds_write2_b64 v125, v[81:82], v[83:84] offset0:18 offset1:19
	buffer_load_dword v73, off, s[20:23], 0 offset:48 ; 4-byte Folded Reload
	buffer_load_dword v74, off, s[20:23], 0 offset:52 ; 4-byte Folded Reload
	;; [unrolled: 1-line block ×4, first 2 shown]
	s_waitcnt vmcnt(0)
	ds_write2_b64 v125, v[73:74], v[75:76] offset0:20 offset1:21
	ds_write2_b64 v125, v[117:118], v[119:120] offset0:22 offset1:23
	;; [unrolled: 1-line block ×3, first 2 shown]
	buffer_load_dword v97, off, s[20:23], 0 offset:32 ; 4-byte Folded Reload
	buffer_load_dword v98, off, s[20:23], 0 offset:36 ; 4-byte Folded Reload
	;; [unrolled: 1-line block ×4, first 2 shown]
	s_waitcnt vmcnt(0)
	ds_write2_b64 v125, v[97:98], v[99:100] offset0:26 offset1:27
	ds_write2_b64 v125, v[93:94], v[95:96] offset0:28 offset1:29
	buffer_load_dword v77, off, s[20:23], 0 offset:16 ; 4-byte Folded Reload
	buffer_load_dword v78, off, s[20:23], 0 offset:20 ; 4-byte Folded Reload
	;; [unrolled: 1-line block ×4, first 2 shown]
	s_waitcnt vmcnt(0)
	ds_write2_b64 v125, v[77:78], v[79:80] offset0:30 offset1:31
	buffer_load_dword v73, off, s[20:23], 0 ; 4-byte Folded Reload
	buffer_load_dword v74, off, s[20:23], 0 offset:4 ; 4-byte Folded Reload
	buffer_load_dword v75, off, s[20:23], 0 offset:8 ; 4-byte Folded Reload
	;; [unrolled: 1-line block ×3, first 2 shown]
	s_waitcnt vmcnt(0)
	ds_write2_b64 v125, v[73:74], v[75:76] offset0:32 offset1:33
	ds_write2_b64 v125, v[69:70], v[71:72] offset0:34 offset1:35
	ds_write2_b64 v125, v[65:66], v[67:68] offset0:36 offset1:37
	ds_write2_b64 v125, v[61:62], v[63:64] offset0:38 offset1:39
	ds_write2_b64 v125, v[57:58], v[59:60] offset0:40 offset1:41
	ds_write2_b64 v125, v[53:54], v[55:56] offset0:42 offset1:43
	ds_write2_b64 v125, v[49:50], v[51:52] offset0:44 offset1:45
	ds_write2_b64 v125, v[45:46], v[47:48] offset0:46 offset1:47
	ds_write2_b64 v125, v[41:42], v[43:44] offset0:48 offset1:49
	ds_write2_b64 v125, v[37:38], v[39:40] offset0:50 offset1:51
	ds_write2_b64 v125, v[33:34], v[35:36] offset0:52 offset1:53
	ds_write2_b64 v125, v[29:30], v[31:32] offset0:54 offset1:55
	ds_write2_b64 v125, v[25:26], v[27:28] offset0:56 offset1:57
	ds_write2_b64 v125, v[21:22], v[23:24] offset0:58 offset1:59
	ds_write2_b64 v125, v[17:18], v[19:20] offset0:60 offset1:61
	ds_write2_b64 v125, v[13:14], v[15:16] offset0:62 offset1:63
	ds_write2_b64 v125, v[9:10], v[11:12] offset0:64 offset1:65
	ds_write2_b64 v125, v[5:6], v[7:8] offset0:66 offset1:67
	ds_write2_b64 v125, v[1:2], v[3:4] offset0:68 offset1:69
	ds_write2_b64 v125, v[113:114], v[115:116] offset0:70 offset1:71
	ds_read2_b64 v[97:100], v127 offset1:1
	s_waitcnt lgkmcnt(0)
	v_cmp_neq_f64_e32 vcc, 0, v[97:98]
	v_cmp_neq_f64_e64 s[2:3], 0, v[99:100]
	s_or_b64 s[2:3], vcc, s[2:3]
	s_and_b64 exec, exec, s[2:3]
	s_cbranch_execz .LBB71_53
; %bb.48:
	v_cmp_ngt_f64_e64 s[2:3], |v[97:98]|, |v[99:100]|
                                        ; implicit-def: $vgpr101_vgpr102
	s_and_saveexec_b64 s[6:7], s[2:3]
	s_xor_b64 s[2:3], exec, s[6:7]
                                        ; implicit-def: $vgpr103_vgpr104
	s_cbranch_execz .LBB71_50
; %bb.49:
	v_div_scale_f64 v[101:102], s[6:7], v[99:100], v[99:100], v[97:98]
	v_rcp_f64_e32 v[103:104], v[101:102]
	v_fma_f64 v[105:106], -v[101:102], v[103:104], 1.0
	v_fma_f64 v[103:104], v[103:104], v[105:106], v[103:104]
	v_div_scale_f64 v[105:106], vcc, v[97:98], v[99:100], v[97:98]
	v_fma_f64 v[107:108], -v[101:102], v[103:104], 1.0
	v_fma_f64 v[103:104], v[103:104], v[107:108], v[103:104]
	v_mul_f64 v[107:108], v[105:106], v[103:104]
	v_fma_f64 v[101:102], -v[101:102], v[107:108], v[105:106]
	v_div_fmas_f64 v[101:102], v[101:102], v[103:104], v[107:108]
	v_div_fixup_f64 v[101:102], v[101:102], v[99:100], v[97:98]
	v_fma_f64 v[97:98], v[97:98], v[101:102], v[99:100]
	v_div_scale_f64 v[99:100], s[6:7], v[97:98], v[97:98], 1.0
	v_div_scale_f64 v[107:108], vcc, 1.0, v[97:98], 1.0
	v_rcp_f64_e32 v[103:104], v[99:100]
	v_fma_f64 v[105:106], -v[99:100], v[103:104], 1.0
	v_fma_f64 v[103:104], v[103:104], v[105:106], v[103:104]
	v_fma_f64 v[105:106], -v[99:100], v[103:104], 1.0
	v_fma_f64 v[103:104], v[103:104], v[105:106], v[103:104]
	v_mul_f64 v[105:106], v[107:108], v[103:104]
	v_fma_f64 v[99:100], -v[99:100], v[105:106], v[107:108]
	v_div_fmas_f64 v[99:100], v[99:100], v[103:104], v[105:106]
	v_div_fixup_f64 v[103:104], v[99:100], v[97:98], 1.0
                                        ; implicit-def: $vgpr97_vgpr98
	v_mul_f64 v[101:102], v[101:102], v[103:104]
	v_xor_b32_e32 v104, 0x80000000, v104
.LBB71_50:
	s_andn2_saveexec_b64 s[2:3], s[2:3]
	s_cbranch_execz .LBB71_52
; %bb.51:
	v_div_scale_f64 v[101:102], s[6:7], v[97:98], v[97:98], v[99:100]
	v_rcp_f64_e32 v[103:104], v[101:102]
	v_fma_f64 v[105:106], -v[101:102], v[103:104], 1.0
	v_fma_f64 v[103:104], v[103:104], v[105:106], v[103:104]
	v_div_scale_f64 v[105:106], vcc, v[99:100], v[97:98], v[99:100]
	v_fma_f64 v[107:108], -v[101:102], v[103:104], 1.0
	v_fma_f64 v[103:104], v[103:104], v[107:108], v[103:104]
	v_mul_f64 v[107:108], v[105:106], v[103:104]
	v_fma_f64 v[101:102], -v[101:102], v[107:108], v[105:106]
	v_div_fmas_f64 v[101:102], v[101:102], v[103:104], v[107:108]
	v_div_fixup_f64 v[103:104], v[101:102], v[97:98], v[99:100]
	v_fma_f64 v[97:98], v[99:100], v[103:104], v[97:98]
	v_div_scale_f64 v[99:100], s[6:7], v[97:98], v[97:98], 1.0
	v_div_scale_f64 v[107:108], vcc, 1.0, v[97:98], 1.0
	v_rcp_f64_e32 v[101:102], v[99:100]
	v_fma_f64 v[105:106], -v[99:100], v[101:102], 1.0
	v_fma_f64 v[101:102], v[101:102], v[105:106], v[101:102]
	v_fma_f64 v[105:106], -v[99:100], v[101:102], 1.0
	v_fma_f64 v[101:102], v[101:102], v[105:106], v[101:102]
	v_mul_f64 v[105:106], v[107:108], v[101:102]
	v_fma_f64 v[99:100], -v[99:100], v[105:106], v[107:108]
	v_div_fmas_f64 v[99:100], v[99:100], v[101:102], v[105:106]
	v_div_fixup_f64 v[101:102], v[99:100], v[97:98], 1.0
	v_mul_f64 v[103:104], v[103:104], -v[101:102]
.LBB71_52:
	s_or_b64 exec, exec, s[2:3]
	ds_write2_b64 v127, v[101:102], v[103:104] offset1:1
.LBB71_53:
	s_or_b64 exec, exec, s[4:5]
	s_waitcnt lgkmcnt(0)
	s_barrier
	ds_read2_b64 v[73:76], v127 offset1:1
	v_cmp_lt_u32_e32 vcc, 5, v0
	s_waitcnt lgkmcnt(0)
	buffer_store_dword v73, off, s[20:23], 0 offset:592 ; 4-byte Folded Spill
	s_nop 0
	buffer_store_dword v74, off, s[20:23], 0 offset:596 ; 4-byte Folded Spill
	buffer_store_dword v75, off, s[20:23], 0 offset:600 ; 4-byte Folded Spill
	;; [unrolled: 1-line block ×3, first 2 shown]
	s_and_saveexec_b64 s[2:3], vcc
	s_cbranch_execz .LBB71_55
; %bb.54:
	v_mov_b32_e32 v124, v116
	v_mov_b32_e32 v123, v115
	;; [unrolled: 1-line block ×4, first 2 shown]
	buffer_load_dword v113, off, s[20:23], 0 offset:80 ; 4-byte Folded Reload
	buffer_load_dword v114, off, s[20:23], 0 offset:84 ; 4-byte Folded Reload
	buffer_load_dword v115, off, s[20:23], 0 offset:88 ; 4-byte Folded Reload
	buffer_load_dword v116, off, s[20:23], 0 offset:92 ; 4-byte Folded Reload
	buffer_load_dword v73, off, s[20:23], 0 offset:592 ; 4-byte Folded Reload
	buffer_load_dword v74, off, s[20:23], 0 offset:596 ; 4-byte Folded Reload
	buffer_load_dword v75, off, s[20:23], 0 offset:600 ; 4-byte Folded Reload
	buffer_load_dword v76, off, s[20:23], 0 offset:604 ; 4-byte Folded Reload
	s_waitcnt vmcnt(2)
	v_mul_f64 v[99:100], v[73:74], v[115:116]
	s_waitcnt vmcnt(0)
	v_mul_f64 v[97:98], v[75:76], v[115:116]
	v_fma_f64 v[115:116], v[75:76], v[113:114], v[99:100]
	ds_read2_b64 v[99:102], v125 offset0:12 offset1:13
	v_fma_f64 v[97:98], v[73:74], v[113:114], -v[97:98]
	s_waitcnt lgkmcnt(0)
	v_mul_f64 v[103:104], v[101:102], v[115:116]
	v_mov_b32_e32 v114, v98
	v_mov_b32_e32 v113, v97
	v_fma_f64 v[103:104], v[99:100], v[97:98], -v[103:104]
	v_mul_f64 v[99:100], v[99:100], v[115:116]
	v_add_f64 v[89:90], v[89:90], -v[103:104]
	v_fma_f64 v[99:100], v[101:102], v[97:98], v[99:100]
	v_add_f64 v[91:92], v[91:92], -v[99:100]
	ds_read2_b64 v[99:102], v125 offset0:14 offset1:15
	s_waitcnt lgkmcnt(0)
	v_mul_f64 v[103:104], v[101:102], v[115:116]
	v_fma_f64 v[103:104], v[99:100], v[97:98], -v[103:104]
	v_mul_f64 v[99:100], v[99:100], v[115:116]
	v_add_f64 v[85:86], v[85:86], -v[103:104]
	v_fma_f64 v[99:100], v[101:102], v[97:98], v[99:100]
	v_add_f64 v[87:88], v[87:88], -v[99:100]
	ds_read2_b64 v[99:102], v125 offset0:16 offset1:17
	buffer_load_dword v73, off, s[20:23], 0 offset:64 ; 4-byte Folded Reload
	buffer_load_dword v74, off, s[20:23], 0 offset:68 ; 4-byte Folded Reload
	;; [unrolled: 1-line block ×4, first 2 shown]
	s_waitcnt lgkmcnt(0)
	v_mul_f64 v[103:104], v[101:102], v[115:116]
	v_fma_f64 v[103:104], v[99:100], v[97:98], -v[103:104]
	v_mul_f64 v[99:100], v[99:100], v[115:116]
	v_fma_f64 v[99:100], v[101:102], v[97:98], v[99:100]
	s_waitcnt vmcnt(2)
	v_add_f64 v[73:74], v[73:74], -v[103:104]
	s_waitcnt vmcnt(0)
	v_add_f64 v[75:76], v[75:76], -v[99:100]
	buffer_store_dword v73, off, s[20:23], 0 offset:64 ; 4-byte Folded Spill
	s_nop 0
	buffer_store_dword v74, off, s[20:23], 0 offset:68 ; 4-byte Folded Spill
	buffer_store_dword v75, off, s[20:23], 0 offset:72 ; 4-byte Folded Spill
	buffer_store_dword v76, off, s[20:23], 0 offset:76 ; 4-byte Folded Spill
	ds_read2_b64 v[99:102], v125 offset0:18 offset1:19
	s_waitcnt lgkmcnt(0)
	v_mul_f64 v[103:104], v[101:102], v[115:116]
	v_fma_f64 v[103:104], v[99:100], v[97:98], -v[103:104]
	v_mul_f64 v[99:100], v[99:100], v[115:116]
	v_add_f64 v[81:82], v[81:82], -v[103:104]
	v_fma_f64 v[99:100], v[101:102], v[97:98], v[99:100]
	v_add_f64 v[83:84], v[83:84], -v[99:100]
	ds_read2_b64 v[99:102], v125 offset0:20 offset1:21
	buffer_load_dword v73, off, s[20:23], 0 offset:48 ; 4-byte Folded Reload
	buffer_load_dword v74, off, s[20:23], 0 offset:52 ; 4-byte Folded Reload
	;; [unrolled: 1-line block ×4, first 2 shown]
	s_waitcnt lgkmcnt(0)
	v_mul_f64 v[103:104], v[101:102], v[115:116]
	v_fma_f64 v[103:104], v[99:100], v[97:98], -v[103:104]
	v_mul_f64 v[99:100], v[99:100], v[115:116]
	v_fma_f64 v[99:100], v[101:102], v[97:98], v[99:100]
	s_waitcnt vmcnt(2)
	v_add_f64 v[73:74], v[73:74], -v[103:104]
	s_waitcnt vmcnt(0)
	v_add_f64 v[75:76], v[75:76], -v[99:100]
	buffer_store_dword v73, off, s[20:23], 0 offset:48 ; 4-byte Folded Spill
	s_nop 0
	buffer_store_dword v74, off, s[20:23], 0 offset:52 ; 4-byte Folded Spill
	buffer_store_dword v75, off, s[20:23], 0 offset:56 ; 4-byte Folded Spill
	buffer_store_dword v76, off, s[20:23], 0 offset:60 ; 4-byte Folded Spill
	ds_read2_b64 v[99:102], v125 offset0:22 offset1:23
	s_waitcnt lgkmcnt(0)
	v_mul_f64 v[103:104], v[101:102], v[115:116]
	v_fma_f64 v[103:104], v[99:100], v[97:98], -v[103:104]
	v_mul_f64 v[99:100], v[99:100], v[115:116]
	v_add_f64 v[117:118], v[117:118], -v[103:104]
	v_fma_f64 v[99:100], v[101:102], v[97:98], v[99:100]
	v_add_f64 v[119:120], v[119:120], -v[99:100]
	ds_read2_b64 v[99:102], v125 offset0:24 offset1:25
	s_waitcnt lgkmcnt(0)
	v_mul_f64 v[103:104], v[101:102], v[115:116]
	v_fma_f64 v[103:104], v[99:100], v[97:98], -v[103:104]
	v_mul_f64 v[99:100], v[99:100], v[115:116]
	v_add_f64 v[109:110], v[109:110], -v[103:104]
	v_fma_f64 v[99:100], v[101:102], v[97:98], v[99:100]
	v_add_f64 v[111:112], v[111:112], -v[99:100]
	ds_read2_b64 v[99:102], v125 offset0:26 offset1:27
	buffer_load_dword v105, off, s[20:23], 0 offset:32 ; 4-byte Folded Reload
	buffer_load_dword v106, off, s[20:23], 0 offset:36 ; 4-byte Folded Reload
	;; [unrolled: 1-line block ×4, first 2 shown]
	s_waitcnt lgkmcnt(0)
	v_mul_f64 v[103:104], v[101:102], v[115:116]
	v_fma_f64 v[103:104], v[99:100], v[97:98], -v[103:104]
	v_mul_f64 v[99:100], v[99:100], v[115:116]
	v_fma_f64 v[99:100], v[101:102], v[97:98], v[99:100]
	s_waitcnt vmcnt(2)
	v_add_f64 v[105:106], v[105:106], -v[103:104]
	s_waitcnt vmcnt(0)
	v_add_f64 v[107:108], v[107:108], -v[99:100]
	buffer_store_dword v105, off, s[20:23], 0 offset:32 ; 4-byte Folded Spill
	s_nop 0
	buffer_store_dword v106, off, s[20:23], 0 offset:36 ; 4-byte Folded Spill
	buffer_store_dword v107, off, s[20:23], 0 offset:40 ; 4-byte Folded Spill
	;; [unrolled: 1-line block ×3, first 2 shown]
	ds_read2_b64 v[99:102], v125 offset0:28 offset1:29
	s_waitcnt lgkmcnt(0)
	v_mul_f64 v[103:104], v[101:102], v[115:116]
	v_fma_f64 v[103:104], v[99:100], v[97:98], -v[103:104]
	v_mul_f64 v[99:100], v[99:100], v[115:116]
	v_add_f64 v[93:94], v[93:94], -v[103:104]
	v_fma_f64 v[99:100], v[101:102], v[97:98], v[99:100]
	v_add_f64 v[95:96], v[95:96], -v[99:100]
	ds_read2_b64 v[99:102], v125 offset0:30 offset1:31
	buffer_load_dword v77, off, s[20:23], 0 offset:16 ; 4-byte Folded Reload
	buffer_load_dword v78, off, s[20:23], 0 offset:20 ; 4-byte Folded Reload
	;; [unrolled: 1-line block ×4, first 2 shown]
	s_waitcnt lgkmcnt(0)
	v_mul_f64 v[103:104], v[101:102], v[115:116]
	v_fma_f64 v[103:104], v[99:100], v[97:98], -v[103:104]
	v_mul_f64 v[99:100], v[99:100], v[115:116]
	v_fma_f64 v[99:100], v[101:102], v[97:98], v[99:100]
	s_waitcnt vmcnt(2)
	v_add_f64 v[77:78], v[77:78], -v[103:104]
	s_waitcnt vmcnt(0)
	v_add_f64 v[79:80], v[79:80], -v[99:100]
	buffer_store_dword v77, off, s[20:23], 0 offset:16 ; 4-byte Folded Spill
	s_nop 0
	buffer_store_dword v78, off, s[20:23], 0 offset:20 ; 4-byte Folded Spill
	buffer_store_dword v79, off, s[20:23], 0 offset:24 ; 4-byte Folded Spill
	;; [unrolled: 1-line block ×3, first 2 shown]
	ds_read2_b64 v[99:102], v125 offset0:32 offset1:33
	buffer_load_dword v73, off, s[20:23], 0 ; 4-byte Folded Reload
	buffer_load_dword v74, off, s[20:23], 0 offset:4 ; 4-byte Folded Reload
	buffer_load_dword v75, off, s[20:23], 0 offset:8 ; 4-byte Folded Reload
	;; [unrolled: 1-line block ×3, first 2 shown]
	s_waitcnt lgkmcnt(0)
	v_mul_f64 v[103:104], v[101:102], v[115:116]
	v_fma_f64 v[103:104], v[99:100], v[97:98], -v[103:104]
	v_mul_f64 v[99:100], v[99:100], v[115:116]
	v_fma_f64 v[99:100], v[101:102], v[97:98], v[99:100]
	s_waitcnt vmcnt(2)
	v_add_f64 v[73:74], v[73:74], -v[103:104]
	s_waitcnt vmcnt(0)
	v_add_f64 v[75:76], v[75:76], -v[99:100]
	buffer_store_dword v73, off, s[20:23], 0 ; 4-byte Folded Spill
	s_nop 0
	buffer_store_dword v74, off, s[20:23], 0 offset:4 ; 4-byte Folded Spill
	buffer_store_dword v75, off, s[20:23], 0 offset:8 ; 4-byte Folded Spill
	;; [unrolled: 1-line block ×3, first 2 shown]
	ds_read2_b64 v[99:102], v125 offset0:34 offset1:35
	s_waitcnt lgkmcnt(0)
	v_mul_f64 v[103:104], v[101:102], v[115:116]
	v_fma_f64 v[103:104], v[99:100], v[97:98], -v[103:104]
	v_mul_f64 v[99:100], v[99:100], v[115:116]
	v_add_f64 v[69:70], v[69:70], -v[103:104]
	v_fma_f64 v[99:100], v[101:102], v[97:98], v[99:100]
	v_add_f64 v[71:72], v[71:72], -v[99:100]
	ds_read2_b64 v[99:102], v125 offset0:36 offset1:37
	s_waitcnt lgkmcnt(0)
	v_mul_f64 v[103:104], v[101:102], v[115:116]
	v_fma_f64 v[103:104], v[99:100], v[97:98], -v[103:104]
	v_mul_f64 v[99:100], v[99:100], v[115:116]
	v_add_f64 v[65:66], v[65:66], -v[103:104]
	v_fma_f64 v[99:100], v[101:102], v[97:98], v[99:100]
	v_add_f64 v[67:68], v[67:68], -v[99:100]
	;; [unrolled: 8-line block ×18, first 2 shown]
	ds_read2_b64 v[99:102], v125 offset0:70 offset1:71
	s_waitcnt lgkmcnt(0)
	v_mul_f64 v[103:104], v[101:102], v[115:116]
	v_fma_f64 v[103:104], v[99:100], v[97:98], -v[103:104]
	v_mul_f64 v[99:100], v[99:100], v[115:116]
	buffer_store_dword v113, off, s[20:23], 0 offset:80 ; 4-byte Folded Spill
	s_nop 0
	buffer_store_dword v114, off, s[20:23], 0 offset:84 ; 4-byte Folded Spill
	buffer_store_dword v115, off, s[20:23], 0 offset:88 ; 4-byte Folded Spill
	;; [unrolled: 1-line block ×3, first 2 shown]
	v_add_f64 v[121:122], v[121:122], -v[103:104]
	v_fma_f64 v[99:100], v[101:102], v[97:98], v[99:100]
	v_add_f64 v[123:124], v[123:124], -v[99:100]
	v_mov_b32_e32 v113, v121
	v_mov_b32_e32 v114, v122
	;; [unrolled: 1-line block ×4, first 2 shown]
.LBB71_55:
	s_or_b64 exec, exec, s[2:3]
	v_cmp_eq_u32_e32 vcc, 6, v0
	s_waitcnt vmcnt(0)
	s_barrier
	s_and_saveexec_b64 s[4:5], vcc
	s_cbranch_execz .LBB71_62
; %bb.56:
	ds_write2_b64 v127, v[89:90], v[91:92] offset1:1
	ds_write2_b64 v125, v[85:86], v[87:88] offset0:14 offset1:15
	buffer_load_dword v73, off, s[20:23], 0 offset:64 ; 4-byte Folded Reload
	buffer_load_dword v74, off, s[20:23], 0 offset:68 ; 4-byte Folded Reload
	;; [unrolled: 1-line block ×4, first 2 shown]
	s_waitcnt vmcnt(0)
	ds_write2_b64 v125, v[73:74], v[75:76] offset0:16 offset1:17
	ds_write2_b64 v125, v[81:82], v[83:84] offset0:18 offset1:19
	buffer_load_dword v73, off, s[20:23], 0 offset:48 ; 4-byte Folded Reload
	buffer_load_dword v74, off, s[20:23], 0 offset:52 ; 4-byte Folded Reload
	buffer_load_dword v75, off, s[20:23], 0 offset:56 ; 4-byte Folded Reload
	buffer_load_dword v76, off, s[20:23], 0 offset:60 ; 4-byte Folded Reload
	s_waitcnt vmcnt(0)
	ds_write2_b64 v125, v[73:74], v[75:76] offset0:20 offset1:21
	ds_write2_b64 v125, v[117:118], v[119:120] offset0:22 offset1:23
	ds_write2_b64 v125, v[109:110], v[111:112] offset0:24 offset1:25
	buffer_load_dword v97, off, s[20:23], 0 offset:32 ; 4-byte Folded Reload
	buffer_load_dword v98, off, s[20:23], 0 offset:36 ; 4-byte Folded Reload
	;; [unrolled: 1-line block ×4, first 2 shown]
	s_waitcnt vmcnt(0)
	ds_write2_b64 v125, v[97:98], v[99:100] offset0:26 offset1:27
	ds_write2_b64 v125, v[93:94], v[95:96] offset0:28 offset1:29
	buffer_load_dword v77, off, s[20:23], 0 offset:16 ; 4-byte Folded Reload
	buffer_load_dword v78, off, s[20:23], 0 offset:20 ; 4-byte Folded Reload
	;; [unrolled: 1-line block ×4, first 2 shown]
	s_waitcnt vmcnt(0)
	ds_write2_b64 v125, v[77:78], v[79:80] offset0:30 offset1:31
	buffer_load_dword v73, off, s[20:23], 0 ; 4-byte Folded Reload
	buffer_load_dword v74, off, s[20:23], 0 offset:4 ; 4-byte Folded Reload
	buffer_load_dword v75, off, s[20:23], 0 offset:8 ; 4-byte Folded Reload
	buffer_load_dword v76, off, s[20:23], 0 offset:12 ; 4-byte Folded Reload
	s_waitcnt vmcnt(0)
	ds_write2_b64 v125, v[73:74], v[75:76] offset0:32 offset1:33
	ds_write2_b64 v125, v[69:70], v[71:72] offset0:34 offset1:35
	;; [unrolled: 1-line block ×20, first 2 shown]
	ds_read2_b64 v[97:100], v127 offset1:1
	s_waitcnt lgkmcnt(0)
	v_cmp_neq_f64_e32 vcc, 0, v[97:98]
	v_cmp_neq_f64_e64 s[2:3], 0, v[99:100]
	s_or_b64 s[2:3], vcc, s[2:3]
	s_and_b64 exec, exec, s[2:3]
	s_cbranch_execz .LBB71_62
; %bb.57:
	v_cmp_ngt_f64_e64 s[2:3], |v[97:98]|, |v[99:100]|
                                        ; implicit-def: $vgpr101_vgpr102
	s_and_saveexec_b64 s[6:7], s[2:3]
	s_xor_b64 s[2:3], exec, s[6:7]
                                        ; implicit-def: $vgpr103_vgpr104
	s_cbranch_execz .LBB71_59
; %bb.58:
	v_div_scale_f64 v[101:102], s[6:7], v[99:100], v[99:100], v[97:98]
	v_rcp_f64_e32 v[103:104], v[101:102]
	v_fma_f64 v[105:106], -v[101:102], v[103:104], 1.0
	v_fma_f64 v[103:104], v[103:104], v[105:106], v[103:104]
	v_div_scale_f64 v[105:106], vcc, v[97:98], v[99:100], v[97:98]
	v_fma_f64 v[107:108], -v[101:102], v[103:104], 1.0
	v_fma_f64 v[103:104], v[103:104], v[107:108], v[103:104]
	v_mul_f64 v[107:108], v[105:106], v[103:104]
	v_fma_f64 v[101:102], -v[101:102], v[107:108], v[105:106]
	v_div_fmas_f64 v[101:102], v[101:102], v[103:104], v[107:108]
	v_div_fixup_f64 v[101:102], v[101:102], v[99:100], v[97:98]
	v_fma_f64 v[97:98], v[97:98], v[101:102], v[99:100]
	v_div_scale_f64 v[99:100], s[6:7], v[97:98], v[97:98], 1.0
	v_div_scale_f64 v[107:108], vcc, 1.0, v[97:98], 1.0
	v_rcp_f64_e32 v[103:104], v[99:100]
	v_fma_f64 v[105:106], -v[99:100], v[103:104], 1.0
	v_fma_f64 v[103:104], v[103:104], v[105:106], v[103:104]
	v_fma_f64 v[105:106], -v[99:100], v[103:104], 1.0
	v_fma_f64 v[103:104], v[103:104], v[105:106], v[103:104]
	v_mul_f64 v[105:106], v[107:108], v[103:104]
	v_fma_f64 v[99:100], -v[99:100], v[105:106], v[107:108]
	v_div_fmas_f64 v[99:100], v[99:100], v[103:104], v[105:106]
	v_div_fixup_f64 v[103:104], v[99:100], v[97:98], 1.0
                                        ; implicit-def: $vgpr97_vgpr98
	v_mul_f64 v[101:102], v[101:102], v[103:104]
	v_xor_b32_e32 v104, 0x80000000, v104
.LBB71_59:
	s_andn2_saveexec_b64 s[2:3], s[2:3]
	s_cbranch_execz .LBB71_61
; %bb.60:
	v_div_scale_f64 v[101:102], s[6:7], v[97:98], v[97:98], v[99:100]
	v_rcp_f64_e32 v[103:104], v[101:102]
	v_fma_f64 v[105:106], -v[101:102], v[103:104], 1.0
	v_fma_f64 v[103:104], v[103:104], v[105:106], v[103:104]
	v_div_scale_f64 v[105:106], vcc, v[99:100], v[97:98], v[99:100]
	v_fma_f64 v[107:108], -v[101:102], v[103:104], 1.0
	v_fma_f64 v[103:104], v[103:104], v[107:108], v[103:104]
	v_mul_f64 v[107:108], v[105:106], v[103:104]
	v_fma_f64 v[101:102], -v[101:102], v[107:108], v[105:106]
	v_div_fmas_f64 v[101:102], v[101:102], v[103:104], v[107:108]
	v_div_fixup_f64 v[103:104], v[101:102], v[97:98], v[99:100]
	v_fma_f64 v[97:98], v[99:100], v[103:104], v[97:98]
	v_div_scale_f64 v[99:100], s[6:7], v[97:98], v[97:98], 1.0
	v_div_scale_f64 v[107:108], vcc, 1.0, v[97:98], 1.0
	v_rcp_f64_e32 v[101:102], v[99:100]
	v_fma_f64 v[105:106], -v[99:100], v[101:102], 1.0
	v_fma_f64 v[101:102], v[101:102], v[105:106], v[101:102]
	v_fma_f64 v[105:106], -v[99:100], v[101:102], 1.0
	v_fma_f64 v[101:102], v[101:102], v[105:106], v[101:102]
	v_mul_f64 v[105:106], v[107:108], v[101:102]
	v_fma_f64 v[99:100], -v[99:100], v[105:106], v[107:108]
	v_div_fmas_f64 v[99:100], v[99:100], v[101:102], v[105:106]
	v_div_fixup_f64 v[101:102], v[99:100], v[97:98], 1.0
	v_mul_f64 v[103:104], v[103:104], -v[101:102]
.LBB71_61:
	s_or_b64 exec, exec, s[2:3]
	ds_write2_b64 v127, v[101:102], v[103:104] offset1:1
.LBB71_62:
	s_or_b64 exec, exec, s[4:5]
	s_waitcnt lgkmcnt(0)
	s_barrier
	ds_read2_b64 v[73:76], v127 offset1:1
	v_cmp_lt_u32_e32 vcc, 6, v0
	s_waitcnt lgkmcnt(0)
	buffer_store_dword v73, off, s[20:23], 0 offset:608 ; 4-byte Folded Spill
	s_nop 0
	buffer_store_dword v74, off, s[20:23], 0 offset:612 ; 4-byte Folded Spill
	buffer_store_dword v75, off, s[20:23], 0 offset:616 ; 4-byte Folded Spill
	;; [unrolled: 1-line block ×3, first 2 shown]
	s_and_saveexec_b64 s[2:3], vcc
	s_cbranch_execz .LBB71_64
; %bb.63:
	buffer_load_dword v73, off, s[20:23], 0 offset:608 ; 4-byte Folded Reload
	buffer_load_dword v74, off, s[20:23], 0 offset:612 ; 4-byte Folded Reload
	;; [unrolled: 1-line block ×4, first 2 shown]
	s_waitcnt vmcnt(2)
	v_mul_f64 v[99:100], v[73:74], v[91:92]
	s_waitcnt vmcnt(0)
	v_mul_f64 v[97:98], v[75:76], v[91:92]
	v_fma_f64 v[91:92], v[75:76], v[89:90], v[99:100]
	ds_read2_b64 v[99:102], v125 offset0:14 offset1:15
	v_fma_f64 v[97:98], v[73:74], v[89:90], -v[97:98]
	s_waitcnt lgkmcnt(0)
	v_mul_f64 v[103:104], v[101:102], v[91:92]
	v_mov_b32_e32 v89, v97
	v_mov_b32_e32 v90, v98
	v_fma_f64 v[103:104], v[99:100], v[97:98], -v[103:104]
	v_mul_f64 v[99:100], v[99:100], v[91:92]
	v_add_f64 v[85:86], v[85:86], -v[103:104]
	v_fma_f64 v[99:100], v[101:102], v[97:98], v[99:100]
	v_add_f64 v[87:88], v[87:88], -v[99:100]
	ds_read2_b64 v[99:102], v125 offset0:16 offset1:17
	buffer_load_dword v73, off, s[20:23], 0 offset:64 ; 4-byte Folded Reload
	buffer_load_dword v74, off, s[20:23], 0 offset:68 ; 4-byte Folded Reload
	;; [unrolled: 1-line block ×4, first 2 shown]
	s_waitcnt lgkmcnt(0)
	v_mul_f64 v[103:104], v[101:102], v[91:92]
	v_fma_f64 v[103:104], v[99:100], v[97:98], -v[103:104]
	v_mul_f64 v[99:100], v[99:100], v[91:92]
	v_fma_f64 v[99:100], v[101:102], v[97:98], v[99:100]
	s_waitcnt vmcnt(2)
	v_add_f64 v[73:74], v[73:74], -v[103:104]
	s_waitcnt vmcnt(0)
	v_add_f64 v[75:76], v[75:76], -v[99:100]
	buffer_store_dword v73, off, s[20:23], 0 offset:64 ; 4-byte Folded Spill
	s_nop 0
	buffer_store_dword v74, off, s[20:23], 0 offset:68 ; 4-byte Folded Spill
	buffer_store_dword v75, off, s[20:23], 0 offset:72 ; 4-byte Folded Spill
	;; [unrolled: 1-line block ×3, first 2 shown]
	ds_read2_b64 v[99:102], v125 offset0:18 offset1:19
	s_waitcnt lgkmcnt(0)
	v_mul_f64 v[103:104], v[101:102], v[91:92]
	v_fma_f64 v[103:104], v[99:100], v[97:98], -v[103:104]
	v_mul_f64 v[99:100], v[99:100], v[91:92]
	v_add_f64 v[81:82], v[81:82], -v[103:104]
	v_fma_f64 v[99:100], v[101:102], v[97:98], v[99:100]
	v_add_f64 v[83:84], v[83:84], -v[99:100]
	ds_read2_b64 v[99:102], v125 offset0:20 offset1:21
	buffer_load_dword v73, off, s[20:23], 0 offset:48 ; 4-byte Folded Reload
	buffer_load_dword v74, off, s[20:23], 0 offset:52 ; 4-byte Folded Reload
	buffer_load_dword v75, off, s[20:23], 0 offset:56 ; 4-byte Folded Reload
	buffer_load_dword v76, off, s[20:23], 0 offset:60 ; 4-byte Folded Reload
	s_waitcnt lgkmcnt(0)
	v_mul_f64 v[103:104], v[101:102], v[91:92]
	v_fma_f64 v[103:104], v[99:100], v[97:98], -v[103:104]
	v_mul_f64 v[99:100], v[99:100], v[91:92]
	v_fma_f64 v[99:100], v[101:102], v[97:98], v[99:100]
	s_waitcnt vmcnt(2)
	v_add_f64 v[73:74], v[73:74], -v[103:104]
	s_waitcnt vmcnt(0)
	v_add_f64 v[75:76], v[75:76], -v[99:100]
	buffer_store_dword v73, off, s[20:23], 0 offset:48 ; 4-byte Folded Spill
	s_nop 0
	buffer_store_dword v74, off, s[20:23], 0 offset:52 ; 4-byte Folded Spill
	buffer_store_dword v75, off, s[20:23], 0 offset:56 ; 4-byte Folded Spill
	buffer_store_dword v76, off, s[20:23], 0 offset:60 ; 4-byte Folded Spill
	ds_read2_b64 v[99:102], v125 offset0:22 offset1:23
	s_waitcnt lgkmcnt(0)
	v_mul_f64 v[103:104], v[101:102], v[91:92]
	v_fma_f64 v[103:104], v[99:100], v[97:98], -v[103:104]
	v_mul_f64 v[99:100], v[99:100], v[91:92]
	v_add_f64 v[117:118], v[117:118], -v[103:104]
	v_fma_f64 v[99:100], v[101:102], v[97:98], v[99:100]
	v_add_f64 v[119:120], v[119:120], -v[99:100]
	ds_read2_b64 v[99:102], v125 offset0:24 offset1:25
	s_waitcnt lgkmcnt(0)
	v_mul_f64 v[103:104], v[101:102], v[91:92]
	v_fma_f64 v[103:104], v[99:100], v[97:98], -v[103:104]
	v_mul_f64 v[99:100], v[99:100], v[91:92]
	v_add_f64 v[109:110], v[109:110], -v[103:104]
	v_fma_f64 v[99:100], v[101:102], v[97:98], v[99:100]
	v_add_f64 v[111:112], v[111:112], -v[99:100]
	ds_read2_b64 v[99:102], v125 offset0:26 offset1:27
	buffer_load_dword v105, off, s[20:23], 0 offset:32 ; 4-byte Folded Reload
	buffer_load_dword v106, off, s[20:23], 0 offset:36 ; 4-byte Folded Reload
	;; [unrolled: 1-line block ×4, first 2 shown]
	s_waitcnt lgkmcnt(0)
	v_mul_f64 v[103:104], v[101:102], v[91:92]
	v_fma_f64 v[103:104], v[99:100], v[97:98], -v[103:104]
	v_mul_f64 v[99:100], v[99:100], v[91:92]
	v_fma_f64 v[99:100], v[101:102], v[97:98], v[99:100]
	s_waitcnt vmcnt(2)
	v_add_f64 v[105:106], v[105:106], -v[103:104]
	s_waitcnt vmcnt(0)
	v_add_f64 v[107:108], v[107:108], -v[99:100]
	buffer_store_dword v105, off, s[20:23], 0 offset:32 ; 4-byte Folded Spill
	s_nop 0
	buffer_store_dword v106, off, s[20:23], 0 offset:36 ; 4-byte Folded Spill
	buffer_store_dword v107, off, s[20:23], 0 offset:40 ; 4-byte Folded Spill
	;; [unrolled: 1-line block ×3, first 2 shown]
	ds_read2_b64 v[99:102], v125 offset0:28 offset1:29
	s_waitcnt lgkmcnt(0)
	v_mul_f64 v[103:104], v[101:102], v[91:92]
	v_fma_f64 v[103:104], v[99:100], v[97:98], -v[103:104]
	v_mul_f64 v[99:100], v[99:100], v[91:92]
	v_add_f64 v[93:94], v[93:94], -v[103:104]
	v_fma_f64 v[99:100], v[101:102], v[97:98], v[99:100]
	v_add_f64 v[95:96], v[95:96], -v[99:100]
	ds_read2_b64 v[99:102], v125 offset0:30 offset1:31
	buffer_load_dword v77, off, s[20:23], 0 offset:16 ; 4-byte Folded Reload
	buffer_load_dword v78, off, s[20:23], 0 offset:20 ; 4-byte Folded Reload
	buffer_load_dword v79, off, s[20:23], 0 offset:24 ; 4-byte Folded Reload
	buffer_load_dword v80, off, s[20:23], 0 offset:28 ; 4-byte Folded Reload
	s_waitcnt lgkmcnt(0)
	v_mul_f64 v[103:104], v[101:102], v[91:92]
	v_fma_f64 v[103:104], v[99:100], v[97:98], -v[103:104]
	v_mul_f64 v[99:100], v[99:100], v[91:92]
	v_fma_f64 v[99:100], v[101:102], v[97:98], v[99:100]
	s_waitcnt vmcnt(2)
	v_add_f64 v[77:78], v[77:78], -v[103:104]
	s_waitcnt vmcnt(0)
	v_add_f64 v[79:80], v[79:80], -v[99:100]
	buffer_store_dword v77, off, s[20:23], 0 offset:16 ; 4-byte Folded Spill
	s_nop 0
	buffer_store_dword v78, off, s[20:23], 0 offset:20 ; 4-byte Folded Spill
	buffer_store_dword v79, off, s[20:23], 0 offset:24 ; 4-byte Folded Spill
	;; [unrolled: 1-line block ×3, first 2 shown]
	ds_read2_b64 v[99:102], v125 offset0:32 offset1:33
	buffer_load_dword v73, off, s[20:23], 0 ; 4-byte Folded Reload
	buffer_load_dword v74, off, s[20:23], 0 offset:4 ; 4-byte Folded Reload
	buffer_load_dword v75, off, s[20:23], 0 offset:8 ; 4-byte Folded Reload
	;; [unrolled: 1-line block ×3, first 2 shown]
	s_waitcnt lgkmcnt(0)
	v_mul_f64 v[103:104], v[101:102], v[91:92]
	v_fma_f64 v[103:104], v[99:100], v[97:98], -v[103:104]
	v_mul_f64 v[99:100], v[99:100], v[91:92]
	v_fma_f64 v[99:100], v[101:102], v[97:98], v[99:100]
	s_waitcnt vmcnt(2)
	v_add_f64 v[73:74], v[73:74], -v[103:104]
	s_waitcnt vmcnt(0)
	v_add_f64 v[75:76], v[75:76], -v[99:100]
	buffer_store_dword v73, off, s[20:23], 0 ; 4-byte Folded Spill
	s_nop 0
	buffer_store_dword v74, off, s[20:23], 0 offset:4 ; 4-byte Folded Spill
	buffer_store_dword v75, off, s[20:23], 0 offset:8 ; 4-byte Folded Spill
	;; [unrolled: 1-line block ×3, first 2 shown]
	ds_read2_b64 v[99:102], v125 offset0:34 offset1:35
	s_waitcnt lgkmcnt(0)
	v_mul_f64 v[103:104], v[101:102], v[91:92]
	v_fma_f64 v[103:104], v[99:100], v[97:98], -v[103:104]
	v_mul_f64 v[99:100], v[99:100], v[91:92]
	v_add_f64 v[69:70], v[69:70], -v[103:104]
	v_fma_f64 v[99:100], v[101:102], v[97:98], v[99:100]
	v_add_f64 v[71:72], v[71:72], -v[99:100]
	ds_read2_b64 v[99:102], v125 offset0:36 offset1:37
	s_waitcnt lgkmcnt(0)
	v_mul_f64 v[103:104], v[101:102], v[91:92]
	v_fma_f64 v[103:104], v[99:100], v[97:98], -v[103:104]
	v_mul_f64 v[99:100], v[99:100], v[91:92]
	v_add_f64 v[65:66], v[65:66], -v[103:104]
	v_fma_f64 v[99:100], v[101:102], v[97:98], v[99:100]
	v_add_f64 v[67:68], v[67:68], -v[99:100]
	;; [unrolled: 8-line block ×19, first 2 shown]
.LBB71_64:
	s_or_b64 exec, exec, s[2:3]
	v_cmp_eq_u32_e32 vcc, 7, v0
	s_waitcnt vmcnt(0)
	s_barrier
	s_and_saveexec_b64 s[4:5], vcc
	s_cbranch_execz .LBB71_71
; %bb.65:
	ds_write2_b64 v127, v[85:86], v[87:88] offset1:1
	buffer_load_dword v73, off, s[20:23], 0 offset:64 ; 4-byte Folded Reload
	buffer_load_dword v74, off, s[20:23], 0 offset:68 ; 4-byte Folded Reload
	;; [unrolled: 1-line block ×4, first 2 shown]
	s_waitcnt vmcnt(0)
	ds_write2_b64 v125, v[73:74], v[75:76] offset0:16 offset1:17
	ds_write2_b64 v125, v[81:82], v[83:84] offset0:18 offset1:19
	buffer_load_dword v73, off, s[20:23], 0 offset:48 ; 4-byte Folded Reload
	buffer_load_dword v74, off, s[20:23], 0 offset:52 ; 4-byte Folded Reload
	;; [unrolled: 1-line block ×4, first 2 shown]
	s_waitcnt vmcnt(0)
	ds_write2_b64 v125, v[73:74], v[75:76] offset0:20 offset1:21
	ds_write2_b64 v125, v[117:118], v[119:120] offset0:22 offset1:23
	;; [unrolled: 1-line block ×3, first 2 shown]
	buffer_load_dword v97, off, s[20:23], 0 offset:32 ; 4-byte Folded Reload
	buffer_load_dword v98, off, s[20:23], 0 offset:36 ; 4-byte Folded Reload
	;; [unrolled: 1-line block ×4, first 2 shown]
	s_waitcnt vmcnt(0)
	ds_write2_b64 v125, v[97:98], v[99:100] offset0:26 offset1:27
	ds_write2_b64 v125, v[93:94], v[95:96] offset0:28 offset1:29
	buffer_load_dword v77, off, s[20:23], 0 offset:16 ; 4-byte Folded Reload
	buffer_load_dword v78, off, s[20:23], 0 offset:20 ; 4-byte Folded Reload
	;; [unrolled: 1-line block ×4, first 2 shown]
	s_waitcnt vmcnt(0)
	ds_write2_b64 v125, v[77:78], v[79:80] offset0:30 offset1:31
	buffer_load_dword v73, off, s[20:23], 0 ; 4-byte Folded Reload
	buffer_load_dword v74, off, s[20:23], 0 offset:4 ; 4-byte Folded Reload
	buffer_load_dword v75, off, s[20:23], 0 offset:8 ; 4-byte Folded Reload
	;; [unrolled: 1-line block ×3, first 2 shown]
	s_waitcnt vmcnt(0)
	ds_write2_b64 v125, v[73:74], v[75:76] offset0:32 offset1:33
	ds_write2_b64 v125, v[69:70], v[71:72] offset0:34 offset1:35
	ds_write2_b64 v125, v[65:66], v[67:68] offset0:36 offset1:37
	ds_write2_b64 v125, v[61:62], v[63:64] offset0:38 offset1:39
	ds_write2_b64 v125, v[57:58], v[59:60] offset0:40 offset1:41
	ds_write2_b64 v125, v[53:54], v[55:56] offset0:42 offset1:43
	ds_write2_b64 v125, v[49:50], v[51:52] offset0:44 offset1:45
	ds_write2_b64 v125, v[45:46], v[47:48] offset0:46 offset1:47
	ds_write2_b64 v125, v[41:42], v[43:44] offset0:48 offset1:49
	ds_write2_b64 v125, v[37:38], v[39:40] offset0:50 offset1:51
	ds_write2_b64 v125, v[33:34], v[35:36] offset0:52 offset1:53
	ds_write2_b64 v125, v[29:30], v[31:32] offset0:54 offset1:55
	ds_write2_b64 v125, v[25:26], v[27:28] offset0:56 offset1:57
	ds_write2_b64 v125, v[21:22], v[23:24] offset0:58 offset1:59
	ds_write2_b64 v125, v[17:18], v[19:20] offset0:60 offset1:61
	ds_write2_b64 v125, v[13:14], v[15:16] offset0:62 offset1:63
	ds_write2_b64 v125, v[9:10], v[11:12] offset0:64 offset1:65
	ds_write2_b64 v125, v[5:6], v[7:8] offset0:66 offset1:67
	ds_write2_b64 v125, v[1:2], v[3:4] offset0:68 offset1:69
	ds_write2_b64 v125, v[113:114], v[115:116] offset0:70 offset1:71
	ds_read2_b64 v[97:100], v127 offset1:1
	s_waitcnt lgkmcnt(0)
	v_cmp_neq_f64_e32 vcc, 0, v[97:98]
	v_cmp_neq_f64_e64 s[2:3], 0, v[99:100]
	s_or_b64 s[2:3], vcc, s[2:3]
	s_and_b64 exec, exec, s[2:3]
	s_cbranch_execz .LBB71_71
; %bb.66:
	v_cmp_ngt_f64_e64 s[2:3], |v[97:98]|, |v[99:100]|
                                        ; implicit-def: $vgpr101_vgpr102
	s_and_saveexec_b64 s[6:7], s[2:3]
	s_xor_b64 s[2:3], exec, s[6:7]
                                        ; implicit-def: $vgpr103_vgpr104
	s_cbranch_execz .LBB71_68
; %bb.67:
	v_div_scale_f64 v[101:102], s[6:7], v[99:100], v[99:100], v[97:98]
	v_rcp_f64_e32 v[103:104], v[101:102]
	v_fma_f64 v[105:106], -v[101:102], v[103:104], 1.0
	v_fma_f64 v[103:104], v[103:104], v[105:106], v[103:104]
	v_div_scale_f64 v[105:106], vcc, v[97:98], v[99:100], v[97:98]
	v_fma_f64 v[107:108], -v[101:102], v[103:104], 1.0
	v_fma_f64 v[103:104], v[103:104], v[107:108], v[103:104]
	v_mul_f64 v[107:108], v[105:106], v[103:104]
	v_fma_f64 v[101:102], -v[101:102], v[107:108], v[105:106]
	v_div_fmas_f64 v[101:102], v[101:102], v[103:104], v[107:108]
	v_div_fixup_f64 v[101:102], v[101:102], v[99:100], v[97:98]
	v_fma_f64 v[97:98], v[97:98], v[101:102], v[99:100]
	v_div_scale_f64 v[99:100], s[6:7], v[97:98], v[97:98], 1.0
	v_div_scale_f64 v[107:108], vcc, 1.0, v[97:98], 1.0
	v_rcp_f64_e32 v[103:104], v[99:100]
	v_fma_f64 v[105:106], -v[99:100], v[103:104], 1.0
	v_fma_f64 v[103:104], v[103:104], v[105:106], v[103:104]
	v_fma_f64 v[105:106], -v[99:100], v[103:104], 1.0
	v_fma_f64 v[103:104], v[103:104], v[105:106], v[103:104]
	v_mul_f64 v[105:106], v[107:108], v[103:104]
	v_fma_f64 v[99:100], -v[99:100], v[105:106], v[107:108]
	v_div_fmas_f64 v[99:100], v[99:100], v[103:104], v[105:106]
	v_div_fixup_f64 v[103:104], v[99:100], v[97:98], 1.0
                                        ; implicit-def: $vgpr97_vgpr98
	v_mul_f64 v[101:102], v[101:102], v[103:104]
	v_xor_b32_e32 v104, 0x80000000, v104
.LBB71_68:
	s_andn2_saveexec_b64 s[2:3], s[2:3]
	s_cbranch_execz .LBB71_70
; %bb.69:
	v_div_scale_f64 v[101:102], s[6:7], v[97:98], v[97:98], v[99:100]
	v_rcp_f64_e32 v[103:104], v[101:102]
	v_fma_f64 v[105:106], -v[101:102], v[103:104], 1.0
	v_fma_f64 v[103:104], v[103:104], v[105:106], v[103:104]
	v_div_scale_f64 v[105:106], vcc, v[99:100], v[97:98], v[99:100]
	v_fma_f64 v[107:108], -v[101:102], v[103:104], 1.0
	v_fma_f64 v[103:104], v[103:104], v[107:108], v[103:104]
	v_mul_f64 v[107:108], v[105:106], v[103:104]
	v_fma_f64 v[101:102], -v[101:102], v[107:108], v[105:106]
	v_div_fmas_f64 v[101:102], v[101:102], v[103:104], v[107:108]
	v_div_fixup_f64 v[103:104], v[101:102], v[97:98], v[99:100]
	v_fma_f64 v[97:98], v[99:100], v[103:104], v[97:98]
	v_div_scale_f64 v[99:100], s[6:7], v[97:98], v[97:98], 1.0
	v_div_scale_f64 v[107:108], vcc, 1.0, v[97:98], 1.0
	v_rcp_f64_e32 v[101:102], v[99:100]
	v_fma_f64 v[105:106], -v[99:100], v[101:102], 1.0
	v_fma_f64 v[101:102], v[101:102], v[105:106], v[101:102]
	v_fma_f64 v[105:106], -v[99:100], v[101:102], 1.0
	v_fma_f64 v[101:102], v[101:102], v[105:106], v[101:102]
	v_mul_f64 v[105:106], v[107:108], v[101:102]
	v_fma_f64 v[99:100], -v[99:100], v[105:106], v[107:108]
	v_div_fmas_f64 v[99:100], v[99:100], v[101:102], v[105:106]
	v_div_fixup_f64 v[101:102], v[99:100], v[97:98], 1.0
	v_mul_f64 v[103:104], v[103:104], -v[101:102]
.LBB71_70:
	s_or_b64 exec, exec, s[2:3]
	ds_write2_b64 v127, v[101:102], v[103:104] offset1:1
.LBB71_71:
	s_or_b64 exec, exec, s[4:5]
	s_waitcnt lgkmcnt(0)
	s_barrier
	ds_read2_b64 v[73:76], v127 offset1:1
	v_cmp_lt_u32_e32 vcc, 7, v0
	s_waitcnt lgkmcnt(0)
	buffer_store_dword v73, off, s[20:23], 0 offset:624 ; 4-byte Folded Spill
	s_nop 0
	buffer_store_dword v74, off, s[20:23], 0 offset:628 ; 4-byte Folded Spill
	buffer_store_dword v75, off, s[20:23], 0 offset:632 ; 4-byte Folded Spill
	;; [unrolled: 1-line block ×3, first 2 shown]
	s_and_saveexec_b64 s[2:3], vcc
	s_cbranch_execz .LBB71_73
; %bb.72:
	buffer_load_dword v73, off, s[20:23], 0 offset:624 ; 4-byte Folded Reload
	buffer_load_dword v74, off, s[20:23], 0 offset:628 ; 4-byte Folded Reload
	;; [unrolled: 1-line block ×4, first 2 shown]
	s_waitcnt vmcnt(2)
	v_mul_f64 v[99:100], v[73:74], v[87:88]
	s_waitcnt vmcnt(0)
	v_mul_f64 v[97:98], v[75:76], v[87:88]
	v_fma_f64 v[87:88], v[75:76], v[85:86], v[99:100]
	ds_read2_b64 v[99:102], v125 offset0:16 offset1:17
	v_fma_f64 v[97:98], v[73:74], v[85:86], -v[97:98]
	buffer_load_dword v73, off, s[20:23], 0 offset:64 ; 4-byte Folded Reload
	buffer_load_dword v74, off, s[20:23], 0 offset:68 ; 4-byte Folded Reload
	;; [unrolled: 1-line block ×4, first 2 shown]
	s_waitcnt lgkmcnt(0)
	v_mul_f64 v[103:104], v[101:102], v[87:88]
	v_mov_b32_e32 v85, v97
	v_mov_b32_e32 v86, v98
	v_fma_f64 v[103:104], v[99:100], v[97:98], -v[103:104]
	v_mul_f64 v[99:100], v[99:100], v[87:88]
	v_fma_f64 v[99:100], v[101:102], v[97:98], v[99:100]
	s_waitcnt vmcnt(2)
	v_add_f64 v[73:74], v[73:74], -v[103:104]
	s_waitcnt vmcnt(0)
	v_add_f64 v[75:76], v[75:76], -v[99:100]
	buffer_store_dword v73, off, s[20:23], 0 offset:64 ; 4-byte Folded Spill
	s_nop 0
	buffer_store_dword v74, off, s[20:23], 0 offset:68 ; 4-byte Folded Spill
	buffer_store_dword v75, off, s[20:23], 0 offset:72 ; 4-byte Folded Spill
	;; [unrolled: 1-line block ×3, first 2 shown]
	ds_read2_b64 v[99:102], v125 offset0:18 offset1:19
	s_waitcnt lgkmcnt(0)
	v_mul_f64 v[103:104], v[101:102], v[87:88]
	v_fma_f64 v[103:104], v[99:100], v[97:98], -v[103:104]
	v_mul_f64 v[99:100], v[99:100], v[87:88]
	v_add_f64 v[81:82], v[81:82], -v[103:104]
	v_fma_f64 v[99:100], v[101:102], v[97:98], v[99:100]
	v_add_f64 v[83:84], v[83:84], -v[99:100]
	ds_read2_b64 v[99:102], v125 offset0:20 offset1:21
	buffer_load_dword v73, off, s[20:23], 0 offset:48 ; 4-byte Folded Reload
	buffer_load_dword v74, off, s[20:23], 0 offset:52 ; 4-byte Folded Reload
	;; [unrolled: 1-line block ×4, first 2 shown]
	s_waitcnt lgkmcnt(0)
	v_mul_f64 v[103:104], v[101:102], v[87:88]
	v_fma_f64 v[103:104], v[99:100], v[97:98], -v[103:104]
	v_mul_f64 v[99:100], v[99:100], v[87:88]
	v_fma_f64 v[99:100], v[101:102], v[97:98], v[99:100]
	s_waitcnt vmcnt(2)
	v_add_f64 v[73:74], v[73:74], -v[103:104]
	s_waitcnt vmcnt(0)
	v_add_f64 v[75:76], v[75:76], -v[99:100]
	buffer_store_dword v73, off, s[20:23], 0 offset:48 ; 4-byte Folded Spill
	s_nop 0
	buffer_store_dword v74, off, s[20:23], 0 offset:52 ; 4-byte Folded Spill
	buffer_store_dword v75, off, s[20:23], 0 offset:56 ; 4-byte Folded Spill
	;; [unrolled: 1-line block ×3, first 2 shown]
	ds_read2_b64 v[99:102], v125 offset0:22 offset1:23
	s_waitcnt lgkmcnt(0)
	v_mul_f64 v[103:104], v[101:102], v[87:88]
	v_fma_f64 v[103:104], v[99:100], v[97:98], -v[103:104]
	v_mul_f64 v[99:100], v[99:100], v[87:88]
	v_add_f64 v[117:118], v[117:118], -v[103:104]
	v_fma_f64 v[99:100], v[101:102], v[97:98], v[99:100]
	v_add_f64 v[119:120], v[119:120], -v[99:100]
	ds_read2_b64 v[99:102], v125 offset0:24 offset1:25
	s_waitcnt lgkmcnt(0)
	v_mul_f64 v[103:104], v[101:102], v[87:88]
	v_fma_f64 v[103:104], v[99:100], v[97:98], -v[103:104]
	v_mul_f64 v[99:100], v[99:100], v[87:88]
	v_add_f64 v[109:110], v[109:110], -v[103:104]
	v_fma_f64 v[99:100], v[101:102], v[97:98], v[99:100]
	v_add_f64 v[111:112], v[111:112], -v[99:100]
	ds_read2_b64 v[99:102], v125 offset0:26 offset1:27
	buffer_load_dword v105, off, s[20:23], 0 offset:32 ; 4-byte Folded Reload
	buffer_load_dword v106, off, s[20:23], 0 offset:36 ; 4-byte Folded Reload
	;; [unrolled: 1-line block ×4, first 2 shown]
	s_waitcnt lgkmcnt(0)
	v_mul_f64 v[103:104], v[101:102], v[87:88]
	v_fma_f64 v[103:104], v[99:100], v[97:98], -v[103:104]
	v_mul_f64 v[99:100], v[99:100], v[87:88]
	v_fma_f64 v[99:100], v[101:102], v[97:98], v[99:100]
	s_waitcnt vmcnt(2)
	v_add_f64 v[105:106], v[105:106], -v[103:104]
	s_waitcnt vmcnt(0)
	v_add_f64 v[107:108], v[107:108], -v[99:100]
	buffer_store_dword v105, off, s[20:23], 0 offset:32 ; 4-byte Folded Spill
	s_nop 0
	buffer_store_dword v106, off, s[20:23], 0 offset:36 ; 4-byte Folded Spill
	buffer_store_dword v107, off, s[20:23], 0 offset:40 ; 4-byte Folded Spill
	;; [unrolled: 1-line block ×3, first 2 shown]
	ds_read2_b64 v[99:102], v125 offset0:28 offset1:29
	s_waitcnt lgkmcnt(0)
	v_mul_f64 v[103:104], v[101:102], v[87:88]
	v_fma_f64 v[103:104], v[99:100], v[97:98], -v[103:104]
	v_mul_f64 v[99:100], v[99:100], v[87:88]
	v_add_f64 v[93:94], v[93:94], -v[103:104]
	v_fma_f64 v[99:100], v[101:102], v[97:98], v[99:100]
	v_add_f64 v[95:96], v[95:96], -v[99:100]
	ds_read2_b64 v[99:102], v125 offset0:30 offset1:31
	buffer_load_dword v77, off, s[20:23], 0 offset:16 ; 4-byte Folded Reload
	buffer_load_dword v78, off, s[20:23], 0 offset:20 ; 4-byte Folded Reload
	;; [unrolled: 1-line block ×4, first 2 shown]
	s_waitcnt lgkmcnt(0)
	v_mul_f64 v[103:104], v[101:102], v[87:88]
	v_fma_f64 v[103:104], v[99:100], v[97:98], -v[103:104]
	v_mul_f64 v[99:100], v[99:100], v[87:88]
	v_fma_f64 v[99:100], v[101:102], v[97:98], v[99:100]
	s_waitcnt vmcnt(2)
	v_add_f64 v[77:78], v[77:78], -v[103:104]
	s_waitcnt vmcnt(0)
	v_add_f64 v[79:80], v[79:80], -v[99:100]
	buffer_store_dword v77, off, s[20:23], 0 offset:16 ; 4-byte Folded Spill
	s_nop 0
	buffer_store_dword v78, off, s[20:23], 0 offset:20 ; 4-byte Folded Spill
	buffer_store_dword v79, off, s[20:23], 0 offset:24 ; 4-byte Folded Spill
	;; [unrolled: 1-line block ×3, first 2 shown]
	ds_read2_b64 v[99:102], v125 offset0:32 offset1:33
	buffer_load_dword v73, off, s[20:23], 0 ; 4-byte Folded Reload
	buffer_load_dword v74, off, s[20:23], 0 offset:4 ; 4-byte Folded Reload
	buffer_load_dword v75, off, s[20:23], 0 offset:8 ; 4-byte Folded Reload
	;; [unrolled: 1-line block ×3, first 2 shown]
	s_waitcnt lgkmcnt(0)
	v_mul_f64 v[103:104], v[101:102], v[87:88]
	v_fma_f64 v[103:104], v[99:100], v[97:98], -v[103:104]
	v_mul_f64 v[99:100], v[99:100], v[87:88]
	v_fma_f64 v[99:100], v[101:102], v[97:98], v[99:100]
	s_waitcnt vmcnt(2)
	v_add_f64 v[73:74], v[73:74], -v[103:104]
	s_waitcnt vmcnt(0)
	v_add_f64 v[75:76], v[75:76], -v[99:100]
	buffer_store_dword v73, off, s[20:23], 0 ; 4-byte Folded Spill
	s_nop 0
	buffer_store_dword v74, off, s[20:23], 0 offset:4 ; 4-byte Folded Spill
	buffer_store_dword v75, off, s[20:23], 0 offset:8 ; 4-byte Folded Spill
	;; [unrolled: 1-line block ×3, first 2 shown]
	ds_read2_b64 v[99:102], v125 offset0:34 offset1:35
	s_waitcnt lgkmcnt(0)
	v_mul_f64 v[103:104], v[101:102], v[87:88]
	v_fma_f64 v[103:104], v[99:100], v[97:98], -v[103:104]
	v_mul_f64 v[99:100], v[99:100], v[87:88]
	v_add_f64 v[69:70], v[69:70], -v[103:104]
	v_fma_f64 v[99:100], v[101:102], v[97:98], v[99:100]
	v_add_f64 v[71:72], v[71:72], -v[99:100]
	ds_read2_b64 v[99:102], v125 offset0:36 offset1:37
	s_waitcnt lgkmcnt(0)
	v_mul_f64 v[103:104], v[101:102], v[87:88]
	v_fma_f64 v[103:104], v[99:100], v[97:98], -v[103:104]
	v_mul_f64 v[99:100], v[99:100], v[87:88]
	v_add_f64 v[65:66], v[65:66], -v[103:104]
	v_fma_f64 v[99:100], v[101:102], v[97:98], v[99:100]
	v_add_f64 v[67:68], v[67:68], -v[99:100]
	ds_read2_b64 v[99:102], v125 offset0:38 offset1:39
	s_waitcnt lgkmcnt(0)
	v_mul_f64 v[103:104], v[101:102], v[87:88]
	v_fma_f64 v[103:104], v[99:100], v[97:98], -v[103:104]
	v_mul_f64 v[99:100], v[99:100], v[87:88]
	v_add_f64 v[61:62], v[61:62], -v[103:104]
	v_fma_f64 v[99:100], v[101:102], v[97:98], v[99:100]
	v_add_f64 v[63:64], v[63:64], -v[99:100]
	ds_read2_b64 v[99:102], v125 offset0:40 offset1:41
	s_waitcnt lgkmcnt(0)
	v_mul_f64 v[103:104], v[101:102], v[87:88]
	v_fma_f64 v[103:104], v[99:100], v[97:98], -v[103:104]
	v_mul_f64 v[99:100], v[99:100], v[87:88]
	v_add_f64 v[57:58], v[57:58], -v[103:104]
	v_fma_f64 v[99:100], v[101:102], v[97:98], v[99:100]
	v_add_f64 v[59:60], v[59:60], -v[99:100]
	ds_read2_b64 v[99:102], v125 offset0:42 offset1:43
	s_waitcnt lgkmcnt(0)
	v_mul_f64 v[103:104], v[101:102], v[87:88]
	v_fma_f64 v[103:104], v[99:100], v[97:98], -v[103:104]
	v_mul_f64 v[99:100], v[99:100], v[87:88]
	v_add_f64 v[53:54], v[53:54], -v[103:104]
	v_fma_f64 v[99:100], v[101:102], v[97:98], v[99:100]
	v_add_f64 v[55:56], v[55:56], -v[99:100]
	ds_read2_b64 v[99:102], v125 offset0:44 offset1:45
	s_waitcnt lgkmcnt(0)
	v_mul_f64 v[103:104], v[101:102], v[87:88]
	v_fma_f64 v[103:104], v[99:100], v[97:98], -v[103:104]
	v_mul_f64 v[99:100], v[99:100], v[87:88]
	v_add_f64 v[49:50], v[49:50], -v[103:104]
	v_fma_f64 v[99:100], v[101:102], v[97:98], v[99:100]
	v_add_f64 v[51:52], v[51:52], -v[99:100]
	ds_read2_b64 v[99:102], v125 offset0:46 offset1:47
	s_waitcnt lgkmcnt(0)
	v_mul_f64 v[103:104], v[101:102], v[87:88]
	v_fma_f64 v[103:104], v[99:100], v[97:98], -v[103:104]
	v_mul_f64 v[99:100], v[99:100], v[87:88]
	v_add_f64 v[45:46], v[45:46], -v[103:104]
	v_fma_f64 v[99:100], v[101:102], v[97:98], v[99:100]
	v_add_f64 v[47:48], v[47:48], -v[99:100]
	ds_read2_b64 v[99:102], v125 offset0:48 offset1:49
	s_waitcnt lgkmcnt(0)
	v_mul_f64 v[103:104], v[101:102], v[87:88]
	v_fma_f64 v[103:104], v[99:100], v[97:98], -v[103:104]
	v_mul_f64 v[99:100], v[99:100], v[87:88]
	v_add_f64 v[41:42], v[41:42], -v[103:104]
	v_fma_f64 v[99:100], v[101:102], v[97:98], v[99:100]
	v_add_f64 v[43:44], v[43:44], -v[99:100]
	ds_read2_b64 v[99:102], v125 offset0:50 offset1:51
	s_waitcnt lgkmcnt(0)
	v_mul_f64 v[103:104], v[101:102], v[87:88]
	v_fma_f64 v[103:104], v[99:100], v[97:98], -v[103:104]
	v_mul_f64 v[99:100], v[99:100], v[87:88]
	v_add_f64 v[37:38], v[37:38], -v[103:104]
	v_fma_f64 v[99:100], v[101:102], v[97:98], v[99:100]
	v_add_f64 v[39:40], v[39:40], -v[99:100]
	ds_read2_b64 v[99:102], v125 offset0:52 offset1:53
	s_waitcnt lgkmcnt(0)
	v_mul_f64 v[103:104], v[101:102], v[87:88]
	v_fma_f64 v[103:104], v[99:100], v[97:98], -v[103:104]
	v_mul_f64 v[99:100], v[99:100], v[87:88]
	v_add_f64 v[33:34], v[33:34], -v[103:104]
	v_fma_f64 v[99:100], v[101:102], v[97:98], v[99:100]
	v_add_f64 v[35:36], v[35:36], -v[99:100]
	ds_read2_b64 v[99:102], v125 offset0:54 offset1:55
	s_waitcnt lgkmcnt(0)
	v_mul_f64 v[103:104], v[101:102], v[87:88]
	v_fma_f64 v[103:104], v[99:100], v[97:98], -v[103:104]
	v_mul_f64 v[99:100], v[99:100], v[87:88]
	v_add_f64 v[29:30], v[29:30], -v[103:104]
	v_fma_f64 v[99:100], v[101:102], v[97:98], v[99:100]
	v_add_f64 v[31:32], v[31:32], -v[99:100]
	ds_read2_b64 v[99:102], v125 offset0:56 offset1:57
	s_waitcnt lgkmcnt(0)
	v_mul_f64 v[103:104], v[101:102], v[87:88]
	v_fma_f64 v[103:104], v[99:100], v[97:98], -v[103:104]
	v_mul_f64 v[99:100], v[99:100], v[87:88]
	v_add_f64 v[25:26], v[25:26], -v[103:104]
	v_fma_f64 v[99:100], v[101:102], v[97:98], v[99:100]
	v_add_f64 v[27:28], v[27:28], -v[99:100]
	ds_read2_b64 v[99:102], v125 offset0:58 offset1:59
	s_waitcnt lgkmcnt(0)
	v_mul_f64 v[103:104], v[101:102], v[87:88]
	v_fma_f64 v[103:104], v[99:100], v[97:98], -v[103:104]
	v_mul_f64 v[99:100], v[99:100], v[87:88]
	v_add_f64 v[21:22], v[21:22], -v[103:104]
	v_fma_f64 v[99:100], v[101:102], v[97:98], v[99:100]
	v_add_f64 v[23:24], v[23:24], -v[99:100]
	ds_read2_b64 v[99:102], v125 offset0:60 offset1:61
	s_waitcnt lgkmcnt(0)
	v_mul_f64 v[103:104], v[101:102], v[87:88]
	v_fma_f64 v[103:104], v[99:100], v[97:98], -v[103:104]
	v_mul_f64 v[99:100], v[99:100], v[87:88]
	v_add_f64 v[17:18], v[17:18], -v[103:104]
	v_fma_f64 v[99:100], v[101:102], v[97:98], v[99:100]
	v_add_f64 v[19:20], v[19:20], -v[99:100]
	ds_read2_b64 v[99:102], v125 offset0:62 offset1:63
	s_waitcnt lgkmcnt(0)
	v_mul_f64 v[103:104], v[101:102], v[87:88]
	v_fma_f64 v[103:104], v[99:100], v[97:98], -v[103:104]
	v_mul_f64 v[99:100], v[99:100], v[87:88]
	v_add_f64 v[13:14], v[13:14], -v[103:104]
	v_fma_f64 v[99:100], v[101:102], v[97:98], v[99:100]
	v_add_f64 v[15:16], v[15:16], -v[99:100]
	ds_read2_b64 v[99:102], v125 offset0:64 offset1:65
	s_waitcnt lgkmcnt(0)
	v_mul_f64 v[103:104], v[101:102], v[87:88]
	v_fma_f64 v[103:104], v[99:100], v[97:98], -v[103:104]
	v_mul_f64 v[99:100], v[99:100], v[87:88]
	v_add_f64 v[9:10], v[9:10], -v[103:104]
	v_fma_f64 v[99:100], v[101:102], v[97:98], v[99:100]
	v_add_f64 v[11:12], v[11:12], -v[99:100]
	ds_read2_b64 v[99:102], v125 offset0:66 offset1:67
	s_waitcnt lgkmcnt(0)
	v_mul_f64 v[103:104], v[101:102], v[87:88]
	v_fma_f64 v[103:104], v[99:100], v[97:98], -v[103:104]
	v_mul_f64 v[99:100], v[99:100], v[87:88]
	v_add_f64 v[5:6], v[5:6], -v[103:104]
	v_fma_f64 v[99:100], v[101:102], v[97:98], v[99:100]
	v_add_f64 v[7:8], v[7:8], -v[99:100]
	ds_read2_b64 v[99:102], v125 offset0:68 offset1:69
	s_waitcnt lgkmcnt(0)
	v_mul_f64 v[103:104], v[101:102], v[87:88]
	v_fma_f64 v[103:104], v[99:100], v[97:98], -v[103:104]
	v_mul_f64 v[99:100], v[99:100], v[87:88]
	v_add_f64 v[1:2], v[1:2], -v[103:104]
	v_fma_f64 v[99:100], v[101:102], v[97:98], v[99:100]
	v_add_f64 v[3:4], v[3:4], -v[99:100]
	ds_read2_b64 v[99:102], v125 offset0:70 offset1:71
	s_waitcnt lgkmcnt(0)
	v_mul_f64 v[103:104], v[101:102], v[87:88]
	v_fma_f64 v[103:104], v[99:100], v[97:98], -v[103:104]
	v_mul_f64 v[99:100], v[99:100], v[87:88]
	v_add_f64 v[113:114], v[113:114], -v[103:104]
	v_fma_f64 v[99:100], v[101:102], v[97:98], v[99:100]
	v_add_f64 v[115:116], v[115:116], -v[99:100]
.LBB71_73:
	s_or_b64 exec, exec, s[2:3]
	v_cmp_eq_u32_e32 vcc, 8, v0
	s_waitcnt vmcnt(0)
	s_barrier
	s_and_saveexec_b64 s[4:5], vcc
	s_cbranch_execz .LBB71_80
; %bb.74:
	buffer_load_dword v73, off, s[20:23], 0 offset:64 ; 4-byte Folded Reload
	buffer_load_dword v74, off, s[20:23], 0 offset:68 ; 4-byte Folded Reload
	;; [unrolled: 1-line block ×4, first 2 shown]
	s_waitcnt vmcnt(0)
	ds_write2_b64 v127, v[73:74], v[75:76] offset1:1
	ds_write2_b64 v125, v[81:82], v[83:84] offset0:18 offset1:19
	buffer_load_dword v73, off, s[20:23], 0 offset:48 ; 4-byte Folded Reload
	buffer_load_dword v74, off, s[20:23], 0 offset:52 ; 4-byte Folded Reload
	;; [unrolled: 1-line block ×4, first 2 shown]
	s_waitcnt vmcnt(0)
	ds_write2_b64 v125, v[73:74], v[75:76] offset0:20 offset1:21
	ds_write2_b64 v125, v[117:118], v[119:120] offset0:22 offset1:23
	;; [unrolled: 1-line block ×3, first 2 shown]
	buffer_load_dword v97, off, s[20:23], 0 offset:32 ; 4-byte Folded Reload
	buffer_load_dword v98, off, s[20:23], 0 offset:36 ; 4-byte Folded Reload
	;; [unrolled: 1-line block ×4, first 2 shown]
	s_waitcnt vmcnt(0)
	ds_write2_b64 v125, v[97:98], v[99:100] offset0:26 offset1:27
	ds_write2_b64 v125, v[93:94], v[95:96] offset0:28 offset1:29
	buffer_load_dword v77, off, s[20:23], 0 offset:16 ; 4-byte Folded Reload
	buffer_load_dword v78, off, s[20:23], 0 offset:20 ; 4-byte Folded Reload
	;; [unrolled: 1-line block ×4, first 2 shown]
	s_waitcnt vmcnt(0)
	ds_write2_b64 v125, v[77:78], v[79:80] offset0:30 offset1:31
	buffer_load_dword v73, off, s[20:23], 0 ; 4-byte Folded Reload
	buffer_load_dword v74, off, s[20:23], 0 offset:4 ; 4-byte Folded Reload
	buffer_load_dword v75, off, s[20:23], 0 offset:8 ; 4-byte Folded Reload
	;; [unrolled: 1-line block ×3, first 2 shown]
	s_waitcnt vmcnt(0)
	ds_write2_b64 v125, v[73:74], v[75:76] offset0:32 offset1:33
	ds_write2_b64 v125, v[69:70], v[71:72] offset0:34 offset1:35
	;; [unrolled: 1-line block ×20, first 2 shown]
	ds_read2_b64 v[97:100], v127 offset1:1
	s_waitcnt lgkmcnt(0)
	v_cmp_neq_f64_e32 vcc, 0, v[97:98]
	v_cmp_neq_f64_e64 s[2:3], 0, v[99:100]
	s_or_b64 s[2:3], vcc, s[2:3]
	s_and_b64 exec, exec, s[2:3]
	s_cbranch_execz .LBB71_80
; %bb.75:
	v_cmp_ngt_f64_e64 s[2:3], |v[97:98]|, |v[99:100]|
                                        ; implicit-def: $vgpr101_vgpr102
	s_and_saveexec_b64 s[6:7], s[2:3]
	s_xor_b64 s[2:3], exec, s[6:7]
                                        ; implicit-def: $vgpr103_vgpr104
	s_cbranch_execz .LBB71_77
; %bb.76:
	v_div_scale_f64 v[101:102], s[6:7], v[99:100], v[99:100], v[97:98]
	v_rcp_f64_e32 v[103:104], v[101:102]
	v_fma_f64 v[105:106], -v[101:102], v[103:104], 1.0
	v_fma_f64 v[103:104], v[103:104], v[105:106], v[103:104]
	v_div_scale_f64 v[105:106], vcc, v[97:98], v[99:100], v[97:98]
	v_fma_f64 v[107:108], -v[101:102], v[103:104], 1.0
	v_fma_f64 v[103:104], v[103:104], v[107:108], v[103:104]
	v_mul_f64 v[107:108], v[105:106], v[103:104]
	v_fma_f64 v[101:102], -v[101:102], v[107:108], v[105:106]
	v_div_fmas_f64 v[101:102], v[101:102], v[103:104], v[107:108]
	v_div_fixup_f64 v[101:102], v[101:102], v[99:100], v[97:98]
	v_fma_f64 v[97:98], v[97:98], v[101:102], v[99:100]
	v_div_scale_f64 v[99:100], s[6:7], v[97:98], v[97:98], 1.0
	v_div_scale_f64 v[107:108], vcc, 1.0, v[97:98], 1.0
	v_rcp_f64_e32 v[103:104], v[99:100]
	v_fma_f64 v[105:106], -v[99:100], v[103:104], 1.0
	v_fma_f64 v[103:104], v[103:104], v[105:106], v[103:104]
	v_fma_f64 v[105:106], -v[99:100], v[103:104], 1.0
	v_fma_f64 v[103:104], v[103:104], v[105:106], v[103:104]
	v_mul_f64 v[105:106], v[107:108], v[103:104]
	v_fma_f64 v[99:100], -v[99:100], v[105:106], v[107:108]
	v_div_fmas_f64 v[99:100], v[99:100], v[103:104], v[105:106]
	v_div_fixup_f64 v[103:104], v[99:100], v[97:98], 1.0
                                        ; implicit-def: $vgpr97_vgpr98
	v_mul_f64 v[101:102], v[101:102], v[103:104]
	v_xor_b32_e32 v104, 0x80000000, v104
.LBB71_77:
	s_andn2_saveexec_b64 s[2:3], s[2:3]
	s_cbranch_execz .LBB71_79
; %bb.78:
	v_div_scale_f64 v[101:102], s[6:7], v[97:98], v[97:98], v[99:100]
	v_rcp_f64_e32 v[103:104], v[101:102]
	v_fma_f64 v[105:106], -v[101:102], v[103:104], 1.0
	v_fma_f64 v[103:104], v[103:104], v[105:106], v[103:104]
	v_div_scale_f64 v[105:106], vcc, v[99:100], v[97:98], v[99:100]
	v_fma_f64 v[107:108], -v[101:102], v[103:104], 1.0
	v_fma_f64 v[103:104], v[103:104], v[107:108], v[103:104]
	v_mul_f64 v[107:108], v[105:106], v[103:104]
	v_fma_f64 v[101:102], -v[101:102], v[107:108], v[105:106]
	v_div_fmas_f64 v[101:102], v[101:102], v[103:104], v[107:108]
	v_div_fixup_f64 v[103:104], v[101:102], v[97:98], v[99:100]
	v_fma_f64 v[97:98], v[99:100], v[103:104], v[97:98]
	v_div_scale_f64 v[99:100], s[6:7], v[97:98], v[97:98], 1.0
	v_div_scale_f64 v[107:108], vcc, 1.0, v[97:98], 1.0
	v_rcp_f64_e32 v[101:102], v[99:100]
	v_fma_f64 v[105:106], -v[99:100], v[101:102], 1.0
	v_fma_f64 v[101:102], v[101:102], v[105:106], v[101:102]
	v_fma_f64 v[105:106], -v[99:100], v[101:102], 1.0
	v_fma_f64 v[101:102], v[101:102], v[105:106], v[101:102]
	v_mul_f64 v[105:106], v[107:108], v[101:102]
	v_fma_f64 v[99:100], -v[99:100], v[105:106], v[107:108]
	v_div_fmas_f64 v[99:100], v[99:100], v[101:102], v[105:106]
	v_div_fixup_f64 v[101:102], v[99:100], v[97:98], 1.0
	v_mul_f64 v[103:104], v[103:104], -v[101:102]
.LBB71_79:
	s_or_b64 exec, exec, s[2:3]
	ds_write2_b64 v127, v[101:102], v[103:104] offset1:1
.LBB71_80:
	s_or_b64 exec, exec, s[4:5]
	s_waitcnt lgkmcnt(0)
	s_barrier
	ds_read2_b64 v[73:76], v127 offset1:1
	v_cmp_lt_u32_e32 vcc, 8, v0
	s_waitcnt lgkmcnt(0)
	buffer_store_dword v73, off, s[20:23], 0 offset:640 ; 4-byte Folded Spill
	s_nop 0
	buffer_store_dword v74, off, s[20:23], 0 offset:644 ; 4-byte Folded Spill
	buffer_store_dword v75, off, s[20:23], 0 offset:648 ; 4-byte Folded Spill
	;; [unrolled: 1-line block ×3, first 2 shown]
	s_and_saveexec_b64 s[2:3], vcc
	s_cbranch_execz .LBB71_82
; %bb.81:
	v_mov_b32_e32 v124, v116
	v_mov_b32_e32 v123, v115
	;; [unrolled: 1-line block ×4, first 2 shown]
	buffer_load_dword v113, off, s[20:23], 0 offset:64 ; 4-byte Folded Reload
	buffer_load_dword v114, off, s[20:23], 0 offset:68 ; 4-byte Folded Reload
	;; [unrolled: 1-line block ×8, first 2 shown]
	s_waitcnt vmcnt(2)
	v_mul_f64 v[99:100], v[73:74], v[115:116]
	s_waitcnt vmcnt(0)
	v_mul_f64 v[97:98], v[75:76], v[115:116]
	v_fma_f64 v[115:116], v[75:76], v[113:114], v[99:100]
	ds_read2_b64 v[99:102], v125 offset0:18 offset1:19
	v_fma_f64 v[97:98], v[73:74], v[113:114], -v[97:98]
	s_waitcnt lgkmcnt(0)
	v_mul_f64 v[103:104], v[101:102], v[115:116]
	v_mov_b32_e32 v114, v98
	v_mov_b32_e32 v113, v97
	v_fma_f64 v[103:104], v[99:100], v[97:98], -v[103:104]
	v_mul_f64 v[99:100], v[99:100], v[115:116]
	v_add_f64 v[81:82], v[81:82], -v[103:104]
	v_fma_f64 v[99:100], v[101:102], v[97:98], v[99:100]
	v_add_f64 v[83:84], v[83:84], -v[99:100]
	ds_read2_b64 v[99:102], v125 offset0:20 offset1:21
	buffer_load_dword v73, off, s[20:23], 0 offset:48 ; 4-byte Folded Reload
	buffer_load_dword v74, off, s[20:23], 0 offset:52 ; 4-byte Folded Reload
	;; [unrolled: 1-line block ×4, first 2 shown]
	s_waitcnt lgkmcnt(0)
	v_mul_f64 v[103:104], v[101:102], v[115:116]
	v_fma_f64 v[103:104], v[99:100], v[97:98], -v[103:104]
	v_mul_f64 v[99:100], v[99:100], v[115:116]
	v_fma_f64 v[99:100], v[101:102], v[97:98], v[99:100]
	s_waitcnt vmcnt(2)
	v_add_f64 v[73:74], v[73:74], -v[103:104]
	s_waitcnt vmcnt(0)
	v_add_f64 v[75:76], v[75:76], -v[99:100]
	buffer_store_dword v73, off, s[20:23], 0 offset:48 ; 4-byte Folded Spill
	s_nop 0
	buffer_store_dword v74, off, s[20:23], 0 offset:52 ; 4-byte Folded Spill
	buffer_store_dword v75, off, s[20:23], 0 offset:56 ; 4-byte Folded Spill
	;; [unrolled: 1-line block ×3, first 2 shown]
	ds_read2_b64 v[99:102], v125 offset0:22 offset1:23
	s_waitcnt lgkmcnt(0)
	v_mul_f64 v[103:104], v[101:102], v[115:116]
	v_fma_f64 v[103:104], v[99:100], v[97:98], -v[103:104]
	v_mul_f64 v[99:100], v[99:100], v[115:116]
	v_add_f64 v[117:118], v[117:118], -v[103:104]
	v_fma_f64 v[99:100], v[101:102], v[97:98], v[99:100]
	v_add_f64 v[119:120], v[119:120], -v[99:100]
	ds_read2_b64 v[99:102], v125 offset0:24 offset1:25
	s_waitcnt lgkmcnt(0)
	v_mul_f64 v[103:104], v[101:102], v[115:116]
	v_fma_f64 v[103:104], v[99:100], v[97:98], -v[103:104]
	v_mul_f64 v[99:100], v[99:100], v[115:116]
	v_add_f64 v[109:110], v[109:110], -v[103:104]
	v_fma_f64 v[99:100], v[101:102], v[97:98], v[99:100]
	v_add_f64 v[111:112], v[111:112], -v[99:100]
	ds_read2_b64 v[99:102], v125 offset0:26 offset1:27
	buffer_load_dword v105, off, s[20:23], 0 offset:32 ; 4-byte Folded Reload
	buffer_load_dword v106, off, s[20:23], 0 offset:36 ; 4-byte Folded Reload
	;; [unrolled: 1-line block ×4, first 2 shown]
	s_waitcnt lgkmcnt(0)
	v_mul_f64 v[103:104], v[101:102], v[115:116]
	v_fma_f64 v[103:104], v[99:100], v[97:98], -v[103:104]
	v_mul_f64 v[99:100], v[99:100], v[115:116]
	v_fma_f64 v[99:100], v[101:102], v[97:98], v[99:100]
	s_waitcnt vmcnt(2)
	v_add_f64 v[105:106], v[105:106], -v[103:104]
	s_waitcnt vmcnt(0)
	v_add_f64 v[107:108], v[107:108], -v[99:100]
	buffer_store_dword v105, off, s[20:23], 0 offset:32 ; 4-byte Folded Spill
	s_nop 0
	buffer_store_dword v106, off, s[20:23], 0 offset:36 ; 4-byte Folded Spill
	buffer_store_dword v107, off, s[20:23], 0 offset:40 ; 4-byte Folded Spill
	;; [unrolled: 1-line block ×3, first 2 shown]
	ds_read2_b64 v[99:102], v125 offset0:28 offset1:29
	s_waitcnt lgkmcnt(0)
	v_mul_f64 v[103:104], v[101:102], v[115:116]
	v_fma_f64 v[103:104], v[99:100], v[97:98], -v[103:104]
	v_mul_f64 v[99:100], v[99:100], v[115:116]
	v_add_f64 v[93:94], v[93:94], -v[103:104]
	v_fma_f64 v[99:100], v[101:102], v[97:98], v[99:100]
	v_add_f64 v[95:96], v[95:96], -v[99:100]
	ds_read2_b64 v[99:102], v125 offset0:30 offset1:31
	buffer_load_dword v77, off, s[20:23], 0 offset:16 ; 4-byte Folded Reload
	buffer_load_dword v78, off, s[20:23], 0 offset:20 ; 4-byte Folded Reload
	;; [unrolled: 1-line block ×4, first 2 shown]
	s_waitcnt lgkmcnt(0)
	v_mul_f64 v[103:104], v[101:102], v[115:116]
	v_fma_f64 v[103:104], v[99:100], v[97:98], -v[103:104]
	v_mul_f64 v[99:100], v[99:100], v[115:116]
	v_fma_f64 v[99:100], v[101:102], v[97:98], v[99:100]
	s_waitcnt vmcnt(2)
	v_add_f64 v[77:78], v[77:78], -v[103:104]
	s_waitcnt vmcnt(0)
	v_add_f64 v[79:80], v[79:80], -v[99:100]
	buffer_store_dword v77, off, s[20:23], 0 offset:16 ; 4-byte Folded Spill
	s_nop 0
	buffer_store_dword v78, off, s[20:23], 0 offset:20 ; 4-byte Folded Spill
	buffer_store_dword v79, off, s[20:23], 0 offset:24 ; 4-byte Folded Spill
	;; [unrolled: 1-line block ×3, first 2 shown]
	ds_read2_b64 v[99:102], v125 offset0:32 offset1:33
	buffer_load_dword v73, off, s[20:23], 0 ; 4-byte Folded Reload
	buffer_load_dword v74, off, s[20:23], 0 offset:4 ; 4-byte Folded Reload
	buffer_load_dword v75, off, s[20:23], 0 offset:8 ; 4-byte Folded Reload
	;; [unrolled: 1-line block ×3, first 2 shown]
	s_waitcnt lgkmcnt(0)
	v_mul_f64 v[103:104], v[101:102], v[115:116]
	v_fma_f64 v[103:104], v[99:100], v[97:98], -v[103:104]
	v_mul_f64 v[99:100], v[99:100], v[115:116]
	v_fma_f64 v[99:100], v[101:102], v[97:98], v[99:100]
	s_waitcnt vmcnt(2)
	v_add_f64 v[73:74], v[73:74], -v[103:104]
	s_waitcnt vmcnt(0)
	v_add_f64 v[75:76], v[75:76], -v[99:100]
	buffer_store_dword v73, off, s[20:23], 0 ; 4-byte Folded Spill
	s_nop 0
	buffer_store_dword v74, off, s[20:23], 0 offset:4 ; 4-byte Folded Spill
	buffer_store_dword v75, off, s[20:23], 0 offset:8 ; 4-byte Folded Spill
	buffer_store_dword v76, off, s[20:23], 0 offset:12 ; 4-byte Folded Spill
	ds_read2_b64 v[99:102], v125 offset0:34 offset1:35
	s_waitcnt lgkmcnt(0)
	v_mul_f64 v[103:104], v[101:102], v[115:116]
	v_fma_f64 v[103:104], v[99:100], v[97:98], -v[103:104]
	v_mul_f64 v[99:100], v[99:100], v[115:116]
	v_add_f64 v[69:70], v[69:70], -v[103:104]
	v_fma_f64 v[99:100], v[101:102], v[97:98], v[99:100]
	v_add_f64 v[71:72], v[71:72], -v[99:100]
	ds_read2_b64 v[99:102], v125 offset0:36 offset1:37
	s_waitcnt lgkmcnt(0)
	v_mul_f64 v[103:104], v[101:102], v[115:116]
	v_fma_f64 v[103:104], v[99:100], v[97:98], -v[103:104]
	v_mul_f64 v[99:100], v[99:100], v[115:116]
	v_add_f64 v[65:66], v[65:66], -v[103:104]
	v_fma_f64 v[99:100], v[101:102], v[97:98], v[99:100]
	v_add_f64 v[67:68], v[67:68], -v[99:100]
	;; [unrolled: 8-line block ×18, first 2 shown]
	ds_read2_b64 v[99:102], v125 offset0:70 offset1:71
	s_waitcnt lgkmcnt(0)
	v_mul_f64 v[103:104], v[101:102], v[115:116]
	v_fma_f64 v[103:104], v[99:100], v[97:98], -v[103:104]
	v_mul_f64 v[99:100], v[99:100], v[115:116]
	buffer_store_dword v113, off, s[20:23], 0 offset:64 ; 4-byte Folded Spill
	s_nop 0
	buffer_store_dword v114, off, s[20:23], 0 offset:68 ; 4-byte Folded Spill
	buffer_store_dword v115, off, s[20:23], 0 offset:72 ; 4-byte Folded Spill
	;; [unrolled: 1-line block ×3, first 2 shown]
	v_add_f64 v[121:122], v[121:122], -v[103:104]
	v_fma_f64 v[99:100], v[101:102], v[97:98], v[99:100]
	v_add_f64 v[123:124], v[123:124], -v[99:100]
	v_mov_b32_e32 v113, v121
	v_mov_b32_e32 v114, v122
	;; [unrolled: 1-line block ×4, first 2 shown]
.LBB71_82:
	s_or_b64 exec, exec, s[2:3]
	v_cmp_eq_u32_e32 vcc, 9, v0
	s_waitcnt vmcnt(0)
	s_barrier
	s_and_saveexec_b64 s[4:5], vcc
	s_cbranch_execz .LBB71_89
; %bb.83:
	ds_write2_b64 v127, v[81:82], v[83:84] offset1:1
	buffer_load_dword v73, off, s[20:23], 0 offset:48 ; 4-byte Folded Reload
	buffer_load_dword v74, off, s[20:23], 0 offset:52 ; 4-byte Folded Reload
	;; [unrolled: 1-line block ×4, first 2 shown]
	s_waitcnt vmcnt(0)
	ds_write2_b64 v125, v[73:74], v[75:76] offset0:20 offset1:21
	ds_write2_b64 v125, v[117:118], v[119:120] offset0:22 offset1:23
	ds_write2_b64 v125, v[109:110], v[111:112] offset0:24 offset1:25
	buffer_load_dword v97, off, s[20:23], 0 offset:32 ; 4-byte Folded Reload
	buffer_load_dword v98, off, s[20:23], 0 offset:36 ; 4-byte Folded Reload
	;; [unrolled: 1-line block ×4, first 2 shown]
	s_waitcnt vmcnt(0)
	ds_write2_b64 v125, v[97:98], v[99:100] offset0:26 offset1:27
	ds_write2_b64 v125, v[93:94], v[95:96] offset0:28 offset1:29
	buffer_load_dword v77, off, s[20:23], 0 offset:16 ; 4-byte Folded Reload
	buffer_load_dword v78, off, s[20:23], 0 offset:20 ; 4-byte Folded Reload
	;; [unrolled: 1-line block ×4, first 2 shown]
	s_waitcnt vmcnt(0)
	ds_write2_b64 v125, v[77:78], v[79:80] offset0:30 offset1:31
	buffer_load_dword v73, off, s[20:23], 0 ; 4-byte Folded Reload
	buffer_load_dword v74, off, s[20:23], 0 offset:4 ; 4-byte Folded Reload
	buffer_load_dword v75, off, s[20:23], 0 offset:8 ; 4-byte Folded Reload
	;; [unrolled: 1-line block ×3, first 2 shown]
	s_waitcnt vmcnt(0)
	ds_write2_b64 v125, v[73:74], v[75:76] offset0:32 offset1:33
	ds_write2_b64 v125, v[69:70], v[71:72] offset0:34 offset1:35
	ds_write2_b64 v125, v[65:66], v[67:68] offset0:36 offset1:37
	ds_write2_b64 v125, v[61:62], v[63:64] offset0:38 offset1:39
	ds_write2_b64 v125, v[57:58], v[59:60] offset0:40 offset1:41
	ds_write2_b64 v125, v[53:54], v[55:56] offset0:42 offset1:43
	ds_write2_b64 v125, v[49:50], v[51:52] offset0:44 offset1:45
	ds_write2_b64 v125, v[45:46], v[47:48] offset0:46 offset1:47
	ds_write2_b64 v125, v[41:42], v[43:44] offset0:48 offset1:49
	ds_write2_b64 v125, v[37:38], v[39:40] offset0:50 offset1:51
	ds_write2_b64 v125, v[33:34], v[35:36] offset0:52 offset1:53
	ds_write2_b64 v125, v[29:30], v[31:32] offset0:54 offset1:55
	ds_write2_b64 v125, v[25:26], v[27:28] offset0:56 offset1:57
	ds_write2_b64 v125, v[21:22], v[23:24] offset0:58 offset1:59
	ds_write2_b64 v125, v[17:18], v[19:20] offset0:60 offset1:61
	ds_write2_b64 v125, v[13:14], v[15:16] offset0:62 offset1:63
	ds_write2_b64 v125, v[9:10], v[11:12] offset0:64 offset1:65
	ds_write2_b64 v125, v[5:6], v[7:8] offset0:66 offset1:67
	ds_write2_b64 v125, v[1:2], v[3:4] offset0:68 offset1:69
	ds_write2_b64 v125, v[113:114], v[115:116] offset0:70 offset1:71
	ds_read2_b64 v[97:100], v127 offset1:1
	s_waitcnt lgkmcnt(0)
	v_cmp_neq_f64_e32 vcc, 0, v[97:98]
	v_cmp_neq_f64_e64 s[2:3], 0, v[99:100]
	s_or_b64 s[2:3], vcc, s[2:3]
	s_and_b64 exec, exec, s[2:3]
	s_cbranch_execz .LBB71_89
; %bb.84:
	v_cmp_ngt_f64_e64 s[2:3], |v[97:98]|, |v[99:100]|
                                        ; implicit-def: $vgpr101_vgpr102
	s_and_saveexec_b64 s[6:7], s[2:3]
	s_xor_b64 s[2:3], exec, s[6:7]
                                        ; implicit-def: $vgpr103_vgpr104
	s_cbranch_execz .LBB71_86
; %bb.85:
	v_div_scale_f64 v[101:102], s[6:7], v[99:100], v[99:100], v[97:98]
	v_rcp_f64_e32 v[103:104], v[101:102]
	v_fma_f64 v[105:106], -v[101:102], v[103:104], 1.0
	v_fma_f64 v[103:104], v[103:104], v[105:106], v[103:104]
	v_div_scale_f64 v[105:106], vcc, v[97:98], v[99:100], v[97:98]
	v_fma_f64 v[107:108], -v[101:102], v[103:104], 1.0
	v_fma_f64 v[103:104], v[103:104], v[107:108], v[103:104]
	v_mul_f64 v[107:108], v[105:106], v[103:104]
	v_fma_f64 v[101:102], -v[101:102], v[107:108], v[105:106]
	v_div_fmas_f64 v[101:102], v[101:102], v[103:104], v[107:108]
	v_div_fixup_f64 v[101:102], v[101:102], v[99:100], v[97:98]
	v_fma_f64 v[97:98], v[97:98], v[101:102], v[99:100]
	v_div_scale_f64 v[99:100], s[6:7], v[97:98], v[97:98], 1.0
	v_div_scale_f64 v[107:108], vcc, 1.0, v[97:98], 1.0
	v_rcp_f64_e32 v[103:104], v[99:100]
	v_fma_f64 v[105:106], -v[99:100], v[103:104], 1.0
	v_fma_f64 v[103:104], v[103:104], v[105:106], v[103:104]
	v_fma_f64 v[105:106], -v[99:100], v[103:104], 1.0
	v_fma_f64 v[103:104], v[103:104], v[105:106], v[103:104]
	v_mul_f64 v[105:106], v[107:108], v[103:104]
	v_fma_f64 v[99:100], -v[99:100], v[105:106], v[107:108]
	v_div_fmas_f64 v[99:100], v[99:100], v[103:104], v[105:106]
	v_div_fixup_f64 v[103:104], v[99:100], v[97:98], 1.0
                                        ; implicit-def: $vgpr97_vgpr98
	v_mul_f64 v[101:102], v[101:102], v[103:104]
	v_xor_b32_e32 v104, 0x80000000, v104
.LBB71_86:
	s_andn2_saveexec_b64 s[2:3], s[2:3]
	s_cbranch_execz .LBB71_88
; %bb.87:
	v_div_scale_f64 v[101:102], s[6:7], v[97:98], v[97:98], v[99:100]
	v_rcp_f64_e32 v[103:104], v[101:102]
	v_fma_f64 v[105:106], -v[101:102], v[103:104], 1.0
	v_fma_f64 v[103:104], v[103:104], v[105:106], v[103:104]
	v_div_scale_f64 v[105:106], vcc, v[99:100], v[97:98], v[99:100]
	v_fma_f64 v[107:108], -v[101:102], v[103:104], 1.0
	v_fma_f64 v[103:104], v[103:104], v[107:108], v[103:104]
	v_mul_f64 v[107:108], v[105:106], v[103:104]
	v_fma_f64 v[101:102], -v[101:102], v[107:108], v[105:106]
	v_div_fmas_f64 v[101:102], v[101:102], v[103:104], v[107:108]
	v_div_fixup_f64 v[103:104], v[101:102], v[97:98], v[99:100]
	v_fma_f64 v[97:98], v[99:100], v[103:104], v[97:98]
	v_div_scale_f64 v[99:100], s[6:7], v[97:98], v[97:98], 1.0
	v_div_scale_f64 v[107:108], vcc, 1.0, v[97:98], 1.0
	v_rcp_f64_e32 v[101:102], v[99:100]
	v_fma_f64 v[105:106], -v[99:100], v[101:102], 1.0
	v_fma_f64 v[101:102], v[101:102], v[105:106], v[101:102]
	v_fma_f64 v[105:106], -v[99:100], v[101:102], 1.0
	v_fma_f64 v[101:102], v[101:102], v[105:106], v[101:102]
	v_mul_f64 v[105:106], v[107:108], v[101:102]
	v_fma_f64 v[99:100], -v[99:100], v[105:106], v[107:108]
	v_div_fmas_f64 v[99:100], v[99:100], v[101:102], v[105:106]
	v_div_fixup_f64 v[101:102], v[99:100], v[97:98], 1.0
	v_mul_f64 v[103:104], v[103:104], -v[101:102]
.LBB71_88:
	s_or_b64 exec, exec, s[2:3]
	ds_write2_b64 v127, v[101:102], v[103:104] offset1:1
.LBB71_89:
	s_or_b64 exec, exec, s[4:5]
	s_waitcnt lgkmcnt(0)
	s_barrier
	ds_read2_b64 v[121:124], v127 offset1:1
	v_cmp_lt_u32_e32 vcc, 9, v0
	s_and_saveexec_b64 s[2:3], vcc
	s_cbranch_execz .LBB71_91
; %bb.90:
	s_waitcnt lgkmcnt(0)
	v_mul_f64 v[99:100], v[121:122], v[83:84]
	v_mul_f64 v[97:98], v[123:124], v[83:84]
	v_fma_f64 v[83:84], v[123:124], v[81:82], v[99:100]
	ds_read2_b64 v[99:102], v125 offset0:20 offset1:21
	buffer_load_dword v73, off, s[20:23], 0 offset:48 ; 4-byte Folded Reload
	buffer_load_dword v74, off, s[20:23], 0 offset:52 ; 4-byte Folded Reload
	;; [unrolled: 1-line block ×4, first 2 shown]
	v_fma_f64 v[97:98], v[121:122], v[81:82], -v[97:98]
	s_waitcnt lgkmcnt(0)
	v_mul_f64 v[103:104], v[101:102], v[83:84]
	v_mov_b32_e32 v81, v97
	v_mov_b32_e32 v82, v98
	v_fma_f64 v[103:104], v[99:100], v[97:98], -v[103:104]
	v_mul_f64 v[99:100], v[99:100], v[83:84]
	v_fma_f64 v[99:100], v[101:102], v[97:98], v[99:100]
	s_waitcnt vmcnt(2)
	v_add_f64 v[73:74], v[73:74], -v[103:104]
	s_waitcnt vmcnt(0)
	v_add_f64 v[75:76], v[75:76], -v[99:100]
	buffer_store_dword v73, off, s[20:23], 0 offset:48 ; 4-byte Folded Spill
	s_nop 0
	buffer_store_dword v74, off, s[20:23], 0 offset:52 ; 4-byte Folded Spill
	buffer_store_dword v75, off, s[20:23], 0 offset:56 ; 4-byte Folded Spill
	;; [unrolled: 1-line block ×3, first 2 shown]
	ds_read2_b64 v[99:102], v125 offset0:22 offset1:23
	s_waitcnt lgkmcnt(0)
	v_mul_f64 v[103:104], v[101:102], v[83:84]
	v_fma_f64 v[103:104], v[99:100], v[97:98], -v[103:104]
	v_mul_f64 v[99:100], v[99:100], v[83:84]
	v_add_f64 v[117:118], v[117:118], -v[103:104]
	v_fma_f64 v[99:100], v[101:102], v[97:98], v[99:100]
	v_add_f64 v[119:120], v[119:120], -v[99:100]
	ds_read2_b64 v[99:102], v125 offset0:24 offset1:25
	s_waitcnt lgkmcnt(0)
	v_mul_f64 v[103:104], v[101:102], v[83:84]
	v_fma_f64 v[103:104], v[99:100], v[97:98], -v[103:104]
	v_mul_f64 v[99:100], v[99:100], v[83:84]
	v_add_f64 v[109:110], v[109:110], -v[103:104]
	v_fma_f64 v[99:100], v[101:102], v[97:98], v[99:100]
	v_add_f64 v[111:112], v[111:112], -v[99:100]
	ds_read2_b64 v[99:102], v125 offset0:26 offset1:27
	buffer_load_dword v105, off, s[20:23], 0 offset:32 ; 4-byte Folded Reload
	buffer_load_dword v106, off, s[20:23], 0 offset:36 ; 4-byte Folded Reload
	;; [unrolled: 1-line block ×4, first 2 shown]
	s_waitcnt lgkmcnt(0)
	v_mul_f64 v[103:104], v[101:102], v[83:84]
	v_fma_f64 v[103:104], v[99:100], v[97:98], -v[103:104]
	v_mul_f64 v[99:100], v[99:100], v[83:84]
	v_fma_f64 v[99:100], v[101:102], v[97:98], v[99:100]
	s_waitcnt vmcnt(2)
	v_add_f64 v[105:106], v[105:106], -v[103:104]
	s_waitcnt vmcnt(0)
	v_add_f64 v[107:108], v[107:108], -v[99:100]
	buffer_store_dword v105, off, s[20:23], 0 offset:32 ; 4-byte Folded Spill
	s_nop 0
	buffer_store_dword v106, off, s[20:23], 0 offset:36 ; 4-byte Folded Spill
	buffer_store_dword v107, off, s[20:23], 0 offset:40 ; 4-byte Folded Spill
	;; [unrolled: 1-line block ×3, first 2 shown]
	ds_read2_b64 v[99:102], v125 offset0:28 offset1:29
	s_waitcnt lgkmcnt(0)
	v_mul_f64 v[103:104], v[101:102], v[83:84]
	v_fma_f64 v[103:104], v[99:100], v[97:98], -v[103:104]
	v_mul_f64 v[99:100], v[99:100], v[83:84]
	v_add_f64 v[93:94], v[93:94], -v[103:104]
	v_fma_f64 v[99:100], v[101:102], v[97:98], v[99:100]
	v_add_f64 v[95:96], v[95:96], -v[99:100]
	ds_read2_b64 v[99:102], v125 offset0:30 offset1:31
	buffer_load_dword v77, off, s[20:23], 0 offset:16 ; 4-byte Folded Reload
	buffer_load_dword v78, off, s[20:23], 0 offset:20 ; 4-byte Folded Reload
	;; [unrolled: 1-line block ×4, first 2 shown]
	s_waitcnt lgkmcnt(0)
	v_mul_f64 v[103:104], v[101:102], v[83:84]
	v_fma_f64 v[103:104], v[99:100], v[97:98], -v[103:104]
	v_mul_f64 v[99:100], v[99:100], v[83:84]
	v_fma_f64 v[99:100], v[101:102], v[97:98], v[99:100]
	s_waitcnt vmcnt(2)
	v_add_f64 v[77:78], v[77:78], -v[103:104]
	s_waitcnt vmcnt(0)
	v_add_f64 v[79:80], v[79:80], -v[99:100]
	buffer_store_dword v77, off, s[20:23], 0 offset:16 ; 4-byte Folded Spill
	s_nop 0
	buffer_store_dword v78, off, s[20:23], 0 offset:20 ; 4-byte Folded Spill
	buffer_store_dword v79, off, s[20:23], 0 offset:24 ; 4-byte Folded Spill
	;; [unrolled: 1-line block ×3, first 2 shown]
	ds_read2_b64 v[99:102], v125 offset0:32 offset1:33
	buffer_load_dword v73, off, s[20:23], 0 ; 4-byte Folded Reload
	buffer_load_dword v74, off, s[20:23], 0 offset:4 ; 4-byte Folded Reload
	buffer_load_dword v75, off, s[20:23], 0 offset:8 ; 4-byte Folded Reload
	;; [unrolled: 1-line block ×3, first 2 shown]
	s_waitcnt lgkmcnt(0)
	v_mul_f64 v[103:104], v[101:102], v[83:84]
	v_fma_f64 v[103:104], v[99:100], v[97:98], -v[103:104]
	v_mul_f64 v[99:100], v[99:100], v[83:84]
	v_fma_f64 v[99:100], v[101:102], v[97:98], v[99:100]
	s_waitcnt vmcnt(2)
	v_add_f64 v[73:74], v[73:74], -v[103:104]
	s_waitcnt vmcnt(0)
	v_add_f64 v[75:76], v[75:76], -v[99:100]
	buffer_store_dword v73, off, s[20:23], 0 ; 4-byte Folded Spill
	s_nop 0
	buffer_store_dword v74, off, s[20:23], 0 offset:4 ; 4-byte Folded Spill
	buffer_store_dword v75, off, s[20:23], 0 offset:8 ; 4-byte Folded Spill
	;; [unrolled: 1-line block ×3, first 2 shown]
	ds_read2_b64 v[99:102], v125 offset0:34 offset1:35
	s_waitcnt lgkmcnt(0)
	v_mul_f64 v[103:104], v[101:102], v[83:84]
	v_fma_f64 v[103:104], v[99:100], v[97:98], -v[103:104]
	v_mul_f64 v[99:100], v[99:100], v[83:84]
	v_add_f64 v[69:70], v[69:70], -v[103:104]
	v_fma_f64 v[99:100], v[101:102], v[97:98], v[99:100]
	v_add_f64 v[71:72], v[71:72], -v[99:100]
	ds_read2_b64 v[99:102], v125 offset0:36 offset1:37
	s_waitcnt lgkmcnt(0)
	v_mul_f64 v[103:104], v[101:102], v[83:84]
	v_fma_f64 v[103:104], v[99:100], v[97:98], -v[103:104]
	v_mul_f64 v[99:100], v[99:100], v[83:84]
	v_add_f64 v[65:66], v[65:66], -v[103:104]
	v_fma_f64 v[99:100], v[101:102], v[97:98], v[99:100]
	v_add_f64 v[67:68], v[67:68], -v[99:100]
	;; [unrolled: 8-line block ×19, first 2 shown]
.LBB71_91:
	s_or_b64 exec, exec, s[2:3]
	v_cmp_eq_u32_e32 vcc, 10, v0
	s_waitcnt vmcnt(0) lgkmcnt(0)
	s_barrier
	s_and_saveexec_b64 s[4:5], vcc
	s_cbranch_execz .LBB71_98
; %bb.92:
	buffer_load_dword v73, off, s[20:23], 0 offset:48 ; 4-byte Folded Reload
	buffer_load_dword v74, off, s[20:23], 0 offset:52 ; 4-byte Folded Reload
	;; [unrolled: 1-line block ×4, first 2 shown]
	s_waitcnt vmcnt(0)
	ds_write2_b64 v127, v[73:74], v[75:76] offset1:1
	ds_write2_b64 v125, v[117:118], v[119:120] offset0:22 offset1:23
	ds_write2_b64 v125, v[109:110], v[111:112] offset0:24 offset1:25
	buffer_load_dword v97, off, s[20:23], 0 offset:32 ; 4-byte Folded Reload
	buffer_load_dword v98, off, s[20:23], 0 offset:36 ; 4-byte Folded Reload
	;; [unrolled: 1-line block ×4, first 2 shown]
	s_waitcnt vmcnt(0)
	ds_write2_b64 v125, v[97:98], v[99:100] offset0:26 offset1:27
	ds_write2_b64 v125, v[93:94], v[95:96] offset0:28 offset1:29
	buffer_load_dword v77, off, s[20:23], 0 offset:16 ; 4-byte Folded Reload
	buffer_load_dword v78, off, s[20:23], 0 offset:20 ; 4-byte Folded Reload
	;; [unrolled: 1-line block ×4, first 2 shown]
	s_waitcnt vmcnt(0)
	ds_write2_b64 v125, v[77:78], v[79:80] offset0:30 offset1:31
	buffer_load_dword v73, off, s[20:23], 0 ; 4-byte Folded Reload
	buffer_load_dword v74, off, s[20:23], 0 offset:4 ; 4-byte Folded Reload
	buffer_load_dword v75, off, s[20:23], 0 offset:8 ; 4-byte Folded Reload
	buffer_load_dword v76, off, s[20:23], 0 offset:12 ; 4-byte Folded Reload
	s_waitcnt vmcnt(0)
	ds_write2_b64 v125, v[73:74], v[75:76] offset0:32 offset1:33
	ds_write2_b64 v125, v[69:70], v[71:72] offset0:34 offset1:35
	;; [unrolled: 1-line block ×20, first 2 shown]
	ds_read2_b64 v[97:100], v127 offset1:1
	s_waitcnt lgkmcnt(0)
	v_cmp_neq_f64_e32 vcc, 0, v[97:98]
	v_cmp_neq_f64_e64 s[2:3], 0, v[99:100]
	s_or_b64 s[2:3], vcc, s[2:3]
	s_and_b64 exec, exec, s[2:3]
	s_cbranch_execz .LBB71_98
; %bb.93:
	v_cmp_ngt_f64_e64 s[2:3], |v[97:98]|, |v[99:100]|
                                        ; implicit-def: $vgpr101_vgpr102
	s_and_saveexec_b64 s[6:7], s[2:3]
	s_xor_b64 s[2:3], exec, s[6:7]
                                        ; implicit-def: $vgpr103_vgpr104
	s_cbranch_execz .LBB71_95
; %bb.94:
	v_div_scale_f64 v[101:102], s[6:7], v[99:100], v[99:100], v[97:98]
	v_rcp_f64_e32 v[103:104], v[101:102]
	v_fma_f64 v[105:106], -v[101:102], v[103:104], 1.0
	v_fma_f64 v[103:104], v[103:104], v[105:106], v[103:104]
	v_div_scale_f64 v[105:106], vcc, v[97:98], v[99:100], v[97:98]
	v_fma_f64 v[107:108], -v[101:102], v[103:104], 1.0
	v_fma_f64 v[103:104], v[103:104], v[107:108], v[103:104]
	v_mul_f64 v[107:108], v[105:106], v[103:104]
	v_fma_f64 v[101:102], -v[101:102], v[107:108], v[105:106]
	v_div_fmas_f64 v[101:102], v[101:102], v[103:104], v[107:108]
	v_div_fixup_f64 v[101:102], v[101:102], v[99:100], v[97:98]
	v_fma_f64 v[97:98], v[97:98], v[101:102], v[99:100]
	v_div_scale_f64 v[99:100], s[6:7], v[97:98], v[97:98], 1.0
	v_div_scale_f64 v[107:108], vcc, 1.0, v[97:98], 1.0
	v_rcp_f64_e32 v[103:104], v[99:100]
	v_fma_f64 v[105:106], -v[99:100], v[103:104], 1.0
	v_fma_f64 v[103:104], v[103:104], v[105:106], v[103:104]
	v_fma_f64 v[105:106], -v[99:100], v[103:104], 1.0
	v_fma_f64 v[103:104], v[103:104], v[105:106], v[103:104]
	v_mul_f64 v[105:106], v[107:108], v[103:104]
	v_fma_f64 v[99:100], -v[99:100], v[105:106], v[107:108]
	v_div_fmas_f64 v[99:100], v[99:100], v[103:104], v[105:106]
	v_div_fixup_f64 v[103:104], v[99:100], v[97:98], 1.0
                                        ; implicit-def: $vgpr97_vgpr98
	v_mul_f64 v[101:102], v[101:102], v[103:104]
	v_xor_b32_e32 v104, 0x80000000, v104
.LBB71_95:
	s_andn2_saveexec_b64 s[2:3], s[2:3]
	s_cbranch_execz .LBB71_97
; %bb.96:
	v_div_scale_f64 v[101:102], s[6:7], v[97:98], v[97:98], v[99:100]
	v_rcp_f64_e32 v[103:104], v[101:102]
	v_fma_f64 v[105:106], -v[101:102], v[103:104], 1.0
	v_fma_f64 v[103:104], v[103:104], v[105:106], v[103:104]
	v_div_scale_f64 v[105:106], vcc, v[99:100], v[97:98], v[99:100]
	v_fma_f64 v[107:108], -v[101:102], v[103:104], 1.0
	v_fma_f64 v[103:104], v[103:104], v[107:108], v[103:104]
	v_mul_f64 v[107:108], v[105:106], v[103:104]
	v_fma_f64 v[101:102], -v[101:102], v[107:108], v[105:106]
	v_div_fmas_f64 v[101:102], v[101:102], v[103:104], v[107:108]
	v_div_fixup_f64 v[103:104], v[101:102], v[97:98], v[99:100]
	v_fma_f64 v[97:98], v[99:100], v[103:104], v[97:98]
	v_div_scale_f64 v[99:100], s[6:7], v[97:98], v[97:98], 1.0
	v_div_scale_f64 v[107:108], vcc, 1.0, v[97:98], 1.0
	v_rcp_f64_e32 v[101:102], v[99:100]
	v_fma_f64 v[105:106], -v[99:100], v[101:102], 1.0
	v_fma_f64 v[101:102], v[101:102], v[105:106], v[101:102]
	v_fma_f64 v[105:106], -v[99:100], v[101:102], 1.0
	v_fma_f64 v[101:102], v[101:102], v[105:106], v[101:102]
	v_mul_f64 v[105:106], v[107:108], v[101:102]
	v_fma_f64 v[99:100], -v[99:100], v[105:106], v[107:108]
	v_div_fmas_f64 v[99:100], v[99:100], v[101:102], v[105:106]
	v_div_fixup_f64 v[101:102], v[99:100], v[97:98], 1.0
	v_mul_f64 v[103:104], v[103:104], -v[101:102]
.LBB71_97:
	s_or_b64 exec, exec, s[2:3]
	ds_write2_b64 v127, v[101:102], v[103:104] offset1:1
.LBB71_98:
	s_or_b64 exec, exec, s[4:5]
	s_waitcnt lgkmcnt(0)
	s_barrier
	ds_read2_b64 v[73:76], v127 offset1:1
	v_cmp_lt_u32_e32 vcc, 10, v0
	s_waitcnt lgkmcnt(0)
	buffer_store_dword v73, off, s[20:23], 0 offset:656 ; 4-byte Folded Spill
	s_nop 0
	buffer_store_dword v74, off, s[20:23], 0 offset:660 ; 4-byte Folded Spill
	buffer_store_dword v75, off, s[20:23], 0 offset:664 ; 4-byte Folded Spill
	;; [unrolled: 1-line block ×3, first 2 shown]
	s_and_saveexec_b64 s[2:3], vcc
	s_cbranch_execz .LBB71_100
; %bb.99:
	buffer_store_dword v121, off, s[20:23], 0 offset:176 ; 4-byte Folded Spill
	s_nop 0
	buffer_store_dword v122, off, s[20:23], 0 offset:180 ; 4-byte Folded Spill
	buffer_store_dword v123, off, s[20:23], 0 offset:184 ; 4-byte Folded Spill
	buffer_store_dword v124, off, s[20:23], 0 offset:188 ; 4-byte Folded Spill
	buffer_load_dword v121, off, s[20:23], 0 offset:48 ; 4-byte Folded Reload
	s_nop 0
	buffer_load_dword v122, off, s[20:23], 0 offset:52 ; 4-byte Folded Reload
	buffer_load_dword v123, off, s[20:23], 0 offset:56 ; 4-byte Folded Reload
	;; [unrolled: 1-line block ×7, first 2 shown]
	s_waitcnt vmcnt(2)
	v_mul_f64 v[99:100], v[73:74], v[123:124]
	s_waitcnt vmcnt(0)
	v_mul_f64 v[97:98], v[75:76], v[123:124]
	v_fma_f64 v[123:124], v[75:76], v[121:122], v[99:100]
	ds_read2_b64 v[99:102], v125 offset0:22 offset1:23
	v_fma_f64 v[97:98], v[73:74], v[121:122], -v[97:98]
	s_waitcnt lgkmcnt(0)
	v_mul_f64 v[103:104], v[101:102], v[123:124]
	v_mov_b32_e32 v122, v98
	v_mov_b32_e32 v121, v97
	v_fma_f64 v[103:104], v[99:100], v[97:98], -v[103:104]
	v_mul_f64 v[99:100], v[99:100], v[123:124]
	v_add_f64 v[117:118], v[117:118], -v[103:104]
	v_fma_f64 v[99:100], v[101:102], v[97:98], v[99:100]
	v_add_f64 v[119:120], v[119:120], -v[99:100]
	ds_read2_b64 v[99:102], v125 offset0:24 offset1:25
	s_waitcnt lgkmcnt(0)
	v_mul_f64 v[103:104], v[101:102], v[123:124]
	v_fma_f64 v[103:104], v[99:100], v[97:98], -v[103:104]
	v_mul_f64 v[99:100], v[99:100], v[123:124]
	v_add_f64 v[109:110], v[109:110], -v[103:104]
	v_fma_f64 v[99:100], v[101:102], v[97:98], v[99:100]
	v_add_f64 v[111:112], v[111:112], -v[99:100]
	ds_read2_b64 v[99:102], v125 offset0:26 offset1:27
	buffer_load_dword v105, off, s[20:23], 0 offset:32 ; 4-byte Folded Reload
	buffer_load_dword v106, off, s[20:23], 0 offset:36 ; 4-byte Folded Reload
	;; [unrolled: 1-line block ×4, first 2 shown]
	s_waitcnt lgkmcnt(0)
	v_mul_f64 v[103:104], v[101:102], v[123:124]
	v_fma_f64 v[103:104], v[99:100], v[97:98], -v[103:104]
	v_mul_f64 v[99:100], v[99:100], v[123:124]
	v_fma_f64 v[99:100], v[101:102], v[97:98], v[99:100]
	s_waitcnt vmcnt(2)
	v_add_f64 v[105:106], v[105:106], -v[103:104]
	s_waitcnt vmcnt(0)
	v_add_f64 v[107:108], v[107:108], -v[99:100]
	buffer_store_dword v105, off, s[20:23], 0 offset:32 ; 4-byte Folded Spill
	s_nop 0
	buffer_store_dword v106, off, s[20:23], 0 offset:36 ; 4-byte Folded Spill
	buffer_store_dword v107, off, s[20:23], 0 offset:40 ; 4-byte Folded Spill
	;; [unrolled: 1-line block ×3, first 2 shown]
	ds_read2_b64 v[99:102], v125 offset0:28 offset1:29
	s_waitcnt lgkmcnt(0)
	v_mul_f64 v[103:104], v[101:102], v[123:124]
	v_fma_f64 v[103:104], v[99:100], v[97:98], -v[103:104]
	v_mul_f64 v[99:100], v[99:100], v[123:124]
	v_add_f64 v[93:94], v[93:94], -v[103:104]
	v_fma_f64 v[99:100], v[101:102], v[97:98], v[99:100]
	v_add_f64 v[95:96], v[95:96], -v[99:100]
	ds_read2_b64 v[99:102], v125 offset0:30 offset1:31
	buffer_load_dword v77, off, s[20:23], 0 offset:16 ; 4-byte Folded Reload
	buffer_load_dword v78, off, s[20:23], 0 offset:20 ; 4-byte Folded Reload
	;; [unrolled: 1-line block ×4, first 2 shown]
	s_waitcnt lgkmcnt(0)
	v_mul_f64 v[103:104], v[101:102], v[123:124]
	v_fma_f64 v[103:104], v[99:100], v[97:98], -v[103:104]
	v_mul_f64 v[99:100], v[99:100], v[123:124]
	v_fma_f64 v[99:100], v[101:102], v[97:98], v[99:100]
	s_waitcnt vmcnt(2)
	v_add_f64 v[77:78], v[77:78], -v[103:104]
	s_waitcnt vmcnt(0)
	v_add_f64 v[79:80], v[79:80], -v[99:100]
	buffer_store_dword v77, off, s[20:23], 0 offset:16 ; 4-byte Folded Spill
	s_nop 0
	buffer_store_dword v78, off, s[20:23], 0 offset:20 ; 4-byte Folded Spill
	buffer_store_dword v79, off, s[20:23], 0 offset:24 ; 4-byte Folded Spill
	;; [unrolled: 1-line block ×3, first 2 shown]
	ds_read2_b64 v[99:102], v125 offset0:32 offset1:33
	buffer_load_dword v73, off, s[20:23], 0 ; 4-byte Folded Reload
	buffer_load_dword v74, off, s[20:23], 0 offset:4 ; 4-byte Folded Reload
	buffer_load_dword v75, off, s[20:23], 0 offset:8 ; 4-byte Folded Reload
	;; [unrolled: 1-line block ×3, first 2 shown]
	s_waitcnt lgkmcnt(0)
	v_mul_f64 v[103:104], v[101:102], v[123:124]
	v_fma_f64 v[103:104], v[99:100], v[97:98], -v[103:104]
	v_mul_f64 v[99:100], v[99:100], v[123:124]
	v_fma_f64 v[99:100], v[101:102], v[97:98], v[99:100]
	s_waitcnt vmcnt(2)
	v_add_f64 v[73:74], v[73:74], -v[103:104]
	s_waitcnt vmcnt(0)
	v_add_f64 v[75:76], v[75:76], -v[99:100]
	buffer_store_dword v73, off, s[20:23], 0 ; 4-byte Folded Spill
	s_nop 0
	buffer_store_dword v74, off, s[20:23], 0 offset:4 ; 4-byte Folded Spill
	buffer_store_dword v75, off, s[20:23], 0 offset:8 ; 4-byte Folded Spill
	;; [unrolled: 1-line block ×3, first 2 shown]
	ds_read2_b64 v[99:102], v125 offset0:34 offset1:35
	s_waitcnt lgkmcnt(0)
	v_mul_f64 v[103:104], v[101:102], v[123:124]
	v_fma_f64 v[103:104], v[99:100], v[97:98], -v[103:104]
	v_mul_f64 v[99:100], v[99:100], v[123:124]
	v_add_f64 v[69:70], v[69:70], -v[103:104]
	v_fma_f64 v[99:100], v[101:102], v[97:98], v[99:100]
	v_add_f64 v[71:72], v[71:72], -v[99:100]
	ds_read2_b64 v[99:102], v125 offset0:36 offset1:37
	s_waitcnt lgkmcnt(0)
	v_mul_f64 v[103:104], v[101:102], v[123:124]
	v_fma_f64 v[103:104], v[99:100], v[97:98], -v[103:104]
	v_mul_f64 v[99:100], v[99:100], v[123:124]
	v_add_f64 v[65:66], v[65:66], -v[103:104]
	v_fma_f64 v[99:100], v[101:102], v[97:98], v[99:100]
	v_add_f64 v[67:68], v[67:68], -v[99:100]
	;; [unrolled: 8-line block ×18, first 2 shown]
	ds_read2_b64 v[99:102], v125 offset0:70 offset1:71
	s_waitcnt lgkmcnt(0)
	v_mul_f64 v[103:104], v[101:102], v[123:124]
	v_fma_f64 v[103:104], v[99:100], v[97:98], -v[103:104]
	v_mul_f64 v[99:100], v[99:100], v[123:124]
	buffer_store_dword v121, off, s[20:23], 0 offset:48 ; 4-byte Folded Spill
	s_nop 0
	buffer_store_dword v122, off, s[20:23], 0 offset:52 ; 4-byte Folded Spill
	buffer_store_dword v123, off, s[20:23], 0 offset:56 ; 4-byte Folded Spill
	buffer_store_dword v124, off, s[20:23], 0 offset:60 ; 4-byte Folded Spill
	buffer_load_dword v121, off, s[20:23], 0 offset:176 ; 4-byte Folded Reload
	s_nop 0
	buffer_load_dword v122, off, s[20:23], 0 offset:180 ; 4-byte Folded Reload
	buffer_load_dword v123, off, s[20:23], 0 offset:184 ; 4-byte Folded Reload
	buffer_load_dword v124, off, s[20:23], 0 offset:188 ; 4-byte Folded Reload
	v_add_f64 v[113:114], v[113:114], -v[103:104]
	v_fma_f64 v[99:100], v[101:102], v[97:98], v[99:100]
	v_add_f64 v[115:116], v[115:116], -v[99:100]
.LBB71_100:
	s_or_b64 exec, exec, s[2:3]
	v_cmp_eq_u32_e32 vcc, 11, v0
	s_waitcnt vmcnt(0)
	s_barrier
	s_and_saveexec_b64 s[4:5], vcc
	s_cbranch_execz .LBB71_107
; %bb.101:
	ds_write2_b64 v127, v[117:118], v[119:120] offset1:1
	ds_write2_b64 v125, v[109:110], v[111:112] offset0:24 offset1:25
	buffer_load_dword v97, off, s[20:23], 0 offset:32 ; 4-byte Folded Reload
	buffer_load_dword v98, off, s[20:23], 0 offset:36 ; 4-byte Folded Reload
	;; [unrolled: 1-line block ×4, first 2 shown]
	s_waitcnt vmcnt(0)
	ds_write2_b64 v125, v[97:98], v[99:100] offset0:26 offset1:27
	ds_write2_b64 v125, v[93:94], v[95:96] offset0:28 offset1:29
	buffer_load_dword v77, off, s[20:23], 0 offset:16 ; 4-byte Folded Reload
	buffer_load_dword v78, off, s[20:23], 0 offset:20 ; 4-byte Folded Reload
	;; [unrolled: 1-line block ×4, first 2 shown]
	s_waitcnt vmcnt(0)
	ds_write2_b64 v125, v[77:78], v[79:80] offset0:30 offset1:31
	buffer_load_dword v73, off, s[20:23], 0 ; 4-byte Folded Reload
	buffer_load_dword v74, off, s[20:23], 0 offset:4 ; 4-byte Folded Reload
	buffer_load_dword v75, off, s[20:23], 0 offset:8 ; 4-byte Folded Reload
	;; [unrolled: 1-line block ×3, first 2 shown]
	s_waitcnt vmcnt(0)
	ds_write2_b64 v125, v[73:74], v[75:76] offset0:32 offset1:33
	ds_write2_b64 v125, v[69:70], v[71:72] offset0:34 offset1:35
	;; [unrolled: 1-line block ×20, first 2 shown]
	ds_read2_b64 v[97:100], v127 offset1:1
	s_waitcnt lgkmcnt(0)
	v_cmp_neq_f64_e32 vcc, 0, v[97:98]
	v_cmp_neq_f64_e64 s[2:3], 0, v[99:100]
	s_or_b64 s[2:3], vcc, s[2:3]
	s_and_b64 exec, exec, s[2:3]
	s_cbranch_execz .LBB71_107
; %bb.102:
	v_cmp_ngt_f64_e64 s[2:3], |v[97:98]|, |v[99:100]|
                                        ; implicit-def: $vgpr101_vgpr102
	s_and_saveexec_b64 s[6:7], s[2:3]
	s_xor_b64 s[2:3], exec, s[6:7]
                                        ; implicit-def: $vgpr103_vgpr104
	s_cbranch_execz .LBB71_104
; %bb.103:
	v_div_scale_f64 v[101:102], s[6:7], v[99:100], v[99:100], v[97:98]
	v_rcp_f64_e32 v[103:104], v[101:102]
	v_fma_f64 v[105:106], -v[101:102], v[103:104], 1.0
	v_fma_f64 v[103:104], v[103:104], v[105:106], v[103:104]
	v_div_scale_f64 v[105:106], vcc, v[97:98], v[99:100], v[97:98]
	v_fma_f64 v[107:108], -v[101:102], v[103:104], 1.0
	v_fma_f64 v[103:104], v[103:104], v[107:108], v[103:104]
	v_mul_f64 v[107:108], v[105:106], v[103:104]
	v_fma_f64 v[101:102], -v[101:102], v[107:108], v[105:106]
	v_div_fmas_f64 v[101:102], v[101:102], v[103:104], v[107:108]
	v_div_fixup_f64 v[101:102], v[101:102], v[99:100], v[97:98]
	v_fma_f64 v[97:98], v[97:98], v[101:102], v[99:100]
	v_div_scale_f64 v[99:100], s[6:7], v[97:98], v[97:98], 1.0
	v_div_scale_f64 v[107:108], vcc, 1.0, v[97:98], 1.0
	v_rcp_f64_e32 v[103:104], v[99:100]
	v_fma_f64 v[105:106], -v[99:100], v[103:104], 1.0
	v_fma_f64 v[103:104], v[103:104], v[105:106], v[103:104]
	v_fma_f64 v[105:106], -v[99:100], v[103:104], 1.0
	v_fma_f64 v[103:104], v[103:104], v[105:106], v[103:104]
	v_mul_f64 v[105:106], v[107:108], v[103:104]
	v_fma_f64 v[99:100], -v[99:100], v[105:106], v[107:108]
	v_div_fmas_f64 v[99:100], v[99:100], v[103:104], v[105:106]
	v_div_fixup_f64 v[103:104], v[99:100], v[97:98], 1.0
                                        ; implicit-def: $vgpr97_vgpr98
	v_mul_f64 v[101:102], v[101:102], v[103:104]
	v_xor_b32_e32 v104, 0x80000000, v104
.LBB71_104:
	s_andn2_saveexec_b64 s[2:3], s[2:3]
	s_cbranch_execz .LBB71_106
; %bb.105:
	v_div_scale_f64 v[101:102], s[6:7], v[97:98], v[97:98], v[99:100]
	v_rcp_f64_e32 v[103:104], v[101:102]
	v_fma_f64 v[105:106], -v[101:102], v[103:104], 1.0
	v_fma_f64 v[103:104], v[103:104], v[105:106], v[103:104]
	v_div_scale_f64 v[105:106], vcc, v[99:100], v[97:98], v[99:100]
	v_fma_f64 v[107:108], -v[101:102], v[103:104], 1.0
	v_fma_f64 v[103:104], v[103:104], v[107:108], v[103:104]
	v_mul_f64 v[107:108], v[105:106], v[103:104]
	v_fma_f64 v[101:102], -v[101:102], v[107:108], v[105:106]
	v_div_fmas_f64 v[101:102], v[101:102], v[103:104], v[107:108]
	v_div_fixup_f64 v[103:104], v[101:102], v[97:98], v[99:100]
	v_fma_f64 v[97:98], v[99:100], v[103:104], v[97:98]
	v_div_scale_f64 v[99:100], s[6:7], v[97:98], v[97:98], 1.0
	v_div_scale_f64 v[107:108], vcc, 1.0, v[97:98], 1.0
	v_rcp_f64_e32 v[101:102], v[99:100]
	v_fma_f64 v[105:106], -v[99:100], v[101:102], 1.0
	v_fma_f64 v[101:102], v[101:102], v[105:106], v[101:102]
	v_fma_f64 v[105:106], -v[99:100], v[101:102], 1.0
	v_fma_f64 v[101:102], v[101:102], v[105:106], v[101:102]
	v_mul_f64 v[105:106], v[107:108], v[101:102]
	v_fma_f64 v[99:100], -v[99:100], v[105:106], v[107:108]
	v_div_fmas_f64 v[99:100], v[99:100], v[101:102], v[105:106]
	v_div_fixup_f64 v[101:102], v[99:100], v[97:98], 1.0
	v_mul_f64 v[103:104], v[103:104], -v[101:102]
.LBB71_106:
	s_or_b64 exec, exec, s[2:3]
	ds_write2_b64 v127, v[101:102], v[103:104] offset1:1
.LBB71_107:
	s_or_b64 exec, exec, s[4:5]
	s_waitcnt lgkmcnt(0)
	s_barrier
	ds_read2_b64 v[73:76], v127 offset1:1
	v_cmp_lt_u32_e32 vcc, 11, v0
	s_waitcnt lgkmcnt(0)
	buffer_store_dword v73, off, s[20:23], 0 offset:672 ; 4-byte Folded Spill
	s_nop 0
	buffer_store_dword v74, off, s[20:23], 0 offset:676 ; 4-byte Folded Spill
	buffer_store_dword v75, off, s[20:23], 0 offset:680 ; 4-byte Folded Spill
	;; [unrolled: 1-line block ×3, first 2 shown]
	s_mov_b64 s[2:3], exec
	s_and_b64 s[4:5], s[2:3], vcc
	buffer_store_dword v89, off, s[20:23], 0 offset:176 ; 4-byte Folded Spill
	s_nop 0
	buffer_store_dword v90, off, s[20:23], 0 offset:180 ; 4-byte Folded Spill
	buffer_store_dword v91, off, s[20:23], 0 offset:184 ; 4-byte Folded Spill
	;; [unrolled: 1-line block ×3, first 2 shown]
	s_mov_b64 exec, s[4:5]
	s_cbranch_execz .LBB71_109
; %bb.108:
	buffer_load_dword v73, off, s[20:23], 0 offset:672 ; 4-byte Folded Reload
	buffer_load_dword v74, off, s[20:23], 0 offset:676 ; 4-byte Folded Reload
	;; [unrolled: 1-line block ×4, first 2 shown]
	v_mov_b32_e32 v106, v96
	v_mov_b32_e32 v105, v95
	;; [unrolled: 1-line block ×4, first 2 shown]
	ds_read2_b64 v[99:102], v125 offset0:24 offset1:25
	s_waitcnt vmcnt(2)
	v_mul_f64 v[95:96], v[73:74], v[119:120]
	s_waitcnt vmcnt(0)
	v_mul_f64 v[97:98], v[75:76], v[119:120]
	v_fma_f64 v[119:120], v[75:76], v[117:118], v[95:96]
	v_fma_f64 v[97:98], v[73:74], v[117:118], -v[97:98]
	v_mov_b32_e32 v73, v113
	v_mov_b32_e32 v74, v114
	;; [unrolled: 1-line block ×4, first 2 shown]
	s_waitcnt lgkmcnt(0)
	v_mul_f64 v[93:94], v[101:102], v[119:120]
	v_mov_b32_e32 v118, v98
	v_mov_b32_e32 v117, v97
	v_fma_f64 v[93:94], v[99:100], v[97:98], -v[93:94]
	v_mul_f64 v[99:100], v[99:100], v[119:120]
	v_add_f64 v[109:110], v[109:110], -v[93:94]
	v_fma_f64 v[99:100], v[101:102], v[97:98], v[99:100]
	v_add_f64 v[111:112], v[111:112], -v[99:100]
	ds_read2_b64 v[99:102], v125 offset0:26 offset1:27
	buffer_load_dword v113, off, s[20:23], 0 offset:32 ; 4-byte Folded Reload
	buffer_load_dword v114, off, s[20:23], 0 offset:36 ; 4-byte Folded Reload
	;; [unrolled: 1-line block ×4, first 2 shown]
	s_waitcnt lgkmcnt(0)
	v_mul_f64 v[93:94], v[101:102], v[119:120]
	v_fma_f64 v[93:94], v[99:100], v[97:98], -v[93:94]
	v_mul_f64 v[99:100], v[99:100], v[119:120]
	v_fma_f64 v[99:100], v[101:102], v[97:98], v[99:100]
	s_waitcnt vmcnt(2)
	v_add_f64 v[113:114], v[113:114], -v[93:94]
	s_waitcnt vmcnt(0)
	v_add_f64 v[115:116], v[115:116], -v[99:100]
	buffer_store_dword v113, off, s[20:23], 0 offset:32 ; 4-byte Folded Spill
	s_nop 0
	buffer_store_dword v114, off, s[20:23], 0 offset:36 ; 4-byte Folded Spill
	buffer_store_dword v115, off, s[20:23], 0 offset:40 ; 4-byte Folded Spill
	;; [unrolled: 1-line block ×3, first 2 shown]
	buffer_load_dword v89, off, s[20:23], 0 offset:176 ; 4-byte Folded Reload
	buffer_load_dword v90, off, s[20:23], 0 offset:180 ; 4-byte Folded Reload
	;; [unrolled: 1-line block ×4, first 2 shown]
	ds_read2_b64 v[99:102], v125 offset0:28 offset1:29
	v_mov_b32_e32 v116, v76
	v_mov_b32_e32 v115, v75
	;; [unrolled: 1-line block ×4, first 2 shown]
	s_waitcnt lgkmcnt(0)
	v_mul_f64 v[93:94], v[101:102], v[119:120]
	v_fma_f64 v[93:94], v[99:100], v[97:98], -v[93:94]
	v_mul_f64 v[99:100], v[99:100], v[119:120]
	v_add_f64 v[103:104], v[103:104], -v[93:94]
	v_fma_f64 v[99:100], v[101:102], v[97:98], v[99:100]
	v_add_f64 v[105:106], v[105:106], -v[99:100]
	ds_read2_b64 v[99:102], v125 offset0:30 offset1:31
	buffer_load_dword v77, off, s[20:23], 0 offset:16 ; 4-byte Folded Reload
	buffer_load_dword v78, off, s[20:23], 0 offset:20 ; 4-byte Folded Reload
	;; [unrolled: 1-line block ×4, first 2 shown]
	s_waitcnt lgkmcnt(0)
	v_mul_f64 v[93:94], v[101:102], v[119:120]
	v_fma_f64 v[93:94], v[99:100], v[97:98], -v[93:94]
	v_mul_f64 v[99:100], v[99:100], v[119:120]
	v_fma_f64 v[99:100], v[101:102], v[97:98], v[99:100]
	s_waitcnt vmcnt(2)
	v_add_f64 v[77:78], v[77:78], -v[93:94]
	s_waitcnt vmcnt(0)
	v_add_f64 v[79:80], v[79:80], -v[99:100]
	buffer_store_dword v77, off, s[20:23], 0 offset:16 ; 4-byte Folded Spill
	s_nop 0
	buffer_store_dword v78, off, s[20:23], 0 offset:20 ; 4-byte Folded Spill
	buffer_store_dword v79, off, s[20:23], 0 offset:24 ; 4-byte Folded Spill
	buffer_store_dword v80, off, s[20:23], 0 offset:28 ; 4-byte Folded Spill
	ds_read2_b64 v[99:102], v125 offset0:32 offset1:33
	buffer_load_dword v73, off, s[20:23], 0 ; 4-byte Folded Reload
	buffer_load_dword v74, off, s[20:23], 0 offset:4 ; 4-byte Folded Reload
	buffer_load_dword v75, off, s[20:23], 0 offset:8 ; 4-byte Folded Reload
	;; [unrolled: 1-line block ×3, first 2 shown]
	s_waitcnt lgkmcnt(0)
	v_mul_f64 v[93:94], v[101:102], v[119:120]
	v_fma_f64 v[93:94], v[99:100], v[97:98], -v[93:94]
	v_mul_f64 v[99:100], v[99:100], v[119:120]
	v_fma_f64 v[99:100], v[101:102], v[97:98], v[99:100]
	s_waitcnt vmcnt(2)
	v_add_f64 v[73:74], v[73:74], -v[93:94]
	s_waitcnt vmcnt(0)
	v_add_f64 v[75:76], v[75:76], -v[99:100]
	buffer_store_dword v73, off, s[20:23], 0 ; 4-byte Folded Spill
	s_nop 0
	buffer_store_dword v74, off, s[20:23], 0 offset:4 ; 4-byte Folded Spill
	buffer_store_dword v75, off, s[20:23], 0 offset:8 ; 4-byte Folded Spill
	;; [unrolled: 1-line block ×3, first 2 shown]
	ds_read2_b64 v[99:102], v125 offset0:34 offset1:35
	s_waitcnt lgkmcnt(0)
	v_mul_f64 v[93:94], v[101:102], v[119:120]
	v_fma_f64 v[93:94], v[99:100], v[97:98], -v[93:94]
	v_mul_f64 v[99:100], v[99:100], v[119:120]
	v_add_f64 v[69:70], v[69:70], -v[93:94]
	v_fma_f64 v[99:100], v[101:102], v[97:98], v[99:100]
	v_add_f64 v[71:72], v[71:72], -v[99:100]
	ds_read2_b64 v[99:102], v125 offset0:36 offset1:37
	s_waitcnt lgkmcnt(0)
	v_mul_f64 v[93:94], v[101:102], v[119:120]
	v_fma_f64 v[93:94], v[99:100], v[97:98], -v[93:94]
	v_mul_f64 v[99:100], v[99:100], v[119:120]
	v_add_f64 v[65:66], v[65:66], -v[93:94]
	v_fma_f64 v[99:100], v[101:102], v[97:98], v[99:100]
	v_add_f64 v[67:68], v[67:68], -v[99:100]
	ds_read2_b64 v[99:102], v125 offset0:38 offset1:39
	s_waitcnt lgkmcnt(0)
	v_mul_f64 v[93:94], v[101:102], v[119:120]
	v_fma_f64 v[93:94], v[99:100], v[97:98], -v[93:94]
	v_mul_f64 v[99:100], v[99:100], v[119:120]
	v_add_f64 v[61:62], v[61:62], -v[93:94]
	v_fma_f64 v[99:100], v[101:102], v[97:98], v[99:100]
	v_add_f64 v[63:64], v[63:64], -v[99:100]
	ds_read2_b64 v[99:102], v125 offset0:40 offset1:41
	s_waitcnt lgkmcnt(0)
	v_mul_f64 v[93:94], v[101:102], v[119:120]
	v_fma_f64 v[93:94], v[99:100], v[97:98], -v[93:94]
	v_mul_f64 v[99:100], v[99:100], v[119:120]
	v_add_f64 v[57:58], v[57:58], -v[93:94]
	v_fma_f64 v[99:100], v[101:102], v[97:98], v[99:100]
	v_add_f64 v[59:60], v[59:60], -v[99:100]
	ds_read2_b64 v[99:102], v125 offset0:42 offset1:43
	s_waitcnt lgkmcnt(0)
	v_mul_f64 v[93:94], v[101:102], v[119:120]
	v_fma_f64 v[93:94], v[99:100], v[97:98], -v[93:94]
	v_mul_f64 v[99:100], v[99:100], v[119:120]
	v_add_f64 v[53:54], v[53:54], -v[93:94]
	v_fma_f64 v[99:100], v[101:102], v[97:98], v[99:100]
	v_add_f64 v[55:56], v[55:56], -v[99:100]
	ds_read2_b64 v[99:102], v125 offset0:44 offset1:45
	s_waitcnt lgkmcnt(0)
	v_mul_f64 v[93:94], v[101:102], v[119:120]
	v_fma_f64 v[93:94], v[99:100], v[97:98], -v[93:94]
	v_mul_f64 v[99:100], v[99:100], v[119:120]
	v_add_f64 v[49:50], v[49:50], -v[93:94]
	v_fma_f64 v[99:100], v[101:102], v[97:98], v[99:100]
	v_add_f64 v[51:52], v[51:52], -v[99:100]
	ds_read2_b64 v[99:102], v125 offset0:46 offset1:47
	s_waitcnt lgkmcnt(0)
	v_mul_f64 v[93:94], v[101:102], v[119:120]
	v_fma_f64 v[93:94], v[99:100], v[97:98], -v[93:94]
	v_mul_f64 v[99:100], v[99:100], v[119:120]
	v_add_f64 v[45:46], v[45:46], -v[93:94]
	v_fma_f64 v[99:100], v[101:102], v[97:98], v[99:100]
	v_add_f64 v[47:48], v[47:48], -v[99:100]
	ds_read2_b64 v[99:102], v125 offset0:48 offset1:49
	s_waitcnt lgkmcnt(0)
	v_mul_f64 v[93:94], v[101:102], v[119:120]
	v_fma_f64 v[93:94], v[99:100], v[97:98], -v[93:94]
	v_mul_f64 v[99:100], v[99:100], v[119:120]
	v_add_f64 v[41:42], v[41:42], -v[93:94]
	v_fma_f64 v[99:100], v[101:102], v[97:98], v[99:100]
	v_add_f64 v[43:44], v[43:44], -v[99:100]
	ds_read2_b64 v[99:102], v125 offset0:50 offset1:51
	s_waitcnt lgkmcnt(0)
	v_mul_f64 v[93:94], v[101:102], v[119:120]
	v_fma_f64 v[93:94], v[99:100], v[97:98], -v[93:94]
	v_mul_f64 v[99:100], v[99:100], v[119:120]
	v_add_f64 v[37:38], v[37:38], -v[93:94]
	v_fma_f64 v[99:100], v[101:102], v[97:98], v[99:100]
	v_add_f64 v[39:40], v[39:40], -v[99:100]
	ds_read2_b64 v[99:102], v125 offset0:52 offset1:53
	s_waitcnt lgkmcnt(0)
	v_mul_f64 v[93:94], v[101:102], v[119:120]
	v_fma_f64 v[93:94], v[99:100], v[97:98], -v[93:94]
	v_mul_f64 v[99:100], v[99:100], v[119:120]
	v_add_f64 v[33:34], v[33:34], -v[93:94]
	v_fma_f64 v[99:100], v[101:102], v[97:98], v[99:100]
	v_add_f64 v[35:36], v[35:36], -v[99:100]
	ds_read2_b64 v[99:102], v125 offset0:54 offset1:55
	s_waitcnt lgkmcnt(0)
	v_mul_f64 v[93:94], v[101:102], v[119:120]
	v_fma_f64 v[93:94], v[99:100], v[97:98], -v[93:94]
	v_mul_f64 v[99:100], v[99:100], v[119:120]
	v_add_f64 v[29:30], v[29:30], -v[93:94]
	v_fma_f64 v[99:100], v[101:102], v[97:98], v[99:100]
	v_add_f64 v[31:32], v[31:32], -v[99:100]
	ds_read2_b64 v[99:102], v125 offset0:56 offset1:57
	s_waitcnt lgkmcnt(0)
	v_mul_f64 v[93:94], v[101:102], v[119:120]
	v_fma_f64 v[93:94], v[99:100], v[97:98], -v[93:94]
	v_mul_f64 v[99:100], v[99:100], v[119:120]
	v_add_f64 v[25:26], v[25:26], -v[93:94]
	v_fma_f64 v[99:100], v[101:102], v[97:98], v[99:100]
	v_add_f64 v[27:28], v[27:28], -v[99:100]
	ds_read2_b64 v[99:102], v125 offset0:58 offset1:59
	s_waitcnt lgkmcnt(0)
	v_mul_f64 v[93:94], v[101:102], v[119:120]
	v_fma_f64 v[93:94], v[99:100], v[97:98], -v[93:94]
	v_mul_f64 v[99:100], v[99:100], v[119:120]
	v_add_f64 v[21:22], v[21:22], -v[93:94]
	v_fma_f64 v[99:100], v[101:102], v[97:98], v[99:100]
	v_add_f64 v[23:24], v[23:24], -v[99:100]
	ds_read2_b64 v[99:102], v125 offset0:60 offset1:61
	s_waitcnt lgkmcnt(0)
	v_mul_f64 v[93:94], v[101:102], v[119:120]
	v_fma_f64 v[93:94], v[99:100], v[97:98], -v[93:94]
	v_mul_f64 v[99:100], v[99:100], v[119:120]
	v_add_f64 v[17:18], v[17:18], -v[93:94]
	v_fma_f64 v[99:100], v[101:102], v[97:98], v[99:100]
	v_add_f64 v[19:20], v[19:20], -v[99:100]
	ds_read2_b64 v[99:102], v125 offset0:62 offset1:63
	s_waitcnt lgkmcnt(0)
	v_mul_f64 v[93:94], v[101:102], v[119:120]
	v_fma_f64 v[93:94], v[99:100], v[97:98], -v[93:94]
	v_mul_f64 v[99:100], v[99:100], v[119:120]
	v_add_f64 v[13:14], v[13:14], -v[93:94]
	v_fma_f64 v[99:100], v[101:102], v[97:98], v[99:100]
	v_add_f64 v[15:16], v[15:16], -v[99:100]
	ds_read2_b64 v[99:102], v125 offset0:64 offset1:65
	s_waitcnt lgkmcnt(0)
	v_mul_f64 v[93:94], v[101:102], v[119:120]
	v_fma_f64 v[93:94], v[99:100], v[97:98], -v[93:94]
	v_mul_f64 v[99:100], v[99:100], v[119:120]
	v_add_f64 v[9:10], v[9:10], -v[93:94]
	v_fma_f64 v[99:100], v[101:102], v[97:98], v[99:100]
	v_add_f64 v[11:12], v[11:12], -v[99:100]
	ds_read2_b64 v[99:102], v125 offset0:66 offset1:67
	s_waitcnt lgkmcnt(0)
	v_mul_f64 v[93:94], v[101:102], v[119:120]
	v_fma_f64 v[93:94], v[99:100], v[97:98], -v[93:94]
	v_mul_f64 v[99:100], v[99:100], v[119:120]
	v_add_f64 v[5:6], v[5:6], -v[93:94]
	v_fma_f64 v[99:100], v[101:102], v[97:98], v[99:100]
	v_add_f64 v[7:8], v[7:8], -v[99:100]
	ds_read2_b64 v[99:102], v125 offset0:68 offset1:69
	s_waitcnt lgkmcnt(0)
	v_mul_f64 v[93:94], v[101:102], v[119:120]
	v_fma_f64 v[93:94], v[99:100], v[97:98], -v[93:94]
	v_mul_f64 v[99:100], v[99:100], v[119:120]
	v_add_f64 v[1:2], v[1:2], -v[93:94]
	v_fma_f64 v[99:100], v[101:102], v[97:98], v[99:100]
	v_add_f64 v[3:4], v[3:4], -v[99:100]
	ds_read2_b64 v[99:102], v125 offset0:70 offset1:71
	s_waitcnt lgkmcnt(0)
	v_mul_f64 v[93:94], v[101:102], v[119:120]
	v_fma_f64 v[93:94], v[99:100], v[97:98], -v[93:94]
	v_mul_f64 v[99:100], v[99:100], v[119:120]
	v_add_f64 v[113:114], v[113:114], -v[93:94]
	v_fma_f64 v[99:100], v[101:102], v[97:98], v[99:100]
	v_mov_b32_e32 v93, v103
	v_mov_b32_e32 v94, v104
	;; [unrolled: 1-line block ×4, first 2 shown]
	v_add_f64 v[115:116], v[115:116], -v[99:100]
.LBB71_109:
	s_or_b64 exec, exec, s[2:3]
	v_cmp_eq_u32_e32 vcc, 12, v0
	s_waitcnt vmcnt(0)
	s_barrier
	s_and_saveexec_b64 s[4:5], vcc
	s_cbranch_execz .LBB71_116
; %bb.110:
	ds_write2_b64 v127, v[109:110], v[111:112] offset1:1
	buffer_load_dword v97, off, s[20:23], 0 offset:32 ; 4-byte Folded Reload
	buffer_load_dword v98, off, s[20:23], 0 offset:36 ; 4-byte Folded Reload
	;; [unrolled: 1-line block ×4, first 2 shown]
	s_waitcnt vmcnt(0)
	ds_write2_b64 v125, v[97:98], v[99:100] offset0:26 offset1:27
	ds_write2_b64 v125, v[93:94], v[95:96] offset0:28 offset1:29
	buffer_load_dword v77, off, s[20:23], 0 offset:16 ; 4-byte Folded Reload
	buffer_load_dword v78, off, s[20:23], 0 offset:20 ; 4-byte Folded Reload
	;; [unrolled: 1-line block ×4, first 2 shown]
	s_waitcnt vmcnt(0)
	ds_write2_b64 v125, v[77:78], v[79:80] offset0:30 offset1:31
	buffer_load_dword v73, off, s[20:23], 0 ; 4-byte Folded Reload
	buffer_load_dword v74, off, s[20:23], 0 offset:4 ; 4-byte Folded Reload
	buffer_load_dword v75, off, s[20:23], 0 offset:8 ; 4-byte Folded Reload
	;; [unrolled: 1-line block ×3, first 2 shown]
	s_waitcnt vmcnt(0)
	ds_write2_b64 v125, v[73:74], v[75:76] offset0:32 offset1:33
	ds_write2_b64 v125, v[69:70], v[71:72] offset0:34 offset1:35
	;; [unrolled: 1-line block ×20, first 2 shown]
	ds_read2_b64 v[97:100], v127 offset1:1
	s_waitcnt lgkmcnt(0)
	v_cmp_neq_f64_e32 vcc, 0, v[97:98]
	v_cmp_neq_f64_e64 s[2:3], 0, v[99:100]
	s_or_b64 s[2:3], vcc, s[2:3]
	s_and_b64 exec, exec, s[2:3]
	s_cbranch_execz .LBB71_116
; %bb.111:
	v_cmp_ngt_f64_e64 s[2:3], |v[97:98]|, |v[99:100]|
                                        ; implicit-def: $vgpr101_vgpr102
	s_and_saveexec_b64 s[6:7], s[2:3]
	s_xor_b64 s[2:3], exec, s[6:7]
                                        ; implicit-def: $vgpr103_vgpr104
	s_cbranch_execz .LBB71_113
; %bb.112:
	v_div_scale_f64 v[101:102], s[6:7], v[99:100], v[99:100], v[97:98]
	v_rcp_f64_e32 v[103:104], v[101:102]
	v_fma_f64 v[105:106], -v[101:102], v[103:104], 1.0
	v_fma_f64 v[103:104], v[103:104], v[105:106], v[103:104]
	v_div_scale_f64 v[105:106], vcc, v[97:98], v[99:100], v[97:98]
	v_fma_f64 v[107:108], -v[101:102], v[103:104], 1.0
	v_fma_f64 v[103:104], v[103:104], v[107:108], v[103:104]
	v_mul_f64 v[107:108], v[105:106], v[103:104]
	v_fma_f64 v[101:102], -v[101:102], v[107:108], v[105:106]
	v_div_fmas_f64 v[101:102], v[101:102], v[103:104], v[107:108]
	v_div_fixup_f64 v[101:102], v[101:102], v[99:100], v[97:98]
	v_fma_f64 v[97:98], v[97:98], v[101:102], v[99:100]
	v_div_scale_f64 v[99:100], s[6:7], v[97:98], v[97:98], 1.0
	v_div_scale_f64 v[107:108], vcc, 1.0, v[97:98], 1.0
	v_rcp_f64_e32 v[103:104], v[99:100]
	v_fma_f64 v[105:106], -v[99:100], v[103:104], 1.0
	v_fma_f64 v[103:104], v[103:104], v[105:106], v[103:104]
	v_fma_f64 v[105:106], -v[99:100], v[103:104], 1.0
	v_fma_f64 v[103:104], v[103:104], v[105:106], v[103:104]
	v_mul_f64 v[105:106], v[107:108], v[103:104]
	v_fma_f64 v[99:100], -v[99:100], v[105:106], v[107:108]
	v_div_fmas_f64 v[99:100], v[99:100], v[103:104], v[105:106]
	v_div_fixup_f64 v[103:104], v[99:100], v[97:98], 1.0
                                        ; implicit-def: $vgpr97_vgpr98
	v_mul_f64 v[101:102], v[101:102], v[103:104]
	v_xor_b32_e32 v104, 0x80000000, v104
.LBB71_113:
	s_andn2_saveexec_b64 s[2:3], s[2:3]
	s_cbranch_execz .LBB71_115
; %bb.114:
	v_div_scale_f64 v[101:102], s[6:7], v[97:98], v[97:98], v[99:100]
	v_rcp_f64_e32 v[103:104], v[101:102]
	v_fma_f64 v[105:106], -v[101:102], v[103:104], 1.0
	v_fma_f64 v[103:104], v[103:104], v[105:106], v[103:104]
	v_div_scale_f64 v[105:106], vcc, v[99:100], v[97:98], v[99:100]
	v_fma_f64 v[107:108], -v[101:102], v[103:104], 1.0
	v_fma_f64 v[103:104], v[103:104], v[107:108], v[103:104]
	v_mul_f64 v[107:108], v[105:106], v[103:104]
	v_fma_f64 v[101:102], -v[101:102], v[107:108], v[105:106]
	v_div_fmas_f64 v[101:102], v[101:102], v[103:104], v[107:108]
	v_div_fixup_f64 v[103:104], v[101:102], v[97:98], v[99:100]
	v_fma_f64 v[97:98], v[99:100], v[103:104], v[97:98]
	v_div_scale_f64 v[99:100], s[6:7], v[97:98], v[97:98], 1.0
	v_div_scale_f64 v[107:108], vcc, 1.0, v[97:98], 1.0
	v_rcp_f64_e32 v[101:102], v[99:100]
	v_fma_f64 v[105:106], -v[99:100], v[101:102], 1.0
	v_fma_f64 v[101:102], v[101:102], v[105:106], v[101:102]
	v_fma_f64 v[105:106], -v[99:100], v[101:102], 1.0
	v_fma_f64 v[101:102], v[101:102], v[105:106], v[101:102]
	v_mul_f64 v[105:106], v[107:108], v[101:102]
	v_fma_f64 v[99:100], -v[99:100], v[105:106], v[107:108]
	v_div_fmas_f64 v[99:100], v[99:100], v[101:102], v[105:106]
	v_div_fixup_f64 v[101:102], v[99:100], v[97:98], 1.0
	v_mul_f64 v[103:104], v[103:104], -v[101:102]
.LBB71_115:
	s_or_b64 exec, exec, s[2:3]
	ds_write2_b64 v127, v[101:102], v[103:104] offset1:1
.LBB71_116:
	s_or_b64 exec, exec, s[4:5]
	s_waitcnt lgkmcnt(0)
	s_barrier
	ds_read2_b64 v[73:76], v127 offset1:1
	v_cmp_lt_u32_e32 vcc, 12, v0
	s_waitcnt lgkmcnt(0)
	buffer_store_dword v73, off, s[20:23], 0 offset:688 ; 4-byte Folded Spill
	s_nop 0
	buffer_store_dword v74, off, s[20:23], 0 offset:692 ; 4-byte Folded Spill
	buffer_store_dword v75, off, s[20:23], 0 offset:696 ; 4-byte Folded Spill
	;; [unrolled: 1-line block ×3, first 2 shown]
	s_and_saveexec_b64 s[2:3], vcc
	s_cbranch_execz .LBB71_118
; %bb.117:
	buffer_load_dword v73, off, s[20:23], 0 offset:688 ; 4-byte Folded Reload
	buffer_load_dword v74, off, s[20:23], 0 offset:692 ; 4-byte Folded Reload
	;; [unrolled: 1-line block ×4, first 2 shown]
	ds_read2_b64 v[99:102], v125 offset0:26 offset1:27
	s_waitcnt vmcnt(2)
	v_mul_f64 v[91:92], v[73:74], v[111:112]
	s_waitcnt vmcnt(0)
	v_mul_f64 v[97:98], v[75:76], v[111:112]
	v_fma_f64 v[111:112], v[75:76], v[109:110], v[91:92]
	v_fma_f64 v[97:98], v[73:74], v[109:110], -v[97:98]
	s_waitcnt lgkmcnt(0)
	v_mul_f64 v[89:90], v[101:102], v[111:112]
	v_mov_b32_e32 v110, v98
	v_mov_b32_e32 v109, v97
	v_fma_f64 v[89:90], v[99:100], v[97:98], -v[89:90]
	v_mul_f64 v[99:100], v[99:100], v[111:112]
	v_fma_f64 v[99:100], v[101:102], v[97:98], v[99:100]
	buffer_load_dword v101, off, s[20:23], 0 offset:32 ; 4-byte Folded Reload
	buffer_load_dword v102, off, s[20:23], 0 offset:36 ; 4-byte Folded Reload
	;; [unrolled: 1-line block ×4, first 2 shown]
	s_waitcnt vmcnt(2)
	v_add_f64 v[101:102], v[101:102], -v[89:90]
	s_waitcnt vmcnt(0)
	v_add_f64 v[103:104], v[103:104], -v[99:100]
	buffer_store_dword v101, off, s[20:23], 0 offset:32 ; 4-byte Folded Spill
	s_nop 0
	buffer_store_dword v102, off, s[20:23], 0 offset:36 ; 4-byte Folded Spill
	buffer_store_dword v103, off, s[20:23], 0 offset:40 ; 4-byte Folded Spill
	;; [unrolled: 1-line block ×3, first 2 shown]
	ds_read2_b64 v[99:102], v125 offset0:28 offset1:29
	s_waitcnt lgkmcnt(0)
	v_mul_f64 v[89:90], v[101:102], v[111:112]
	v_fma_f64 v[89:90], v[99:100], v[97:98], -v[89:90]
	v_mul_f64 v[99:100], v[99:100], v[111:112]
	v_add_f64 v[93:94], v[93:94], -v[89:90]
	v_fma_f64 v[99:100], v[101:102], v[97:98], v[99:100]
	v_add_f64 v[95:96], v[95:96], -v[99:100]
	ds_read2_b64 v[99:102], v125 offset0:30 offset1:31
	buffer_load_dword v77, off, s[20:23], 0 offset:16 ; 4-byte Folded Reload
	buffer_load_dword v78, off, s[20:23], 0 offset:20 ; 4-byte Folded Reload
	;; [unrolled: 1-line block ×4, first 2 shown]
	s_waitcnt lgkmcnt(0)
	v_mul_f64 v[89:90], v[101:102], v[111:112]
	v_fma_f64 v[89:90], v[99:100], v[97:98], -v[89:90]
	v_mul_f64 v[99:100], v[99:100], v[111:112]
	v_fma_f64 v[99:100], v[101:102], v[97:98], v[99:100]
	s_waitcnt vmcnt(2)
	v_add_f64 v[77:78], v[77:78], -v[89:90]
	s_waitcnt vmcnt(0)
	v_add_f64 v[79:80], v[79:80], -v[99:100]
	buffer_store_dword v77, off, s[20:23], 0 offset:16 ; 4-byte Folded Spill
	s_nop 0
	buffer_store_dword v78, off, s[20:23], 0 offset:20 ; 4-byte Folded Spill
	buffer_store_dword v79, off, s[20:23], 0 offset:24 ; 4-byte Folded Spill
	buffer_store_dword v80, off, s[20:23], 0 offset:28 ; 4-byte Folded Spill
	ds_read2_b64 v[99:102], v125 offset0:32 offset1:33
	buffer_load_dword v73, off, s[20:23], 0 ; 4-byte Folded Reload
	buffer_load_dword v74, off, s[20:23], 0 offset:4 ; 4-byte Folded Reload
	buffer_load_dword v75, off, s[20:23], 0 offset:8 ; 4-byte Folded Reload
	;; [unrolled: 1-line block ×3, first 2 shown]
	s_waitcnt lgkmcnt(0)
	v_mul_f64 v[89:90], v[101:102], v[111:112]
	v_fma_f64 v[89:90], v[99:100], v[97:98], -v[89:90]
	v_mul_f64 v[99:100], v[99:100], v[111:112]
	v_fma_f64 v[99:100], v[101:102], v[97:98], v[99:100]
	s_waitcnt vmcnt(2)
	v_add_f64 v[73:74], v[73:74], -v[89:90]
	s_waitcnt vmcnt(0)
	v_add_f64 v[75:76], v[75:76], -v[99:100]
	buffer_store_dword v73, off, s[20:23], 0 ; 4-byte Folded Spill
	s_nop 0
	buffer_store_dword v74, off, s[20:23], 0 offset:4 ; 4-byte Folded Spill
	buffer_store_dword v75, off, s[20:23], 0 offset:8 ; 4-byte Folded Spill
	;; [unrolled: 1-line block ×3, first 2 shown]
	ds_read2_b64 v[99:102], v125 offset0:34 offset1:35
	s_waitcnt lgkmcnt(0)
	v_mul_f64 v[89:90], v[101:102], v[111:112]
	v_fma_f64 v[89:90], v[99:100], v[97:98], -v[89:90]
	v_mul_f64 v[99:100], v[99:100], v[111:112]
	v_add_f64 v[69:70], v[69:70], -v[89:90]
	v_fma_f64 v[99:100], v[101:102], v[97:98], v[99:100]
	v_add_f64 v[71:72], v[71:72], -v[99:100]
	ds_read2_b64 v[99:102], v125 offset0:36 offset1:37
	s_waitcnt lgkmcnt(0)
	v_mul_f64 v[89:90], v[101:102], v[111:112]
	v_fma_f64 v[89:90], v[99:100], v[97:98], -v[89:90]
	v_mul_f64 v[99:100], v[99:100], v[111:112]
	v_add_f64 v[65:66], v[65:66], -v[89:90]
	v_fma_f64 v[99:100], v[101:102], v[97:98], v[99:100]
	v_add_f64 v[67:68], v[67:68], -v[99:100]
	;; [unrolled: 8-line block ×18, first 2 shown]
	ds_read2_b64 v[99:102], v125 offset0:70 offset1:71
	s_waitcnt lgkmcnt(0)
	v_mul_f64 v[89:90], v[101:102], v[111:112]
	v_fma_f64 v[89:90], v[99:100], v[97:98], -v[89:90]
	v_mul_f64 v[99:100], v[99:100], v[111:112]
	v_add_f64 v[113:114], v[113:114], -v[89:90]
	buffer_load_dword v89, off, s[20:23], 0 offset:176 ; 4-byte Folded Reload
	buffer_load_dword v90, off, s[20:23], 0 offset:180 ; 4-byte Folded Reload
	buffer_load_dword v91, off, s[20:23], 0 offset:184 ; 4-byte Folded Reload
	buffer_load_dword v92, off, s[20:23], 0 offset:188 ; 4-byte Folded Reload
	v_fma_f64 v[99:100], v[101:102], v[97:98], v[99:100]
	v_add_f64 v[115:116], v[115:116], -v[99:100]
.LBB71_118:
	s_or_b64 exec, exec, s[2:3]
	v_cmp_eq_u32_e32 vcc, 13, v0
	s_waitcnt vmcnt(0)
	s_barrier
	s_and_saveexec_b64 s[4:5], vcc
	s_cbranch_execz .LBB71_125
; %bb.119:
	buffer_load_dword v97, off, s[20:23], 0 offset:32 ; 4-byte Folded Reload
	buffer_load_dword v98, off, s[20:23], 0 offset:36 ; 4-byte Folded Reload
	buffer_load_dword v99, off, s[20:23], 0 offset:40 ; 4-byte Folded Reload
	buffer_load_dword v100, off, s[20:23], 0 offset:44 ; 4-byte Folded Reload
	s_waitcnt vmcnt(0)
	ds_write2_b64 v127, v[97:98], v[99:100] offset1:1
	ds_write2_b64 v125, v[93:94], v[95:96] offset0:28 offset1:29
	buffer_load_dword v77, off, s[20:23], 0 offset:16 ; 4-byte Folded Reload
	buffer_load_dword v78, off, s[20:23], 0 offset:20 ; 4-byte Folded Reload
	;; [unrolled: 1-line block ×4, first 2 shown]
	s_waitcnt vmcnt(0)
	ds_write2_b64 v125, v[77:78], v[79:80] offset0:30 offset1:31
	buffer_load_dword v73, off, s[20:23], 0 ; 4-byte Folded Reload
	buffer_load_dword v74, off, s[20:23], 0 offset:4 ; 4-byte Folded Reload
	buffer_load_dword v75, off, s[20:23], 0 offset:8 ; 4-byte Folded Reload
	;; [unrolled: 1-line block ×3, first 2 shown]
	s_waitcnt vmcnt(0)
	ds_write2_b64 v125, v[73:74], v[75:76] offset0:32 offset1:33
	ds_write2_b64 v125, v[69:70], v[71:72] offset0:34 offset1:35
	;; [unrolled: 1-line block ×20, first 2 shown]
	ds_read2_b64 v[97:100], v127 offset1:1
	s_waitcnt lgkmcnt(0)
	v_cmp_neq_f64_e32 vcc, 0, v[97:98]
	v_cmp_neq_f64_e64 s[2:3], 0, v[99:100]
	s_or_b64 s[2:3], vcc, s[2:3]
	s_and_b64 exec, exec, s[2:3]
	s_cbranch_execz .LBB71_125
; %bb.120:
	v_cmp_ngt_f64_e64 s[2:3], |v[97:98]|, |v[99:100]|
                                        ; implicit-def: $vgpr101_vgpr102
	s_and_saveexec_b64 s[6:7], s[2:3]
	s_xor_b64 s[2:3], exec, s[6:7]
                                        ; implicit-def: $vgpr103_vgpr104
	s_cbranch_execz .LBB71_122
; %bb.121:
	v_div_scale_f64 v[101:102], s[6:7], v[99:100], v[99:100], v[97:98]
	v_rcp_f64_e32 v[103:104], v[101:102]
	v_fma_f64 v[105:106], -v[101:102], v[103:104], 1.0
	v_fma_f64 v[103:104], v[103:104], v[105:106], v[103:104]
	v_div_scale_f64 v[105:106], vcc, v[97:98], v[99:100], v[97:98]
	v_fma_f64 v[107:108], -v[101:102], v[103:104], 1.0
	v_fma_f64 v[103:104], v[103:104], v[107:108], v[103:104]
	v_mul_f64 v[107:108], v[105:106], v[103:104]
	v_fma_f64 v[101:102], -v[101:102], v[107:108], v[105:106]
	v_div_fmas_f64 v[101:102], v[101:102], v[103:104], v[107:108]
	v_div_fixup_f64 v[101:102], v[101:102], v[99:100], v[97:98]
	v_fma_f64 v[97:98], v[97:98], v[101:102], v[99:100]
	v_div_scale_f64 v[99:100], s[6:7], v[97:98], v[97:98], 1.0
	v_div_scale_f64 v[107:108], vcc, 1.0, v[97:98], 1.0
	v_rcp_f64_e32 v[103:104], v[99:100]
	v_fma_f64 v[105:106], -v[99:100], v[103:104], 1.0
	v_fma_f64 v[103:104], v[103:104], v[105:106], v[103:104]
	v_fma_f64 v[105:106], -v[99:100], v[103:104], 1.0
	v_fma_f64 v[103:104], v[103:104], v[105:106], v[103:104]
	v_mul_f64 v[105:106], v[107:108], v[103:104]
	v_fma_f64 v[99:100], -v[99:100], v[105:106], v[107:108]
	v_div_fmas_f64 v[99:100], v[99:100], v[103:104], v[105:106]
	v_div_fixup_f64 v[103:104], v[99:100], v[97:98], 1.0
                                        ; implicit-def: $vgpr97_vgpr98
	v_mul_f64 v[101:102], v[101:102], v[103:104]
	v_xor_b32_e32 v104, 0x80000000, v104
.LBB71_122:
	s_andn2_saveexec_b64 s[2:3], s[2:3]
	s_cbranch_execz .LBB71_124
; %bb.123:
	v_div_scale_f64 v[101:102], s[6:7], v[97:98], v[97:98], v[99:100]
	v_rcp_f64_e32 v[103:104], v[101:102]
	v_fma_f64 v[105:106], -v[101:102], v[103:104], 1.0
	v_fma_f64 v[103:104], v[103:104], v[105:106], v[103:104]
	v_div_scale_f64 v[105:106], vcc, v[99:100], v[97:98], v[99:100]
	v_fma_f64 v[107:108], -v[101:102], v[103:104], 1.0
	v_fma_f64 v[103:104], v[103:104], v[107:108], v[103:104]
	v_mul_f64 v[107:108], v[105:106], v[103:104]
	v_fma_f64 v[101:102], -v[101:102], v[107:108], v[105:106]
	v_div_fmas_f64 v[101:102], v[101:102], v[103:104], v[107:108]
	v_div_fixup_f64 v[103:104], v[101:102], v[97:98], v[99:100]
	v_fma_f64 v[97:98], v[99:100], v[103:104], v[97:98]
	v_div_scale_f64 v[99:100], s[6:7], v[97:98], v[97:98], 1.0
	v_div_scale_f64 v[107:108], vcc, 1.0, v[97:98], 1.0
	v_rcp_f64_e32 v[101:102], v[99:100]
	v_fma_f64 v[105:106], -v[99:100], v[101:102], 1.0
	v_fma_f64 v[101:102], v[101:102], v[105:106], v[101:102]
	v_fma_f64 v[105:106], -v[99:100], v[101:102], 1.0
	v_fma_f64 v[101:102], v[101:102], v[105:106], v[101:102]
	v_mul_f64 v[105:106], v[107:108], v[101:102]
	v_fma_f64 v[99:100], -v[99:100], v[105:106], v[107:108]
	v_div_fmas_f64 v[99:100], v[99:100], v[101:102], v[105:106]
	v_div_fixup_f64 v[101:102], v[99:100], v[97:98], 1.0
	v_mul_f64 v[103:104], v[103:104], -v[101:102]
.LBB71_124:
	s_or_b64 exec, exec, s[2:3]
	ds_write2_b64 v127, v[101:102], v[103:104] offset1:1
.LBB71_125:
	s_or_b64 exec, exec, s[4:5]
	s_waitcnt lgkmcnt(0)
	s_barrier
	ds_read2_b64 v[73:76], v127 offset1:1
	v_cmp_lt_u32_e32 vcc, 13, v0
	s_waitcnt lgkmcnt(0)
	buffer_store_dword v73, off, s[20:23], 0 offset:704 ; 4-byte Folded Spill
	s_nop 0
	buffer_store_dword v74, off, s[20:23], 0 offset:708 ; 4-byte Folded Spill
	buffer_store_dword v75, off, s[20:23], 0 offset:712 ; 4-byte Folded Spill
	;; [unrolled: 1-line block ×3, first 2 shown]
	s_mov_b64 s[2:3], exec
	s_and_b64 s[4:5], s[2:3], vcc
	buffer_store_dword v85, off, s[20:23], 0 offset:480 ; 4-byte Folded Spill
	s_nop 0
	buffer_store_dword v86, off, s[20:23], 0 offset:484 ; 4-byte Folded Spill
	buffer_store_dword v87, off, s[20:23], 0 offset:488 ; 4-byte Folded Spill
	;; [unrolled: 1-line block ×3, first 2 shown]
	s_mov_b64 exec, s[4:5]
	s_cbranch_execz .LBB71_127
; %bb.126:
	buffer_load_dword v101, off, s[20:23], 0 offset:32 ; 4-byte Folded Reload
	buffer_load_dword v102, off, s[20:23], 0 offset:36 ; 4-byte Folded Reload
	buffer_load_dword v103, off, s[20:23], 0 offset:40 ; 4-byte Folded Reload
	buffer_load_dword v104, off, s[20:23], 0 offset:44 ; 4-byte Folded Reload
	buffer_load_dword v73, off, s[20:23], 0 offset:704 ; 4-byte Folded Reload
	buffer_load_dword v74, off, s[20:23], 0 offset:708 ; 4-byte Folded Reload
	buffer_load_dword v75, off, s[20:23], 0 offset:712 ; 4-byte Folded Reload
	buffer_load_dword v76, off, s[20:23], 0 offset:716 ; 4-byte Folded Reload
	s_waitcnt vmcnt(2)
	v_mul_f64 v[87:88], v[73:74], v[103:104]
	s_waitcnt vmcnt(0)
	v_mul_f64 v[97:98], v[75:76], v[103:104]
	v_fma_f64 v[103:104], v[75:76], v[101:102], v[87:88]
	v_fma_f64 v[97:98], v[73:74], v[101:102], -v[97:98]
	ds_read2_b64 v[99:102], v125 offset0:28 offset1:29
	s_waitcnt lgkmcnt(0)
	v_mul_f64 v[85:86], v[101:102], v[103:104]
	v_fma_f64 v[85:86], v[99:100], v[97:98], -v[85:86]
	v_mul_f64 v[99:100], v[99:100], v[103:104]
	v_add_f64 v[93:94], v[93:94], -v[85:86]
	v_fma_f64 v[99:100], v[101:102], v[97:98], v[99:100]
	v_add_f64 v[95:96], v[95:96], -v[99:100]
	ds_read2_b64 v[99:102], v125 offset0:30 offset1:31
	buffer_load_dword v77, off, s[20:23], 0 offset:16 ; 4-byte Folded Reload
	buffer_load_dword v78, off, s[20:23], 0 offset:20 ; 4-byte Folded Reload
	;; [unrolled: 1-line block ×4, first 2 shown]
	s_waitcnt lgkmcnt(0)
	v_mul_f64 v[85:86], v[101:102], v[103:104]
	v_fma_f64 v[85:86], v[99:100], v[97:98], -v[85:86]
	v_mul_f64 v[99:100], v[99:100], v[103:104]
	v_fma_f64 v[99:100], v[101:102], v[97:98], v[99:100]
	s_waitcnt vmcnt(2)
	v_add_f64 v[77:78], v[77:78], -v[85:86]
	s_waitcnt vmcnt(0)
	v_add_f64 v[79:80], v[79:80], -v[99:100]
	buffer_store_dword v77, off, s[20:23], 0 offset:16 ; 4-byte Folded Spill
	s_nop 0
	buffer_store_dword v78, off, s[20:23], 0 offset:20 ; 4-byte Folded Spill
	buffer_store_dword v79, off, s[20:23], 0 offset:24 ; 4-byte Folded Spill
	;; [unrolled: 1-line block ×3, first 2 shown]
	ds_read2_b64 v[99:102], v125 offset0:32 offset1:33
	buffer_load_dword v73, off, s[20:23], 0 ; 4-byte Folded Reload
	buffer_load_dword v74, off, s[20:23], 0 offset:4 ; 4-byte Folded Reload
	buffer_load_dword v75, off, s[20:23], 0 offset:8 ; 4-byte Folded Reload
	;; [unrolled: 1-line block ×3, first 2 shown]
	s_waitcnt lgkmcnt(0)
	v_mul_f64 v[85:86], v[101:102], v[103:104]
	v_fma_f64 v[85:86], v[99:100], v[97:98], -v[85:86]
	v_mul_f64 v[99:100], v[99:100], v[103:104]
	v_fma_f64 v[99:100], v[101:102], v[97:98], v[99:100]
	s_waitcnt vmcnt(2)
	v_add_f64 v[73:74], v[73:74], -v[85:86]
	s_waitcnt vmcnt(0)
	v_add_f64 v[75:76], v[75:76], -v[99:100]
	buffer_store_dword v73, off, s[20:23], 0 ; 4-byte Folded Spill
	s_nop 0
	buffer_store_dword v74, off, s[20:23], 0 offset:4 ; 4-byte Folded Spill
	buffer_store_dword v75, off, s[20:23], 0 offset:8 ; 4-byte Folded Spill
	;; [unrolled: 1-line block ×3, first 2 shown]
	ds_read2_b64 v[99:102], v125 offset0:34 offset1:35
	s_waitcnt lgkmcnt(0)
	v_mul_f64 v[85:86], v[101:102], v[103:104]
	v_fma_f64 v[85:86], v[99:100], v[97:98], -v[85:86]
	v_mul_f64 v[99:100], v[99:100], v[103:104]
	v_add_f64 v[69:70], v[69:70], -v[85:86]
	v_fma_f64 v[99:100], v[101:102], v[97:98], v[99:100]
	v_add_f64 v[71:72], v[71:72], -v[99:100]
	ds_read2_b64 v[99:102], v125 offset0:36 offset1:37
	s_waitcnt lgkmcnt(0)
	v_mul_f64 v[85:86], v[101:102], v[103:104]
	v_fma_f64 v[85:86], v[99:100], v[97:98], -v[85:86]
	v_mul_f64 v[99:100], v[99:100], v[103:104]
	v_add_f64 v[65:66], v[65:66], -v[85:86]
	v_fma_f64 v[99:100], v[101:102], v[97:98], v[99:100]
	v_add_f64 v[67:68], v[67:68], -v[99:100]
	;; [unrolled: 8-line block ×18, first 2 shown]
	ds_read2_b64 v[99:102], v125 offset0:70 offset1:71
	s_waitcnt lgkmcnt(0)
	v_mul_f64 v[85:86], v[101:102], v[103:104]
	v_fma_f64 v[85:86], v[99:100], v[97:98], -v[85:86]
	v_mul_f64 v[99:100], v[99:100], v[103:104]
	v_add_f64 v[113:114], v[113:114], -v[85:86]
	v_fma_f64 v[99:100], v[101:102], v[97:98], v[99:100]
	v_mov_b32_e32 v102, v98
	v_mov_b32_e32 v101, v97
	buffer_store_dword v101, off, s[20:23], 0 offset:32 ; 4-byte Folded Spill
	s_nop 0
	buffer_store_dword v102, off, s[20:23], 0 offset:36 ; 4-byte Folded Spill
	buffer_store_dword v103, off, s[20:23], 0 offset:40 ; 4-byte Folded Spill
	;; [unrolled: 1-line block ×3, first 2 shown]
	v_add_f64 v[115:116], v[115:116], -v[99:100]
.LBB71_127:
	s_or_b64 exec, exec, s[2:3]
	v_cmp_eq_u32_e32 vcc, 14, v0
	s_waitcnt vmcnt(0)
	s_barrier
	s_and_saveexec_b64 s[4:5], vcc
	s_cbranch_execz .LBB71_134
; %bb.128:
	ds_write2_b64 v127, v[93:94], v[95:96] offset1:1
	buffer_load_dword v77, off, s[20:23], 0 offset:16 ; 4-byte Folded Reload
	buffer_load_dword v78, off, s[20:23], 0 offset:20 ; 4-byte Folded Reload
	;; [unrolled: 1-line block ×4, first 2 shown]
	s_waitcnt vmcnt(0)
	ds_write2_b64 v125, v[77:78], v[79:80] offset0:30 offset1:31
	buffer_load_dword v73, off, s[20:23], 0 ; 4-byte Folded Reload
	buffer_load_dword v74, off, s[20:23], 0 offset:4 ; 4-byte Folded Reload
	buffer_load_dword v75, off, s[20:23], 0 offset:8 ; 4-byte Folded Reload
	;; [unrolled: 1-line block ×3, first 2 shown]
	s_waitcnt vmcnt(0)
	ds_write2_b64 v125, v[73:74], v[75:76] offset0:32 offset1:33
	ds_write2_b64 v125, v[69:70], v[71:72] offset0:34 offset1:35
	;; [unrolled: 1-line block ×20, first 2 shown]
	ds_read2_b64 v[97:100], v127 offset1:1
	s_waitcnt lgkmcnt(0)
	v_cmp_neq_f64_e32 vcc, 0, v[97:98]
	v_cmp_neq_f64_e64 s[2:3], 0, v[99:100]
	s_or_b64 s[2:3], vcc, s[2:3]
	s_and_b64 exec, exec, s[2:3]
	s_cbranch_execz .LBB71_134
; %bb.129:
	v_cmp_ngt_f64_e64 s[2:3], |v[97:98]|, |v[99:100]|
                                        ; implicit-def: $vgpr101_vgpr102
	s_and_saveexec_b64 s[6:7], s[2:3]
	s_xor_b64 s[2:3], exec, s[6:7]
                                        ; implicit-def: $vgpr103_vgpr104
	s_cbranch_execz .LBB71_131
; %bb.130:
	v_div_scale_f64 v[101:102], s[6:7], v[99:100], v[99:100], v[97:98]
	v_rcp_f64_e32 v[103:104], v[101:102]
	v_fma_f64 v[105:106], -v[101:102], v[103:104], 1.0
	v_fma_f64 v[103:104], v[103:104], v[105:106], v[103:104]
	v_div_scale_f64 v[105:106], vcc, v[97:98], v[99:100], v[97:98]
	v_fma_f64 v[107:108], -v[101:102], v[103:104], 1.0
	v_fma_f64 v[103:104], v[103:104], v[107:108], v[103:104]
	v_mul_f64 v[107:108], v[105:106], v[103:104]
	v_fma_f64 v[101:102], -v[101:102], v[107:108], v[105:106]
	v_div_fmas_f64 v[101:102], v[101:102], v[103:104], v[107:108]
	v_div_fixup_f64 v[101:102], v[101:102], v[99:100], v[97:98]
	v_fma_f64 v[97:98], v[97:98], v[101:102], v[99:100]
	v_div_scale_f64 v[99:100], s[6:7], v[97:98], v[97:98], 1.0
	v_div_scale_f64 v[107:108], vcc, 1.0, v[97:98], 1.0
	v_rcp_f64_e32 v[103:104], v[99:100]
	v_fma_f64 v[105:106], -v[99:100], v[103:104], 1.0
	v_fma_f64 v[103:104], v[103:104], v[105:106], v[103:104]
	v_fma_f64 v[105:106], -v[99:100], v[103:104], 1.0
	v_fma_f64 v[103:104], v[103:104], v[105:106], v[103:104]
	v_mul_f64 v[105:106], v[107:108], v[103:104]
	v_fma_f64 v[99:100], -v[99:100], v[105:106], v[107:108]
	v_div_fmas_f64 v[99:100], v[99:100], v[103:104], v[105:106]
	v_div_fixup_f64 v[103:104], v[99:100], v[97:98], 1.0
                                        ; implicit-def: $vgpr97_vgpr98
	v_mul_f64 v[101:102], v[101:102], v[103:104]
	v_xor_b32_e32 v104, 0x80000000, v104
.LBB71_131:
	s_andn2_saveexec_b64 s[2:3], s[2:3]
	s_cbranch_execz .LBB71_133
; %bb.132:
	v_div_scale_f64 v[101:102], s[6:7], v[97:98], v[97:98], v[99:100]
	v_rcp_f64_e32 v[103:104], v[101:102]
	v_fma_f64 v[105:106], -v[101:102], v[103:104], 1.0
	v_fma_f64 v[103:104], v[103:104], v[105:106], v[103:104]
	v_div_scale_f64 v[105:106], vcc, v[99:100], v[97:98], v[99:100]
	v_fma_f64 v[107:108], -v[101:102], v[103:104], 1.0
	v_fma_f64 v[103:104], v[103:104], v[107:108], v[103:104]
	v_mul_f64 v[107:108], v[105:106], v[103:104]
	v_fma_f64 v[101:102], -v[101:102], v[107:108], v[105:106]
	v_div_fmas_f64 v[101:102], v[101:102], v[103:104], v[107:108]
	v_div_fixup_f64 v[103:104], v[101:102], v[97:98], v[99:100]
	v_fma_f64 v[97:98], v[99:100], v[103:104], v[97:98]
	v_div_scale_f64 v[99:100], s[6:7], v[97:98], v[97:98], 1.0
	v_div_scale_f64 v[107:108], vcc, 1.0, v[97:98], 1.0
	v_rcp_f64_e32 v[101:102], v[99:100]
	v_fma_f64 v[105:106], -v[99:100], v[101:102], 1.0
	v_fma_f64 v[101:102], v[101:102], v[105:106], v[101:102]
	v_fma_f64 v[105:106], -v[99:100], v[101:102], 1.0
	v_fma_f64 v[101:102], v[101:102], v[105:106], v[101:102]
	v_mul_f64 v[105:106], v[107:108], v[101:102]
	v_fma_f64 v[99:100], -v[99:100], v[105:106], v[107:108]
	v_div_fmas_f64 v[99:100], v[99:100], v[101:102], v[105:106]
	v_div_fixup_f64 v[101:102], v[99:100], v[97:98], 1.0
	v_mul_f64 v[103:104], v[103:104], -v[101:102]
.LBB71_133:
	s_or_b64 exec, exec, s[2:3]
	ds_write2_b64 v127, v[101:102], v[103:104] offset1:1
.LBB71_134:
	s_or_b64 exec, exec, s[4:5]
	s_waitcnt lgkmcnt(0)
	s_barrier
	ds_read2_b64 v[73:76], v127 offset1:1
	v_cmp_lt_u32_e32 vcc, 14, v0
	s_waitcnt lgkmcnt(0)
	buffer_store_dword v73, off, s[20:23], 0 offset:800 ; 4-byte Folded Spill
	s_nop 0
	buffer_store_dword v74, off, s[20:23], 0 offset:804 ; 4-byte Folded Spill
	buffer_store_dword v75, off, s[20:23], 0 offset:808 ; 4-byte Folded Spill
	;; [unrolled: 1-line block ×3, first 2 shown]
	s_mov_b64 s[2:3], exec
	s_and_b64 s[4:5], s[2:3], vcc
	buffer_store_dword v81, off, s[20:23], 0 offset:456 ; 4-byte Folded Spill
	s_nop 0
	buffer_store_dword v82, off, s[20:23], 0 offset:460 ; 4-byte Folded Spill
	buffer_store_dword v83, off, s[20:23], 0 offset:464 ; 4-byte Folded Spill
	;; [unrolled: 1-line block ×3, first 2 shown]
	s_mov_b64 exec, s[4:5]
	s_cbranch_execz .LBB71_136
; %bb.135:
	buffer_load_dword v73, off, s[20:23], 0 offset:800 ; 4-byte Folded Reload
	buffer_load_dword v74, off, s[20:23], 0 offset:804 ; 4-byte Folded Reload
	;; [unrolled: 1-line block ×4, first 2 shown]
	ds_read2_b64 v[99:102], v125 offset0:30 offset1:31
	buffer_load_dword v77, off, s[20:23], 0 offset:16 ; 4-byte Folded Reload
	buffer_load_dword v78, off, s[20:23], 0 offset:20 ; 4-byte Folded Reload
	;; [unrolled: 1-line block ×4, first 2 shown]
	s_waitcnt vmcnt(6)
	v_mul_f64 v[83:84], v[73:74], v[95:96]
	s_waitcnt vmcnt(4)
	v_mul_f64 v[97:98], v[75:76], v[95:96]
	v_fma_f64 v[95:96], v[75:76], v[93:94], v[83:84]
	v_fma_f64 v[97:98], v[73:74], v[93:94], -v[97:98]
	s_waitcnt lgkmcnt(0)
	v_mul_f64 v[81:82], v[101:102], v[95:96]
	v_mov_b32_e32 v93, v97
	v_mov_b32_e32 v94, v98
	v_fma_f64 v[81:82], v[99:100], v[97:98], -v[81:82]
	v_mul_f64 v[99:100], v[99:100], v[95:96]
	s_waitcnt vmcnt(2)
	v_add_f64 v[77:78], v[77:78], -v[81:82]
	v_fma_f64 v[99:100], v[101:102], v[97:98], v[99:100]
	s_waitcnt vmcnt(0)
	v_add_f64 v[79:80], v[79:80], -v[99:100]
	buffer_store_dword v77, off, s[20:23], 0 offset:16 ; 4-byte Folded Spill
	s_nop 0
	buffer_store_dword v78, off, s[20:23], 0 offset:20 ; 4-byte Folded Spill
	buffer_store_dword v79, off, s[20:23], 0 offset:24 ; 4-byte Folded Spill
	;; [unrolled: 1-line block ×3, first 2 shown]
	ds_read2_b64 v[99:102], v125 offset0:32 offset1:33
	buffer_load_dword v73, off, s[20:23], 0 ; 4-byte Folded Reload
	buffer_load_dword v74, off, s[20:23], 0 offset:4 ; 4-byte Folded Reload
	buffer_load_dword v75, off, s[20:23], 0 offset:8 ; 4-byte Folded Reload
	;; [unrolled: 1-line block ×3, first 2 shown]
	s_waitcnt lgkmcnt(0)
	v_mul_f64 v[81:82], v[101:102], v[95:96]
	v_fma_f64 v[81:82], v[99:100], v[97:98], -v[81:82]
	v_mul_f64 v[99:100], v[99:100], v[95:96]
	v_fma_f64 v[99:100], v[101:102], v[97:98], v[99:100]
	s_waitcnt vmcnt(2)
	v_add_f64 v[73:74], v[73:74], -v[81:82]
	s_waitcnt vmcnt(0)
	v_add_f64 v[75:76], v[75:76], -v[99:100]
	buffer_store_dword v73, off, s[20:23], 0 ; 4-byte Folded Spill
	s_nop 0
	buffer_store_dword v74, off, s[20:23], 0 offset:4 ; 4-byte Folded Spill
	buffer_store_dword v75, off, s[20:23], 0 offset:8 ; 4-byte Folded Spill
	;; [unrolled: 1-line block ×3, first 2 shown]
	ds_read2_b64 v[99:102], v125 offset0:34 offset1:35
	s_waitcnt lgkmcnt(0)
	v_mul_f64 v[81:82], v[101:102], v[95:96]
	v_fma_f64 v[81:82], v[99:100], v[97:98], -v[81:82]
	v_mul_f64 v[99:100], v[99:100], v[95:96]
	v_add_f64 v[69:70], v[69:70], -v[81:82]
	v_fma_f64 v[99:100], v[101:102], v[97:98], v[99:100]
	v_add_f64 v[71:72], v[71:72], -v[99:100]
	ds_read2_b64 v[99:102], v125 offset0:36 offset1:37
	s_waitcnt lgkmcnt(0)
	v_mul_f64 v[81:82], v[101:102], v[95:96]
	v_fma_f64 v[81:82], v[99:100], v[97:98], -v[81:82]
	v_mul_f64 v[99:100], v[99:100], v[95:96]
	v_add_f64 v[65:66], v[65:66], -v[81:82]
	v_fma_f64 v[99:100], v[101:102], v[97:98], v[99:100]
	v_add_f64 v[67:68], v[67:68], -v[99:100]
	;; [unrolled: 8-line block ×19, first 2 shown]
.LBB71_136:
	s_or_b64 exec, exec, s[2:3]
	v_cmp_eq_u32_e32 vcc, 15, v0
	s_waitcnt vmcnt(0)
	s_barrier
	s_and_saveexec_b64 s[4:5], vcc
	s_cbranch_execz .LBB71_143
; %bb.137:
	buffer_load_dword v77, off, s[20:23], 0 offset:16 ; 4-byte Folded Reload
	buffer_load_dword v78, off, s[20:23], 0 offset:20 ; 4-byte Folded Reload
	;; [unrolled: 1-line block ×4, first 2 shown]
	s_waitcnt vmcnt(0)
	ds_write2_b64 v127, v[77:78], v[79:80] offset1:1
	buffer_load_dword v73, off, s[20:23], 0 ; 4-byte Folded Reload
	buffer_load_dword v74, off, s[20:23], 0 offset:4 ; 4-byte Folded Reload
	buffer_load_dword v75, off, s[20:23], 0 offset:8 ; 4-byte Folded Reload
	;; [unrolled: 1-line block ×3, first 2 shown]
	s_waitcnt vmcnt(0)
	ds_write2_b64 v125, v[73:74], v[75:76] offset0:32 offset1:33
	ds_write2_b64 v125, v[69:70], v[71:72] offset0:34 offset1:35
	;; [unrolled: 1-line block ×20, first 2 shown]
	ds_read2_b64 v[97:100], v127 offset1:1
	s_waitcnt lgkmcnt(0)
	v_cmp_neq_f64_e32 vcc, 0, v[97:98]
	v_cmp_neq_f64_e64 s[2:3], 0, v[99:100]
	s_or_b64 s[2:3], vcc, s[2:3]
	s_and_b64 exec, exec, s[2:3]
	s_cbranch_execz .LBB71_143
; %bb.138:
	v_cmp_ngt_f64_e64 s[2:3], |v[97:98]|, |v[99:100]|
                                        ; implicit-def: $vgpr101_vgpr102
	s_and_saveexec_b64 s[6:7], s[2:3]
	s_xor_b64 s[2:3], exec, s[6:7]
                                        ; implicit-def: $vgpr103_vgpr104
	s_cbranch_execz .LBB71_140
; %bb.139:
	v_div_scale_f64 v[101:102], s[6:7], v[99:100], v[99:100], v[97:98]
	v_rcp_f64_e32 v[103:104], v[101:102]
	v_fma_f64 v[105:106], -v[101:102], v[103:104], 1.0
	v_fma_f64 v[103:104], v[103:104], v[105:106], v[103:104]
	v_div_scale_f64 v[105:106], vcc, v[97:98], v[99:100], v[97:98]
	v_fma_f64 v[107:108], -v[101:102], v[103:104], 1.0
	v_fma_f64 v[103:104], v[103:104], v[107:108], v[103:104]
	v_mul_f64 v[107:108], v[105:106], v[103:104]
	v_fma_f64 v[101:102], -v[101:102], v[107:108], v[105:106]
	v_div_fmas_f64 v[101:102], v[101:102], v[103:104], v[107:108]
	v_div_fixup_f64 v[101:102], v[101:102], v[99:100], v[97:98]
	v_fma_f64 v[97:98], v[97:98], v[101:102], v[99:100]
	v_div_scale_f64 v[99:100], s[6:7], v[97:98], v[97:98], 1.0
	v_div_scale_f64 v[107:108], vcc, 1.0, v[97:98], 1.0
	v_rcp_f64_e32 v[103:104], v[99:100]
	v_fma_f64 v[105:106], -v[99:100], v[103:104], 1.0
	v_fma_f64 v[103:104], v[103:104], v[105:106], v[103:104]
	v_fma_f64 v[105:106], -v[99:100], v[103:104], 1.0
	v_fma_f64 v[103:104], v[103:104], v[105:106], v[103:104]
	v_mul_f64 v[105:106], v[107:108], v[103:104]
	v_fma_f64 v[99:100], -v[99:100], v[105:106], v[107:108]
	v_div_fmas_f64 v[99:100], v[99:100], v[103:104], v[105:106]
	v_div_fixup_f64 v[103:104], v[99:100], v[97:98], 1.0
                                        ; implicit-def: $vgpr97_vgpr98
	v_mul_f64 v[101:102], v[101:102], v[103:104]
	v_xor_b32_e32 v104, 0x80000000, v104
.LBB71_140:
	s_andn2_saveexec_b64 s[2:3], s[2:3]
	s_cbranch_execz .LBB71_142
; %bb.141:
	v_div_scale_f64 v[101:102], s[6:7], v[97:98], v[97:98], v[99:100]
	v_rcp_f64_e32 v[103:104], v[101:102]
	v_fma_f64 v[105:106], -v[101:102], v[103:104], 1.0
	v_fma_f64 v[103:104], v[103:104], v[105:106], v[103:104]
	v_div_scale_f64 v[105:106], vcc, v[99:100], v[97:98], v[99:100]
	v_fma_f64 v[107:108], -v[101:102], v[103:104], 1.0
	v_fma_f64 v[103:104], v[103:104], v[107:108], v[103:104]
	v_mul_f64 v[107:108], v[105:106], v[103:104]
	v_fma_f64 v[101:102], -v[101:102], v[107:108], v[105:106]
	v_div_fmas_f64 v[101:102], v[101:102], v[103:104], v[107:108]
	v_div_fixup_f64 v[103:104], v[101:102], v[97:98], v[99:100]
	v_fma_f64 v[97:98], v[99:100], v[103:104], v[97:98]
	v_div_scale_f64 v[99:100], s[6:7], v[97:98], v[97:98], 1.0
	v_div_scale_f64 v[107:108], vcc, 1.0, v[97:98], 1.0
	v_rcp_f64_e32 v[101:102], v[99:100]
	v_fma_f64 v[105:106], -v[99:100], v[101:102], 1.0
	v_fma_f64 v[101:102], v[101:102], v[105:106], v[101:102]
	v_fma_f64 v[105:106], -v[99:100], v[101:102], 1.0
	v_fma_f64 v[101:102], v[101:102], v[105:106], v[101:102]
	v_mul_f64 v[105:106], v[107:108], v[101:102]
	v_fma_f64 v[99:100], -v[99:100], v[105:106], v[107:108]
	v_div_fmas_f64 v[99:100], v[99:100], v[101:102], v[105:106]
	v_div_fixup_f64 v[101:102], v[99:100], v[97:98], 1.0
	v_mul_f64 v[103:104], v[103:104], -v[101:102]
.LBB71_142:
	s_or_b64 exec, exec, s[2:3]
	ds_write2_b64 v127, v[101:102], v[103:104] offset1:1
.LBB71_143:
	s_or_b64 exec, exec, s[4:5]
	s_waitcnt lgkmcnt(0)
	s_barrier
	ds_read2_b64 v[81:84], v127 offset1:1
	v_cmp_lt_u32_e32 vcc, 15, v0
	s_and_saveexec_b64 s[2:3], vcc
	s_cbranch_execz .LBB71_145
; %bb.144:
	buffer_load_dword v77, off, s[20:23], 0 offset:16 ; 4-byte Folded Reload
	buffer_load_dword v78, off, s[20:23], 0 offset:20 ; 4-byte Folded Reload
	;; [unrolled: 1-line block ×4, first 2 shown]
	ds_read2_b64 v[99:102], v125 offset0:32 offset1:33
	buffer_load_dword v73, off, s[20:23], 0 ; 4-byte Folded Reload
	buffer_load_dword v74, off, s[20:23], 0 offset:4 ; 4-byte Folded Reload
	buffer_load_dword v75, off, s[20:23], 0 offset:8 ; 4-byte Folded Reload
	;; [unrolled: 1-line block ×3, first 2 shown]
	s_waitcnt vmcnt(4) lgkmcnt(1)
	v_mul_f64 v[97:98], v[83:84], v[79:80]
	v_mul_f64 v[79:80], v[81:82], v[79:80]
	v_fma_f64 v[97:98], v[81:82], v[77:78], -v[97:98]
	v_fma_f64 v[79:80], v[83:84], v[77:78], v[79:80]
	s_waitcnt lgkmcnt(0)
	v_mul_f64 v[77:78], v[101:102], v[79:80]
	v_fma_f64 v[77:78], v[99:100], v[97:98], -v[77:78]
	v_mul_f64 v[99:100], v[99:100], v[79:80]
	s_waitcnt vmcnt(2)
	v_add_f64 v[73:74], v[73:74], -v[77:78]
	v_fma_f64 v[99:100], v[101:102], v[97:98], v[99:100]
	s_waitcnt vmcnt(0)
	v_add_f64 v[75:76], v[75:76], -v[99:100]
	buffer_store_dword v73, off, s[20:23], 0 ; 4-byte Folded Spill
	s_nop 0
	buffer_store_dword v74, off, s[20:23], 0 offset:4 ; 4-byte Folded Spill
	buffer_store_dword v75, off, s[20:23], 0 offset:8 ; 4-byte Folded Spill
	;; [unrolled: 1-line block ×3, first 2 shown]
	ds_read2_b64 v[99:102], v125 offset0:34 offset1:35
	s_waitcnt lgkmcnt(0)
	v_mul_f64 v[77:78], v[101:102], v[79:80]
	v_fma_f64 v[77:78], v[99:100], v[97:98], -v[77:78]
	v_mul_f64 v[99:100], v[99:100], v[79:80]
	v_add_f64 v[69:70], v[69:70], -v[77:78]
	v_fma_f64 v[99:100], v[101:102], v[97:98], v[99:100]
	v_add_f64 v[71:72], v[71:72], -v[99:100]
	ds_read2_b64 v[99:102], v125 offset0:36 offset1:37
	s_waitcnt lgkmcnt(0)
	v_mul_f64 v[77:78], v[101:102], v[79:80]
	v_fma_f64 v[77:78], v[99:100], v[97:98], -v[77:78]
	v_mul_f64 v[99:100], v[99:100], v[79:80]
	v_add_f64 v[65:66], v[65:66], -v[77:78]
	v_fma_f64 v[99:100], v[101:102], v[97:98], v[99:100]
	v_add_f64 v[67:68], v[67:68], -v[99:100]
	;; [unrolled: 8-line block ×18, first 2 shown]
	ds_read2_b64 v[99:102], v125 offset0:70 offset1:71
	s_waitcnt lgkmcnt(0)
	v_mul_f64 v[77:78], v[101:102], v[79:80]
	v_fma_f64 v[77:78], v[99:100], v[97:98], -v[77:78]
	v_mul_f64 v[99:100], v[99:100], v[79:80]
	v_add_f64 v[113:114], v[113:114], -v[77:78]
	v_fma_f64 v[99:100], v[101:102], v[97:98], v[99:100]
	v_mov_b32_e32 v77, v97
	v_mov_b32_e32 v78, v98
	buffer_store_dword v77, off, s[20:23], 0 offset:16 ; 4-byte Folded Spill
	s_nop 0
	buffer_store_dword v78, off, s[20:23], 0 offset:20 ; 4-byte Folded Spill
	buffer_store_dword v79, off, s[20:23], 0 offset:24 ; 4-byte Folded Spill
	;; [unrolled: 1-line block ×3, first 2 shown]
	v_add_f64 v[115:116], v[115:116], -v[99:100]
.LBB71_145:
	s_or_b64 exec, exec, s[2:3]
	v_cmp_eq_u32_e32 vcc, 16, v0
	s_waitcnt vmcnt(0) lgkmcnt(0)
	s_barrier
	s_and_saveexec_b64 s[4:5], vcc
	s_cbranch_execz .LBB71_152
; %bb.146:
	buffer_load_dword v73, off, s[20:23], 0 ; 4-byte Folded Reload
	buffer_load_dword v74, off, s[20:23], 0 offset:4 ; 4-byte Folded Reload
	buffer_load_dword v75, off, s[20:23], 0 offset:8 ; 4-byte Folded Reload
	buffer_load_dword v76, off, s[20:23], 0 offset:12 ; 4-byte Folded Reload
	s_waitcnt vmcnt(0)
	ds_write2_b64 v127, v[73:74], v[75:76] offset1:1
	ds_write2_b64 v125, v[69:70], v[71:72] offset0:34 offset1:35
	ds_write2_b64 v125, v[65:66], v[67:68] offset0:36 offset1:37
	;; [unrolled: 1-line block ×19, first 2 shown]
	ds_read2_b64 v[97:100], v127 offset1:1
	s_waitcnt lgkmcnt(0)
	v_cmp_neq_f64_e32 vcc, 0, v[97:98]
	v_cmp_neq_f64_e64 s[2:3], 0, v[99:100]
	s_or_b64 s[2:3], vcc, s[2:3]
	s_and_b64 exec, exec, s[2:3]
	s_cbranch_execz .LBB71_152
; %bb.147:
	v_cmp_ngt_f64_e64 s[2:3], |v[97:98]|, |v[99:100]|
                                        ; implicit-def: $vgpr101_vgpr102
	s_and_saveexec_b64 s[6:7], s[2:3]
	s_xor_b64 s[2:3], exec, s[6:7]
                                        ; implicit-def: $vgpr103_vgpr104
	s_cbranch_execz .LBB71_149
; %bb.148:
	v_div_scale_f64 v[101:102], s[6:7], v[99:100], v[99:100], v[97:98]
	v_rcp_f64_e32 v[103:104], v[101:102]
	v_fma_f64 v[105:106], -v[101:102], v[103:104], 1.0
	v_fma_f64 v[103:104], v[103:104], v[105:106], v[103:104]
	v_div_scale_f64 v[105:106], vcc, v[97:98], v[99:100], v[97:98]
	v_fma_f64 v[107:108], -v[101:102], v[103:104], 1.0
	v_fma_f64 v[103:104], v[103:104], v[107:108], v[103:104]
	v_mul_f64 v[107:108], v[105:106], v[103:104]
	v_fma_f64 v[101:102], -v[101:102], v[107:108], v[105:106]
	v_div_fmas_f64 v[101:102], v[101:102], v[103:104], v[107:108]
	v_div_fixup_f64 v[101:102], v[101:102], v[99:100], v[97:98]
	v_fma_f64 v[97:98], v[97:98], v[101:102], v[99:100]
	v_div_scale_f64 v[99:100], s[6:7], v[97:98], v[97:98], 1.0
	v_div_scale_f64 v[107:108], vcc, 1.0, v[97:98], 1.0
	v_rcp_f64_e32 v[103:104], v[99:100]
	v_fma_f64 v[105:106], -v[99:100], v[103:104], 1.0
	v_fma_f64 v[103:104], v[103:104], v[105:106], v[103:104]
	v_fma_f64 v[105:106], -v[99:100], v[103:104], 1.0
	v_fma_f64 v[103:104], v[103:104], v[105:106], v[103:104]
	v_mul_f64 v[105:106], v[107:108], v[103:104]
	v_fma_f64 v[99:100], -v[99:100], v[105:106], v[107:108]
	v_div_fmas_f64 v[99:100], v[99:100], v[103:104], v[105:106]
	v_div_fixup_f64 v[103:104], v[99:100], v[97:98], 1.0
                                        ; implicit-def: $vgpr97_vgpr98
	v_mul_f64 v[101:102], v[101:102], v[103:104]
	v_xor_b32_e32 v104, 0x80000000, v104
.LBB71_149:
	s_andn2_saveexec_b64 s[2:3], s[2:3]
	s_cbranch_execz .LBB71_151
; %bb.150:
	v_div_scale_f64 v[101:102], s[6:7], v[97:98], v[97:98], v[99:100]
	v_rcp_f64_e32 v[103:104], v[101:102]
	v_fma_f64 v[105:106], -v[101:102], v[103:104], 1.0
	v_fma_f64 v[103:104], v[103:104], v[105:106], v[103:104]
	v_div_scale_f64 v[105:106], vcc, v[99:100], v[97:98], v[99:100]
	v_fma_f64 v[107:108], -v[101:102], v[103:104], 1.0
	v_fma_f64 v[103:104], v[103:104], v[107:108], v[103:104]
	v_mul_f64 v[107:108], v[105:106], v[103:104]
	v_fma_f64 v[101:102], -v[101:102], v[107:108], v[105:106]
	v_div_fmas_f64 v[101:102], v[101:102], v[103:104], v[107:108]
	v_div_fixup_f64 v[103:104], v[101:102], v[97:98], v[99:100]
	v_fma_f64 v[97:98], v[99:100], v[103:104], v[97:98]
	v_div_scale_f64 v[99:100], s[6:7], v[97:98], v[97:98], 1.0
	v_div_scale_f64 v[107:108], vcc, 1.0, v[97:98], 1.0
	v_rcp_f64_e32 v[101:102], v[99:100]
	v_fma_f64 v[105:106], -v[99:100], v[101:102], 1.0
	v_fma_f64 v[101:102], v[101:102], v[105:106], v[101:102]
	v_fma_f64 v[105:106], -v[99:100], v[101:102], 1.0
	v_fma_f64 v[101:102], v[101:102], v[105:106], v[101:102]
	v_mul_f64 v[105:106], v[107:108], v[101:102]
	v_fma_f64 v[99:100], -v[99:100], v[105:106], v[107:108]
	v_div_fmas_f64 v[99:100], v[99:100], v[101:102], v[105:106]
	v_div_fixup_f64 v[101:102], v[99:100], v[97:98], 1.0
	v_mul_f64 v[103:104], v[103:104], -v[101:102]
.LBB71_151:
	s_or_b64 exec, exec, s[2:3]
	ds_write2_b64 v127, v[101:102], v[103:104] offset1:1
.LBB71_152:
	s_or_b64 exec, exec, s[4:5]
	s_waitcnt lgkmcnt(0)
	s_barrier
	ds_read2_b64 v[77:80], v127 offset1:1
	v_cmp_lt_u32_e32 vcc, 16, v0
	s_and_saveexec_b64 s[2:3], vcc
	s_cbranch_execz .LBB71_154
; %bb.153:
	buffer_load_dword v73, off, s[20:23], 0 ; 4-byte Folded Reload
	buffer_load_dword v74, off, s[20:23], 0 offset:4 ; 4-byte Folded Reload
	buffer_load_dword v75, off, s[20:23], 0 offset:8 ; 4-byte Folded Reload
	;; [unrolled: 1-line block ×3, first 2 shown]
	ds_read2_b64 v[99:102], v125 offset0:34 offset1:35
	s_waitcnt vmcnt(0) lgkmcnt(1)
	v_mul_f64 v[97:98], v[79:80], v[75:76]
	v_mul_f64 v[75:76], v[77:78], v[75:76]
	v_fma_f64 v[97:98], v[77:78], v[73:74], -v[97:98]
	v_fma_f64 v[75:76], v[79:80], v[73:74], v[75:76]
	s_waitcnt lgkmcnt(0)
	v_mul_f64 v[73:74], v[101:102], v[75:76]
	v_fma_f64 v[73:74], v[99:100], v[97:98], -v[73:74]
	v_mul_f64 v[99:100], v[99:100], v[75:76]
	v_add_f64 v[69:70], v[69:70], -v[73:74]
	v_fma_f64 v[99:100], v[101:102], v[97:98], v[99:100]
	v_add_f64 v[71:72], v[71:72], -v[99:100]
	ds_read2_b64 v[99:102], v125 offset0:36 offset1:37
	s_waitcnt lgkmcnt(0)
	v_mul_f64 v[73:74], v[101:102], v[75:76]
	v_fma_f64 v[73:74], v[99:100], v[97:98], -v[73:74]
	v_mul_f64 v[99:100], v[99:100], v[75:76]
	v_add_f64 v[65:66], v[65:66], -v[73:74]
	v_fma_f64 v[99:100], v[101:102], v[97:98], v[99:100]
	v_add_f64 v[67:68], v[67:68], -v[99:100]
	ds_read2_b64 v[99:102], v125 offset0:38 offset1:39
	;; [unrolled: 8-line block ×18, first 2 shown]
	s_waitcnt lgkmcnt(0)
	v_mul_f64 v[73:74], v[101:102], v[75:76]
	v_fma_f64 v[73:74], v[99:100], v[97:98], -v[73:74]
	v_mul_f64 v[99:100], v[99:100], v[75:76]
	v_add_f64 v[113:114], v[113:114], -v[73:74]
	v_fma_f64 v[99:100], v[101:102], v[97:98], v[99:100]
	v_mov_b32_e32 v73, v97
	v_mov_b32_e32 v74, v98
	buffer_store_dword v73, off, s[20:23], 0 ; 4-byte Folded Spill
	s_nop 0
	buffer_store_dword v74, off, s[20:23], 0 offset:4 ; 4-byte Folded Spill
	buffer_store_dword v75, off, s[20:23], 0 offset:8 ; 4-byte Folded Spill
	;; [unrolled: 1-line block ×3, first 2 shown]
	v_add_f64 v[115:116], v[115:116], -v[99:100]
.LBB71_154:
	s_or_b64 exec, exec, s[2:3]
	v_cmp_eq_u32_e32 vcc, 17, v0
	s_waitcnt vmcnt(0) lgkmcnt(0)
	s_barrier
	s_and_saveexec_b64 s[4:5], vcc
	s_cbranch_execz .LBB71_161
; %bb.155:
	ds_write2_b64 v127, v[69:70], v[71:72] offset1:1
	ds_write2_b64 v125, v[65:66], v[67:68] offset0:36 offset1:37
	ds_write2_b64 v125, v[61:62], v[63:64] offset0:38 offset1:39
	;; [unrolled: 1-line block ×18, first 2 shown]
	ds_read2_b64 v[97:100], v127 offset1:1
	s_waitcnt lgkmcnt(0)
	v_cmp_neq_f64_e32 vcc, 0, v[97:98]
	v_cmp_neq_f64_e64 s[2:3], 0, v[99:100]
	s_or_b64 s[2:3], vcc, s[2:3]
	s_and_b64 exec, exec, s[2:3]
	s_cbranch_execz .LBB71_161
; %bb.156:
	v_cmp_ngt_f64_e64 s[2:3], |v[97:98]|, |v[99:100]|
                                        ; implicit-def: $vgpr101_vgpr102
	s_and_saveexec_b64 s[6:7], s[2:3]
	s_xor_b64 s[2:3], exec, s[6:7]
                                        ; implicit-def: $vgpr103_vgpr104
	s_cbranch_execz .LBB71_158
; %bb.157:
	v_div_scale_f64 v[101:102], s[6:7], v[99:100], v[99:100], v[97:98]
	v_rcp_f64_e32 v[103:104], v[101:102]
	v_fma_f64 v[105:106], -v[101:102], v[103:104], 1.0
	v_fma_f64 v[103:104], v[103:104], v[105:106], v[103:104]
	v_div_scale_f64 v[105:106], vcc, v[97:98], v[99:100], v[97:98]
	v_fma_f64 v[107:108], -v[101:102], v[103:104], 1.0
	v_fma_f64 v[103:104], v[103:104], v[107:108], v[103:104]
	v_mul_f64 v[107:108], v[105:106], v[103:104]
	v_fma_f64 v[101:102], -v[101:102], v[107:108], v[105:106]
	v_div_fmas_f64 v[101:102], v[101:102], v[103:104], v[107:108]
	v_div_fixup_f64 v[101:102], v[101:102], v[99:100], v[97:98]
	v_fma_f64 v[97:98], v[97:98], v[101:102], v[99:100]
	v_div_scale_f64 v[99:100], s[6:7], v[97:98], v[97:98], 1.0
	v_div_scale_f64 v[107:108], vcc, 1.0, v[97:98], 1.0
	v_rcp_f64_e32 v[103:104], v[99:100]
	v_fma_f64 v[105:106], -v[99:100], v[103:104], 1.0
	v_fma_f64 v[103:104], v[103:104], v[105:106], v[103:104]
	v_fma_f64 v[105:106], -v[99:100], v[103:104], 1.0
	v_fma_f64 v[103:104], v[103:104], v[105:106], v[103:104]
	v_mul_f64 v[105:106], v[107:108], v[103:104]
	v_fma_f64 v[99:100], -v[99:100], v[105:106], v[107:108]
	v_div_fmas_f64 v[99:100], v[99:100], v[103:104], v[105:106]
	v_div_fixup_f64 v[103:104], v[99:100], v[97:98], 1.0
                                        ; implicit-def: $vgpr97_vgpr98
	v_mul_f64 v[101:102], v[101:102], v[103:104]
	v_xor_b32_e32 v104, 0x80000000, v104
.LBB71_158:
	s_andn2_saveexec_b64 s[2:3], s[2:3]
	s_cbranch_execz .LBB71_160
; %bb.159:
	v_div_scale_f64 v[101:102], s[6:7], v[97:98], v[97:98], v[99:100]
	v_rcp_f64_e32 v[103:104], v[101:102]
	v_fma_f64 v[105:106], -v[101:102], v[103:104], 1.0
	v_fma_f64 v[103:104], v[103:104], v[105:106], v[103:104]
	v_div_scale_f64 v[105:106], vcc, v[99:100], v[97:98], v[99:100]
	v_fma_f64 v[107:108], -v[101:102], v[103:104], 1.0
	v_fma_f64 v[103:104], v[103:104], v[107:108], v[103:104]
	v_mul_f64 v[107:108], v[105:106], v[103:104]
	v_fma_f64 v[101:102], -v[101:102], v[107:108], v[105:106]
	v_div_fmas_f64 v[101:102], v[101:102], v[103:104], v[107:108]
	v_div_fixup_f64 v[103:104], v[101:102], v[97:98], v[99:100]
	v_fma_f64 v[97:98], v[99:100], v[103:104], v[97:98]
	v_div_scale_f64 v[99:100], s[6:7], v[97:98], v[97:98], 1.0
	v_div_scale_f64 v[107:108], vcc, 1.0, v[97:98], 1.0
	v_rcp_f64_e32 v[101:102], v[99:100]
	v_fma_f64 v[105:106], -v[99:100], v[101:102], 1.0
	v_fma_f64 v[101:102], v[101:102], v[105:106], v[101:102]
	v_fma_f64 v[105:106], -v[99:100], v[101:102], 1.0
	v_fma_f64 v[101:102], v[101:102], v[105:106], v[101:102]
	v_mul_f64 v[105:106], v[107:108], v[101:102]
	v_fma_f64 v[99:100], -v[99:100], v[105:106], v[107:108]
	v_div_fmas_f64 v[99:100], v[99:100], v[101:102], v[105:106]
	v_div_fixup_f64 v[101:102], v[99:100], v[97:98], 1.0
	v_mul_f64 v[103:104], v[103:104], -v[101:102]
.LBB71_160:
	s_or_b64 exec, exec, s[2:3]
	ds_write2_b64 v127, v[101:102], v[103:104] offset1:1
.LBB71_161:
	s_or_b64 exec, exec, s[4:5]
	s_waitcnt lgkmcnt(0)
	s_barrier
	ds_read2_b64 v[73:76], v127 offset1:1
	v_cmp_lt_u32_e32 vcc, 17, v0
	s_waitcnt lgkmcnt(0)
	buffer_store_dword v73, off, s[20:23], 0 offset:720 ; 4-byte Folded Spill
	s_nop 0
	buffer_store_dword v74, off, s[20:23], 0 offset:724 ; 4-byte Folded Spill
	buffer_store_dword v75, off, s[20:23], 0 offset:728 ; 4-byte Folded Spill
	;; [unrolled: 1-line block ×3, first 2 shown]
	s_and_saveexec_b64 s[2:3], vcc
	s_cbranch_execz .LBB71_163
; %bb.162:
	buffer_load_dword v73, off, s[20:23], 0 offset:720 ; 4-byte Folded Reload
	buffer_load_dword v74, off, s[20:23], 0 offset:724 ; 4-byte Folded Reload
	;; [unrolled: 1-line block ×4, first 2 shown]
	ds_read2_b64 v[99:102], v125 offset0:36 offset1:37
	s_waitcnt vmcnt(0)
	v_mul_f64 v[97:98], v[75:76], v[71:72]
	v_mul_f64 v[71:72], v[73:74], v[71:72]
	v_fma_f64 v[97:98], v[73:74], v[69:70], -v[97:98]
	v_fma_f64 v[71:72], v[75:76], v[69:70], v[71:72]
	s_waitcnt lgkmcnt(0)
	v_mul_f64 v[69:70], v[101:102], v[71:72]
	v_fma_f64 v[69:70], v[99:100], v[97:98], -v[69:70]
	v_mul_f64 v[99:100], v[99:100], v[71:72]
	v_add_f64 v[65:66], v[65:66], -v[69:70]
	v_fma_f64 v[99:100], v[101:102], v[97:98], v[99:100]
	v_add_f64 v[67:68], v[67:68], -v[99:100]
	ds_read2_b64 v[99:102], v125 offset0:38 offset1:39
	s_waitcnt lgkmcnt(0)
	v_mul_f64 v[69:70], v[101:102], v[71:72]
	v_fma_f64 v[69:70], v[99:100], v[97:98], -v[69:70]
	v_mul_f64 v[99:100], v[99:100], v[71:72]
	v_add_f64 v[61:62], v[61:62], -v[69:70]
	v_fma_f64 v[99:100], v[101:102], v[97:98], v[99:100]
	v_add_f64 v[63:64], v[63:64], -v[99:100]
	ds_read2_b64 v[99:102], v125 offset0:40 offset1:41
	s_waitcnt lgkmcnt(0)
	v_mul_f64 v[69:70], v[101:102], v[71:72]
	v_fma_f64 v[69:70], v[99:100], v[97:98], -v[69:70]
	v_mul_f64 v[99:100], v[99:100], v[71:72]
	v_add_f64 v[57:58], v[57:58], -v[69:70]
	v_fma_f64 v[99:100], v[101:102], v[97:98], v[99:100]
	v_add_f64 v[59:60], v[59:60], -v[99:100]
	ds_read2_b64 v[99:102], v125 offset0:42 offset1:43
	s_waitcnt lgkmcnt(0)
	v_mul_f64 v[69:70], v[101:102], v[71:72]
	v_fma_f64 v[69:70], v[99:100], v[97:98], -v[69:70]
	v_mul_f64 v[99:100], v[99:100], v[71:72]
	v_add_f64 v[53:54], v[53:54], -v[69:70]
	v_fma_f64 v[99:100], v[101:102], v[97:98], v[99:100]
	v_add_f64 v[55:56], v[55:56], -v[99:100]
	ds_read2_b64 v[99:102], v125 offset0:44 offset1:45
	s_waitcnt lgkmcnt(0)
	v_mul_f64 v[69:70], v[101:102], v[71:72]
	v_fma_f64 v[69:70], v[99:100], v[97:98], -v[69:70]
	v_mul_f64 v[99:100], v[99:100], v[71:72]
	v_add_f64 v[49:50], v[49:50], -v[69:70]
	v_fma_f64 v[99:100], v[101:102], v[97:98], v[99:100]
	v_add_f64 v[51:52], v[51:52], -v[99:100]
	ds_read2_b64 v[99:102], v125 offset0:46 offset1:47
	s_waitcnt lgkmcnt(0)
	v_mul_f64 v[69:70], v[101:102], v[71:72]
	v_fma_f64 v[69:70], v[99:100], v[97:98], -v[69:70]
	v_mul_f64 v[99:100], v[99:100], v[71:72]
	v_add_f64 v[45:46], v[45:46], -v[69:70]
	v_fma_f64 v[99:100], v[101:102], v[97:98], v[99:100]
	v_add_f64 v[47:48], v[47:48], -v[99:100]
	ds_read2_b64 v[99:102], v125 offset0:48 offset1:49
	s_waitcnt lgkmcnt(0)
	v_mul_f64 v[69:70], v[101:102], v[71:72]
	v_fma_f64 v[69:70], v[99:100], v[97:98], -v[69:70]
	v_mul_f64 v[99:100], v[99:100], v[71:72]
	v_add_f64 v[41:42], v[41:42], -v[69:70]
	v_fma_f64 v[99:100], v[101:102], v[97:98], v[99:100]
	v_add_f64 v[43:44], v[43:44], -v[99:100]
	ds_read2_b64 v[99:102], v125 offset0:50 offset1:51
	s_waitcnt lgkmcnt(0)
	v_mul_f64 v[69:70], v[101:102], v[71:72]
	v_fma_f64 v[69:70], v[99:100], v[97:98], -v[69:70]
	v_mul_f64 v[99:100], v[99:100], v[71:72]
	v_add_f64 v[37:38], v[37:38], -v[69:70]
	v_fma_f64 v[99:100], v[101:102], v[97:98], v[99:100]
	v_add_f64 v[39:40], v[39:40], -v[99:100]
	ds_read2_b64 v[99:102], v125 offset0:52 offset1:53
	s_waitcnt lgkmcnt(0)
	v_mul_f64 v[69:70], v[101:102], v[71:72]
	v_fma_f64 v[69:70], v[99:100], v[97:98], -v[69:70]
	v_mul_f64 v[99:100], v[99:100], v[71:72]
	v_add_f64 v[33:34], v[33:34], -v[69:70]
	v_fma_f64 v[99:100], v[101:102], v[97:98], v[99:100]
	v_add_f64 v[35:36], v[35:36], -v[99:100]
	ds_read2_b64 v[99:102], v125 offset0:54 offset1:55
	s_waitcnt lgkmcnt(0)
	v_mul_f64 v[69:70], v[101:102], v[71:72]
	v_fma_f64 v[69:70], v[99:100], v[97:98], -v[69:70]
	v_mul_f64 v[99:100], v[99:100], v[71:72]
	v_add_f64 v[29:30], v[29:30], -v[69:70]
	v_fma_f64 v[99:100], v[101:102], v[97:98], v[99:100]
	v_add_f64 v[31:32], v[31:32], -v[99:100]
	ds_read2_b64 v[99:102], v125 offset0:56 offset1:57
	s_waitcnt lgkmcnt(0)
	v_mul_f64 v[69:70], v[101:102], v[71:72]
	v_fma_f64 v[69:70], v[99:100], v[97:98], -v[69:70]
	v_mul_f64 v[99:100], v[99:100], v[71:72]
	v_add_f64 v[25:26], v[25:26], -v[69:70]
	v_fma_f64 v[99:100], v[101:102], v[97:98], v[99:100]
	v_add_f64 v[27:28], v[27:28], -v[99:100]
	ds_read2_b64 v[99:102], v125 offset0:58 offset1:59
	s_waitcnt lgkmcnt(0)
	v_mul_f64 v[69:70], v[101:102], v[71:72]
	v_fma_f64 v[69:70], v[99:100], v[97:98], -v[69:70]
	v_mul_f64 v[99:100], v[99:100], v[71:72]
	v_add_f64 v[21:22], v[21:22], -v[69:70]
	v_fma_f64 v[99:100], v[101:102], v[97:98], v[99:100]
	v_add_f64 v[23:24], v[23:24], -v[99:100]
	ds_read2_b64 v[99:102], v125 offset0:60 offset1:61
	s_waitcnt lgkmcnt(0)
	v_mul_f64 v[69:70], v[101:102], v[71:72]
	v_fma_f64 v[69:70], v[99:100], v[97:98], -v[69:70]
	v_mul_f64 v[99:100], v[99:100], v[71:72]
	v_add_f64 v[17:18], v[17:18], -v[69:70]
	v_fma_f64 v[99:100], v[101:102], v[97:98], v[99:100]
	v_add_f64 v[19:20], v[19:20], -v[99:100]
	ds_read2_b64 v[99:102], v125 offset0:62 offset1:63
	s_waitcnt lgkmcnt(0)
	v_mul_f64 v[69:70], v[101:102], v[71:72]
	v_fma_f64 v[69:70], v[99:100], v[97:98], -v[69:70]
	v_mul_f64 v[99:100], v[99:100], v[71:72]
	v_add_f64 v[13:14], v[13:14], -v[69:70]
	v_fma_f64 v[99:100], v[101:102], v[97:98], v[99:100]
	v_add_f64 v[15:16], v[15:16], -v[99:100]
	ds_read2_b64 v[99:102], v125 offset0:64 offset1:65
	s_waitcnt lgkmcnt(0)
	v_mul_f64 v[69:70], v[101:102], v[71:72]
	v_fma_f64 v[69:70], v[99:100], v[97:98], -v[69:70]
	v_mul_f64 v[99:100], v[99:100], v[71:72]
	v_add_f64 v[9:10], v[9:10], -v[69:70]
	v_fma_f64 v[99:100], v[101:102], v[97:98], v[99:100]
	v_add_f64 v[11:12], v[11:12], -v[99:100]
	ds_read2_b64 v[99:102], v125 offset0:66 offset1:67
	s_waitcnt lgkmcnt(0)
	v_mul_f64 v[69:70], v[101:102], v[71:72]
	v_fma_f64 v[69:70], v[99:100], v[97:98], -v[69:70]
	v_mul_f64 v[99:100], v[99:100], v[71:72]
	v_add_f64 v[5:6], v[5:6], -v[69:70]
	v_fma_f64 v[99:100], v[101:102], v[97:98], v[99:100]
	v_add_f64 v[7:8], v[7:8], -v[99:100]
	ds_read2_b64 v[99:102], v125 offset0:68 offset1:69
	s_waitcnt lgkmcnt(0)
	v_mul_f64 v[69:70], v[101:102], v[71:72]
	v_fma_f64 v[69:70], v[99:100], v[97:98], -v[69:70]
	v_mul_f64 v[99:100], v[99:100], v[71:72]
	v_add_f64 v[1:2], v[1:2], -v[69:70]
	v_fma_f64 v[99:100], v[101:102], v[97:98], v[99:100]
	v_add_f64 v[3:4], v[3:4], -v[99:100]
	ds_read2_b64 v[99:102], v125 offset0:70 offset1:71
	s_waitcnt lgkmcnt(0)
	v_mul_f64 v[69:70], v[101:102], v[71:72]
	v_fma_f64 v[69:70], v[99:100], v[97:98], -v[69:70]
	v_mul_f64 v[99:100], v[99:100], v[71:72]
	v_add_f64 v[113:114], v[113:114], -v[69:70]
	v_fma_f64 v[99:100], v[101:102], v[97:98], v[99:100]
	v_mov_b32_e32 v69, v97
	v_mov_b32_e32 v70, v98
	v_add_f64 v[115:116], v[115:116], -v[99:100]
.LBB71_163:
	s_or_b64 exec, exec, s[2:3]
	v_cmp_eq_u32_e32 vcc, 18, v0
	s_waitcnt vmcnt(0)
	s_barrier
	s_and_saveexec_b64 s[4:5], vcc
	s_cbranch_execz .LBB71_170
; %bb.164:
	ds_write2_b64 v127, v[65:66], v[67:68] offset1:1
	ds_write2_b64 v125, v[61:62], v[63:64] offset0:38 offset1:39
	ds_write2_b64 v125, v[57:58], v[59:60] offset0:40 offset1:41
	;; [unrolled: 1-line block ×17, first 2 shown]
	ds_read2_b64 v[97:100], v127 offset1:1
	s_waitcnt lgkmcnt(0)
	v_cmp_neq_f64_e32 vcc, 0, v[97:98]
	v_cmp_neq_f64_e64 s[2:3], 0, v[99:100]
	s_or_b64 s[2:3], vcc, s[2:3]
	s_and_b64 exec, exec, s[2:3]
	s_cbranch_execz .LBB71_170
; %bb.165:
	v_cmp_ngt_f64_e64 s[2:3], |v[97:98]|, |v[99:100]|
                                        ; implicit-def: $vgpr101_vgpr102
	s_and_saveexec_b64 s[6:7], s[2:3]
	s_xor_b64 s[2:3], exec, s[6:7]
                                        ; implicit-def: $vgpr103_vgpr104
	s_cbranch_execz .LBB71_167
; %bb.166:
	v_div_scale_f64 v[101:102], s[6:7], v[99:100], v[99:100], v[97:98]
	v_rcp_f64_e32 v[103:104], v[101:102]
	v_fma_f64 v[105:106], -v[101:102], v[103:104], 1.0
	v_fma_f64 v[103:104], v[103:104], v[105:106], v[103:104]
	v_div_scale_f64 v[105:106], vcc, v[97:98], v[99:100], v[97:98]
	v_fma_f64 v[107:108], -v[101:102], v[103:104], 1.0
	v_fma_f64 v[103:104], v[103:104], v[107:108], v[103:104]
	v_mul_f64 v[107:108], v[105:106], v[103:104]
	v_fma_f64 v[101:102], -v[101:102], v[107:108], v[105:106]
	v_div_fmas_f64 v[101:102], v[101:102], v[103:104], v[107:108]
	v_div_fixup_f64 v[101:102], v[101:102], v[99:100], v[97:98]
	v_fma_f64 v[97:98], v[97:98], v[101:102], v[99:100]
	v_div_scale_f64 v[99:100], s[6:7], v[97:98], v[97:98], 1.0
	v_div_scale_f64 v[107:108], vcc, 1.0, v[97:98], 1.0
	v_rcp_f64_e32 v[103:104], v[99:100]
	v_fma_f64 v[105:106], -v[99:100], v[103:104], 1.0
	v_fma_f64 v[103:104], v[103:104], v[105:106], v[103:104]
	v_fma_f64 v[105:106], -v[99:100], v[103:104], 1.0
	v_fma_f64 v[103:104], v[103:104], v[105:106], v[103:104]
	v_mul_f64 v[105:106], v[107:108], v[103:104]
	v_fma_f64 v[99:100], -v[99:100], v[105:106], v[107:108]
	v_div_fmas_f64 v[99:100], v[99:100], v[103:104], v[105:106]
	v_div_fixup_f64 v[103:104], v[99:100], v[97:98], 1.0
                                        ; implicit-def: $vgpr97_vgpr98
	v_mul_f64 v[101:102], v[101:102], v[103:104]
	v_xor_b32_e32 v104, 0x80000000, v104
.LBB71_167:
	s_andn2_saveexec_b64 s[2:3], s[2:3]
	s_cbranch_execz .LBB71_169
; %bb.168:
	v_div_scale_f64 v[101:102], s[6:7], v[97:98], v[97:98], v[99:100]
	v_rcp_f64_e32 v[103:104], v[101:102]
	v_fma_f64 v[105:106], -v[101:102], v[103:104], 1.0
	v_fma_f64 v[103:104], v[103:104], v[105:106], v[103:104]
	v_div_scale_f64 v[105:106], vcc, v[99:100], v[97:98], v[99:100]
	v_fma_f64 v[107:108], -v[101:102], v[103:104], 1.0
	v_fma_f64 v[103:104], v[103:104], v[107:108], v[103:104]
	v_mul_f64 v[107:108], v[105:106], v[103:104]
	v_fma_f64 v[101:102], -v[101:102], v[107:108], v[105:106]
	v_div_fmas_f64 v[101:102], v[101:102], v[103:104], v[107:108]
	v_div_fixup_f64 v[103:104], v[101:102], v[97:98], v[99:100]
	v_fma_f64 v[97:98], v[99:100], v[103:104], v[97:98]
	v_div_scale_f64 v[99:100], s[6:7], v[97:98], v[97:98], 1.0
	v_div_scale_f64 v[107:108], vcc, 1.0, v[97:98], 1.0
	v_rcp_f64_e32 v[101:102], v[99:100]
	v_fma_f64 v[105:106], -v[99:100], v[101:102], 1.0
	v_fma_f64 v[101:102], v[101:102], v[105:106], v[101:102]
	v_fma_f64 v[105:106], -v[99:100], v[101:102], 1.0
	v_fma_f64 v[101:102], v[101:102], v[105:106], v[101:102]
	v_mul_f64 v[105:106], v[107:108], v[101:102]
	v_fma_f64 v[99:100], -v[99:100], v[105:106], v[107:108]
	v_div_fmas_f64 v[99:100], v[99:100], v[101:102], v[105:106]
	v_div_fixup_f64 v[101:102], v[99:100], v[97:98], 1.0
	v_mul_f64 v[103:104], v[103:104], -v[101:102]
.LBB71_169:
	s_or_b64 exec, exec, s[2:3]
	ds_write2_b64 v127, v[101:102], v[103:104] offset1:1
.LBB71_170:
	s_or_b64 exec, exec, s[4:5]
	s_waitcnt lgkmcnt(0)
	s_barrier
	ds_read2_b64 v[73:76], v127 offset1:1
	v_cmp_lt_u32_e32 vcc, 18, v0
	s_waitcnt lgkmcnt(0)
	buffer_store_dword v73, off, s[20:23], 0 offset:736 ; 4-byte Folded Spill
	s_nop 0
	buffer_store_dword v74, off, s[20:23], 0 offset:740 ; 4-byte Folded Spill
	buffer_store_dword v75, off, s[20:23], 0 offset:744 ; 4-byte Folded Spill
	;; [unrolled: 1-line block ×3, first 2 shown]
	s_and_saveexec_b64 s[2:3], vcc
	s_cbranch_execz .LBB71_172
; %bb.171:
	buffer_load_dword v73, off, s[20:23], 0 offset:736 ; 4-byte Folded Reload
	buffer_load_dword v74, off, s[20:23], 0 offset:740 ; 4-byte Folded Reload
	;; [unrolled: 1-line block ×4, first 2 shown]
	ds_read2_b64 v[99:102], v125 offset0:38 offset1:39
	s_waitcnt vmcnt(0)
	v_mul_f64 v[97:98], v[75:76], v[67:68]
	v_mul_f64 v[67:68], v[73:74], v[67:68]
	v_fma_f64 v[97:98], v[73:74], v[65:66], -v[97:98]
	v_fma_f64 v[67:68], v[75:76], v[65:66], v[67:68]
	s_waitcnt lgkmcnt(0)
	v_mul_f64 v[65:66], v[101:102], v[67:68]
	v_fma_f64 v[65:66], v[99:100], v[97:98], -v[65:66]
	v_mul_f64 v[99:100], v[99:100], v[67:68]
	v_add_f64 v[61:62], v[61:62], -v[65:66]
	v_fma_f64 v[99:100], v[101:102], v[97:98], v[99:100]
	v_add_f64 v[63:64], v[63:64], -v[99:100]
	ds_read2_b64 v[99:102], v125 offset0:40 offset1:41
	s_waitcnt lgkmcnt(0)
	v_mul_f64 v[65:66], v[101:102], v[67:68]
	v_fma_f64 v[65:66], v[99:100], v[97:98], -v[65:66]
	v_mul_f64 v[99:100], v[99:100], v[67:68]
	v_add_f64 v[57:58], v[57:58], -v[65:66]
	v_fma_f64 v[99:100], v[101:102], v[97:98], v[99:100]
	v_add_f64 v[59:60], v[59:60], -v[99:100]
	ds_read2_b64 v[99:102], v125 offset0:42 offset1:43
	;; [unrolled: 8-line block ×16, first 2 shown]
	s_waitcnt lgkmcnt(0)
	v_mul_f64 v[65:66], v[101:102], v[67:68]
	v_fma_f64 v[65:66], v[99:100], v[97:98], -v[65:66]
	v_mul_f64 v[99:100], v[99:100], v[67:68]
	v_add_f64 v[113:114], v[113:114], -v[65:66]
	v_fma_f64 v[99:100], v[101:102], v[97:98], v[99:100]
	v_mov_b32_e32 v65, v97
	v_mov_b32_e32 v66, v98
	v_add_f64 v[115:116], v[115:116], -v[99:100]
.LBB71_172:
	s_or_b64 exec, exec, s[2:3]
	v_cmp_eq_u32_e32 vcc, 19, v0
	s_waitcnt vmcnt(0)
	s_barrier
	s_and_saveexec_b64 s[4:5], vcc
	s_cbranch_execz .LBB71_179
; %bb.173:
	ds_write2_b64 v127, v[61:62], v[63:64] offset1:1
	ds_write2_b64 v125, v[57:58], v[59:60] offset0:40 offset1:41
	ds_write2_b64 v125, v[53:54], v[55:56] offset0:42 offset1:43
	;; [unrolled: 1-line block ×16, first 2 shown]
	ds_read2_b64 v[97:100], v127 offset1:1
	s_waitcnt lgkmcnt(0)
	v_cmp_neq_f64_e32 vcc, 0, v[97:98]
	v_cmp_neq_f64_e64 s[2:3], 0, v[99:100]
	s_or_b64 s[2:3], vcc, s[2:3]
	s_and_b64 exec, exec, s[2:3]
	s_cbranch_execz .LBB71_179
; %bb.174:
	v_cmp_ngt_f64_e64 s[2:3], |v[97:98]|, |v[99:100]|
                                        ; implicit-def: $vgpr101_vgpr102
	s_and_saveexec_b64 s[6:7], s[2:3]
	s_xor_b64 s[2:3], exec, s[6:7]
                                        ; implicit-def: $vgpr103_vgpr104
	s_cbranch_execz .LBB71_176
; %bb.175:
	v_div_scale_f64 v[101:102], s[6:7], v[99:100], v[99:100], v[97:98]
	v_rcp_f64_e32 v[103:104], v[101:102]
	v_fma_f64 v[105:106], -v[101:102], v[103:104], 1.0
	v_fma_f64 v[103:104], v[103:104], v[105:106], v[103:104]
	v_div_scale_f64 v[105:106], vcc, v[97:98], v[99:100], v[97:98]
	v_fma_f64 v[107:108], -v[101:102], v[103:104], 1.0
	v_fma_f64 v[103:104], v[103:104], v[107:108], v[103:104]
	v_mul_f64 v[107:108], v[105:106], v[103:104]
	v_fma_f64 v[101:102], -v[101:102], v[107:108], v[105:106]
	v_div_fmas_f64 v[101:102], v[101:102], v[103:104], v[107:108]
	v_div_fixup_f64 v[101:102], v[101:102], v[99:100], v[97:98]
	v_fma_f64 v[97:98], v[97:98], v[101:102], v[99:100]
	v_div_scale_f64 v[99:100], s[6:7], v[97:98], v[97:98], 1.0
	v_div_scale_f64 v[107:108], vcc, 1.0, v[97:98], 1.0
	v_rcp_f64_e32 v[103:104], v[99:100]
	v_fma_f64 v[105:106], -v[99:100], v[103:104], 1.0
	v_fma_f64 v[103:104], v[103:104], v[105:106], v[103:104]
	v_fma_f64 v[105:106], -v[99:100], v[103:104], 1.0
	v_fma_f64 v[103:104], v[103:104], v[105:106], v[103:104]
	v_mul_f64 v[105:106], v[107:108], v[103:104]
	v_fma_f64 v[99:100], -v[99:100], v[105:106], v[107:108]
	v_div_fmas_f64 v[99:100], v[99:100], v[103:104], v[105:106]
	v_div_fixup_f64 v[103:104], v[99:100], v[97:98], 1.0
                                        ; implicit-def: $vgpr97_vgpr98
	v_mul_f64 v[101:102], v[101:102], v[103:104]
	v_xor_b32_e32 v104, 0x80000000, v104
.LBB71_176:
	s_andn2_saveexec_b64 s[2:3], s[2:3]
	s_cbranch_execz .LBB71_178
; %bb.177:
	v_div_scale_f64 v[101:102], s[6:7], v[97:98], v[97:98], v[99:100]
	v_rcp_f64_e32 v[103:104], v[101:102]
	v_fma_f64 v[105:106], -v[101:102], v[103:104], 1.0
	v_fma_f64 v[103:104], v[103:104], v[105:106], v[103:104]
	v_div_scale_f64 v[105:106], vcc, v[99:100], v[97:98], v[99:100]
	v_fma_f64 v[107:108], -v[101:102], v[103:104], 1.0
	v_fma_f64 v[103:104], v[103:104], v[107:108], v[103:104]
	v_mul_f64 v[107:108], v[105:106], v[103:104]
	v_fma_f64 v[101:102], -v[101:102], v[107:108], v[105:106]
	v_div_fmas_f64 v[101:102], v[101:102], v[103:104], v[107:108]
	v_div_fixup_f64 v[103:104], v[101:102], v[97:98], v[99:100]
	v_fma_f64 v[97:98], v[99:100], v[103:104], v[97:98]
	v_div_scale_f64 v[99:100], s[6:7], v[97:98], v[97:98], 1.0
	v_div_scale_f64 v[107:108], vcc, 1.0, v[97:98], 1.0
	v_rcp_f64_e32 v[101:102], v[99:100]
	v_fma_f64 v[105:106], -v[99:100], v[101:102], 1.0
	v_fma_f64 v[101:102], v[101:102], v[105:106], v[101:102]
	v_fma_f64 v[105:106], -v[99:100], v[101:102], 1.0
	v_fma_f64 v[101:102], v[101:102], v[105:106], v[101:102]
	v_mul_f64 v[105:106], v[107:108], v[101:102]
	v_fma_f64 v[99:100], -v[99:100], v[105:106], v[107:108]
	v_div_fmas_f64 v[99:100], v[99:100], v[101:102], v[105:106]
	v_div_fixup_f64 v[101:102], v[99:100], v[97:98], 1.0
	v_mul_f64 v[103:104], v[103:104], -v[101:102]
.LBB71_178:
	s_or_b64 exec, exec, s[2:3]
	ds_write2_b64 v127, v[101:102], v[103:104] offset1:1
.LBB71_179:
	s_or_b64 exec, exec, s[4:5]
	s_waitcnt lgkmcnt(0)
	s_barrier
	ds_read2_b64 v[73:76], v127 offset1:1
	v_cmp_lt_u32_e32 vcc, 19, v0
	s_waitcnt lgkmcnt(0)
	buffer_store_dword v73, off, s[20:23], 0 offset:752 ; 4-byte Folded Spill
	s_nop 0
	buffer_store_dword v74, off, s[20:23], 0 offset:756 ; 4-byte Folded Spill
	buffer_store_dword v75, off, s[20:23], 0 offset:760 ; 4-byte Folded Spill
	;; [unrolled: 1-line block ×3, first 2 shown]
	s_and_saveexec_b64 s[2:3], vcc
	s_cbranch_execz .LBB71_181
; %bb.180:
	buffer_load_dword v73, off, s[20:23], 0 offset:752 ; 4-byte Folded Reload
	buffer_load_dword v74, off, s[20:23], 0 offset:756 ; 4-byte Folded Reload
	;; [unrolled: 1-line block ×4, first 2 shown]
	ds_read2_b64 v[99:102], v125 offset0:40 offset1:41
	s_waitcnt vmcnt(2)
	v_mul_f64 v[97:98], v[73:74], v[63:64]
	s_waitcnt vmcnt(0)
	v_mul_f64 v[63:64], v[75:76], v[63:64]
	v_fma_f64 v[97:98], v[75:76], v[61:62], v[97:98]
	v_fma_f64 v[61:62], v[73:74], v[61:62], -v[63:64]
	s_waitcnt lgkmcnt(0)
	v_mul_f64 v[63:64], v[101:102], v[97:98]
	v_fma_f64 v[63:64], v[99:100], v[61:62], -v[63:64]
	v_mul_f64 v[99:100], v[99:100], v[97:98]
	v_add_f64 v[57:58], v[57:58], -v[63:64]
	v_fma_f64 v[99:100], v[101:102], v[61:62], v[99:100]
	v_add_f64 v[59:60], v[59:60], -v[99:100]
	ds_read2_b64 v[99:102], v125 offset0:42 offset1:43
	s_waitcnt lgkmcnt(0)
	v_mul_f64 v[63:64], v[101:102], v[97:98]
	v_fma_f64 v[63:64], v[99:100], v[61:62], -v[63:64]
	v_mul_f64 v[99:100], v[99:100], v[97:98]
	v_add_f64 v[53:54], v[53:54], -v[63:64]
	v_fma_f64 v[99:100], v[101:102], v[61:62], v[99:100]
	v_add_f64 v[55:56], v[55:56], -v[99:100]
	ds_read2_b64 v[99:102], v125 offset0:44 offset1:45
	;; [unrolled: 8-line block ×15, first 2 shown]
	s_waitcnt lgkmcnt(0)
	v_mul_f64 v[63:64], v[101:102], v[97:98]
	v_fma_f64 v[63:64], v[99:100], v[61:62], -v[63:64]
	v_mul_f64 v[99:100], v[99:100], v[97:98]
	v_add_f64 v[113:114], v[113:114], -v[63:64]
	v_fma_f64 v[99:100], v[101:102], v[61:62], v[99:100]
	v_mov_b32_e32 v63, v97
	v_mov_b32_e32 v64, v98
	v_add_f64 v[115:116], v[115:116], -v[99:100]
.LBB71_181:
	s_or_b64 exec, exec, s[2:3]
	v_cmp_eq_u32_e32 vcc, 20, v0
	s_waitcnt vmcnt(0)
	s_barrier
	s_and_saveexec_b64 s[4:5], vcc
	s_cbranch_execz .LBB71_188
; %bb.182:
	ds_write2_b64 v127, v[57:58], v[59:60] offset1:1
	ds_write2_b64 v125, v[53:54], v[55:56] offset0:42 offset1:43
	ds_write2_b64 v125, v[49:50], v[51:52] offset0:44 offset1:45
	;; [unrolled: 1-line block ×15, first 2 shown]
	ds_read2_b64 v[97:100], v127 offset1:1
	s_waitcnt lgkmcnt(0)
	v_cmp_neq_f64_e32 vcc, 0, v[97:98]
	v_cmp_neq_f64_e64 s[2:3], 0, v[99:100]
	s_or_b64 s[2:3], vcc, s[2:3]
	s_and_b64 exec, exec, s[2:3]
	s_cbranch_execz .LBB71_188
; %bb.183:
	v_cmp_ngt_f64_e64 s[2:3], |v[97:98]|, |v[99:100]|
                                        ; implicit-def: $vgpr101_vgpr102
	s_and_saveexec_b64 s[6:7], s[2:3]
	s_xor_b64 s[2:3], exec, s[6:7]
                                        ; implicit-def: $vgpr103_vgpr104
	s_cbranch_execz .LBB71_185
; %bb.184:
	v_div_scale_f64 v[101:102], s[6:7], v[99:100], v[99:100], v[97:98]
	v_rcp_f64_e32 v[103:104], v[101:102]
	v_fma_f64 v[105:106], -v[101:102], v[103:104], 1.0
	v_fma_f64 v[103:104], v[103:104], v[105:106], v[103:104]
	v_div_scale_f64 v[105:106], vcc, v[97:98], v[99:100], v[97:98]
	v_fma_f64 v[107:108], -v[101:102], v[103:104], 1.0
	v_fma_f64 v[103:104], v[103:104], v[107:108], v[103:104]
	v_mul_f64 v[107:108], v[105:106], v[103:104]
	v_fma_f64 v[101:102], -v[101:102], v[107:108], v[105:106]
	v_div_fmas_f64 v[101:102], v[101:102], v[103:104], v[107:108]
	v_div_fixup_f64 v[101:102], v[101:102], v[99:100], v[97:98]
	v_fma_f64 v[97:98], v[97:98], v[101:102], v[99:100]
	v_div_scale_f64 v[99:100], s[6:7], v[97:98], v[97:98], 1.0
	v_div_scale_f64 v[107:108], vcc, 1.0, v[97:98], 1.0
	v_rcp_f64_e32 v[103:104], v[99:100]
	v_fma_f64 v[105:106], -v[99:100], v[103:104], 1.0
	v_fma_f64 v[103:104], v[103:104], v[105:106], v[103:104]
	v_fma_f64 v[105:106], -v[99:100], v[103:104], 1.0
	v_fma_f64 v[103:104], v[103:104], v[105:106], v[103:104]
	v_mul_f64 v[105:106], v[107:108], v[103:104]
	v_fma_f64 v[99:100], -v[99:100], v[105:106], v[107:108]
	v_div_fmas_f64 v[99:100], v[99:100], v[103:104], v[105:106]
	v_div_fixup_f64 v[103:104], v[99:100], v[97:98], 1.0
                                        ; implicit-def: $vgpr97_vgpr98
	v_mul_f64 v[101:102], v[101:102], v[103:104]
	v_xor_b32_e32 v104, 0x80000000, v104
.LBB71_185:
	s_andn2_saveexec_b64 s[2:3], s[2:3]
	s_cbranch_execz .LBB71_187
; %bb.186:
	v_div_scale_f64 v[101:102], s[6:7], v[97:98], v[97:98], v[99:100]
	v_rcp_f64_e32 v[103:104], v[101:102]
	v_fma_f64 v[105:106], -v[101:102], v[103:104], 1.0
	v_fma_f64 v[103:104], v[103:104], v[105:106], v[103:104]
	v_div_scale_f64 v[105:106], vcc, v[99:100], v[97:98], v[99:100]
	v_fma_f64 v[107:108], -v[101:102], v[103:104], 1.0
	v_fma_f64 v[103:104], v[103:104], v[107:108], v[103:104]
	v_mul_f64 v[107:108], v[105:106], v[103:104]
	v_fma_f64 v[101:102], -v[101:102], v[107:108], v[105:106]
	v_div_fmas_f64 v[101:102], v[101:102], v[103:104], v[107:108]
	v_div_fixup_f64 v[103:104], v[101:102], v[97:98], v[99:100]
	v_fma_f64 v[97:98], v[99:100], v[103:104], v[97:98]
	v_div_scale_f64 v[99:100], s[6:7], v[97:98], v[97:98], 1.0
	v_div_scale_f64 v[107:108], vcc, 1.0, v[97:98], 1.0
	v_rcp_f64_e32 v[101:102], v[99:100]
	v_fma_f64 v[105:106], -v[99:100], v[101:102], 1.0
	v_fma_f64 v[101:102], v[101:102], v[105:106], v[101:102]
	v_fma_f64 v[105:106], -v[99:100], v[101:102], 1.0
	v_fma_f64 v[101:102], v[101:102], v[105:106], v[101:102]
	v_mul_f64 v[105:106], v[107:108], v[101:102]
	v_fma_f64 v[99:100], -v[99:100], v[105:106], v[107:108]
	v_div_fmas_f64 v[99:100], v[99:100], v[101:102], v[105:106]
	v_div_fixup_f64 v[101:102], v[99:100], v[97:98], 1.0
	v_mul_f64 v[103:104], v[103:104], -v[101:102]
.LBB71_187:
	s_or_b64 exec, exec, s[2:3]
	ds_write2_b64 v127, v[101:102], v[103:104] offset1:1
.LBB71_188:
	s_or_b64 exec, exec, s[4:5]
	s_waitcnt lgkmcnt(0)
	s_barrier
	ds_read2_b64 v[73:76], v127 offset1:1
	v_cmp_lt_u32_e32 vcc, 20, v0
	s_waitcnt lgkmcnt(0)
	buffer_store_dword v73, off, s[20:23], 0 offset:768 ; 4-byte Folded Spill
	s_nop 0
	buffer_store_dword v74, off, s[20:23], 0 offset:772 ; 4-byte Folded Spill
	buffer_store_dword v75, off, s[20:23], 0 offset:776 ; 4-byte Folded Spill
	buffer_store_dword v76, off, s[20:23], 0 offset:780 ; 4-byte Folded Spill
	s_and_saveexec_b64 s[2:3], vcc
	s_cbranch_execz .LBB71_190
; %bb.189:
	buffer_load_dword v73, off, s[20:23], 0 offset:768 ; 4-byte Folded Reload
	buffer_load_dword v74, off, s[20:23], 0 offset:772 ; 4-byte Folded Reload
	;; [unrolled: 1-line block ×4, first 2 shown]
	ds_read2_b64 v[99:102], v125 offset0:42 offset1:43
	s_waitcnt vmcnt(2)
	v_mul_f64 v[97:98], v[73:74], v[59:60]
	s_waitcnt vmcnt(0)
	v_mul_f64 v[59:60], v[75:76], v[59:60]
	v_fma_f64 v[97:98], v[75:76], v[57:58], v[97:98]
	v_fma_f64 v[57:58], v[73:74], v[57:58], -v[59:60]
	s_waitcnt lgkmcnt(0)
	v_mul_f64 v[59:60], v[101:102], v[97:98]
	v_fma_f64 v[59:60], v[99:100], v[57:58], -v[59:60]
	v_mul_f64 v[99:100], v[99:100], v[97:98]
	v_add_f64 v[53:54], v[53:54], -v[59:60]
	v_fma_f64 v[99:100], v[101:102], v[57:58], v[99:100]
	v_add_f64 v[55:56], v[55:56], -v[99:100]
	ds_read2_b64 v[99:102], v125 offset0:44 offset1:45
	s_waitcnt lgkmcnt(0)
	v_mul_f64 v[59:60], v[101:102], v[97:98]
	v_fma_f64 v[59:60], v[99:100], v[57:58], -v[59:60]
	v_mul_f64 v[99:100], v[99:100], v[97:98]
	v_add_f64 v[49:50], v[49:50], -v[59:60]
	v_fma_f64 v[99:100], v[101:102], v[57:58], v[99:100]
	v_add_f64 v[51:52], v[51:52], -v[99:100]
	ds_read2_b64 v[99:102], v125 offset0:46 offset1:47
	;; [unrolled: 8-line block ×14, first 2 shown]
	s_waitcnt lgkmcnt(0)
	v_mul_f64 v[59:60], v[101:102], v[97:98]
	v_fma_f64 v[59:60], v[99:100], v[57:58], -v[59:60]
	v_mul_f64 v[99:100], v[99:100], v[97:98]
	v_add_f64 v[113:114], v[113:114], -v[59:60]
	v_fma_f64 v[99:100], v[101:102], v[57:58], v[99:100]
	v_mov_b32_e32 v59, v97
	v_mov_b32_e32 v60, v98
	v_add_f64 v[115:116], v[115:116], -v[99:100]
.LBB71_190:
	s_or_b64 exec, exec, s[2:3]
	v_cmp_eq_u32_e32 vcc, 21, v0
	s_waitcnt vmcnt(0)
	s_barrier
	s_and_saveexec_b64 s[4:5], vcc
	s_cbranch_execz .LBB71_197
; %bb.191:
	ds_write2_b64 v127, v[53:54], v[55:56] offset1:1
	ds_write2_b64 v125, v[49:50], v[51:52] offset0:44 offset1:45
	ds_write2_b64 v125, v[45:46], v[47:48] offset0:46 offset1:47
	;; [unrolled: 1-line block ×14, first 2 shown]
	ds_read2_b64 v[97:100], v127 offset1:1
	s_waitcnt lgkmcnt(0)
	v_cmp_neq_f64_e32 vcc, 0, v[97:98]
	v_cmp_neq_f64_e64 s[2:3], 0, v[99:100]
	s_or_b64 s[2:3], vcc, s[2:3]
	s_and_b64 exec, exec, s[2:3]
	s_cbranch_execz .LBB71_197
; %bb.192:
	v_cmp_ngt_f64_e64 s[2:3], |v[97:98]|, |v[99:100]|
                                        ; implicit-def: $vgpr101_vgpr102
	s_and_saveexec_b64 s[6:7], s[2:3]
	s_xor_b64 s[2:3], exec, s[6:7]
                                        ; implicit-def: $vgpr103_vgpr104
	s_cbranch_execz .LBB71_194
; %bb.193:
	v_div_scale_f64 v[101:102], s[6:7], v[99:100], v[99:100], v[97:98]
	v_rcp_f64_e32 v[103:104], v[101:102]
	v_fma_f64 v[105:106], -v[101:102], v[103:104], 1.0
	v_fma_f64 v[103:104], v[103:104], v[105:106], v[103:104]
	v_div_scale_f64 v[105:106], vcc, v[97:98], v[99:100], v[97:98]
	v_fma_f64 v[107:108], -v[101:102], v[103:104], 1.0
	v_fma_f64 v[103:104], v[103:104], v[107:108], v[103:104]
	v_mul_f64 v[107:108], v[105:106], v[103:104]
	v_fma_f64 v[101:102], -v[101:102], v[107:108], v[105:106]
	v_div_fmas_f64 v[101:102], v[101:102], v[103:104], v[107:108]
	v_div_fixup_f64 v[101:102], v[101:102], v[99:100], v[97:98]
	v_fma_f64 v[97:98], v[97:98], v[101:102], v[99:100]
	v_div_scale_f64 v[99:100], s[6:7], v[97:98], v[97:98], 1.0
	v_div_scale_f64 v[107:108], vcc, 1.0, v[97:98], 1.0
	v_rcp_f64_e32 v[103:104], v[99:100]
	v_fma_f64 v[105:106], -v[99:100], v[103:104], 1.0
	v_fma_f64 v[103:104], v[103:104], v[105:106], v[103:104]
	v_fma_f64 v[105:106], -v[99:100], v[103:104], 1.0
	v_fma_f64 v[103:104], v[103:104], v[105:106], v[103:104]
	v_mul_f64 v[105:106], v[107:108], v[103:104]
	v_fma_f64 v[99:100], -v[99:100], v[105:106], v[107:108]
	v_div_fmas_f64 v[99:100], v[99:100], v[103:104], v[105:106]
	v_div_fixup_f64 v[103:104], v[99:100], v[97:98], 1.0
                                        ; implicit-def: $vgpr97_vgpr98
	v_mul_f64 v[101:102], v[101:102], v[103:104]
	v_xor_b32_e32 v104, 0x80000000, v104
.LBB71_194:
	s_andn2_saveexec_b64 s[2:3], s[2:3]
	s_cbranch_execz .LBB71_196
; %bb.195:
	v_div_scale_f64 v[101:102], s[6:7], v[97:98], v[97:98], v[99:100]
	v_rcp_f64_e32 v[103:104], v[101:102]
	v_fma_f64 v[105:106], -v[101:102], v[103:104], 1.0
	v_fma_f64 v[103:104], v[103:104], v[105:106], v[103:104]
	v_div_scale_f64 v[105:106], vcc, v[99:100], v[97:98], v[99:100]
	v_fma_f64 v[107:108], -v[101:102], v[103:104], 1.0
	v_fma_f64 v[103:104], v[103:104], v[107:108], v[103:104]
	v_mul_f64 v[107:108], v[105:106], v[103:104]
	v_fma_f64 v[101:102], -v[101:102], v[107:108], v[105:106]
	v_div_fmas_f64 v[101:102], v[101:102], v[103:104], v[107:108]
	v_div_fixup_f64 v[103:104], v[101:102], v[97:98], v[99:100]
	v_fma_f64 v[97:98], v[99:100], v[103:104], v[97:98]
	v_div_scale_f64 v[99:100], s[6:7], v[97:98], v[97:98], 1.0
	v_div_scale_f64 v[107:108], vcc, 1.0, v[97:98], 1.0
	v_rcp_f64_e32 v[101:102], v[99:100]
	v_fma_f64 v[105:106], -v[99:100], v[101:102], 1.0
	v_fma_f64 v[101:102], v[101:102], v[105:106], v[101:102]
	v_fma_f64 v[105:106], -v[99:100], v[101:102], 1.0
	v_fma_f64 v[101:102], v[101:102], v[105:106], v[101:102]
	v_mul_f64 v[105:106], v[107:108], v[101:102]
	v_fma_f64 v[99:100], -v[99:100], v[105:106], v[107:108]
	v_div_fmas_f64 v[99:100], v[99:100], v[101:102], v[105:106]
	v_div_fixup_f64 v[101:102], v[99:100], v[97:98], 1.0
	v_mul_f64 v[103:104], v[103:104], -v[101:102]
.LBB71_196:
	s_or_b64 exec, exec, s[2:3]
	ds_write2_b64 v127, v[101:102], v[103:104] offset1:1
.LBB71_197:
	s_or_b64 exec, exec, s[4:5]
	s_waitcnt lgkmcnt(0)
	s_barrier
	ds_read2_b64 v[73:76], v127 offset1:1
	v_cmp_lt_u32_e32 vcc, 21, v0
	s_waitcnt lgkmcnt(0)
	buffer_store_dword v73, off, s[20:23], 0 offset:784 ; 4-byte Folded Spill
	s_nop 0
	buffer_store_dword v74, off, s[20:23], 0 offset:788 ; 4-byte Folded Spill
	buffer_store_dword v75, off, s[20:23], 0 offset:792 ; 4-byte Folded Spill
	;; [unrolled: 1-line block ×3, first 2 shown]
	s_and_saveexec_b64 s[2:3], vcc
	s_cbranch_execz .LBB71_199
; %bb.198:
	buffer_load_dword v73, off, s[20:23], 0 offset:784 ; 4-byte Folded Reload
	buffer_load_dword v74, off, s[20:23], 0 offset:788 ; 4-byte Folded Reload
	;; [unrolled: 1-line block ×4, first 2 shown]
	ds_read2_b64 v[99:102], v125 offset0:44 offset1:45
	s_waitcnt vmcnt(2)
	v_mul_f64 v[97:98], v[73:74], v[55:56]
	s_waitcnt vmcnt(0)
	v_mul_f64 v[55:56], v[75:76], v[55:56]
	v_fma_f64 v[97:98], v[75:76], v[53:54], v[97:98]
	v_fma_f64 v[53:54], v[73:74], v[53:54], -v[55:56]
	s_waitcnt lgkmcnt(0)
	v_mul_f64 v[55:56], v[101:102], v[97:98]
	v_fma_f64 v[55:56], v[99:100], v[53:54], -v[55:56]
	v_mul_f64 v[99:100], v[99:100], v[97:98]
	v_add_f64 v[49:50], v[49:50], -v[55:56]
	v_fma_f64 v[99:100], v[101:102], v[53:54], v[99:100]
	v_add_f64 v[51:52], v[51:52], -v[99:100]
	ds_read2_b64 v[99:102], v125 offset0:46 offset1:47
	s_waitcnt lgkmcnt(0)
	v_mul_f64 v[55:56], v[101:102], v[97:98]
	v_fma_f64 v[55:56], v[99:100], v[53:54], -v[55:56]
	v_mul_f64 v[99:100], v[99:100], v[97:98]
	v_add_f64 v[45:46], v[45:46], -v[55:56]
	v_fma_f64 v[99:100], v[101:102], v[53:54], v[99:100]
	v_add_f64 v[47:48], v[47:48], -v[99:100]
	ds_read2_b64 v[99:102], v125 offset0:48 offset1:49
	;; [unrolled: 8-line block ×13, first 2 shown]
	s_waitcnt lgkmcnt(0)
	v_mul_f64 v[55:56], v[101:102], v[97:98]
	v_fma_f64 v[55:56], v[99:100], v[53:54], -v[55:56]
	v_mul_f64 v[99:100], v[99:100], v[97:98]
	v_add_f64 v[113:114], v[113:114], -v[55:56]
	v_fma_f64 v[99:100], v[101:102], v[53:54], v[99:100]
	v_mov_b32_e32 v55, v97
	v_mov_b32_e32 v56, v98
	v_add_f64 v[115:116], v[115:116], -v[99:100]
.LBB71_199:
	s_or_b64 exec, exec, s[2:3]
	v_cmp_eq_u32_e32 vcc, 22, v0
	s_waitcnt vmcnt(0)
	s_barrier
	s_and_saveexec_b64 s[4:5], vcc
	s_cbranch_execz .LBB71_206
; %bb.200:
	ds_write2_b64 v127, v[49:50], v[51:52] offset1:1
	ds_write2_b64 v125, v[45:46], v[47:48] offset0:46 offset1:47
	ds_write2_b64 v125, v[41:42], v[43:44] offset0:48 offset1:49
	;; [unrolled: 1-line block ×13, first 2 shown]
	ds_read2_b64 v[97:100], v127 offset1:1
	s_waitcnt lgkmcnt(0)
	v_cmp_neq_f64_e32 vcc, 0, v[97:98]
	v_cmp_neq_f64_e64 s[2:3], 0, v[99:100]
	s_or_b64 s[2:3], vcc, s[2:3]
	s_and_b64 exec, exec, s[2:3]
	s_cbranch_execz .LBB71_206
; %bb.201:
	v_cmp_ngt_f64_e64 s[2:3], |v[97:98]|, |v[99:100]|
                                        ; implicit-def: $vgpr101_vgpr102
	s_and_saveexec_b64 s[6:7], s[2:3]
	s_xor_b64 s[2:3], exec, s[6:7]
                                        ; implicit-def: $vgpr103_vgpr104
	s_cbranch_execz .LBB71_203
; %bb.202:
	v_div_scale_f64 v[101:102], s[6:7], v[99:100], v[99:100], v[97:98]
	v_rcp_f64_e32 v[103:104], v[101:102]
	v_fma_f64 v[105:106], -v[101:102], v[103:104], 1.0
	v_fma_f64 v[103:104], v[103:104], v[105:106], v[103:104]
	v_div_scale_f64 v[105:106], vcc, v[97:98], v[99:100], v[97:98]
	v_fma_f64 v[107:108], -v[101:102], v[103:104], 1.0
	v_fma_f64 v[103:104], v[103:104], v[107:108], v[103:104]
	v_mul_f64 v[107:108], v[105:106], v[103:104]
	v_fma_f64 v[101:102], -v[101:102], v[107:108], v[105:106]
	v_div_fmas_f64 v[101:102], v[101:102], v[103:104], v[107:108]
	v_div_fixup_f64 v[101:102], v[101:102], v[99:100], v[97:98]
	v_fma_f64 v[97:98], v[97:98], v[101:102], v[99:100]
	v_div_scale_f64 v[99:100], s[6:7], v[97:98], v[97:98], 1.0
	v_div_scale_f64 v[107:108], vcc, 1.0, v[97:98], 1.0
	v_rcp_f64_e32 v[103:104], v[99:100]
	v_fma_f64 v[105:106], -v[99:100], v[103:104], 1.0
	v_fma_f64 v[103:104], v[103:104], v[105:106], v[103:104]
	v_fma_f64 v[105:106], -v[99:100], v[103:104], 1.0
	v_fma_f64 v[103:104], v[103:104], v[105:106], v[103:104]
	v_mul_f64 v[105:106], v[107:108], v[103:104]
	v_fma_f64 v[99:100], -v[99:100], v[105:106], v[107:108]
	v_div_fmas_f64 v[99:100], v[99:100], v[103:104], v[105:106]
	v_div_fixup_f64 v[103:104], v[99:100], v[97:98], 1.0
                                        ; implicit-def: $vgpr97_vgpr98
	v_mul_f64 v[101:102], v[101:102], v[103:104]
	v_xor_b32_e32 v104, 0x80000000, v104
.LBB71_203:
	s_andn2_saveexec_b64 s[2:3], s[2:3]
	s_cbranch_execz .LBB71_205
; %bb.204:
	v_div_scale_f64 v[101:102], s[6:7], v[97:98], v[97:98], v[99:100]
	v_rcp_f64_e32 v[103:104], v[101:102]
	v_fma_f64 v[105:106], -v[101:102], v[103:104], 1.0
	v_fma_f64 v[103:104], v[103:104], v[105:106], v[103:104]
	v_div_scale_f64 v[105:106], vcc, v[99:100], v[97:98], v[99:100]
	v_fma_f64 v[107:108], -v[101:102], v[103:104], 1.0
	v_fma_f64 v[103:104], v[103:104], v[107:108], v[103:104]
	v_mul_f64 v[107:108], v[105:106], v[103:104]
	v_fma_f64 v[101:102], -v[101:102], v[107:108], v[105:106]
	v_div_fmas_f64 v[101:102], v[101:102], v[103:104], v[107:108]
	v_div_fixup_f64 v[103:104], v[101:102], v[97:98], v[99:100]
	v_fma_f64 v[97:98], v[99:100], v[103:104], v[97:98]
	v_div_scale_f64 v[99:100], s[6:7], v[97:98], v[97:98], 1.0
	v_div_scale_f64 v[107:108], vcc, 1.0, v[97:98], 1.0
	v_rcp_f64_e32 v[101:102], v[99:100]
	v_fma_f64 v[105:106], -v[99:100], v[101:102], 1.0
	v_fma_f64 v[101:102], v[101:102], v[105:106], v[101:102]
	v_fma_f64 v[105:106], -v[99:100], v[101:102], 1.0
	v_fma_f64 v[101:102], v[101:102], v[105:106], v[101:102]
	v_mul_f64 v[105:106], v[107:108], v[101:102]
	v_fma_f64 v[99:100], -v[99:100], v[105:106], v[107:108]
	v_div_fmas_f64 v[99:100], v[99:100], v[101:102], v[105:106]
	v_div_fixup_f64 v[101:102], v[99:100], v[97:98], 1.0
	v_mul_f64 v[103:104], v[103:104], -v[101:102]
.LBB71_205:
	s_or_b64 exec, exec, s[2:3]
	ds_write2_b64 v127, v[101:102], v[103:104] offset1:1
.LBB71_206:
	s_or_b64 exec, exec, s[4:5]
	s_waitcnt lgkmcnt(0)
	s_barrier
	ds_read2_b64 v[85:88], v127 offset1:1
	v_cmp_lt_u32_e32 vcc, 22, v0
	s_and_saveexec_b64 s[2:3], vcc
	s_cbranch_execz .LBB71_208
; %bb.207:
	s_waitcnt lgkmcnt(0)
	v_mov_b32_e32 v73, v85
	v_mov_b32_e32 v74, v86
	v_mul_f64 v[97:98], v[73:74], v[51:52]
	v_mov_b32_e32 v75, v87
	v_mov_b32_e32 v76, v88
	v_mul_f64 v[51:52], v[75:76], v[51:52]
	ds_read2_b64 v[99:102], v125 offset0:46 offset1:47
	v_fma_f64 v[97:98], v[75:76], v[49:50], v[97:98]
	v_fma_f64 v[49:50], v[73:74], v[49:50], -v[51:52]
	s_waitcnt lgkmcnt(0)
	v_mul_f64 v[51:52], v[101:102], v[97:98]
	v_fma_f64 v[51:52], v[99:100], v[49:50], -v[51:52]
	v_mul_f64 v[99:100], v[99:100], v[97:98]
	v_add_f64 v[45:46], v[45:46], -v[51:52]
	v_fma_f64 v[99:100], v[101:102], v[49:50], v[99:100]
	v_add_f64 v[47:48], v[47:48], -v[99:100]
	ds_read2_b64 v[99:102], v125 offset0:48 offset1:49
	s_waitcnt lgkmcnt(0)
	v_mul_f64 v[51:52], v[101:102], v[97:98]
	v_fma_f64 v[51:52], v[99:100], v[49:50], -v[51:52]
	v_mul_f64 v[99:100], v[99:100], v[97:98]
	v_add_f64 v[41:42], v[41:42], -v[51:52]
	v_fma_f64 v[99:100], v[101:102], v[49:50], v[99:100]
	v_add_f64 v[43:44], v[43:44], -v[99:100]
	ds_read2_b64 v[99:102], v125 offset0:50 offset1:51
	;; [unrolled: 8-line block ×12, first 2 shown]
	s_waitcnt lgkmcnt(0)
	v_mul_f64 v[51:52], v[101:102], v[97:98]
	v_fma_f64 v[51:52], v[99:100], v[49:50], -v[51:52]
	v_mul_f64 v[99:100], v[99:100], v[97:98]
	v_add_f64 v[113:114], v[113:114], -v[51:52]
	v_fma_f64 v[99:100], v[101:102], v[49:50], v[99:100]
	v_mov_b32_e32 v51, v97
	v_mov_b32_e32 v52, v98
	v_add_f64 v[115:116], v[115:116], -v[99:100]
.LBB71_208:
	s_or_b64 exec, exec, s[2:3]
	v_cmp_eq_u32_e32 vcc, 23, v0
	s_waitcnt lgkmcnt(0)
	s_barrier
	s_and_saveexec_b64 s[4:5], vcc
	s_cbranch_execz .LBB71_215
; %bb.209:
	ds_write2_b64 v127, v[45:46], v[47:48] offset1:1
	ds_write2_b64 v125, v[41:42], v[43:44] offset0:48 offset1:49
	ds_write2_b64 v125, v[37:38], v[39:40] offset0:50 offset1:51
	;; [unrolled: 1-line block ×12, first 2 shown]
	ds_read2_b64 v[97:100], v127 offset1:1
	s_waitcnt lgkmcnt(0)
	v_cmp_neq_f64_e32 vcc, 0, v[97:98]
	v_cmp_neq_f64_e64 s[2:3], 0, v[99:100]
	s_or_b64 s[2:3], vcc, s[2:3]
	s_and_b64 exec, exec, s[2:3]
	s_cbranch_execz .LBB71_215
; %bb.210:
	v_cmp_ngt_f64_e64 s[2:3], |v[97:98]|, |v[99:100]|
                                        ; implicit-def: $vgpr101_vgpr102
	s_and_saveexec_b64 s[6:7], s[2:3]
	s_xor_b64 s[2:3], exec, s[6:7]
                                        ; implicit-def: $vgpr103_vgpr104
	s_cbranch_execz .LBB71_212
; %bb.211:
	v_div_scale_f64 v[101:102], s[6:7], v[99:100], v[99:100], v[97:98]
	v_rcp_f64_e32 v[103:104], v[101:102]
	v_fma_f64 v[105:106], -v[101:102], v[103:104], 1.0
	v_fma_f64 v[103:104], v[103:104], v[105:106], v[103:104]
	v_div_scale_f64 v[105:106], vcc, v[97:98], v[99:100], v[97:98]
	v_fma_f64 v[107:108], -v[101:102], v[103:104], 1.0
	v_fma_f64 v[103:104], v[103:104], v[107:108], v[103:104]
	v_mul_f64 v[107:108], v[105:106], v[103:104]
	v_fma_f64 v[101:102], -v[101:102], v[107:108], v[105:106]
	v_div_fmas_f64 v[101:102], v[101:102], v[103:104], v[107:108]
	v_div_fixup_f64 v[101:102], v[101:102], v[99:100], v[97:98]
	v_fma_f64 v[97:98], v[97:98], v[101:102], v[99:100]
	v_div_scale_f64 v[99:100], s[6:7], v[97:98], v[97:98], 1.0
	v_div_scale_f64 v[107:108], vcc, 1.0, v[97:98], 1.0
	v_rcp_f64_e32 v[103:104], v[99:100]
	v_fma_f64 v[105:106], -v[99:100], v[103:104], 1.0
	v_fma_f64 v[103:104], v[103:104], v[105:106], v[103:104]
	v_fma_f64 v[105:106], -v[99:100], v[103:104], 1.0
	v_fma_f64 v[103:104], v[103:104], v[105:106], v[103:104]
	v_mul_f64 v[105:106], v[107:108], v[103:104]
	v_fma_f64 v[99:100], -v[99:100], v[105:106], v[107:108]
	v_div_fmas_f64 v[99:100], v[99:100], v[103:104], v[105:106]
	v_div_fixup_f64 v[103:104], v[99:100], v[97:98], 1.0
                                        ; implicit-def: $vgpr97_vgpr98
	v_mul_f64 v[101:102], v[101:102], v[103:104]
	v_xor_b32_e32 v104, 0x80000000, v104
.LBB71_212:
	s_andn2_saveexec_b64 s[2:3], s[2:3]
	s_cbranch_execz .LBB71_214
; %bb.213:
	v_div_scale_f64 v[101:102], s[6:7], v[97:98], v[97:98], v[99:100]
	v_rcp_f64_e32 v[103:104], v[101:102]
	v_fma_f64 v[105:106], -v[101:102], v[103:104], 1.0
	v_fma_f64 v[103:104], v[103:104], v[105:106], v[103:104]
	v_div_scale_f64 v[105:106], vcc, v[99:100], v[97:98], v[99:100]
	v_fma_f64 v[107:108], -v[101:102], v[103:104], 1.0
	v_fma_f64 v[103:104], v[103:104], v[107:108], v[103:104]
	v_mul_f64 v[107:108], v[105:106], v[103:104]
	v_fma_f64 v[101:102], -v[101:102], v[107:108], v[105:106]
	v_div_fmas_f64 v[101:102], v[101:102], v[103:104], v[107:108]
	v_div_fixup_f64 v[103:104], v[101:102], v[97:98], v[99:100]
	v_fma_f64 v[97:98], v[99:100], v[103:104], v[97:98]
	v_div_scale_f64 v[99:100], s[6:7], v[97:98], v[97:98], 1.0
	v_div_scale_f64 v[107:108], vcc, 1.0, v[97:98], 1.0
	v_rcp_f64_e32 v[101:102], v[99:100]
	v_fma_f64 v[105:106], -v[99:100], v[101:102], 1.0
	v_fma_f64 v[101:102], v[101:102], v[105:106], v[101:102]
	v_fma_f64 v[105:106], -v[99:100], v[101:102], 1.0
	v_fma_f64 v[101:102], v[101:102], v[105:106], v[101:102]
	v_mul_f64 v[105:106], v[107:108], v[101:102]
	v_fma_f64 v[99:100], -v[99:100], v[105:106], v[107:108]
	v_div_fmas_f64 v[99:100], v[99:100], v[101:102], v[105:106]
	v_div_fixup_f64 v[101:102], v[99:100], v[97:98], 1.0
	v_mul_f64 v[103:104], v[103:104], -v[101:102]
.LBB71_214:
	s_or_b64 exec, exec, s[2:3]
	ds_write2_b64 v127, v[101:102], v[103:104] offset1:1
.LBB71_215:
	s_or_b64 exec, exec, s[4:5]
	s_waitcnt lgkmcnt(0)
	s_barrier
	ds_read2_b64 v[73:76], v127 offset1:1
	v_cmp_lt_u32_e32 vcc, 23, v0
	s_waitcnt lgkmcnt(0)
	buffer_store_dword v73, off, s[20:23], 0 offset:816 ; 4-byte Folded Spill
	s_nop 0
	buffer_store_dword v74, off, s[20:23], 0 offset:820 ; 4-byte Folded Spill
	buffer_store_dword v75, off, s[20:23], 0 offset:824 ; 4-byte Folded Spill
	buffer_store_dword v76, off, s[20:23], 0 offset:828 ; 4-byte Folded Spill
	s_and_saveexec_b64 s[2:3], vcc
	s_cbranch_execz .LBB71_217
; %bb.216:
	buffer_load_dword v73, off, s[20:23], 0 offset:816 ; 4-byte Folded Reload
	buffer_load_dword v74, off, s[20:23], 0 offset:820 ; 4-byte Folded Reload
	;; [unrolled: 1-line block ×4, first 2 shown]
	ds_read2_b64 v[99:102], v125 offset0:48 offset1:49
	s_waitcnt vmcnt(2)
	v_mul_f64 v[97:98], v[73:74], v[47:48]
	s_waitcnt vmcnt(0)
	v_mul_f64 v[47:48], v[75:76], v[47:48]
	v_fma_f64 v[97:98], v[75:76], v[45:46], v[97:98]
	v_fma_f64 v[45:46], v[73:74], v[45:46], -v[47:48]
	s_waitcnt lgkmcnt(0)
	v_mul_f64 v[47:48], v[101:102], v[97:98]
	v_fma_f64 v[47:48], v[99:100], v[45:46], -v[47:48]
	v_mul_f64 v[99:100], v[99:100], v[97:98]
	v_add_f64 v[41:42], v[41:42], -v[47:48]
	v_fma_f64 v[99:100], v[101:102], v[45:46], v[99:100]
	v_add_f64 v[43:44], v[43:44], -v[99:100]
	ds_read2_b64 v[99:102], v125 offset0:50 offset1:51
	s_waitcnt lgkmcnt(0)
	v_mul_f64 v[47:48], v[101:102], v[97:98]
	v_fma_f64 v[47:48], v[99:100], v[45:46], -v[47:48]
	v_mul_f64 v[99:100], v[99:100], v[97:98]
	v_add_f64 v[37:38], v[37:38], -v[47:48]
	v_fma_f64 v[99:100], v[101:102], v[45:46], v[99:100]
	v_add_f64 v[39:40], v[39:40], -v[99:100]
	ds_read2_b64 v[99:102], v125 offset0:52 offset1:53
	s_waitcnt lgkmcnt(0)
	v_mul_f64 v[47:48], v[101:102], v[97:98]
	v_fma_f64 v[47:48], v[99:100], v[45:46], -v[47:48]
	v_mul_f64 v[99:100], v[99:100], v[97:98]
	v_add_f64 v[33:34], v[33:34], -v[47:48]
	v_fma_f64 v[99:100], v[101:102], v[45:46], v[99:100]
	v_add_f64 v[35:36], v[35:36], -v[99:100]
	ds_read2_b64 v[99:102], v125 offset0:54 offset1:55
	s_waitcnt lgkmcnt(0)
	v_mul_f64 v[47:48], v[101:102], v[97:98]
	v_fma_f64 v[47:48], v[99:100], v[45:46], -v[47:48]
	v_mul_f64 v[99:100], v[99:100], v[97:98]
	v_add_f64 v[29:30], v[29:30], -v[47:48]
	v_fma_f64 v[99:100], v[101:102], v[45:46], v[99:100]
	v_add_f64 v[31:32], v[31:32], -v[99:100]
	ds_read2_b64 v[99:102], v125 offset0:56 offset1:57
	s_waitcnt lgkmcnt(0)
	v_mul_f64 v[47:48], v[101:102], v[97:98]
	v_fma_f64 v[47:48], v[99:100], v[45:46], -v[47:48]
	v_mul_f64 v[99:100], v[99:100], v[97:98]
	v_add_f64 v[25:26], v[25:26], -v[47:48]
	v_fma_f64 v[99:100], v[101:102], v[45:46], v[99:100]
	v_add_f64 v[27:28], v[27:28], -v[99:100]
	ds_read2_b64 v[99:102], v125 offset0:58 offset1:59
	s_waitcnt lgkmcnt(0)
	v_mul_f64 v[47:48], v[101:102], v[97:98]
	v_fma_f64 v[47:48], v[99:100], v[45:46], -v[47:48]
	v_mul_f64 v[99:100], v[99:100], v[97:98]
	v_add_f64 v[21:22], v[21:22], -v[47:48]
	v_fma_f64 v[99:100], v[101:102], v[45:46], v[99:100]
	v_add_f64 v[23:24], v[23:24], -v[99:100]
	ds_read2_b64 v[99:102], v125 offset0:60 offset1:61
	s_waitcnt lgkmcnt(0)
	v_mul_f64 v[47:48], v[101:102], v[97:98]
	v_fma_f64 v[47:48], v[99:100], v[45:46], -v[47:48]
	v_mul_f64 v[99:100], v[99:100], v[97:98]
	v_add_f64 v[17:18], v[17:18], -v[47:48]
	v_fma_f64 v[99:100], v[101:102], v[45:46], v[99:100]
	v_add_f64 v[19:20], v[19:20], -v[99:100]
	ds_read2_b64 v[99:102], v125 offset0:62 offset1:63
	s_waitcnt lgkmcnt(0)
	v_mul_f64 v[47:48], v[101:102], v[97:98]
	v_fma_f64 v[47:48], v[99:100], v[45:46], -v[47:48]
	v_mul_f64 v[99:100], v[99:100], v[97:98]
	v_add_f64 v[13:14], v[13:14], -v[47:48]
	v_fma_f64 v[99:100], v[101:102], v[45:46], v[99:100]
	v_add_f64 v[15:16], v[15:16], -v[99:100]
	ds_read2_b64 v[99:102], v125 offset0:64 offset1:65
	s_waitcnt lgkmcnt(0)
	v_mul_f64 v[47:48], v[101:102], v[97:98]
	v_fma_f64 v[47:48], v[99:100], v[45:46], -v[47:48]
	v_mul_f64 v[99:100], v[99:100], v[97:98]
	v_add_f64 v[9:10], v[9:10], -v[47:48]
	v_fma_f64 v[99:100], v[101:102], v[45:46], v[99:100]
	v_add_f64 v[11:12], v[11:12], -v[99:100]
	ds_read2_b64 v[99:102], v125 offset0:66 offset1:67
	s_waitcnt lgkmcnt(0)
	v_mul_f64 v[47:48], v[101:102], v[97:98]
	v_fma_f64 v[47:48], v[99:100], v[45:46], -v[47:48]
	v_mul_f64 v[99:100], v[99:100], v[97:98]
	v_add_f64 v[5:6], v[5:6], -v[47:48]
	v_fma_f64 v[99:100], v[101:102], v[45:46], v[99:100]
	v_add_f64 v[7:8], v[7:8], -v[99:100]
	ds_read2_b64 v[99:102], v125 offset0:68 offset1:69
	s_waitcnt lgkmcnt(0)
	v_mul_f64 v[47:48], v[101:102], v[97:98]
	v_fma_f64 v[47:48], v[99:100], v[45:46], -v[47:48]
	v_mul_f64 v[99:100], v[99:100], v[97:98]
	v_add_f64 v[1:2], v[1:2], -v[47:48]
	v_fma_f64 v[99:100], v[101:102], v[45:46], v[99:100]
	v_add_f64 v[3:4], v[3:4], -v[99:100]
	ds_read2_b64 v[99:102], v125 offset0:70 offset1:71
	s_waitcnt lgkmcnt(0)
	v_mul_f64 v[47:48], v[101:102], v[97:98]
	v_fma_f64 v[47:48], v[99:100], v[45:46], -v[47:48]
	v_mul_f64 v[99:100], v[99:100], v[97:98]
	v_add_f64 v[113:114], v[113:114], -v[47:48]
	v_fma_f64 v[99:100], v[101:102], v[45:46], v[99:100]
	v_mov_b32_e32 v47, v97
	v_mov_b32_e32 v48, v98
	v_add_f64 v[115:116], v[115:116], -v[99:100]
.LBB71_217:
	s_or_b64 exec, exec, s[2:3]
	v_cmp_eq_u32_e32 vcc, 24, v0
	s_waitcnt vmcnt(0)
	s_barrier
	s_and_saveexec_b64 s[4:5], vcc
	s_cbranch_execz .LBB71_224
; %bb.218:
	ds_write2_b64 v127, v[41:42], v[43:44] offset1:1
	ds_write2_b64 v125, v[37:38], v[39:40] offset0:50 offset1:51
	ds_write2_b64 v125, v[33:34], v[35:36] offset0:52 offset1:53
	;; [unrolled: 1-line block ×11, first 2 shown]
	ds_read2_b64 v[97:100], v127 offset1:1
	s_waitcnt lgkmcnt(0)
	v_cmp_neq_f64_e32 vcc, 0, v[97:98]
	v_cmp_neq_f64_e64 s[2:3], 0, v[99:100]
	s_or_b64 s[2:3], vcc, s[2:3]
	s_and_b64 exec, exec, s[2:3]
	s_cbranch_execz .LBB71_224
; %bb.219:
	v_cmp_ngt_f64_e64 s[2:3], |v[97:98]|, |v[99:100]|
                                        ; implicit-def: $vgpr101_vgpr102
	s_and_saveexec_b64 s[6:7], s[2:3]
	s_xor_b64 s[2:3], exec, s[6:7]
                                        ; implicit-def: $vgpr103_vgpr104
	s_cbranch_execz .LBB71_221
; %bb.220:
	v_div_scale_f64 v[101:102], s[6:7], v[99:100], v[99:100], v[97:98]
	v_rcp_f64_e32 v[103:104], v[101:102]
	v_fma_f64 v[105:106], -v[101:102], v[103:104], 1.0
	v_fma_f64 v[103:104], v[103:104], v[105:106], v[103:104]
	v_div_scale_f64 v[105:106], vcc, v[97:98], v[99:100], v[97:98]
	v_fma_f64 v[107:108], -v[101:102], v[103:104], 1.0
	v_fma_f64 v[103:104], v[103:104], v[107:108], v[103:104]
	v_mul_f64 v[107:108], v[105:106], v[103:104]
	v_fma_f64 v[101:102], -v[101:102], v[107:108], v[105:106]
	v_div_fmas_f64 v[101:102], v[101:102], v[103:104], v[107:108]
	v_div_fixup_f64 v[101:102], v[101:102], v[99:100], v[97:98]
	v_fma_f64 v[97:98], v[97:98], v[101:102], v[99:100]
	v_div_scale_f64 v[99:100], s[6:7], v[97:98], v[97:98], 1.0
	v_div_scale_f64 v[107:108], vcc, 1.0, v[97:98], 1.0
	v_rcp_f64_e32 v[103:104], v[99:100]
	v_fma_f64 v[105:106], -v[99:100], v[103:104], 1.0
	v_fma_f64 v[103:104], v[103:104], v[105:106], v[103:104]
	v_fma_f64 v[105:106], -v[99:100], v[103:104], 1.0
	v_fma_f64 v[103:104], v[103:104], v[105:106], v[103:104]
	v_mul_f64 v[105:106], v[107:108], v[103:104]
	v_fma_f64 v[99:100], -v[99:100], v[105:106], v[107:108]
	v_div_fmas_f64 v[99:100], v[99:100], v[103:104], v[105:106]
	v_div_fixup_f64 v[103:104], v[99:100], v[97:98], 1.0
                                        ; implicit-def: $vgpr97_vgpr98
	v_mul_f64 v[101:102], v[101:102], v[103:104]
	v_xor_b32_e32 v104, 0x80000000, v104
.LBB71_221:
	s_andn2_saveexec_b64 s[2:3], s[2:3]
	s_cbranch_execz .LBB71_223
; %bb.222:
	v_div_scale_f64 v[101:102], s[6:7], v[97:98], v[97:98], v[99:100]
	v_rcp_f64_e32 v[103:104], v[101:102]
	v_fma_f64 v[105:106], -v[101:102], v[103:104], 1.0
	v_fma_f64 v[103:104], v[103:104], v[105:106], v[103:104]
	v_div_scale_f64 v[105:106], vcc, v[99:100], v[97:98], v[99:100]
	v_fma_f64 v[107:108], -v[101:102], v[103:104], 1.0
	v_fma_f64 v[103:104], v[103:104], v[107:108], v[103:104]
	v_mul_f64 v[107:108], v[105:106], v[103:104]
	v_fma_f64 v[101:102], -v[101:102], v[107:108], v[105:106]
	v_div_fmas_f64 v[101:102], v[101:102], v[103:104], v[107:108]
	v_div_fixup_f64 v[103:104], v[101:102], v[97:98], v[99:100]
	v_fma_f64 v[97:98], v[99:100], v[103:104], v[97:98]
	v_div_scale_f64 v[99:100], s[6:7], v[97:98], v[97:98], 1.0
	v_div_scale_f64 v[107:108], vcc, 1.0, v[97:98], 1.0
	v_rcp_f64_e32 v[101:102], v[99:100]
	v_fma_f64 v[105:106], -v[99:100], v[101:102], 1.0
	v_fma_f64 v[101:102], v[101:102], v[105:106], v[101:102]
	v_fma_f64 v[105:106], -v[99:100], v[101:102], 1.0
	v_fma_f64 v[101:102], v[101:102], v[105:106], v[101:102]
	v_mul_f64 v[105:106], v[107:108], v[101:102]
	v_fma_f64 v[99:100], -v[99:100], v[105:106], v[107:108]
	v_div_fmas_f64 v[99:100], v[99:100], v[101:102], v[105:106]
	v_div_fixup_f64 v[101:102], v[99:100], v[97:98], 1.0
	v_mul_f64 v[103:104], v[103:104], -v[101:102]
.LBB71_223:
	s_or_b64 exec, exec, s[2:3]
	ds_write2_b64 v127, v[101:102], v[103:104] offset1:1
.LBB71_224:
	s_or_b64 exec, exec, s[4:5]
	s_waitcnt lgkmcnt(0)
	s_barrier
	ds_read2_b64 v[73:76], v127 offset1:1
	v_cmp_lt_u32_e32 vcc, 24, v0
	s_waitcnt lgkmcnt(0)
	buffer_store_dword v73, off, s[20:23], 0 offset:832 ; 4-byte Folded Spill
	s_nop 0
	buffer_store_dword v74, off, s[20:23], 0 offset:836 ; 4-byte Folded Spill
	buffer_store_dword v75, off, s[20:23], 0 offset:840 ; 4-byte Folded Spill
	;; [unrolled: 1-line block ×3, first 2 shown]
	s_and_saveexec_b64 s[2:3], vcc
	s_cbranch_execz .LBB71_226
; %bb.225:
	buffer_load_dword v73, off, s[20:23], 0 offset:832 ; 4-byte Folded Reload
	buffer_load_dword v74, off, s[20:23], 0 offset:836 ; 4-byte Folded Reload
	;; [unrolled: 1-line block ×4, first 2 shown]
	ds_read2_b64 v[99:102], v125 offset0:50 offset1:51
	s_waitcnt vmcnt(2)
	v_mul_f64 v[97:98], v[73:74], v[43:44]
	s_waitcnt vmcnt(0)
	v_mul_f64 v[43:44], v[75:76], v[43:44]
	v_fma_f64 v[97:98], v[75:76], v[41:42], v[97:98]
	v_fma_f64 v[41:42], v[73:74], v[41:42], -v[43:44]
	s_waitcnt lgkmcnt(0)
	v_mul_f64 v[43:44], v[101:102], v[97:98]
	v_fma_f64 v[43:44], v[99:100], v[41:42], -v[43:44]
	v_mul_f64 v[99:100], v[99:100], v[97:98]
	v_add_f64 v[37:38], v[37:38], -v[43:44]
	v_fma_f64 v[99:100], v[101:102], v[41:42], v[99:100]
	v_add_f64 v[39:40], v[39:40], -v[99:100]
	ds_read2_b64 v[99:102], v125 offset0:52 offset1:53
	s_waitcnt lgkmcnt(0)
	v_mul_f64 v[43:44], v[101:102], v[97:98]
	v_fma_f64 v[43:44], v[99:100], v[41:42], -v[43:44]
	v_mul_f64 v[99:100], v[99:100], v[97:98]
	v_add_f64 v[33:34], v[33:34], -v[43:44]
	v_fma_f64 v[99:100], v[101:102], v[41:42], v[99:100]
	v_add_f64 v[35:36], v[35:36], -v[99:100]
	ds_read2_b64 v[99:102], v125 offset0:54 offset1:55
	;; [unrolled: 8-line block ×10, first 2 shown]
	s_waitcnt lgkmcnt(0)
	v_mul_f64 v[43:44], v[101:102], v[97:98]
	v_fma_f64 v[43:44], v[99:100], v[41:42], -v[43:44]
	v_mul_f64 v[99:100], v[99:100], v[97:98]
	v_add_f64 v[113:114], v[113:114], -v[43:44]
	v_fma_f64 v[99:100], v[101:102], v[41:42], v[99:100]
	v_mov_b32_e32 v43, v97
	v_mov_b32_e32 v44, v98
	v_add_f64 v[115:116], v[115:116], -v[99:100]
.LBB71_226:
	s_or_b64 exec, exec, s[2:3]
	v_cmp_eq_u32_e32 vcc, 25, v0
	s_waitcnt vmcnt(0)
	s_barrier
	s_and_saveexec_b64 s[4:5], vcc
	s_cbranch_execz .LBB71_233
; %bb.227:
	ds_write2_b64 v127, v[37:38], v[39:40] offset1:1
	ds_write2_b64 v125, v[33:34], v[35:36] offset0:52 offset1:53
	ds_write2_b64 v125, v[29:30], v[31:32] offset0:54 offset1:55
	;; [unrolled: 1-line block ×10, first 2 shown]
	ds_read2_b64 v[97:100], v127 offset1:1
	s_waitcnt lgkmcnt(0)
	v_cmp_neq_f64_e32 vcc, 0, v[97:98]
	v_cmp_neq_f64_e64 s[2:3], 0, v[99:100]
	s_or_b64 s[2:3], vcc, s[2:3]
	s_and_b64 exec, exec, s[2:3]
	s_cbranch_execz .LBB71_233
; %bb.228:
	v_cmp_ngt_f64_e64 s[2:3], |v[97:98]|, |v[99:100]|
                                        ; implicit-def: $vgpr101_vgpr102
	s_and_saveexec_b64 s[6:7], s[2:3]
	s_xor_b64 s[2:3], exec, s[6:7]
                                        ; implicit-def: $vgpr103_vgpr104
	s_cbranch_execz .LBB71_230
; %bb.229:
	v_div_scale_f64 v[101:102], s[6:7], v[99:100], v[99:100], v[97:98]
	v_rcp_f64_e32 v[103:104], v[101:102]
	v_fma_f64 v[105:106], -v[101:102], v[103:104], 1.0
	v_fma_f64 v[103:104], v[103:104], v[105:106], v[103:104]
	v_div_scale_f64 v[105:106], vcc, v[97:98], v[99:100], v[97:98]
	v_fma_f64 v[107:108], -v[101:102], v[103:104], 1.0
	v_fma_f64 v[103:104], v[103:104], v[107:108], v[103:104]
	v_mul_f64 v[107:108], v[105:106], v[103:104]
	v_fma_f64 v[101:102], -v[101:102], v[107:108], v[105:106]
	v_div_fmas_f64 v[101:102], v[101:102], v[103:104], v[107:108]
	v_div_fixup_f64 v[101:102], v[101:102], v[99:100], v[97:98]
	v_fma_f64 v[97:98], v[97:98], v[101:102], v[99:100]
	v_div_scale_f64 v[99:100], s[6:7], v[97:98], v[97:98], 1.0
	v_div_scale_f64 v[107:108], vcc, 1.0, v[97:98], 1.0
	v_rcp_f64_e32 v[103:104], v[99:100]
	v_fma_f64 v[105:106], -v[99:100], v[103:104], 1.0
	v_fma_f64 v[103:104], v[103:104], v[105:106], v[103:104]
	v_fma_f64 v[105:106], -v[99:100], v[103:104], 1.0
	v_fma_f64 v[103:104], v[103:104], v[105:106], v[103:104]
	v_mul_f64 v[105:106], v[107:108], v[103:104]
	v_fma_f64 v[99:100], -v[99:100], v[105:106], v[107:108]
	v_div_fmas_f64 v[99:100], v[99:100], v[103:104], v[105:106]
	v_div_fixup_f64 v[103:104], v[99:100], v[97:98], 1.0
                                        ; implicit-def: $vgpr97_vgpr98
	v_mul_f64 v[101:102], v[101:102], v[103:104]
	v_xor_b32_e32 v104, 0x80000000, v104
.LBB71_230:
	s_andn2_saveexec_b64 s[2:3], s[2:3]
	s_cbranch_execz .LBB71_232
; %bb.231:
	v_div_scale_f64 v[101:102], s[6:7], v[97:98], v[97:98], v[99:100]
	v_rcp_f64_e32 v[103:104], v[101:102]
	v_fma_f64 v[105:106], -v[101:102], v[103:104], 1.0
	v_fma_f64 v[103:104], v[103:104], v[105:106], v[103:104]
	v_div_scale_f64 v[105:106], vcc, v[99:100], v[97:98], v[99:100]
	v_fma_f64 v[107:108], -v[101:102], v[103:104], 1.0
	v_fma_f64 v[103:104], v[103:104], v[107:108], v[103:104]
	v_mul_f64 v[107:108], v[105:106], v[103:104]
	v_fma_f64 v[101:102], -v[101:102], v[107:108], v[105:106]
	v_div_fmas_f64 v[101:102], v[101:102], v[103:104], v[107:108]
	v_div_fixup_f64 v[103:104], v[101:102], v[97:98], v[99:100]
	v_fma_f64 v[97:98], v[99:100], v[103:104], v[97:98]
	v_div_scale_f64 v[99:100], s[6:7], v[97:98], v[97:98], 1.0
	v_div_scale_f64 v[107:108], vcc, 1.0, v[97:98], 1.0
	v_rcp_f64_e32 v[101:102], v[99:100]
	v_fma_f64 v[105:106], -v[99:100], v[101:102], 1.0
	v_fma_f64 v[101:102], v[101:102], v[105:106], v[101:102]
	v_fma_f64 v[105:106], -v[99:100], v[101:102], 1.0
	v_fma_f64 v[101:102], v[101:102], v[105:106], v[101:102]
	v_mul_f64 v[105:106], v[107:108], v[101:102]
	v_fma_f64 v[99:100], -v[99:100], v[105:106], v[107:108]
	v_div_fmas_f64 v[99:100], v[99:100], v[101:102], v[105:106]
	v_div_fixup_f64 v[101:102], v[99:100], v[97:98], 1.0
	v_mul_f64 v[103:104], v[103:104], -v[101:102]
.LBB71_232:
	s_or_b64 exec, exec, s[2:3]
	ds_write2_b64 v127, v[101:102], v[103:104] offset1:1
.LBB71_233:
	s_or_b64 exec, exec, s[4:5]
	s_waitcnt lgkmcnt(0)
	s_barrier
	ds_read2_b64 v[73:76], v127 offset1:1
	v_cmp_lt_u32_e32 vcc, 25, v0
	s_waitcnt lgkmcnt(0)
	buffer_store_dword v73, off, s[20:23], 0 offset:848 ; 4-byte Folded Spill
	s_nop 0
	buffer_store_dword v74, off, s[20:23], 0 offset:852 ; 4-byte Folded Spill
	buffer_store_dword v75, off, s[20:23], 0 offset:856 ; 4-byte Folded Spill
	;; [unrolled: 1-line block ×3, first 2 shown]
	s_and_saveexec_b64 s[2:3], vcc
	s_cbranch_execz .LBB71_235
; %bb.234:
	buffer_load_dword v73, off, s[20:23], 0 offset:848 ; 4-byte Folded Reload
	buffer_load_dword v74, off, s[20:23], 0 offset:852 ; 4-byte Folded Reload
	;; [unrolled: 1-line block ×4, first 2 shown]
	ds_read2_b64 v[99:102], v125 offset0:52 offset1:53
	s_waitcnt vmcnt(2)
	v_mul_f64 v[97:98], v[73:74], v[39:40]
	s_waitcnt vmcnt(0)
	v_mul_f64 v[39:40], v[75:76], v[39:40]
	v_fma_f64 v[97:98], v[75:76], v[37:38], v[97:98]
	v_fma_f64 v[37:38], v[73:74], v[37:38], -v[39:40]
	s_waitcnt lgkmcnt(0)
	v_mul_f64 v[39:40], v[101:102], v[97:98]
	v_fma_f64 v[39:40], v[99:100], v[37:38], -v[39:40]
	v_mul_f64 v[99:100], v[99:100], v[97:98]
	v_add_f64 v[33:34], v[33:34], -v[39:40]
	v_fma_f64 v[99:100], v[101:102], v[37:38], v[99:100]
	v_add_f64 v[35:36], v[35:36], -v[99:100]
	ds_read2_b64 v[99:102], v125 offset0:54 offset1:55
	s_waitcnt lgkmcnt(0)
	v_mul_f64 v[39:40], v[101:102], v[97:98]
	v_fma_f64 v[39:40], v[99:100], v[37:38], -v[39:40]
	v_mul_f64 v[99:100], v[99:100], v[97:98]
	v_add_f64 v[29:30], v[29:30], -v[39:40]
	v_fma_f64 v[99:100], v[101:102], v[37:38], v[99:100]
	v_add_f64 v[31:32], v[31:32], -v[99:100]
	ds_read2_b64 v[99:102], v125 offset0:56 offset1:57
	;; [unrolled: 8-line block ×9, first 2 shown]
	s_waitcnt lgkmcnt(0)
	v_mul_f64 v[39:40], v[101:102], v[97:98]
	v_fma_f64 v[39:40], v[99:100], v[37:38], -v[39:40]
	v_mul_f64 v[99:100], v[99:100], v[97:98]
	v_add_f64 v[113:114], v[113:114], -v[39:40]
	v_fma_f64 v[99:100], v[101:102], v[37:38], v[99:100]
	v_mov_b32_e32 v39, v97
	v_mov_b32_e32 v40, v98
	v_add_f64 v[115:116], v[115:116], -v[99:100]
.LBB71_235:
	s_or_b64 exec, exec, s[2:3]
	v_cmp_eq_u32_e32 vcc, 26, v0
	s_waitcnt vmcnt(0)
	s_barrier
	s_and_saveexec_b64 s[4:5], vcc
	s_cbranch_execz .LBB71_242
; %bb.236:
	ds_write2_b64 v127, v[33:34], v[35:36] offset1:1
	ds_write2_b64 v125, v[29:30], v[31:32] offset0:54 offset1:55
	ds_write2_b64 v125, v[25:26], v[27:28] offset0:56 offset1:57
	;; [unrolled: 1-line block ×9, first 2 shown]
	ds_read2_b64 v[97:100], v127 offset1:1
	s_waitcnt lgkmcnt(0)
	v_cmp_neq_f64_e32 vcc, 0, v[97:98]
	v_cmp_neq_f64_e64 s[2:3], 0, v[99:100]
	s_or_b64 s[2:3], vcc, s[2:3]
	s_and_b64 exec, exec, s[2:3]
	s_cbranch_execz .LBB71_242
; %bb.237:
	v_cmp_ngt_f64_e64 s[2:3], |v[97:98]|, |v[99:100]|
                                        ; implicit-def: $vgpr101_vgpr102
	s_and_saveexec_b64 s[6:7], s[2:3]
	s_xor_b64 s[2:3], exec, s[6:7]
                                        ; implicit-def: $vgpr103_vgpr104
	s_cbranch_execz .LBB71_239
; %bb.238:
	v_div_scale_f64 v[101:102], s[6:7], v[99:100], v[99:100], v[97:98]
	v_rcp_f64_e32 v[103:104], v[101:102]
	v_fma_f64 v[105:106], -v[101:102], v[103:104], 1.0
	v_fma_f64 v[103:104], v[103:104], v[105:106], v[103:104]
	v_div_scale_f64 v[105:106], vcc, v[97:98], v[99:100], v[97:98]
	v_fma_f64 v[107:108], -v[101:102], v[103:104], 1.0
	v_fma_f64 v[103:104], v[103:104], v[107:108], v[103:104]
	v_mul_f64 v[107:108], v[105:106], v[103:104]
	v_fma_f64 v[101:102], -v[101:102], v[107:108], v[105:106]
	v_div_fmas_f64 v[101:102], v[101:102], v[103:104], v[107:108]
	v_div_fixup_f64 v[101:102], v[101:102], v[99:100], v[97:98]
	v_fma_f64 v[97:98], v[97:98], v[101:102], v[99:100]
	v_div_scale_f64 v[99:100], s[6:7], v[97:98], v[97:98], 1.0
	v_div_scale_f64 v[107:108], vcc, 1.0, v[97:98], 1.0
	v_rcp_f64_e32 v[103:104], v[99:100]
	v_fma_f64 v[105:106], -v[99:100], v[103:104], 1.0
	v_fma_f64 v[103:104], v[103:104], v[105:106], v[103:104]
	v_fma_f64 v[105:106], -v[99:100], v[103:104], 1.0
	v_fma_f64 v[103:104], v[103:104], v[105:106], v[103:104]
	v_mul_f64 v[105:106], v[107:108], v[103:104]
	v_fma_f64 v[99:100], -v[99:100], v[105:106], v[107:108]
	v_div_fmas_f64 v[99:100], v[99:100], v[103:104], v[105:106]
	v_div_fixup_f64 v[103:104], v[99:100], v[97:98], 1.0
                                        ; implicit-def: $vgpr97_vgpr98
	v_mul_f64 v[101:102], v[101:102], v[103:104]
	v_xor_b32_e32 v104, 0x80000000, v104
.LBB71_239:
	s_andn2_saveexec_b64 s[2:3], s[2:3]
	s_cbranch_execz .LBB71_241
; %bb.240:
	v_div_scale_f64 v[101:102], s[6:7], v[97:98], v[97:98], v[99:100]
	v_rcp_f64_e32 v[103:104], v[101:102]
	v_fma_f64 v[105:106], -v[101:102], v[103:104], 1.0
	v_fma_f64 v[103:104], v[103:104], v[105:106], v[103:104]
	v_div_scale_f64 v[105:106], vcc, v[99:100], v[97:98], v[99:100]
	v_fma_f64 v[107:108], -v[101:102], v[103:104], 1.0
	v_fma_f64 v[103:104], v[103:104], v[107:108], v[103:104]
	v_mul_f64 v[107:108], v[105:106], v[103:104]
	v_fma_f64 v[101:102], -v[101:102], v[107:108], v[105:106]
	v_div_fmas_f64 v[101:102], v[101:102], v[103:104], v[107:108]
	v_div_fixup_f64 v[103:104], v[101:102], v[97:98], v[99:100]
	v_fma_f64 v[97:98], v[99:100], v[103:104], v[97:98]
	v_div_scale_f64 v[99:100], s[6:7], v[97:98], v[97:98], 1.0
	v_div_scale_f64 v[107:108], vcc, 1.0, v[97:98], 1.0
	v_rcp_f64_e32 v[101:102], v[99:100]
	v_fma_f64 v[105:106], -v[99:100], v[101:102], 1.0
	v_fma_f64 v[101:102], v[101:102], v[105:106], v[101:102]
	v_fma_f64 v[105:106], -v[99:100], v[101:102], 1.0
	v_fma_f64 v[101:102], v[101:102], v[105:106], v[101:102]
	v_mul_f64 v[105:106], v[107:108], v[101:102]
	v_fma_f64 v[99:100], -v[99:100], v[105:106], v[107:108]
	v_div_fmas_f64 v[99:100], v[99:100], v[101:102], v[105:106]
	v_div_fixup_f64 v[101:102], v[99:100], v[97:98], 1.0
	v_mul_f64 v[103:104], v[103:104], -v[101:102]
.LBB71_241:
	s_or_b64 exec, exec, s[2:3]
	ds_write2_b64 v127, v[101:102], v[103:104] offset1:1
.LBB71_242:
	s_or_b64 exec, exec, s[4:5]
	s_waitcnt lgkmcnt(0)
	s_barrier
	ds_read2_b64 v[73:76], v127 offset1:1
	v_cmp_lt_u32_e32 vcc, 26, v0
	s_waitcnt lgkmcnt(0)
	buffer_store_dword v73, off, s[20:23], 0 offset:864 ; 4-byte Folded Spill
	s_nop 0
	buffer_store_dword v74, off, s[20:23], 0 offset:868 ; 4-byte Folded Spill
	buffer_store_dword v75, off, s[20:23], 0 offset:872 ; 4-byte Folded Spill
	;; [unrolled: 1-line block ×3, first 2 shown]
	s_and_saveexec_b64 s[2:3], vcc
	s_cbranch_execz .LBB71_244
; %bb.243:
	buffer_load_dword v73, off, s[20:23], 0 offset:864 ; 4-byte Folded Reload
	buffer_load_dword v74, off, s[20:23], 0 offset:868 ; 4-byte Folded Reload
	;; [unrolled: 1-line block ×4, first 2 shown]
	ds_read2_b64 v[99:102], v125 offset0:54 offset1:55
	s_waitcnt vmcnt(2)
	v_mul_f64 v[97:98], v[73:74], v[35:36]
	s_waitcnt vmcnt(0)
	v_mul_f64 v[35:36], v[75:76], v[35:36]
	v_fma_f64 v[97:98], v[75:76], v[33:34], v[97:98]
	v_fma_f64 v[33:34], v[73:74], v[33:34], -v[35:36]
	s_waitcnt lgkmcnt(0)
	v_mul_f64 v[35:36], v[101:102], v[97:98]
	v_fma_f64 v[35:36], v[99:100], v[33:34], -v[35:36]
	v_mul_f64 v[99:100], v[99:100], v[97:98]
	v_add_f64 v[29:30], v[29:30], -v[35:36]
	v_fma_f64 v[99:100], v[101:102], v[33:34], v[99:100]
	v_add_f64 v[31:32], v[31:32], -v[99:100]
	ds_read2_b64 v[99:102], v125 offset0:56 offset1:57
	s_waitcnt lgkmcnt(0)
	v_mul_f64 v[35:36], v[101:102], v[97:98]
	v_fma_f64 v[35:36], v[99:100], v[33:34], -v[35:36]
	v_mul_f64 v[99:100], v[99:100], v[97:98]
	v_add_f64 v[25:26], v[25:26], -v[35:36]
	v_fma_f64 v[99:100], v[101:102], v[33:34], v[99:100]
	v_add_f64 v[27:28], v[27:28], -v[99:100]
	ds_read2_b64 v[99:102], v125 offset0:58 offset1:59
	;; [unrolled: 8-line block ×8, first 2 shown]
	s_waitcnt lgkmcnt(0)
	v_mul_f64 v[35:36], v[101:102], v[97:98]
	v_fma_f64 v[35:36], v[99:100], v[33:34], -v[35:36]
	v_mul_f64 v[99:100], v[99:100], v[97:98]
	v_add_f64 v[113:114], v[113:114], -v[35:36]
	v_fma_f64 v[99:100], v[101:102], v[33:34], v[99:100]
	v_mov_b32_e32 v35, v97
	v_mov_b32_e32 v36, v98
	v_add_f64 v[115:116], v[115:116], -v[99:100]
.LBB71_244:
	s_or_b64 exec, exec, s[2:3]
	v_cmp_eq_u32_e32 vcc, 27, v0
	s_waitcnt vmcnt(0)
	s_barrier
	s_and_saveexec_b64 s[4:5], vcc
	s_cbranch_execz .LBB71_251
; %bb.245:
	ds_write2_b64 v127, v[29:30], v[31:32] offset1:1
	ds_write2_b64 v125, v[25:26], v[27:28] offset0:56 offset1:57
	ds_write2_b64 v125, v[21:22], v[23:24] offset0:58 offset1:59
	;; [unrolled: 1-line block ×8, first 2 shown]
	ds_read2_b64 v[97:100], v127 offset1:1
	s_waitcnt lgkmcnt(0)
	v_cmp_neq_f64_e32 vcc, 0, v[97:98]
	v_cmp_neq_f64_e64 s[2:3], 0, v[99:100]
	s_or_b64 s[2:3], vcc, s[2:3]
	s_and_b64 exec, exec, s[2:3]
	s_cbranch_execz .LBB71_251
; %bb.246:
	v_cmp_ngt_f64_e64 s[2:3], |v[97:98]|, |v[99:100]|
                                        ; implicit-def: $vgpr101_vgpr102
	s_and_saveexec_b64 s[6:7], s[2:3]
	s_xor_b64 s[2:3], exec, s[6:7]
                                        ; implicit-def: $vgpr103_vgpr104
	s_cbranch_execz .LBB71_248
; %bb.247:
	v_div_scale_f64 v[101:102], s[6:7], v[99:100], v[99:100], v[97:98]
	v_rcp_f64_e32 v[103:104], v[101:102]
	v_fma_f64 v[105:106], -v[101:102], v[103:104], 1.0
	v_fma_f64 v[103:104], v[103:104], v[105:106], v[103:104]
	v_div_scale_f64 v[105:106], vcc, v[97:98], v[99:100], v[97:98]
	v_fma_f64 v[107:108], -v[101:102], v[103:104], 1.0
	v_fma_f64 v[103:104], v[103:104], v[107:108], v[103:104]
	v_mul_f64 v[107:108], v[105:106], v[103:104]
	v_fma_f64 v[101:102], -v[101:102], v[107:108], v[105:106]
	v_div_fmas_f64 v[101:102], v[101:102], v[103:104], v[107:108]
	v_div_fixup_f64 v[101:102], v[101:102], v[99:100], v[97:98]
	v_fma_f64 v[97:98], v[97:98], v[101:102], v[99:100]
	v_div_scale_f64 v[99:100], s[6:7], v[97:98], v[97:98], 1.0
	v_div_scale_f64 v[107:108], vcc, 1.0, v[97:98], 1.0
	v_rcp_f64_e32 v[103:104], v[99:100]
	v_fma_f64 v[105:106], -v[99:100], v[103:104], 1.0
	v_fma_f64 v[103:104], v[103:104], v[105:106], v[103:104]
	v_fma_f64 v[105:106], -v[99:100], v[103:104], 1.0
	v_fma_f64 v[103:104], v[103:104], v[105:106], v[103:104]
	v_mul_f64 v[105:106], v[107:108], v[103:104]
	v_fma_f64 v[99:100], -v[99:100], v[105:106], v[107:108]
	v_div_fmas_f64 v[99:100], v[99:100], v[103:104], v[105:106]
	v_div_fixup_f64 v[103:104], v[99:100], v[97:98], 1.0
                                        ; implicit-def: $vgpr97_vgpr98
	v_mul_f64 v[101:102], v[101:102], v[103:104]
	v_xor_b32_e32 v104, 0x80000000, v104
.LBB71_248:
	s_andn2_saveexec_b64 s[2:3], s[2:3]
	s_cbranch_execz .LBB71_250
; %bb.249:
	v_div_scale_f64 v[101:102], s[6:7], v[97:98], v[97:98], v[99:100]
	v_rcp_f64_e32 v[103:104], v[101:102]
	v_fma_f64 v[105:106], -v[101:102], v[103:104], 1.0
	v_fma_f64 v[103:104], v[103:104], v[105:106], v[103:104]
	v_div_scale_f64 v[105:106], vcc, v[99:100], v[97:98], v[99:100]
	v_fma_f64 v[107:108], -v[101:102], v[103:104], 1.0
	v_fma_f64 v[103:104], v[103:104], v[107:108], v[103:104]
	v_mul_f64 v[107:108], v[105:106], v[103:104]
	v_fma_f64 v[101:102], -v[101:102], v[107:108], v[105:106]
	v_div_fmas_f64 v[101:102], v[101:102], v[103:104], v[107:108]
	v_div_fixup_f64 v[103:104], v[101:102], v[97:98], v[99:100]
	v_fma_f64 v[97:98], v[99:100], v[103:104], v[97:98]
	v_div_scale_f64 v[99:100], s[6:7], v[97:98], v[97:98], 1.0
	v_div_scale_f64 v[107:108], vcc, 1.0, v[97:98], 1.0
	v_rcp_f64_e32 v[101:102], v[99:100]
	v_fma_f64 v[105:106], -v[99:100], v[101:102], 1.0
	v_fma_f64 v[101:102], v[101:102], v[105:106], v[101:102]
	v_fma_f64 v[105:106], -v[99:100], v[101:102], 1.0
	v_fma_f64 v[101:102], v[101:102], v[105:106], v[101:102]
	v_mul_f64 v[105:106], v[107:108], v[101:102]
	v_fma_f64 v[99:100], -v[99:100], v[105:106], v[107:108]
	v_div_fmas_f64 v[99:100], v[99:100], v[101:102], v[105:106]
	v_div_fixup_f64 v[101:102], v[99:100], v[97:98], 1.0
	v_mul_f64 v[103:104], v[103:104], -v[101:102]
.LBB71_250:
	s_or_b64 exec, exec, s[2:3]
	ds_write2_b64 v127, v[101:102], v[103:104] offset1:1
.LBB71_251:
	s_or_b64 exec, exec, s[4:5]
	s_waitcnt lgkmcnt(0)
	s_barrier
	ds_read2_b64 v[73:76], v127 offset1:1
	v_cmp_lt_u32_e32 vcc, 27, v0
	s_waitcnt lgkmcnt(0)
	buffer_store_dword v73, off, s[20:23], 0 offset:880 ; 4-byte Folded Spill
	s_nop 0
	buffer_store_dword v74, off, s[20:23], 0 offset:884 ; 4-byte Folded Spill
	buffer_store_dword v75, off, s[20:23], 0 offset:888 ; 4-byte Folded Spill
	;; [unrolled: 1-line block ×3, first 2 shown]
	s_and_saveexec_b64 s[2:3], vcc
	s_cbranch_execz .LBB71_253
; %bb.252:
	buffer_load_dword v73, off, s[20:23], 0 offset:880 ; 4-byte Folded Reload
	buffer_load_dword v74, off, s[20:23], 0 offset:884 ; 4-byte Folded Reload
	buffer_load_dword v75, off, s[20:23], 0 offset:888 ; 4-byte Folded Reload
	buffer_load_dword v76, off, s[20:23], 0 offset:892 ; 4-byte Folded Reload
	ds_read2_b64 v[99:102], v125 offset0:56 offset1:57
	s_waitcnt vmcnt(2)
	v_mul_f64 v[97:98], v[73:74], v[31:32]
	s_waitcnt vmcnt(0)
	v_mul_f64 v[31:32], v[75:76], v[31:32]
	v_fma_f64 v[97:98], v[75:76], v[29:30], v[97:98]
	v_fma_f64 v[29:30], v[73:74], v[29:30], -v[31:32]
	s_waitcnt lgkmcnt(0)
	v_mul_f64 v[31:32], v[101:102], v[97:98]
	v_fma_f64 v[31:32], v[99:100], v[29:30], -v[31:32]
	v_mul_f64 v[99:100], v[99:100], v[97:98]
	v_add_f64 v[25:26], v[25:26], -v[31:32]
	v_fma_f64 v[99:100], v[101:102], v[29:30], v[99:100]
	v_add_f64 v[27:28], v[27:28], -v[99:100]
	ds_read2_b64 v[99:102], v125 offset0:58 offset1:59
	s_waitcnt lgkmcnt(0)
	v_mul_f64 v[31:32], v[101:102], v[97:98]
	v_fma_f64 v[31:32], v[99:100], v[29:30], -v[31:32]
	v_mul_f64 v[99:100], v[99:100], v[97:98]
	v_add_f64 v[21:22], v[21:22], -v[31:32]
	v_fma_f64 v[99:100], v[101:102], v[29:30], v[99:100]
	v_add_f64 v[23:24], v[23:24], -v[99:100]
	ds_read2_b64 v[99:102], v125 offset0:60 offset1:61
	;; [unrolled: 8-line block ×7, first 2 shown]
	s_waitcnt lgkmcnt(0)
	v_mul_f64 v[31:32], v[101:102], v[97:98]
	v_fma_f64 v[31:32], v[99:100], v[29:30], -v[31:32]
	v_mul_f64 v[99:100], v[99:100], v[97:98]
	v_add_f64 v[113:114], v[113:114], -v[31:32]
	v_fma_f64 v[99:100], v[101:102], v[29:30], v[99:100]
	v_mov_b32_e32 v31, v97
	v_mov_b32_e32 v32, v98
	v_add_f64 v[115:116], v[115:116], -v[99:100]
.LBB71_253:
	s_or_b64 exec, exec, s[2:3]
	v_cmp_eq_u32_e32 vcc, 28, v0
	s_waitcnt vmcnt(0)
	s_barrier
	s_and_saveexec_b64 s[4:5], vcc
	s_cbranch_execz .LBB71_260
; %bb.254:
	ds_write2_b64 v127, v[25:26], v[27:28] offset1:1
	ds_write2_b64 v125, v[21:22], v[23:24] offset0:58 offset1:59
	ds_write2_b64 v125, v[17:18], v[19:20] offset0:60 offset1:61
	;; [unrolled: 1-line block ×7, first 2 shown]
	ds_read2_b64 v[97:100], v127 offset1:1
	s_waitcnt lgkmcnt(0)
	v_cmp_neq_f64_e32 vcc, 0, v[97:98]
	v_cmp_neq_f64_e64 s[2:3], 0, v[99:100]
	s_or_b64 s[2:3], vcc, s[2:3]
	s_and_b64 exec, exec, s[2:3]
	s_cbranch_execz .LBB71_260
; %bb.255:
	v_cmp_ngt_f64_e64 s[2:3], |v[97:98]|, |v[99:100]|
                                        ; implicit-def: $vgpr101_vgpr102
	s_and_saveexec_b64 s[6:7], s[2:3]
	s_xor_b64 s[2:3], exec, s[6:7]
                                        ; implicit-def: $vgpr103_vgpr104
	s_cbranch_execz .LBB71_257
; %bb.256:
	v_div_scale_f64 v[101:102], s[6:7], v[99:100], v[99:100], v[97:98]
	v_rcp_f64_e32 v[103:104], v[101:102]
	v_fma_f64 v[105:106], -v[101:102], v[103:104], 1.0
	v_fma_f64 v[103:104], v[103:104], v[105:106], v[103:104]
	v_div_scale_f64 v[105:106], vcc, v[97:98], v[99:100], v[97:98]
	v_fma_f64 v[107:108], -v[101:102], v[103:104], 1.0
	v_fma_f64 v[103:104], v[103:104], v[107:108], v[103:104]
	v_mul_f64 v[107:108], v[105:106], v[103:104]
	v_fma_f64 v[101:102], -v[101:102], v[107:108], v[105:106]
	v_div_fmas_f64 v[101:102], v[101:102], v[103:104], v[107:108]
	v_div_fixup_f64 v[101:102], v[101:102], v[99:100], v[97:98]
	v_fma_f64 v[97:98], v[97:98], v[101:102], v[99:100]
	v_div_scale_f64 v[99:100], s[6:7], v[97:98], v[97:98], 1.0
	v_div_scale_f64 v[107:108], vcc, 1.0, v[97:98], 1.0
	v_rcp_f64_e32 v[103:104], v[99:100]
	v_fma_f64 v[105:106], -v[99:100], v[103:104], 1.0
	v_fma_f64 v[103:104], v[103:104], v[105:106], v[103:104]
	v_fma_f64 v[105:106], -v[99:100], v[103:104], 1.0
	v_fma_f64 v[103:104], v[103:104], v[105:106], v[103:104]
	v_mul_f64 v[105:106], v[107:108], v[103:104]
	v_fma_f64 v[99:100], -v[99:100], v[105:106], v[107:108]
	v_div_fmas_f64 v[99:100], v[99:100], v[103:104], v[105:106]
	v_div_fixup_f64 v[103:104], v[99:100], v[97:98], 1.0
                                        ; implicit-def: $vgpr97_vgpr98
	v_mul_f64 v[101:102], v[101:102], v[103:104]
	v_xor_b32_e32 v104, 0x80000000, v104
.LBB71_257:
	s_andn2_saveexec_b64 s[2:3], s[2:3]
	s_cbranch_execz .LBB71_259
; %bb.258:
	v_div_scale_f64 v[101:102], s[6:7], v[97:98], v[97:98], v[99:100]
	v_rcp_f64_e32 v[103:104], v[101:102]
	v_fma_f64 v[105:106], -v[101:102], v[103:104], 1.0
	v_fma_f64 v[103:104], v[103:104], v[105:106], v[103:104]
	v_div_scale_f64 v[105:106], vcc, v[99:100], v[97:98], v[99:100]
	v_fma_f64 v[107:108], -v[101:102], v[103:104], 1.0
	v_fma_f64 v[103:104], v[103:104], v[107:108], v[103:104]
	v_mul_f64 v[107:108], v[105:106], v[103:104]
	v_fma_f64 v[101:102], -v[101:102], v[107:108], v[105:106]
	v_div_fmas_f64 v[101:102], v[101:102], v[103:104], v[107:108]
	v_div_fixup_f64 v[103:104], v[101:102], v[97:98], v[99:100]
	v_fma_f64 v[97:98], v[99:100], v[103:104], v[97:98]
	v_div_scale_f64 v[99:100], s[6:7], v[97:98], v[97:98], 1.0
	v_div_scale_f64 v[107:108], vcc, 1.0, v[97:98], 1.0
	v_rcp_f64_e32 v[101:102], v[99:100]
	v_fma_f64 v[105:106], -v[99:100], v[101:102], 1.0
	v_fma_f64 v[101:102], v[101:102], v[105:106], v[101:102]
	v_fma_f64 v[105:106], -v[99:100], v[101:102], 1.0
	v_fma_f64 v[101:102], v[101:102], v[105:106], v[101:102]
	v_mul_f64 v[105:106], v[107:108], v[101:102]
	v_fma_f64 v[99:100], -v[99:100], v[105:106], v[107:108]
	v_div_fmas_f64 v[99:100], v[99:100], v[101:102], v[105:106]
	v_div_fixup_f64 v[101:102], v[99:100], v[97:98], 1.0
	v_mul_f64 v[103:104], v[103:104], -v[101:102]
.LBB71_259:
	s_or_b64 exec, exec, s[2:3]
	ds_write2_b64 v127, v[101:102], v[103:104] offset1:1
.LBB71_260:
	s_or_b64 exec, exec, s[4:5]
	s_waitcnt lgkmcnt(0)
	s_barrier
	ds_read2_b64 v[73:76], v127 offset1:1
	v_cmp_lt_u32_e32 vcc, 28, v0
	s_waitcnt lgkmcnt(0)
	buffer_store_dword v73, off, s[20:23], 0 offset:896 ; 4-byte Folded Spill
	s_nop 0
	buffer_store_dword v74, off, s[20:23], 0 offset:900 ; 4-byte Folded Spill
	buffer_store_dword v75, off, s[20:23], 0 offset:904 ; 4-byte Folded Spill
	;; [unrolled: 1-line block ×3, first 2 shown]
	s_and_saveexec_b64 s[2:3], vcc
	s_cbranch_execz .LBB71_262
; %bb.261:
	buffer_load_dword v73, off, s[20:23], 0 offset:896 ; 4-byte Folded Reload
	buffer_load_dword v74, off, s[20:23], 0 offset:900 ; 4-byte Folded Reload
	;; [unrolled: 1-line block ×4, first 2 shown]
	ds_read2_b64 v[99:102], v125 offset0:58 offset1:59
	s_waitcnt vmcnt(2)
	v_mul_f64 v[97:98], v[73:74], v[27:28]
	s_waitcnt vmcnt(0)
	v_mul_f64 v[27:28], v[75:76], v[27:28]
	v_fma_f64 v[97:98], v[75:76], v[25:26], v[97:98]
	v_fma_f64 v[25:26], v[73:74], v[25:26], -v[27:28]
	s_waitcnt lgkmcnt(0)
	v_mul_f64 v[27:28], v[101:102], v[97:98]
	v_fma_f64 v[27:28], v[99:100], v[25:26], -v[27:28]
	v_mul_f64 v[99:100], v[99:100], v[97:98]
	v_add_f64 v[21:22], v[21:22], -v[27:28]
	v_fma_f64 v[99:100], v[101:102], v[25:26], v[99:100]
	v_add_f64 v[23:24], v[23:24], -v[99:100]
	ds_read2_b64 v[99:102], v125 offset0:60 offset1:61
	s_waitcnt lgkmcnt(0)
	v_mul_f64 v[27:28], v[101:102], v[97:98]
	v_fma_f64 v[27:28], v[99:100], v[25:26], -v[27:28]
	v_mul_f64 v[99:100], v[99:100], v[97:98]
	v_add_f64 v[17:18], v[17:18], -v[27:28]
	v_fma_f64 v[99:100], v[101:102], v[25:26], v[99:100]
	v_add_f64 v[19:20], v[19:20], -v[99:100]
	ds_read2_b64 v[99:102], v125 offset0:62 offset1:63
	;; [unrolled: 8-line block ×6, first 2 shown]
	s_waitcnt lgkmcnt(0)
	v_mul_f64 v[27:28], v[101:102], v[97:98]
	v_fma_f64 v[27:28], v[99:100], v[25:26], -v[27:28]
	v_mul_f64 v[99:100], v[99:100], v[97:98]
	v_add_f64 v[113:114], v[113:114], -v[27:28]
	v_fma_f64 v[99:100], v[101:102], v[25:26], v[99:100]
	v_mov_b32_e32 v27, v97
	v_mov_b32_e32 v28, v98
	v_add_f64 v[115:116], v[115:116], -v[99:100]
.LBB71_262:
	s_or_b64 exec, exec, s[2:3]
	v_cmp_eq_u32_e32 vcc, 29, v0
	s_waitcnt vmcnt(0)
	s_barrier
	s_and_saveexec_b64 s[4:5], vcc
	s_cbranch_execz .LBB71_269
; %bb.263:
	ds_write2_b64 v127, v[21:22], v[23:24] offset1:1
	ds_write2_b64 v125, v[17:18], v[19:20] offset0:60 offset1:61
	ds_write2_b64 v125, v[13:14], v[15:16] offset0:62 offset1:63
	;; [unrolled: 1-line block ×6, first 2 shown]
	ds_read2_b64 v[97:100], v127 offset1:1
	s_waitcnt lgkmcnt(0)
	v_cmp_neq_f64_e32 vcc, 0, v[97:98]
	v_cmp_neq_f64_e64 s[2:3], 0, v[99:100]
	s_or_b64 s[2:3], vcc, s[2:3]
	s_and_b64 exec, exec, s[2:3]
	s_cbranch_execz .LBB71_269
; %bb.264:
	v_cmp_ngt_f64_e64 s[2:3], |v[97:98]|, |v[99:100]|
                                        ; implicit-def: $vgpr101_vgpr102
	s_and_saveexec_b64 s[6:7], s[2:3]
	s_xor_b64 s[2:3], exec, s[6:7]
                                        ; implicit-def: $vgpr103_vgpr104
	s_cbranch_execz .LBB71_266
; %bb.265:
	v_div_scale_f64 v[101:102], s[6:7], v[99:100], v[99:100], v[97:98]
	v_rcp_f64_e32 v[103:104], v[101:102]
	v_fma_f64 v[105:106], -v[101:102], v[103:104], 1.0
	v_fma_f64 v[103:104], v[103:104], v[105:106], v[103:104]
	v_div_scale_f64 v[105:106], vcc, v[97:98], v[99:100], v[97:98]
	v_fma_f64 v[107:108], -v[101:102], v[103:104], 1.0
	v_fma_f64 v[103:104], v[103:104], v[107:108], v[103:104]
	v_mul_f64 v[107:108], v[105:106], v[103:104]
	v_fma_f64 v[101:102], -v[101:102], v[107:108], v[105:106]
	v_div_fmas_f64 v[101:102], v[101:102], v[103:104], v[107:108]
	v_div_fixup_f64 v[101:102], v[101:102], v[99:100], v[97:98]
	v_fma_f64 v[97:98], v[97:98], v[101:102], v[99:100]
	v_div_scale_f64 v[99:100], s[6:7], v[97:98], v[97:98], 1.0
	v_div_scale_f64 v[107:108], vcc, 1.0, v[97:98], 1.0
	v_rcp_f64_e32 v[103:104], v[99:100]
	v_fma_f64 v[105:106], -v[99:100], v[103:104], 1.0
	v_fma_f64 v[103:104], v[103:104], v[105:106], v[103:104]
	v_fma_f64 v[105:106], -v[99:100], v[103:104], 1.0
	v_fma_f64 v[103:104], v[103:104], v[105:106], v[103:104]
	v_mul_f64 v[105:106], v[107:108], v[103:104]
	v_fma_f64 v[99:100], -v[99:100], v[105:106], v[107:108]
	v_div_fmas_f64 v[99:100], v[99:100], v[103:104], v[105:106]
	v_div_fixup_f64 v[103:104], v[99:100], v[97:98], 1.0
                                        ; implicit-def: $vgpr97_vgpr98
	v_mul_f64 v[101:102], v[101:102], v[103:104]
	v_xor_b32_e32 v104, 0x80000000, v104
.LBB71_266:
	s_andn2_saveexec_b64 s[2:3], s[2:3]
	s_cbranch_execz .LBB71_268
; %bb.267:
	v_div_scale_f64 v[101:102], s[6:7], v[97:98], v[97:98], v[99:100]
	v_rcp_f64_e32 v[103:104], v[101:102]
	v_fma_f64 v[105:106], -v[101:102], v[103:104], 1.0
	v_fma_f64 v[103:104], v[103:104], v[105:106], v[103:104]
	v_div_scale_f64 v[105:106], vcc, v[99:100], v[97:98], v[99:100]
	v_fma_f64 v[107:108], -v[101:102], v[103:104], 1.0
	v_fma_f64 v[103:104], v[103:104], v[107:108], v[103:104]
	v_mul_f64 v[107:108], v[105:106], v[103:104]
	v_fma_f64 v[101:102], -v[101:102], v[107:108], v[105:106]
	v_div_fmas_f64 v[101:102], v[101:102], v[103:104], v[107:108]
	v_div_fixup_f64 v[103:104], v[101:102], v[97:98], v[99:100]
	v_fma_f64 v[97:98], v[99:100], v[103:104], v[97:98]
	v_div_scale_f64 v[99:100], s[6:7], v[97:98], v[97:98], 1.0
	v_div_scale_f64 v[107:108], vcc, 1.0, v[97:98], 1.0
	v_rcp_f64_e32 v[101:102], v[99:100]
	v_fma_f64 v[105:106], -v[99:100], v[101:102], 1.0
	v_fma_f64 v[101:102], v[101:102], v[105:106], v[101:102]
	v_fma_f64 v[105:106], -v[99:100], v[101:102], 1.0
	v_fma_f64 v[101:102], v[101:102], v[105:106], v[101:102]
	v_mul_f64 v[105:106], v[107:108], v[101:102]
	v_fma_f64 v[99:100], -v[99:100], v[105:106], v[107:108]
	v_div_fmas_f64 v[99:100], v[99:100], v[101:102], v[105:106]
	v_div_fixup_f64 v[101:102], v[99:100], v[97:98], 1.0
	v_mul_f64 v[103:104], v[103:104], -v[101:102]
.LBB71_268:
	s_or_b64 exec, exec, s[2:3]
	ds_write2_b64 v127, v[101:102], v[103:104] offset1:1
.LBB71_269:
	s_or_b64 exec, exec, s[4:5]
	s_waitcnt lgkmcnt(0)
	s_barrier
	ds_read2_b64 v[73:76], v127 offset1:1
	v_cmp_lt_u32_e32 vcc, 29, v0
	s_waitcnt lgkmcnt(0)
	buffer_store_dword v73, off, s[20:23], 0 offset:912 ; 4-byte Folded Spill
	s_nop 0
	buffer_store_dword v74, off, s[20:23], 0 offset:916 ; 4-byte Folded Spill
	buffer_store_dword v75, off, s[20:23], 0 offset:920 ; 4-byte Folded Spill
	;; [unrolled: 1-line block ×3, first 2 shown]
	s_and_saveexec_b64 s[2:3], vcc
	s_cbranch_execz .LBB71_271
; %bb.270:
	buffer_load_dword v73, off, s[20:23], 0 offset:912 ; 4-byte Folded Reload
	buffer_load_dword v74, off, s[20:23], 0 offset:916 ; 4-byte Folded Reload
	;; [unrolled: 1-line block ×4, first 2 shown]
	ds_read2_b64 v[99:102], v125 offset0:60 offset1:61
	s_waitcnt vmcnt(2)
	v_mul_f64 v[97:98], v[73:74], v[23:24]
	s_waitcnt vmcnt(0)
	v_mul_f64 v[23:24], v[75:76], v[23:24]
	v_fma_f64 v[97:98], v[75:76], v[21:22], v[97:98]
	v_fma_f64 v[21:22], v[73:74], v[21:22], -v[23:24]
	s_waitcnt lgkmcnt(0)
	v_mul_f64 v[23:24], v[101:102], v[97:98]
	v_fma_f64 v[23:24], v[99:100], v[21:22], -v[23:24]
	v_mul_f64 v[99:100], v[99:100], v[97:98]
	v_add_f64 v[17:18], v[17:18], -v[23:24]
	v_fma_f64 v[99:100], v[101:102], v[21:22], v[99:100]
	v_add_f64 v[19:20], v[19:20], -v[99:100]
	ds_read2_b64 v[99:102], v125 offset0:62 offset1:63
	s_waitcnt lgkmcnt(0)
	v_mul_f64 v[23:24], v[101:102], v[97:98]
	v_fma_f64 v[23:24], v[99:100], v[21:22], -v[23:24]
	v_mul_f64 v[99:100], v[99:100], v[97:98]
	v_add_f64 v[13:14], v[13:14], -v[23:24]
	v_fma_f64 v[99:100], v[101:102], v[21:22], v[99:100]
	v_add_f64 v[15:16], v[15:16], -v[99:100]
	ds_read2_b64 v[99:102], v125 offset0:64 offset1:65
	;; [unrolled: 8-line block ×5, first 2 shown]
	s_waitcnt lgkmcnt(0)
	v_mul_f64 v[23:24], v[101:102], v[97:98]
	v_fma_f64 v[23:24], v[99:100], v[21:22], -v[23:24]
	v_mul_f64 v[99:100], v[99:100], v[97:98]
	v_add_f64 v[113:114], v[113:114], -v[23:24]
	v_fma_f64 v[99:100], v[101:102], v[21:22], v[99:100]
	v_mov_b32_e32 v23, v97
	v_mov_b32_e32 v24, v98
	v_add_f64 v[115:116], v[115:116], -v[99:100]
.LBB71_271:
	s_or_b64 exec, exec, s[2:3]
	v_cmp_eq_u32_e32 vcc, 30, v0
	s_waitcnt vmcnt(0)
	s_barrier
	s_and_saveexec_b64 s[4:5], vcc
	s_cbranch_execz .LBB71_278
; %bb.272:
	ds_write2_b64 v127, v[17:18], v[19:20] offset1:1
	ds_write2_b64 v125, v[13:14], v[15:16] offset0:62 offset1:63
	ds_write2_b64 v125, v[9:10], v[11:12] offset0:64 offset1:65
	;; [unrolled: 1-line block ×5, first 2 shown]
	ds_read2_b64 v[97:100], v127 offset1:1
	s_waitcnt lgkmcnt(0)
	v_cmp_neq_f64_e32 vcc, 0, v[97:98]
	v_cmp_neq_f64_e64 s[2:3], 0, v[99:100]
	s_or_b64 s[2:3], vcc, s[2:3]
	s_and_b64 exec, exec, s[2:3]
	s_cbranch_execz .LBB71_278
; %bb.273:
	v_cmp_ngt_f64_e64 s[2:3], |v[97:98]|, |v[99:100]|
                                        ; implicit-def: $vgpr101_vgpr102
	s_and_saveexec_b64 s[6:7], s[2:3]
	s_xor_b64 s[2:3], exec, s[6:7]
                                        ; implicit-def: $vgpr103_vgpr104
	s_cbranch_execz .LBB71_275
; %bb.274:
	v_div_scale_f64 v[101:102], s[6:7], v[99:100], v[99:100], v[97:98]
	v_rcp_f64_e32 v[103:104], v[101:102]
	v_fma_f64 v[105:106], -v[101:102], v[103:104], 1.0
	v_fma_f64 v[103:104], v[103:104], v[105:106], v[103:104]
	v_div_scale_f64 v[105:106], vcc, v[97:98], v[99:100], v[97:98]
	v_fma_f64 v[107:108], -v[101:102], v[103:104], 1.0
	v_fma_f64 v[103:104], v[103:104], v[107:108], v[103:104]
	v_mul_f64 v[107:108], v[105:106], v[103:104]
	v_fma_f64 v[101:102], -v[101:102], v[107:108], v[105:106]
	v_div_fmas_f64 v[101:102], v[101:102], v[103:104], v[107:108]
	v_div_fixup_f64 v[101:102], v[101:102], v[99:100], v[97:98]
	v_fma_f64 v[97:98], v[97:98], v[101:102], v[99:100]
	v_div_scale_f64 v[99:100], s[6:7], v[97:98], v[97:98], 1.0
	v_div_scale_f64 v[107:108], vcc, 1.0, v[97:98], 1.0
	v_rcp_f64_e32 v[103:104], v[99:100]
	v_fma_f64 v[105:106], -v[99:100], v[103:104], 1.0
	v_fma_f64 v[103:104], v[103:104], v[105:106], v[103:104]
	v_fma_f64 v[105:106], -v[99:100], v[103:104], 1.0
	v_fma_f64 v[103:104], v[103:104], v[105:106], v[103:104]
	v_mul_f64 v[105:106], v[107:108], v[103:104]
	v_fma_f64 v[99:100], -v[99:100], v[105:106], v[107:108]
	v_div_fmas_f64 v[99:100], v[99:100], v[103:104], v[105:106]
	v_div_fixup_f64 v[103:104], v[99:100], v[97:98], 1.0
                                        ; implicit-def: $vgpr97_vgpr98
	v_mul_f64 v[101:102], v[101:102], v[103:104]
	v_xor_b32_e32 v104, 0x80000000, v104
.LBB71_275:
	s_andn2_saveexec_b64 s[2:3], s[2:3]
	s_cbranch_execz .LBB71_277
; %bb.276:
	v_div_scale_f64 v[101:102], s[6:7], v[97:98], v[97:98], v[99:100]
	v_rcp_f64_e32 v[103:104], v[101:102]
	v_fma_f64 v[105:106], -v[101:102], v[103:104], 1.0
	v_fma_f64 v[103:104], v[103:104], v[105:106], v[103:104]
	v_div_scale_f64 v[105:106], vcc, v[99:100], v[97:98], v[99:100]
	v_fma_f64 v[107:108], -v[101:102], v[103:104], 1.0
	v_fma_f64 v[103:104], v[103:104], v[107:108], v[103:104]
	v_mul_f64 v[107:108], v[105:106], v[103:104]
	v_fma_f64 v[101:102], -v[101:102], v[107:108], v[105:106]
	v_div_fmas_f64 v[101:102], v[101:102], v[103:104], v[107:108]
	v_div_fixup_f64 v[103:104], v[101:102], v[97:98], v[99:100]
	v_fma_f64 v[97:98], v[99:100], v[103:104], v[97:98]
	v_div_scale_f64 v[99:100], s[6:7], v[97:98], v[97:98], 1.0
	v_div_scale_f64 v[107:108], vcc, 1.0, v[97:98], 1.0
	v_rcp_f64_e32 v[101:102], v[99:100]
	v_fma_f64 v[105:106], -v[99:100], v[101:102], 1.0
	v_fma_f64 v[101:102], v[101:102], v[105:106], v[101:102]
	v_fma_f64 v[105:106], -v[99:100], v[101:102], 1.0
	v_fma_f64 v[101:102], v[101:102], v[105:106], v[101:102]
	v_mul_f64 v[105:106], v[107:108], v[101:102]
	v_fma_f64 v[99:100], -v[99:100], v[105:106], v[107:108]
	v_div_fmas_f64 v[99:100], v[99:100], v[101:102], v[105:106]
	v_div_fixup_f64 v[101:102], v[99:100], v[97:98], 1.0
	v_mul_f64 v[103:104], v[103:104], -v[101:102]
.LBB71_277:
	s_or_b64 exec, exec, s[2:3]
	ds_write2_b64 v127, v[101:102], v[103:104] offset1:1
.LBB71_278:
	s_or_b64 exec, exec, s[4:5]
	s_waitcnt lgkmcnt(0)
	s_barrier
	ds_read2_b64 v[73:76], v127 offset1:1
	v_cmp_lt_u32_e32 vcc, 30, v0
	s_waitcnt lgkmcnt(0)
	buffer_store_dword v73, off, s[20:23], 0 offset:928 ; 4-byte Folded Spill
	s_nop 0
	buffer_store_dword v74, off, s[20:23], 0 offset:932 ; 4-byte Folded Spill
	buffer_store_dword v75, off, s[20:23], 0 offset:936 ; 4-byte Folded Spill
	;; [unrolled: 1-line block ×3, first 2 shown]
	s_and_saveexec_b64 s[2:3], vcc
	s_cbranch_execz .LBB71_280
; %bb.279:
	buffer_load_dword v73, off, s[20:23], 0 offset:928 ; 4-byte Folded Reload
	buffer_load_dword v74, off, s[20:23], 0 offset:932 ; 4-byte Folded Reload
	;; [unrolled: 1-line block ×4, first 2 shown]
	s_waitcnt vmcnt(2)
	v_mul_f64 v[97:98], v[73:74], v[19:20]
	s_waitcnt vmcnt(0)
	v_mul_f64 v[19:20], v[75:76], v[19:20]
	v_fma_f64 v[101:102], v[75:76], v[17:18], v[97:98]
	ds_read2_b64 v[97:100], v125 offset0:62 offset1:63
	v_fma_f64 v[17:18], v[73:74], v[17:18], -v[19:20]
	s_waitcnt lgkmcnt(0)
	v_mul_f64 v[19:20], v[99:100], v[101:102]
	v_fma_f64 v[19:20], v[97:98], v[17:18], -v[19:20]
	v_mul_f64 v[97:98], v[97:98], v[101:102]
	v_add_f64 v[13:14], v[13:14], -v[19:20]
	v_fma_f64 v[97:98], v[99:100], v[17:18], v[97:98]
	v_add_f64 v[15:16], v[15:16], -v[97:98]
	ds_read2_b64 v[97:100], v125 offset0:64 offset1:65
	s_waitcnt lgkmcnt(0)
	v_mul_f64 v[19:20], v[99:100], v[101:102]
	v_fma_f64 v[19:20], v[97:98], v[17:18], -v[19:20]
	v_mul_f64 v[97:98], v[97:98], v[101:102]
	v_add_f64 v[9:10], v[9:10], -v[19:20]
	v_fma_f64 v[97:98], v[99:100], v[17:18], v[97:98]
	v_add_f64 v[11:12], v[11:12], -v[97:98]
	ds_read2_b64 v[97:100], v125 offset0:66 offset1:67
	;; [unrolled: 8-line block ×4, first 2 shown]
	s_waitcnt lgkmcnt(0)
	v_mul_f64 v[19:20], v[99:100], v[101:102]
	v_fma_f64 v[19:20], v[97:98], v[17:18], -v[19:20]
	v_mul_f64 v[97:98], v[97:98], v[101:102]
	v_add_f64 v[113:114], v[113:114], -v[19:20]
	v_fma_f64 v[97:98], v[99:100], v[17:18], v[97:98]
	v_mov_b32_e32 v19, v101
	v_mov_b32_e32 v20, v102
	v_add_f64 v[115:116], v[115:116], -v[97:98]
.LBB71_280:
	s_or_b64 exec, exec, s[2:3]
	v_cmp_eq_u32_e32 vcc, 31, v0
	s_waitcnt vmcnt(0)
	s_barrier
	s_and_saveexec_b64 s[4:5], vcc
	s_cbranch_execz .LBB71_287
; %bb.281:
	ds_write2_b64 v127, v[13:14], v[15:16] offset1:1
	ds_write2_b64 v125, v[9:10], v[11:12] offset0:64 offset1:65
	ds_write2_b64 v125, v[5:6], v[7:8] offset0:66 offset1:67
	;; [unrolled: 1-line block ×4, first 2 shown]
	ds_read2_b64 v[97:100], v127 offset1:1
	s_waitcnt lgkmcnt(0)
	v_cmp_neq_f64_e32 vcc, 0, v[97:98]
	v_cmp_neq_f64_e64 s[2:3], 0, v[99:100]
	s_or_b64 s[2:3], vcc, s[2:3]
	s_and_b64 exec, exec, s[2:3]
	s_cbranch_execz .LBB71_287
; %bb.282:
	v_cmp_ngt_f64_e64 s[2:3], |v[97:98]|, |v[99:100]|
                                        ; implicit-def: $vgpr101_vgpr102
	s_and_saveexec_b64 s[6:7], s[2:3]
	s_xor_b64 s[2:3], exec, s[6:7]
                                        ; implicit-def: $vgpr103_vgpr104
	s_cbranch_execz .LBB71_284
; %bb.283:
	v_div_scale_f64 v[101:102], s[6:7], v[99:100], v[99:100], v[97:98]
	v_rcp_f64_e32 v[103:104], v[101:102]
	v_fma_f64 v[105:106], -v[101:102], v[103:104], 1.0
	v_fma_f64 v[103:104], v[103:104], v[105:106], v[103:104]
	v_div_scale_f64 v[105:106], vcc, v[97:98], v[99:100], v[97:98]
	v_fma_f64 v[107:108], -v[101:102], v[103:104], 1.0
	v_fma_f64 v[103:104], v[103:104], v[107:108], v[103:104]
	v_mul_f64 v[107:108], v[105:106], v[103:104]
	v_fma_f64 v[101:102], -v[101:102], v[107:108], v[105:106]
	v_div_fmas_f64 v[101:102], v[101:102], v[103:104], v[107:108]
	v_div_fixup_f64 v[101:102], v[101:102], v[99:100], v[97:98]
	v_fma_f64 v[97:98], v[97:98], v[101:102], v[99:100]
	v_div_scale_f64 v[99:100], s[6:7], v[97:98], v[97:98], 1.0
	v_div_scale_f64 v[107:108], vcc, 1.0, v[97:98], 1.0
	v_rcp_f64_e32 v[103:104], v[99:100]
	v_fma_f64 v[105:106], -v[99:100], v[103:104], 1.0
	v_fma_f64 v[103:104], v[103:104], v[105:106], v[103:104]
	v_fma_f64 v[105:106], -v[99:100], v[103:104], 1.0
	v_fma_f64 v[103:104], v[103:104], v[105:106], v[103:104]
	v_mul_f64 v[105:106], v[107:108], v[103:104]
	v_fma_f64 v[99:100], -v[99:100], v[105:106], v[107:108]
	v_div_fmas_f64 v[99:100], v[99:100], v[103:104], v[105:106]
	v_div_fixup_f64 v[103:104], v[99:100], v[97:98], 1.0
                                        ; implicit-def: $vgpr97_vgpr98
	v_mul_f64 v[101:102], v[101:102], v[103:104]
	v_xor_b32_e32 v104, 0x80000000, v104
.LBB71_284:
	s_andn2_saveexec_b64 s[2:3], s[2:3]
	s_cbranch_execz .LBB71_286
; %bb.285:
	v_div_scale_f64 v[101:102], s[6:7], v[97:98], v[97:98], v[99:100]
	v_rcp_f64_e32 v[103:104], v[101:102]
	v_fma_f64 v[105:106], -v[101:102], v[103:104], 1.0
	v_fma_f64 v[103:104], v[103:104], v[105:106], v[103:104]
	v_div_scale_f64 v[105:106], vcc, v[99:100], v[97:98], v[99:100]
	v_fma_f64 v[107:108], -v[101:102], v[103:104], 1.0
	v_fma_f64 v[103:104], v[103:104], v[107:108], v[103:104]
	v_mul_f64 v[107:108], v[105:106], v[103:104]
	v_fma_f64 v[101:102], -v[101:102], v[107:108], v[105:106]
	v_div_fmas_f64 v[101:102], v[101:102], v[103:104], v[107:108]
	v_div_fixup_f64 v[103:104], v[101:102], v[97:98], v[99:100]
	v_fma_f64 v[97:98], v[99:100], v[103:104], v[97:98]
	v_div_scale_f64 v[99:100], s[6:7], v[97:98], v[97:98], 1.0
	v_div_scale_f64 v[107:108], vcc, 1.0, v[97:98], 1.0
	v_rcp_f64_e32 v[101:102], v[99:100]
	v_fma_f64 v[105:106], -v[99:100], v[101:102], 1.0
	v_fma_f64 v[101:102], v[101:102], v[105:106], v[101:102]
	v_fma_f64 v[105:106], -v[99:100], v[101:102], 1.0
	v_fma_f64 v[101:102], v[101:102], v[105:106], v[101:102]
	v_mul_f64 v[105:106], v[107:108], v[101:102]
	v_fma_f64 v[99:100], -v[99:100], v[105:106], v[107:108]
	v_div_fmas_f64 v[99:100], v[99:100], v[101:102], v[105:106]
	v_div_fixup_f64 v[101:102], v[99:100], v[97:98], 1.0
	v_mul_f64 v[103:104], v[103:104], -v[101:102]
.LBB71_286:
	s_or_b64 exec, exec, s[2:3]
	ds_write2_b64 v127, v[101:102], v[103:104] offset1:1
.LBB71_287:
	s_or_b64 exec, exec, s[4:5]
	s_waitcnt lgkmcnt(0)
	s_barrier
	ds_read2_b64 v[73:76], v127 offset1:1
	v_cmp_lt_u32_e32 vcc, 31, v0
	s_waitcnt lgkmcnt(0)
	buffer_store_dword v73, off, s[20:23], 0 offset:944 ; 4-byte Folded Spill
	s_nop 0
	buffer_store_dword v74, off, s[20:23], 0 offset:948 ; 4-byte Folded Spill
	buffer_store_dword v75, off, s[20:23], 0 offset:952 ; 4-byte Folded Spill
	;; [unrolled: 1-line block ×3, first 2 shown]
	s_and_saveexec_b64 s[2:3], vcc
	s_cbranch_execz .LBB71_289
; %bb.288:
	buffer_load_dword v73, off, s[20:23], 0 offset:944 ; 4-byte Folded Reload
	buffer_load_dword v74, off, s[20:23], 0 offset:948 ; 4-byte Folded Reload
	;; [unrolled: 1-line block ×4, first 2 shown]
	s_waitcnt vmcnt(2)
	v_mul_f64 v[97:98], v[73:74], v[15:16]
	s_waitcnt vmcnt(0)
	v_mul_f64 v[15:16], v[75:76], v[15:16]
	v_fma_f64 v[101:102], v[75:76], v[13:14], v[97:98]
	ds_read2_b64 v[97:100], v125 offset0:64 offset1:65
	v_fma_f64 v[13:14], v[73:74], v[13:14], -v[15:16]
	s_waitcnt lgkmcnt(0)
	v_mul_f64 v[15:16], v[99:100], v[101:102]
	v_fma_f64 v[15:16], v[97:98], v[13:14], -v[15:16]
	v_mul_f64 v[97:98], v[97:98], v[101:102]
	v_add_f64 v[9:10], v[9:10], -v[15:16]
	v_fma_f64 v[97:98], v[99:100], v[13:14], v[97:98]
	v_add_f64 v[11:12], v[11:12], -v[97:98]
	ds_read2_b64 v[97:100], v125 offset0:66 offset1:67
	s_waitcnt lgkmcnt(0)
	v_mul_f64 v[15:16], v[99:100], v[101:102]
	v_fma_f64 v[15:16], v[97:98], v[13:14], -v[15:16]
	v_mul_f64 v[97:98], v[97:98], v[101:102]
	v_add_f64 v[5:6], v[5:6], -v[15:16]
	v_fma_f64 v[97:98], v[99:100], v[13:14], v[97:98]
	v_add_f64 v[7:8], v[7:8], -v[97:98]
	ds_read2_b64 v[97:100], v125 offset0:68 offset1:69
	;; [unrolled: 8-line block ×3, first 2 shown]
	s_waitcnt lgkmcnt(0)
	v_mul_f64 v[15:16], v[99:100], v[101:102]
	v_fma_f64 v[15:16], v[97:98], v[13:14], -v[15:16]
	v_mul_f64 v[97:98], v[97:98], v[101:102]
	v_add_f64 v[113:114], v[113:114], -v[15:16]
	v_fma_f64 v[97:98], v[99:100], v[13:14], v[97:98]
	v_mov_b32_e32 v15, v101
	v_mov_b32_e32 v16, v102
	v_add_f64 v[115:116], v[115:116], -v[97:98]
.LBB71_289:
	s_or_b64 exec, exec, s[2:3]
	v_cmp_eq_u32_e32 vcc, 32, v0
	s_waitcnt vmcnt(0)
	s_barrier
	s_and_saveexec_b64 s[4:5], vcc
	s_cbranch_execz .LBB71_296
; %bb.290:
	ds_write2_b64 v127, v[9:10], v[11:12] offset1:1
	ds_write2_b64 v125, v[5:6], v[7:8] offset0:66 offset1:67
	ds_write2_b64 v125, v[1:2], v[3:4] offset0:68 offset1:69
	ds_write2_b64 v125, v[113:114], v[115:116] offset0:70 offset1:71
	ds_read2_b64 v[97:100], v127 offset1:1
	s_waitcnt lgkmcnt(0)
	v_cmp_neq_f64_e32 vcc, 0, v[97:98]
	v_cmp_neq_f64_e64 s[2:3], 0, v[99:100]
	s_or_b64 s[2:3], vcc, s[2:3]
	s_and_b64 exec, exec, s[2:3]
	s_cbranch_execz .LBB71_296
; %bb.291:
	v_cmp_ngt_f64_e64 s[2:3], |v[97:98]|, |v[99:100]|
                                        ; implicit-def: $vgpr101_vgpr102
	s_and_saveexec_b64 s[6:7], s[2:3]
	s_xor_b64 s[2:3], exec, s[6:7]
                                        ; implicit-def: $vgpr103_vgpr104
	s_cbranch_execz .LBB71_293
; %bb.292:
	v_div_scale_f64 v[101:102], s[6:7], v[99:100], v[99:100], v[97:98]
	v_rcp_f64_e32 v[103:104], v[101:102]
	v_fma_f64 v[105:106], -v[101:102], v[103:104], 1.0
	v_fma_f64 v[103:104], v[103:104], v[105:106], v[103:104]
	v_div_scale_f64 v[105:106], vcc, v[97:98], v[99:100], v[97:98]
	v_fma_f64 v[107:108], -v[101:102], v[103:104], 1.0
	v_fma_f64 v[103:104], v[103:104], v[107:108], v[103:104]
	v_mul_f64 v[107:108], v[105:106], v[103:104]
	v_fma_f64 v[101:102], -v[101:102], v[107:108], v[105:106]
	v_div_fmas_f64 v[101:102], v[101:102], v[103:104], v[107:108]
	v_div_fixup_f64 v[101:102], v[101:102], v[99:100], v[97:98]
	v_fma_f64 v[97:98], v[97:98], v[101:102], v[99:100]
	v_div_scale_f64 v[99:100], s[6:7], v[97:98], v[97:98], 1.0
	v_div_scale_f64 v[107:108], vcc, 1.0, v[97:98], 1.0
	v_rcp_f64_e32 v[103:104], v[99:100]
	v_fma_f64 v[105:106], -v[99:100], v[103:104], 1.0
	v_fma_f64 v[103:104], v[103:104], v[105:106], v[103:104]
	v_fma_f64 v[105:106], -v[99:100], v[103:104], 1.0
	v_fma_f64 v[103:104], v[103:104], v[105:106], v[103:104]
	v_mul_f64 v[105:106], v[107:108], v[103:104]
	v_fma_f64 v[99:100], -v[99:100], v[105:106], v[107:108]
	v_div_fmas_f64 v[99:100], v[99:100], v[103:104], v[105:106]
	v_div_fixup_f64 v[103:104], v[99:100], v[97:98], 1.0
                                        ; implicit-def: $vgpr97_vgpr98
	v_mul_f64 v[101:102], v[101:102], v[103:104]
	v_xor_b32_e32 v104, 0x80000000, v104
.LBB71_293:
	s_andn2_saveexec_b64 s[2:3], s[2:3]
	s_cbranch_execz .LBB71_295
; %bb.294:
	v_div_scale_f64 v[101:102], s[6:7], v[97:98], v[97:98], v[99:100]
	v_rcp_f64_e32 v[103:104], v[101:102]
	v_fma_f64 v[105:106], -v[101:102], v[103:104], 1.0
	v_fma_f64 v[103:104], v[103:104], v[105:106], v[103:104]
	v_div_scale_f64 v[105:106], vcc, v[99:100], v[97:98], v[99:100]
	v_fma_f64 v[107:108], -v[101:102], v[103:104], 1.0
	v_fma_f64 v[103:104], v[103:104], v[107:108], v[103:104]
	v_mul_f64 v[107:108], v[105:106], v[103:104]
	v_fma_f64 v[101:102], -v[101:102], v[107:108], v[105:106]
	v_div_fmas_f64 v[101:102], v[101:102], v[103:104], v[107:108]
	v_div_fixup_f64 v[103:104], v[101:102], v[97:98], v[99:100]
	v_fma_f64 v[97:98], v[99:100], v[103:104], v[97:98]
	v_div_scale_f64 v[99:100], s[6:7], v[97:98], v[97:98], 1.0
	v_div_scale_f64 v[107:108], vcc, 1.0, v[97:98], 1.0
	v_rcp_f64_e32 v[101:102], v[99:100]
	v_fma_f64 v[105:106], -v[99:100], v[101:102], 1.0
	v_fma_f64 v[101:102], v[101:102], v[105:106], v[101:102]
	v_fma_f64 v[105:106], -v[99:100], v[101:102], 1.0
	v_fma_f64 v[101:102], v[101:102], v[105:106], v[101:102]
	v_mul_f64 v[105:106], v[107:108], v[101:102]
	v_fma_f64 v[99:100], -v[99:100], v[105:106], v[107:108]
	v_div_fmas_f64 v[99:100], v[99:100], v[101:102], v[105:106]
	v_div_fixup_f64 v[101:102], v[99:100], v[97:98], 1.0
	v_mul_f64 v[103:104], v[103:104], -v[101:102]
.LBB71_295:
	s_or_b64 exec, exec, s[2:3]
	ds_write2_b64 v127, v[101:102], v[103:104] offset1:1
.LBB71_296:
	s_or_b64 exec, exec, s[4:5]
	s_waitcnt lgkmcnt(0)
	s_barrier
	ds_read2_b64 v[73:76], v127 offset1:1
	v_cmp_lt_u32_e32 vcc, 32, v0
	s_waitcnt lgkmcnt(0)
	buffer_store_dword v73, off, s[20:23], 0 offset:960 ; 4-byte Folded Spill
	s_nop 0
	buffer_store_dword v74, off, s[20:23], 0 offset:964 ; 4-byte Folded Spill
	buffer_store_dword v75, off, s[20:23], 0 offset:968 ; 4-byte Folded Spill
	;; [unrolled: 1-line block ×3, first 2 shown]
	s_and_saveexec_b64 s[2:3], vcc
	s_cbranch_execz .LBB71_298
; %bb.297:
	buffer_load_dword v73, off, s[20:23], 0 offset:960 ; 4-byte Folded Reload
	buffer_load_dword v74, off, s[20:23], 0 offset:964 ; 4-byte Folded Reload
	buffer_load_dword v75, off, s[20:23], 0 offset:968 ; 4-byte Folded Reload
	buffer_load_dword v76, off, s[20:23], 0 offset:972 ; 4-byte Folded Reload
	s_waitcnt vmcnt(2)
	v_mul_f64 v[97:98], v[73:74], v[11:12]
	s_waitcnt vmcnt(0)
	v_mul_f64 v[11:12], v[75:76], v[11:12]
	v_fma_f64 v[101:102], v[75:76], v[9:10], v[97:98]
	ds_read2_b64 v[97:100], v125 offset0:66 offset1:67
	v_fma_f64 v[9:10], v[73:74], v[9:10], -v[11:12]
	s_waitcnt lgkmcnt(0)
	v_mul_f64 v[11:12], v[99:100], v[101:102]
	v_fma_f64 v[11:12], v[97:98], v[9:10], -v[11:12]
	v_mul_f64 v[97:98], v[97:98], v[101:102]
	v_add_f64 v[5:6], v[5:6], -v[11:12]
	v_fma_f64 v[97:98], v[99:100], v[9:10], v[97:98]
	v_add_f64 v[7:8], v[7:8], -v[97:98]
	ds_read2_b64 v[97:100], v125 offset0:68 offset1:69
	s_waitcnt lgkmcnt(0)
	v_mul_f64 v[11:12], v[99:100], v[101:102]
	v_fma_f64 v[11:12], v[97:98], v[9:10], -v[11:12]
	v_mul_f64 v[97:98], v[97:98], v[101:102]
	v_add_f64 v[1:2], v[1:2], -v[11:12]
	v_fma_f64 v[97:98], v[99:100], v[9:10], v[97:98]
	v_add_f64 v[3:4], v[3:4], -v[97:98]
	ds_read2_b64 v[97:100], v125 offset0:70 offset1:71
	s_waitcnt lgkmcnt(0)
	v_mul_f64 v[11:12], v[99:100], v[101:102]
	v_fma_f64 v[11:12], v[97:98], v[9:10], -v[11:12]
	v_mul_f64 v[97:98], v[97:98], v[101:102]
	v_add_f64 v[113:114], v[113:114], -v[11:12]
	v_fma_f64 v[97:98], v[99:100], v[9:10], v[97:98]
	v_mov_b32_e32 v11, v101
	v_mov_b32_e32 v12, v102
	v_add_f64 v[115:116], v[115:116], -v[97:98]
.LBB71_298:
	s_or_b64 exec, exec, s[2:3]
	v_cmp_eq_u32_e32 vcc, 33, v0
	s_waitcnt vmcnt(0)
	s_barrier
	s_and_saveexec_b64 s[4:5], vcc
	s_cbranch_execz .LBB71_305
; %bb.299:
	ds_write2_b64 v127, v[5:6], v[7:8] offset1:1
	ds_write2_b64 v125, v[1:2], v[3:4] offset0:68 offset1:69
	ds_write2_b64 v125, v[113:114], v[115:116] offset0:70 offset1:71
	ds_read2_b64 v[97:100], v127 offset1:1
	s_waitcnt lgkmcnt(0)
	v_cmp_neq_f64_e32 vcc, 0, v[97:98]
	v_cmp_neq_f64_e64 s[2:3], 0, v[99:100]
	s_or_b64 s[2:3], vcc, s[2:3]
	s_and_b64 exec, exec, s[2:3]
	s_cbranch_execz .LBB71_305
; %bb.300:
	v_cmp_ngt_f64_e64 s[2:3], |v[97:98]|, |v[99:100]|
                                        ; implicit-def: $vgpr101_vgpr102
	s_and_saveexec_b64 s[6:7], s[2:3]
	s_xor_b64 s[2:3], exec, s[6:7]
                                        ; implicit-def: $vgpr103_vgpr104
	s_cbranch_execz .LBB71_302
; %bb.301:
	v_div_scale_f64 v[101:102], s[6:7], v[99:100], v[99:100], v[97:98]
	v_rcp_f64_e32 v[103:104], v[101:102]
	v_fma_f64 v[105:106], -v[101:102], v[103:104], 1.0
	v_fma_f64 v[103:104], v[103:104], v[105:106], v[103:104]
	v_div_scale_f64 v[105:106], vcc, v[97:98], v[99:100], v[97:98]
	v_fma_f64 v[107:108], -v[101:102], v[103:104], 1.0
	v_fma_f64 v[103:104], v[103:104], v[107:108], v[103:104]
	v_mul_f64 v[107:108], v[105:106], v[103:104]
	v_fma_f64 v[101:102], -v[101:102], v[107:108], v[105:106]
	v_div_fmas_f64 v[101:102], v[101:102], v[103:104], v[107:108]
	v_div_fixup_f64 v[101:102], v[101:102], v[99:100], v[97:98]
	v_fma_f64 v[97:98], v[97:98], v[101:102], v[99:100]
	v_div_scale_f64 v[99:100], s[6:7], v[97:98], v[97:98], 1.0
	v_div_scale_f64 v[107:108], vcc, 1.0, v[97:98], 1.0
	v_rcp_f64_e32 v[103:104], v[99:100]
	v_fma_f64 v[105:106], -v[99:100], v[103:104], 1.0
	v_fma_f64 v[103:104], v[103:104], v[105:106], v[103:104]
	v_fma_f64 v[105:106], -v[99:100], v[103:104], 1.0
	v_fma_f64 v[103:104], v[103:104], v[105:106], v[103:104]
	v_mul_f64 v[105:106], v[107:108], v[103:104]
	v_fma_f64 v[99:100], -v[99:100], v[105:106], v[107:108]
	v_div_fmas_f64 v[99:100], v[99:100], v[103:104], v[105:106]
	v_div_fixup_f64 v[103:104], v[99:100], v[97:98], 1.0
                                        ; implicit-def: $vgpr97_vgpr98
	v_mul_f64 v[101:102], v[101:102], v[103:104]
	v_xor_b32_e32 v104, 0x80000000, v104
.LBB71_302:
	s_andn2_saveexec_b64 s[2:3], s[2:3]
	s_cbranch_execz .LBB71_304
; %bb.303:
	v_div_scale_f64 v[101:102], s[6:7], v[97:98], v[97:98], v[99:100]
	v_rcp_f64_e32 v[103:104], v[101:102]
	v_fma_f64 v[105:106], -v[101:102], v[103:104], 1.0
	v_fma_f64 v[103:104], v[103:104], v[105:106], v[103:104]
	v_div_scale_f64 v[105:106], vcc, v[99:100], v[97:98], v[99:100]
	v_fma_f64 v[107:108], -v[101:102], v[103:104], 1.0
	v_fma_f64 v[103:104], v[103:104], v[107:108], v[103:104]
	v_mul_f64 v[107:108], v[105:106], v[103:104]
	v_fma_f64 v[101:102], -v[101:102], v[107:108], v[105:106]
	v_div_fmas_f64 v[101:102], v[101:102], v[103:104], v[107:108]
	v_div_fixup_f64 v[103:104], v[101:102], v[97:98], v[99:100]
	v_fma_f64 v[97:98], v[99:100], v[103:104], v[97:98]
	v_div_scale_f64 v[99:100], s[6:7], v[97:98], v[97:98], 1.0
	v_div_scale_f64 v[107:108], vcc, 1.0, v[97:98], 1.0
	v_rcp_f64_e32 v[101:102], v[99:100]
	v_fma_f64 v[105:106], -v[99:100], v[101:102], 1.0
	v_fma_f64 v[101:102], v[101:102], v[105:106], v[101:102]
	v_fma_f64 v[105:106], -v[99:100], v[101:102], 1.0
	v_fma_f64 v[101:102], v[101:102], v[105:106], v[101:102]
	v_mul_f64 v[105:106], v[107:108], v[101:102]
	v_fma_f64 v[99:100], -v[99:100], v[105:106], v[107:108]
	v_div_fmas_f64 v[99:100], v[99:100], v[101:102], v[105:106]
	v_div_fixup_f64 v[101:102], v[99:100], v[97:98], 1.0
	v_mul_f64 v[103:104], v[103:104], -v[101:102]
.LBB71_304:
	s_or_b64 exec, exec, s[2:3]
	ds_write2_b64 v127, v[101:102], v[103:104] offset1:1
.LBB71_305:
	s_or_b64 exec, exec, s[4:5]
	s_waitcnt lgkmcnt(0)
	s_barrier
	ds_read2_b64 v[101:104], v127 offset1:1
	v_cmp_lt_u32_e32 vcc, 33, v0
	s_and_saveexec_b64 s[2:3], vcc
	s_cbranch_execz .LBB71_307
; %bb.306:
	s_waitcnt lgkmcnt(0)
	v_mul_f64 v[97:98], v[101:102], v[7:8]
	v_mul_f64 v[7:8], v[103:104], v[7:8]
	v_fma_f64 v[105:106], v[103:104], v[5:6], v[97:98]
	ds_read2_b64 v[97:100], v125 offset0:68 offset1:69
	v_fma_f64 v[5:6], v[101:102], v[5:6], -v[7:8]
	s_waitcnt lgkmcnt(0)
	v_mul_f64 v[7:8], v[99:100], v[105:106]
	v_fma_f64 v[7:8], v[97:98], v[5:6], -v[7:8]
	v_mul_f64 v[97:98], v[97:98], v[105:106]
	v_add_f64 v[1:2], v[1:2], -v[7:8]
	v_fma_f64 v[97:98], v[99:100], v[5:6], v[97:98]
	v_add_f64 v[3:4], v[3:4], -v[97:98]
	ds_read2_b64 v[97:100], v125 offset0:70 offset1:71
	s_waitcnt lgkmcnt(0)
	v_mul_f64 v[7:8], v[99:100], v[105:106]
	v_fma_f64 v[7:8], v[97:98], v[5:6], -v[7:8]
	v_mul_f64 v[97:98], v[97:98], v[105:106]
	v_add_f64 v[113:114], v[113:114], -v[7:8]
	v_fma_f64 v[97:98], v[99:100], v[5:6], v[97:98]
	v_mov_b32_e32 v7, v105
	v_mov_b32_e32 v8, v106
	v_add_f64 v[115:116], v[115:116], -v[97:98]
.LBB71_307:
	s_or_b64 exec, exec, s[2:3]
	v_cmp_eq_u32_e32 vcc, 34, v0
	s_waitcnt lgkmcnt(0)
	s_barrier
	s_and_saveexec_b64 s[4:5], vcc
	s_cbranch_execz .LBB71_314
; %bb.308:
	ds_write2_b64 v127, v[1:2], v[3:4] offset1:1
	ds_write2_b64 v125, v[113:114], v[115:116] offset0:70 offset1:71
	ds_read2_b64 v[97:100], v127 offset1:1
	s_waitcnt lgkmcnt(0)
	v_cmp_neq_f64_e32 vcc, 0, v[97:98]
	v_cmp_neq_f64_e64 s[2:3], 0, v[99:100]
	s_or_b64 s[2:3], vcc, s[2:3]
	s_and_b64 exec, exec, s[2:3]
	s_cbranch_execz .LBB71_314
; %bb.309:
	v_cmp_ngt_f64_e64 s[2:3], |v[97:98]|, |v[99:100]|
                                        ; implicit-def: $vgpr105_vgpr106
	s_and_saveexec_b64 s[6:7], s[2:3]
	s_xor_b64 s[2:3], exec, s[6:7]
                                        ; implicit-def: $vgpr107_vgpr108
	s_cbranch_execz .LBB71_311
; %bb.310:
	v_div_scale_f64 v[105:106], s[6:7], v[99:100], v[99:100], v[97:98]
	v_mov_b32_e32 v73, v77
	v_mov_b32_e32 v74, v78
	v_mov_b32_e32 v75, v79
	v_mov_b32_e32 v76, v80
	v_mov_b32_e32 v77, v93
	v_mov_b32_e32 v78, v94
	v_mov_b32_e32 v79, v95
	v_mov_b32_e32 v80, v96
	v_div_scale_f64 v[95:96], vcc, v[97:98], v[99:100], v[97:98]
	v_rcp_f64_e32 v[107:108], v[105:106]
	v_fma_f64 v[93:94], -v[105:106], v[107:108], 1.0
	v_fma_f64 v[93:94], v[107:108], v[93:94], v[107:108]
	v_fma_f64 v[107:108], -v[105:106], v[93:94], 1.0
	v_fma_f64 v[93:94], v[93:94], v[107:108], v[93:94]
	v_mul_f64 v[107:108], v[95:96], v[93:94]
	v_fma_f64 v[95:96], -v[105:106], v[107:108], v[95:96]
	v_div_fmas_f64 v[93:94], v[95:96], v[93:94], v[107:108]
	v_div_fixup_f64 v[93:94], v[93:94], v[99:100], v[97:98]
	v_fma_f64 v[95:96], v[97:98], v[93:94], v[99:100]
	v_div_scale_f64 v[97:98], s[6:7], v[95:96], v[95:96], 1.0
	v_div_scale_f64 v[107:108], vcc, 1.0, v[95:96], 1.0
	v_rcp_f64_e32 v[99:100], v[97:98]
	v_fma_f64 v[105:106], -v[97:98], v[99:100], 1.0
	v_fma_f64 v[99:100], v[99:100], v[105:106], v[99:100]
	v_fma_f64 v[105:106], -v[97:98], v[99:100], 1.0
	v_fma_f64 v[99:100], v[99:100], v[105:106], v[99:100]
	v_mul_f64 v[105:106], v[107:108], v[99:100]
	v_fma_f64 v[97:98], -v[97:98], v[105:106], v[107:108]
	v_div_fmas_f64 v[97:98], v[97:98], v[99:100], v[105:106]
	v_div_fixup_f64 v[107:108], v[97:98], v[95:96], 1.0
                                        ; implicit-def: $vgpr97_vgpr98
	v_mul_f64 v[105:106], v[93:94], v[107:108]
	v_mov_b32_e32 v96, v80
	v_mov_b32_e32 v95, v79
	;; [unrolled: 1-line block ×8, first 2 shown]
	v_xor_b32_e32 v108, 0x80000000, v108
.LBB71_311:
	s_andn2_saveexec_b64 s[2:3], s[2:3]
	s_cbranch_execz .LBB71_313
; %bb.312:
	v_mov_b32_e32 v73, v81
	v_mov_b32_e32 v74, v82
	v_mov_b32_e32 v75, v83
	v_mov_b32_e32 v76, v84
	v_mov_b32_e32 v81, v93
	v_mov_b32_e32 v82, v94
	v_mov_b32_e32 v83, v95
	v_mov_b32_e32 v84, v96
	v_div_scale_f64 v[93:94], s[6:7], v[97:98], v[97:98], v[99:100]
	v_rcp_f64_e32 v[95:96], v[93:94]
	v_fma_f64 v[105:106], -v[93:94], v[95:96], 1.0
	v_fma_f64 v[95:96], v[95:96], v[105:106], v[95:96]
	v_div_scale_f64 v[105:106], vcc, v[99:100], v[97:98], v[99:100]
	v_fma_f64 v[107:108], -v[93:94], v[95:96], 1.0
	v_fma_f64 v[95:96], v[95:96], v[107:108], v[95:96]
	v_mul_f64 v[107:108], v[105:106], v[95:96]
	v_fma_f64 v[93:94], -v[93:94], v[107:108], v[105:106]
	v_div_fmas_f64 v[93:94], v[93:94], v[95:96], v[107:108]
	v_div_fixup_f64 v[93:94], v[93:94], v[97:98], v[99:100]
	v_fma_f64 v[95:96], v[99:100], v[93:94], v[97:98]
	v_div_scale_f64 v[97:98], s[6:7], v[95:96], v[95:96], 1.0
	v_div_scale_f64 v[107:108], vcc, 1.0, v[95:96], 1.0
	v_rcp_f64_e32 v[99:100], v[97:98]
	v_fma_f64 v[105:106], -v[97:98], v[99:100], 1.0
	v_fma_f64 v[99:100], v[99:100], v[105:106], v[99:100]
	v_fma_f64 v[105:106], -v[97:98], v[99:100], 1.0
	v_fma_f64 v[99:100], v[99:100], v[105:106], v[99:100]
	v_mul_f64 v[105:106], v[107:108], v[99:100]
	v_fma_f64 v[97:98], -v[97:98], v[105:106], v[107:108]
	v_div_fmas_f64 v[97:98], v[97:98], v[99:100], v[105:106]
	v_div_fixup_f64 v[105:106], v[97:98], v[95:96], 1.0
	v_mul_f64 v[107:108], v[93:94], -v[105:106]
	v_mov_b32_e32 v96, v84
	v_mov_b32_e32 v95, v83
	;; [unrolled: 1-line block ×8, first 2 shown]
.LBB71_313:
	s_or_b64 exec, exec, s[2:3]
	ds_write2_b64 v127, v[105:106], v[107:108] offset1:1
.LBB71_314:
	s_or_b64 exec, exec, s[4:5]
	s_waitcnt lgkmcnt(0)
	s_barrier
	ds_read2_b64 v[97:100], v127 offset1:1
	v_cmp_lt_u32_e32 vcc, 34, v0
	s_and_saveexec_b64 s[2:3], vcc
	s_cbranch_execz .LBB71_316
; %bb.315:
	v_mov_b32_e32 v73, v81
	v_mov_b32_e32 v74, v82
	;; [unrolled: 1-line block ×8, first 2 shown]
	s_waitcnt lgkmcnt(0)
	v_mul_f64 v[93:94], v[97:98], v[3:4]
	v_mul_f64 v[3:4], v[99:100], v[3:4]
	ds_read2_b64 v[105:108], v125 offset0:70 offset1:71
	v_fma_f64 v[93:94], v[99:100], v[1:2], v[93:94]
	v_fma_f64 v[1:2], v[97:98], v[1:2], -v[3:4]
	s_waitcnt lgkmcnt(0)
	v_mul_f64 v[3:4], v[107:108], v[93:94]
	v_mul_f64 v[95:96], v[105:106], v[93:94]
	v_fma_f64 v[3:4], v[105:106], v[1:2], -v[3:4]
	v_fma_f64 v[95:96], v[107:108], v[1:2], v[95:96]
	v_add_f64 v[113:114], v[113:114], -v[3:4]
	v_add_f64 v[115:116], v[115:116], -v[95:96]
	v_mov_b32_e32 v3, v93
	v_mov_b32_e32 v4, v94
	;; [unrolled: 1-line block ×10, first 2 shown]
.LBB71_316:
	s_or_b64 exec, exec, s[2:3]
	v_cmp_eq_u32_e32 vcc, 35, v0
	s_waitcnt lgkmcnt(0)
	s_barrier
	s_and_saveexec_b64 s[4:5], vcc
	s_cbranch_execz .LBB71_323
; %bb.317:
	v_cmp_neq_f64_e32 vcc, 0, v[113:114]
	v_cmp_neq_f64_e64 s[2:3], 0, v[115:116]
	ds_write2_b64 v127, v[113:114], v[115:116] offset1:1
	s_or_b64 s[2:3], vcc, s[2:3]
	s_and_b64 exec, exec, s[2:3]
	s_cbranch_execz .LBB71_323
; %bb.318:
	v_cmp_ngt_f64_e64 s[2:3], |v[113:114]|, |v[115:116]|
                                        ; implicit-def: $vgpr105_vgpr106
	s_and_saveexec_b64 s[6:7], s[2:3]
	s_xor_b64 s[2:3], exec, s[6:7]
                                        ; implicit-def: $vgpr107_vgpr108
	s_cbranch_execz .LBB71_320
; %bb.319:
	v_mov_b32_e32 v73, v121
	v_mov_b32_e32 v74, v122
	;; [unrolled: 1-line block ×92, first 2 shown]
	v_div_scale_f64 v[93:94], s[6:7], v[115:116], v[115:116], v[113:114]
	v_rcp_f64_e32 v[95:96], v[93:94]
	v_fma_f64 v[105:106], -v[93:94], v[95:96], 1.0
	v_fma_f64 v[95:96], v[95:96], v[105:106], v[95:96]
	v_div_scale_f64 v[105:106], vcc, v[113:114], v[115:116], v[113:114]
	v_fma_f64 v[107:108], -v[93:94], v[95:96], 1.0
	v_fma_f64 v[95:96], v[95:96], v[107:108], v[95:96]
	v_mul_f64 v[107:108], v[105:106], v[95:96]
	v_fma_f64 v[93:94], -v[93:94], v[107:108], v[105:106]
	v_div_fmas_f64 v[93:94], v[93:94], v[95:96], v[107:108]
	v_div_fixup_f64 v[93:94], v[93:94], v[115:116], v[113:114]
	v_fma_f64 v[95:96], v[113:114], v[93:94], v[115:116]
	v_div_scale_f64 v[105:106], s[6:7], v[95:96], v[95:96], 1.0
	v_div_scale_f64 v[89:90], vcc, 1.0, v[95:96], 1.0
	v_rcp_f64_e32 v[107:108], v[105:106]
	v_fma_f64 v[125:126], -v[105:106], v[107:108], 1.0
	v_fma_f64 v[107:108], v[107:108], v[125:126], v[107:108]
	v_fma_f64 v[125:126], -v[105:106], v[107:108], 1.0
	v_fma_f64 v[91:92], v[107:108], v[125:126], v[107:108]
	v_mul_f64 v[107:108], v[89:90], v[91:92]
	v_fma_f64 v[89:90], -v[105:106], v[107:108], v[89:90]
	v_div_fmas_f64 v[89:90], v[89:90], v[91:92], v[107:108]
	v_div_fixup_f64 v[107:108], v[89:90], v[95:96], 1.0
	buffer_load_dword v89, off, s[20:23], 0 offset:176 ; 4-byte Folded Reload
	buffer_load_dword v90, off, s[20:23], 0 offset:180 ; 4-byte Folded Reload
	;; [unrolled: 1-line block ×4, first 2 shown]
	v_mul_f64 v[105:106], v[93:94], v[107:108]
	v_mov_b32_e32 v96, v80
	v_mov_b32_e32 v95, v79
	;; [unrolled: 1-line block ×92, first 2 shown]
	v_xor_b32_e32 v108, 0x80000000, v108
.LBB71_320:
	s_andn2_saveexec_b64 s[2:3], s[2:3]
	s_cbranch_execz .LBB71_322
; %bb.321:
	s_waitcnt vmcnt(2)
	v_div_scale_f64 v[89:90], s[6:7], v[113:114], v[113:114], v[115:116]
	v_mov_b32_e32 v73, v77
	v_mov_b32_e32 v74, v78
	v_mov_b32_e32 v75, v79
	v_mov_b32_e32 v76, v80
	v_mov_b32_e32 v77, v93
	v_mov_b32_e32 v78, v94
	v_mov_b32_e32 v79, v95
	v_mov_b32_e32 v80, v96
	s_waitcnt vmcnt(0)
	v_rcp_f64_e32 v[91:92], v[89:90]
	v_fma_f64 v[93:94], -v[89:90], v[91:92], 1.0
	v_fma_f64 v[91:92], v[91:92], v[93:94], v[91:92]
	v_div_scale_f64 v[93:94], vcc, v[115:116], v[113:114], v[115:116]
	v_fma_f64 v[95:96], -v[89:90], v[91:92], 1.0
	v_fma_f64 v[91:92], v[91:92], v[95:96], v[91:92]
	v_mul_f64 v[95:96], v[93:94], v[91:92]
	v_fma_f64 v[89:90], -v[89:90], v[95:96], v[93:94]
	v_div_fmas_f64 v[89:90], v[89:90], v[91:92], v[95:96]
	v_div_fixup_f64 v[89:90], v[89:90], v[113:114], v[115:116]
	v_fma_f64 v[91:92], v[115:116], v[89:90], v[113:114]
	v_div_scale_f64 v[93:94], s[6:7], v[91:92], v[91:92], 1.0
	v_div_scale_f64 v[107:108], vcc, 1.0, v[91:92], 1.0
	v_rcp_f64_e32 v[95:96], v[93:94]
	v_fma_f64 v[105:106], -v[93:94], v[95:96], 1.0
	v_fma_f64 v[95:96], v[95:96], v[105:106], v[95:96]
	v_fma_f64 v[105:106], -v[93:94], v[95:96], 1.0
	v_fma_f64 v[95:96], v[95:96], v[105:106], v[95:96]
	v_mul_f64 v[105:106], v[107:108], v[95:96]
	v_fma_f64 v[93:94], -v[93:94], v[105:106], v[107:108]
	v_div_fmas_f64 v[93:94], v[93:94], v[95:96], v[105:106]
	v_div_fixup_f64 v[105:106], v[93:94], v[91:92], 1.0
	v_mov_b32_e32 v96, v80
	v_mov_b32_e32 v95, v79
	;; [unrolled: 1-line block ×7, first 2 shown]
	v_mul_f64 v[107:108], v[89:90], -v[105:106]
	buffer_load_dword v89, off, s[20:23], 0 offset:176 ; 4-byte Folded Reload
	buffer_load_dword v90, off, s[20:23], 0 offset:180 ; 4-byte Folded Reload
	buffer_load_dword v91, off, s[20:23], 0 offset:184 ; 4-byte Folded Reload
	buffer_load_dword v92, off, s[20:23], 0 offset:188 ; 4-byte Folded Reload
	v_mov_b32_e32 v77, v73
.LBB71_322:
	s_or_b64 exec, exec, s[2:3]
	ds_write2_b64 v127, v[105:106], v[107:108] offset1:1
.LBB71_323:
	s_or_b64 exec, exec, s[4:5]
	s_waitcnt vmcnt(0) lgkmcnt(0)
	s_barrier
	ds_read2_b64 v[105:108], v127 offset1:1
	s_waitcnt lgkmcnt(0)
	s_barrier
	s_and_saveexec_b64 s[2:3], s[0:1]
	s_cbranch_execz .LBB71_326
; %bb.324:
	buffer_load_dword v73, off, s[20:23], 0 offset:512 ; 4-byte Folded Reload
	buffer_load_dword v74, off, s[20:23], 0 offset:516 ; 4-byte Folded Reload
	buffer_load_dword v75, off, s[20:23], 0 offset:520 ; 4-byte Folded Reload
	buffer_load_dword v76, off, s[20:23], 0 offset:524 ; 4-byte Folded Reload
	s_waitcnt vmcnt(2)
	v_cmp_eq_f64_e32 vcc, 0, v[73:74]
	s_waitcnt vmcnt(0)
	v_cmp_eq_f64_e64 s[0:1], 0, v[75:76]
	buffer_load_dword v73, off, s[20:23], 0 offset:528 ; 4-byte Folded Reload
	buffer_load_dword v74, off, s[20:23], 0 offset:532 ; 4-byte Folded Reload
	;; [unrolled: 1-line block ×4, first 2 shown]
	s_and_b64 s[4:5], vcc, s[0:1]
	v_cndmask_b32_e64 v89, 0, 1, s[4:5]
	s_waitcnt vmcnt(2)
	v_cmp_neq_f64_e32 vcc, 0, v[73:74]
	s_waitcnt vmcnt(0)
	v_cmp_neq_f64_e64 s[0:1], 0, v[75:76]
	buffer_load_dword v73, off, s[20:23], 0 offset:544 ; 4-byte Folded Reload
	buffer_load_dword v74, off, s[20:23], 0 offset:548 ; 4-byte Folded Reload
	;; [unrolled: 1-line block ×4, first 2 shown]
	s_or_b64 s[0:1], vcc, s[0:1]
	s_or_b64 vcc, s[0:1], s[4:5]
	v_cndmask_b32_e32 v89, 2, v89, vcc
	s_waitcnt vmcnt(2)
	v_cmp_eq_f64_e32 vcc, 0, v[73:74]
	s_waitcnt vmcnt(0)
	v_cmp_eq_f64_e64 s[0:1], 0, v[75:76]
	buffer_load_dword v73, off, s[20:23], 0 offset:560 ; 4-byte Folded Reload
	buffer_load_dword v74, off, s[20:23], 0 offset:564 ; 4-byte Folded Reload
	buffer_load_dword v75, off, s[20:23], 0 offset:568 ; 4-byte Folded Reload
	buffer_load_dword v76, off, s[20:23], 0 offset:572 ; 4-byte Folded Reload
	s_and_b64 s[0:1], vcc, s[0:1]
	v_cmp_eq_u32_e32 vcc, 0, v89
	s_and_b64 s[0:1], s[0:1], vcc
	v_cndmask_b32_e64 v89, v89, 3, s[0:1]
	s_waitcnt vmcnt(2)
	v_cmp_eq_f64_e32 vcc, 0, v[73:74]
	s_waitcnt vmcnt(0)
	v_cmp_eq_f64_e64 s[0:1], 0, v[75:76]
	buffer_load_dword v73, off, s[20:23], 0 offset:576 ; 4-byte Folded Reload
	buffer_load_dword v74, off, s[20:23], 0 offset:580 ; 4-byte Folded Reload
	buffer_load_dword v75, off, s[20:23], 0 offset:584 ; 4-byte Folded Reload
	buffer_load_dword v76, off, s[20:23], 0 offset:588 ; 4-byte Folded Reload
	s_and_b64 s[0:1], vcc, s[0:1]
	v_cmp_eq_u32_e32 vcc, 0, v89
	s_and_b64 s[0:1], s[0:1], vcc
	v_cndmask_b32_e64 v89, v89, 4, s[0:1]
	;; [unrolled: 12-line block ×7, first 2 shown]
	v_cmp_eq_f64_e32 vcc, 0, v[121:122]
	v_cmp_eq_f64_e64 s[0:1], 0, v[123:124]
	s_and_b64 s[0:1], vcc, s[0:1]
	v_cmp_eq_u32_e32 vcc, 0, v89
	s_and_b64 s[0:1], s[0:1], vcc
	v_cndmask_b32_e64 v89, v89, 10, s[0:1]
	s_waitcnt vmcnt(2)
	v_cmp_eq_f64_e32 vcc, 0, v[73:74]
	s_waitcnt vmcnt(0)
	v_cmp_eq_f64_e64 s[0:1], 0, v[75:76]
	buffer_load_dword v73, off, s[20:23], 0 offset:672 ; 4-byte Folded Reload
	buffer_load_dword v74, off, s[20:23], 0 offset:676 ; 4-byte Folded Reload
	buffer_load_dword v75, off, s[20:23], 0 offset:680 ; 4-byte Folded Reload
	buffer_load_dword v76, off, s[20:23], 0 offset:684 ; 4-byte Folded Reload
	s_and_b64 s[0:1], vcc, s[0:1]
	v_cmp_eq_u32_e32 vcc, 0, v89
	s_and_b64 s[0:1], s[0:1], vcc
	v_cndmask_b32_e64 v89, v89, 11, s[0:1]
	s_waitcnt vmcnt(2)
	v_cmp_eq_f64_e32 vcc, 0, v[73:74]
	s_waitcnt vmcnt(0)
	v_cmp_eq_f64_e64 s[0:1], 0, v[75:76]
	buffer_load_dword v73, off, s[20:23], 0 offset:688 ; 4-byte Folded Reload
	buffer_load_dword v74, off, s[20:23], 0 offset:692 ; 4-byte Folded Reload
	buffer_load_dword v75, off, s[20:23], 0 offset:696 ; 4-byte Folded Reload
	buffer_load_dword v76, off, s[20:23], 0 offset:700 ; 4-byte Folded Reload
	s_and_b64 s[0:1], vcc, s[0:1]
	v_cmp_eq_u32_e32 vcc, 0, v89
	s_and_b64 s[0:1], s[0:1], vcc
	v_cndmask_b32_e64 v89, v89, 12, s[0:1]
	s_waitcnt vmcnt(2)
	v_cmp_eq_f64_e32 vcc, 0, v[73:74]
	s_waitcnt vmcnt(0)
	v_cmp_eq_f64_e64 s[0:1], 0, v[75:76]
	buffer_load_dword v73, off, s[20:23], 0 offset:704 ; 4-byte Folded Reload
	buffer_load_dword v74, off, s[20:23], 0 offset:708 ; 4-byte Folded Reload
	buffer_load_dword v75, off, s[20:23], 0 offset:712 ; 4-byte Folded Reload
	buffer_load_dword v76, off, s[20:23], 0 offset:716 ; 4-byte Folded Reload
	s_and_b64 s[0:1], vcc, s[0:1]
	v_cmp_eq_u32_e32 vcc, 0, v89
	s_and_b64 s[0:1], s[0:1], vcc
	v_cndmask_b32_e64 v89, v89, 13, s[0:1]
	s_waitcnt vmcnt(2)
	v_cmp_eq_f64_e32 vcc, 0, v[73:74]
	s_waitcnt vmcnt(0)
	v_cmp_eq_f64_e64 s[0:1], 0, v[75:76]
	buffer_load_dword v73, off, s[20:23], 0 offset:800 ; 4-byte Folded Reload
	buffer_load_dword v74, off, s[20:23], 0 offset:804 ; 4-byte Folded Reload
	buffer_load_dword v75, off, s[20:23], 0 offset:808 ; 4-byte Folded Reload
	buffer_load_dword v76, off, s[20:23], 0 offset:812 ; 4-byte Folded Reload
	s_and_b64 s[0:1], vcc, s[0:1]
	v_cmp_eq_u32_e32 vcc, 0, v89
	s_and_b64 s[0:1], s[0:1], vcc
	v_cndmask_b32_e64 v89, v89, 14, s[0:1]
	s_waitcnt vmcnt(2)
	v_cmp_eq_f64_e32 vcc, 0, v[73:74]
	s_waitcnt vmcnt(0)
	v_cmp_eq_f64_e64 s[0:1], 0, v[75:76]
	buffer_load_dword v73, off, s[20:23], 0 offset:720 ; 4-byte Folded Reload
	buffer_load_dword v74, off, s[20:23], 0 offset:724 ; 4-byte Folded Reload
	buffer_load_dword v75, off, s[20:23], 0 offset:728 ; 4-byte Folded Reload
	buffer_load_dword v76, off, s[20:23], 0 offset:732 ; 4-byte Folded Reload
	s_and_b64 s[0:1], vcc, s[0:1]
	v_cmp_eq_u32_e32 vcc, 0, v89
	s_and_b64 s[0:1], s[0:1], vcc
	v_cndmask_b32_e64 v89, v89, 15, s[0:1]
	v_cmp_eq_f64_e32 vcc, 0, v[81:82]
	v_cmp_eq_f64_e64 s[0:1], 0, v[83:84]
	s_and_b64 s[0:1], vcc, s[0:1]
	v_cmp_eq_u32_e32 vcc, 0, v89
	s_and_b64 s[0:1], s[0:1], vcc
	v_cndmask_b32_e64 v89, v89, 16, s[0:1]
	v_cmp_eq_f64_e32 vcc, 0, v[77:78]
	v_cmp_eq_f64_e64 s[0:1], 0, v[79:80]
	s_and_b64 s[0:1], vcc, s[0:1]
	v_cmp_eq_u32_e32 vcc, 0, v89
	s_and_b64 s[0:1], s[0:1], vcc
	v_cndmask_b32_e64 v89, v89, 17, s[0:1]
	s_waitcnt vmcnt(2)
	v_cmp_eq_f64_e32 vcc, 0, v[73:74]
	s_waitcnt vmcnt(0)
	v_cmp_eq_f64_e64 s[0:1], 0, v[75:76]
	buffer_load_dword v73, off, s[20:23], 0 offset:736 ; 4-byte Folded Reload
	buffer_load_dword v74, off, s[20:23], 0 offset:740 ; 4-byte Folded Reload
	buffer_load_dword v75, off, s[20:23], 0 offset:744 ; 4-byte Folded Reload
	buffer_load_dword v76, off, s[20:23], 0 offset:748 ; 4-byte Folded Reload
	s_and_b64 s[0:1], vcc, s[0:1]
	v_cmp_eq_u32_e32 vcc, 0, v89
	s_and_b64 s[0:1], s[0:1], vcc
	v_cndmask_b32_e64 v89, v89, 18, s[0:1]
	s_waitcnt vmcnt(2)
	v_cmp_eq_f64_e32 vcc, 0, v[73:74]
	s_waitcnt vmcnt(0)
	v_cmp_eq_f64_e64 s[0:1], 0, v[75:76]
	buffer_load_dword v73, off, s[20:23], 0 offset:752 ; 4-byte Folded Reload
	buffer_load_dword v74, off, s[20:23], 0 offset:756 ; 4-byte Folded Reload
	buffer_load_dword v75, off, s[20:23], 0 offset:760 ; 4-byte Folded Reload
	buffer_load_dword v76, off, s[20:23], 0 offset:764 ; 4-byte Folded Reload
	;; [unrolled: 12-line block ×5, first 2 shown]
	s_and_b64 s[0:1], vcc, s[0:1]
	v_cmp_eq_u32_e32 vcc, 0, v89
	s_and_b64 s[0:1], s[0:1], vcc
	v_cndmask_b32_e64 v89, v89, 22, s[0:1]
	v_cmp_eq_f64_e32 vcc, 0, v[85:86]
	v_cmp_eq_f64_e64 s[0:1], 0, v[87:88]
	s_and_b64 s[0:1], vcc, s[0:1]
	v_cmp_eq_u32_e32 vcc, 0, v89
	s_and_b64 s[0:1], s[0:1], vcc
	v_cndmask_b32_e64 v89, v89, 23, s[0:1]
	s_waitcnt vmcnt(2)
	v_cmp_eq_f64_e32 vcc, 0, v[73:74]
	s_waitcnt vmcnt(0)
	v_cmp_eq_f64_e64 s[0:1], 0, v[75:76]
	buffer_load_dword v73, off, s[20:23], 0 offset:832 ; 4-byte Folded Reload
	buffer_load_dword v74, off, s[20:23], 0 offset:836 ; 4-byte Folded Reload
	buffer_load_dword v75, off, s[20:23], 0 offset:840 ; 4-byte Folded Reload
	buffer_load_dword v76, off, s[20:23], 0 offset:844 ; 4-byte Folded Reload
	s_and_b64 s[0:1], vcc, s[0:1]
	v_cmp_eq_u32_e32 vcc, 0, v89
	s_and_b64 s[0:1], s[0:1], vcc
	v_cndmask_b32_e64 v89, v89, 24, s[0:1]
	s_waitcnt vmcnt(2)
	v_cmp_eq_f64_e32 vcc, 0, v[73:74]
	s_waitcnt vmcnt(0)
	v_cmp_eq_f64_e64 s[0:1], 0, v[75:76]
	buffer_load_dword v73, off, s[20:23], 0 offset:848 ; 4-byte Folded Reload
	buffer_load_dword v74, off, s[20:23], 0 offset:852 ; 4-byte Folded Reload
	buffer_load_dword v75, off, s[20:23], 0 offset:856 ; 4-byte Folded Reload
	buffer_load_dword v76, off, s[20:23], 0 offset:860 ; 4-byte Folded Reload
	;; [unrolled: 12-line block ×9, first 2 shown]
	buffer_load_dword v81, off, s[20:23], 0 offset:976 ; 4-byte Folded Reload
	buffer_load_dword v82, off, s[20:23], 0 offset:980 ; 4-byte Folded Reload
	s_and_b64 s[0:1], vcc, s[0:1]
	v_cmp_eq_u32_e32 vcc, 0, v89
	s_and_b64 s[0:1], s[0:1], vcc
	v_cndmask_b32_e64 v89, v89, 32, s[0:1]
	s_waitcnt vmcnt(4)
	v_cmp_eq_f64_e32 vcc, 0, v[73:74]
	s_waitcnt vmcnt(2)
	v_cmp_eq_f64_e64 s[0:1], 0, v[75:76]
	s_and_b64 s[0:1], vcc, s[0:1]
	v_cmp_eq_u32_e32 vcc, 0, v89
	s_and_b64 s[0:1], s[0:1], vcc
	v_cndmask_b32_e64 v89, v89, 33, s[0:1]
	v_cmp_eq_f64_e32 vcc, 0, v[101:102]
	v_cmp_eq_f64_e64 s[0:1], 0, v[103:104]
	s_and_b64 s[0:1], vcc, s[0:1]
	v_cmp_eq_u32_e32 vcc, 0, v89
	s_and_b64 s[0:1], s[0:1], vcc
	v_cndmask_b32_e64 v89, v89, 34, s[0:1]
	v_cmp_eq_f64_e32 vcc, 0, v[97:98]
	;; [unrolled: 6-line block ×3, first 2 shown]
	v_cmp_eq_f64_e64 s[0:1], 0, v[107:108]
	s_and_b64 s[0:1], vcc, s[0:1]
	v_cmp_eq_u32_e32 vcc, 0, v89
	s_and_b64 s[0:1], s[0:1], vcc
	v_cndmask_b32_e64 v99, v89, 36, s[0:1]
	s_waitcnt vmcnt(0)
	v_lshlrev_b64 v[89:90], 2, v[81:82]
	v_cmp_ne_u32_e64 s[0:1], 0, v99
	v_add_co_u32_e32 v97, vcc, s10, v89
	v_mov_b32_e32 v89, s11
	v_addc_co_u32_e32 v98, vcc, v89, v90, vcc
	global_load_dword v89, v[97:98], off
	s_waitcnt vmcnt(0)
	v_cmp_eq_u32_e32 vcc, 0, v89
	buffer_load_dword v89, off, s[20:23], 0 offset:176 ; 4-byte Folded Reload
	buffer_load_dword v90, off, s[20:23], 0 offset:180 ; 4-byte Folded Reload
	;; [unrolled: 1-line block ×4, first 2 shown]
	s_and_b64 s[0:1], vcc, s[0:1]
	s_and_b64 exec, exec, s[0:1]
	s_cbranch_execz .LBB71_326
; %bb.325:
	s_waitcnt vmcnt(3)
	v_add_u32_e32 v89, s13, v99
	global_store_dword v[97:98], v89, off
	buffer_load_dword v89, off, s[20:23], 0 offset:176 ; 4-byte Folded Reload
	s_nop 0
	buffer_load_dword v90, off, s[20:23], 0 offset:180 ; 4-byte Folded Reload
	buffer_load_dword v91, off, s[20:23], 0 offset:184 ; 4-byte Folded Reload
	;; [unrolled: 1-line block ×3, first 2 shown]
.LBB71_326:
	s_or_b64 exec, exec, s[2:3]
	buffer_load_dword v73, off, s[20:23], 0 offset:496 ; 4-byte Folded Reload
	buffer_load_dword v74, off, s[20:23], 0 offset:500 ; 4-byte Folded Reload
	;; [unrolled: 1-line block ×6, first 2 shown]
	v_cmp_lt_u32_e32 vcc, 35, v0
	s_waitcnt vmcnt(0)
	global_store_dwordx4 v[73:74], v[75:78], off
	buffer_load_dword v73, off, s[20:23], 0 offset:504 ; 4-byte Folded Reload
	s_nop 0
	buffer_load_dword v74, off, s[20:23], 0 offset:508 ; 4-byte Folded Reload
	buffer_load_dword v75, off, s[20:23], 0 offset:144 ; 4-byte Folded Reload
	buffer_load_dword v76, off, s[20:23], 0 offset:148 ; 4-byte Folded Reload
	buffer_load_dword v77, off, s[20:23], 0 offset:152 ; 4-byte Folded Reload
	buffer_load_dword v78, off, s[20:23], 0 offset:156 ; 4-byte Folded Reload
	s_waitcnt vmcnt(0)
	global_store_dwordx4 v[73:74], v[75:78], off
	buffer_load_dword v81, off, s[20:23], 0 offset:472 ; 4-byte Folded Reload
	buffer_load_dword v82, off, s[20:23], 0 offset:476 ; 4-byte Folded Reload
	s_nop 0
	buffer_load_dword v73, off, s[20:23], 0 offset:128 ; 4-byte Folded Reload
	buffer_load_dword v74, off, s[20:23], 0 offset:132 ; 4-byte Folded Reload
	buffer_load_dword v75, off, s[20:23], 0 offset:136 ; 4-byte Folded Reload
	buffer_load_dword v76, off, s[20:23], 0 offset:140 ; 4-byte Folded Reload
	s_waitcnt vmcnt(0)
	global_store_dwordx4 v[81:82], v[73:76], off
	buffer_load_dword v87, off, s[20:23], 0 offset:192 ; 4-byte Folded Reload
	buffer_load_dword v88, off, s[20:23], 0 offset:196 ; 4-byte Folded Reload
	s_nop 0
	buffer_load_dword v73, off, s[20:23], 0 offset:112 ; 4-byte Folded Reload
	buffer_load_dword v74, off, s[20:23], 0 offset:116 ; 4-byte Folded Reload
	buffer_load_dword v75, off, s[20:23], 0 offset:120 ; 4-byte Folded Reload
	buffer_load_dword v76, off, s[20:23], 0 offset:124 ; 4-byte Folded Reload
	;; [unrolled: 9-line block ×4, first 2 shown]
	s_waitcnt vmcnt(0)
	global_store_dwordx4 v[85:86], v[73:76], off
	buffer_load_dword v85, off, s[20:23], 0 offset:208 ; 4-byte Folded Reload
	s_nop 0
	buffer_load_dword v86, off, s[20:23], 0 offset:212 ; 4-byte Folded Reload
	s_waitcnt vmcnt(0)
	global_store_dwordx4 v[85:86], v[89:92], off
	buffer_load_dword v85, off, s[20:23], 0 offset:216 ; 4-byte Folded Reload
	s_nop 0
	buffer_load_dword v86, off, s[20:23], 0 offset:220 ; 4-byte Folded Reload
	buffer_load_dword v81, off, s[20:23], 0 offset:480 ; 4-byte Folded Reload
	;; [unrolled: 1-line block ×5, first 2 shown]
	v_mul_f64 v[89:90], v[105:106], v[115:116]
	v_mul_f64 v[91:92], v[107:108], v[115:116]
	v_fma_f64 v[89:90], v[107:108], v[113:114], v[89:90]
	v_fma_f64 v[91:92], v[105:106], v[113:114], -v[91:92]
	v_cndmask_b32_e32 v100, v116, v90, vcc
	v_cndmask_b32_e32 v99, v115, v89, vcc
	;; [unrolled: 1-line block ×4, first 2 shown]
	s_waitcnt vmcnt(0)
	global_store_dwordx4 v[85:86], v[81:84], off
	buffer_load_dword v85, off, s[20:23], 0 offset:224 ; 4-byte Folded Reload
	s_nop 0
	buffer_load_dword v86, off, s[20:23], 0 offset:228 ; 4-byte Folded Reload
	buffer_load_dword v73, off, s[20:23], 0 offset:64 ; 4-byte Folded Reload
	buffer_load_dword v74, off, s[20:23], 0 offset:68 ; 4-byte Folded Reload
	buffer_load_dword v75, off, s[20:23], 0 offset:72 ; 4-byte Folded Reload
	buffer_load_dword v76, off, s[20:23], 0 offset:76 ; 4-byte Folded Reload
	s_waitcnt vmcnt(0)
	global_store_dwordx4 v[85:86], v[73:76], off
	buffer_load_dword v85, off, s[20:23], 0 offset:232 ; 4-byte Folded Reload
	s_nop 0
	buffer_load_dword v86, off, s[20:23], 0 offset:236 ; 4-byte Folded Reload
	buffer_load_dword v81, off, s[20:23], 0 offset:456 ; 4-byte Folded Reload
	buffer_load_dword v82, off, s[20:23], 0 offset:460 ; 4-byte Folded Reload
	buffer_load_dword v83, off, s[20:23], 0 offset:464 ; 4-byte Folded Reload
	buffer_load_dword v84, off, s[20:23], 0 offset:468 ; 4-byte Folded Reload
	;; [unrolled: 9-line block ×3, first 2 shown]
	s_waitcnt vmcnt(0)
	global_store_dwordx4 v[85:86], v[73:76], off
	buffer_load_dword v85, off, s[20:23], 0 offset:248 ; 4-byte Folded Reload
	s_nop 0
	buffer_load_dword v86, off, s[20:23], 0 offset:252 ; 4-byte Folded Reload
	s_waitcnt vmcnt(0)
	global_store_dwordx4 v[85:86], v[117:120], off
	buffer_load_dword v85, off, s[20:23], 0 offset:256 ; 4-byte Folded Reload
	s_nop 0
	buffer_load_dword v86, off, s[20:23], 0 offset:260 ; 4-byte Folded Reload
	;; [unrolled: 5-line block ×3, first 2 shown]
	buffer_load_dword v81, off, s[20:23], 0 offset:32 ; 4-byte Folded Reload
	buffer_load_dword v82, off, s[20:23], 0 offset:36 ; 4-byte Folded Reload
	;; [unrolled: 1-line block ×4, first 2 shown]
	s_waitcnt vmcnt(0)
	global_store_dwordx4 v[85:86], v[81:84], off
	buffer_load_dword v85, off, s[20:23], 0 offset:272 ; 4-byte Folded Reload
	s_nop 0
	buffer_load_dword v86, off, s[20:23], 0 offset:276 ; 4-byte Folded Reload
	s_waitcnt vmcnt(0)
	global_store_dwordx4 v[85:86], v[93:96], off
	buffer_load_dword v81, off, s[20:23], 0 offset:280 ; 4-byte Folded Reload
	buffer_load_dword v82, off, s[20:23], 0 offset:284 ; 4-byte Folded Reload
	;; [unrolled: 1-line block ×6, first 2 shown]
	s_waitcnt vmcnt(0)
	global_store_dwordx4 v[81:82], v[77:80], off
	buffer_load_dword v77, off, s[20:23], 0 offset:288 ; 4-byte Folded Reload
	s_nop 0
	buffer_load_dword v78, off, s[20:23], 0 offset:292 ; 4-byte Folded Reload
	buffer_load_dword v73, off, s[20:23], 0 ; 4-byte Folded Reload
	buffer_load_dword v74, off, s[20:23], 0 offset:4 ; 4-byte Folded Reload
	buffer_load_dword v75, off, s[20:23], 0 offset:8 ; 4-byte Folded Reload
	buffer_load_dword v76, off, s[20:23], 0 offset:12 ; 4-byte Folded Reload
	s_waitcnt vmcnt(0)
	global_store_dwordx4 v[77:78], v[73:76], off
	buffer_load_dword v73, off, s[20:23], 0 offset:296 ; 4-byte Folded Reload
	s_nop 0
	buffer_load_dword v74, off, s[20:23], 0 offset:300 ; 4-byte Folded Reload
	s_waitcnt vmcnt(0)
	global_store_dwordx4 v[73:74], v[69:72], off
	buffer_load_dword v69, off, s[20:23], 0 offset:304 ; 4-byte Folded Reload
	s_nop 0
	buffer_load_dword v70, off, s[20:23], 0 offset:308 ; 4-byte Folded Reload
	;; [unrolled: 5-line block ×19, first 2 shown]
	s_waitcnt vmcnt(0)
	global_store_dwordx4 v[0:1], v[97:100], off
.LBB71_327:
	s_endpgm
	.section	.rodata,"a",@progbits
	.p2align	6, 0x0
	.amdhsa_kernel _ZN9rocsolver6v33100L23getf2_npvt_small_kernelILi36E19rocblas_complex_numIdEiiPS3_EEvT1_T3_lS5_lPT2_S5_S5_
		.amdhsa_group_segment_fixed_size 0
		.amdhsa_private_segment_fixed_size 988
		.amdhsa_kernarg_size 312
		.amdhsa_user_sgpr_count 6
		.amdhsa_user_sgpr_private_segment_buffer 1
		.amdhsa_user_sgpr_dispatch_ptr 0
		.amdhsa_user_sgpr_queue_ptr 0
		.amdhsa_user_sgpr_kernarg_segment_ptr 1
		.amdhsa_user_sgpr_dispatch_id 0
		.amdhsa_user_sgpr_flat_scratch_init 0
		.amdhsa_user_sgpr_private_segment_size 0
		.amdhsa_uses_dynamic_stack 0
		.amdhsa_system_sgpr_private_segment_wavefront_offset 1
		.amdhsa_system_sgpr_workgroup_id_x 1
		.amdhsa_system_sgpr_workgroup_id_y 1
		.amdhsa_system_sgpr_workgroup_id_z 0
		.amdhsa_system_sgpr_workgroup_info 0
		.amdhsa_system_vgpr_workitem_id 1
		.amdhsa_next_free_vgpr 128
		.amdhsa_next_free_sgpr 24
		.amdhsa_reserve_vcc 1
		.amdhsa_reserve_flat_scratch 0
		.amdhsa_float_round_mode_32 0
		.amdhsa_float_round_mode_16_64 0
		.amdhsa_float_denorm_mode_32 3
		.amdhsa_float_denorm_mode_16_64 3
		.amdhsa_dx10_clamp 1
		.amdhsa_ieee_mode 1
		.amdhsa_fp16_overflow 0
		.amdhsa_exception_fp_ieee_invalid_op 0
		.amdhsa_exception_fp_denorm_src 0
		.amdhsa_exception_fp_ieee_div_zero 0
		.amdhsa_exception_fp_ieee_overflow 0
		.amdhsa_exception_fp_ieee_underflow 0
		.amdhsa_exception_fp_ieee_inexact 0
		.amdhsa_exception_int_div_zero 0
	.end_amdhsa_kernel
	.section	.text._ZN9rocsolver6v33100L23getf2_npvt_small_kernelILi36E19rocblas_complex_numIdEiiPS3_EEvT1_T3_lS5_lPT2_S5_S5_,"axG",@progbits,_ZN9rocsolver6v33100L23getf2_npvt_small_kernelILi36E19rocblas_complex_numIdEiiPS3_EEvT1_T3_lS5_lPT2_S5_S5_,comdat
.Lfunc_end71:
	.size	_ZN9rocsolver6v33100L23getf2_npvt_small_kernelILi36E19rocblas_complex_numIdEiiPS3_EEvT1_T3_lS5_lPT2_S5_S5_, .Lfunc_end71-_ZN9rocsolver6v33100L23getf2_npvt_small_kernelILi36E19rocblas_complex_numIdEiiPS3_EEvT1_T3_lS5_lPT2_S5_S5_
                                        ; -- End function
	.set _ZN9rocsolver6v33100L23getf2_npvt_small_kernelILi36E19rocblas_complex_numIdEiiPS3_EEvT1_T3_lS5_lPT2_S5_S5_.num_vgpr, 128
	.set _ZN9rocsolver6v33100L23getf2_npvt_small_kernelILi36E19rocblas_complex_numIdEiiPS3_EEvT1_T3_lS5_lPT2_S5_S5_.num_agpr, 0
	.set _ZN9rocsolver6v33100L23getf2_npvt_small_kernelILi36E19rocblas_complex_numIdEiiPS3_EEvT1_T3_lS5_lPT2_S5_S5_.numbered_sgpr, 24
	.set _ZN9rocsolver6v33100L23getf2_npvt_small_kernelILi36E19rocblas_complex_numIdEiiPS3_EEvT1_T3_lS5_lPT2_S5_S5_.num_named_barrier, 0
	.set _ZN9rocsolver6v33100L23getf2_npvt_small_kernelILi36E19rocblas_complex_numIdEiiPS3_EEvT1_T3_lS5_lPT2_S5_S5_.private_seg_size, 988
	.set _ZN9rocsolver6v33100L23getf2_npvt_small_kernelILi36E19rocblas_complex_numIdEiiPS3_EEvT1_T3_lS5_lPT2_S5_S5_.uses_vcc, 1
	.set _ZN9rocsolver6v33100L23getf2_npvt_small_kernelILi36E19rocblas_complex_numIdEiiPS3_EEvT1_T3_lS5_lPT2_S5_S5_.uses_flat_scratch, 0
	.set _ZN9rocsolver6v33100L23getf2_npvt_small_kernelILi36E19rocblas_complex_numIdEiiPS3_EEvT1_T3_lS5_lPT2_S5_S5_.has_dyn_sized_stack, 0
	.set _ZN9rocsolver6v33100L23getf2_npvt_small_kernelILi36E19rocblas_complex_numIdEiiPS3_EEvT1_T3_lS5_lPT2_S5_S5_.has_recursion, 0
	.set _ZN9rocsolver6v33100L23getf2_npvt_small_kernelILi36E19rocblas_complex_numIdEiiPS3_EEvT1_T3_lS5_lPT2_S5_S5_.has_indirect_call, 0
	.section	.AMDGPU.csdata,"",@progbits
; Kernel info:
; codeLenInByte = 83256
; TotalNumSgprs: 28
; NumVgprs: 128
; ScratchSize: 988
; MemoryBound: 1
; FloatMode: 240
; IeeeMode: 1
; LDSByteSize: 0 bytes/workgroup (compile time only)
; SGPRBlocks: 3
; VGPRBlocks: 31
; NumSGPRsForWavesPerEU: 28
; NumVGPRsForWavesPerEU: 128
; Occupancy: 2
; WaveLimiterHint : 0
; COMPUTE_PGM_RSRC2:SCRATCH_EN: 1
; COMPUTE_PGM_RSRC2:USER_SGPR: 6
; COMPUTE_PGM_RSRC2:TRAP_HANDLER: 0
; COMPUTE_PGM_RSRC2:TGID_X_EN: 1
; COMPUTE_PGM_RSRC2:TGID_Y_EN: 1
; COMPUTE_PGM_RSRC2:TGID_Z_EN: 0
; COMPUTE_PGM_RSRC2:TIDIG_COMP_CNT: 1
	.section	.text._ZN9rocsolver6v33100L18getf2_small_kernelILi37E19rocblas_complex_numIdEiiPS3_EEvT1_T3_lS5_lPS5_llPT2_S5_S5_S7_l,"axG",@progbits,_ZN9rocsolver6v33100L18getf2_small_kernelILi37E19rocblas_complex_numIdEiiPS3_EEvT1_T3_lS5_lPS5_llPT2_S5_S5_S7_l,comdat
	.globl	_ZN9rocsolver6v33100L18getf2_small_kernelILi37E19rocblas_complex_numIdEiiPS3_EEvT1_T3_lS5_lPS5_llPT2_S5_S5_S7_l ; -- Begin function _ZN9rocsolver6v33100L18getf2_small_kernelILi37E19rocblas_complex_numIdEiiPS3_EEvT1_T3_lS5_lPS5_llPT2_S5_S5_S7_l
	.p2align	8
	.type	_ZN9rocsolver6v33100L18getf2_small_kernelILi37E19rocblas_complex_numIdEiiPS3_EEvT1_T3_lS5_lPS5_llPT2_S5_S5_S7_l,@function
_ZN9rocsolver6v33100L18getf2_small_kernelILi37E19rocblas_complex_numIdEiiPS3_EEvT1_T3_lS5_lPS5_llPT2_S5_S5_S7_l: ; @_ZN9rocsolver6v33100L18getf2_small_kernelILi37E19rocblas_complex_numIdEiiPS3_EEvT1_T3_lS5_lPS5_llPT2_S5_S5_S7_l
; %bb.0:
	s_mov_b64 s[26:27], s[2:3]
	s_mov_b64 s[24:25], s[0:1]
	s_load_dword s0, s[4:5], 0x6c
	s_load_dwordx2 s[16:17], s[4:5], 0x48
	s_add_u32 s24, s24, s8
	s_addc_u32 s25, s25, 0
	s_waitcnt lgkmcnt(0)
	s_lshr_b32 s0, s0, 16
	s_mul_i32 s7, s7, s0
	v_add_u32_e32 v6, s7, v1
	v_cmp_gt_i32_e32 vcc, s16, v6
	s_and_saveexec_b64 s[0:1], vcc
	s_cbranch_execz .LBB72_778
; %bb.1:
	s_load_dwordx4 s[0:3], s[4:5], 0x50
	v_mov_b32_e32 v2, 0
	v_ashrrev_i32_e32 v7, 31, v6
	v_mov_b32_e32 v3, 0
	buffer_store_dword v2, off, s[24:27], 0 offset:160 ; 4-byte Folded Spill
	s_nop 0
	buffer_store_dword v3, off, s[24:27], 0 offset:164 ; 4-byte Folded Spill
	s_waitcnt lgkmcnt(0)
	s_cmp_eq_u64 s[0:1], 0
	s_cselect_b64 s[6:7], -1, 0
	s_and_b64 vcc, exec, s[6:7]
	s_cbranch_vccnz .LBB72_3
; %bb.2:
	v_mul_lo_u32 v4, s3, v6
	v_mul_lo_u32 v5, s2, v7
	v_mad_u64_u32 v[2:3], s[2:3], s2, v6, 0
	v_add3_u32 v3, v3, v5, v4
	v_lshlrev_b64 v[2:3], 2, v[2:3]
	v_mov_b32_e32 v4, s1
	v_add_co_u32_e32 v2, vcc, s0, v2
	v_addc_co_u32_e32 v3, vcc, v4, v3, vcc
	buffer_store_dword v2, off, s[24:27], 0 offset:160 ; 4-byte Folded Spill
	s_nop 0
	buffer_store_dword v3, off, s[24:27], 0 offset:164 ; 4-byte Folded Spill
.LBB72_3:
	s_load_dwordx8 s[8:15], s[4:5], 0x20
	s_load_dwordx4 s[20:23], s[4:5], 0x8
	s_load_dword s2, s[4:5], 0x18
	v_lshlrev_b32_e32 v52, 4, v0
	s_waitcnt lgkmcnt(0)
	v_mul_lo_u32 v4, s9, v6
	v_mul_lo_u32 v5, s8, v7
	buffer_store_dword v6, off, s[24:27], 0 offset:200 ; 4-byte Folded Spill
	s_nop 0
	buffer_store_dword v7, off, s[24:27], 0 offset:204 ; 4-byte Folded Spill
	s_add_i32 s16, s2, s2
	s_ashr_i32 s3, s2, 31
	v_mad_u64_u32 v[2:3], s[0:1], s8, v6, 0
	v_mov_b32_e32 v6, s21
	s_lshl_b64 s[0:1], s[22:23], 4
	v_add3_u32 v3, v3, v5, v4
	v_lshlrev_b64 v[2:3], 4, v[2:3]
	v_mov_b32_e32 v4, s1
	v_add_co_u32_e32 v2, vcc, s20, v2
	v_addc_co_u32_e32 v3, vcc, v6, v3, vcc
	v_add_co_u32_e32 v104, vcc, s0, v2
	v_addc_co_u32_e32 v127, vcc, v3, v4, vcc
	v_add_u32_e32 v4, s16, v0
	v_ashrrev_i32_e32 v5, 31, v4
	v_lshlrev_b64 v[2:3], 4, v[4:5]
	v_add_u32_e32 v6, s2, v4
	v_ashrrev_i32_e32 v7, 31, v6
	v_add_co_u32_e32 v2, vcc, v104, v2
	v_lshlrev_b64 v[4:5], 4, v[6:7]
	v_add_u32_e32 v8, s2, v6
	v_addc_co_u32_e32 v3, vcc, v127, v3, vcc
	v_ashrrev_i32_e32 v9, 31, v8
	v_add_co_u32_e32 v4, vcc, v104, v4
	v_lshlrev_b64 v[6:7], 4, v[8:9]
	v_add_u32_e32 v10, s2, v8
	v_addc_co_u32_e32 v5, vcc, v127, v5, vcc
	;; [unrolled: 5-line block ×22, first 2 shown]
	v_ashrrev_i32_e32 v49, 31, v48
	v_add_co_u32_e32 v46, vcc, v104, v46
	v_lshlrev_b64 v[49:50], 4, v[48:49]
	v_addc_co_u32_e32 v47, vcc, v127, v47, vcc
	v_add_u32_e32 v48, s2, v48
	v_add_co_u32_e32 v105, vcc, v104, v49
	v_ashrrev_i32_e32 v49, 31, v48
	v_addc_co_u32_e32 v106, vcc, v127, v50, vcc
	v_lshlrev_b64 v[49:50], 4, v[48:49]
	v_add_u32_e32 v48, s2, v48
	v_add_co_u32_e32 v107, vcc, v104, v49
	v_ashrrev_i32_e32 v49, 31, v48
	v_addc_co_u32_e32 v108, vcc, v127, v50, vcc
	v_lshlrev_b64 v[49:50], 4, v[48:49]
	;; [unrolled: 5-line block ×9, first 2 shown]
	v_add_u32_e32 v48, s2, v48
	v_add_co_u32_e32 v109, vcc, v104, v49
	v_ashrrev_i32_e32 v49, 31, v48
	s_lshl_b64 s[8:9], s[2:3], 4
	s_load_dword s3, s[4:5], 0x0
	v_addc_co_u32_e32 v110, vcc, v127, v50, vcc
	v_lshlrev_b64 v[49:50], 4, v[48:49]
	v_add_u32_e32 v48, s2, v48
	v_add_co_u32_e32 v111, vcc, v104, v49
	v_ashrrev_i32_e32 v49, 31, v48
	v_lshlrev_b64 v[48:49], 4, v[48:49]
	v_addc_co_u32_e32 v112, vcc, v127, v50, vcc
	s_waitcnt lgkmcnt(0)
	s_max_i32 s0, s3, 37
	v_add_co_u32_e32 v101, vcc, v104, v48
	v_mul_lo_u32 v97, s0, v1
	v_addc_co_u32_e32 v102, vcc, v127, v49, vcc
	v_add_co_u32_e32 v50, vcc, v104, v52
	v_addc_co_u32_e32 v51, vcc, 0, v127, vcc
	v_mov_b32_e32 v49, s9
	v_add_co_u32_e32 v48, vcc, s8, v50
	v_lshl_add_u32 v103, v97, 4, 0
	v_addc_co_u32_e32 v49, vcc, v51, v49, vcc
	v_add_u32_e32 v1, v103, v52
	global_load_dwordx4 v[50:53], v[50:51], off
	s_nop 0
	global_load_dwordx4 v[54:57], v[48:49], off
	s_waitcnt vmcnt(0)
	buffer_store_dword v54, off, s[24:27], 0 offset:168 ; 4-byte Folded Spill
	s_nop 0
	buffer_store_dword v55, off, s[24:27], 0 offset:172 ; 4-byte Folded Spill
	buffer_store_dword v56, off, s[24:27], 0 offset:176 ; 4-byte Folded Spill
	;; [unrolled: 1-line block ×4, first 2 shown]
	s_nop 0
	buffer_store_dword v51, off, s[24:27], 0 offset:188 ; 4-byte Folded Spill
	buffer_store_dword v52, off, s[24:27], 0 offset:192 ; 4-byte Folded Spill
	;; [unrolled: 1-line block ×3, first 2 shown]
	s_load_dwordx2 s[4:5], s[4:5], 0x40
	s_cmp_lt_i32 s3, 2
	ds_write2_b64 v1, v[50:51], v[52:53] offset1:1
	global_load_dwordx4 v[48:51], v[2:3], off
	s_waitcnt vmcnt(0)
	buffer_store_dword v48, off, s[24:27], 0 offset:144 ; 4-byte Folded Spill
	s_nop 0
	buffer_store_dword v49, off, s[24:27], 0 offset:148 ; 4-byte Folded Spill
	buffer_store_dword v50, off, s[24:27], 0 offset:152 ; 4-byte Folded Spill
	buffer_store_dword v51, off, s[24:27], 0 offset:156 ; 4-byte Folded Spill
	global_load_dwordx4 v[1:4], v[4:5], off
	s_waitcnt vmcnt(0)
	buffer_store_dword v1, off, s[24:27], 0 offset:128 ; 4-byte Folded Spill
	s_nop 0
	buffer_store_dword v2, off, s[24:27], 0 offset:132 ; 4-byte Folded Spill
	buffer_store_dword v3, off, s[24:27], 0 offset:136 ; 4-byte Folded Spill
	buffer_store_dword v4, off, s[24:27], 0 offset:140 ; 4-byte Folded Spill
	global_load_dwordx4 v[1:4], v[6:7], off
	s_waitcnt vmcnt(0)
	buffer_store_dword v1, off, s[24:27], 0 offset:112 ; 4-byte Folded Spill
	s_nop 0
	buffer_store_dword v2, off, s[24:27], 0 offset:116 ; 4-byte Folded Spill
	buffer_store_dword v3, off, s[24:27], 0 offset:120 ; 4-byte Folded Spill
	buffer_store_dword v4, off, s[24:27], 0 offset:124 ; 4-byte Folded Spill
	global_load_dwordx4 v[1:4], v[8:9], off
	s_waitcnt vmcnt(0)
	buffer_store_dword v1, off, s[24:27], 0 offset:96 ; 4-byte Folded Spill
	s_nop 0
	buffer_store_dword v2, off, s[24:27], 0 offset:100 ; 4-byte Folded Spill
	buffer_store_dword v3, off, s[24:27], 0 offset:104 ; 4-byte Folded Spill
	buffer_store_dword v4, off, s[24:27], 0 offset:108 ; 4-byte Folded Spill
	global_load_dwordx4 v[1:4], v[10:11], off
	s_waitcnt vmcnt(0)
	buffer_store_dword v1, off, s[24:27], 0 offset:80 ; 4-byte Folded Spill
	s_nop 0
	buffer_store_dword v2, off, s[24:27], 0 offset:84 ; 4-byte Folded Spill
	buffer_store_dword v3, off, s[24:27], 0 offset:88 ; 4-byte Folded Spill
	buffer_store_dword v4, off, s[24:27], 0 offset:92 ; 4-byte Folded Spill
	global_load_dwordx4 v[1:4], v[12:13], off
	s_waitcnt vmcnt(0)
	buffer_store_dword v1, off, s[24:27], 0 offset:64 ; 4-byte Folded Spill
	s_nop 0
	buffer_store_dword v2, off, s[24:27], 0 offset:68 ; 4-byte Folded Spill
	buffer_store_dword v3, off, s[24:27], 0 offset:72 ; 4-byte Folded Spill
	buffer_store_dword v4, off, s[24:27], 0 offset:76 ; 4-byte Folded Spill
	global_load_dwordx4 v[1:4], v[14:15], off
	s_waitcnt vmcnt(0)
	buffer_store_dword v1, off, s[24:27], 0 offset:48 ; 4-byte Folded Spill
	s_nop 0
	buffer_store_dword v2, off, s[24:27], 0 offset:52 ; 4-byte Folded Spill
	buffer_store_dword v3, off, s[24:27], 0 offset:56 ; 4-byte Folded Spill
	buffer_store_dword v4, off, s[24:27], 0 offset:60 ; 4-byte Folded Spill
	global_load_dwordx4 v[1:4], v[16:17], off
	s_waitcnt vmcnt(0)
	buffer_store_dword v1, off, s[24:27], 0 offset:32 ; 4-byte Folded Spill
	s_nop 0
	buffer_store_dword v2, off, s[24:27], 0 offset:36 ; 4-byte Folded Spill
	buffer_store_dword v3, off, s[24:27], 0 offset:40 ; 4-byte Folded Spill
	buffer_store_dword v4, off, s[24:27], 0 offset:44 ; 4-byte Folded Spill
	global_load_dwordx4 v[1:4], v[18:19], off
	s_waitcnt vmcnt(0)
	buffer_store_dword v1, off, s[24:27], 0 offset:16 ; 4-byte Folded Spill
	s_nop 0
	buffer_store_dword v2, off, s[24:27], 0 offset:20 ; 4-byte Folded Spill
	buffer_store_dword v3, off, s[24:27], 0 offset:24 ; 4-byte Folded Spill
	buffer_store_dword v4, off, s[24:27], 0 offset:28 ; 4-byte Folded Spill
	global_load_dwordx4 v[1:4], v[20:21], off
	s_waitcnt vmcnt(0)
	buffer_store_dword v1, off, s[24:27], 0 ; 4-byte Folded Spill
	s_nop 0
	buffer_store_dword v2, off, s[24:27], 0 offset:4 ; 4-byte Folded Spill
	buffer_store_dword v3, off, s[24:27], 0 offset:8 ; 4-byte Folded Spill
	;; [unrolled: 1-line block ×3, first 2 shown]
	global_load_dwordx4 v[93:96], v[22:23], off
	global_load_dwordx4 v[89:92], v[24:25], off
	;; [unrolled: 1-line block ×12, first 2 shown]
	s_nop 0
	global_load_dwordx4 v[45:48], v[46:47], off
	s_nop 0
	global_load_dwordx4 v[41:44], v[105:106], off
	global_load_dwordx4 v[37:40], v[107:108], off
	;; [unrolled: 1-line block ×12, first 2 shown]
	s_waitcnt vmcnt(0) lgkmcnt(0)
	s_barrier
	ds_read2_b64 v[121:124], v103 offset1:1
	v_lshlrev_b32_e32 v110, 4, v97
	v_mov_b32_e32 v101, 0
	s_cbranch_scc1 .LBB72_6
; %bb.4:
	v_add3_u32 v97, v110, 0, 16
	s_mov_b32 s0, 1
	v_mov_b32_e32 v101, 0
.LBB72_5:                               ; =>This Inner Loop Header: Depth=1
	s_waitcnt lgkmcnt(0)
	v_cmp_gt_f64_e32 vcc, 0, v[121:122]
	v_xor_b32_e32 v98, 0x80000000, v122
	ds_read2_b64 v[111:114], v97 offset1:1
	v_xor_b32_e32 v100, 0x80000000, v124
	v_mov_b32_e32 v115, v123
	v_add_u32_e32 v97, 16, v97
	s_waitcnt lgkmcnt(0)
	v_mov_b32_e32 v117, v113
	v_cndmask_b32_e32 v99, v122, v98, vcc
	v_cmp_gt_f64_e32 vcc, 0, v[123:124]
	v_mov_b32_e32 v98, v121
	v_cndmask_b32_e32 v116, v124, v100, vcc
	v_cmp_gt_f64_e32 vcc, 0, v[111:112]
	v_xor_b32_e32 v100, 0x80000000, v112
	v_add_f64 v[98:99], v[98:99], v[115:116]
	v_mov_b32_e32 v115, v111
	v_cndmask_b32_e32 v116, v112, v100, vcc
	v_cmp_gt_f64_e32 vcc, 0, v[113:114]
	v_xor_b32_e32 v100, 0x80000000, v114
	v_cndmask_b32_e32 v118, v114, v100, vcc
	v_add_f64 v[115:116], v[115:116], v[117:118]
	v_cmp_lt_f64_e32 vcc, v[98:99], v[115:116]
	v_mov_b32_e32 v98, s0
	s_add_i32 s0, s0, 1
	s_cmp_eq_u32 s3, s0
	v_cndmask_b32_e32 v122, v122, v112, vcc
	v_cndmask_b32_e32 v121, v121, v111, vcc
	;; [unrolled: 1-line block ×5, first 2 shown]
	s_cbranch_scc0 .LBB72_5
.LBB72_6:
	s_waitcnt lgkmcnt(0)
	v_cmp_neq_f64_e32 vcc, 0, v[121:122]
	v_cmp_neq_f64_e64 s[0:1], 0, v[123:124]
	v_mov_b32_e32 v111, 1
	v_mov_b32_e32 v112, 1
	s_or_b64 s[18:19], vcc, s[0:1]
	s_and_saveexec_b64 s[0:1], s[18:19]
	s_cbranch_execz .LBB72_12
; %bb.7:
	v_cmp_ngt_f64_e64 s[18:19], |v[121:122]|, |v[123:124]|
	s_and_saveexec_b64 s[20:21], s[18:19]
	s_xor_b64 s[18:19], exec, s[20:21]
	s_cbranch_execz .LBB72_9
; %bb.8:
	v_div_scale_f64 v[97:98], s[20:21], v[123:124], v[123:124], v[121:122]
	v_rcp_f64_e32 v[99:100], v[97:98]
	v_fma_f64 v[111:112], -v[97:98], v[99:100], 1.0
	v_fma_f64 v[99:100], v[99:100], v[111:112], v[99:100]
	v_div_scale_f64 v[111:112], vcc, v[121:122], v[123:124], v[121:122]
	v_fma_f64 v[113:114], -v[97:98], v[99:100], 1.0
	v_fma_f64 v[99:100], v[99:100], v[113:114], v[99:100]
	v_mul_f64 v[113:114], v[111:112], v[99:100]
	v_fma_f64 v[97:98], -v[97:98], v[113:114], v[111:112]
	v_div_fmas_f64 v[97:98], v[97:98], v[99:100], v[113:114]
	v_div_fixup_f64 v[97:98], v[97:98], v[123:124], v[121:122]
	v_fma_f64 v[99:100], v[121:122], v[97:98], v[123:124]
	v_div_scale_f64 v[111:112], s[20:21], v[99:100], v[99:100], 1.0
	v_div_scale_f64 v[117:118], vcc, 1.0, v[99:100], 1.0
	v_rcp_f64_e32 v[113:114], v[111:112]
	v_fma_f64 v[115:116], -v[111:112], v[113:114], 1.0
	v_fma_f64 v[113:114], v[113:114], v[115:116], v[113:114]
	v_fma_f64 v[115:116], -v[111:112], v[113:114], 1.0
	v_fma_f64 v[113:114], v[113:114], v[115:116], v[113:114]
	v_mul_f64 v[115:116], v[117:118], v[113:114]
	v_fma_f64 v[111:112], -v[111:112], v[115:116], v[117:118]
	v_div_fmas_f64 v[111:112], v[111:112], v[113:114], v[115:116]
	v_div_fixup_f64 v[123:124], v[111:112], v[99:100], 1.0
	v_mul_f64 v[121:122], v[97:98], v[123:124]
	v_xor_b32_e32 v124, 0x80000000, v124
.LBB72_9:
	s_andn2_saveexec_b64 s[18:19], s[18:19]
	s_cbranch_execz .LBB72_11
; %bb.10:
	v_div_scale_f64 v[97:98], s[20:21], v[121:122], v[121:122], v[123:124]
	v_rcp_f64_e32 v[99:100], v[97:98]
	v_fma_f64 v[111:112], -v[97:98], v[99:100], 1.0
	v_fma_f64 v[99:100], v[99:100], v[111:112], v[99:100]
	v_div_scale_f64 v[111:112], vcc, v[123:124], v[121:122], v[123:124]
	v_fma_f64 v[113:114], -v[97:98], v[99:100], 1.0
	v_fma_f64 v[99:100], v[99:100], v[113:114], v[99:100]
	v_mul_f64 v[113:114], v[111:112], v[99:100]
	v_fma_f64 v[97:98], -v[97:98], v[113:114], v[111:112]
	v_div_fmas_f64 v[97:98], v[97:98], v[99:100], v[113:114]
	v_div_fixup_f64 v[97:98], v[97:98], v[121:122], v[123:124]
	v_fma_f64 v[99:100], v[123:124], v[97:98], v[121:122]
	v_div_scale_f64 v[111:112], s[20:21], v[99:100], v[99:100], 1.0
	v_div_scale_f64 v[117:118], vcc, 1.0, v[99:100], 1.0
	v_rcp_f64_e32 v[113:114], v[111:112]
	v_fma_f64 v[115:116], -v[111:112], v[113:114], 1.0
	v_fma_f64 v[113:114], v[113:114], v[115:116], v[113:114]
	v_fma_f64 v[115:116], -v[111:112], v[113:114], 1.0
	v_fma_f64 v[113:114], v[113:114], v[115:116], v[113:114]
	v_mul_f64 v[115:116], v[117:118], v[113:114]
	v_fma_f64 v[111:112], -v[111:112], v[115:116], v[117:118]
	v_div_fmas_f64 v[111:112], v[111:112], v[113:114], v[115:116]
	v_div_fixup_f64 v[121:122], v[111:112], v[99:100], 1.0
	v_mul_f64 v[123:124], v[97:98], -v[121:122]
.LBB72_11:
	s_or_b64 exec, exec, s[18:19]
	v_mov_b32_e32 v112, 0
	v_mov_b32_e32 v111, 2
.LBB72_12:
	s_or_b64 exec, exec, s[0:1]
	v_cmp_ne_u32_e32 vcc, v0, v101
	s_and_saveexec_b64 s[0:1], vcc
	s_xor_b64 s[0:1], exec, s[0:1]
	s_cbranch_execz .LBB72_18
; %bb.13:
	v_cmp_eq_u32_e32 vcc, 0, v0
	s_and_saveexec_b64 s[18:19], vcc
	s_cbranch_execz .LBB72_17
; %bb.14:
	v_cmp_ne_u32_e32 vcc, 0, v101
	s_xor_b64 s[20:21], s[6:7], -1
	s_and_b64 s[22:23], s[20:21], vcc
	s_and_saveexec_b64 s[20:21], s[22:23]
	s_cbranch_execz .LBB72_16
; %bb.15:
	buffer_load_dword v113, off, s[24:27], 0 offset:160 ; 4-byte Folded Reload
	buffer_load_dword v114, off, s[24:27], 0 offset:164 ; 4-byte Folded Reload
	v_ashrrev_i32_e32 v102, 31, v101
	v_lshlrev_b64 v[97:98], 2, v[101:102]
	s_waitcnt vmcnt(1)
	v_add_co_u32_e32 v97, vcc, v113, v97
	s_waitcnt vmcnt(0)
	v_addc_co_u32_e32 v98, vcc, v114, v98, vcc
	global_load_dword v0, v[97:98], off
	global_load_dword v99, v[113:114], off
	s_waitcnt vmcnt(1)
	global_store_dword v[113:114], v0, off
	s_waitcnt vmcnt(1)
	global_store_dword v[97:98], v99, off
.LBB72_16:
	s_or_b64 exec, exec, s[20:21]
	v_mov_b32_e32 v0, v101
.LBB72_17:
	s_or_b64 exec, exec, s[18:19]
.LBB72_18:
	s_or_saveexec_b64 s[0:1], s[0:1]
	v_mov_b32_e32 v109, v0
	s_xor_b64 exec, exec, s[0:1]
	s_cbranch_execz .LBB72_20
; %bb.19:
	buffer_load_dword v97, off, s[24:27], 0 offset:168 ; 4-byte Folded Reload
	buffer_load_dword v98, off, s[24:27], 0 offset:172 ; 4-byte Folded Reload
	;; [unrolled: 1-line block ×4, first 2 shown]
	v_mov_b32_e32 v109, 0
	s_waitcnt vmcnt(0)
	ds_write2_b64 v103, v[97:98], v[99:100] offset0:2 offset1:3
	buffer_load_dword v97, off, s[24:27], 0 offset:144 ; 4-byte Folded Reload
	buffer_load_dword v98, off, s[24:27], 0 offset:148 ; 4-byte Folded Reload
	buffer_load_dword v99, off, s[24:27], 0 offset:152 ; 4-byte Folded Reload
	buffer_load_dword v100, off, s[24:27], 0 offset:156 ; 4-byte Folded Reload
	s_waitcnt vmcnt(0)
	ds_write2_b64 v103, v[97:98], v[99:100] offset0:4 offset1:5
	buffer_load_dword v97, off, s[24:27], 0 offset:128 ; 4-byte Folded Reload
	buffer_load_dword v98, off, s[24:27], 0 offset:132 ; 4-byte Folded Reload
	buffer_load_dword v99, off, s[24:27], 0 offset:136 ; 4-byte Folded Reload
	buffer_load_dword v100, off, s[24:27], 0 offset:140 ; 4-byte Folded Reload
	;; [unrolled: 6-line block ×9, first 2 shown]
	s_waitcnt vmcnt(0)
	ds_write2_b64 v103, v[97:98], v[99:100] offset0:20 offset1:21
	buffer_load_dword v97, off, s[24:27], 0 ; 4-byte Folded Reload
	buffer_load_dword v98, off, s[24:27], 0 offset:4 ; 4-byte Folded Reload
	buffer_load_dword v99, off, s[24:27], 0 offset:8 ; 4-byte Folded Reload
	;; [unrolled: 1-line block ×3, first 2 shown]
	s_waitcnt vmcnt(0)
	ds_write2_b64 v103, v[97:98], v[99:100] offset0:22 offset1:23
	ds_write2_b64 v103, v[93:94], v[95:96] offset0:24 offset1:25
	;; [unrolled: 1-line block ×26, first 2 shown]
.LBB72_20:
	s_or_b64 exec, exec, s[0:1]
	v_cmp_lt_i32_e32 vcc, 0, v109
	s_waitcnt vmcnt(0) lgkmcnt(0)
	s_barrier
	s_and_saveexec_b64 s[0:1], vcc
	s_cbranch_execz .LBB72_22
; %bb.21:
	buffer_load_dword v115, off, s[24:27], 0 offset:184 ; 4-byte Folded Reload
	buffer_load_dword v116, off, s[24:27], 0 offset:188 ; 4-byte Folded Reload
	;; [unrolled: 1-line block ×4, first 2 shown]
	s_waitcnt vmcnt(0)
	v_mul_f64 v[97:98], v[123:124], v[117:118]
	v_fma_f64 v[125:126], v[121:122], v[115:116], -v[97:98]
	v_mul_f64 v[97:98], v[121:122], v[117:118]
	v_fma_f64 v[117:118], v[123:124], v[115:116], v[97:98]
	ds_read2_b64 v[97:100], v103 offset0:2 offset1:3
	buffer_load_dword v113, off, s[24:27], 0 offset:168 ; 4-byte Folded Reload
	buffer_load_dword v114, off, s[24:27], 0 offset:172 ; 4-byte Folded Reload
	buffer_load_dword v115, off, s[24:27], 0 offset:176 ; 4-byte Folded Reload
	buffer_load_dword v116, off, s[24:27], 0 offset:180 ; 4-byte Folded Reload
	s_waitcnt lgkmcnt(0)
	v_mul_f64 v[101:102], v[99:100], v[117:118]
	v_fma_f64 v[101:102], v[97:98], v[125:126], -v[101:102]
	v_mul_f64 v[97:98], v[97:98], v[117:118]
	v_fma_f64 v[97:98], v[99:100], v[125:126], v[97:98]
	s_waitcnt vmcnt(2)
	v_add_f64 v[113:114], v[113:114], -v[101:102]
	s_waitcnt vmcnt(0)
	v_add_f64 v[115:116], v[115:116], -v[97:98]
	buffer_store_dword v113, off, s[24:27], 0 offset:168 ; 4-byte Folded Spill
	s_nop 0
	buffer_store_dword v114, off, s[24:27], 0 offset:172 ; 4-byte Folded Spill
	buffer_store_dword v115, off, s[24:27], 0 offset:176 ; 4-byte Folded Spill
	buffer_store_dword v116, off, s[24:27], 0 offset:180 ; 4-byte Folded Spill
	ds_read2_b64 v[97:100], v103 offset0:4 offset1:5
	buffer_load_dword v113, off, s[24:27], 0 offset:144 ; 4-byte Folded Reload
	buffer_load_dword v114, off, s[24:27], 0 offset:148 ; 4-byte Folded Reload
	buffer_load_dword v115, off, s[24:27], 0 offset:152 ; 4-byte Folded Reload
	buffer_load_dword v116, off, s[24:27], 0 offset:156 ; 4-byte Folded Reload
	s_waitcnt lgkmcnt(0)
	v_mul_f64 v[101:102], v[99:100], v[117:118]
	v_fma_f64 v[101:102], v[97:98], v[125:126], -v[101:102]
	v_mul_f64 v[97:98], v[97:98], v[117:118]
	v_fma_f64 v[97:98], v[99:100], v[125:126], v[97:98]
	s_waitcnt vmcnt(2)
	v_add_f64 v[113:114], v[113:114], -v[101:102]
	s_waitcnt vmcnt(0)
	v_add_f64 v[115:116], v[115:116], -v[97:98]
	buffer_store_dword v113, off, s[24:27], 0 offset:144 ; 4-byte Folded Spill
	s_nop 0
	buffer_store_dword v114, off, s[24:27], 0 offset:148 ; 4-byte Folded Spill
	buffer_store_dword v115, off, s[24:27], 0 offset:152 ; 4-byte Folded Spill
	buffer_store_dword v116, off, s[24:27], 0 offset:156 ; 4-byte Folded Spill
	;; [unrolled: 19-line block ×10, first 2 shown]
	ds_read2_b64 v[97:100], v103 offset0:22 offset1:23
	buffer_load_dword v113, off, s[24:27], 0 ; 4-byte Folded Reload
	buffer_load_dword v114, off, s[24:27], 0 offset:4 ; 4-byte Folded Reload
	buffer_load_dword v115, off, s[24:27], 0 offset:8 ; 4-byte Folded Reload
	;; [unrolled: 1-line block ×3, first 2 shown]
	s_waitcnt lgkmcnt(0)
	v_mul_f64 v[101:102], v[99:100], v[117:118]
	v_fma_f64 v[101:102], v[97:98], v[125:126], -v[101:102]
	v_mul_f64 v[97:98], v[97:98], v[117:118]
	v_fma_f64 v[97:98], v[99:100], v[125:126], v[97:98]
	s_waitcnt vmcnt(2)
	v_add_f64 v[113:114], v[113:114], -v[101:102]
	s_waitcnt vmcnt(0)
	v_add_f64 v[115:116], v[115:116], -v[97:98]
	buffer_store_dword v113, off, s[24:27], 0 ; 4-byte Folded Spill
	s_nop 0
	buffer_store_dword v114, off, s[24:27], 0 offset:4 ; 4-byte Folded Spill
	buffer_store_dword v115, off, s[24:27], 0 offset:8 ; 4-byte Folded Spill
	;; [unrolled: 1-line block ×3, first 2 shown]
	ds_read2_b64 v[97:100], v103 offset0:24 offset1:25
	v_mov_b32_e32 v115, v125
	v_mov_b32_e32 v116, v126
	s_waitcnt lgkmcnt(0)
	v_mul_f64 v[101:102], v[99:100], v[117:118]
	v_fma_f64 v[101:102], v[97:98], v[125:126], -v[101:102]
	v_mul_f64 v[97:98], v[97:98], v[117:118]
	v_add_f64 v[93:94], v[93:94], -v[101:102]
	v_fma_f64 v[97:98], v[99:100], v[125:126], v[97:98]
	v_add_f64 v[95:96], v[95:96], -v[97:98]
	ds_read2_b64 v[97:100], v103 offset0:26 offset1:27
	s_waitcnt lgkmcnt(0)
	v_mul_f64 v[101:102], v[99:100], v[117:118]
	v_fma_f64 v[101:102], v[97:98], v[125:126], -v[101:102]
	v_mul_f64 v[97:98], v[97:98], v[117:118]
	v_add_f64 v[89:90], v[89:90], -v[101:102]
	v_fma_f64 v[97:98], v[99:100], v[125:126], v[97:98]
	v_add_f64 v[91:92], v[91:92], -v[97:98]
	ds_read2_b64 v[97:100], v103 offset0:28 offset1:29
	;; [unrolled: 8-line block ×24, first 2 shown]
	s_waitcnt lgkmcnt(0)
	v_mul_f64 v[101:102], v[99:100], v[117:118]
	v_fma_f64 v[101:102], v[97:98], v[125:126], -v[101:102]
	v_mul_f64 v[97:98], v[97:98], v[117:118]
	buffer_store_dword v115, off, s[24:27], 0 offset:184 ; 4-byte Folded Spill
	s_nop 0
	buffer_store_dword v116, off, s[24:27], 0 offset:188 ; 4-byte Folded Spill
	buffer_store_dword v117, off, s[24:27], 0 offset:192 ; 4-byte Folded Spill
	;; [unrolled: 1-line block ×3, first 2 shown]
	v_add_f64 v[105:106], v[105:106], -v[101:102]
	v_fma_f64 v[97:98], v[99:100], v[125:126], v[97:98]
	v_add_f64 v[107:108], v[107:108], -v[97:98]
.LBB72_22:
	s_or_b64 exec, exec, s[0:1]
	s_waitcnt vmcnt(0)
	s_barrier
	buffer_load_dword v98, off, s[24:27], 0 offset:168 ; 4-byte Folded Reload
	buffer_load_dword v99, off, s[24:27], 0 offset:172 ; 4-byte Folded Reload
	;; [unrolled: 1-line block ×4, first 2 shown]
	v_lshl_add_u32 v97, v109, 4, v103
	s_cmp_lt_i32 s3, 3
	s_waitcnt vmcnt(0)
	ds_write2_b64 v97, v[98:99], v[100:101] offset1:1
	s_waitcnt lgkmcnt(0)
	s_barrier
	ds_read2_b64 v[121:124], v103 offset0:2 offset1:3
	v_mov_b32_e32 v101, 1
	s_cbranch_scc1 .LBB72_25
; %bb.23:
	v_add3_u32 v97, v110, 0, 32
	s_mov_b32 s0, 2
	v_mov_b32_e32 v101, 1
.LBB72_24:                              ; =>This Inner Loop Header: Depth=1
	s_waitcnt lgkmcnt(0)
	v_cmp_gt_f64_e32 vcc, 0, v[121:122]
	v_xor_b32_e32 v98, 0x80000000, v122
	ds_read2_b64 v[113:116], v97 offset1:1
	v_xor_b32_e32 v100, 0x80000000, v124
	v_mov_b32_e32 v117, v123
	v_add_u32_e32 v97, 16, v97
	s_waitcnt lgkmcnt(0)
	v_mov_b32_e32 v119, v115
	v_cndmask_b32_e32 v99, v122, v98, vcc
	v_cmp_gt_f64_e32 vcc, 0, v[123:124]
	v_mov_b32_e32 v98, v121
	v_cndmask_b32_e32 v118, v124, v100, vcc
	v_cmp_gt_f64_e32 vcc, 0, v[113:114]
	v_xor_b32_e32 v100, 0x80000000, v114
	v_add_f64 v[98:99], v[98:99], v[117:118]
	v_mov_b32_e32 v117, v113
	v_cndmask_b32_e32 v118, v114, v100, vcc
	v_cmp_gt_f64_e32 vcc, 0, v[115:116]
	v_xor_b32_e32 v100, 0x80000000, v116
	v_cndmask_b32_e32 v120, v116, v100, vcc
	v_add_f64 v[117:118], v[117:118], v[119:120]
	v_cmp_lt_f64_e32 vcc, v[98:99], v[117:118]
	v_mov_b32_e32 v98, s0
	s_add_i32 s0, s0, 1
	s_cmp_lg_u32 s3, s0
	v_cndmask_b32_e32 v122, v122, v114, vcc
	v_cndmask_b32_e32 v121, v121, v113, vcc
	;; [unrolled: 1-line block ×5, first 2 shown]
	s_cbranch_scc1 .LBB72_24
.LBB72_25:
	s_waitcnt lgkmcnt(0)
	v_cmp_neq_f64_e32 vcc, 0, v[121:122]
	v_cmp_neq_f64_e64 s[0:1], 0, v[123:124]
	s_or_b64 s[18:19], vcc, s[0:1]
	s_and_saveexec_b64 s[0:1], s[18:19]
	s_cbranch_execz .LBB72_31
; %bb.26:
	v_cmp_ngt_f64_e64 s[18:19], |v[121:122]|, |v[123:124]|
	s_and_saveexec_b64 s[20:21], s[18:19]
	s_xor_b64 s[18:19], exec, s[20:21]
	s_cbranch_execz .LBB72_28
; %bb.27:
	v_div_scale_f64 v[97:98], s[20:21], v[123:124], v[123:124], v[121:122]
	v_rcp_f64_e32 v[99:100], v[97:98]
	v_fma_f64 v[113:114], -v[97:98], v[99:100], 1.0
	v_fma_f64 v[99:100], v[99:100], v[113:114], v[99:100]
	v_div_scale_f64 v[113:114], vcc, v[121:122], v[123:124], v[121:122]
	v_fma_f64 v[115:116], -v[97:98], v[99:100], 1.0
	v_fma_f64 v[99:100], v[99:100], v[115:116], v[99:100]
	v_mul_f64 v[115:116], v[113:114], v[99:100]
	v_fma_f64 v[97:98], -v[97:98], v[115:116], v[113:114]
	v_div_fmas_f64 v[97:98], v[97:98], v[99:100], v[115:116]
	v_div_fixup_f64 v[97:98], v[97:98], v[123:124], v[121:122]
	v_fma_f64 v[99:100], v[121:122], v[97:98], v[123:124]
	v_div_scale_f64 v[113:114], s[20:21], v[99:100], v[99:100], 1.0
	v_div_scale_f64 v[119:120], vcc, 1.0, v[99:100], 1.0
	v_rcp_f64_e32 v[115:116], v[113:114]
	v_fma_f64 v[117:118], -v[113:114], v[115:116], 1.0
	v_fma_f64 v[115:116], v[115:116], v[117:118], v[115:116]
	v_fma_f64 v[117:118], -v[113:114], v[115:116], 1.0
	v_fma_f64 v[115:116], v[115:116], v[117:118], v[115:116]
	v_mul_f64 v[117:118], v[119:120], v[115:116]
	v_fma_f64 v[113:114], -v[113:114], v[117:118], v[119:120]
	v_div_fmas_f64 v[113:114], v[113:114], v[115:116], v[117:118]
	v_div_fixup_f64 v[123:124], v[113:114], v[99:100], 1.0
	v_mul_f64 v[121:122], v[97:98], v[123:124]
	v_xor_b32_e32 v124, 0x80000000, v124
.LBB72_28:
	s_andn2_saveexec_b64 s[18:19], s[18:19]
	s_cbranch_execz .LBB72_30
; %bb.29:
	v_div_scale_f64 v[97:98], s[20:21], v[121:122], v[121:122], v[123:124]
	v_rcp_f64_e32 v[99:100], v[97:98]
	v_fma_f64 v[113:114], -v[97:98], v[99:100], 1.0
	v_fma_f64 v[99:100], v[99:100], v[113:114], v[99:100]
	v_div_scale_f64 v[113:114], vcc, v[123:124], v[121:122], v[123:124]
	v_fma_f64 v[115:116], -v[97:98], v[99:100], 1.0
	v_fma_f64 v[99:100], v[99:100], v[115:116], v[99:100]
	v_mul_f64 v[115:116], v[113:114], v[99:100]
	v_fma_f64 v[97:98], -v[97:98], v[115:116], v[113:114]
	v_div_fmas_f64 v[97:98], v[97:98], v[99:100], v[115:116]
	v_div_fixup_f64 v[97:98], v[97:98], v[121:122], v[123:124]
	v_fma_f64 v[99:100], v[123:124], v[97:98], v[121:122]
	v_div_scale_f64 v[113:114], s[20:21], v[99:100], v[99:100], 1.0
	v_div_scale_f64 v[119:120], vcc, 1.0, v[99:100], 1.0
	v_rcp_f64_e32 v[115:116], v[113:114]
	v_fma_f64 v[117:118], -v[113:114], v[115:116], 1.0
	v_fma_f64 v[115:116], v[115:116], v[117:118], v[115:116]
	v_fma_f64 v[117:118], -v[113:114], v[115:116], 1.0
	v_fma_f64 v[115:116], v[115:116], v[117:118], v[115:116]
	v_mul_f64 v[117:118], v[119:120], v[115:116]
	v_fma_f64 v[113:114], -v[113:114], v[117:118], v[119:120]
	v_div_fmas_f64 v[113:114], v[113:114], v[115:116], v[117:118]
	v_div_fixup_f64 v[121:122], v[113:114], v[99:100], 1.0
	v_mul_f64 v[123:124], v[97:98], -v[121:122]
.LBB72_30:
	s_or_b64 exec, exec, s[18:19]
	v_mov_b32_e32 v111, v112
.LBB72_31:
	s_or_b64 exec, exec, s[0:1]
	v_cmp_ne_u32_e32 vcc, v109, v101
	s_and_saveexec_b64 s[0:1], vcc
	s_xor_b64 s[0:1], exec, s[0:1]
	s_cbranch_execz .LBB72_37
; %bb.32:
	v_cmp_eq_u32_e32 vcc, 1, v109
	s_and_saveexec_b64 s[18:19], vcc
	s_cbranch_execz .LBB72_36
; %bb.33:
	v_cmp_ne_u32_e32 vcc, 1, v101
	s_xor_b64 s[20:21], s[6:7], -1
	s_and_b64 s[22:23], s[20:21], vcc
	s_and_saveexec_b64 s[20:21], s[22:23]
	s_cbranch_execz .LBB72_35
; %bb.34:
	buffer_load_dword v112, off, s[24:27], 0 offset:160 ; 4-byte Folded Reload
	buffer_load_dword v113, off, s[24:27], 0 offset:164 ; 4-byte Folded Reload
	v_ashrrev_i32_e32 v102, 31, v101
	v_lshlrev_b64 v[97:98], 2, v[101:102]
	s_waitcnt vmcnt(1)
	v_add_co_u32_e32 v97, vcc, v112, v97
	s_waitcnt vmcnt(0)
	v_addc_co_u32_e32 v98, vcc, v113, v98, vcc
	global_load_dword v0, v[97:98], off
	global_load_dword v99, v[112:113], off offset:4
	s_waitcnt vmcnt(1)
	global_store_dword v[112:113], v0, off offset:4
	s_waitcnt vmcnt(1)
	global_store_dword v[97:98], v99, off
.LBB72_35:
	s_or_b64 exec, exec, s[20:21]
	v_mov_b32_e32 v109, v101
	v_mov_b32_e32 v0, v101
.LBB72_36:
	s_or_b64 exec, exec, s[18:19]
.LBB72_37:
	s_andn2_saveexec_b64 s[0:1], s[0:1]
	s_cbranch_execz .LBB72_39
; %bb.38:
	buffer_load_dword v97, off, s[24:27], 0 offset:144 ; 4-byte Folded Reload
	buffer_load_dword v98, off, s[24:27], 0 offset:148 ; 4-byte Folded Reload
	;; [unrolled: 1-line block ×4, first 2 shown]
	v_mov_b32_e32 v109, 1
	s_waitcnt vmcnt(0)
	ds_write2_b64 v103, v[97:98], v[99:100] offset0:4 offset1:5
	buffer_load_dword v97, off, s[24:27], 0 offset:128 ; 4-byte Folded Reload
	buffer_load_dword v98, off, s[24:27], 0 offset:132 ; 4-byte Folded Reload
	buffer_load_dword v99, off, s[24:27], 0 offset:136 ; 4-byte Folded Reload
	buffer_load_dword v100, off, s[24:27], 0 offset:140 ; 4-byte Folded Reload
	s_waitcnt vmcnt(0)
	ds_write2_b64 v103, v[97:98], v[99:100] offset0:6 offset1:7
	buffer_load_dword v97, off, s[24:27], 0 offset:112 ; 4-byte Folded Reload
	buffer_load_dword v98, off, s[24:27], 0 offset:116 ; 4-byte Folded Reload
	buffer_load_dword v99, off, s[24:27], 0 offset:120 ; 4-byte Folded Reload
	buffer_load_dword v100, off, s[24:27], 0 offset:124 ; 4-byte Folded Reload
	;; [unrolled: 6-line block ×8, first 2 shown]
	s_waitcnt vmcnt(0)
	ds_write2_b64 v103, v[97:98], v[99:100] offset0:20 offset1:21
	buffer_load_dword v97, off, s[24:27], 0 ; 4-byte Folded Reload
	buffer_load_dword v98, off, s[24:27], 0 offset:4 ; 4-byte Folded Reload
	buffer_load_dword v99, off, s[24:27], 0 offset:8 ; 4-byte Folded Reload
	;; [unrolled: 1-line block ×3, first 2 shown]
	s_waitcnt vmcnt(0)
	ds_write2_b64 v103, v[97:98], v[99:100] offset0:22 offset1:23
	ds_write2_b64 v103, v[93:94], v[95:96] offset0:24 offset1:25
	;; [unrolled: 1-line block ×26, first 2 shown]
.LBB72_39:
	s_or_b64 exec, exec, s[0:1]
	v_cmp_lt_i32_e32 vcc, 1, v109
	s_waitcnt vmcnt(0) lgkmcnt(0)
	s_barrier
	s_and_saveexec_b64 s[0:1], vcc
	s_cbranch_execz .LBB72_41
; %bb.40:
	buffer_load_dword v114, off, s[24:27], 0 offset:168 ; 4-byte Folded Reload
	buffer_load_dword v115, off, s[24:27], 0 offset:172 ; 4-byte Folded Reload
	buffer_load_dword v116, off, s[24:27], 0 offset:176 ; 4-byte Folded Reload
	buffer_load_dword v117, off, s[24:27], 0 offset:180 ; 4-byte Folded Reload
	s_waitcnt vmcnt(0)
	v_mul_f64 v[97:98], v[123:124], v[116:117]
	v_fma_f64 v[125:126], v[121:122], v[114:115], -v[97:98]
	v_mul_f64 v[97:98], v[121:122], v[116:117]
	v_fma_f64 v[116:117], v[123:124], v[114:115], v[97:98]
	ds_read2_b64 v[97:100], v103 offset0:4 offset1:5
	buffer_load_dword v112, off, s[24:27], 0 offset:144 ; 4-byte Folded Reload
	buffer_load_dword v113, off, s[24:27], 0 offset:148 ; 4-byte Folded Reload
	buffer_load_dword v114, off, s[24:27], 0 offset:152 ; 4-byte Folded Reload
	buffer_load_dword v115, off, s[24:27], 0 offset:156 ; 4-byte Folded Reload
	s_waitcnt lgkmcnt(0)
	v_mul_f64 v[101:102], v[99:100], v[116:117]
	v_fma_f64 v[101:102], v[97:98], v[125:126], -v[101:102]
	v_mul_f64 v[97:98], v[97:98], v[116:117]
	v_fma_f64 v[97:98], v[99:100], v[125:126], v[97:98]
	s_waitcnt vmcnt(2)
	v_add_f64 v[112:113], v[112:113], -v[101:102]
	s_waitcnt vmcnt(0)
	v_add_f64 v[114:115], v[114:115], -v[97:98]
	buffer_store_dword v112, off, s[24:27], 0 offset:144 ; 4-byte Folded Spill
	s_nop 0
	buffer_store_dword v113, off, s[24:27], 0 offset:148 ; 4-byte Folded Spill
	buffer_store_dword v114, off, s[24:27], 0 offset:152 ; 4-byte Folded Spill
	buffer_store_dword v115, off, s[24:27], 0 offset:156 ; 4-byte Folded Spill
	ds_read2_b64 v[97:100], v103 offset0:6 offset1:7
	buffer_load_dword v112, off, s[24:27], 0 offset:128 ; 4-byte Folded Reload
	buffer_load_dword v113, off, s[24:27], 0 offset:132 ; 4-byte Folded Reload
	buffer_load_dword v114, off, s[24:27], 0 offset:136 ; 4-byte Folded Reload
	buffer_load_dword v115, off, s[24:27], 0 offset:140 ; 4-byte Folded Reload
	s_waitcnt lgkmcnt(0)
	v_mul_f64 v[101:102], v[99:100], v[116:117]
	v_fma_f64 v[101:102], v[97:98], v[125:126], -v[101:102]
	v_mul_f64 v[97:98], v[97:98], v[116:117]
	v_fma_f64 v[97:98], v[99:100], v[125:126], v[97:98]
	s_waitcnt vmcnt(2)
	v_add_f64 v[112:113], v[112:113], -v[101:102]
	s_waitcnt vmcnt(0)
	v_add_f64 v[114:115], v[114:115], -v[97:98]
	buffer_store_dword v112, off, s[24:27], 0 offset:128 ; 4-byte Folded Spill
	s_nop 0
	buffer_store_dword v113, off, s[24:27], 0 offset:132 ; 4-byte Folded Spill
	buffer_store_dword v114, off, s[24:27], 0 offset:136 ; 4-byte Folded Spill
	buffer_store_dword v115, off, s[24:27], 0 offset:140 ; 4-byte Folded Spill
	;; [unrolled: 19-line block ×9, first 2 shown]
	ds_read2_b64 v[97:100], v103 offset0:22 offset1:23
	buffer_load_dword v112, off, s[24:27], 0 ; 4-byte Folded Reload
	buffer_load_dword v113, off, s[24:27], 0 offset:4 ; 4-byte Folded Reload
	buffer_load_dword v114, off, s[24:27], 0 offset:8 ; 4-byte Folded Reload
	;; [unrolled: 1-line block ×3, first 2 shown]
	s_waitcnt lgkmcnt(0)
	v_mul_f64 v[101:102], v[99:100], v[116:117]
	v_fma_f64 v[101:102], v[97:98], v[125:126], -v[101:102]
	v_mul_f64 v[97:98], v[97:98], v[116:117]
	v_fma_f64 v[97:98], v[99:100], v[125:126], v[97:98]
	s_waitcnt vmcnt(2)
	v_add_f64 v[112:113], v[112:113], -v[101:102]
	s_waitcnt vmcnt(0)
	v_add_f64 v[114:115], v[114:115], -v[97:98]
	buffer_store_dword v112, off, s[24:27], 0 ; 4-byte Folded Spill
	s_nop 0
	buffer_store_dword v113, off, s[24:27], 0 offset:4 ; 4-byte Folded Spill
	buffer_store_dword v114, off, s[24:27], 0 offset:8 ; 4-byte Folded Spill
	;; [unrolled: 1-line block ×3, first 2 shown]
	ds_read2_b64 v[97:100], v103 offset0:24 offset1:25
	v_mov_b32_e32 v114, v125
	v_mov_b32_e32 v115, v126
	s_waitcnt lgkmcnt(0)
	v_mul_f64 v[101:102], v[99:100], v[116:117]
	v_fma_f64 v[101:102], v[97:98], v[125:126], -v[101:102]
	v_mul_f64 v[97:98], v[97:98], v[116:117]
	v_add_f64 v[93:94], v[93:94], -v[101:102]
	v_fma_f64 v[97:98], v[99:100], v[125:126], v[97:98]
	v_add_f64 v[95:96], v[95:96], -v[97:98]
	ds_read2_b64 v[97:100], v103 offset0:26 offset1:27
	s_waitcnt lgkmcnt(0)
	v_mul_f64 v[101:102], v[99:100], v[116:117]
	v_fma_f64 v[101:102], v[97:98], v[125:126], -v[101:102]
	v_mul_f64 v[97:98], v[97:98], v[116:117]
	v_add_f64 v[89:90], v[89:90], -v[101:102]
	v_fma_f64 v[97:98], v[99:100], v[125:126], v[97:98]
	v_add_f64 v[91:92], v[91:92], -v[97:98]
	ds_read2_b64 v[97:100], v103 offset0:28 offset1:29
	;; [unrolled: 8-line block ×24, first 2 shown]
	s_waitcnt lgkmcnt(0)
	v_mul_f64 v[101:102], v[99:100], v[116:117]
	v_fma_f64 v[101:102], v[97:98], v[125:126], -v[101:102]
	v_mul_f64 v[97:98], v[97:98], v[116:117]
	buffer_store_dword v114, off, s[24:27], 0 offset:168 ; 4-byte Folded Spill
	s_nop 0
	buffer_store_dword v115, off, s[24:27], 0 offset:172 ; 4-byte Folded Spill
	buffer_store_dword v116, off, s[24:27], 0 offset:176 ; 4-byte Folded Spill
	buffer_store_dword v117, off, s[24:27], 0 offset:180 ; 4-byte Folded Spill
	v_add_f64 v[105:106], v[105:106], -v[101:102]
	v_fma_f64 v[97:98], v[99:100], v[125:126], v[97:98]
	v_add_f64 v[107:108], v[107:108], -v[97:98]
.LBB72_41:
	s_or_b64 exec, exec, s[0:1]
	s_waitcnt vmcnt(0)
	s_barrier
	buffer_load_dword v98, off, s[24:27], 0 offset:144 ; 4-byte Folded Reload
	buffer_load_dword v99, off, s[24:27], 0 offset:148 ; 4-byte Folded Reload
	buffer_load_dword v100, off, s[24:27], 0 offset:152 ; 4-byte Folded Reload
	buffer_load_dword v101, off, s[24:27], 0 offset:156 ; 4-byte Folded Reload
	v_lshl_add_u32 v97, v109, 4, v103
	s_cmp_lt_i32 s3, 4
	s_waitcnt vmcnt(0)
	ds_write2_b64 v97, v[98:99], v[100:101] offset1:1
	s_waitcnt lgkmcnt(0)
	s_barrier
	ds_read2_b64 v[121:124], v103 offset0:4 offset1:5
	v_mov_b32_e32 v101, 2
	s_cbranch_scc1 .LBB72_44
; %bb.42:
	v_add3_u32 v97, v110, 0, 48
	s_mov_b32 s0, 3
	v_mov_b32_e32 v101, 2
.LBB72_43:                              ; =>This Inner Loop Header: Depth=1
	s_waitcnt lgkmcnt(0)
	v_cmp_gt_f64_e32 vcc, 0, v[121:122]
	v_xor_b32_e32 v98, 0x80000000, v122
	ds_read2_b64 v[112:115], v97 offset1:1
	v_xor_b32_e32 v100, 0x80000000, v124
	v_mov_b32_e32 v116, v123
	v_add_u32_e32 v97, 16, v97
	s_waitcnt lgkmcnt(0)
	v_mov_b32_e32 v118, v114
	v_cndmask_b32_e32 v99, v122, v98, vcc
	v_cmp_gt_f64_e32 vcc, 0, v[123:124]
	v_mov_b32_e32 v98, v121
	v_cndmask_b32_e32 v117, v124, v100, vcc
	v_cmp_gt_f64_e32 vcc, 0, v[112:113]
	v_xor_b32_e32 v100, 0x80000000, v113
	v_add_f64 v[98:99], v[98:99], v[116:117]
	v_mov_b32_e32 v116, v112
	v_cndmask_b32_e32 v117, v113, v100, vcc
	v_cmp_gt_f64_e32 vcc, 0, v[114:115]
	v_xor_b32_e32 v100, 0x80000000, v115
	v_cndmask_b32_e32 v119, v115, v100, vcc
	v_add_f64 v[116:117], v[116:117], v[118:119]
	v_cmp_lt_f64_e32 vcc, v[98:99], v[116:117]
	v_mov_b32_e32 v98, s0
	s_add_i32 s0, s0, 1
	s_cmp_lg_u32 s3, s0
	v_cndmask_b32_e32 v122, v122, v113, vcc
	v_cndmask_b32_e32 v121, v121, v112, vcc
	;; [unrolled: 1-line block ×5, first 2 shown]
	s_cbranch_scc1 .LBB72_43
.LBB72_44:
	s_waitcnt lgkmcnt(0)
	v_cmp_eq_f64_e32 vcc, 0, v[121:122]
	v_cmp_eq_f64_e64 s[0:1], 0, v[123:124]
	s_and_b64 s[0:1], vcc, s[0:1]
	s_and_saveexec_b64 s[18:19], s[0:1]
	s_xor_b64 s[0:1], exec, s[18:19]
; %bb.45:
	v_cmp_ne_u32_e32 vcc, 0, v111
	v_cndmask_b32_e32 v111, 3, v111, vcc
; %bb.46:
	s_andn2_saveexec_b64 s[0:1], s[0:1]
	s_cbranch_execz .LBB72_52
; %bb.47:
	v_cmp_ngt_f64_e64 s[18:19], |v[121:122]|, |v[123:124]|
	s_and_saveexec_b64 s[20:21], s[18:19]
	s_xor_b64 s[18:19], exec, s[20:21]
	s_cbranch_execz .LBB72_49
; %bb.48:
	v_div_scale_f64 v[97:98], s[20:21], v[123:124], v[123:124], v[121:122]
	v_rcp_f64_e32 v[99:100], v[97:98]
	v_fma_f64 v[112:113], -v[97:98], v[99:100], 1.0
	v_fma_f64 v[99:100], v[99:100], v[112:113], v[99:100]
	v_div_scale_f64 v[112:113], vcc, v[121:122], v[123:124], v[121:122]
	v_fma_f64 v[114:115], -v[97:98], v[99:100], 1.0
	v_fma_f64 v[99:100], v[99:100], v[114:115], v[99:100]
	v_mul_f64 v[114:115], v[112:113], v[99:100]
	v_fma_f64 v[97:98], -v[97:98], v[114:115], v[112:113]
	v_div_fmas_f64 v[97:98], v[97:98], v[99:100], v[114:115]
	v_div_fixup_f64 v[97:98], v[97:98], v[123:124], v[121:122]
	v_fma_f64 v[99:100], v[121:122], v[97:98], v[123:124]
	v_div_scale_f64 v[112:113], s[20:21], v[99:100], v[99:100], 1.0
	v_div_scale_f64 v[118:119], vcc, 1.0, v[99:100], 1.0
	v_rcp_f64_e32 v[114:115], v[112:113]
	v_fma_f64 v[116:117], -v[112:113], v[114:115], 1.0
	v_fma_f64 v[114:115], v[114:115], v[116:117], v[114:115]
	v_fma_f64 v[116:117], -v[112:113], v[114:115], 1.0
	v_fma_f64 v[114:115], v[114:115], v[116:117], v[114:115]
	v_mul_f64 v[116:117], v[118:119], v[114:115]
	v_fma_f64 v[112:113], -v[112:113], v[116:117], v[118:119]
	v_div_fmas_f64 v[112:113], v[112:113], v[114:115], v[116:117]
	v_div_fixup_f64 v[123:124], v[112:113], v[99:100], 1.0
	v_mul_f64 v[121:122], v[97:98], v[123:124]
	v_xor_b32_e32 v124, 0x80000000, v124
.LBB72_49:
	s_andn2_saveexec_b64 s[18:19], s[18:19]
	s_cbranch_execz .LBB72_51
; %bb.50:
	v_div_scale_f64 v[97:98], s[20:21], v[121:122], v[121:122], v[123:124]
	v_rcp_f64_e32 v[99:100], v[97:98]
	v_fma_f64 v[112:113], -v[97:98], v[99:100], 1.0
	v_fma_f64 v[99:100], v[99:100], v[112:113], v[99:100]
	v_div_scale_f64 v[112:113], vcc, v[123:124], v[121:122], v[123:124]
	v_fma_f64 v[114:115], -v[97:98], v[99:100], 1.0
	v_fma_f64 v[99:100], v[99:100], v[114:115], v[99:100]
	v_mul_f64 v[114:115], v[112:113], v[99:100]
	v_fma_f64 v[97:98], -v[97:98], v[114:115], v[112:113]
	v_div_fmas_f64 v[97:98], v[97:98], v[99:100], v[114:115]
	v_div_fixup_f64 v[97:98], v[97:98], v[121:122], v[123:124]
	v_fma_f64 v[99:100], v[123:124], v[97:98], v[121:122]
	v_div_scale_f64 v[112:113], s[20:21], v[99:100], v[99:100], 1.0
	v_div_scale_f64 v[118:119], vcc, 1.0, v[99:100], 1.0
	v_rcp_f64_e32 v[114:115], v[112:113]
	v_fma_f64 v[116:117], -v[112:113], v[114:115], 1.0
	v_fma_f64 v[114:115], v[114:115], v[116:117], v[114:115]
	v_fma_f64 v[116:117], -v[112:113], v[114:115], 1.0
	v_fma_f64 v[114:115], v[114:115], v[116:117], v[114:115]
	v_mul_f64 v[116:117], v[118:119], v[114:115]
	v_fma_f64 v[112:113], -v[112:113], v[116:117], v[118:119]
	v_div_fmas_f64 v[112:113], v[112:113], v[114:115], v[116:117]
	v_div_fixup_f64 v[121:122], v[112:113], v[99:100], 1.0
	v_mul_f64 v[123:124], v[97:98], -v[121:122]
.LBB72_51:
	s_or_b64 exec, exec, s[18:19]
.LBB72_52:
	s_or_b64 exec, exec, s[0:1]
	v_cmp_ne_u32_e32 vcc, v109, v101
	s_and_saveexec_b64 s[0:1], vcc
	s_xor_b64 s[0:1], exec, s[0:1]
	s_cbranch_execz .LBB72_58
; %bb.53:
	v_cmp_eq_u32_e32 vcc, 2, v109
	s_and_saveexec_b64 s[18:19], vcc
	s_cbranch_execz .LBB72_57
; %bb.54:
	v_cmp_ne_u32_e32 vcc, 2, v101
	s_xor_b64 s[20:21], s[6:7], -1
	s_and_b64 s[22:23], s[20:21], vcc
	s_and_saveexec_b64 s[20:21], s[22:23]
	s_cbranch_execz .LBB72_56
; %bb.55:
	buffer_load_dword v112, off, s[24:27], 0 offset:160 ; 4-byte Folded Reload
	buffer_load_dword v113, off, s[24:27], 0 offset:164 ; 4-byte Folded Reload
	v_ashrrev_i32_e32 v102, 31, v101
	v_lshlrev_b64 v[97:98], 2, v[101:102]
	s_waitcnt vmcnt(1)
	v_add_co_u32_e32 v97, vcc, v112, v97
	s_waitcnt vmcnt(0)
	v_addc_co_u32_e32 v98, vcc, v113, v98, vcc
	global_load_dword v0, v[97:98], off
	global_load_dword v99, v[112:113], off offset:8
	s_waitcnt vmcnt(1)
	global_store_dword v[112:113], v0, off offset:8
	s_waitcnt vmcnt(1)
	global_store_dword v[97:98], v99, off
.LBB72_56:
	s_or_b64 exec, exec, s[20:21]
	v_mov_b32_e32 v109, v101
	v_mov_b32_e32 v0, v101
.LBB72_57:
	s_or_b64 exec, exec, s[18:19]
.LBB72_58:
	s_andn2_saveexec_b64 s[0:1], s[0:1]
	s_cbranch_execz .LBB72_60
; %bb.59:
	buffer_load_dword v97, off, s[24:27], 0 offset:128 ; 4-byte Folded Reload
	buffer_load_dword v98, off, s[24:27], 0 offset:132 ; 4-byte Folded Reload
	;; [unrolled: 1-line block ×4, first 2 shown]
	v_mov_b32_e32 v109, 2
	s_waitcnt vmcnt(0)
	ds_write2_b64 v103, v[97:98], v[99:100] offset0:6 offset1:7
	buffer_load_dword v97, off, s[24:27], 0 offset:112 ; 4-byte Folded Reload
	buffer_load_dword v98, off, s[24:27], 0 offset:116 ; 4-byte Folded Reload
	buffer_load_dword v99, off, s[24:27], 0 offset:120 ; 4-byte Folded Reload
	buffer_load_dword v100, off, s[24:27], 0 offset:124 ; 4-byte Folded Reload
	s_waitcnt vmcnt(0)
	ds_write2_b64 v103, v[97:98], v[99:100] offset0:8 offset1:9
	buffer_load_dword v97, off, s[24:27], 0 offset:96 ; 4-byte Folded Reload
	buffer_load_dword v98, off, s[24:27], 0 offset:100 ; 4-byte Folded Reload
	buffer_load_dword v99, off, s[24:27], 0 offset:104 ; 4-byte Folded Reload
	buffer_load_dword v100, off, s[24:27], 0 offset:108 ; 4-byte Folded Reload
	;; [unrolled: 6-line block ×7, first 2 shown]
	s_waitcnt vmcnt(0)
	ds_write2_b64 v103, v[97:98], v[99:100] offset0:20 offset1:21
	buffer_load_dword v97, off, s[24:27], 0 ; 4-byte Folded Reload
	buffer_load_dword v98, off, s[24:27], 0 offset:4 ; 4-byte Folded Reload
	buffer_load_dword v99, off, s[24:27], 0 offset:8 ; 4-byte Folded Reload
	buffer_load_dword v100, off, s[24:27], 0 offset:12 ; 4-byte Folded Reload
	s_waitcnt vmcnt(0)
	ds_write2_b64 v103, v[97:98], v[99:100] offset0:22 offset1:23
	ds_write2_b64 v103, v[93:94], v[95:96] offset0:24 offset1:25
	;; [unrolled: 1-line block ×26, first 2 shown]
.LBB72_60:
	s_or_b64 exec, exec, s[0:1]
	v_cmp_lt_i32_e32 vcc, 2, v109
	s_waitcnt vmcnt(0) lgkmcnt(0)
	s_barrier
	s_and_saveexec_b64 s[0:1], vcc
	s_cbranch_execz .LBB72_62
; %bb.61:
	buffer_load_dword v114, off, s[24:27], 0 offset:144 ; 4-byte Folded Reload
	buffer_load_dword v115, off, s[24:27], 0 offset:148 ; 4-byte Folded Reload
	;; [unrolled: 1-line block ×4, first 2 shown]
	s_waitcnt vmcnt(0)
	v_mul_f64 v[97:98], v[123:124], v[116:117]
	v_fma_f64 v[125:126], v[121:122], v[114:115], -v[97:98]
	v_mul_f64 v[97:98], v[121:122], v[116:117]
	v_fma_f64 v[116:117], v[123:124], v[114:115], v[97:98]
	ds_read2_b64 v[97:100], v103 offset0:6 offset1:7
	buffer_load_dword v112, off, s[24:27], 0 offset:128 ; 4-byte Folded Reload
	buffer_load_dword v113, off, s[24:27], 0 offset:132 ; 4-byte Folded Reload
	buffer_load_dword v114, off, s[24:27], 0 offset:136 ; 4-byte Folded Reload
	buffer_load_dword v115, off, s[24:27], 0 offset:140 ; 4-byte Folded Reload
	s_waitcnt lgkmcnt(0)
	v_mul_f64 v[101:102], v[99:100], v[116:117]
	v_fma_f64 v[101:102], v[97:98], v[125:126], -v[101:102]
	v_mul_f64 v[97:98], v[97:98], v[116:117]
	v_fma_f64 v[97:98], v[99:100], v[125:126], v[97:98]
	s_waitcnt vmcnt(2)
	v_add_f64 v[112:113], v[112:113], -v[101:102]
	s_waitcnt vmcnt(0)
	v_add_f64 v[114:115], v[114:115], -v[97:98]
	buffer_store_dword v112, off, s[24:27], 0 offset:128 ; 4-byte Folded Spill
	s_nop 0
	buffer_store_dword v113, off, s[24:27], 0 offset:132 ; 4-byte Folded Spill
	buffer_store_dword v114, off, s[24:27], 0 offset:136 ; 4-byte Folded Spill
	buffer_store_dword v115, off, s[24:27], 0 offset:140 ; 4-byte Folded Spill
	ds_read2_b64 v[97:100], v103 offset0:8 offset1:9
	buffer_load_dword v112, off, s[24:27], 0 offset:112 ; 4-byte Folded Reload
	buffer_load_dword v113, off, s[24:27], 0 offset:116 ; 4-byte Folded Reload
	buffer_load_dword v114, off, s[24:27], 0 offset:120 ; 4-byte Folded Reload
	buffer_load_dword v115, off, s[24:27], 0 offset:124 ; 4-byte Folded Reload
	s_waitcnt lgkmcnt(0)
	v_mul_f64 v[101:102], v[99:100], v[116:117]
	v_fma_f64 v[101:102], v[97:98], v[125:126], -v[101:102]
	v_mul_f64 v[97:98], v[97:98], v[116:117]
	v_fma_f64 v[97:98], v[99:100], v[125:126], v[97:98]
	s_waitcnt vmcnt(2)
	v_add_f64 v[112:113], v[112:113], -v[101:102]
	s_waitcnt vmcnt(0)
	v_add_f64 v[114:115], v[114:115], -v[97:98]
	buffer_store_dword v112, off, s[24:27], 0 offset:112 ; 4-byte Folded Spill
	s_nop 0
	buffer_store_dword v113, off, s[24:27], 0 offset:116 ; 4-byte Folded Spill
	buffer_store_dword v114, off, s[24:27], 0 offset:120 ; 4-byte Folded Spill
	buffer_store_dword v115, off, s[24:27], 0 offset:124 ; 4-byte Folded Spill
	;; [unrolled: 19-line block ×8, first 2 shown]
	ds_read2_b64 v[97:100], v103 offset0:22 offset1:23
	buffer_load_dword v112, off, s[24:27], 0 ; 4-byte Folded Reload
	buffer_load_dword v113, off, s[24:27], 0 offset:4 ; 4-byte Folded Reload
	buffer_load_dword v114, off, s[24:27], 0 offset:8 ; 4-byte Folded Reload
	buffer_load_dword v115, off, s[24:27], 0 offset:12 ; 4-byte Folded Reload
	s_waitcnt lgkmcnt(0)
	v_mul_f64 v[101:102], v[99:100], v[116:117]
	v_fma_f64 v[101:102], v[97:98], v[125:126], -v[101:102]
	v_mul_f64 v[97:98], v[97:98], v[116:117]
	v_fma_f64 v[97:98], v[99:100], v[125:126], v[97:98]
	s_waitcnt vmcnt(2)
	v_add_f64 v[112:113], v[112:113], -v[101:102]
	s_waitcnt vmcnt(0)
	v_add_f64 v[114:115], v[114:115], -v[97:98]
	buffer_store_dword v112, off, s[24:27], 0 ; 4-byte Folded Spill
	s_nop 0
	buffer_store_dword v113, off, s[24:27], 0 offset:4 ; 4-byte Folded Spill
	buffer_store_dword v114, off, s[24:27], 0 offset:8 ; 4-byte Folded Spill
	;; [unrolled: 1-line block ×3, first 2 shown]
	ds_read2_b64 v[97:100], v103 offset0:24 offset1:25
	v_mov_b32_e32 v114, v125
	v_mov_b32_e32 v115, v126
	s_waitcnt lgkmcnt(0)
	v_mul_f64 v[101:102], v[99:100], v[116:117]
	v_fma_f64 v[101:102], v[97:98], v[125:126], -v[101:102]
	v_mul_f64 v[97:98], v[97:98], v[116:117]
	v_add_f64 v[93:94], v[93:94], -v[101:102]
	v_fma_f64 v[97:98], v[99:100], v[125:126], v[97:98]
	v_add_f64 v[95:96], v[95:96], -v[97:98]
	ds_read2_b64 v[97:100], v103 offset0:26 offset1:27
	s_waitcnt lgkmcnt(0)
	v_mul_f64 v[101:102], v[99:100], v[116:117]
	v_fma_f64 v[101:102], v[97:98], v[125:126], -v[101:102]
	v_mul_f64 v[97:98], v[97:98], v[116:117]
	v_add_f64 v[89:90], v[89:90], -v[101:102]
	v_fma_f64 v[97:98], v[99:100], v[125:126], v[97:98]
	v_add_f64 v[91:92], v[91:92], -v[97:98]
	ds_read2_b64 v[97:100], v103 offset0:28 offset1:29
	;; [unrolled: 8-line block ×24, first 2 shown]
	s_waitcnt lgkmcnt(0)
	v_mul_f64 v[101:102], v[99:100], v[116:117]
	v_fma_f64 v[101:102], v[97:98], v[125:126], -v[101:102]
	v_mul_f64 v[97:98], v[97:98], v[116:117]
	buffer_store_dword v114, off, s[24:27], 0 offset:144 ; 4-byte Folded Spill
	s_nop 0
	buffer_store_dword v115, off, s[24:27], 0 offset:148 ; 4-byte Folded Spill
	buffer_store_dword v116, off, s[24:27], 0 offset:152 ; 4-byte Folded Spill
	buffer_store_dword v117, off, s[24:27], 0 offset:156 ; 4-byte Folded Spill
	v_add_f64 v[105:106], v[105:106], -v[101:102]
	v_fma_f64 v[97:98], v[99:100], v[125:126], v[97:98]
	v_add_f64 v[107:108], v[107:108], -v[97:98]
.LBB72_62:
	s_or_b64 exec, exec, s[0:1]
	s_waitcnt vmcnt(0)
	s_barrier
	buffer_load_dword v98, off, s[24:27], 0 offset:128 ; 4-byte Folded Reload
	buffer_load_dword v99, off, s[24:27], 0 offset:132 ; 4-byte Folded Reload
	buffer_load_dword v100, off, s[24:27], 0 offset:136 ; 4-byte Folded Reload
	buffer_load_dword v101, off, s[24:27], 0 offset:140 ; 4-byte Folded Reload
	v_lshl_add_u32 v97, v109, 4, v103
	s_mov_b32 s0, 4
	s_cmp_lt_i32 s3, 5
	s_waitcnt vmcnt(0)
	ds_write2_b64 v97, v[98:99], v[100:101] offset1:1
	s_waitcnt lgkmcnt(0)
	s_barrier
	ds_read2_b64 v[121:124], v103 offset0:6 offset1:7
	v_mov_b32_e32 v101, 3
	s_cbranch_scc1 .LBB72_65
; %bb.63:
	v_add3_u32 v97, v110, 0, 64
	v_mov_b32_e32 v101, 3
.LBB72_64:                              ; =>This Inner Loop Header: Depth=1
	s_waitcnt lgkmcnt(0)
	v_cmp_gt_f64_e32 vcc, 0, v[121:122]
	v_xor_b32_e32 v98, 0x80000000, v122
	ds_read2_b64 v[112:115], v97 offset1:1
	v_xor_b32_e32 v100, 0x80000000, v124
	v_mov_b32_e32 v116, v123
	v_add_u32_e32 v97, 16, v97
	s_waitcnt lgkmcnt(0)
	v_mov_b32_e32 v118, v114
	v_cndmask_b32_e32 v99, v122, v98, vcc
	v_cmp_gt_f64_e32 vcc, 0, v[123:124]
	v_mov_b32_e32 v98, v121
	v_cndmask_b32_e32 v117, v124, v100, vcc
	v_cmp_gt_f64_e32 vcc, 0, v[112:113]
	v_xor_b32_e32 v100, 0x80000000, v113
	v_add_f64 v[98:99], v[98:99], v[116:117]
	v_mov_b32_e32 v116, v112
	v_cndmask_b32_e32 v117, v113, v100, vcc
	v_cmp_gt_f64_e32 vcc, 0, v[114:115]
	v_xor_b32_e32 v100, 0x80000000, v115
	v_cndmask_b32_e32 v119, v115, v100, vcc
	v_add_f64 v[116:117], v[116:117], v[118:119]
	v_cmp_lt_f64_e32 vcc, v[98:99], v[116:117]
	v_mov_b32_e32 v98, s0
	s_add_i32 s0, s0, 1
	s_cmp_lg_u32 s3, s0
	v_cndmask_b32_e32 v122, v122, v113, vcc
	v_cndmask_b32_e32 v121, v121, v112, vcc
	;; [unrolled: 1-line block ×5, first 2 shown]
	s_cbranch_scc1 .LBB72_64
.LBB72_65:
	s_waitcnt lgkmcnt(0)
	v_cmp_eq_f64_e32 vcc, 0, v[121:122]
	v_cmp_eq_f64_e64 s[0:1], 0, v[123:124]
	s_and_b64 s[0:1], vcc, s[0:1]
	s_and_saveexec_b64 s[18:19], s[0:1]
	s_xor_b64 s[0:1], exec, s[18:19]
; %bb.66:
	v_cmp_ne_u32_e32 vcc, 0, v111
	v_cndmask_b32_e32 v111, 4, v111, vcc
; %bb.67:
	s_andn2_saveexec_b64 s[0:1], s[0:1]
	s_cbranch_execz .LBB72_73
; %bb.68:
	v_cmp_ngt_f64_e64 s[18:19], |v[121:122]|, |v[123:124]|
	s_and_saveexec_b64 s[20:21], s[18:19]
	s_xor_b64 s[18:19], exec, s[20:21]
	s_cbranch_execz .LBB72_70
; %bb.69:
	v_div_scale_f64 v[97:98], s[20:21], v[123:124], v[123:124], v[121:122]
	v_rcp_f64_e32 v[99:100], v[97:98]
	v_fma_f64 v[112:113], -v[97:98], v[99:100], 1.0
	v_fma_f64 v[99:100], v[99:100], v[112:113], v[99:100]
	v_div_scale_f64 v[112:113], vcc, v[121:122], v[123:124], v[121:122]
	v_fma_f64 v[114:115], -v[97:98], v[99:100], 1.0
	v_fma_f64 v[99:100], v[99:100], v[114:115], v[99:100]
	v_mul_f64 v[114:115], v[112:113], v[99:100]
	v_fma_f64 v[97:98], -v[97:98], v[114:115], v[112:113]
	v_div_fmas_f64 v[97:98], v[97:98], v[99:100], v[114:115]
	v_div_fixup_f64 v[97:98], v[97:98], v[123:124], v[121:122]
	v_fma_f64 v[99:100], v[121:122], v[97:98], v[123:124]
	v_div_scale_f64 v[112:113], s[20:21], v[99:100], v[99:100], 1.0
	v_div_scale_f64 v[118:119], vcc, 1.0, v[99:100], 1.0
	v_rcp_f64_e32 v[114:115], v[112:113]
	v_fma_f64 v[116:117], -v[112:113], v[114:115], 1.0
	v_fma_f64 v[114:115], v[114:115], v[116:117], v[114:115]
	v_fma_f64 v[116:117], -v[112:113], v[114:115], 1.0
	v_fma_f64 v[114:115], v[114:115], v[116:117], v[114:115]
	v_mul_f64 v[116:117], v[118:119], v[114:115]
	v_fma_f64 v[112:113], -v[112:113], v[116:117], v[118:119]
	v_div_fmas_f64 v[112:113], v[112:113], v[114:115], v[116:117]
	v_div_fixup_f64 v[123:124], v[112:113], v[99:100], 1.0
	v_mul_f64 v[121:122], v[97:98], v[123:124]
	v_xor_b32_e32 v124, 0x80000000, v124
.LBB72_70:
	s_andn2_saveexec_b64 s[18:19], s[18:19]
	s_cbranch_execz .LBB72_72
; %bb.71:
	v_div_scale_f64 v[97:98], s[20:21], v[121:122], v[121:122], v[123:124]
	v_rcp_f64_e32 v[99:100], v[97:98]
	v_fma_f64 v[112:113], -v[97:98], v[99:100], 1.0
	v_fma_f64 v[99:100], v[99:100], v[112:113], v[99:100]
	v_div_scale_f64 v[112:113], vcc, v[123:124], v[121:122], v[123:124]
	v_fma_f64 v[114:115], -v[97:98], v[99:100], 1.0
	v_fma_f64 v[99:100], v[99:100], v[114:115], v[99:100]
	v_mul_f64 v[114:115], v[112:113], v[99:100]
	v_fma_f64 v[97:98], -v[97:98], v[114:115], v[112:113]
	v_div_fmas_f64 v[97:98], v[97:98], v[99:100], v[114:115]
	v_div_fixup_f64 v[97:98], v[97:98], v[121:122], v[123:124]
	v_fma_f64 v[99:100], v[123:124], v[97:98], v[121:122]
	v_div_scale_f64 v[112:113], s[20:21], v[99:100], v[99:100], 1.0
	v_div_scale_f64 v[118:119], vcc, 1.0, v[99:100], 1.0
	v_rcp_f64_e32 v[114:115], v[112:113]
	v_fma_f64 v[116:117], -v[112:113], v[114:115], 1.0
	v_fma_f64 v[114:115], v[114:115], v[116:117], v[114:115]
	v_fma_f64 v[116:117], -v[112:113], v[114:115], 1.0
	v_fma_f64 v[114:115], v[114:115], v[116:117], v[114:115]
	v_mul_f64 v[116:117], v[118:119], v[114:115]
	v_fma_f64 v[112:113], -v[112:113], v[116:117], v[118:119]
	v_div_fmas_f64 v[112:113], v[112:113], v[114:115], v[116:117]
	v_div_fixup_f64 v[121:122], v[112:113], v[99:100], 1.0
	v_mul_f64 v[123:124], v[97:98], -v[121:122]
.LBB72_72:
	s_or_b64 exec, exec, s[18:19]
.LBB72_73:
	s_or_b64 exec, exec, s[0:1]
	v_cmp_ne_u32_e32 vcc, v109, v101
	s_and_saveexec_b64 s[0:1], vcc
	s_xor_b64 s[0:1], exec, s[0:1]
	s_cbranch_execz .LBB72_79
; %bb.74:
	v_cmp_eq_u32_e32 vcc, 3, v109
	s_and_saveexec_b64 s[18:19], vcc
	s_cbranch_execz .LBB72_78
; %bb.75:
	v_cmp_ne_u32_e32 vcc, 3, v101
	s_xor_b64 s[20:21], s[6:7], -1
	s_and_b64 s[22:23], s[20:21], vcc
	s_and_saveexec_b64 s[20:21], s[22:23]
	s_cbranch_execz .LBB72_77
; %bb.76:
	buffer_load_dword v109, off, s[24:27], 0 offset:160 ; 4-byte Folded Reload
	buffer_load_dword v110, off, s[24:27], 0 offset:164 ; 4-byte Folded Reload
	v_ashrrev_i32_e32 v102, 31, v101
	v_lshlrev_b64 v[97:98], 2, v[101:102]
	s_waitcnt vmcnt(1)
	v_add_co_u32_e32 v97, vcc, v109, v97
	s_waitcnt vmcnt(0)
	v_addc_co_u32_e32 v98, vcc, v110, v98, vcc
	global_load_dword v0, v[97:98], off
	global_load_dword v99, v[109:110], off offset:12
	s_waitcnt vmcnt(1)
	global_store_dword v[109:110], v0, off offset:12
	s_waitcnt vmcnt(1)
	global_store_dword v[97:98], v99, off
.LBB72_77:
	s_or_b64 exec, exec, s[20:21]
	v_mov_b32_e32 v109, v101
	v_mov_b32_e32 v0, v101
.LBB72_78:
	s_or_b64 exec, exec, s[18:19]
.LBB72_79:
	s_andn2_saveexec_b64 s[0:1], s[0:1]
	s_cbranch_execz .LBB72_81
; %bb.80:
	buffer_load_dword v97, off, s[24:27], 0 offset:112 ; 4-byte Folded Reload
	buffer_load_dword v98, off, s[24:27], 0 offset:116 ; 4-byte Folded Reload
	buffer_load_dword v99, off, s[24:27], 0 offset:120 ; 4-byte Folded Reload
	buffer_load_dword v100, off, s[24:27], 0 offset:124 ; 4-byte Folded Reload
	v_mov_b32_e32 v109, 3
	s_waitcnt vmcnt(0)
	ds_write2_b64 v103, v[97:98], v[99:100] offset0:8 offset1:9
	buffer_load_dword v97, off, s[24:27], 0 offset:96 ; 4-byte Folded Reload
	buffer_load_dword v98, off, s[24:27], 0 offset:100 ; 4-byte Folded Reload
	buffer_load_dword v99, off, s[24:27], 0 offset:104 ; 4-byte Folded Reload
	buffer_load_dword v100, off, s[24:27], 0 offset:108 ; 4-byte Folded Reload
	s_waitcnt vmcnt(0)
	ds_write2_b64 v103, v[97:98], v[99:100] offset0:10 offset1:11
	buffer_load_dword v97, off, s[24:27], 0 offset:80 ; 4-byte Folded Reload
	buffer_load_dword v98, off, s[24:27], 0 offset:84 ; 4-byte Folded Reload
	buffer_load_dword v99, off, s[24:27], 0 offset:88 ; 4-byte Folded Reload
	buffer_load_dword v100, off, s[24:27], 0 offset:92 ; 4-byte Folded Reload
	;; [unrolled: 6-line block ×6, first 2 shown]
	s_waitcnt vmcnt(0)
	ds_write2_b64 v103, v[97:98], v[99:100] offset0:20 offset1:21
	buffer_load_dword v97, off, s[24:27], 0 ; 4-byte Folded Reload
	buffer_load_dword v98, off, s[24:27], 0 offset:4 ; 4-byte Folded Reload
	buffer_load_dword v99, off, s[24:27], 0 offset:8 ; 4-byte Folded Reload
	;; [unrolled: 1-line block ×3, first 2 shown]
	s_waitcnt vmcnt(0)
	ds_write2_b64 v103, v[97:98], v[99:100] offset0:22 offset1:23
	ds_write2_b64 v103, v[93:94], v[95:96] offset0:24 offset1:25
	;; [unrolled: 1-line block ×26, first 2 shown]
.LBB72_81:
	s_or_b64 exec, exec, s[0:1]
	v_cmp_lt_i32_e32 vcc, 3, v109
	s_waitcnt vmcnt(0) lgkmcnt(0)
	s_barrier
	s_and_saveexec_b64 s[0:1], vcc
	s_cbranch_execz .LBB72_83
; %bb.82:
	buffer_load_dword v114, off, s[24:27], 0 offset:128 ; 4-byte Folded Reload
	buffer_load_dword v115, off, s[24:27], 0 offset:132 ; 4-byte Folded Reload
	;; [unrolled: 1-line block ×4, first 2 shown]
	s_waitcnt vmcnt(0)
	v_mul_f64 v[97:98], v[123:124], v[116:117]
	v_fma_f64 v[125:126], v[121:122], v[114:115], -v[97:98]
	v_mul_f64 v[97:98], v[121:122], v[116:117]
	v_fma_f64 v[116:117], v[123:124], v[114:115], v[97:98]
	ds_read2_b64 v[97:100], v103 offset0:8 offset1:9
	buffer_load_dword v112, off, s[24:27], 0 offset:112 ; 4-byte Folded Reload
	buffer_load_dword v113, off, s[24:27], 0 offset:116 ; 4-byte Folded Reload
	buffer_load_dword v114, off, s[24:27], 0 offset:120 ; 4-byte Folded Reload
	buffer_load_dword v115, off, s[24:27], 0 offset:124 ; 4-byte Folded Reload
	s_waitcnt lgkmcnt(0)
	v_mul_f64 v[101:102], v[99:100], v[116:117]
	v_fma_f64 v[101:102], v[97:98], v[125:126], -v[101:102]
	v_mul_f64 v[97:98], v[97:98], v[116:117]
	v_fma_f64 v[97:98], v[99:100], v[125:126], v[97:98]
	s_waitcnt vmcnt(2)
	v_add_f64 v[112:113], v[112:113], -v[101:102]
	s_waitcnt vmcnt(0)
	v_add_f64 v[114:115], v[114:115], -v[97:98]
	buffer_store_dword v112, off, s[24:27], 0 offset:112 ; 4-byte Folded Spill
	s_nop 0
	buffer_store_dword v113, off, s[24:27], 0 offset:116 ; 4-byte Folded Spill
	buffer_store_dword v114, off, s[24:27], 0 offset:120 ; 4-byte Folded Spill
	buffer_store_dword v115, off, s[24:27], 0 offset:124 ; 4-byte Folded Spill
	ds_read2_b64 v[97:100], v103 offset0:10 offset1:11
	buffer_load_dword v112, off, s[24:27], 0 offset:96 ; 4-byte Folded Reload
	buffer_load_dword v113, off, s[24:27], 0 offset:100 ; 4-byte Folded Reload
	buffer_load_dword v114, off, s[24:27], 0 offset:104 ; 4-byte Folded Reload
	buffer_load_dword v115, off, s[24:27], 0 offset:108 ; 4-byte Folded Reload
	s_waitcnt lgkmcnt(0)
	v_mul_f64 v[101:102], v[99:100], v[116:117]
	v_fma_f64 v[101:102], v[97:98], v[125:126], -v[101:102]
	v_mul_f64 v[97:98], v[97:98], v[116:117]
	v_fma_f64 v[97:98], v[99:100], v[125:126], v[97:98]
	s_waitcnt vmcnt(2)
	v_add_f64 v[112:113], v[112:113], -v[101:102]
	s_waitcnt vmcnt(0)
	v_add_f64 v[114:115], v[114:115], -v[97:98]
	buffer_store_dword v112, off, s[24:27], 0 offset:96 ; 4-byte Folded Spill
	s_nop 0
	buffer_store_dword v113, off, s[24:27], 0 offset:100 ; 4-byte Folded Spill
	buffer_store_dword v114, off, s[24:27], 0 offset:104 ; 4-byte Folded Spill
	buffer_store_dword v115, off, s[24:27], 0 offset:108 ; 4-byte Folded Spill
	;; [unrolled: 19-line block ×7, first 2 shown]
	ds_read2_b64 v[97:100], v103 offset0:22 offset1:23
	buffer_load_dword v112, off, s[24:27], 0 ; 4-byte Folded Reload
	buffer_load_dword v113, off, s[24:27], 0 offset:4 ; 4-byte Folded Reload
	buffer_load_dword v114, off, s[24:27], 0 offset:8 ; 4-byte Folded Reload
	;; [unrolled: 1-line block ×3, first 2 shown]
	s_waitcnt lgkmcnt(0)
	v_mul_f64 v[101:102], v[99:100], v[116:117]
	v_fma_f64 v[101:102], v[97:98], v[125:126], -v[101:102]
	v_mul_f64 v[97:98], v[97:98], v[116:117]
	v_fma_f64 v[97:98], v[99:100], v[125:126], v[97:98]
	s_waitcnt vmcnt(2)
	v_add_f64 v[112:113], v[112:113], -v[101:102]
	s_waitcnt vmcnt(0)
	v_add_f64 v[114:115], v[114:115], -v[97:98]
	buffer_store_dword v112, off, s[24:27], 0 ; 4-byte Folded Spill
	s_nop 0
	buffer_store_dword v113, off, s[24:27], 0 offset:4 ; 4-byte Folded Spill
	buffer_store_dword v114, off, s[24:27], 0 offset:8 ; 4-byte Folded Spill
	;; [unrolled: 1-line block ×3, first 2 shown]
	ds_read2_b64 v[97:100], v103 offset0:24 offset1:25
	v_mov_b32_e32 v114, v125
	v_mov_b32_e32 v115, v126
	s_waitcnt lgkmcnt(0)
	v_mul_f64 v[101:102], v[99:100], v[116:117]
	v_fma_f64 v[101:102], v[97:98], v[125:126], -v[101:102]
	v_mul_f64 v[97:98], v[97:98], v[116:117]
	v_add_f64 v[93:94], v[93:94], -v[101:102]
	v_fma_f64 v[97:98], v[99:100], v[125:126], v[97:98]
	v_add_f64 v[95:96], v[95:96], -v[97:98]
	ds_read2_b64 v[97:100], v103 offset0:26 offset1:27
	s_waitcnt lgkmcnt(0)
	v_mul_f64 v[101:102], v[99:100], v[116:117]
	v_fma_f64 v[101:102], v[97:98], v[125:126], -v[101:102]
	v_mul_f64 v[97:98], v[97:98], v[116:117]
	v_add_f64 v[89:90], v[89:90], -v[101:102]
	v_fma_f64 v[97:98], v[99:100], v[125:126], v[97:98]
	v_add_f64 v[91:92], v[91:92], -v[97:98]
	ds_read2_b64 v[97:100], v103 offset0:28 offset1:29
	;; [unrolled: 8-line block ×24, first 2 shown]
	s_waitcnt lgkmcnt(0)
	v_mul_f64 v[101:102], v[99:100], v[116:117]
	v_fma_f64 v[101:102], v[97:98], v[125:126], -v[101:102]
	v_mul_f64 v[97:98], v[97:98], v[116:117]
	buffer_store_dword v114, off, s[24:27], 0 offset:128 ; 4-byte Folded Spill
	s_nop 0
	buffer_store_dword v115, off, s[24:27], 0 offset:132 ; 4-byte Folded Spill
	buffer_store_dword v116, off, s[24:27], 0 offset:136 ; 4-byte Folded Spill
	;; [unrolled: 1-line block ×3, first 2 shown]
	v_add_f64 v[105:106], v[105:106], -v[101:102]
	v_fma_f64 v[97:98], v[99:100], v[125:126], v[97:98]
	v_add_f64 v[107:108], v[107:108], -v[97:98]
.LBB72_83:
	s_or_b64 exec, exec, s[0:1]
	s_waitcnt vmcnt(0)
	s_barrier
	buffer_load_dword v98, off, s[24:27], 0 offset:112 ; 4-byte Folded Reload
	buffer_load_dword v99, off, s[24:27], 0 offset:116 ; 4-byte Folded Reload
	buffer_load_dword v100, off, s[24:27], 0 offset:120 ; 4-byte Folded Reload
	buffer_load_dword v101, off, s[24:27], 0 offset:124 ; 4-byte Folded Reload
	v_lshl_add_u32 v97, v109, 4, v103
	s_cmp_lt_i32 s3, 6
	s_waitcnt vmcnt(0)
	ds_write2_b64 v97, v[98:99], v[100:101] offset1:1
	s_waitcnt lgkmcnt(0)
	s_barrier
	ds_read2_b64 v[121:124], v103 offset0:8 offset1:9
	v_mov_b32_e32 v101, 4
	s_cbranch_scc1 .LBB72_86
; %bb.84:
	v_mov_b32_e32 v101, 4
	v_add_u32_e32 v97, 0x50, v103
	s_mov_b32 s0, 5
.LBB72_85:                              ; =>This Inner Loop Header: Depth=1
	s_waitcnt lgkmcnt(0)
	v_cmp_gt_f64_e32 vcc, 0, v[121:122]
	v_xor_b32_e32 v98, 0x80000000, v122
	ds_read2_b64 v[112:115], v97 offset1:1
	v_xor_b32_e32 v100, 0x80000000, v124
	v_mov_b32_e32 v116, v123
	v_add_u32_e32 v97, 16, v97
	s_waitcnt lgkmcnt(0)
	v_mov_b32_e32 v118, v114
	v_cndmask_b32_e32 v99, v122, v98, vcc
	v_cmp_gt_f64_e32 vcc, 0, v[123:124]
	v_mov_b32_e32 v98, v121
	v_cndmask_b32_e32 v117, v124, v100, vcc
	v_cmp_gt_f64_e32 vcc, 0, v[112:113]
	v_xor_b32_e32 v100, 0x80000000, v113
	v_add_f64 v[98:99], v[98:99], v[116:117]
	v_mov_b32_e32 v116, v112
	v_cndmask_b32_e32 v117, v113, v100, vcc
	v_cmp_gt_f64_e32 vcc, 0, v[114:115]
	v_xor_b32_e32 v100, 0x80000000, v115
	v_cndmask_b32_e32 v119, v115, v100, vcc
	v_add_f64 v[116:117], v[116:117], v[118:119]
	v_cmp_lt_f64_e32 vcc, v[98:99], v[116:117]
	v_mov_b32_e32 v98, s0
	s_add_i32 s0, s0, 1
	s_cmp_lg_u32 s3, s0
	v_cndmask_b32_e32 v122, v122, v113, vcc
	v_cndmask_b32_e32 v121, v121, v112, vcc
	;; [unrolled: 1-line block ×5, first 2 shown]
	s_cbranch_scc1 .LBB72_85
.LBB72_86:
	s_waitcnt lgkmcnt(0)
	v_cmp_eq_f64_e32 vcc, 0, v[121:122]
	v_cmp_eq_f64_e64 s[0:1], 0, v[123:124]
	s_and_b64 s[0:1], vcc, s[0:1]
	s_and_saveexec_b64 s[18:19], s[0:1]
	s_xor_b64 s[0:1], exec, s[18:19]
; %bb.87:
	v_cmp_ne_u32_e32 vcc, 0, v111
	v_cndmask_b32_e32 v111, 5, v111, vcc
; %bb.88:
	s_andn2_saveexec_b64 s[0:1], s[0:1]
	s_cbranch_execz .LBB72_94
; %bb.89:
	v_cmp_ngt_f64_e64 s[18:19], |v[121:122]|, |v[123:124]|
	s_and_saveexec_b64 s[20:21], s[18:19]
	s_xor_b64 s[18:19], exec, s[20:21]
	s_cbranch_execz .LBB72_91
; %bb.90:
	v_div_scale_f64 v[97:98], s[20:21], v[123:124], v[123:124], v[121:122]
	v_rcp_f64_e32 v[99:100], v[97:98]
	v_fma_f64 v[112:113], -v[97:98], v[99:100], 1.0
	v_fma_f64 v[99:100], v[99:100], v[112:113], v[99:100]
	v_div_scale_f64 v[112:113], vcc, v[121:122], v[123:124], v[121:122]
	v_fma_f64 v[114:115], -v[97:98], v[99:100], 1.0
	v_fma_f64 v[99:100], v[99:100], v[114:115], v[99:100]
	v_mul_f64 v[114:115], v[112:113], v[99:100]
	v_fma_f64 v[97:98], -v[97:98], v[114:115], v[112:113]
	v_div_fmas_f64 v[97:98], v[97:98], v[99:100], v[114:115]
	v_div_fixup_f64 v[97:98], v[97:98], v[123:124], v[121:122]
	v_fma_f64 v[99:100], v[121:122], v[97:98], v[123:124]
	v_div_scale_f64 v[112:113], s[20:21], v[99:100], v[99:100], 1.0
	v_div_scale_f64 v[118:119], vcc, 1.0, v[99:100], 1.0
	v_rcp_f64_e32 v[114:115], v[112:113]
	v_fma_f64 v[116:117], -v[112:113], v[114:115], 1.0
	v_fma_f64 v[114:115], v[114:115], v[116:117], v[114:115]
	v_fma_f64 v[116:117], -v[112:113], v[114:115], 1.0
	v_fma_f64 v[114:115], v[114:115], v[116:117], v[114:115]
	v_mul_f64 v[116:117], v[118:119], v[114:115]
	v_fma_f64 v[112:113], -v[112:113], v[116:117], v[118:119]
	v_div_fmas_f64 v[112:113], v[112:113], v[114:115], v[116:117]
	v_div_fixup_f64 v[123:124], v[112:113], v[99:100], 1.0
	v_mul_f64 v[121:122], v[97:98], v[123:124]
	v_xor_b32_e32 v124, 0x80000000, v124
.LBB72_91:
	s_andn2_saveexec_b64 s[18:19], s[18:19]
	s_cbranch_execz .LBB72_93
; %bb.92:
	v_div_scale_f64 v[97:98], s[20:21], v[121:122], v[121:122], v[123:124]
	v_rcp_f64_e32 v[99:100], v[97:98]
	v_fma_f64 v[112:113], -v[97:98], v[99:100], 1.0
	v_fma_f64 v[99:100], v[99:100], v[112:113], v[99:100]
	v_div_scale_f64 v[112:113], vcc, v[123:124], v[121:122], v[123:124]
	v_fma_f64 v[114:115], -v[97:98], v[99:100], 1.0
	v_fma_f64 v[99:100], v[99:100], v[114:115], v[99:100]
	v_mul_f64 v[114:115], v[112:113], v[99:100]
	v_fma_f64 v[97:98], -v[97:98], v[114:115], v[112:113]
	v_div_fmas_f64 v[97:98], v[97:98], v[99:100], v[114:115]
	v_div_fixup_f64 v[97:98], v[97:98], v[121:122], v[123:124]
	v_fma_f64 v[99:100], v[123:124], v[97:98], v[121:122]
	v_div_scale_f64 v[112:113], s[20:21], v[99:100], v[99:100], 1.0
	v_div_scale_f64 v[118:119], vcc, 1.0, v[99:100], 1.0
	v_rcp_f64_e32 v[114:115], v[112:113]
	v_fma_f64 v[116:117], -v[112:113], v[114:115], 1.0
	v_fma_f64 v[114:115], v[114:115], v[116:117], v[114:115]
	v_fma_f64 v[116:117], -v[112:113], v[114:115], 1.0
	v_fma_f64 v[114:115], v[114:115], v[116:117], v[114:115]
	v_mul_f64 v[116:117], v[118:119], v[114:115]
	v_fma_f64 v[112:113], -v[112:113], v[116:117], v[118:119]
	v_div_fmas_f64 v[112:113], v[112:113], v[114:115], v[116:117]
	v_div_fixup_f64 v[121:122], v[112:113], v[99:100], 1.0
	v_mul_f64 v[123:124], v[97:98], -v[121:122]
.LBB72_93:
	s_or_b64 exec, exec, s[18:19]
.LBB72_94:
	s_or_b64 exec, exec, s[0:1]
	v_cmp_ne_u32_e32 vcc, v109, v101
	s_and_saveexec_b64 s[0:1], vcc
	s_xor_b64 s[0:1], exec, s[0:1]
	s_cbranch_execz .LBB72_100
; %bb.95:
	v_cmp_eq_u32_e32 vcc, 4, v109
	s_and_saveexec_b64 s[18:19], vcc
	s_cbranch_execz .LBB72_99
; %bb.96:
	v_cmp_ne_u32_e32 vcc, 4, v101
	s_xor_b64 s[20:21], s[6:7], -1
	s_and_b64 s[22:23], s[20:21], vcc
	s_and_saveexec_b64 s[20:21], s[22:23]
	s_cbranch_execz .LBB72_98
; %bb.97:
	buffer_load_dword v109, off, s[24:27], 0 offset:160 ; 4-byte Folded Reload
	buffer_load_dword v110, off, s[24:27], 0 offset:164 ; 4-byte Folded Reload
	v_ashrrev_i32_e32 v102, 31, v101
	v_lshlrev_b64 v[97:98], 2, v[101:102]
	s_waitcnt vmcnt(1)
	v_add_co_u32_e32 v97, vcc, v109, v97
	s_waitcnt vmcnt(0)
	v_addc_co_u32_e32 v98, vcc, v110, v98, vcc
	global_load_dword v0, v[97:98], off
	global_load_dword v99, v[109:110], off offset:16
	s_waitcnt vmcnt(1)
	global_store_dword v[109:110], v0, off offset:16
	s_waitcnt vmcnt(1)
	global_store_dword v[97:98], v99, off
.LBB72_98:
	s_or_b64 exec, exec, s[20:21]
	v_mov_b32_e32 v109, v101
	v_mov_b32_e32 v0, v101
.LBB72_99:
	s_or_b64 exec, exec, s[18:19]
.LBB72_100:
	s_andn2_saveexec_b64 s[0:1], s[0:1]
	s_cbranch_execz .LBB72_102
; %bb.101:
	buffer_load_dword v97, off, s[24:27], 0 offset:96 ; 4-byte Folded Reload
	buffer_load_dword v98, off, s[24:27], 0 offset:100 ; 4-byte Folded Reload
	;; [unrolled: 1-line block ×4, first 2 shown]
	v_mov_b32_e32 v109, 4
	s_waitcnt vmcnt(0)
	ds_write2_b64 v103, v[97:98], v[99:100] offset0:10 offset1:11
	buffer_load_dword v97, off, s[24:27], 0 offset:80 ; 4-byte Folded Reload
	buffer_load_dword v98, off, s[24:27], 0 offset:84 ; 4-byte Folded Reload
	buffer_load_dword v99, off, s[24:27], 0 offset:88 ; 4-byte Folded Reload
	buffer_load_dword v100, off, s[24:27], 0 offset:92 ; 4-byte Folded Reload
	s_waitcnt vmcnt(0)
	ds_write2_b64 v103, v[97:98], v[99:100] offset0:12 offset1:13
	buffer_load_dword v97, off, s[24:27], 0 offset:64 ; 4-byte Folded Reload
	buffer_load_dword v98, off, s[24:27], 0 offset:68 ; 4-byte Folded Reload
	buffer_load_dword v99, off, s[24:27], 0 offset:72 ; 4-byte Folded Reload
	buffer_load_dword v100, off, s[24:27], 0 offset:76 ; 4-byte Folded Reload
	;; [unrolled: 6-line block ×5, first 2 shown]
	s_waitcnt vmcnt(0)
	ds_write2_b64 v103, v[97:98], v[99:100] offset0:20 offset1:21
	buffer_load_dword v97, off, s[24:27], 0 ; 4-byte Folded Reload
	buffer_load_dword v98, off, s[24:27], 0 offset:4 ; 4-byte Folded Reload
	buffer_load_dword v99, off, s[24:27], 0 offset:8 ; 4-byte Folded Reload
	buffer_load_dword v100, off, s[24:27], 0 offset:12 ; 4-byte Folded Reload
	s_waitcnt vmcnt(0)
	ds_write2_b64 v103, v[97:98], v[99:100] offset0:22 offset1:23
	ds_write2_b64 v103, v[93:94], v[95:96] offset0:24 offset1:25
	;; [unrolled: 1-line block ×26, first 2 shown]
.LBB72_102:
	s_or_b64 exec, exec, s[0:1]
	v_cmp_lt_i32_e32 vcc, 4, v109
	s_waitcnt vmcnt(0) lgkmcnt(0)
	s_barrier
	s_and_saveexec_b64 s[0:1], vcc
	s_cbranch_execz .LBB72_104
; %bb.103:
	buffer_load_dword v114, off, s[24:27], 0 offset:112 ; 4-byte Folded Reload
	buffer_load_dword v115, off, s[24:27], 0 offset:116 ; 4-byte Folded Reload
	;; [unrolled: 1-line block ×4, first 2 shown]
	s_waitcnt vmcnt(0)
	v_mul_f64 v[97:98], v[123:124], v[116:117]
	v_fma_f64 v[125:126], v[121:122], v[114:115], -v[97:98]
	v_mul_f64 v[97:98], v[121:122], v[116:117]
	v_fma_f64 v[116:117], v[123:124], v[114:115], v[97:98]
	ds_read2_b64 v[97:100], v103 offset0:10 offset1:11
	buffer_load_dword v112, off, s[24:27], 0 offset:96 ; 4-byte Folded Reload
	buffer_load_dword v113, off, s[24:27], 0 offset:100 ; 4-byte Folded Reload
	buffer_load_dword v114, off, s[24:27], 0 offset:104 ; 4-byte Folded Reload
	buffer_load_dword v115, off, s[24:27], 0 offset:108 ; 4-byte Folded Reload
	s_waitcnt lgkmcnt(0)
	v_mul_f64 v[101:102], v[99:100], v[116:117]
	v_fma_f64 v[101:102], v[97:98], v[125:126], -v[101:102]
	v_mul_f64 v[97:98], v[97:98], v[116:117]
	v_fma_f64 v[97:98], v[99:100], v[125:126], v[97:98]
	s_waitcnt vmcnt(2)
	v_add_f64 v[112:113], v[112:113], -v[101:102]
	s_waitcnt vmcnt(0)
	v_add_f64 v[114:115], v[114:115], -v[97:98]
	buffer_store_dword v112, off, s[24:27], 0 offset:96 ; 4-byte Folded Spill
	s_nop 0
	buffer_store_dword v113, off, s[24:27], 0 offset:100 ; 4-byte Folded Spill
	buffer_store_dword v114, off, s[24:27], 0 offset:104 ; 4-byte Folded Spill
	buffer_store_dword v115, off, s[24:27], 0 offset:108 ; 4-byte Folded Spill
	ds_read2_b64 v[97:100], v103 offset0:12 offset1:13
	buffer_load_dword v112, off, s[24:27], 0 offset:80 ; 4-byte Folded Reload
	buffer_load_dword v113, off, s[24:27], 0 offset:84 ; 4-byte Folded Reload
	buffer_load_dword v114, off, s[24:27], 0 offset:88 ; 4-byte Folded Reload
	buffer_load_dword v115, off, s[24:27], 0 offset:92 ; 4-byte Folded Reload
	s_waitcnt lgkmcnt(0)
	v_mul_f64 v[101:102], v[99:100], v[116:117]
	v_fma_f64 v[101:102], v[97:98], v[125:126], -v[101:102]
	v_mul_f64 v[97:98], v[97:98], v[116:117]
	v_fma_f64 v[97:98], v[99:100], v[125:126], v[97:98]
	s_waitcnt vmcnt(2)
	v_add_f64 v[112:113], v[112:113], -v[101:102]
	s_waitcnt vmcnt(0)
	v_add_f64 v[114:115], v[114:115], -v[97:98]
	buffer_store_dword v112, off, s[24:27], 0 offset:80 ; 4-byte Folded Spill
	s_nop 0
	buffer_store_dword v113, off, s[24:27], 0 offset:84 ; 4-byte Folded Spill
	buffer_store_dword v114, off, s[24:27], 0 offset:88 ; 4-byte Folded Spill
	buffer_store_dword v115, off, s[24:27], 0 offset:92 ; 4-byte Folded Spill
	;; [unrolled: 19-line block ×6, first 2 shown]
	ds_read2_b64 v[97:100], v103 offset0:22 offset1:23
	buffer_load_dword v112, off, s[24:27], 0 ; 4-byte Folded Reload
	buffer_load_dword v113, off, s[24:27], 0 offset:4 ; 4-byte Folded Reload
	buffer_load_dword v114, off, s[24:27], 0 offset:8 ; 4-byte Folded Reload
	;; [unrolled: 1-line block ×3, first 2 shown]
	s_waitcnt lgkmcnt(0)
	v_mul_f64 v[101:102], v[99:100], v[116:117]
	v_fma_f64 v[101:102], v[97:98], v[125:126], -v[101:102]
	v_mul_f64 v[97:98], v[97:98], v[116:117]
	v_fma_f64 v[97:98], v[99:100], v[125:126], v[97:98]
	s_waitcnt vmcnt(2)
	v_add_f64 v[112:113], v[112:113], -v[101:102]
	s_waitcnt vmcnt(0)
	v_add_f64 v[114:115], v[114:115], -v[97:98]
	buffer_store_dword v112, off, s[24:27], 0 ; 4-byte Folded Spill
	s_nop 0
	buffer_store_dword v113, off, s[24:27], 0 offset:4 ; 4-byte Folded Spill
	buffer_store_dword v114, off, s[24:27], 0 offset:8 ; 4-byte Folded Spill
	;; [unrolled: 1-line block ×3, first 2 shown]
	ds_read2_b64 v[97:100], v103 offset0:24 offset1:25
	v_mov_b32_e32 v114, v125
	v_mov_b32_e32 v115, v126
	s_waitcnt lgkmcnt(0)
	v_mul_f64 v[101:102], v[99:100], v[116:117]
	v_fma_f64 v[101:102], v[97:98], v[125:126], -v[101:102]
	v_mul_f64 v[97:98], v[97:98], v[116:117]
	v_add_f64 v[93:94], v[93:94], -v[101:102]
	v_fma_f64 v[97:98], v[99:100], v[125:126], v[97:98]
	v_add_f64 v[95:96], v[95:96], -v[97:98]
	ds_read2_b64 v[97:100], v103 offset0:26 offset1:27
	s_waitcnt lgkmcnt(0)
	v_mul_f64 v[101:102], v[99:100], v[116:117]
	v_fma_f64 v[101:102], v[97:98], v[125:126], -v[101:102]
	v_mul_f64 v[97:98], v[97:98], v[116:117]
	v_add_f64 v[89:90], v[89:90], -v[101:102]
	v_fma_f64 v[97:98], v[99:100], v[125:126], v[97:98]
	v_add_f64 v[91:92], v[91:92], -v[97:98]
	ds_read2_b64 v[97:100], v103 offset0:28 offset1:29
	;; [unrolled: 8-line block ×24, first 2 shown]
	s_waitcnt lgkmcnt(0)
	v_mul_f64 v[101:102], v[99:100], v[116:117]
	v_fma_f64 v[101:102], v[97:98], v[125:126], -v[101:102]
	v_mul_f64 v[97:98], v[97:98], v[116:117]
	buffer_store_dword v114, off, s[24:27], 0 offset:112 ; 4-byte Folded Spill
	s_nop 0
	buffer_store_dword v115, off, s[24:27], 0 offset:116 ; 4-byte Folded Spill
	buffer_store_dword v116, off, s[24:27], 0 offset:120 ; 4-byte Folded Spill
	;; [unrolled: 1-line block ×3, first 2 shown]
	v_add_f64 v[105:106], v[105:106], -v[101:102]
	v_fma_f64 v[97:98], v[99:100], v[125:126], v[97:98]
	v_add_f64 v[107:108], v[107:108], -v[97:98]
.LBB72_104:
	s_or_b64 exec, exec, s[0:1]
	s_waitcnt vmcnt(0)
	s_barrier
	buffer_load_dword v98, off, s[24:27], 0 offset:96 ; 4-byte Folded Reload
	buffer_load_dword v99, off, s[24:27], 0 offset:100 ; 4-byte Folded Reload
	;; [unrolled: 1-line block ×4, first 2 shown]
	v_lshl_add_u32 v97, v109, 4, v103
	s_cmp_lt_i32 s3, 7
	s_waitcnt vmcnt(0)
	ds_write2_b64 v97, v[98:99], v[100:101] offset1:1
	s_waitcnt lgkmcnt(0)
	s_barrier
	ds_read2_b64 v[121:124], v103 offset0:10 offset1:11
	v_mov_b32_e32 v101, 5
	s_cbranch_scc1 .LBB72_107
; %bb.105:
	v_add_u32_e32 v97, 0x60, v103
	s_mov_b32 s0, 6
	v_mov_b32_e32 v101, 5
.LBB72_106:                             ; =>This Inner Loop Header: Depth=1
	s_waitcnt lgkmcnt(0)
	v_cmp_gt_f64_e32 vcc, 0, v[121:122]
	v_xor_b32_e32 v98, 0x80000000, v122
	ds_read2_b64 v[112:115], v97 offset1:1
	v_xor_b32_e32 v100, 0x80000000, v124
	v_mov_b32_e32 v116, v123
	v_add_u32_e32 v97, 16, v97
	s_waitcnt lgkmcnt(0)
	v_mov_b32_e32 v118, v114
	v_cndmask_b32_e32 v99, v122, v98, vcc
	v_cmp_gt_f64_e32 vcc, 0, v[123:124]
	v_mov_b32_e32 v98, v121
	v_cndmask_b32_e32 v117, v124, v100, vcc
	v_cmp_gt_f64_e32 vcc, 0, v[112:113]
	v_xor_b32_e32 v100, 0x80000000, v113
	v_add_f64 v[98:99], v[98:99], v[116:117]
	v_mov_b32_e32 v116, v112
	v_cndmask_b32_e32 v117, v113, v100, vcc
	v_cmp_gt_f64_e32 vcc, 0, v[114:115]
	v_xor_b32_e32 v100, 0x80000000, v115
	v_cndmask_b32_e32 v119, v115, v100, vcc
	v_add_f64 v[116:117], v[116:117], v[118:119]
	v_cmp_lt_f64_e32 vcc, v[98:99], v[116:117]
	v_mov_b32_e32 v98, s0
	s_add_i32 s0, s0, 1
	s_cmp_lg_u32 s3, s0
	v_cndmask_b32_e32 v122, v122, v113, vcc
	v_cndmask_b32_e32 v121, v121, v112, vcc
	;; [unrolled: 1-line block ×5, first 2 shown]
	s_cbranch_scc1 .LBB72_106
.LBB72_107:
	s_waitcnt lgkmcnt(0)
	v_cmp_eq_f64_e32 vcc, 0, v[121:122]
	v_cmp_eq_f64_e64 s[0:1], 0, v[123:124]
	s_and_b64 s[0:1], vcc, s[0:1]
	s_and_saveexec_b64 s[18:19], s[0:1]
	s_xor_b64 s[0:1], exec, s[18:19]
; %bb.108:
	v_cmp_ne_u32_e32 vcc, 0, v111
	v_cndmask_b32_e32 v111, 6, v111, vcc
; %bb.109:
	s_andn2_saveexec_b64 s[0:1], s[0:1]
	s_cbranch_execz .LBB72_115
; %bb.110:
	v_cmp_ngt_f64_e64 s[18:19], |v[121:122]|, |v[123:124]|
	s_and_saveexec_b64 s[20:21], s[18:19]
	s_xor_b64 s[18:19], exec, s[20:21]
	s_cbranch_execz .LBB72_112
; %bb.111:
	v_div_scale_f64 v[97:98], s[20:21], v[123:124], v[123:124], v[121:122]
	v_rcp_f64_e32 v[99:100], v[97:98]
	v_fma_f64 v[112:113], -v[97:98], v[99:100], 1.0
	v_fma_f64 v[99:100], v[99:100], v[112:113], v[99:100]
	v_div_scale_f64 v[112:113], vcc, v[121:122], v[123:124], v[121:122]
	v_fma_f64 v[114:115], -v[97:98], v[99:100], 1.0
	v_fma_f64 v[99:100], v[99:100], v[114:115], v[99:100]
	v_mul_f64 v[114:115], v[112:113], v[99:100]
	v_fma_f64 v[97:98], -v[97:98], v[114:115], v[112:113]
	v_div_fmas_f64 v[97:98], v[97:98], v[99:100], v[114:115]
	v_div_fixup_f64 v[97:98], v[97:98], v[123:124], v[121:122]
	v_fma_f64 v[99:100], v[121:122], v[97:98], v[123:124]
	v_div_scale_f64 v[112:113], s[20:21], v[99:100], v[99:100], 1.0
	v_div_scale_f64 v[118:119], vcc, 1.0, v[99:100], 1.0
	v_rcp_f64_e32 v[114:115], v[112:113]
	v_fma_f64 v[116:117], -v[112:113], v[114:115], 1.0
	v_fma_f64 v[114:115], v[114:115], v[116:117], v[114:115]
	v_fma_f64 v[116:117], -v[112:113], v[114:115], 1.0
	v_fma_f64 v[114:115], v[114:115], v[116:117], v[114:115]
	v_mul_f64 v[116:117], v[118:119], v[114:115]
	v_fma_f64 v[112:113], -v[112:113], v[116:117], v[118:119]
	v_div_fmas_f64 v[112:113], v[112:113], v[114:115], v[116:117]
	v_div_fixup_f64 v[123:124], v[112:113], v[99:100], 1.0
	v_mul_f64 v[121:122], v[97:98], v[123:124]
	v_xor_b32_e32 v124, 0x80000000, v124
.LBB72_112:
	s_andn2_saveexec_b64 s[18:19], s[18:19]
	s_cbranch_execz .LBB72_114
; %bb.113:
	v_div_scale_f64 v[97:98], s[20:21], v[121:122], v[121:122], v[123:124]
	v_rcp_f64_e32 v[99:100], v[97:98]
	v_fma_f64 v[112:113], -v[97:98], v[99:100], 1.0
	v_fma_f64 v[99:100], v[99:100], v[112:113], v[99:100]
	v_div_scale_f64 v[112:113], vcc, v[123:124], v[121:122], v[123:124]
	v_fma_f64 v[114:115], -v[97:98], v[99:100], 1.0
	v_fma_f64 v[99:100], v[99:100], v[114:115], v[99:100]
	v_mul_f64 v[114:115], v[112:113], v[99:100]
	v_fma_f64 v[97:98], -v[97:98], v[114:115], v[112:113]
	v_div_fmas_f64 v[97:98], v[97:98], v[99:100], v[114:115]
	v_div_fixup_f64 v[97:98], v[97:98], v[121:122], v[123:124]
	v_fma_f64 v[99:100], v[123:124], v[97:98], v[121:122]
	v_div_scale_f64 v[112:113], s[20:21], v[99:100], v[99:100], 1.0
	v_div_scale_f64 v[118:119], vcc, 1.0, v[99:100], 1.0
	v_rcp_f64_e32 v[114:115], v[112:113]
	v_fma_f64 v[116:117], -v[112:113], v[114:115], 1.0
	v_fma_f64 v[114:115], v[114:115], v[116:117], v[114:115]
	v_fma_f64 v[116:117], -v[112:113], v[114:115], 1.0
	v_fma_f64 v[114:115], v[114:115], v[116:117], v[114:115]
	v_mul_f64 v[116:117], v[118:119], v[114:115]
	v_fma_f64 v[112:113], -v[112:113], v[116:117], v[118:119]
	v_div_fmas_f64 v[112:113], v[112:113], v[114:115], v[116:117]
	v_div_fixup_f64 v[121:122], v[112:113], v[99:100], 1.0
	v_mul_f64 v[123:124], v[97:98], -v[121:122]
.LBB72_114:
	s_or_b64 exec, exec, s[18:19]
.LBB72_115:
	s_or_b64 exec, exec, s[0:1]
	v_cmp_ne_u32_e32 vcc, v109, v101
	s_and_saveexec_b64 s[0:1], vcc
	s_xor_b64 s[0:1], exec, s[0:1]
	s_cbranch_execz .LBB72_121
; %bb.116:
	v_cmp_eq_u32_e32 vcc, 5, v109
	s_and_saveexec_b64 s[18:19], vcc
	s_cbranch_execz .LBB72_120
; %bb.117:
	v_cmp_ne_u32_e32 vcc, 5, v101
	s_xor_b64 s[20:21], s[6:7], -1
	s_and_b64 s[22:23], s[20:21], vcc
	s_and_saveexec_b64 s[20:21], s[22:23]
	s_cbranch_execz .LBB72_119
; %bb.118:
	buffer_load_dword v109, off, s[24:27], 0 offset:160 ; 4-byte Folded Reload
	buffer_load_dword v110, off, s[24:27], 0 offset:164 ; 4-byte Folded Reload
	v_ashrrev_i32_e32 v102, 31, v101
	v_lshlrev_b64 v[97:98], 2, v[101:102]
	s_waitcnt vmcnt(1)
	v_add_co_u32_e32 v97, vcc, v109, v97
	s_waitcnt vmcnt(0)
	v_addc_co_u32_e32 v98, vcc, v110, v98, vcc
	global_load_dword v0, v[97:98], off
	global_load_dword v99, v[109:110], off offset:20
	s_waitcnt vmcnt(1)
	global_store_dword v[109:110], v0, off offset:20
	s_waitcnt vmcnt(1)
	global_store_dword v[97:98], v99, off
.LBB72_119:
	s_or_b64 exec, exec, s[20:21]
	v_mov_b32_e32 v109, v101
	v_mov_b32_e32 v0, v101
.LBB72_120:
	s_or_b64 exec, exec, s[18:19]
.LBB72_121:
	s_andn2_saveexec_b64 s[0:1], s[0:1]
	s_cbranch_execz .LBB72_123
; %bb.122:
	buffer_load_dword v97, off, s[24:27], 0 offset:80 ; 4-byte Folded Reload
	buffer_load_dword v98, off, s[24:27], 0 offset:84 ; 4-byte Folded Reload
	;; [unrolled: 1-line block ×4, first 2 shown]
	v_mov_b32_e32 v109, 5
	s_waitcnt vmcnt(0)
	ds_write2_b64 v103, v[97:98], v[99:100] offset0:12 offset1:13
	buffer_load_dword v97, off, s[24:27], 0 offset:64 ; 4-byte Folded Reload
	buffer_load_dword v98, off, s[24:27], 0 offset:68 ; 4-byte Folded Reload
	buffer_load_dword v99, off, s[24:27], 0 offset:72 ; 4-byte Folded Reload
	buffer_load_dword v100, off, s[24:27], 0 offset:76 ; 4-byte Folded Reload
	s_waitcnt vmcnt(0)
	ds_write2_b64 v103, v[97:98], v[99:100] offset0:14 offset1:15
	buffer_load_dword v97, off, s[24:27], 0 offset:48 ; 4-byte Folded Reload
	buffer_load_dword v98, off, s[24:27], 0 offset:52 ; 4-byte Folded Reload
	buffer_load_dword v99, off, s[24:27], 0 offset:56 ; 4-byte Folded Reload
	buffer_load_dword v100, off, s[24:27], 0 offset:60 ; 4-byte Folded Reload
	;; [unrolled: 6-line block ×4, first 2 shown]
	s_waitcnt vmcnt(0)
	ds_write2_b64 v103, v[97:98], v[99:100] offset0:20 offset1:21
	buffer_load_dword v97, off, s[24:27], 0 ; 4-byte Folded Reload
	buffer_load_dword v98, off, s[24:27], 0 offset:4 ; 4-byte Folded Reload
	buffer_load_dword v99, off, s[24:27], 0 offset:8 ; 4-byte Folded Reload
	;; [unrolled: 1-line block ×3, first 2 shown]
	s_waitcnt vmcnt(0)
	ds_write2_b64 v103, v[97:98], v[99:100] offset0:22 offset1:23
	ds_write2_b64 v103, v[93:94], v[95:96] offset0:24 offset1:25
	;; [unrolled: 1-line block ×26, first 2 shown]
.LBB72_123:
	s_or_b64 exec, exec, s[0:1]
	v_cmp_lt_i32_e32 vcc, 5, v109
	s_waitcnt vmcnt(0) lgkmcnt(0)
	s_barrier
	s_and_saveexec_b64 s[0:1], vcc
	s_cbranch_execz .LBB72_125
; %bb.124:
	buffer_load_dword v114, off, s[24:27], 0 offset:96 ; 4-byte Folded Reload
	buffer_load_dword v115, off, s[24:27], 0 offset:100 ; 4-byte Folded Reload
	;; [unrolled: 1-line block ×4, first 2 shown]
	s_waitcnt vmcnt(0)
	v_mul_f64 v[97:98], v[123:124], v[116:117]
	v_fma_f64 v[125:126], v[121:122], v[114:115], -v[97:98]
	v_mul_f64 v[97:98], v[121:122], v[116:117]
	v_fma_f64 v[116:117], v[123:124], v[114:115], v[97:98]
	ds_read2_b64 v[97:100], v103 offset0:12 offset1:13
	buffer_load_dword v112, off, s[24:27], 0 offset:80 ; 4-byte Folded Reload
	buffer_load_dword v113, off, s[24:27], 0 offset:84 ; 4-byte Folded Reload
	buffer_load_dword v114, off, s[24:27], 0 offset:88 ; 4-byte Folded Reload
	buffer_load_dword v115, off, s[24:27], 0 offset:92 ; 4-byte Folded Reload
	s_waitcnt lgkmcnt(0)
	v_mul_f64 v[101:102], v[99:100], v[116:117]
	v_fma_f64 v[101:102], v[97:98], v[125:126], -v[101:102]
	v_mul_f64 v[97:98], v[97:98], v[116:117]
	v_fma_f64 v[97:98], v[99:100], v[125:126], v[97:98]
	s_waitcnt vmcnt(2)
	v_add_f64 v[112:113], v[112:113], -v[101:102]
	s_waitcnt vmcnt(0)
	v_add_f64 v[114:115], v[114:115], -v[97:98]
	buffer_store_dword v112, off, s[24:27], 0 offset:80 ; 4-byte Folded Spill
	s_nop 0
	buffer_store_dword v113, off, s[24:27], 0 offset:84 ; 4-byte Folded Spill
	buffer_store_dword v114, off, s[24:27], 0 offset:88 ; 4-byte Folded Spill
	buffer_store_dword v115, off, s[24:27], 0 offset:92 ; 4-byte Folded Spill
	ds_read2_b64 v[97:100], v103 offset0:14 offset1:15
	buffer_load_dword v112, off, s[24:27], 0 offset:64 ; 4-byte Folded Reload
	buffer_load_dword v113, off, s[24:27], 0 offset:68 ; 4-byte Folded Reload
	buffer_load_dword v114, off, s[24:27], 0 offset:72 ; 4-byte Folded Reload
	buffer_load_dword v115, off, s[24:27], 0 offset:76 ; 4-byte Folded Reload
	s_waitcnt lgkmcnt(0)
	v_mul_f64 v[101:102], v[99:100], v[116:117]
	v_fma_f64 v[101:102], v[97:98], v[125:126], -v[101:102]
	v_mul_f64 v[97:98], v[97:98], v[116:117]
	v_fma_f64 v[97:98], v[99:100], v[125:126], v[97:98]
	s_waitcnt vmcnt(2)
	v_add_f64 v[112:113], v[112:113], -v[101:102]
	s_waitcnt vmcnt(0)
	v_add_f64 v[114:115], v[114:115], -v[97:98]
	buffer_store_dword v112, off, s[24:27], 0 offset:64 ; 4-byte Folded Spill
	s_nop 0
	buffer_store_dword v113, off, s[24:27], 0 offset:68 ; 4-byte Folded Spill
	buffer_store_dword v114, off, s[24:27], 0 offset:72 ; 4-byte Folded Spill
	buffer_store_dword v115, off, s[24:27], 0 offset:76 ; 4-byte Folded Spill
	;; [unrolled: 19-line block ×5, first 2 shown]
	ds_read2_b64 v[97:100], v103 offset0:22 offset1:23
	buffer_load_dword v112, off, s[24:27], 0 ; 4-byte Folded Reload
	buffer_load_dword v113, off, s[24:27], 0 offset:4 ; 4-byte Folded Reload
	buffer_load_dword v114, off, s[24:27], 0 offset:8 ; 4-byte Folded Reload
	;; [unrolled: 1-line block ×3, first 2 shown]
	s_waitcnt lgkmcnt(0)
	v_mul_f64 v[101:102], v[99:100], v[116:117]
	v_fma_f64 v[101:102], v[97:98], v[125:126], -v[101:102]
	v_mul_f64 v[97:98], v[97:98], v[116:117]
	v_fma_f64 v[97:98], v[99:100], v[125:126], v[97:98]
	s_waitcnt vmcnt(2)
	v_add_f64 v[112:113], v[112:113], -v[101:102]
	s_waitcnt vmcnt(0)
	v_add_f64 v[114:115], v[114:115], -v[97:98]
	buffer_store_dword v112, off, s[24:27], 0 ; 4-byte Folded Spill
	s_nop 0
	buffer_store_dword v113, off, s[24:27], 0 offset:4 ; 4-byte Folded Spill
	buffer_store_dword v114, off, s[24:27], 0 offset:8 ; 4-byte Folded Spill
	;; [unrolled: 1-line block ×3, first 2 shown]
	ds_read2_b64 v[97:100], v103 offset0:24 offset1:25
	v_mov_b32_e32 v114, v125
	v_mov_b32_e32 v115, v126
	s_waitcnt lgkmcnt(0)
	v_mul_f64 v[101:102], v[99:100], v[116:117]
	v_fma_f64 v[101:102], v[97:98], v[125:126], -v[101:102]
	v_mul_f64 v[97:98], v[97:98], v[116:117]
	v_add_f64 v[93:94], v[93:94], -v[101:102]
	v_fma_f64 v[97:98], v[99:100], v[125:126], v[97:98]
	v_add_f64 v[95:96], v[95:96], -v[97:98]
	ds_read2_b64 v[97:100], v103 offset0:26 offset1:27
	s_waitcnt lgkmcnt(0)
	v_mul_f64 v[101:102], v[99:100], v[116:117]
	v_fma_f64 v[101:102], v[97:98], v[125:126], -v[101:102]
	v_mul_f64 v[97:98], v[97:98], v[116:117]
	v_add_f64 v[89:90], v[89:90], -v[101:102]
	v_fma_f64 v[97:98], v[99:100], v[125:126], v[97:98]
	v_add_f64 v[91:92], v[91:92], -v[97:98]
	ds_read2_b64 v[97:100], v103 offset0:28 offset1:29
	;; [unrolled: 8-line block ×24, first 2 shown]
	s_waitcnt lgkmcnt(0)
	v_mul_f64 v[101:102], v[99:100], v[116:117]
	v_fma_f64 v[101:102], v[97:98], v[125:126], -v[101:102]
	v_mul_f64 v[97:98], v[97:98], v[116:117]
	buffer_store_dword v114, off, s[24:27], 0 offset:96 ; 4-byte Folded Spill
	s_nop 0
	buffer_store_dword v115, off, s[24:27], 0 offset:100 ; 4-byte Folded Spill
	buffer_store_dword v116, off, s[24:27], 0 offset:104 ; 4-byte Folded Spill
	;; [unrolled: 1-line block ×3, first 2 shown]
	v_add_f64 v[105:106], v[105:106], -v[101:102]
	v_fma_f64 v[97:98], v[99:100], v[125:126], v[97:98]
	v_add_f64 v[107:108], v[107:108], -v[97:98]
.LBB72_125:
	s_or_b64 exec, exec, s[0:1]
	s_waitcnt vmcnt(0)
	s_barrier
	buffer_load_dword v98, off, s[24:27], 0 offset:80 ; 4-byte Folded Reload
	buffer_load_dword v99, off, s[24:27], 0 offset:84 ; 4-byte Folded Reload
	;; [unrolled: 1-line block ×4, first 2 shown]
	v_lshl_add_u32 v97, v109, 4, v103
	s_cmp_lt_i32 s3, 8
	s_waitcnt vmcnt(0)
	ds_write2_b64 v97, v[98:99], v[100:101] offset1:1
	s_waitcnt lgkmcnt(0)
	s_barrier
	ds_read2_b64 v[121:124], v103 offset0:12 offset1:13
	v_mov_b32_e32 v101, 6
	s_cbranch_scc1 .LBB72_128
; %bb.126:
	v_add_u32_e32 v97, 0x70, v103
	s_mov_b32 s0, 7
	v_mov_b32_e32 v101, 6
.LBB72_127:                             ; =>This Inner Loop Header: Depth=1
	s_waitcnt lgkmcnt(0)
	v_cmp_gt_f64_e32 vcc, 0, v[121:122]
	v_xor_b32_e32 v98, 0x80000000, v122
	ds_read2_b64 v[112:115], v97 offset1:1
	v_xor_b32_e32 v100, 0x80000000, v124
	v_mov_b32_e32 v116, v123
	v_add_u32_e32 v97, 16, v97
	s_waitcnt lgkmcnt(0)
	v_mov_b32_e32 v118, v114
	v_cndmask_b32_e32 v99, v122, v98, vcc
	v_cmp_gt_f64_e32 vcc, 0, v[123:124]
	v_mov_b32_e32 v98, v121
	v_cndmask_b32_e32 v117, v124, v100, vcc
	v_cmp_gt_f64_e32 vcc, 0, v[112:113]
	v_xor_b32_e32 v100, 0x80000000, v113
	v_add_f64 v[98:99], v[98:99], v[116:117]
	v_mov_b32_e32 v116, v112
	v_cndmask_b32_e32 v117, v113, v100, vcc
	v_cmp_gt_f64_e32 vcc, 0, v[114:115]
	v_xor_b32_e32 v100, 0x80000000, v115
	v_cndmask_b32_e32 v119, v115, v100, vcc
	v_add_f64 v[116:117], v[116:117], v[118:119]
	v_cmp_lt_f64_e32 vcc, v[98:99], v[116:117]
	v_mov_b32_e32 v98, s0
	s_add_i32 s0, s0, 1
	s_cmp_lg_u32 s3, s0
	v_cndmask_b32_e32 v122, v122, v113, vcc
	v_cndmask_b32_e32 v121, v121, v112, vcc
	;; [unrolled: 1-line block ×5, first 2 shown]
	s_cbranch_scc1 .LBB72_127
.LBB72_128:
	s_waitcnt lgkmcnt(0)
	v_cmp_eq_f64_e32 vcc, 0, v[121:122]
	v_cmp_eq_f64_e64 s[0:1], 0, v[123:124]
	s_and_b64 s[0:1], vcc, s[0:1]
	s_and_saveexec_b64 s[18:19], s[0:1]
	s_xor_b64 s[0:1], exec, s[18:19]
; %bb.129:
	v_cmp_ne_u32_e32 vcc, 0, v111
	v_cndmask_b32_e32 v111, 7, v111, vcc
; %bb.130:
	s_andn2_saveexec_b64 s[0:1], s[0:1]
	s_cbranch_execz .LBB72_136
; %bb.131:
	v_cmp_ngt_f64_e64 s[18:19], |v[121:122]|, |v[123:124]|
	s_and_saveexec_b64 s[20:21], s[18:19]
	s_xor_b64 s[18:19], exec, s[20:21]
	s_cbranch_execz .LBB72_133
; %bb.132:
	v_div_scale_f64 v[97:98], s[20:21], v[123:124], v[123:124], v[121:122]
	v_rcp_f64_e32 v[99:100], v[97:98]
	v_fma_f64 v[112:113], -v[97:98], v[99:100], 1.0
	v_fma_f64 v[99:100], v[99:100], v[112:113], v[99:100]
	v_div_scale_f64 v[112:113], vcc, v[121:122], v[123:124], v[121:122]
	v_fma_f64 v[114:115], -v[97:98], v[99:100], 1.0
	v_fma_f64 v[99:100], v[99:100], v[114:115], v[99:100]
	v_mul_f64 v[114:115], v[112:113], v[99:100]
	v_fma_f64 v[97:98], -v[97:98], v[114:115], v[112:113]
	v_div_fmas_f64 v[97:98], v[97:98], v[99:100], v[114:115]
	v_div_fixup_f64 v[97:98], v[97:98], v[123:124], v[121:122]
	v_fma_f64 v[99:100], v[121:122], v[97:98], v[123:124]
	v_div_scale_f64 v[112:113], s[20:21], v[99:100], v[99:100], 1.0
	v_div_scale_f64 v[118:119], vcc, 1.0, v[99:100], 1.0
	v_rcp_f64_e32 v[114:115], v[112:113]
	v_fma_f64 v[116:117], -v[112:113], v[114:115], 1.0
	v_fma_f64 v[114:115], v[114:115], v[116:117], v[114:115]
	v_fma_f64 v[116:117], -v[112:113], v[114:115], 1.0
	v_fma_f64 v[114:115], v[114:115], v[116:117], v[114:115]
	v_mul_f64 v[116:117], v[118:119], v[114:115]
	v_fma_f64 v[112:113], -v[112:113], v[116:117], v[118:119]
	v_div_fmas_f64 v[112:113], v[112:113], v[114:115], v[116:117]
	v_div_fixup_f64 v[123:124], v[112:113], v[99:100], 1.0
	v_mul_f64 v[121:122], v[97:98], v[123:124]
	v_xor_b32_e32 v124, 0x80000000, v124
.LBB72_133:
	s_andn2_saveexec_b64 s[18:19], s[18:19]
	s_cbranch_execz .LBB72_135
; %bb.134:
	v_div_scale_f64 v[97:98], s[20:21], v[121:122], v[121:122], v[123:124]
	v_rcp_f64_e32 v[99:100], v[97:98]
	v_fma_f64 v[112:113], -v[97:98], v[99:100], 1.0
	v_fma_f64 v[99:100], v[99:100], v[112:113], v[99:100]
	v_div_scale_f64 v[112:113], vcc, v[123:124], v[121:122], v[123:124]
	v_fma_f64 v[114:115], -v[97:98], v[99:100], 1.0
	v_fma_f64 v[99:100], v[99:100], v[114:115], v[99:100]
	v_mul_f64 v[114:115], v[112:113], v[99:100]
	v_fma_f64 v[97:98], -v[97:98], v[114:115], v[112:113]
	v_div_fmas_f64 v[97:98], v[97:98], v[99:100], v[114:115]
	v_div_fixup_f64 v[97:98], v[97:98], v[121:122], v[123:124]
	v_fma_f64 v[99:100], v[123:124], v[97:98], v[121:122]
	v_div_scale_f64 v[112:113], s[20:21], v[99:100], v[99:100], 1.0
	v_div_scale_f64 v[118:119], vcc, 1.0, v[99:100], 1.0
	v_rcp_f64_e32 v[114:115], v[112:113]
	v_fma_f64 v[116:117], -v[112:113], v[114:115], 1.0
	v_fma_f64 v[114:115], v[114:115], v[116:117], v[114:115]
	v_fma_f64 v[116:117], -v[112:113], v[114:115], 1.0
	v_fma_f64 v[114:115], v[114:115], v[116:117], v[114:115]
	v_mul_f64 v[116:117], v[118:119], v[114:115]
	v_fma_f64 v[112:113], -v[112:113], v[116:117], v[118:119]
	v_div_fmas_f64 v[112:113], v[112:113], v[114:115], v[116:117]
	v_div_fixup_f64 v[121:122], v[112:113], v[99:100], 1.0
	v_mul_f64 v[123:124], v[97:98], -v[121:122]
.LBB72_135:
	s_or_b64 exec, exec, s[18:19]
.LBB72_136:
	s_or_b64 exec, exec, s[0:1]
	v_cmp_ne_u32_e32 vcc, v109, v101
	s_and_saveexec_b64 s[0:1], vcc
	s_xor_b64 s[0:1], exec, s[0:1]
	s_cbranch_execz .LBB72_142
; %bb.137:
	v_cmp_eq_u32_e32 vcc, 6, v109
	s_and_saveexec_b64 s[18:19], vcc
	s_cbranch_execz .LBB72_141
; %bb.138:
	v_cmp_ne_u32_e32 vcc, 6, v101
	s_xor_b64 s[20:21], s[6:7], -1
	s_and_b64 s[22:23], s[20:21], vcc
	s_and_saveexec_b64 s[20:21], s[22:23]
	s_cbranch_execz .LBB72_140
; %bb.139:
	buffer_load_dword v109, off, s[24:27], 0 offset:160 ; 4-byte Folded Reload
	buffer_load_dword v110, off, s[24:27], 0 offset:164 ; 4-byte Folded Reload
	v_ashrrev_i32_e32 v102, 31, v101
	v_lshlrev_b64 v[97:98], 2, v[101:102]
	s_waitcnt vmcnt(1)
	v_add_co_u32_e32 v97, vcc, v109, v97
	s_waitcnt vmcnt(0)
	v_addc_co_u32_e32 v98, vcc, v110, v98, vcc
	global_load_dword v0, v[97:98], off
	global_load_dword v99, v[109:110], off offset:24
	s_waitcnt vmcnt(1)
	global_store_dword v[109:110], v0, off offset:24
	s_waitcnt vmcnt(1)
	global_store_dword v[97:98], v99, off
.LBB72_140:
	s_or_b64 exec, exec, s[20:21]
	v_mov_b32_e32 v109, v101
	v_mov_b32_e32 v0, v101
.LBB72_141:
	s_or_b64 exec, exec, s[18:19]
.LBB72_142:
	s_andn2_saveexec_b64 s[0:1], s[0:1]
	s_cbranch_execz .LBB72_144
; %bb.143:
	buffer_load_dword v97, off, s[24:27], 0 offset:64 ; 4-byte Folded Reload
	buffer_load_dword v98, off, s[24:27], 0 offset:68 ; 4-byte Folded Reload
	;; [unrolled: 1-line block ×4, first 2 shown]
	v_mov_b32_e32 v109, 6
	s_waitcnt vmcnt(0)
	ds_write2_b64 v103, v[97:98], v[99:100] offset0:14 offset1:15
	buffer_load_dword v97, off, s[24:27], 0 offset:48 ; 4-byte Folded Reload
	buffer_load_dword v98, off, s[24:27], 0 offset:52 ; 4-byte Folded Reload
	buffer_load_dword v99, off, s[24:27], 0 offset:56 ; 4-byte Folded Reload
	buffer_load_dword v100, off, s[24:27], 0 offset:60 ; 4-byte Folded Reload
	s_waitcnt vmcnt(0)
	ds_write2_b64 v103, v[97:98], v[99:100] offset0:16 offset1:17
	buffer_load_dword v97, off, s[24:27], 0 offset:32 ; 4-byte Folded Reload
	buffer_load_dword v98, off, s[24:27], 0 offset:36 ; 4-byte Folded Reload
	buffer_load_dword v99, off, s[24:27], 0 offset:40 ; 4-byte Folded Reload
	buffer_load_dword v100, off, s[24:27], 0 offset:44 ; 4-byte Folded Reload
	;; [unrolled: 6-line block ×3, first 2 shown]
	s_waitcnt vmcnt(0)
	ds_write2_b64 v103, v[97:98], v[99:100] offset0:20 offset1:21
	buffer_load_dword v97, off, s[24:27], 0 ; 4-byte Folded Reload
	buffer_load_dword v98, off, s[24:27], 0 offset:4 ; 4-byte Folded Reload
	buffer_load_dword v99, off, s[24:27], 0 offset:8 ; 4-byte Folded Reload
	;; [unrolled: 1-line block ×3, first 2 shown]
	s_waitcnt vmcnt(0)
	ds_write2_b64 v103, v[97:98], v[99:100] offset0:22 offset1:23
	ds_write2_b64 v103, v[93:94], v[95:96] offset0:24 offset1:25
	;; [unrolled: 1-line block ×26, first 2 shown]
.LBB72_144:
	s_or_b64 exec, exec, s[0:1]
	v_cmp_lt_i32_e32 vcc, 6, v109
	s_waitcnt vmcnt(0) lgkmcnt(0)
	s_barrier
	s_and_saveexec_b64 s[0:1], vcc
	s_cbranch_execz .LBB72_146
; %bb.145:
	buffer_load_dword v114, off, s[24:27], 0 offset:80 ; 4-byte Folded Reload
	buffer_load_dword v115, off, s[24:27], 0 offset:84 ; 4-byte Folded Reload
	;; [unrolled: 1-line block ×4, first 2 shown]
	s_waitcnt vmcnt(0)
	v_mul_f64 v[97:98], v[123:124], v[116:117]
	v_fma_f64 v[125:126], v[121:122], v[114:115], -v[97:98]
	v_mul_f64 v[97:98], v[121:122], v[116:117]
	v_fma_f64 v[116:117], v[123:124], v[114:115], v[97:98]
	ds_read2_b64 v[97:100], v103 offset0:14 offset1:15
	buffer_load_dword v112, off, s[24:27], 0 offset:64 ; 4-byte Folded Reload
	buffer_load_dword v113, off, s[24:27], 0 offset:68 ; 4-byte Folded Reload
	buffer_load_dword v114, off, s[24:27], 0 offset:72 ; 4-byte Folded Reload
	buffer_load_dword v115, off, s[24:27], 0 offset:76 ; 4-byte Folded Reload
	s_waitcnt lgkmcnt(0)
	v_mul_f64 v[101:102], v[99:100], v[116:117]
	v_fma_f64 v[101:102], v[97:98], v[125:126], -v[101:102]
	v_mul_f64 v[97:98], v[97:98], v[116:117]
	v_fma_f64 v[97:98], v[99:100], v[125:126], v[97:98]
	s_waitcnt vmcnt(2)
	v_add_f64 v[112:113], v[112:113], -v[101:102]
	s_waitcnt vmcnt(0)
	v_add_f64 v[114:115], v[114:115], -v[97:98]
	buffer_store_dword v112, off, s[24:27], 0 offset:64 ; 4-byte Folded Spill
	s_nop 0
	buffer_store_dword v113, off, s[24:27], 0 offset:68 ; 4-byte Folded Spill
	buffer_store_dword v114, off, s[24:27], 0 offset:72 ; 4-byte Folded Spill
	buffer_store_dword v115, off, s[24:27], 0 offset:76 ; 4-byte Folded Spill
	ds_read2_b64 v[97:100], v103 offset0:16 offset1:17
	buffer_load_dword v112, off, s[24:27], 0 offset:48 ; 4-byte Folded Reload
	buffer_load_dword v113, off, s[24:27], 0 offset:52 ; 4-byte Folded Reload
	buffer_load_dword v114, off, s[24:27], 0 offset:56 ; 4-byte Folded Reload
	buffer_load_dword v115, off, s[24:27], 0 offset:60 ; 4-byte Folded Reload
	s_waitcnt lgkmcnt(0)
	v_mul_f64 v[101:102], v[99:100], v[116:117]
	v_fma_f64 v[101:102], v[97:98], v[125:126], -v[101:102]
	v_mul_f64 v[97:98], v[97:98], v[116:117]
	v_fma_f64 v[97:98], v[99:100], v[125:126], v[97:98]
	s_waitcnt vmcnt(2)
	v_add_f64 v[112:113], v[112:113], -v[101:102]
	s_waitcnt vmcnt(0)
	v_add_f64 v[114:115], v[114:115], -v[97:98]
	buffer_store_dword v112, off, s[24:27], 0 offset:48 ; 4-byte Folded Spill
	s_nop 0
	buffer_store_dword v113, off, s[24:27], 0 offset:52 ; 4-byte Folded Spill
	buffer_store_dword v114, off, s[24:27], 0 offset:56 ; 4-byte Folded Spill
	buffer_store_dword v115, off, s[24:27], 0 offset:60 ; 4-byte Folded Spill
	;; [unrolled: 19-line block ×4, first 2 shown]
	ds_read2_b64 v[97:100], v103 offset0:22 offset1:23
	buffer_load_dword v112, off, s[24:27], 0 ; 4-byte Folded Reload
	buffer_load_dword v113, off, s[24:27], 0 offset:4 ; 4-byte Folded Reload
	buffer_load_dword v114, off, s[24:27], 0 offset:8 ; 4-byte Folded Reload
	;; [unrolled: 1-line block ×3, first 2 shown]
	s_waitcnt lgkmcnt(0)
	v_mul_f64 v[101:102], v[99:100], v[116:117]
	v_fma_f64 v[101:102], v[97:98], v[125:126], -v[101:102]
	v_mul_f64 v[97:98], v[97:98], v[116:117]
	v_fma_f64 v[97:98], v[99:100], v[125:126], v[97:98]
	s_waitcnt vmcnt(2)
	v_add_f64 v[112:113], v[112:113], -v[101:102]
	s_waitcnt vmcnt(0)
	v_add_f64 v[114:115], v[114:115], -v[97:98]
	buffer_store_dword v112, off, s[24:27], 0 ; 4-byte Folded Spill
	s_nop 0
	buffer_store_dword v113, off, s[24:27], 0 offset:4 ; 4-byte Folded Spill
	buffer_store_dword v114, off, s[24:27], 0 offset:8 ; 4-byte Folded Spill
	;; [unrolled: 1-line block ×3, first 2 shown]
	ds_read2_b64 v[97:100], v103 offset0:24 offset1:25
	v_mov_b32_e32 v114, v125
	v_mov_b32_e32 v115, v126
	s_waitcnt lgkmcnt(0)
	v_mul_f64 v[101:102], v[99:100], v[116:117]
	v_fma_f64 v[101:102], v[97:98], v[125:126], -v[101:102]
	v_mul_f64 v[97:98], v[97:98], v[116:117]
	v_add_f64 v[93:94], v[93:94], -v[101:102]
	v_fma_f64 v[97:98], v[99:100], v[125:126], v[97:98]
	v_add_f64 v[95:96], v[95:96], -v[97:98]
	ds_read2_b64 v[97:100], v103 offset0:26 offset1:27
	s_waitcnt lgkmcnt(0)
	v_mul_f64 v[101:102], v[99:100], v[116:117]
	v_fma_f64 v[101:102], v[97:98], v[125:126], -v[101:102]
	v_mul_f64 v[97:98], v[97:98], v[116:117]
	v_add_f64 v[89:90], v[89:90], -v[101:102]
	v_fma_f64 v[97:98], v[99:100], v[125:126], v[97:98]
	v_add_f64 v[91:92], v[91:92], -v[97:98]
	ds_read2_b64 v[97:100], v103 offset0:28 offset1:29
	;; [unrolled: 8-line block ×24, first 2 shown]
	s_waitcnt lgkmcnt(0)
	v_mul_f64 v[101:102], v[99:100], v[116:117]
	v_fma_f64 v[101:102], v[97:98], v[125:126], -v[101:102]
	v_mul_f64 v[97:98], v[97:98], v[116:117]
	buffer_store_dword v114, off, s[24:27], 0 offset:80 ; 4-byte Folded Spill
	s_nop 0
	buffer_store_dword v115, off, s[24:27], 0 offset:84 ; 4-byte Folded Spill
	buffer_store_dword v116, off, s[24:27], 0 offset:88 ; 4-byte Folded Spill
	;; [unrolled: 1-line block ×3, first 2 shown]
	v_add_f64 v[105:106], v[105:106], -v[101:102]
	v_fma_f64 v[97:98], v[99:100], v[125:126], v[97:98]
	v_add_f64 v[107:108], v[107:108], -v[97:98]
.LBB72_146:
	s_or_b64 exec, exec, s[0:1]
	s_waitcnt vmcnt(0)
	s_barrier
	buffer_load_dword v98, off, s[24:27], 0 offset:64 ; 4-byte Folded Reload
	buffer_load_dword v99, off, s[24:27], 0 offset:68 ; 4-byte Folded Reload
	;; [unrolled: 1-line block ×4, first 2 shown]
	v_lshl_add_u32 v97, v109, 4, v103
	s_cmp_lt_i32 s3, 9
	s_waitcnt vmcnt(0)
	ds_write2_b64 v97, v[98:99], v[100:101] offset1:1
	s_waitcnt lgkmcnt(0)
	s_barrier
	ds_read2_b64 v[121:124], v103 offset0:14 offset1:15
	v_mov_b32_e32 v101, 7
	s_cbranch_scc1 .LBB72_149
; %bb.147:
	v_add_u32_e32 v97, 0x80, v103
	s_mov_b32 s0, 8
	v_mov_b32_e32 v101, 7
.LBB72_148:                             ; =>This Inner Loop Header: Depth=1
	s_waitcnt lgkmcnt(0)
	v_cmp_gt_f64_e32 vcc, 0, v[121:122]
	v_xor_b32_e32 v98, 0x80000000, v122
	ds_read2_b64 v[112:115], v97 offset1:1
	v_xor_b32_e32 v100, 0x80000000, v124
	v_mov_b32_e32 v116, v123
	v_add_u32_e32 v97, 16, v97
	s_waitcnt lgkmcnt(0)
	v_mov_b32_e32 v118, v114
	v_cndmask_b32_e32 v99, v122, v98, vcc
	v_cmp_gt_f64_e32 vcc, 0, v[123:124]
	v_mov_b32_e32 v98, v121
	v_cndmask_b32_e32 v117, v124, v100, vcc
	v_cmp_gt_f64_e32 vcc, 0, v[112:113]
	v_xor_b32_e32 v100, 0x80000000, v113
	v_add_f64 v[98:99], v[98:99], v[116:117]
	v_mov_b32_e32 v116, v112
	v_cndmask_b32_e32 v117, v113, v100, vcc
	v_cmp_gt_f64_e32 vcc, 0, v[114:115]
	v_xor_b32_e32 v100, 0x80000000, v115
	v_cndmask_b32_e32 v119, v115, v100, vcc
	v_add_f64 v[116:117], v[116:117], v[118:119]
	v_cmp_lt_f64_e32 vcc, v[98:99], v[116:117]
	v_mov_b32_e32 v98, s0
	s_add_i32 s0, s0, 1
	s_cmp_lg_u32 s3, s0
	v_cndmask_b32_e32 v122, v122, v113, vcc
	v_cndmask_b32_e32 v121, v121, v112, vcc
	;; [unrolled: 1-line block ×5, first 2 shown]
	s_cbranch_scc1 .LBB72_148
.LBB72_149:
	s_waitcnt lgkmcnt(0)
	v_cmp_eq_f64_e32 vcc, 0, v[121:122]
	v_cmp_eq_f64_e64 s[0:1], 0, v[123:124]
	s_and_b64 s[0:1], vcc, s[0:1]
	s_and_saveexec_b64 s[18:19], s[0:1]
	s_xor_b64 s[0:1], exec, s[18:19]
; %bb.150:
	v_cmp_ne_u32_e32 vcc, 0, v111
	v_cndmask_b32_e32 v111, 8, v111, vcc
; %bb.151:
	s_andn2_saveexec_b64 s[0:1], s[0:1]
	s_cbranch_execz .LBB72_157
; %bb.152:
	v_cmp_ngt_f64_e64 s[18:19], |v[121:122]|, |v[123:124]|
	s_and_saveexec_b64 s[20:21], s[18:19]
	s_xor_b64 s[18:19], exec, s[20:21]
	s_cbranch_execz .LBB72_154
; %bb.153:
	v_div_scale_f64 v[97:98], s[20:21], v[123:124], v[123:124], v[121:122]
	v_rcp_f64_e32 v[99:100], v[97:98]
	v_fma_f64 v[112:113], -v[97:98], v[99:100], 1.0
	v_fma_f64 v[99:100], v[99:100], v[112:113], v[99:100]
	v_div_scale_f64 v[112:113], vcc, v[121:122], v[123:124], v[121:122]
	v_fma_f64 v[114:115], -v[97:98], v[99:100], 1.0
	v_fma_f64 v[99:100], v[99:100], v[114:115], v[99:100]
	v_mul_f64 v[114:115], v[112:113], v[99:100]
	v_fma_f64 v[97:98], -v[97:98], v[114:115], v[112:113]
	v_div_fmas_f64 v[97:98], v[97:98], v[99:100], v[114:115]
	v_div_fixup_f64 v[97:98], v[97:98], v[123:124], v[121:122]
	v_fma_f64 v[99:100], v[121:122], v[97:98], v[123:124]
	v_div_scale_f64 v[112:113], s[20:21], v[99:100], v[99:100], 1.0
	v_div_scale_f64 v[118:119], vcc, 1.0, v[99:100], 1.0
	v_rcp_f64_e32 v[114:115], v[112:113]
	v_fma_f64 v[116:117], -v[112:113], v[114:115], 1.0
	v_fma_f64 v[114:115], v[114:115], v[116:117], v[114:115]
	v_fma_f64 v[116:117], -v[112:113], v[114:115], 1.0
	v_fma_f64 v[114:115], v[114:115], v[116:117], v[114:115]
	v_mul_f64 v[116:117], v[118:119], v[114:115]
	v_fma_f64 v[112:113], -v[112:113], v[116:117], v[118:119]
	v_div_fmas_f64 v[112:113], v[112:113], v[114:115], v[116:117]
	v_div_fixup_f64 v[123:124], v[112:113], v[99:100], 1.0
	v_mul_f64 v[121:122], v[97:98], v[123:124]
	v_xor_b32_e32 v124, 0x80000000, v124
.LBB72_154:
	s_andn2_saveexec_b64 s[18:19], s[18:19]
	s_cbranch_execz .LBB72_156
; %bb.155:
	v_div_scale_f64 v[97:98], s[20:21], v[121:122], v[121:122], v[123:124]
	v_rcp_f64_e32 v[99:100], v[97:98]
	v_fma_f64 v[112:113], -v[97:98], v[99:100], 1.0
	v_fma_f64 v[99:100], v[99:100], v[112:113], v[99:100]
	v_div_scale_f64 v[112:113], vcc, v[123:124], v[121:122], v[123:124]
	v_fma_f64 v[114:115], -v[97:98], v[99:100], 1.0
	v_fma_f64 v[99:100], v[99:100], v[114:115], v[99:100]
	v_mul_f64 v[114:115], v[112:113], v[99:100]
	v_fma_f64 v[97:98], -v[97:98], v[114:115], v[112:113]
	v_div_fmas_f64 v[97:98], v[97:98], v[99:100], v[114:115]
	v_div_fixup_f64 v[97:98], v[97:98], v[121:122], v[123:124]
	v_fma_f64 v[99:100], v[123:124], v[97:98], v[121:122]
	v_div_scale_f64 v[112:113], s[20:21], v[99:100], v[99:100], 1.0
	v_div_scale_f64 v[118:119], vcc, 1.0, v[99:100], 1.0
	v_rcp_f64_e32 v[114:115], v[112:113]
	v_fma_f64 v[116:117], -v[112:113], v[114:115], 1.0
	v_fma_f64 v[114:115], v[114:115], v[116:117], v[114:115]
	v_fma_f64 v[116:117], -v[112:113], v[114:115], 1.0
	v_fma_f64 v[114:115], v[114:115], v[116:117], v[114:115]
	v_mul_f64 v[116:117], v[118:119], v[114:115]
	v_fma_f64 v[112:113], -v[112:113], v[116:117], v[118:119]
	v_div_fmas_f64 v[112:113], v[112:113], v[114:115], v[116:117]
	v_div_fixup_f64 v[121:122], v[112:113], v[99:100], 1.0
	v_mul_f64 v[123:124], v[97:98], -v[121:122]
.LBB72_156:
	s_or_b64 exec, exec, s[18:19]
.LBB72_157:
	s_or_b64 exec, exec, s[0:1]
	v_cmp_ne_u32_e32 vcc, v109, v101
	s_and_saveexec_b64 s[0:1], vcc
	s_xor_b64 s[0:1], exec, s[0:1]
	s_cbranch_execz .LBB72_163
; %bb.158:
	v_cmp_eq_u32_e32 vcc, 7, v109
	s_and_saveexec_b64 s[18:19], vcc
	s_cbranch_execz .LBB72_162
; %bb.159:
	v_cmp_ne_u32_e32 vcc, 7, v101
	s_xor_b64 s[20:21], s[6:7], -1
	s_and_b64 s[22:23], s[20:21], vcc
	s_and_saveexec_b64 s[20:21], s[22:23]
	s_cbranch_execz .LBB72_161
; %bb.160:
	buffer_load_dword v109, off, s[24:27], 0 offset:160 ; 4-byte Folded Reload
	buffer_load_dword v110, off, s[24:27], 0 offset:164 ; 4-byte Folded Reload
	v_ashrrev_i32_e32 v102, 31, v101
	v_lshlrev_b64 v[97:98], 2, v[101:102]
	s_waitcnt vmcnt(1)
	v_add_co_u32_e32 v97, vcc, v109, v97
	s_waitcnt vmcnt(0)
	v_addc_co_u32_e32 v98, vcc, v110, v98, vcc
	global_load_dword v0, v[97:98], off
	global_load_dword v99, v[109:110], off offset:28
	s_waitcnt vmcnt(1)
	global_store_dword v[109:110], v0, off offset:28
	s_waitcnt vmcnt(1)
	global_store_dword v[97:98], v99, off
.LBB72_161:
	s_or_b64 exec, exec, s[20:21]
	v_mov_b32_e32 v109, v101
	v_mov_b32_e32 v0, v101
.LBB72_162:
	s_or_b64 exec, exec, s[18:19]
.LBB72_163:
	s_andn2_saveexec_b64 s[0:1], s[0:1]
	s_cbranch_execz .LBB72_165
; %bb.164:
	buffer_load_dword v97, off, s[24:27], 0 offset:48 ; 4-byte Folded Reload
	buffer_load_dword v98, off, s[24:27], 0 offset:52 ; 4-byte Folded Reload
	;; [unrolled: 1-line block ×4, first 2 shown]
	v_mov_b32_e32 v109, 7
	s_waitcnt vmcnt(0)
	ds_write2_b64 v103, v[97:98], v[99:100] offset0:16 offset1:17
	buffer_load_dword v97, off, s[24:27], 0 offset:32 ; 4-byte Folded Reload
	buffer_load_dword v98, off, s[24:27], 0 offset:36 ; 4-byte Folded Reload
	;; [unrolled: 1-line block ×4, first 2 shown]
	s_waitcnt vmcnt(0)
	ds_write2_b64 v103, v[97:98], v[99:100] offset0:18 offset1:19
	buffer_load_dword v97, off, s[24:27], 0 offset:16 ; 4-byte Folded Reload
	buffer_load_dword v98, off, s[24:27], 0 offset:20 ; 4-byte Folded Reload
	;; [unrolled: 1-line block ×4, first 2 shown]
	s_waitcnt vmcnt(0)
	ds_write2_b64 v103, v[97:98], v[99:100] offset0:20 offset1:21
	buffer_load_dword v97, off, s[24:27], 0 ; 4-byte Folded Reload
	buffer_load_dword v98, off, s[24:27], 0 offset:4 ; 4-byte Folded Reload
	buffer_load_dword v99, off, s[24:27], 0 offset:8 ; 4-byte Folded Reload
	;; [unrolled: 1-line block ×3, first 2 shown]
	s_waitcnt vmcnt(0)
	ds_write2_b64 v103, v[97:98], v[99:100] offset0:22 offset1:23
	ds_write2_b64 v103, v[93:94], v[95:96] offset0:24 offset1:25
	;; [unrolled: 1-line block ×26, first 2 shown]
.LBB72_165:
	s_or_b64 exec, exec, s[0:1]
	v_cmp_lt_i32_e32 vcc, 7, v109
	s_waitcnt vmcnt(0) lgkmcnt(0)
	s_barrier
	s_and_saveexec_b64 s[0:1], vcc
	s_cbranch_execz .LBB72_167
; %bb.166:
	buffer_load_dword v114, off, s[24:27], 0 offset:64 ; 4-byte Folded Reload
	buffer_load_dword v115, off, s[24:27], 0 offset:68 ; 4-byte Folded Reload
	;; [unrolled: 1-line block ×4, first 2 shown]
	s_waitcnt vmcnt(0)
	v_mul_f64 v[97:98], v[123:124], v[116:117]
	v_fma_f64 v[125:126], v[121:122], v[114:115], -v[97:98]
	v_mul_f64 v[97:98], v[121:122], v[116:117]
	v_fma_f64 v[116:117], v[123:124], v[114:115], v[97:98]
	ds_read2_b64 v[97:100], v103 offset0:16 offset1:17
	buffer_load_dword v112, off, s[24:27], 0 offset:48 ; 4-byte Folded Reload
	buffer_load_dword v113, off, s[24:27], 0 offset:52 ; 4-byte Folded Reload
	buffer_load_dword v114, off, s[24:27], 0 offset:56 ; 4-byte Folded Reload
	buffer_load_dword v115, off, s[24:27], 0 offset:60 ; 4-byte Folded Reload
	s_waitcnt lgkmcnt(0)
	v_mul_f64 v[101:102], v[99:100], v[116:117]
	v_fma_f64 v[101:102], v[97:98], v[125:126], -v[101:102]
	v_mul_f64 v[97:98], v[97:98], v[116:117]
	v_fma_f64 v[97:98], v[99:100], v[125:126], v[97:98]
	s_waitcnt vmcnt(2)
	v_add_f64 v[112:113], v[112:113], -v[101:102]
	s_waitcnt vmcnt(0)
	v_add_f64 v[114:115], v[114:115], -v[97:98]
	buffer_store_dword v112, off, s[24:27], 0 offset:48 ; 4-byte Folded Spill
	s_nop 0
	buffer_store_dword v113, off, s[24:27], 0 offset:52 ; 4-byte Folded Spill
	buffer_store_dword v114, off, s[24:27], 0 offset:56 ; 4-byte Folded Spill
	buffer_store_dword v115, off, s[24:27], 0 offset:60 ; 4-byte Folded Spill
	ds_read2_b64 v[97:100], v103 offset0:18 offset1:19
	buffer_load_dword v112, off, s[24:27], 0 offset:32 ; 4-byte Folded Reload
	buffer_load_dword v113, off, s[24:27], 0 offset:36 ; 4-byte Folded Reload
	buffer_load_dword v114, off, s[24:27], 0 offset:40 ; 4-byte Folded Reload
	buffer_load_dword v115, off, s[24:27], 0 offset:44 ; 4-byte Folded Reload
	s_waitcnt lgkmcnt(0)
	v_mul_f64 v[101:102], v[99:100], v[116:117]
	v_fma_f64 v[101:102], v[97:98], v[125:126], -v[101:102]
	v_mul_f64 v[97:98], v[97:98], v[116:117]
	v_fma_f64 v[97:98], v[99:100], v[125:126], v[97:98]
	s_waitcnt vmcnt(2)
	v_add_f64 v[112:113], v[112:113], -v[101:102]
	s_waitcnt vmcnt(0)
	v_add_f64 v[114:115], v[114:115], -v[97:98]
	buffer_store_dword v112, off, s[24:27], 0 offset:32 ; 4-byte Folded Spill
	s_nop 0
	buffer_store_dword v113, off, s[24:27], 0 offset:36 ; 4-byte Folded Spill
	buffer_store_dword v114, off, s[24:27], 0 offset:40 ; 4-byte Folded Spill
	buffer_store_dword v115, off, s[24:27], 0 offset:44 ; 4-byte Folded Spill
	;; [unrolled: 19-line block ×3, first 2 shown]
	ds_read2_b64 v[97:100], v103 offset0:22 offset1:23
	buffer_load_dword v112, off, s[24:27], 0 ; 4-byte Folded Reload
	buffer_load_dword v113, off, s[24:27], 0 offset:4 ; 4-byte Folded Reload
	buffer_load_dword v114, off, s[24:27], 0 offset:8 ; 4-byte Folded Reload
	;; [unrolled: 1-line block ×3, first 2 shown]
	s_waitcnt lgkmcnt(0)
	v_mul_f64 v[101:102], v[99:100], v[116:117]
	v_fma_f64 v[101:102], v[97:98], v[125:126], -v[101:102]
	v_mul_f64 v[97:98], v[97:98], v[116:117]
	v_fma_f64 v[97:98], v[99:100], v[125:126], v[97:98]
	s_waitcnt vmcnt(2)
	v_add_f64 v[112:113], v[112:113], -v[101:102]
	s_waitcnt vmcnt(0)
	v_add_f64 v[114:115], v[114:115], -v[97:98]
	buffer_store_dword v112, off, s[24:27], 0 ; 4-byte Folded Spill
	s_nop 0
	buffer_store_dword v113, off, s[24:27], 0 offset:4 ; 4-byte Folded Spill
	buffer_store_dword v114, off, s[24:27], 0 offset:8 ; 4-byte Folded Spill
	;; [unrolled: 1-line block ×3, first 2 shown]
	ds_read2_b64 v[97:100], v103 offset0:24 offset1:25
	v_mov_b32_e32 v114, v125
	v_mov_b32_e32 v115, v126
	s_waitcnt lgkmcnt(0)
	v_mul_f64 v[101:102], v[99:100], v[116:117]
	v_fma_f64 v[101:102], v[97:98], v[125:126], -v[101:102]
	v_mul_f64 v[97:98], v[97:98], v[116:117]
	v_add_f64 v[93:94], v[93:94], -v[101:102]
	v_fma_f64 v[97:98], v[99:100], v[125:126], v[97:98]
	v_add_f64 v[95:96], v[95:96], -v[97:98]
	ds_read2_b64 v[97:100], v103 offset0:26 offset1:27
	s_waitcnt lgkmcnt(0)
	v_mul_f64 v[101:102], v[99:100], v[116:117]
	v_fma_f64 v[101:102], v[97:98], v[125:126], -v[101:102]
	v_mul_f64 v[97:98], v[97:98], v[116:117]
	v_add_f64 v[89:90], v[89:90], -v[101:102]
	v_fma_f64 v[97:98], v[99:100], v[125:126], v[97:98]
	v_add_f64 v[91:92], v[91:92], -v[97:98]
	ds_read2_b64 v[97:100], v103 offset0:28 offset1:29
	;; [unrolled: 8-line block ×24, first 2 shown]
	s_waitcnt lgkmcnt(0)
	v_mul_f64 v[101:102], v[99:100], v[116:117]
	v_fma_f64 v[101:102], v[97:98], v[125:126], -v[101:102]
	v_mul_f64 v[97:98], v[97:98], v[116:117]
	buffer_store_dword v114, off, s[24:27], 0 offset:64 ; 4-byte Folded Spill
	s_nop 0
	buffer_store_dword v115, off, s[24:27], 0 offset:68 ; 4-byte Folded Spill
	buffer_store_dword v116, off, s[24:27], 0 offset:72 ; 4-byte Folded Spill
	;; [unrolled: 1-line block ×3, first 2 shown]
	v_add_f64 v[105:106], v[105:106], -v[101:102]
	v_fma_f64 v[97:98], v[99:100], v[125:126], v[97:98]
	v_add_f64 v[107:108], v[107:108], -v[97:98]
.LBB72_167:
	s_or_b64 exec, exec, s[0:1]
	s_waitcnt vmcnt(0)
	s_barrier
	buffer_load_dword v98, off, s[24:27], 0 offset:48 ; 4-byte Folded Reload
	buffer_load_dword v99, off, s[24:27], 0 offset:52 ; 4-byte Folded Reload
	;; [unrolled: 1-line block ×4, first 2 shown]
	v_lshl_add_u32 v97, v109, 4, v103
	s_cmp_lt_i32 s3, 10
	s_waitcnt vmcnt(0)
	ds_write2_b64 v97, v[98:99], v[100:101] offset1:1
	s_waitcnt lgkmcnt(0)
	s_barrier
	ds_read2_b64 v[121:124], v103 offset0:16 offset1:17
	v_mov_b32_e32 v101, 8
	s_cbranch_scc1 .LBB72_170
; %bb.168:
	v_add_u32_e32 v97, 0x90, v103
	s_mov_b32 s0, 9
	v_mov_b32_e32 v101, 8
.LBB72_169:                             ; =>This Inner Loop Header: Depth=1
	s_waitcnt lgkmcnt(0)
	v_cmp_gt_f64_e32 vcc, 0, v[121:122]
	v_xor_b32_e32 v98, 0x80000000, v122
	ds_read2_b64 v[112:115], v97 offset1:1
	v_xor_b32_e32 v100, 0x80000000, v124
	v_mov_b32_e32 v116, v123
	v_add_u32_e32 v97, 16, v97
	s_waitcnt lgkmcnt(0)
	v_mov_b32_e32 v118, v114
	v_cndmask_b32_e32 v99, v122, v98, vcc
	v_cmp_gt_f64_e32 vcc, 0, v[123:124]
	v_mov_b32_e32 v98, v121
	v_cndmask_b32_e32 v117, v124, v100, vcc
	v_cmp_gt_f64_e32 vcc, 0, v[112:113]
	v_xor_b32_e32 v100, 0x80000000, v113
	v_add_f64 v[98:99], v[98:99], v[116:117]
	v_mov_b32_e32 v116, v112
	v_cndmask_b32_e32 v117, v113, v100, vcc
	v_cmp_gt_f64_e32 vcc, 0, v[114:115]
	v_xor_b32_e32 v100, 0x80000000, v115
	v_cndmask_b32_e32 v119, v115, v100, vcc
	v_add_f64 v[116:117], v[116:117], v[118:119]
	v_cmp_lt_f64_e32 vcc, v[98:99], v[116:117]
	v_mov_b32_e32 v98, s0
	s_add_i32 s0, s0, 1
	s_cmp_lg_u32 s3, s0
	v_cndmask_b32_e32 v122, v122, v113, vcc
	v_cndmask_b32_e32 v121, v121, v112, vcc
	;; [unrolled: 1-line block ×5, first 2 shown]
	s_cbranch_scc1 .LBB72_169
.LBB72_170:
	s_waitcnt lgkmcnt(0)
	v_cmp_eq_f64_e32 vcc, 0, v[121:122]
	v_cmp_eq_f64_e64 s[0:1], 0, v[123:124]
	s_and_b64 s[0:1], vcc, s[0:1]
	s_and_saveexec_b64 s[18:19], s[0:1]
	s_xor_b64 s[0:1], exec, s[18:19]
; %bb.171:
	v_cmp_ne_u32_e32 vcc, 0, v111
	v_cndmask_b32_e32 v111, 9, v111, vcc
; %bb.172:
	s_andn2_saveexec_b64 s[0:1], s[0:1]
	s_cbranch_execz .LBB72_178
; %bb.173:
	v_cmp_ngt_f64_e64 s[18:19], |v[121:122]|, |v[123:124]|
	s_and_saveexec_b64 s[20:21], s[18:19]
	s_xor_b64 s[18:19], exec, s[20:21]
	s_cbranch_execz .LBB72_175
; %bb.174:
	v_div_scale_f64 v[97:98], s[20:21], v[123:124], v[123:124], v[121:122]
	v_rcp_f64_e32 v[99:100], v[97:98]
	v_fma_f64 v[112:113], -v[97:98], v[99:100], 1.0
	v_fma_f64 v[99:100], v[99:100], v[112:113], v[99:100]
	v_div_scale_f64 v[112:113], vcc, v[121:122], v[123:124], v[121:122]
	v_fma_f64 v[114:115], -v[97:98], v[99:100], 1.0
	v_fma_f64 v[99:100], v[99:100], v[114:115], v[99:100]
	v_mul_f64 v[114:115], v[112:113], v[99:100]
	v_fma_f64 v[97:98], -v[97:98], v[114:115], v[112:113]
	v_div_fmas_f64 v[97:98], v[97:98], v[99:100], v[114:115]
	v_div_fixup_f64 v[97:98], v[97:98], v[123:124], v[121:122]
	v_fma_f64 v[99:100], v[121:122], v[97:98], v[123:124]
	v_div_scale_f64 v[112:113], s[20:21], v[99:100], v[99:100], 1.0
	v_div_scale_f64 v[118:119], vcc, 1.0, v[99:100], 1.0
	v_rcp_f64_e32 v[114:115], v[112:113]
	v_fma_f64 v[116:117], -v[112:113], v[114:115], 1.0
	v_fma_f64 v[114:115], v[114:115], v[116:117], v[114:115]
	v_fma_f64 v[116:117], -v[112:113], v[114:115], 1.0
	v_fma_f64 v[114:115], v[114:115], v[116:117], v[114:115]
	v_mul_f64 v[116:117], v[118:119], v[114:115]
	v_fma_f64 v[112:113], -v[112:113], v[116:117], v[118:119]
	v_div_fmas_f64 v[112:113], v[112:113], v[114:115], v[116:117]
	v_div_fixup_f64 v[123:124], v[112:113], v[99:100], 1.0
	v_mul_f64 v[121:122], v[97:98], v[123:124]
	v_xor_b32_e32 v124, 0x80000000, v124
.LBB72_175:
	s_andn2_saveexec_b64 s[18:19], s[18:19]
	s_cbranch_execz .LBB72_177
; %bb.176:
	v_div_scale_f64 v[97:98], s[20:21], v[121:122], v[121:122], v[123:124]
	v_rcp_f64_e32 v[99:100], v[97:98]
	v_fma_f64 v[112:113], -v[97:98], v[99:100], 1.0
	v_fma_f64 v[99:100], v[99:100], v[112:113], v[99:100]
	v_div_scale_f64 v[112:113], vcc, v[123:124], v[121:122], v[123:124]
	v_fma_f64 v[114:115], -v[97:98], v[99:100], 1.0
	v_fma_f64 v[99:100], v[99:100], v[114:115], v[99:100]
	v_mul_f64 v[114:115], v[112:113], v[99:100]
	v_fma_f64 v[97:98], -v[97:98], v[114:115], v[112:113]
	v_div_fmas_f64 v[97:98], v[97:98], v[99:100], v[114:115]
	v_div_fixup_f64 v[97:98], v[97:98], v[121:122], v[123:124]
	v_fma_f64 v[99:100], v[123:124], v[97:98], v[121:122]
	v_div_scale_f64 v[112:113], s[20:21], v[99:100], v[99:100], 1.0
	v_div_scale_f64 v[118:119], vcc, 1.0, v[99:100], 1.0
	v_rcp_f64_e32 v[114:115], v[112:113]
	v_fma_f64 v[116:117], -v[112:113], v[114:115], 1.0
	v_fma_f64 v[114:115], v[114:115], v[116:117], v[114:115]
	v_fma_f64 v[116:117], -v[112:113], v[114:115], 1.0
	v_fma_f64 v[114:115], v[114:115], v[116:117], v[114:115]
	v_mul_f64 v[116:117], v[118:119], v[114:115]
	v_fma_f64 v[112:113], -v[112:113], v[116:117], v[118:119]
	v_div_fmas_f64 v[112:113], v[112:113], v[114:115], v[116:117]
	v_div_fixup_f64 v[121:122], v[112:113], v[99:100], 1.0
	v_mul_f64 v[123:124], v[97:98], -v[121:122]
.LBB72_177:
	s_or_b64 exec, exec, s[18:19]
.LBB72_178:
	s_or_b64 exec, exec, s[0:1]
	v_cmp_ne_u32_e32 vcc, v109, v101
	s_and_saveexec_b64 s[0:1], vcc
	s_xor_b64 s[0:1], exec, s[0:1]
	s_cbranch_execz .LBB72_184
; %bb.179:
	v_cmp_eq_u32_e32 vcc, 8, v109
	s_and_saveexec_b64 s[18:19], vcc
	s_cbranch_execz .LBB72_183
; %bb.180:
	v_cmp_ne_u32_e32 vcc, 8, v101
	s_xor_b64 s[20:21], s[6:7], -1
	s_and_b64 s[22:23], s[20:21], vcc
	s_and_saveexec_b64 s[20:21], s[22:23]
	s_cbranch_execz .LBB72_182
; %bb.181:
	buffer_load_dword v109, off, s[24:27], 0 offset:160 ; 4-byte Folded Reload
	buffer_load_dword v110, off, s[24:27], 0 offset:164 ; 4-byte Folded Reload
	v_ashrrev_i32_e32 v102, 31, v101
	v_lshlrev_b64 v[97:98], 2, v[101:102]
	s_waitcnt vmcnt(1)
	v_add_co_u32_e32 v97, vcc, v109, v97
	s_waitcnt vmcnt(0)
	v_addc_co_u32_e32 v98, vcc, v110, v98, vcc
	global_load_dword v0, v[97:98], off
	global_load_dword v99, v[109:110], off offset:32
	s_waitcnt vmcnt(1)
	global_store_dword v[109:110], v0, off offset:32
	s_waitcnt vmcnt(1)
	global_store_dword v[97:98], v99, off
.LBB72_182:
	s_or_b64 exec, exec, s[20:21]
	v_mov_b32_e32 v109, v101
	v_mov_b32_e32 v0, v101
.LBB72_183:
	s_or_b64 exec, exec, s[18:19]
.LBB72_184:
	s_andn2_saveexec_b64 s[0:1], s[0:1]
	s_cbranch_execz .LBB72_186
; %bb.185:
	buffer_load_dword v97, off, s[24:27], 0 offset:32 ; 4-byte Folded Reload
	buffer_load_dword v98, off, s[24:27], 0 offset:36 ; 4-byte Folded Reload
	;; [unrolled: 1-line block ×4, first 2 shown]
	v_mov_b32_e32 v109, 8
	s_waitcnt vmcnt(0)
	ds_write2_b64 v103, v[97:98], v[99:100] offset0:18 offset1:19
	buffer_load_dword v97, off, s[24:27], 0 offset:16 ; 4-byte Folded Reload
	buffer_load_dword v98, off, s[24:27], 0 offset:20 ; 4-byte Folded Reload
	;; [unrolled: 1-line block ×4, first 2 shown]
	s_waitcnt vmcnt(0)
	ds_write2_b64 v103, v[97:98], v[99:100] offset0:20 offset1:21
	buffer_load_dword v97, off, s[24:27], 0 ; 4-byte Folded Reload
	buffer_load_dword v98, off, s[24:27], 0 offset:4 ; 4-byte Folded Reload
	buffer_load_dword v99, off, s[24:27], 0 offset:8 ; 4-byte Folded Reload
	;; [unrolled: 1-line block ×3, first 2 shown]
	s_waitcnt vmcnt(0)
	ds_write2_b64 v103, v[97:98], v[99:100] offset0:22 offset1:23
	ds_write2_b64 v103, v[93:94], v[95:96] offset0:24 offset1:25
	;; [unrolled: 1-line block ×26, first 2 shown]
.LBB72_186:
	s_or_b64 exec, exec, s[0:1]
	v_cmp_lt_i32_e32 vcc, 8, v109
	s_waitcnt vmcnt(0) lgkmcnt(0)
	s_barrier
	s_and_saveexec_b64 s[0:1], vcc
	s_cbranch_execz .LBB72_188
; %bb.187:
	buffer_load_dword v114, off, s[24:27], 0 offset:48 ; 4-byte Folded Reload
	buffer_load_dword v115, off, s[24:27], 0 offset:52 ; 4-byte Folded Reload
	;; [unrolled: 1-line block ×4, first 2 shown]
	s_waitcnt vmcnt(0)
	v_mul_f64 v[97:98], v[123:124], v[116:117]
	v_fma_f64 v[125:126], v[121:122], v[114:115], -v[97:98]
	v_mul_f64 v[97:98], v[121:122], v[116:117]
	v_fma_f64 v[116:117], v[123:124], v[114:115], v[97:98]
	ds_read2_b64 v[97:100], v103 offset0:18 offset1:19
	buffer_load_dword v112, off, s[24:27], 0 offset:32 ; 4-byte Folded Reload
	buffer_load_dword v113, off, s[24:27], 0 offset:36 ; 4-byte Folded Reload
	;; [unrolled: 1-line block ×4, first 2 shown]
	s_waitcnt lgkmcnt(0)
	v_mul_f64 v[101:102], v[99:100], v[116:117]
	v_fma_f64 v[101:102], v[97:98], v[125:126], -v[101:102]
	v_mul_f64 v[97:98], v[97:98], v[116:117]
	v_fma_f64 v[97:98], v[99:100], v[125:126], v[97:98]
	s_waitcnt vmcnt(2)
	v_add_f64 v[112:113], v[112:113], -v[101:102]
	s_waitcnt vmcnt(0)
	v_add_f64 v[114:115], v[114:115], -v[97:98]
	buffer_store_dword v112, off, s[24:27], 0 offset:32 ; 4-byte Folded Spill
	s_nop 0
	buffer_store_dword v113, off, s[24:27], 0 offset:36 ; 4-byte Folded Spill
	buffer_store_dword v114, off, s[24:27], 0 offset:40 ; 4-byte Folded Spill
	;; [unrolled: 1-line block ×3, first 2 shown]
	ds_read2_b64 v[97:100], v103 offset0:20 offset1:21
	buffer_load_dword v112, off, s[24:27], 0 offset:16 ; 4-byte Folded Reload
	buffer_load_dword v113, off, s[24:27], 0 offset:20 ; 4-byte Folded Reload
	;; [unrolled: 1-line block ×4, first 2 shown]
	s_waitcnt lgkmcnt(0)
	v_mul_f64 v[101:102], v[99:100], v[116:117]
	v_fma_f64 v[101:102], v[97:98], v[125:126], -v[101:102]
	v_mul_f64 v[97:98], v[97:98], v[116:117]
	v_fma_f64 v[97:98], v[99:100], v[125:126], v[97:98]
	s_waitcnt vmcnt(2)
	v_add_f64 v[112:113], v[112:113], -v[101:102]
	s_waitcnt vmcnt(0)
	v_add_f64 v[114:115], v[114:115], -v[97:98]
	buffer_store_dword v112, off, s[24:27], 0 offset:16 ; 4-byte Folded Spill
	s_nop 0
	buffer_store_dword v113, off, s[24:27], 0 offset:20 ; 4-byte Folded Spill
	buffer_store_dword v114, off, s[24:27], 0 offset:24 ; 4-byte Folded Spill
	;; [unrolled: 1-line block ×3, first 2 shown]
	ds_read2_b64 v[97:100], v103 offset0:22 offset1:23
	buffer_load_dword v112, off, s[24:27], 0 ; 4-byte Folded Reload
	buffer_load_dword v113, off, s[24:27], 0 offset:4 ; 4-byte Folded Reload
	buffer_load_dword v114, off, s[24:27], 0 offset:8 ; 4-byte Folded Reload
	;; [unrolled: 1-line block ×3, first 2 shown]
	s_waitcnt lgkmcnt(0)
	v_mul_f64 v[101:102], v[99:100], v[116:117]
	v_fma_f64 v[101:102], v[97:98], v[125:126], -v[101:102]
	v_mul_f64 v[97:98], v[97:98], v[116:117]
	v_fma_f64 v[97:98], v[99:100], v[125:126], v[97:98]
	s_waitcnt vmcnt(2)
	v_add_f64 v[112:113], v[112:113], -v[101:102]
	s_waitcnt vmcnt(0)
	v_add_f64 v[114:115], v[114:115], -v[97:98]
	buffer_store_dword v112, off, s[24:27], 0 ; 4-byte Folded Spill
	s_nop 0
	buffer_store_dword v113, off, s[24:27], 0 offset:4 ; 4-byte Folded Spill
	buffer_store_dword v114, off, s[24:27], 0 offset:8 ; 4-byte Folded Spill
	;; [unrolled: 1-line block ×3, first 2 shown]
	ds_read2_b64 v[97:100], v103 offset0:24 offset1:25
	v_mov_b32_e32 v114, v125
	v_mov_b32_e32 v115, v126
	s_waitcnt lgkmcnt(0)
	v_mul_f64 v[101:102], v[99:100], v[116:117]
	v_fma_f64 v[101:102], v[97:98], v[125:126], -v[101:102]
	v_mul_f64 v[97:98], v[97:98], v[116:117]
	v_add_f64 v[93:94], v[93:94], -v[101:102]
	v_fma_f64 v[97:98], v[99:100], v[125:126], v[97:98]
	v_add_f64 v[95:96], v[95:96], -v[97:98]
	ds_read2_b64 v[97:100], v103 offset0:26 offset1:27
	s_waitcnt lgkmcnt(0)
	v_mul_f64 v[101:102], v[99:100], v[116:117]
	v_fma_f64 v[101:102], v[97:98], v[125:126], -v[101:102]
	v_mul_f64 v[97:98], v[97:98], v[116:117]
	v_add_f64 v[89:90], v[89:90], -v[101:102]
	v_fma_f64 v[97:98], v[99:100], v[125:126], v[97:98]
	v_add_f64 v[91:92], v[91:92], -v[97:98]
	ds_read2_b64 v[97:100], v103 offset0:28 offset1:29
	;; [unrolled: 8-line block ×24, first 2 shown]
	s_waitcnt lgkmcnt(0)
	v_mul_f64 v[101:102], v[99:100], v[116:117]
	v_fma_f64 v[101:102], v[97:98], v[125:126], -v[101:102]
	v_mul_f64 v[97:98], v[97:98], v[116:117]
	buffer_store_dword v114, off, s[24:27], 0 offset:48 ; 4-byte Folded Spill
	s_nop 0
	buffer_store_dword v115, off, s[24:27], 0 offset:52 ; 4-byte Folded Spill
	buffer_store_dword v116, off, s[24:27], 0 offset:56 ; 4-byte Folded Spill
	;; [unrolled: 1-line block ×3, first 2 shown]
	v_add_f64 v[105:106], v[105:106], -v[101:102]
	v_fma_f64 v[97:98], v[99:100], v[125:126], v[97:98]
	v_add_f64 v[107:108], v[107:108], -v[97:98]
.LBB72_188:
	s_or_b64 exec, exec, s[0:1]
	s_waitcnt vmcnt(0)
	s_barrier
	buffer_load_dword v98, off, s[24:27], 0 offset:32 ; 4-byte Folded Reload
	buffer_load_dword v99, off, s[24:27], 0 offset:36 ; 4-byte Folded Reload
	;; [unrolled: 1-line block ×4, first 2 shown]
	v_lshl_add_u32 v97, v109, 4, v103
	s_cmp_lt_i32 s3, 11
	s_waitcnt vmcnt(0)
	ds_write2_b64 v97, v[98:99], v[100:101] offset1:1
	s_waitcnt lgkmcnt(0)
	s_barrier
	ds_read2_b64 v[121:124], v103 offset0:18 offset1:19
	v_mov_b32_e32 v101, 9
	s_cbranch_scc1 .LBB72_191
; %bb.189:
	v_add_u32_e32 v97, 0xa0, v103
	s_mov_b32 s0, 10
	v_mov_b32_e32 v101, 9
.LBB72_190:                             ; =>This Inner Loop Header: Depth=1
	s_waitcnt lgkmcnt(0)
	v_cmp_gt_f64_e32 vcc, 0, v[121:122]
	v_xor_b32_e32 v98, 0x80000000, v122
	ds_read2_b64 v[112:115], v97 offset1:1
	v_xor_b32_e32 v100, 0x80000000, v124
	v_mov_b32_e32 v116, v123
	v_add_u32_e32 v97, 16, v97
	s_waitcnt lgkmcnt(0)
	v_mov_b32_e32 v118, v114
	v_cndmask_b32_e32 v99, v122, v98, vcc
	v_cmp_gt_f64_e32 vcc, 0, v[123:124]
	v_mov_b32_e32 v98, v121
	v_cndmask_b32_e32 v117, v124, v100, vcc
	v_cmp_gt_f64_e32 vcc, 0, v[112:113]
	v_xor_b32_e32 v100, 0x80000000, v113
	v_add_f64 v[98:99], v[98:99], v[116:117]
	v_mov_b32_e32 v116, v112
	v_cndmask_b32_e32 v117, v113, v100, vcc
	v_cmp_gt_f64_e32 vcc, 0, v[114:115]
	v_xor_b32_e32 v100, 0x80000000, v115
	v_cndmask_b32_e32 v119, v115, v100, vcc
	v_add_f64 v[116:117], v[116:117], v[118:119]
	v_cmp_lt_f64_e32 vcc, v[98:99], v[116:117]
	v_mov_b32_e32 v98, s0
	s_add_i32 s0, s0, 1
	s_cmp_lg_u32 s3, s0
	v_cndmask_b32_e32 v122, v122, v113, vcc
	v_cndmask_b32_e32 v121, v121, v112, vcc
	;; [unrolled: 1-line block ×5, first 2 shown]
	s_cbranch_scc1 .LBB72_190
.LBB72_191:
	s_waitcnt lgkmcnt(0)
	v_cmp_eq_f64_e32 vcc, 0, v[121:122]
	v_cmp_eq_f64_e64 s[0:1], 0, v[123:124]
	s_and_b64 s[0:1], vcc, s[0:1]
	s_and_saveexec_b64 s[18:19], s[0:1]
	s_xor_b64 s[0:1], exec, s[18:19]
; %bb.192:
	v_cmp_ne_u32_e32 vcc, 0, v111
	v_cndmask_b32_e32 v111, 10, v111, vcc
; %bb.193:
	s_andn2_saveexec_b64 s[0:1], s[0:1]
	s_cbranch_execz .LBB72_199
; %bb.194:
	v_cmp_ngt_f64_e64 s[18:19], |v[121:122]|, |v[123:124]|
	s_and_saveexec_b64 s[20:21], s[18:19]
	s_xor_b64 s[18:19], exec, s[20:21]
	s_cbranch_execz .LBB72_196
; %bb.195:
	v_div_scale_f64 v[97:98], s[20:21], v[123:124], v[123:124], v[121:122]
	v_rcp_f64_e32 v[99:100], v[97:98]
	v_fma_f64 v[112:113], -v[97:98], v[99:100], 1.0
	v_fma_f64 v[99:100], v[99:100], v[112:113], v[99:100]
	v_div_scale_f64 v[112:113], vcc, v[121:122], v[123:124], v[121:122]
	v_fma_f64 v[114:115], -v[97:98], v[99:100], 1.0
	v_fma_f64 v[99:100], v[99:100], v[114:115], v[99:100]
	v_mul_f64 v[114:115], v[112:113], v[99:100]
	v_fma_f64 v[97:98], -v[97:98], v[114:115], v[112:113]
	v_div_fmas_f64 v[97:98], v[97:98], v[99:100], v[114:115]
	v_div_fixup_f64 v[97:98], v[97:98], v[123:124], v[121:122]
	v_fma_f64 v[99:100], v[121:122], v[97:98], v[123:124]
	v_div_scale_f64 v[112:113], s[20:21], v[99:100], v[99:100], 1.0
	v_div_scale_f64 v[118:119], vcc, 1.0, v[99:100], 1.0
	v_rcp_f64_e32 v[114:115], v[112:113]
	v_fma_f64 v[116:117], -v[112:113], v[114:115], 1.0
	v_fma_f64 v[114:115], v[114:115], v[116:117], v[114:115]
	v_fma_f64 v[116:117], -v[112:113], v[114:115], 1.0
	v_fma_f64 v[114:115], v[114:115], v[116:117], v[114:115]
	v_mul_f64 v[116:117], v[118:119], v[114:115]
	v_fma_f64 v[112:113], -v[112:113], v[116:117], v[118:119]
	v_div_fmas_f64 v[112:113], v[112:113], v[114:115], v[116:117]
	v_div_fixup_f64 v[123:124], v[112:113], v[99:100], 1.0
	v_mul_f64 v[121:122], v[97:98], v[123:124]
	v_xor_b32_e32 v124, 0x80000000, v124
.LBB72_196:
	s_andn2_saveexec_b64 s[18:19], s[18:19]
	s_cbranch_execz .LBB72_198
; %bb.197:
	v_div_scale_f64 v[97:98], s[20:21], v[121:122], v[121:122], v[123:124]
	v_rcp_f64_e32 v[99:100], v[97:98]
	v_fma_f64 v[112:113], -v[97:98], v[99:100], 1.0
	v_fma_f64 v[99:100], v[99:100], v[112:113], v[99:100]
	v_div_scale_f64 v[112:113], vcc, v[123:124], v[121:122], v[123:124]
	v_fma_f64 v[114:115], -v[97:98], v[99:100], 1.0
	v_fma_f64 v[99:100], v[99:100], v[114:115], v[99:100]
	v_mul_f64 v[114:115], v[112:113], v[99:100]
	v_fma_f64 v[97:98], -v[97:98], v[114:115], v[112:113]
	v_div_fmas_f64 v[97:98], v[97:98], v[99:100], v[114:115]
	v_div_fixup_f64 v[97:98], v[97:98], v[121:122], v[123:124]
	v_fma_f64 v[99:100], v[123:124], v[97:98], v[121:122]
	v_div_scale_f64 v[112:113], s[20:21], v[99:100], v[99:100], 1.0
	v_div_scale_f64 v[118:119], vcc, 1.0, v[99:100], 1.0
	v_rcp_f64_e32 v[114:115], v[112:113]
	v_fma_f64 v[116:117], -v[112:113], v[114:115], 1.0
	v_fma_f64 v[114:115], v[114:115], v[116:117], v[114:115]
	v_fma_f64 v[116:117], -v[112:113], v[114:115], 1.0
	v_fma_f64 v[114:115], v[114:115], v[116:117], v[114:115]
	v_mul_f64 v[116:117], v[118:119], v[114:115]
	v_fma_f64 v[112:113], -v[112:113], v[116:117], v[118:119]
	v_div_fmas_f64 v[112:113], v[112:113], v[114:115], v[116:117]
	v_div_fixup_f64 v[121:122], v[112:113], v[99:100], 1.0
	v_mul_f64 v[123:124], v[97:98], -v[121:122]
.LBB72_198:
	s_or_b64 exec, exec, s[18:19]
.LBB72_199:
	s_or_b64 exec, exec, s[0:1]
	v_cmp_ne_u32_e32 vcc, v109, v101
	s_and_saveexec_b64 s[0:1], vcc
	s_xor_b64 s[0:1], exec, s[0:1]
	s_cbranch_execz .LBB72_205
; %bb.200:
	v_cmp_eq_u32_e32 vcc, 9, v109
	s_and_saveexec_b64 s[18:19], vcc
	s_cbranch_execz .LBB72_204
; %bb.201:
	v_cmp_ne_u32_e32 vcc, 9, v101
	s_xor_b64 s[20:21], s[6:7], -1
	s_and_b64 s[22:23], s[20:21], vcc
	s_and_saveexec_b64 s[20:21], s[22:23]
	s_cbranch_execz .LBB72_203
; %bb.202:
	buffer_load_dword v109, off, s[24:27], 0 offset:160 ; 4-byte Folded Reload
	buffer_load_dword v110, off, s[24:27], 0 offset:164 ; 4-byte Folded Reload
	v_ashrrev_i32_e32 v102, 31, v101
	v_lshlrev_b64 v[97:98], 2, v[101:102]
	s_waitcnt vmcnt(1)
	v_add_co_u32_e32 v97, vcc, v109, v97
	s_waitcnt vmcnt(0)
	v_addc_co_u32_e32 v98, vcc, v110, v98, vcc
	global_load_dword v0, v[97:98], off
	global_load_dword v99, v[109:110], off offset:36
	s_waitcnt vmcnt(1)
	global_store_dword v[109:110], v0, off offset:36
	s_waitcnt vmcnt(1)
	global_store_dword v[97:98], v99, off
.LBB72_203:
	s_or_b64 exec, exec, s[20:21]
	v_mov_b32_e32 v109, v101
	v_mov_b32_e32 v0, v101
.LBB72_204:
	s_or_b64 exec, exec, s[18:19]
.LBB72_205:
	s_andn2_saveexec_b64 s[0:1], s[0:1]
	s_cbranch_execz .LBB72_207
; %bb.206:
	buffer_load_dword v97, off, s[24:27], 0 offset:16 ; 4-byte Folded Reload
	buffer_load_dword v98, off, s[24:27], 0 offset:20 ; 4-byte Folded Reload
	;; [unrolled: 1-line block ×4, first 2 shown]
	v_mov_b32_e32 v109, 9
	s_waitcnt vmcnt(0)
	ds_write2_b64 v103, v[97:98], v[99:100] offset0:20 offset1:21
	buffer_load_dword v97, off, s[24:27], 0 ; 4-byte Folded Reload
	buffer_load_dword v98, off, s[24:27], 0 offset:4 ; 4-byte Folded Reload
	buffer_load_dword v99, off, s[24:27], 0 offset:8 ; 4-byte Folded Reload
	;; [unrolled: 1-line block ×3, first 2 shown]
	s_waitcnt vmcnt(0)
	ds_write2_b64 v103, v[97:98], v[99:100] offset0:22 offset1:23
	ds_write2_b64 v103, v[93:94], v[95:96] offset0:24 offset1:25
	;; [unrolled: 1-line block ×26, first 2 shown]
.LBB72_207:
	s_or_b64 exec, exec, s[0:1]
	v_cmp_lt_i32_e32 vcc, 9, v109
	s_waitcnt vmcnt(0) lgkmcnt(0)
	s_barrier
	s_and_saveexec_b64 s[0:1], vcc
	s_cbranch_execz .LBB72_209
; %bb.208:
	buffer_load_dword v114, off, s[24:27], 0 offset:32 ; 4-byte Folded Reload
	buffer_load_dword v115, off, s[24:27], 0 offset:36 ; 4-byte Folded Reload
	;; [unrolled: 1-line block ×4, first 2 shown]
	s_waitcnt vmcnt(0)
	v_mul_f64 v[97:98], v[123:124], v[116:117]
	v_fma_f64 v[125:126], v[121:122], v[114:115], -v[97:98]
	v_mul_f64 v[97:98], v[121:122], v[116:117]
	v_fma_f64 v[116:117], v[123:124], v[114:115], v[97:98]
	ds_read2_b64 v[97:100], v103 offset0:20 offset1:21
	buffer_load_dword v112, off, s[24:27], 0 offset:16 ; 4-byte Folded Reload
	buffer_load_dword v113, off, s[24:27], 0 offset:20 ; 4-byte Folded Reload
	;; [unrolled: 1-line block ×4, first 2 shown]
	s_waitcnt lgkmcnt(0)
	v_mul_f64 v[101:102], v[99:100], v[116:117]
	v_fma_f64 v[101:102], v[97:98], v[125:126], -v[101:102]
	v_mul_f64 v[97:98], v[97:98], v[116:117]
	v_fma_f64 v[97:98], v[99:100], v[125:126], v[97:98]
	s_waitcnt vmcnt(2)
	v_add_f64 v[112:113], v[112:113], -v[101:102]
	s_waitcnt vmcnt(0)
	v_add_f64 v[114:115], v[114:115], -v[97:98]
	buffer_store_dword v112, off, s[24:27], 0 offset:16 ; 4-byte Folded Spill
	s_nop 0
	buffer_store_dword v113, off, s[24:27], 0 offset:20 ; 4-byte Folded Spill
	buffer_store_dword v114, off, s[24:27], 0 offset:24 ; 4-byte Folded Spill
	;; [unrolled: 1-line block ×3, first 2 shown]
	ds_read2_b64 v[97:100], v103 offset0:22 offset1:23
	buffer_load_dword v112, off, s[24:27], 0 ; 4-byte Folded Reload
	buffer_load_dword v113, off, s[24:27], 0 offset:4 ; 4-byte Folded Reload
	buffer_load_dword v114, off, s[24:27], 0 offset:8 ; 4-byte Folded Reload
	;; [unrolled: 1-line block ×3, first 2 shown]
	s_waitcnt lgkmcnt(0)
	v_mul_f64 v[101:102], v[99:100], v[116:117]
	v_fma_f64 v[101:102], v[97:98], v[125:126], -v[101:102]
	v_mul_f64 v[97:98], v[97:98], v[116:117]
	v_fma_f64 v[97:98], v[99:100], v[125:126], v[97:98]
	s_waitcnt vmcnt(2)
	v_add_f64 v[112:113], v[112:113], -v[101:102]
	s_waitcnt vmcnt(0)
	v_add_f64 v[114:115], v[114:115], -v[97:98]
	buffer_store_dword v112, off, s[24:27], 0 ; 4-byte Folded Spill
	s_nop 0
	buffer_store_dword v113, off, s[24:27], 0 offset:4 ; 4-byte Folded Spill
	buffer_store_dword v114, off, s[24:27], 0 offset:8 ; 4-byte Folded Spill
	;; [unrolled: 1-line block ×3, first 2 shown]
	ds_read2_b64 v[97:100], v103 offset0:24 offset1:25
	v_mov_b32_e32 v114, v125
	v_mov_b32_e32 v115, v126
	s_waitcnt lgkmcnt(0)
	v_mul_f64 v[101:102], v[99:100], v[116:117]
	v_fma_f64 v[101:102], v[97:98], v[125:126], -v[101:102]
	v_mul_f64 v[97:98], v[97:98], v[116:117]
	v_add_f64 v[93:94], v[93:94], -v[101:102]
	v_fma_f64 v[97:98], v[99:100], v[125:126], v[97:98]
	v_add_f64 v[95:96], v[95:96], -v[97:98]
	ds_read2_b64 v[97:100], v103 offset0:26 offset1:27
	s_waitcnt lgkmcnt(0)
	v_mul_f64 v[101:102], v[99:100], v[116:117]
	v_fma_f64 v[101:102], v[97:98], v[125:126], -v[101:102]
	v_mul_f64 v[97:98], v[97:98], v[116:117]
	v_add_f64 v[89:90], v[89:90], -v[101:102]
	v_fma_f64 v[97:98], v[99:100], v[125:126], v[97:98]
	v_add_f64 v[91:92], v[91:92], -v[97:98]
	ds_read2_b64 v[97:100], v103 offset0:28 offset1:29
	;; [unrolled: 8-line block ×24, first 2 shown]
	s_waitcnt lgkmcnt(0)
	v_mul_f64 v[101:102], v[99:100], v[116:117]
	v_fma_f64 v[101:102], v[97:98], v[125:126], -v[101:102]
	v_mul_f64 v[97:98], v[97:98], v[116:117]
	buffer_store_dword v114, off, s[24:27], 0 offset:32 ; 4-byte Folded Spill
	s_nop 0
	buffer_store_dword v115, off, s[24:27], 0 offset:36 ; 4-byte Folded Spill
	buffer_store_dword v116, off, s[24:27], 0 offset:40 ; 4-byte Folded Spill
	;; [unrolled: 1-line block ×3, first 2 shown]
	v_add_f64 v[105:106], v[105:106], -v[101:102]
	v_fma_f64 v[97:98], v[99:100], v[125:126], v[97:98]
	v_add_f64 v[107:108], v[107:108], -v[97:98]
.LBB72_209:
	s_or_b64 exec, exec, s[0:1]
	s_waitcnt vmcnt(0)
	s_barrier
	buffer_load_dword v98, off, s[24:27], 0 offset:16 ; 4-byte Folded Reload
	buffer_load_dword v99, off, s[24:27], 0 offset:20 ; 4-byte Folded Reload
	;; [unrolled: 1-line block ×4, first 2 shown]
	v_lshl_add_u32 v97, v109, 4, v103
	s_cmp_lt_i32 s3, 12
	s_waitcnt vmcnt(0)
	ds_write2_b64 v97, v[98:99], v[100:101] offset1:1
	s_waitcnt lgkmcnt(0)
	s_barrier
	ds_read2_b64 v[121:124], v103 offset0:20 offset1:21
	v_mov_b32_e32 v101, 10
	s_cbranch_scc1 .LBB72_212
; %bb.210:
	v_add_u32_e32 v97, 0xb0, v103
	s_mov_b32 s0, 11
	v_mov_b32_e32 v101, 10
.LBB72_211:                             ; =>This Inner Loop Header: Depth=1
	s_waitcnt lgkmcnt(0)
	v_cmp_gt_f64_e32 vcc, 0, v[121:122]
	v_xor_b32_e32 v98, 0x80000000, v122
	ds_read2_b64 v[112:115], v97 offset1:1
	v_xor_b32_e32 v100, 0x80000000, v124
	v_mov_b32_e32 v116, v123
	v_add_u32_e32 v97, 16, v97
	s_waitcnt lgkmcnt(0)
	v_mov_b32_e32 v118, v114
	v_cndmask_b32_e32 v99, v122, v98, vcc
	v_cmp_gt_f64_e32 vcc, 0, v[123:124]
	v_mov_b32_e32 v98, v121
	v_cndmask_b32_e32 v117, v124, v100, vcc
	v_cmp_gt_f64_e32 vcc, 0, v[112:113]
	v_xor_b32_e32 v100, 0x80000000, v113
	v_add_f64 v[98:99], v[98:99], v[116:117]
	v_mov_b32_e32 v116, v112
	v_cndmask_b32_e32 v117, v113, v100, vcc
	v_cmp_gt_f64_e32 vcc, 0, v[114:115]
	v_xor_b32_e32 v100, 0x80000000, v115
	v_cndmask_b32_e32 v119, v115, v100, vcc
	v_add_f64 v[116:117], v[116:117], v[118:119]
	v_cmp_lt_f64_e32 vcc, v[98:99], v[116:117]
	v_mov_b32_e32 v98, s0
	s_add_i32 s0, s0, 1
	s_cmp_lg_u32 s3, s0
	v_cndmask_b32_e32 v122, v122, v113, vcc
	v_cndmask_b32_e32 v121, v121, v112, vcc
	;; [unrolled: 1-line block ×5, first 2 shown]
	s_cbranch_scc1 .LBB72_211
.LBB72_212:
	s_waitcnt lgkmcnt(0)
	v_cmp_eq_f64_e32 vcc, 0, v[121:122]
	v_cmp_eq_f64_e64 s[0:1], 0, v[123:124]
	s_and_b64 s[0:1], vcc, s[0:1]
	s_and_saveexec_b64 s[18:19], s[0:1]
	s_xor_b64 s[0:1], exec, s[18:19]
; %bb.213:
	v_cmp_ne_u32_e32 vcc, 0, v111
	v_cndmask_b32_e32 v111, 11, v111, vcc
; %bb.214:
	s_andn2_saveexec_b64 s[0:1], s[0:1]
	s_cbranch_execz .LBB72_220
; %bb.215:
	v_cmp_ngt_f64_e64 s[18:19], |v[121:122]|, |v[123:124]|
	s_and_saveexec_b64 s[20:21], s[18:19]
	s_xor_b64 s[18:19], exec, s[20:21]
	s_cbranch_execz .LBB72_217
; %bb.216:
	v_div_scale_f64 v[97:98], s[20:21], v[123:124], v[123:124], v[121:122]
	v_rcp_f64_e32 v[99:100], v[97:98]
	v_fma_f64 v[112:113], -v[97:98], v[99:100], 1.0
	v_fma_f64 v[99:100], v[99:100], v[112:113], v[99:100]
	v_div_scale_f64 v[112:113], vcc, v[121:122], v[123:124], v[121:122]
	v_fma_f64 v[114:115], -v[97:98], v[99:100], 1.0
	v_fma_f64 v[99:100], v[99:100], v[114:115], v[99:100]
	v_mul_f64 v[114:115], v[112:113], v[99:100]
	v_fma_f64 v[97:98], -v[97:98], v[114:115], v[112:113]
	v_div_fmas_f64 v[97:98], v[97:98], v[99:100], v[114:115]
	v_div_fixup_f64 v[97:98], v[97:98], v[123:124], v[121:122]
	v_fma_f64 v[99:100], v[121:122], v[97:98], v[123:124]
	v_div_scale_f64 v[112:113], s[20:21], v[99:100], v[99:100], 1.0
	v_div_scale_f64 v[118:119], vcc, 1.0, v[99:100], 1.0
	v_rcp_f64_e32 v[114:115], v[112:113]
	v_fma_f64 v[116:117], -v[112:113], v[114:115], 1.0
	v_fma_f64 v[114:115], v[114:115], v[116:117], v[114:115]
	v_fma_f64 v[116:117], -v[112:113], v[114:115], 1.0
	v_fma_f64 v[114:115], v[114:115], v[116:117], v[114:115]
	v_mul_f64 v[116:117], v[118:119], v[114:115]
	v_fma_f64 v[112:113], -v[112:113], v[116:117], v[118:119]
	v_div_fmas_f64 v[112:113], v[112:113], v[114:115], v[116:117]
	v_div_fixup_f64 v[123:124], v[112:113], v[99:100], 1.0
	v_mul_f64 v[121:122], v[97:98], v[123:124]
	v_xor_b32_e32 v124, 0x80000000, v124
.LBB72_217:
	s_andn2_saveexec_b64 s[18:19], s[18:19]
	s_cbranch_execz .LBB72_219
; %bb.218:
	v_div_scale_f64 v[97:98], s[20:21], v[121:122], v[121:122], v[123:124]
	v_rcp_f64_e32 v[99:100], v[97:98]
	v_fma_f64 v[112:113], -v[97:98], v[99:100], 1.0
	v_fma_f64 v[99:100], v[99:100], v[112:113], v[99:100]
	v_div_scale_f64 v[112:113], vcc, v[123:124], v[121:122], v[123:124]
	v_fma_f64 v[114:115], -v[97:98], v[99:100], 1.0
	v_fma_f64 v[99:100], v[99:100], v[114:115], v[99:100]
	v_mul_f64 v[114:115], v[112:113], v[99:100]
	v_fma_f64 v[97:98], -v[97:98], v[114:115], v[112:113]
	v_div_fmas_f64 v[97:98], v[97:98], v[99:100], v[114:115]
	v_div_fixup_f64 v[97:98], v[97:98], v[121:122], v[123:124]
	v_fma_f64 v[99:100], v[123:124], v[97:98], v[121:122]
	v_div_scale_f64 v[112:113], s[20:21], v[99:100], v[99:100], 1.0
	v_div_scale_f64 v[118:119], vcc, 1.0, v[99:100], 1.0
	v_rcp_f64_e32 v[114:115], v[112:113]
	v_fma_f64 v[116:117], -v[112:113], v[114:115], 1.0
	v_fma_f64 v[114:115], v[114:115], v[116:117], v[114:115]
	v_fma_f64 v[116:117], -v[112:113], v[114:115], 1.0
	v_fma_f64 v[114:115], v[114:115], v[116:117], v[114:115]
	v_mul_f64 v[116:117], v[118:119], v[114:115]
	v_fma_f64 v[112:113], -v[112:113], v[116:117], v[118:119]
	v_div_fmas_f64 v[112:113], v[112:113], v[114:115], v[116:117]
	v_div_fixup_f64 v[121:122], v[112:113], v[99:100], 1.0
	v_mul_f64 v[123:124], v[97:98], -v[121:122]
.LBB72_219:
	s_or_b64 exec, exec, s[18:19]
.LBB72_220:
	s_or_b64 exec, exec, s[0:1]
	v_cmp_ne_u32_e32 vcc, v109, v101
	s_and_saveexec_b64 s[0:1], vcc
	s_xor_b64 s[0:1], exec, s[0:1]
	s_cbranch_execz .LBB72_226
; %bb.221:
	v_cmp_eq_u32_e32 vcc, 10, v109
	s_and_saveexec_b64 s[18:19], vcc
	s_cbranch_execz .LBB72_225
; %bb.222:
	v_cmp_ne_u32_e32 vcc, 10, v101
	s_xor_b64 s[20:21], s[6:7], -1
	s_and_b64 s[22:23], s[20:21], vcc
	s_and_saveexec_b64 s[20:21], s[22:23]
	s_cbranch_execz .LBB72_224
; %bb.223:
	buffer_load_dword v109, off, s[24:27], 0 offset:160 ; 4-byte Folded Reload
	buffer_load_dword v110, off, s[24:27], 0 offset:164 ; 4-byte Folded Reload
	v_ashrrev_i32_e32 v102, 31, v101
	v_lshlrev_b64 v[97:98], 2, v[101:102]
	s_waitcnt vmcnt(1)
	v_add_co_u32_e32 v97, vcc, v109, v97
	s_waitcnt vmcnt(0)
	v_addc_co_u32_e32 v98, vcc, v110, v98, vcc
	global_load_dword v0, v[97:98], off
	global_load_dword v99, v[109:110], off offset:40
	s_waitcnt vmcnt(1)
	global_store_dword v[109:110], v0, off offset:40
	s_waitcnt vmcnt(1)
	global_store_dword v[97:98], v99, off
.LBB72_224:
	s_or_b64 exec, exec, s[20:21]
	v_mov_b32_e32 v109, v101
	v_mov_b32_e32 v0, v101
.LBB72_225:
	s_or_b64 exec, exec, s[18:19]
.LBB72_226:
	s_andn2_saveexec_b64 s[0:1], s[0:1]
	s_cbranch_execz .LBB72_228
; %bb.227:
	buffer_load_dword v97, off, s[24:27], 0 ; 4-byte Folded Reload
	buffer_load_dword v98, off, s[24:27], 0 offset:4 ; 4-byte Folded Reload
	buffer_load_dword v99, off, s[24:27], 0 offset:8 ; 4-byte Folded Reload
	;; [unrolled: 1-line block ×3, first 2 shown]
	v_mov_b32_e32 v109, 10
	s_waitcnt vmcnt(0)
	ds_write2_b64 v103, v[97:98], v[99:100] offset0:22 offset1:23
	ds_write2_b64 v103, v[93:94], v[95:96] offset0:24 offset1:25
	;; [unrolled: 1-line block ×26, first 2 shown]
.LBB72_228:
	s_or_b64 exec, exec, s[0:1]
	v_cmp_lt_i32_e32 vcc, 10, v109
	s_waitcnt vmcnt(0) lgkmcnt(0)
	s_barrier
	s_and_saveexec_b64 s[0:1], vcc
	s_cbranch_execz .LBB72_230
; %bb.229:
	buffer_load_dword v114, off, s[24:27], 0 offset:16 ; 4-byte Folded Reload
	buffer_load_dword v115, off, s[24:27], 0 offset:20 ; 4-byte Folded Reload
	;; [unrolled: 1-line block ×4, first 2 shown]
	s_waitcnt vmcnt(0)
	v_mul_f64 v[97:98], v[123:124], v[116:117]
	v_fma_f64 v[125:126], v[121:122], v[114:115], -v[97:98]
	v_mul_f64 v[97:98], v[121:122], v[116:117]
	v_fma_f64 v[116:117], v[123:124], v[114:115], v[97:98]
	ds_read2_b64 v[97:100], v103 offset0:22 offset1:23
	buffer_load_dword v112, off, s[24:27], 0 ; 4-byte Folded Reload
	buffer_load_dword v113, off, s[24:27], 0 offset:4 ; 4-byte Folded Reload
	buffer_load_dword v114, off, s[24:27], 0 offset:8 ; 4-byte Folded Reload
	;; [unrolled: 1-line block ×3, first 2 shown]
	s_waitcnt lgkmcnt(0)
	v_mul_f64 v[101:102], v[99:100], v[116:117]
	v_fma_f64 v[101:102], v[97:98], v[125:126], -v[101:102]
	v_mul_f64 v[97:98], v[97:98], v[116:117]
	v_fma_f64 v[97:98], v[99:100], v[125:126], v[97:98]
	s_waitcnt vmcnt(2)
	v_add_f64 v[112:113], v[112:113], -v[101:102]
	s_waitcnt vmcnt(0)
	v_add_f64 v[114:115], v[114:115], -v[97:98]
	buffer_store_dword v112, off, s[24:27], 0 ; 4-byte Folded Spill
	s_nop 0
	buffer_store_dword v113, off, s[24:27], 0 offset:4 ; 4-byte Folded Spill
	buffer_store_dword v114, off, s[24:27], 0 offset:8 ; 4-byte Folded Spill
	;; [unrolled: 1-line block ×3, first 2 shown]
	ds_read2_b64 v[97:100], v103 offset0:24 offset1:25
	v_mov_b32_e32 v114, v125
	v_mov_b32_e32 v115, v126
	s_waitcnt lgkmcnt(0)
	v_mul_f64 v[101:102], v[99:100], v[116:117]
	v_fma_f64 v[101:102], v[97:98], v[125:126], -v[101:102]
	v_mul_f64 v[97:98], v[97:98], v[116:117]
	v_add_f64 v[93:94], v[93:94], -v[101:102]
	v_fma_f64 v[97:98], v[99:100], v[125:126], v[97:98]
	v_add_f64 v[95:96], v[95:96], -v[97:98]
	ds_read2_b64 v[97:100], v103 offset0:26 offset1:27
	s_waitcnt lgkmcnt(0)
	v_mul_f64 v[101:102], v[99:100], v[116:117]
	v_fma_f64 v[101:102], v[97:98], v[125:126], -v[101:102]
	v_mul_f64 v[97:98], v[97:98], v[116:117]
	v_add_f64 v[89:90], v[89:90], -v[101:102]
	v_fma_f64 v[97:98], v[99:100], v[125:126], v[97:98]
	v_add_f64 v[91:92], v[91:92], -v[97:98]
	ds_read2_b64 v[97:100], v103 offset0:28 offset1:29
	;; [unrolled: 8-line block ×24, first 2 shown]
	s_waitcnt lgkmcnt(0)
	v_mul_f64 v[101:102], v[99:100], v[116:117]
	v_fma_f64 v[101:102], v[97:98], v[125:126], -v[101:102]
	v_mul_f64 v[97:98], v[97:98], v[116:117]
	buffer_store_dword v114, off, s[24:27], 0 offset:16 ; 4-byte Folded Spill
	s_nop 0
	buffer_store_dword v115, off, s[24:27], 0 offset:20 ; 4-byte Folded Spill
	buffer_store_dword v116, off, s[24:27], 0 offset:24 ; 4-byte Folded Spill
	;; [unrolled: 1-line block ×3, first 2 shown]
	v_add_f64 v[105:106], v[105:106], -v[101:102]
	v_fma_f64 v[97:98], v[99:100], v[125:126], v[97:98]
	v_add_f64 v[107:108], v[107:108], -v[97:98]
.LBB72_230:
	s_or_b64 exec, exec, s[0:1]
	s_waitcnt vmcnt(0)
	s_barrier
	buffer_load_dword v98, off, s[24:27], 0 ; 4-byte Folded Reload
	buffer_load_dword v99, off, s[24:27], 0 offset:4 ; 4-byte Folded Reload
	buffer_load_dword v100, off, s[24:27], 0 offset:8 ; 4-byte Folded Reload
	;; [unrolled: 1-line block ×3, first 2 shown]
	v_lshl_add_u32 v97, v109, 4, v103
	s_cmp_lt_i32 s3, 13
	s_waitcnt vmcnt(0)
	ds_write2_b64 v97, v[98:99], v[100:101] offset1:1
	s_waitcnt lgkmcnt(0)
	s_barrier
	ds_read2_b64 v[121:124], v103 offset0:22 offset1:23
	v_mov_b32_e32 v101, 11
	s_cbranch_scc1 .LBB72_233
; %bb.231:
	v_add_u32_e32 v97, 0xc0, v103
	s_mov_b32 s0, 12
	v_mov_b32_e32 v101, 11
.LBB72_232:                             ; =>This Inner Loop Header: Depth=1
	s_waitcnt lgkmcnt(0)
	v_cmp_gt_f64_e32 vcc, 0, v[121:122]
	v_xor_b32_e32 v98, 0x80000000, v122
	ds_read2_b64 v[112:115], v97 offset1:1
	v_xor_b32_e32 v100, 0x80000000, v124
	v_mov_b32_e32 v116, v123
	v_add_u32_e32 v97, 16, v97
	s_waitcnt lgkmcnt(0)
	v_mov_b32_e32 v118, v114
	v_cndmask_b32_e32 v99, v122, v98, vcc
	v_cmp_gt_f64_e32 vcc, 0, v[123:124]
	v_mov_b32_e32 v98, v121
	v_cndmask_b32_e32 v117, v124, v100, vcc
	v_cmp_gt_f64_e32 vcc, 0, v[112:113]
	v_xor_b32_e32 v100, 0x80000000, v113
	v_add_f64 v[98:99], v[98:99], v[116:117]
	v_mov_b32_e32 v116, v112
	v_cndmask_b32_e32 v117, v113, v100, vcc
	v_cmp_gt_f64_e32 vcc, 0, v[114:115]
	v_xor_b32_e32 v100, 0x80000000, v115
	v_cndmask_b32_e32 v119, v115, v100, vcc
	v_add_f64 v[116:117], v[116:117], v[118:119]
	v_cmp_lt_f64_e32 vcc, v[98:99], v[116:117]
	v_mov_b32_e32 v98, s0
	s_add_i32 s0, s0, 1
	s_cmp_lg_u32 s3, s0
	v_cndmask_b32_e32 v122, v122, v113, vcc
	v_cndmask_b32_e32 v121, v121, v112, vcc
	;; [unrolled: 1-line block ×5, first 2 shown]
	s_cbranch_scc1 .LBB72_232
.LBB72_233:
	s_waitcnt lgkmcnt(0)
	v_cmp_eq_f64_e32 vcc, 0, v[121:122]
	v_cmp_eq_f64_e64 s[0:1], 0, v[123:124]
	s_and_b64 s[0:1], vcc, s[0:1]
	s_and_saveexec_b64 s[18:19], s[0:1]
	s_xor_b64 s[0:1], exec, s[18:19]
; %bb.234:
	v_cmp_ne_u32_e32 vcc, 0, v111
	v_cndmask_b32_e32 v111, 12, v111, vcc
; %bb.235:
	s_andn2_saveexec_b64 s[0:1], s[0:1]
	s_cbranch_execz .LBB72_241
; %bb.236:
	v_cmp_ngt_f64_e64 s[18:19], |v[121:122]|, |v[123:124]|
	s_and_saveexec_b64 s[20:21], s[18:19]
	s_xor_b64 s[18:19], exec, s[20:21]
	s_cbranch_execz .LBB72_238
; %bb.237:
	v_div_scale_f64 v[97:98], s[20:21], v[123:124], v[123:124], v[121:122]
	v_rcp_f64_e32 v[99:100], v[97:98]
	v_fma_f64 v[112:113], -v[97:98], v[99:100], 1.0
	v_fma_f64 v[99:100], v[99:100], v[112:113], v[99:100]
	v_div_scale_f64 v[112:113], vcc, v[121:122], v[123:124], v[121:122]
	v_fma_f64 v[114:115], -v[97:98], v[99:100], 1.0
	v_fma_f64 v[99:100], v[99:100], v[114:115], v[99:100]
	v_mul_f64 v[114:115], v[112:113], v[99:100]
	v_fma_f64 v[97:98], -v[97:98], v[114:115], v[112:113]
	v_div_fmas_f64 v[97:98], v[97:98], v[99:100], v[114:115]
	v_div_fixup_f64 v[97:98], v[97:98], v[123:124], v[121:122]
	v_fma_f64 v[99:100], v[121:122], v[97:98], v[123:124]
	v_div_scale_f64 v[112:113], s[20:21], v[99:100], v[99:100], 1.0
	v_div_scale_f64 v[118:119], vcc, 1.0, v[99:100], 1.0
	v_rcp_f64_e32 v[114:115], v[112:113]
	v_fma_f64 v[116:117], -v[112:113], v[114:115], 1.0
	v_fma_f64 v[114:115], v[114:115], v[116:117], v[114:115]
	v_fma_f64 v[116:117], -v[112:113], v[114:115], 1.0
	v_fma_f64 v[114:115], v[114:115], v[116:117], v[114:115]
	v_mul_f64 v[116:117], v[118:119], v[114:115]
	v_fma_f64 v[112:113], -v[112:113], v[116:117], v[118:119]
	v_div_fmas_f64 v[112:113], v[112:113], v[114:115], v[116:117]
	v_div_fixup_f64 v[123:124], v[112:113], v[99:100], 1.0
	v_mul_f64 v[121:122], v[97:98], v[123:124]
	v_xor_b32_e32 v124, 0x80000000, v124
.LBB72_238:
	s_andn2_saveexec_b64 s[18:19], s[18:19]
	s_cbranch_execz .LBB72_240
; %bb.239:
	v_div_scale_f64 v[97:98], s[20:21], v[121:122], v[121:122], v[123:124]
	v_rcp_f64_e32 v[99:100], v[97:98]
	v_fma_f64 v[112:113], -v[97:98], v[99:100], 1.0
	v_fma_f64 v[99:100], v[99:100], v[112:113], v[99:100]
	v_div_scale_f64 v[112:113], vcc, v[123:124], v[121:122], v[123:124]
	v_fma_f64 v[114:115], -v[97:98], v[99:100], 1.0
	v_fma_f64 v[99:100], v[99:100], v[114:115], v[99:100]
	v_mul_f64 v[114:115], v[112:113], v[99:100]
	v_fma_f64 v[97:98], -v[97:98], v[114:115], v[112:113]
	v_div_fmas_f64 v[97:98], v[97:98], v[99:100], v[114:115]
	v_div_fixup_f64 v[97:98], v[97:98], v[121:122], v[123:124]
	v_fma_f64 v[99:100], v[123:124], v[97:98], v[121:122]
	v_div_scale_f64 v[112:113], s[20:21], v[99:100], v[99:100], 1.0
	v_div_scale_f64 v[118:119], vcc, 1.0, v[99:100], 1.0
	v_rcp_f64_e32 v[114:115], v[112:113]
	v_fma_f64 v[116:117], -v[112:113], v[114:115], 1.0
	v_fma_f64 v[114:115], v[114:115], v[116:117], v[114:115]
	v_fma_f64 v[116:117], -v[112:113], v[114:115], 1.0
	v_fma_f64 v[114:115], v[114:115], v[116:117], v[114:115]
	v_mul_f64 v[116:117], v[118:119], v[114:115]
	v_fma_f64 v[112:113], -v[112:113], v[116:117], v[118:119]
	v_div_fmas_f64 v[112:113], v[112:113], v[114:115], v[116:117]
	v_div_fixup_f64 v[121:122], v[112:113], v[99:100], 1.0
	v_mul_f64 v[123:124], v[97:98], -v[121:122]
.LBB72_240:
	s_or_b64 exec, exec, s[18:19]
.LBB72_241:
	s_or_b64 exec, exec, s[0:1]
	v_cmp_ne_u32_e32 vcc, v109, v101
	s_and_saveexec_b64 s[0:1], vcc
	s_xor_b64 s[0:1], exec, s[0:1]
	s_cbranch_execz .LBB72_247
; %bb.242:
	v_cmp_eq_u32_e32 vcc, 11, v109
	s_and_saveexec_b64 s[18:19], vcc
	s_cbranch_execz .LBB72_246
; %bb.243:
	v_cmp_ne_u32_e32 vcc, 11, v101
	s_xor_b64 s[20:21], s[6:7], -1
	s_and_b64 s[22:23], s[20:21], vcc
	s_and_saveexec_b64 s[20:21], s[22:23]
	s_cbranch_execz .LBB72_245
; %bb.244:
	buffer_load_dword v109, off, s[24:27], 0 offset:160 ; 4-byte Folded Reload
	buffer_load_dword v110, off, s[24:27], 0 offset:164 ; 4-byte Folded Reload
	v_ashrrev_i32_e32 v102, 31, v101
	v_lshlrev_b64 v[97:98], 2, v[101:102]
	s_waitcnt vmcnt(1)
	v_add_co_u32_e32 v97, vcc, v109, v97
	s_waitcnt vmcnt(0)
	v_addc_co_u32_e32 v98, vcc, v110, v98, vcc
	global_load_dword v0, v[97:98], off
	global_load_dword v99, v[109:110], off offset:44
	s_waitcnt vmcnt(1)
	global_store_dword v[109:110], v0, off offset:44
	s_waitcnt vmcnt(1)
	global_store_dword v[97:98], v99, off
.LBB72_245:
	s_or_b64 exec, exec, s[20:21]
	v_mov_b32_e32 v109, v101
	v_mov_b32_e32 v0, v101
.LBB72_246:
	s_or_b64 exec, exec, s[18:19]
.LBB72_247:
	s_andn2_saveexec_b64 s[0:1], s[0:1]
	s_cbranch_execz .LBB72_249
; %bb.248:
	v_mov_b32_e32 v109, 11
	ds_write2_b64 v103, v[93:94], v[95:96] offset0:24 offset1:25
	ds_write2_b64 v103, v[89:90], v[91:92] offset0:26 offset1:27
	;; [unrolled: 1-line block ×25, first 2 shown]
.LBB72_249:
	s_or_b64 exec, exec, s[0:1]
	v_cmp_lt_i32_e32 vcc, 11, v109
	s_waitcnt vmcnt(0) lgkmcnt(0)
	s_barrier
	s_and_saveexec_b64 s[0:1], vcc
	s_cbranch_execz .LBB72_251
; %bb.250:
	buffer_load_dword v112, off, s[24:27], 0 ; 4-byte Folded Reload
	buffer_load_dword v113, off, s[24:27], 0 offset:4 ; 4-byte Folded Reload
	buffer_load_dword v114, off, s[24:27], 0 offset:8 ; 4-byte Folded Reload
	;; [unrolled: 1-line block ×3, first 2 shown]
	s_waitcnt vmcnt(0)
	v_mul_f64 v[97:98], v[123:124], v[114:115]
	v_fma_f64 v[125:126], v[121:122], v[112:113], -v[97:98]
	v_mul_f64 v[97:98], v[121:122], v[114:115]
	v_fma_f64 v[114:115], v[123:124], v[112:113], v[97:98]
	ds_read2_b64 v[97:100], v103 offset0:24 offset1:25
	v_mov_b32_e32 v112, v125
	v_mov_b32_e32 v113, v126
	s_waitcnt lgkmcnt(0)
	v_mul_f64 v[101:102], v[99:100], v[114:115]
	v_fma_f64 v[101:102], v[97:98], v[125:126], -v[101:102]
	v_mul_f64 v[97:98], v[97:98], v[114:115]
	v_add_f64 v[93:94], v[93:94], -v[101:102]
	v_fma_f64 v[97:98], v[99:100], v[125:126], v[97:98]
	v_add_f64 v[95:96], v[95:96], -v[97:98]
	ds_read2_b64 v[97:100], v103 offset0:26 offset1:27
	s_waitcnt lgkmcnt(0)
	v_mul_f64 v[101:102], v[99:100], v[114:115]
	v_fma_f64 v[101:102], v[97:98], v[125:126], -v[101:102]
	v_mul_f64 v[97:98], v[97:98], v[114:115]
	v_add_f64 v[89:90], v[89:90], -v[101:102]
	v_fma_f64 v[97:98], v[99:100], v[125:126], v[97:98]
	v_add_f64 v[91:92], v[91:92], -v[97:98]
	ds_read2_b64 v[97:100], v103 offset0:28 offset1:29
	;; [unrolled: 8-line block ×24, first 2 shown]
	s_waitcnt lgkmcnt(0)
	v_mul_f64 v[101:102], v[99:100], v[114:115]
	v_fma_f64 v[101:102], v[97:98], v[125:126], -v[101:102]
	v_mul_f64 v[97:98], v[97:98], v[114:115]
	buffer_store_dword v112, off, s[24:27], 0 ; 4-byte Folded Spill
	s_nop 0
	buffer_store_dword v113, off, s[24:27], 0 offset:4 ; 4-byte Folded Spill
	buffer_store_dword v114, off, s[24:27], 0 offset:8 ; 4-byte Folded Spill
	;; [unrolled: 1-line block ×3, first 2 shown]
	v_add_f64 v[105:106], v[105:106], -v[101:102]
	v_fma_f64 v[97:98], v[99:100], v[125:126], v[97:98]
	v_add_f64 v[107:108], v[107:108], -v[97:98]
.LBB72_251:
	s_or_b64 exec, exec, s[0:1]
	v_lshl_add_u32 v97, v109, 4, v103
	s_waitcnt vmcnt(0)
	s_barrier
	ds_write2_b64 v97, v[93:94], v[95:96] offset1:1
	s_waitcnt lgkmcnt(0)
	s_barrier
	ds_read2_b64 v[121:124], v103 offset0:24 offset1:25
	s_cmp_lt_i32 s3, 14
	v_mov_b32_e32 v101, 12
	s_cbranch_scc1 .LBB72_254
; %bb.252:
	v_add_u32_e32 v97, 0xd0, v103
	s_mov_b32 s0, 13
	v_mov_b32_e32 v101, 12
.LBB72_253:                             ; =>This Inner Loop Header: Depth=1
	s_waitcnt lgkmcnt(0)
	v_cmp_gt_f64_e32 vcc, 0, v[121:122]
	v_xor_b32_e32 v98, 0x80000000, v122
	ds_read2_b64 v[112:115], v97 offset1:1
	v_xor_b32_e32 v100, 0x80000000, v124
	v_mov_b32_e32 v116, v123
	v_add_u32_e32 v97, 16, v97
	s_waitcnt lgkmcnt(0)
	v_mov_b32_e32 v118, v114
	v_cndmask_b32_e32 v99, v122, v98, vcc
	v_cmp_gt_f64_e32 vcc, 0, v[123:124]
	v_mov_b32_e32 v98, v121
	v_cndmask_b32_e32 v117, v124, v100, vcc
	v_cmp_gt_f64_e32 vcc, 0, v[112:113]
	v_xor_b32_e32 v100, 0x80000000, v113
	v_add_f64 v[98:99], v[98:99], v[116:117]
	v_mov_b32_e32 v116, v112
	v_cndmask_b32_e32 v117, v113, v100, vcc
	v_cmp_gt_f64_e32 vcc, 0, v[114:115]
	v_xor_b32_e32 v100, 0x80000000, v115
	v_cndmask_b32_e32 v119, v115, v100, vcc
	v_add_f64 v[116:117], v[116:117], v[118:119]
	v_cmp_lt_f64_e32 vcc, v[98:99], v[116:117]
	v_mov_b32_e32 v98, s0
	s_add_i32 s0, s0, 1
	s_cmp_lg_u32 s3, s0
	v_cndmask_b32_e32 v122, v122, v113, vcc
	v_cndmask_b32_e32 v121, v121, v112, vcc
	;; [unrolled: 1-line block ×5, first 2 shown]
	s_cbranch_scc1 .LBB72_253
.LBB72_254:
	s_waitcnt lgkmcnt(0)
	v_cmp_eq_f64_e32 vcc, 0, v[121:122]
	v_cmp_eq_f64_e64 s[0:1], 0, v[123:124]
	s_and_b64 s[0:1], vcc, s[0:1]
	s_and_saveexec_b64 s[18:19], s[0:1]
	s_xor_b64 s[0:1], exec, s[18:19]
; %bb.255:
	v_cmp_ne_u32_e32 vcc, 0, v111
	v_cndmask_b32_e32 v111, 13, v111, vcc
; %bb.256:
	s_andn2_saveexec_b64 s[0:1], s[0:1]
	s_cbranch_execz .LBB72_262
; %bb.257:
	v_cmp_ngt_f64_e64 s[18:19], |v[121:122]|, |v[123:124]|
	s_and_saveexec_b64 s[20:21], s[18:19]
	s_xor_b64 s[18:19], exec, s[20:21]
	s_cbranch_execz .LBB72_259
; %bb.258:
	v_div_scale_f64 v[97:98], s[20:21], v[123:124], v[123:124], v[121:122]
	v_rcp_f64_e32 v[99:100], v[97:98]
	v_fma_f64 v[112:113], -v[97:98], v[99:100], 1.0
	v_fma_f64 v[99:100], v[99:100], v[112:113], v[99:100]
	v_div_scale_f64 v[112:113], vcc, v[121:122], v[123:124], v[121:122]
	v_fma_f64 v[114:115], -v[97:98], v[99:100], 1.0
	v_fma_f64 v[99:100], v[99:100], v[114:115], v[99:100]
	v_mul_f64 v[114:115], v[112:113], v[99:100]
	v_fma_f64 v[97:98], -v[97:98], v[114:115], v[112:113]
	v_div_fmas_f64 v[97:98], v[97:98], v[99:100], v[114:115]
	v_div_fixup_f64 v[97:98], v[97:98], v[123:124], v[121:122]
	v_fma_f64 v[99:100], v[121:122], v[97:98], v[123:124]
	v_div_scale_f64 v[112:113], s[20:21], v[99:100], v[99:100], 1.0
	v_div_scale_f64 v[118:119], vcc, 1.0, v[99:100], 1.0
	v_rcp_f64_e32 v[114:115], v[112:113]
	v_fma_f64 v[116:117], -v[112:113], v[114:115], 1.0
	v_fma_f64 v[114:115], v[114:115], v[116:117], v[114:115]
	v_fma_f64 v[116:117], -v[112:113], v[114:115], 1.0
	v_fma_f64 v[114:115], v[114:115], v[116:117], v[114:115]
	v_mul_f64 v[116:117], v[118:119], v[114:115]
	v_fma_f64 v[112:113], -v[112:113], v[116:117], v[118:119]
	v_div_fmas_f64 v[112:113], v[112:113], v[114:115], v[116:117]
	v_div_fixup_f64 v[123:124], v[112:113], v[99:100], 1.0
	v_mul_f64 v[121:122], v[97:98], v[123:124]
	v_xor_b32_e32 v124, 0x80000000, v124
.LBB72_259:
	s_andn2_saveexec_b64 s[18:19], s[18:19]
	s_cbranch_execz .LBB72_261
; %bb.260:
	v_div_scale_f64 v[97:98], s[20:21], v[121:122], v[121:122], v[123:124]
	v_rcp_f64_e32 v[99:100], v[97:98]
	v_fma_f64 v[112:113], -v[97:98], v[99:100], 1.0
	v_fma_f64 v[99:100], v[99:100], v[112:113], v[99:100]
	v_div_scale_f64 v[112:113], vcc, v[123:124], v[121:122], v[123:124]
	v_fma_f64 v[114:115], -v[97:98], v[99:100], 1.0
	v_fma_f64 v[99:100], v[99:100], v[114:115], v[99:100]
	v_mul_f64 v[114:115], v[112:113], v[99:100]
	v_fma_f64 v[97:98], -v[97:98], v[114:115], v[112:113]
	v_div_fmas_f64 v[97:98], v[97:98], v[99:100], v[114:115]
	v_div_fixup_f64 v[97:98], v[97:98], v[121:122], v[123:124]
	v_fma_f64 v[99:100], v[123:124], v[97:98], v[121:122]
	v_div_scale_f64 v[112:113], s[20:21], v[99:100], v[99:100], 1.0
	v_div_scale_f64 v[118:119], vcc, 1.0, v[99:100], 1.0
	v_rcp_f64_e32 v[114:115], v[112:113]
	v_fma_f64 v[116:117], -v[112:113], v[114:115], 1.0
	v_fma_f64 v[114:115], v[114:115], v[116:117], v[114:115]
	v_fma_f64 v[116:117], -v[112:113], v[114:115], 1.0
	v_fma_f64 v[114:115], v[114:115], v[116:117], v[114:115]
	v_mul_f64 v[116:117], v[118:119], v[114:115]
	v_fma_f64 v[112:113], -v[112:113], v[116:117], v[118:119]
	v_div_fmas_f64 v[112:113], v[112:113], v[114:115], v[116:117]
	v_div_fixup_f64 v[121:122], v[112:113], v[99:100], 1.0
	v_mul_f64 v[123:124], v[97:98], -v[121:122]
.LBB72_261:
	s_or_b64 exec, exec, s[18:19]
.LBB72_262:
	s_or_b64 exec, exec, s[0:1]
	v_cmp_ne_u32_e32 vcc, v109, v101
	s_and_saveexec_b64 s[0:1], vcc
	s_xor_b64 s[0:1], exec, s[0:1]
	s_cbranch_execz .LBB72_268
; %bb.263:
	v_cmp_eq_u32_e32 vcc, 12, v109
	s_and_saveexec_b64 s[18:19], vcc
	s_cbranch_execz .LBB72_267
; %bb.264:
	v_cmp_ne_u32_e32 vcc, 12, v101
	s_xor_b64 s[20:21], s[6:7], -1
	s_and_b64 s[22:23], s[20:21], vcc
	s_and_saveexec_b64 s[20:21], s[22:23]
	s_cbranch_execz .LBB72_266
; %bb.265:
	buffer_load_dword v109, off, s[24:27], 0 offset:160 ; 4-byte Folded Reload
	buffer_load_dword v110, off, s[24:27], 0 offset:164 ; 4-byte Folded Reload
	v_ashrrev_i32_e32 v102, 31, v101
	v_lshlrev_b64 v[97:98], 2, v[101:102]
	s_waitcnt vmcnt(1)
	v_add_co_u32_e32 v97, vcc, v109, v97
	s_waitcnt vmcnt(0)
	v_addc_co_u32_e32 v98, vcc, v110, v98, vcc
	global_load_dword v0, v[97:98], off
	global_load_dword v99, v[109:110], off offset:48
	s_waitcnt vmcnt(1)
	global_store_dword v[109:110], v0, off offset:48
	s_waitcnt vmcnt(1)
	global_store_dword v[97:98], v99, off
.LBB72_266:
	s_or_b64 exec, exec, s[20:21]
	v_mov_b32_e32 v109, v101
	v_mov_b32_e32 v0, v101
.LBB72_267:
	s_or_b64 exec, exec, s[18:19]
.LBB72_268:
	s_andn2_saveexec_b64 s[0:1], s[0:1]
	s_cbranch_execz .LBB72_270
; %bb.269:
	v_mov_b32_e32 v109, 12
	ds_write2_b64 v103, v[89:90], v[91:92] offset0:26 offset1:27
	ds_write2_b64 v103, v[85:86], v[87:88] offset0:28 offset1:29
	;; [unrolled: 1-line block ×24, first 2 shown]
.LBB72_270:
	s_or_b64 exec, exec, s[0:1]
	v_cmp_lt_i32_e32 vcc, 12, v109
	s_waitcnt vmcnt(0) lgkmcnt(0)
	s_barrier
	s_and_saveexec_b64 s[0:1], vcc
	s_cbranch_execz .LBB72_272
; %bb.271:
	v_mul_f64 v[97:98], v[123:124], v[95:96]
	v_mul_f64 v[95:96], v[121:122], v[95:96]
	v_fma_f64 v[125:126], v[121:122], v[93:94], -v[97:98]
	v_fma_f64 v[95:96], v[123:124], v[93:94], v[95:96]
	ds_read2_b64 v[97:100], v103 offset0:26 offset1:27
	s_waitcnt lgkmcnt(0)
	v_mul_f64 v[93:94], v[99:100], v[95:96]
	v_fma_f64 v[93:94], v[97:98], v[125:126], -v[93:94]
	v_mul_f64 v[97:98], v[97:98], v[95:96]
	v_add_f64 v[89:90], v[89:90], -v[93:94]
	v_fma_f64 v[97:98], v[99:100], v[125:126], v[97:98]
	v_add_f64 v[91:92], v[91:92], -v[97:98]
	ds_read2_b64 v[97:100], v103 offset0:28 offset1:29
	s_waitcnt lgkmcnt(0)
	v_mul_f64 v[93:94], v[99:100], v[95:96]
	v_fma_f64 v[93:94], v[97:98], v[125:126], -v[93:94]
	v_mul_f64 v[97:98], v[97:98], v[95:96]
	v_add_f64 v[85:86], v[85:86], -v[93:94]
	v_fma_f64 v[97:98], v[99:100], v[125:126], v[97:98]
	v_add_f64 v[87:88], v[87:88], -v[97:98]
	;; [unrolled: 8-line block ×23, first 2 shown]
	ds_read2_b64 v[97:100], v103 offset0:72 offset1:73
	s_waitcnt lgkmcnt(0)
	v_mul_f64 v[93:94], v[99:100], v[95:96]
	v_fma_f64 v[93:94], v[97:98], v[125:126], -v[93:94]
	v_mul_f64 v[97:98], v[97:98], v[95:96]
	v_add_f64 v[105:106], v[105:106], -v[93:94]
	v_fma_f64 v[97:98], v[99:100], v[125:126], v[97:98]
	v_mov_b32_e32 v93, v125
	v_mov_b32_e32 v94, v126
	v_add_f64 v[107:108], v[107:108], -v[97:98]
.LBB72_272:
	s_or_b64 exec, exec, s[0:1]
	v_lshl_add_u32 v97, v109, 4, v103
	s_barrier
	ds_write2_b64 v97, v[89:90], v[91:92] offset1:1
	s_waitcnt lgkmcnt(0)
	s_barrier
	ds_read2_b64 v[121:124], v103 offset0:26 offset1:27
	s_cmp_lt_i32 s3, 15
	v_mov_b32_e32 v101, 13
	s_cbranch_scc1 .LBB72_275
; %bb.273:
	v_add_u32_e32 v97, 0xe0, v103
	s_mov_b32 s0, 14
	v_mov_b32_e32 v101, 13
.LBB72_274:                             ; =>This Inner Loop Header: Depth=1
	s_waitcnt lgkmcnt(0)
	v_cmp_gt_f64_e32 vcc, 0, v[121:122]
	v_xor_b32_e32 v98, 0x80000000, v122
	ds_read2_b64 v[112:115], v97 offset1:1
	v_xor_b32_e32 v100, 0x80000000, v124
	v_mov_b32_e32 v116, v123
	v_add_u32_e32 v97, 16, v97
	s_waitcnt lgkmcnt(0)
	v_mov_b32_e32 v118, v114
	v_cndmask_b32_e32 v99, v122, v98, vcc
	v_cmp_gt_f64_e32 vcc, 0, v[123:124]
	v_mov_b32_e32 v98, v121
	v_cndmask_b32_e32 v117, v124, v100, vcc
	v_cmp_gt_f64_e32 vcc, 0, v[112:113]
	v_xor_b32_e32 v100, 0x80000000, v113
	v_add_f64 v[98:99], v[98:99], v[116:117]
	v_mov_b32_e32 v116, v112
	v_cndmask_b32_e32 v117, v113, v100, vcc
	v_cmp_gt_f64_e32 vcc, 0, v[114:115]
	v_xor_b32_e32 v100, 0x80000000, v115
	v_cndmask_b32_e32 v119, v115, v100, vcc
	v_add_f64 v[116:117], v[116:117], v[118:119]
	v_cmp_lt_f64_e32 vcc, v[98:99], v[116:117]
	v_mov_b32_e32 v98, s0
	s_add_i32 s0, s0, 1
	s_cmp_lg_u32 s3, s0
	v_cndmask_b32_e32 v122, v122, v113, vcc
	v_cndmask_b32_e32 v121, v121, v112, vcc
	;; [unrolled: 1-line block ×5, first 2 shown]
	s_cbranch_scc1 .LBB72_274
.LBB72_275:
	s_waitcnt lgkmcnt(0)
	v_cmp_eq_f64_e32 vcc, 0, v[121:122]
	v_cmp_eq_f64_e64 s[0:1], 0, v[123:124]
	s_and_b64 s[0:1], vcc, s[0:1]
	s_and_saveexec_b64 s[18:19], s[0:1]
	s_xor_b64 s[0:1], exec, s[18:19]
; %bb.276:
	v_cmp_ne_u32_e32 vcc, 0, v111
	v_cndmask_b32_e32 v111, 14, v111, vcc
; %bb.277:
	s_andn2_saveexec_b64 s[0:1], s[0:1]
	s_cbranch_execz .LBB72_283
; %bb.278:
	v_cmp_ngt_f64_e64 s[18:19], |v[121:122]|, |v[123:124]|
	s_and_saveexec_b64 s[20:21], s[18:19]
	s_xor_b64 s[18:19], exec, s[20:21]
	s_cbranch_execz .LBB72_280
; %bb.279:
	v_div_scale_f64 v[97:98], s[20:21], v[123:124], v[123:124], v[121:122]
	v_rcp_f64_e32 v[99:100], v[97:98]
	v_fma_f64 v[112:113], -v[97:98], v[99:100], 1.0
	v_fma_f64 v[99:100], v[99:100], v[112:113], v[99:100]
	v_div_scale_f64 v[112:113], vcc, v[121:122], v[123:124], v[121:122]
	v_fma_f64 v[114:115], -v[97:98], v[99:100], 1.0
	v_fma_f64 v[99:100], v[99:100], v[114:115], v[99:100]
	v_mul_f64 v[114:115], v[112:113], v[99:100]
	v_fma_f64 v[97:98], -v[97:98], v[114:115], v[112:113]
	v_div_fmas_f64 v[97:98], v[97:98], v[99:100], v[114:115]
	v_div_fixup_f64 v[97:98], v[97:98], v[123:124], v[121:122]
	v_fma_f64 v[99:100], v[121:122], v[97:98], v[123:124]
	v_div_scale_f64 v[112:113], s[20:21], v[99:100], v[99:100], 1.0
	v_div_scale_f64 v[118:119], vcc, 1.0, v[99:100], 1.0
	v_rcp_f64_e32 v[114:115], v[112:113]
	v_fma_f64 v[116:117], -v[112:113], v[114:115], 1.0
	v_fma_f64 v[114:115], v[114:115], v[116:117], v[114:115]
	v_fma_f64 v[116:117], -v[112:113], v[114:115], 1.0
	v_fma_f64 v[114:115], v[114:115], v[116:117], v[114:115]
	v_mul_f64 v[116:117], v[118:119], v[114:115]
	v_fma_f64 v[112:113], -v[112:113], v[116:117], v[118:119]
	v_div_fmas_f64 v[112:113], v[112:113], v[114:115], v[116:117]
	v_div_fixup_f64 v[123:124], v[112:113], v[99:100], 1.0
	v_mul_f64 v[121:122], v[97:98], v[123:124]
	v_xor_b32_e32 v124, 0x80000000, v124
.LBB72_280:
	s_andn2_saveexec_b64 s[18:19], s[18:19]
	s_cbranch_execz .LBB72_282
; %bb.281:
	v_div_scale_f64 v[97:98], s[20:21], v[121:122], v[121:122], v[123:124]
	v_rcp_f64_e32 v[99:100], v[97:98]
	v_fma_f64 v[112:113], -v[97:98], v[99:100], 1.0
	v_fma_f64 v[99:100], v[99:100], v[112:113], v[99:100]
	v_div_scale_f64 v[112:113], vcc, v[123:124], v[121:122], v[123:124]
	v_fma_f64 v[114:115], -v[97:98], v[99:100], 1.0
	v_fma_f64 v[99:100], v[99:100], v[114:115], v[99:100]
	v_mul_f64 v[114:115], v[112:113], v[99:100]
	v_fma_f64 v[97:98], -v[97:98], v[114:115], v[112:113]
	v_div_fmas_f64 v[97:98], v[97:98], v[99:100], v[114:115]
	v_div_fixup_f64 v[97:98], v[97:98], v[121:122], v[123:124]
	v_fma_f64 v[99:100], v[123:124], v[97:98], v[121:122]
	v_div_scale_f64 v[112:113], s[20:21], v[99:100], v[99:100], 1.0
	v_div_scale_f64 v[118:119], vcc, 1.0, v[99:100], 1.0
	v_rcp_f64_e32 v[114:115], v[112:113]
	v_fma_f64 v[116:117], -v[112:113], v[114:115], 1.0
	v_fma_f64 v[114:115], v[114:115], v[116:117], v[114:115]
	v_fma_f64 v[116:117], -v[112:113], v[114:115], 1.0
	v_fma_f64 v[114:115], v[114:115], v[116:117], v[114:115]
	v_mul_f64 v[116:117], v[118:119], v[114:115]
	v_fma_f64 v[112:113], -v[112:113], v[116:117], v[118:119]
	v_div_fmas_f64 v[112:113], v[112:113], v[114:115], v[116:117]
	v_div_fixup_f64 v[121:122], v[112:113], v[99:100], 1.0
	v_mul_f64 v[123:124], v[97:98], -v[121:122]
.LBB72_282:
	s_or_b64 exec, exec, s[18:19]
.LBB72_283:
	s_or_b64 exec, exec, s[0:1]
	v_cmp_ne_u32_e32 vcc, v109, v101
	s_and_saveexec_b64 s[0:1], vcc
	s_xor_b64 s[0:1], exec, s[0:1]
	s_cbranch_execz .LBB72_289
; %bb.284:
	v_cmp_eq_u32_e32 vcc, 13, v109
	s_and_saveexec_b64 s[18:19], vcc
	s_cbranch_execz .LBB72_288
; %bb.285:
	v_cmp_ne_u32_e32 vcc, 13, v101
	s_xor_b64 s[20:21], s[6:7], -1
	s_and_b64 s[22:23], s[20:21], vcc
	s_and_saveexec_b64 s[20:21], s[22:23]
	s_cbranch_execz .LBB72_287
; %bb.286:
	buffer_load_dword v109, off, s[24:27], 0 offset:160 ; 4-byte Folded Reload
	buffer_load_dword v110, off, s[24:27], 0 offset:164 ; 4-byte Folded Reload
	v_ashrrev_i32_e32 v102, 31, v101
	v_lshlrev_b64 v[97:98], 2, v[101:102]
	s_waitcnt vmcnt(1)
	v_add_co_u32_e32 v97, vcc, v109, v97
	s_waitcnt vmcnt(0)
	v_addc_co_u32_e32 v98, vcc, v110, v98, vcc
	global_load_dword v0, v[97:98], off
	global_load_dword v99, v[109:110], off offset:52
	s_waitcnt vmcnt(1)
	global_store_dword v[109:110], v0, off offset:52
	s_waitcnt vmcnt(1)
	global_store_dword v[97:98], v99, off
.LBB72_287:
	s_or_b64 exec, exec, s[20:21]
	v_mov_b32_e32 v109, v101
	v_mov_b32_e32 v0, v101
.LBB72_288:
	s_or_b64 exec, exec, s[18:19]
.LBB72_289:
	s_andn2_saveexec_b64 s[0:1], s[0:1]
	s_cbranch_execz .LBB72_291
; %bb.290:
	v_mov_b32_e32 v109, 13
	ds_write2_b64 v103, v[85:86], v[87:88] offset0:28 offset1:29
	ds_write2_b64 v103, v[81:82], v[83:84] offset0:30 offset1:31
	ds_write2_b64 v103, v[77:78], v[79:80] offset0:32 offset1:33
	ds_write2_b64 v103, v[73:74], v[75:76] offset0:34 offset1:35
	ds_write2_b64 v103, v[69:70], v[71:72] offset0:36 offset1:37
	ds_write2_b64 v103, v[65:66], v[67:68] offset0:38 offset1:39
	ds_write2_b64 v103, v[61:62], v[63:64] offset0:40 offset1:41
	ds_write2_b64 v103, v[57:58], v[59:60] offset0:42 offset1:43
	ds_write2_b64 v103, v[53:54], v[55:56] offset0:44 offset1:45
	ds_write2_b64 v103, v[49:50], v[51:52] offset0:46 offset1:47
	ds_write2_b64 v103, v[45:46], v[47:48] offset0:48 offset1:49
	ds_write2_b64 v103, v[41:42], v[43:44] offset0:50 offset1:51
	ds_write2_b64 v103, v[37:38], v[39:40] offset0:52 offset1:53
	ds_write2_b64 v103, v[33:34], v[35:36] offset0:54 offset1:55
	ds_write2_b64 v103, v[29:30], v[31:32] offset0:56 offset1:57
	ds_write2_b64 v103, v[25:26], v[27:28] offset0:58 offset1:59
	ds_write2_b64 v103, v[21:22], v[23:24] offset0:60 offset1:61
	ds_write2_b64 v103, v[17:18], v[19:20] offset0:62 offset1:63
	ds_write2_b64 v103, v[13:14], v[15:16] offset0:64 offset1:65
	ds_write2_b64 v103, v[9:10], v[11:12] offset0:66 offset1:67
	ds_write2_b64 v103, v[5:6], v[7:8] offset0:68 offset1:69
	ds_write2_b64 v103, v[1:2], v[3:4] offset0:70 offset1:71
	ds_write2_b64 v103, v[105:106], v[107:108] offset0:72 offset1:73
.LBB72_291:
	s_or_b64 exec, exec, s[0:1]
	v_cmp_lt_i32_e32 vcc, 13, v109
	s_waitcnt vmcnt(0) lgkmcnt(0)
	s_barrier
	s_and_saveexec_b64 s[0:1], vcc
	s_cbranch_execz .LBB72_293
; %bb.292:
	v_mul_f64 v[97:98], v[123:124], v[91:92]
	v_mul_f64 v[91:92], v[121:122], v[91:92]
	v_fma_f64 v[125:126], v[121:122], v[89:90], -v[97:98]
	v_fma_f64 v[91:92], v[123:124], v[89:90], v[91:92]
	ds_read2_b64 v[97:100], v103 offset0:28 offset1:29
	s_waitcnt lgkmcnt(0)
	v_mul_f64 v[89:90], v[99:100], v[91:92]
	v_fma_f64 v[89:90], v[97:98], v[125:126], -v[89:90]
	v_mul_f64 v[97:98], v[97:98], v[91:92]
	v_add_f64 v[85:86], v[85:86], -v[89:90]
	v_fma_f64 v[97:98], v[99:100], v[125:126], v[97:98]
	v_add_f64 v[87:88], v[87:88], -v[97:98]
	ds_read2_b64 v[97:100], v103 offset0:30 offset1:31
	s_waitcnt lgkmcnt(0)
	v_mul_f64 v[89:90], v[99:100], v[91:92]
	v_fma_f64 v[89:90], v[97:98], v[125:126], -v[89:90]
	v_mul_f64 v[97:98], v[97:98], v[91:92]
	v_add_f64 v[81:82], v[81:82], -v[89:90]
	v_fma_f64 v[97:98], v[99:100], v[125:126], v[97:98]
	v_add_f64 v[83:84], v[83:84], -v[97:98]
	;; [unrolled: 8-line block ×22, first 2 shown]
	ds_read2_b64 v[97:100], v103 offset0:72 offset1:73
	s_waitcnt lgkmcnt(0)
	v_mul_f64 v[89:90], v[99:100], v[91:92]
	v_fma_f64 v[89:90], v[97:98], v[125:126], -v[89:90]
	v_mul_f64 v[97:98], v[97:98], v[91:92]
	v_add_f64 v[105:106], v[105:106], -v[89:90]
	v_fma_f64 v[97:98], v[99:100], v[125:126], v[97:98]
	v_mov_b32_e32 v89, v125
	v_mov_b32_e32 v90, v126
	v_add_f64 v[107:108], v[107:108], -v[97:98]
.LBB72_293:
	s_or_b64 exec, exec, s[0:1]
	v_lshl_add_u32 v97, v109, 4, v103
	s_barrier
	ds_write2_b64 v97, v[85:86], v[87:88] offset1:1
	s_waitcnt lgkmcnt(0)
	s_barrier
	ds_read2_b64 v[121:124], v103 offset0:28 offset1:29
	s_cmp_lt_i32 s3, 16
	v_mov_b32_e32 v101, 14
	s_cbranch_scc1 .LBB72_296
; %bb.294:
	v_add_u32_e32 v97, 0xf0, v103
	s_mov_b32 s0, 15
	v_mov_b32_e32 v101, 14
.LBB72_295:                             ; =>This Inner Loop Header: Depth=1
	s_waitcnt lgkmcnt(0)
	v_cmp_gt_f64_e32 vcc, 0, v[121:122]
	v_xor_b32_e32 v98, 0x80000000, v122
	ds_read2_b64 v[112:115], v97 offset1:1
	v_xor_b32_e32 v100, 0x80000000, v124
	v_mov_b32_e32 v116, v123
	v_add_u32_e32 v97, 16, v97
	s_waitcnt lgkmcnt(0)
	v_mov_b32_e32 v118, v114
	v_cndmask_b32_e32 v99, v122, v98, vcc
	v_cmp_gt_f64_e32 vcc, 0, v[123:124]
	v_mov_b32_e32 v98, v121
	v_cndmask_b32_e32 v117, v124, v100, vcc
	v_cmp_gt_f64_e32 vcc, 0, v[112:113]
	v_xor_b32_e32 v100, 0x80000000, v113
	v_add_f64 v[98:99], v[98:99], v[116:117]
	v_mov_b32_e32 v116, v112
	v_cndmask_b32_e32 v117, v113, v100, vcc
	v_cmp_gt_f64_e32 vcc, 0, v[114:115]
	v_xor_b32_e32 v100, 0x80000000, v115
	v_cndmask_b32_e32 v119, v115, v100, vcc
	v_add_f64 v[116:117], v[116:117], v[118:119]
	v_cmp_lt_f64_e32 vcc, v[98:99], v[116:117]
	v_mov_b32_e32 v98, s0
	s_add_i32 s0, s0, 1
	s_cmp_lg_u32 s3, s0
	v_cndmask_b32_e32 v122, v122, v113, vcc
	v_cndmask_b32_e32 v121, v121, v112, vcc
	;; [unrolled: 1-line block ×5, first 2 shown]
	s_cbranch_scc1 .LBB72_295
.LBB72_296:
	s_waitcnt lgkmcnt(0)
	v_cmp_eq_f64_e32 vcc, 0, v[121:122]
	v_cmp_eq_f64_e64 s[0:1], 0, v[123:124]
	s_and_b64 s[0:1], vcc, s[0:1]
	s_and_saveexec_b64 s[18:19], s[0:1]
	s_xor_b64 s[0:1], exec, s[18:19]
; %bb.297:
	v_cmp_ne_u32_e32 vcc, 0, v111
	v_cndmask_b32_e32 v111, 15, v111, vcc
; %bb.298:
	s_andn2_saveexec_b64 s[0:1], s[0:1]
	s_cbranch_execz .LBB72_304
; %bb.299:
	v_cmp_ngt_f64_e64 s[18:19], |v[121:122]|, |v[123:124]|
	s_and_saveexec_b64 s[20:21], s[18:19]
	s_xor_b64 s[18:19], exec, s[20:21]
	s_cbranch_execz .LBB72_301
; %bb.300:
	v_div_scale_f64 v[97:98], s[20:21], v[123:124], v[123:124], v[121:122]
	v_rcp_f64_e32 v[99:100], v[97:98]
	v_fma_f64 v[112:113], -v[97:98], v[99:100], 1.0
	v_fma_f64 v[99:100], v[99:100], v[112:113], v[99:100]
	v_div_scale_f64 v[112:113], vcc, v[121:122], v[123:124], v[121:122]
	v_fma_f64 v[114:115], -v[97:98], v[99:100], 1.0
	v_fma_f64 v[99:100], v[99:100], v[114:115], v[99:100]
	v_mul_f64 v[114:115], v[112:113], v[99:100]
	v_fma_f64 v[97:98], -v[97:98], v[114:115], v[112:113]
	v_div_fmas_f64 v[97:98], v[97:98], v[99:100], v[114:115]
	v_div_fixup_f64 v[97:98], v[97:98], v[123:124], v[121:122]
	v_fma_f64 v[99:100], v[121:122], v[97:98], v[123:124]
	v_div_scale_f64 v[112:113], s[20:21], v[99:100], v[99:100], 1.0
	v_div_scale_f64 v[118:119], vcc, 1.0, v[99:100], 1.0
	v_rcp_f64_e32 v[114:115], v[112:113]
	v_fma_f64 v[116:117], -v[112:113], v[114:115], 1.0
	v_fma_f64 v[114:115], v[114:115], v[116:117], v[114:115]
	v_fma_f64 v[116:117], -v[112:113], v[114:115], 1.0
	v_fma_f64 v[114:115], v[114:115], v[116:117], v[114:115]
	v_mul_f64 v[116:117], v[118:119], v[114:115]
	v_fma_f64 v[112:113], -v[112:113], v[116:117], v[118:119]
	v_div_fmas_f64 v[112:113], v[112:113], v[114:115], v[116:117]
	v_div_fixup_f64 v[123:124], v[112:113], v[99:100], 1.0
	v_mul_f64 v[121:122], v[97:98], v[123:124]
	v_xor_b32_e32 v124, 0x80000000, v124
.LBB72_301:
	s_andn2_saveexec_b64 s[18:19], s[18:19]
	s_cbranch_execz .LBB72_303
; %bb.302:
	v_div_scale_f64 v[97:98], s[20:21], v[121:122], v[121:122], v[123:124]
	v_rcp_f64_e32 v[99:100], v[97:98]
	v_fma_f64 v[112:113], -v[97:98], v[99:100], 1.0
	v_fma_f64 v[99:100], v[99:100], v[112:113], v[99:100]
	v_div_scale_f64 v[112:113], vcc, v[123:124], v[121:122], v[123:124]
	v_fma_f64 v[114:115], -v[97:98], v[99:100], 1.0
	v_fma_f64 v[99:100], v[99:100], v[114:115], v[99:100]
	v_mul_f64 v[114:115], v[112:113], v[99:100]
	v_fma_f64 v[97:98], -v[97:98], v[114:115], v[112:113]
	v_div_fmas_f64 v[97:98], v[97:98], v[99:100], v[114:115]
	v_div_fixup_f64 v[97:98], v[97:98], v[121:122], v[123:124]
	v_fma_f64 v[99:100], v[123:124], v[97:98], v[121:122]
	v_div_scale_f64 v[112:113], s[20:21], v[99:100], v[99:100], 1.0
	v_div_scale_f64 v[118:119], vcc, 1.0, v[99:100], 1.0
	v_rcp_f64_e32 v[114:115], v[112:113]
	v_fma_f64 v[116:117], -v[112:113], v[114:115], 1.0
	v_fma_f64 v[114:115], v[114:115], v[116:117], v[114:115]
	v_fma_f64 v[116:117], -v[112:113], v[114:115], 1.0
	v_fma_f64 v[114:115], v[114:115], v[116:117], v[114:115]
	v_mul_f64 v[116:117], v[118:119], v[114:115]
	v_fma_f64 v[112:113], -v[112:113], v[116:117], v[118:119]
	v_div_fmas_f64 v[112:113], v[112:113], v[114:115], v[116:117]
	v_div_fixup_f64 v[121:122], v[112:113], v[99:100], 1.0
	v_mul_f64 v[123:124], v[97:98], -v[121:122]
.LBB72_303:
	s_or_b64 exec, exec, s[18:19]
.LBB72_304:
	s_or_b64 exec, exec, s[0:1]
	v_cmp_ne_u32_e32 vcc, v109, v101
	s_and_saveexec_b64 s[0:1], vcc
	s_xor_b64 s[0:1], exec, s[0:1]
	s_cbranch_execz .LBB72_310
; %bb.305:
	v_cmp_eq_u32_e32 vcc, 14, v109
	s_and_saveexec_b64 s[18:19], vcc
	s_cbranch_execz .LBB72_309
; %bb.306:
	v_cmp_ne_u32_e32 vcc, 14, v101
	s_xor_b64 s[20:21], s[6:7], -1
	s_and_b64 s[22:23], s[20:21], vcc
	s_and_saveexec_b64 s[20:21], s[22:23]
	s_cbranch_execz .LBB72_308
; %bb.307:
	buffer_load_dword v109, off, s[24:27], 0 offset:160 ; 4-byte Folded Reload
	buffer_load_dword v110, off, s[24:27], 0 offset:164 ; 4-byte Folded Reload
	v_ashrrev_i32_e32 v102, 31, v101
	v_lshlrev_b64 v[97:98], 2, v[101:102]
	s_waitcnt vmcnt(1)
	v_add_co_u32_e32 v97, vcc, v109, v97
	s_waitcnt vmcnt(0)
	v_addc_co_u32_e32 v98, vcc, v110, v98, vcc
	global_load_dword v0, v[97:98], off
	global_load_dword v99, v[109:110], off offset:56
	s_waitcnt vmcnt(1)
	global_store_dword v[109:110], v0, off offset:56
	s_waitcnt vmcnt(1)
	global_store_dword v[97:98], v99, off
.LBB72_308:
	s_or_b64 exec, exec, s[20:21]
	v_mov_b32_e32 v109, v101
	v_mov_b32_e32 v0, v101
.LBB72_309:
	s_or_b64 exec, exec, s[18:19]
.LBB72_310:
	s_andn2_saveexec_b64 s[0:1], s[0:1]
	s_cbranch_execz .LBB72_312
; %bb.311:
	v_mov_b32_e32 v109, 14
	ds_write2_b64 v103, v[81:82], v[83:84] offset0:30 offset1:31
	ds_write2_b64 v103, v[77:78], v[79:80] offset0:32 offset1:33
	;; [unrolled: 1-line block ×22, first 2 shown]
.LBB72_312:
	s_or_b64 exec, exec, s[0:1]
	v_cmp_lt_i32_e32 vcc, 14, v109
	s_waitcnt vmcnt(0) lgkmcnt(0)
	s_barrier
	s_and_saveexec_b64 s[0:1], vcc
	s_cbranch_execz .LBB72_314
; %bb.313:
	v_mul_f64 v[97:98], v[123:124], v[87:88]
	v_mul_f64 v[87:88], v[121:122], v[87:88]
	v_fma_f64 v[125:126], v[121:122], v[85:86], -v[97:98]
	v_fma_f64 v[87:88], v[123:124], v[85:86], v[87:88]
	ds_read2_b64 v[97:100], v103 offset0:30 offset1:31
	s_waitcnt lgkmcnt(0)
	v_mul_f64 v[85:86], v[99:100], v[87:88]
	v_fma_f64 v[85:86], v[97:98], v[125:126], -v[85:86]
	v_mul_f64 v[97:98], v[97:98], v[87:88]
	v_add_f64 v[81:82], v[81:82], -v[85:86]
	v_fma_f64 v[97:98], v[99:100], v[125:126], v[97:98]
	v_add_f64 v[83:84], v[83:84], -v[97:98]
	ds_read2_b64 v[97:100], v103 offset0:32 offset1:33
	s_waitcnt lgkmcnt(0)
	v_mul_f64 v[85:86], v[99:100], v[87:88]
	v_fma_f64 v[85:86], v[97:98], v[125:126], -v[85:86]
	v_mul_f64 v[97:98], v[97:98], v[87:88]
	v_add_f64 v[77:78], v[77:78], -v[85:86]
	v_fma_f64 v[97:98], v[99:100], v[125:126], v[97:98]
	v_add_f64 v[79:80], v[79:80], -v[97:98]
	;; [unrolled: 8-line block ×21, first 2 shown]
	ds_read2_b64 v[97:100], v103 offset0:72 offset1:73
	s_waitcnt lgkmcnt(0)
	v_mul_f64 v[85:86], v[99:100], v[87:88]
	v_fma_f64 v[85:86], v[97:98], v[125:126], -v[85:86]
	v_mul_f64 v[97:98], v[97:98], v[87:88]
	v_add_f64 v[105:106], v[105:106], -v[85:86]
	v_fma_f64 v[97:98], v[99:100], v[125:126], v[97:98]
	v_mov_b32_e32 v85, v125
	v_mov_b32_e32 v86, v126
	v_add_f64 v[107:108], v[107:108], -v[97:98]
.LBB72_314:
	s_or_b64 exec, exec, s[0:1]
	v_lshl_add_u32 v97, v109, 4, v103
	s_barrier
	ds_write2_b64 v97, v[81:82], v[83:84] offset1:1
	s_waitcnt lgkmcnt(0)
	s_barrier
	ds_read2_b64 v[121:124], v103 offset0:30 offset1:31
	s_cmp_lt_i32 s3, 17
	v_mov_b32_e32 v101, 15
	s_cbranch_scc1 .LBB72_317
; %bb.315:
	v_add_u32_e32 v97, 0x100, v103
	s_mov_b32 s0, 16
	v_mov_b32_e32 v101, 15
.LBB72_316:                             ; =>This Inner Loop Header: Depth=1
	s_waitcnt lgkmcnt(0)
	v_cmp_gt_f64_e32 vcc, 0, v[121:122]
	v_xor_b32_e32 v98, 0x80000000, v122
	ds_read2_b64 v[112:115], v97 offset1:1
	v_xor_b32_e32 v100, 0x80000000, v124
	v_mov_b32_e32 v116, v123
	v_add_u32_e32 v97, 16, v97
	s_waitcnt lgkmcnt(0)
	v_mov_b32_e32 v118, v114
	v_cndmask_b32_e32 v99, v122, v98, vcc
	v_cmp_gt_f64_e32 vcc, 0, v[123:124]
	v_mov_b32_e32 v98, v121
	v_cndmask_b32_e32 v117, v124, v100, vcc
	v_cmp_gt_f64_e32 vcc, 0, v[112:113]
	v_xor_b32_e32 v100, 0x80000000, v113
	v_add_f64 v[98:99], v[98:99], v[116:117]
	v_mov_b32_e32 v116, v112
	v_cndmask_b32_e32 v117, v113, v100, vcc
	v_cmp_gt_f64_e32 vcc, 0, v[114:115]
	v_xor_b32_e32 v100, 0x80000000, v115
	v_cndmask_b32_e32 v119, v115, v100, vcc
	v_add_f64 v[116:117], v[116:117], v[118:119]
	v_cmp_lt_f64_e32 vcc, v[98:99], v[116:117]
	v_mov_b32_e32 v98, s0
	s_add_i32 s0, s0, 1
	s_cmp_lg_u32 s3, s0
	v_cndmask_b32_e32 v122, v122, v113, vcc
	v_cndmask_b32_e32 v121, v121, v112, vcc
	;; [unrolled: 1-line block ×5, first 2 shown]
	s_cbranch_scc1 .LBB72_316
.LBB72_317:
	s_waitcnt lgkmcnt(0)
	v_cmp_eq_f64_e32 vcc, 0, v[121:122]
	v_cmp_eq_f64_e64 s[0:1], 0, v[123:124]
	s_and_b64 s[0:1], vcc, s[0:1]
	s_and_saveexec_b64 s[18:19], s[0:1]
	s_xor_b64 s[0:1], exec, s[18:19]
; %bb.318:
	v_cmp_ne_u32_e32 vcc, 0, v111
	v_cndmask_b32_e32 v111, 16, v111, vcc
; %bb.319:
	s_andn2_saveexec_b64 s[0:1], s[0:1]
	s_cbranch_execz .LBB72_325
; %bb.320:
	v_cmp_ngt_f64_e64 s[18:19], |v[121:122]|, |v[123:124]|
	s_and_saveexec_b64 s[20:21], s[18:19]
	s_xor_b64 s[18:19], exec, s[20:21]
	s_cbranch_execz .LBB72_322
; %bb.321:
	v_div_scale_f64 v[97:98], s[20:21], v[123:124], v[123:124], v[121:122]
	v_rcp_f64_e32 v[99:100], v[97:98]
	v_fma_f64 v[112:113], -v[97:98], v[99:100], 1.0
	v_fma_f64 v[99:100], v[99:100], v[112:113], v[99:100]
	v_div_scale_f64 v[112:113], vcc, v[121:122], v[123:124], v[121:122]
	v_fma_f64 v[114:115], -v[97:98], v[99:100], 1.0
	v_fma_f64 v[99:100], v[99:100], v[114:115], v[99:100]
	v_mul_f64 v[114:115], v[112:113], v[99:100]
	v_fma_f64 v[97:98], -v[97:98], v[114:115], v[112:113]
	v_div_fmas_f64 v[97:98], v[97:98], v[99:100], v[114:115]
	v_div_fixup_f64 v[97:98], v[97:98], v[123:124], v[121:122]
	v_fma_f64 v[99:100], v[121:122], v[97:98], v[123:124]
	v_div_scale_f64 v[112:113], s[20:21], v[99:100], v[99:100], 1.0
	v_div_scale_f64 v[118:119], vcc, 1.0, v[99:100], 1.0
	v_rcp_f64_e32 v[114:115], v[112:113]
	v_fma_f64 v[116:117], -v[112:113], v[114:115], 1.0
	v_fma_f64 v[114:115], v[114:115], v[116:117], v[114:115]
	v_fma_f64 v[116:117], -v[112:113], v[114:115], 1.0
	v_fma_f64 v[114:115], v[114:115], v[116:117], v[114:115]
	v_mul_f64 v[116:117], v[118:119], v[114:115]
	v_fma_f64 v[112:113], -v[112:113], v[116:117], v[118:119]
	v_div_fmas_f64 v[112:113], v[112:113], v[114:115], v[116:117]
	v_div_fixup_f64 v[123:124], v[112:113], v[99:100], 1.0
	v_mul_f64 v[121:122], v[97:98], v[123:124]
	v_xor_b32_e32 v124, 0x80000000, v124
.LBB72_322:
	s_andn2_saveexec_b64 s[18:19], s[18:19]
	s_cbranch_execz .LBB72_324
; %bb.323:
	v_div_scale_f64 v[97:98], s[20:21], v[121:122], v[121:122], v[123:124]
	v_rcp_f64_e32 v[99:100], v[97:98]
	v_fma_f64 v[112:113], -v[97:98], v[99:100], 1.0
	v_fma_f64 v[99:100], v[99:100], v[112:113], v[99:100]
	v_div_scale_f64 v[112:113], vcc, v[123:124], v[121:122], v[123:124]
	v_fma_f64 v[114:115], -v[97:98], v[99:100], 1.0
	v_fma_f64 v[99:100], v[99:100], v[114:115], v[99:100]
	v_mul_f64 v[114:115], v[112:113], v[99:100]
	v_fma_f64 v[97:98], -v[97:98], v[114:115], v[112:113]
	v_div_fmas_f64 v[97:98], v[97:98], v[99:100], v[114:115]
	v_div_fixup_f64 v[97:98], v[97:98], v[121:122], v[123:124]
	v_fma_f64 v[99:100], v[123:124], v[97:98], v[121:122]
	v_div_scale_f64 v[112:113], s[20:21], v[99:100], v[99:100], 1.0
	v_div_scale_f64 v[118:119], vcc, 1.0, v[99:100], 1.0
	v_rcp_f64_e32 v[114:115], v[112:113]
	v_fma_f64 v[116:117], -v[112:113], v[114:115], 1.0
	v_fma_f64 v[114:115], v[114:115], v[116:117], v[114:115]
	v_fma_f64 v[116:117], -v[112:113], v[114:115], 1.0
	v_fma_f64 v[114:115], v[114:115], v[116:117], v[114:115]
	v_mul_f64 v[116:117], v[118:119], v[114:115]
	v_fma_f64 v[112:113], -v[112:113], v[116:117], v[118:119]
	v_div_fmas_f64 v[112:113], v[112:113], v[114:115], v[116:117]
	v_div_fixup_f64 v[121:122], v[112:113], v[99:100], 1.0
	v_mul_f64 v[123:124], v[97:98], -v[121:122]
.LBB72_324:
	s_or_b64 exec, exec, s[18:19]
.LBB72_325:
	s_or_b64 exec, exec, s[0:1]
	v_cmp_ne_u32_e32 vcc, v109, v101
	s_and_saveexec_b64 s[0:1], vcc
	s_xor_b64 s[0:1], exec, s[0:1]
	s_cbranch_execz .LBB72_331
; %bb.326:
	v_cmp_eq_u32_e32 vcc, 15, v109
	s_and_saveexec_b64 s[18:19], vcc
	s_cbranch_execz .LBB72_330
; %bb.327:
	v_cmp_ne_u32_e32 vcc, 15, v101
	s_xor_b64 s[20:21], s[6:7], -1
	s_and_b64 s[22:23], s[20:21], vcc
	s_and_saveexec_b64 s[20:21], s[22:23]
	s_cbranch_execz .LBB72_329
; %bb.328:
	buffer_load_dword v109, off, s[24:27], 0 offset:160 ; 4-byte Folded Reload
	buffer_load_dword v110, off, s[24:27], 0 offset:164 ; 4-byte Folded Reload
	v_ashrrev_i32_e32 v102, 31, v101
	v_lshlrev_b64 v[97:98], 2, v[101:102]
	s_waitcnt vmcnt(1)
	v_add_co_u32_e32 v97, vcc, v109, v97
	s_waitcnt vmcnt(0)
	v_addc_co_u32_e32 v98, vcc, v110, v98, vcc
	global_load_dword v0, v[97:98], off
	global_load_dword v99, v[109:110], off offset:60
	s_waitcnt vmcnt(1)
	global_store_dword v[109:110], v0, off offset:60
	s_waitcnt vmcnt(1)
	global_store_dword v[97:98], v99, off
.LBB72_329:
	s_or_b64 exec, exec, s[20:21]
	v_mov_b32_e32 v109, v101
	v_mov_b32_e32 v0, v101
.LBB72_330:
	s_or_b64 exec, exec, s[18:19]
.LBB72_331:
	s_andn2_saveexec_b64 s[0:1], s[0:1]
	s_cbranch_execz .LBB72_333
; %bb.332:
	v_mov_b32_e32 v109, 15
	ds_write2_b64 v103, v[77:78], v[79:80] offset0:32 offset1:33
	ds_write2_b64 v103, v[73:74], v[75:76] offset0:34 offset1:35
	;; [unrolled: 1-line block ×21, first 2 shown]
.LBB72_333:
	s_or_b64 exec, exec, s[0:1]
	v_cmp_lt_i32_e32 vcc, 15, v109
	s_waitcnt vmcnt(0) lgkmcnt(0)
	s_barrier
	s_and_saveexec_b64 s[0:1], vcc
	s_cbranch_execz .LBB72_335
; %bb.334:
	v_mul_f64 v[97:98], v[123:124], v[83:84]
	v_mul_f64 v[83:84], v[121:122], v[83:84]
	v_fma_f64 v[125:126], v[121:122], v[81:82], -v[97:98]
	v_fma_f64 v[83:84], v[123:124], v[81:82], v[83:84]
	ds_read2_b64 v[97:100], v103 offset0:32 offset1:33
	s_waitcnt lgkmcnt(0)
	v_mul_f64 v[81:82], v[99:100], v[83:84]
	v_fma_f64 v[81:82], v[97:98], v[125:126], -v[81:82]
	v_mul_f64 v[97:98], v[97:98], v[83:84]
	v_add_f64 v[77:78], v[77:78], -v[81:82]
	v_fma_f64 v[97:98], v[99:100], v[125:126], v[97:98]
	v_add_f64 v[79:80], v[79:80], -v[97:98]
	ds_read2_b64 v[97:100], v103 offset0:34 offset1:35
	s_waitcnt lgkmcnt(0)
	v_mul_f64 v[81:82], v[99:100], v[83:84]
	v_fma_f64 v[81:82], v[97:98], v[125:126], -v[81:82]
	v_mul_f64 v[97:98], v[97:98], v[83:84]
	v_add_f64 v[73:74], v[73:74], -v[81:82]
	v_fma_f64 v[97:98], v[99:100], v[125:126], v[97:98]
	v_add_f64 v[75:76], v[75:76], -v[97:98]
	;; [unrolled: 8-line block ×20, first 2 shown]
	ds_read2_b64 v[97:100], v103 offset0:72 offset1:73
	s_waitcnt lgkmcnt(0)
	v_mul_f64 v[81:82], v[99:100], v[83:84]
	v_fma_f64 v[81:82], v[97:98], v[125:126], -v[81:82]
	v_mul_f64 v[97:98], v[97:98], v[83:84]
	v_add_f64 v[105:106], v[105:106], -v[81:82]
	v_fma_f64 v[97:98], v[99:100], v[125:126], v[97:98]
	v_mov_b32_e32 v81, v125
	v_mov_b32_e32 v82, v126
	v_add_f64 v[107:108], v[107:108], -v[97:98]
.LBB72_335:
	s_or_b64 exec, exec, s[0:1]
	v_lshl_add_u32 v97, v109, 4, v103
	s_barrier
	ds_write2_b64 v97, v[77:78], v[79:80] offset1:1
	s_waitcnt lgkmcnt(0)
	s_barrier
	ds_read2_b64 v[121:124], v103 offset0:32 offset1:33
	s_cmp_lt_i32 s3, 18
	v_mov_b32_e32 v101, 16
	s_cbranch_scc1 .LBB72_338
; %bb.336:
	v_add_u32_e32 v97, 0x110, v103
	s_mov_b32 s0, 17
	v_mov_b32_e32 v101, 16
.LBB72_337:                             ; =>This Inner Loop Header: Depth=1
	s_waitcnt lgkmcnt(0)
	v_cmp_gt_f64_e32 vcc, 0, v[121:122]
	v_xor_b32_e32 v98, 0x80000000, v122
	ds_read2_b64 v[112:115], v97 offset1:1
	v_xor_b32_e32 v100, 0x80000000, v124
	v_mov_b32_e32 v116, v123
	v_add_u32_e32 v97, 16, v97
	s_waitcnt lgkmcnt(0)
	v_mov_b32_e32 v118, v114
	v_cndmask_b32_e32 v99, v122, v98, vcc
	v_cmp_gt_f64_e32 vcc, 0, v[123:124]
	v_mov_b32_e32 v98, v121
	v_cndmask_b32_e32 v117, v124, v100, vcc
	v_cmp_gt_f64_e32 vcc, 0, v[112:113]
	v_xor_b32_e32 v100, 0x80000000, v113
	v_add_f64 v[98:99], v[98:99], v[116:117]
	v_mov_b32_e32 v116, v112
	v_cndmask_b32_e32 v117, v113, v100, vcc
	v_cmp_gt_f64_e32 vcc, 0, v[114:115]
	v_xor_b32_e32 v100, 0x80000000, v115
	v_cndmask_b32_e32 v119, v115, v100, vcc
	v_add_f64 v[116:117], v[116:117], v[118:119]
	v_cmp_lt_f64_e32 vcc, v[98:99], v[116:117]
	v_mov_b32_e32 v98, s0
	s_add_i32 s0, s0, 1
	s_cmp_lg_u32 s3, s0
	v_cndmask_b32_e32 v122, v122, v113, vcc
	v_cndmask_b32_e32 v121, v121, v112, vcc
	;; [unrolled: 1-line block ×5, first 2 shown]
	s_cbranch_scc1 .LBB72_337
.LBB72_338:
	s_waitcnt lgkmcnt(0)
	v_cmp_eq_f64_e32 vcc, 0, v[121:122]
	v_cmp_eq_f64_e64 s[0:1], 0, v[123:124]
	s_and_b64 s[0:1], vcc, s[0:1]
	s_and_saveexec_b64 s[18:19], s[0:1]
	s_xor_b64 s[0:1], exec, s[18:19]
; %bb.339:
	v_cmp_ne_u32_e32 vcc, 0, v111
	v_cndmask_b32_e32 v111, 17, v111, vcc
; %bb.340:
	s_andn2_saveexec_b64 s[0:1], s[0:1]
	s_cbranch_execz .LBB72_346
; %bb.341:
	v_cmp_ngt_f64_e64 s[18:19], |v[121:122]|, |v[123:124]|
	s_and_saveexec_b64 s[20:21], s[18:19]
	s_xor_b64 s[18:19], exec, s[20:21]
	s_cbranch_execz .LBB72_343
; %bb.342:
	v_div_scale_f64 v[97:98], s[20:21], v[123:124], v[123:124], v[121:122]
	v_rcp_f64_e32 v[99:100], v[97:98]
	v_fma_f64 v[112:113], -v[97:98], v[99:100], 1.0
	v_fma_f64 v[99:100], v[99:100], v[112:113], v[99:100]
	v_div_scale_f64 v[112:113], vcc, v[121:122], v[123:124], v[121:122]
	v_fma_f64 v[114:115], -v[97:98], v[99:100], 1.0
	v_fma_f64 v[99:100], v[99:100], v[114:115], v[99:100]
	v_mul_f64 v[114:115], v[112:113], v[99:100]
	v_fma_f64 v[97:98], -v[97:98], v[114:115], v[112:113]
	v_div_fmas_f64 v[97:98], v[97:98], v[99:100], v[114:115]
	v_div_fixup_f64 v[97:98], v[97:98], v[123:124], v[121:122]
	v_fma_f64 v[99:100], v[121:122], v[97:98], v[123:124]
	v_div_scale_f64 v[112:113], s[20:21], v[99:100], v[99:100], 1.0
	v_div_scale_f64 v[118:119], vcc, 1.0, v[99:100], 1.0
	v_rcp_f64_e32 v[114:115], v[112:113]
	v_fma_f64 v[116:117], -v[112:113], v[114:115], 1.0
	v_fma_f64 v[114:115], v[114:115], v[116:117], v[114:115]
	v_fma_f64 v[116:117], -v[112:113], v[114:115], 1.0
	v_fma_f64 v[114:115], v[114:115], v[116:117], v[114:115]
	v_mul_f64 v[116:117], v[118:119], v[114:115]
	v_fma_f64 v[112:113], -v[112:113], v[116:117], v[118:119]
	v_div_fmas_f64 v[112:113], v[112:113], v[114:115], v[116:117]
	v_div_fixup_f64 v[123:124], v[112:113], v[99:100], 1.0
	v_mul_f64 v[121:122], v[97:98], v[123:124]
	v_xor_b32_e32 v124, 0x80000000, v124
.LBB72_343:
	s_andn2_saveexec_b64 s[18:19], s[18:19]
	s_cbranch_execz .LBB72_345
; %bb.344:
	v_div_scale_f64 v[97:98], s[20:21], v[121:122], v[121:122], v[123:124]
	v_rcp_f64_e32 v[99:100], v[97:98]
	v_fma_f64 v[112:113], -v[97:98], v[99:100], 1.0
	v_fma_f64 v[99:100], v[99:100], v[112:113], v[99:100]
	v_div_scale_f64 v[112:113], vcc, v[123:124], v[121:122], v[123:124]
	v_fma_f64 v[114:115], -v[97:98], v[99:100], 1.0
	v_fma_f64 v[99:100], v[99:100], v[114:115], v[99:100]
	v_mul_f64 v[114:115], v[112:113], v[99:100]
	v_fma_f64 v[97:98], -v[97:98], v[114:115], v[112:113]
	v_div_fmas_f64 v[97:98], v[97:98], v[99:100], v[114:115]
	v_div_fixup_f64 v[97:98], v[97:98], v[121:122], v[123:124]
	v_fma_f64 v[99:100], v[123:124], v[97:98], v[121:122]
	v_div_scale_f64 v[112:113], s[20:21], v[99:100], v[99:100], 1.0
	v_div_scale_f64 v[118:119], vcc, 1.0, v[99:100], 1.0
	v_rcp_f64_e32 v[114:115], v[112:113]
	v_fma_f64 v[116:117], -v[112:113], v[114:115], 1.0
	v_fma_f64 v[114:115], v[114:115], v[116:117], v[114:115]
	v_fma_f64 v[116:117], -v[112:113], v[114:115], 1.0
	v_fma_f64 v[114:115], v[114:115], v[116:117], v[114:115]
	v_mul_f64 v[116:117], v[118:119], v[114:115]
	v_fma_f64 v[112:113], -v[112:113], v[116:117], v[118:119]
	v_div_fmas_f64 v[112:113], v[112:113], v[114:115], v[116:117]
	v_div_fixup_f64 v[121:122], v[112:113], v[99:100], 1.0
	v_mul_f64 v[123:124], v[97:98], -v[121:122]
.LBB72_345:
	s_or_b64 exec, exec, s[18:19]
.LBB72_346:
	s_or_b64 exec, exec, s[0:1]
	v_cmp_ne_u32_e32 vcc, v109, v101
	s_and_saveexec_b64 s[0:1], vcc
	s_xor_b64 s[0:1], exec, s[0:1]
	s_cbranch_execz .LBB72_352
; %bb.347:
	v_cmp_eq_u32_e32 vcc, 16, v109
	s_and_saveexec_b64 s[18:19], vcc
	s_cbranch_execz .LBB72_351
; %bb.348:
	v_cmp_ne_u32_e32 vcc, 16, v101
	s_xor_b64 s[20:21], s[6:7], -1
	s_and_b64 s[22:23], s[20:21], vcc
	s_and_saveexec_b64 s[20:21], s[22:23]
	s_cbranch_execz .LBB72_350
; %bb.349:
	buffer_load_dword v109, off, s[24:27], 0 offset:160 ; 4-byte Folded Reload
	buffer_load_dword v110, off, s[24:27], 0 offset:164 ; 4-byte Folded Reload
	v_ashrrev_i32_e32 v102, 31, v101
	v_lshlrev_b64 v[97:98], 2, v[101:102]
	s_waitcnt vmcnt(1)
	v_add_co_u32_e32 v97, vcc, v109, v97
	s_waitcnt vmcnt(0)
	v_addc_co_u32_e32 v98, vcc, v110, v98, vcc
	global_load_dword v0, v[97:98], off
	global_load_dword v99, v[109:110], off offset:64
	s_waitcnt vmcnt(1)
	global_store_dword v[109:110], v0, off offset:64
	s_waitcnt vmcnt(1)
	global_store_dword v[97:98], v99, off
.LBB72_350:
	s_or_b64 exec, exec, s[20:21]
	v_mov_b32_e32 v109, v101
	v_mov_b32_e32 v0, v101
.LBB72_351:
	s_or_b64 exec, exec, s[18:19]
.LBB72_352:
	s_andn2_saveexec_b64 s[0:1], s[0:1]
	s_cbranch_execz .LBB72_354
; %bb.353:
	v_mov_b32_e32 v109, 16
	ds_write2_b64 v103, v[73:74], v[75:76] offset0:34 offset1:35
	ds_write2_b64 v103, v[69:70], v[71:72] offset0:36 offset1:37
	ds_write2_b64 v103, v[65:66], v[67:68] offset0:38 offset1:39
	ds_write2_b64 v103, v[61:62], v[63:64] offset0:40 offset1:41
	ds_write2_b64 v103, v[57:58], v[59:60] offset0:42 offset1:43
	ds_write2_b64 v103, v[53:54], v[55:56] offset0:44 offset1:45
	ds_write2_b64 v103, v[49:50], v[51:52] offset0:46 offset1:47
	ds_write2_b64 v103, v[45:46], v[47:48] offset0:48 offset1:49
	ds_write2_b64 v103, v[41:42], v[43:44] offset0:50 offset1:51
	ds_write2_b64 v103, v[37:38], v[39:40] offset0:52 offset1:53
	ds_write2_b64 v103, v[33:34], v[35:36] offset0:54 offset1:55
	ds_write2_b64 v103, v[29:30], v[31:32] offset0:56 offset1:57
	ds_write2_b64 v103, v[25:26], v[27:28] offset0:58 offset1:59
	ds_write2_b64 v103, v[21:22], v[23:24] offset0:60 offset1:61
	ds_write2_b64 v103, v[17:18], v[19:20] offset0:62 offset1:63
	ds_write2_b64 v103, v[13:14], v[15:16] offset0:64 offset1:65
	ds_write2_b64 v103, v[9:10], v[11:12] offset0:66 offset1:67
	ds_write2_b64 v103, v[5:6], v[7:8] offset0:68 offset1:69
	ds_write2_b64 v103, v[1:2], v[3:4] offset0:70 offset1:71
	ds_write2_b64 v103, v[105:106], v[107:108] offset0:72 offset1:73
.LBB72_354:
	s_or_b64 exec, exec, s[0:1]
	v_cmp_lt_i32_e32 vcc, 16, v109
	s_waitcnt vmcnt(0) lgkmcnt(0)
	s_barrier
	s_and_saveexec_b64 s[0:1], vcc
	s_cbranch_execz .LBB72_356
; %bb.355:
	v_mul_f64 v[97:98], v[123:124], v[79:80]
	v_mul_f64 v[79:80], v[121:122], v[79:80]
	v_fma_f64 v[125:126], v[121:122], v[77:78], -v[97:98]
	v_fma_f64 v[79:80], v[123:124], v[77:78], v[79:80]
	ds_read2_b64 v[97:100], v103 offset0:34 offset1:35
	s_waitcnt lgkmcnt(0)
	v_mul_f64 v[77:78], v[99:100], v[79:80]
	v_fma_f64 v[77:78], v[97:98], v[125:126], -v[77:78]
	v_mul_f64 v[97:98], v[97:98], v[79:80]
	v_add_f64 v[73:74], v[73:74], -v[77:78]
	v_fma_f64 v[97:98], v[99:100], v[125:126], v[97:98]
	v_add_f64 v[75:76], v[75:76], -v[97:98]
	ds_read2_b64 v[97:100], v103 offset0:36 offset1:37
	s_waitcnt lgkmcnt(0)
	v_mul_f64 v[77:78], v[99:100], v[79:80]
	v_fma_f64 v[77:78], v[97:98], v[125:126], -v[77:78]
	v_mul_f64 v[97:98], v[97:98], v[79:80]
	v_add_f64 v[69:70], v[69:70], -v[77:78]
	v_fma_f64 v[97:98], v[99:100], v[125:126], v[97:98]
	v_add_f64 v[71:72], v[71:72], -v[97:98]
	;; [unrolled: 8-line block ×19, first 2 shown]
	ds_read2_b64 v[97:100], v103 offset0:72 offset1:73
	s_waitcnt lgkmcnt(0)
	v_mul_f64 v[77:78], v[99:100], v[79:80]
	v_fma_f64 v[77:78], v[97:98], v[125:126], -v[77:78]
	v_mul_f64 v[97:98], v[97:98], v[79:80]
	v_add_f64 v[105:106], v[105:106], -v[77:78]
	v_fma_f64 v[97:98], v[99:100], v[125:126], v[97:98]
	v_mov_b32_e32 v77, v125
	v_mov_b32_e32 v78, v126
	v_add_f64 v[107:108], v[107:108], -v[97:98]
.LBB72_356:
	s_or_b64 exec, exec, s[0:1]
	v_lshl_add_u32 v97, v109, 4, v103
	s_barrier
	ds_write2_b64 v97, v[73:74], v[75:76] offset1:1
	s_waitcnt lgkmcnt(0)
	s_barrier
	ds_read2_b64 v[121:124], v103 offset0:34 offset1:35
	s_cmp_lt_i32 s3, 19
	v_mov_b32_e32 v101, 17
	s_cbranch_scc1 .LBB72_359
; %bb.357:
	v_add_u32_e32 v97, 0x120, v103
	s_mov_b32 s0, 18
	v_mov_b32_e32 v101, 17
.LBB72_358:                             ; =>This Inner Loop Header: Depth=1
	s_waitcnt lgkmcnt(0)
	v_cmp_gt_f64_e32 vcc, 0, v[121:122]
	v_xor_b32_e32 v98, 0x80000000, v122
	ds_read2_b64 v[112:115], v97 offset1:1
	v_xor_b32_e32 v100, 0x80000000, v124
	v_mov_b32_e32 v116, v123
	v_add_u32_e32 v97, 16, v97
	s_waitcnt lgkmcnt(0)
	v_mov_b32_e32 v118, v114
	v_cndmask_b32_e32 v99, v122, v98, vcc
	v_cmp_gt_f64_e32 vcc, 0, v[123:124]
	v_mov_b32_e32 v98, v121
	v_cndmask_b32_e32 v117, v124, v100, vcc
	v_cmp_gt_f64_e32 vcc, 0, v[112:113]
	v_xor_b32_e32 v100, 0x80000000, v113
	v_add_f64 v[98:99], v[98:99], v[116:117]
	v_mov_b32_e32 v116, v112
	v_cndmask_b32_e32 v117, v113, v100, vcc
	v_cmp_gt_f64_e32 vcc, 0, v[114:115]
	v_xor_b32_e32 v100, 0x80000000, v115
	v_cndmask_b32_e32 v119, v115, v100, vcc
	v_add_f64 v[116:117], v[116:117], v[118:119]
	v_cmp_lt_f64_e32 vcc, v[98:99], v[116:117]
	v_mov_b32_e32 v98, s0
	s_add_i32 s0, s0, 1
	s_cmp_lg_u32 s3, s0
	v_cndmask_b32_e32 v122, v122, v113, vcc
	v_cndmask_b32_e32 v121, v121, v112, vcc
	;; [unrolled: 1-line block ×5, first 2 shown]
	s_cbranch_scc1 .LBB72_358
.LBB72_359:
	s_waitcnt lgkmcnt(0)
	v_cmp_eq_f64_e32 vcc, 0, v[121:122]
	v_cmp_eq_f64_e64 s[0:1], 0, v[123:124]
	s_and_b64 s[0:1], vcc, s[0:1]
	s_and_saveexec_b64 s[18:19], s[0:1]
	s_xor_b64 s[0:1], exec, s[18:19]
; %bb.360:
	v_cmp_ne_u32_e32 vcc, 0, v111
	v_cndmask_b32_e32 v111, 18, v111, vcc
; %bb.361:
	s_andn2_saveexec_b64 s[0:1], s[0:1]
	s_cbranch_execz .LBB72_367
; %bb.362:
	v_cmp_ngt_f64_e64 s[18:19], |v[121:122]|, |v[123:124]|
	s_and_saveexec_b64 s[20:21], s[18:19]
	s_xor_b64 s[18:19], exec, s[20:21]
	s_cbranch_execz .LBB72_364
; %bb.363:
	v_div_scale_f64 v[97:98], s[20:21], v[123:124], v[123:124], v[121:122]
	v_rcp_f64_e32 v[99:100], v[97:98]
	v_fma_f64 v[112:113], -v[97:98], v[99:100], 1.0
	v_fma_f64 v[99:100], v[99:100], v[112:113], v[99:100]
	v_div_scale_f64 v[112:113], vcc, v[121:122], v[123:124], v[121:122]
	v_fma_f64 v[114:115], -v[97:98], v[99:100], 1.0
	v_fma_f64 v[99:100], v[99:100], v[114:115], v[99:100]
	v_mul_f64 v[114:115], v[112:113], v[99:100]
	v_fma_f64 v[97:98], -v[97:98], v[114:115], v[112:113]
	v_div_fmas_f64 v[97:98], v[97:98], v[99:100], v[114:115]
	v_div_fixup_f64 v[97:98], v[97:98], v[123:124], v[121:122]
	v_fma_f64 v[99:100], v[121:122], v[97:98], v[123:124]
	v_div_scale_f64 v[112:113], s[20:21], v[99:100], v[99:100], 1.0
	v_div_scale_f64 v[118:119], vcc, 1.0, v[99:100], 1.0
	v_rcp_f64_e32 v[114:115], v[112:113]
	v_fma_f64 v[116:117], -v[112:113], v[114:115], 1.0
	v_fma_f64 v[114:115], v[114:115], v[116:117], v[114:115]
	v_fma_f64 v[116:117], -v[112:113], v[114:115], 1.0
	v_fma_f64 v[114:115], v[114:115], v[116:117], v[114:115]
	v_mul_f64 v[116:117], v[118:119], v[114:115]
	v_fma_f64 v[112:113], -v[112:113], v[116:117], v[118:119]
	v_div_fmas_f64 v[112:113], v[112:113], v[114:115], v[116:117]
	v_div_fixup_f64 v[123:124], v[112:113], v[99:100], 1.0
	v_mul_f64 v[121:122], v[97:98], v[123:124]
	v_xor_b32_e32 v124, 0x80000000, v124
.LBB72_364:
	s_andn2_saveexec_b64 s[18:19], s[18:19]
	s_cbranch_execz .LBB72_366
; %bb.365:
	v_div_scale_f64 v[97:98], s[20:21], v[121:122], v[121:122], v[123:124]
	v_rcp_f64_e32 v[99:100], v[97:98]
	v_fma_f64 v[112:113], -v[97:98], v[99:100], 1.0
	v_fma_f64 v[99:100], v[99:100], v[112:113], v[99:100]
	v_div_scale_f64 v[112:113], vcc, v[123:124], v[121:122], v[123:124]
	v_fma_f64 v[114:115], -v[97:98], v[99:100], 1.0
	v_fma_f64 v[99:100], v[99:100], v[114:115], v[99:100]
	v_mul_f64 v[114:115], v[112:113], v[99:100]
	v_fma_f64 v[97:98], -v[97:98], v[114:115], v[112:113]
	v_div_fmas_f64 v[97:98], v[97:98], v[99:100], v[114:115]
	v_div_fixup_f64 v[97:98], v[97:98], v[121:122], v[123:124]
	v_fma_f64 v[99:100], v[123:124], v[97:98], v[121:122]
	v_div_scale_f64 v[112:113], s[20:21], v[99:100], v[99:100], 1.0
	v_div_scale_f64 v[118:119], vcc, 1.0, v[99:100], 1.0
	v_rcp_f64_e32 v[114:115], v[112:113]
	v_fma_f64 v[116:117], -v[112:113], v[114:115], 1.0
	v_fma_f64 v[114:115], v[114:115], v[116:117], v[114:115]
	v_fma_f64 v[116:117], -v[112:113], v[114:115], 1.0
	v_fma_f64 v[114:115], v[114:115], v[116:117], v[114:115]
	v_mul_f64 v[116:117], v[118:119], v[114:115]
	v_fma_f64 v[112:113], -v[112:113], v[116:117], v[118:119]
	v_div_fmas_f64 v[112:113], v[112:113], v[114:115], v[116:117]
	v_div_fixup_f64 v[121:122], v[112:113], v[99:100], 1.0
	v_mul_f64 v[123:124], v[97:98], -v[121:122]
.LBB72_366:
	s_or_b64 exec, exec, s[18:19]
.LBB72_367:
	s_or_b64 exec, exec, s[0:1]
	v_cmp_ne_u32_e32 vcc, v109, v101
	s_and_saveexec_b64 s[0:1], vcc
	s_xor_b64 s[0:1], exec, s[0:1]
	s_cbranch_execz .LBB72_373
; %bb.368:
	v_cmp_eq_u32_e32 vcc, 17, v109
	s_and_saveexec_b64 s[18:19], vcc
	s_cbranch_execz .LBB72_372
; %bb.369:
	v_cmp_ne_u32_e32 vcc, 17, v101
	s_xor_b64 s[20:21], s[6:7], -1
	s_and_b64 s[22:23], s[20:21], vcc
	s_and_saveexec_b64 s[20:21], s[22:23]
	s_cbranch_execz .LBB72_371
; %bb.370:
	buffer_load_dword v109, off, s[24:27], 0 offset:160 ; 4-byte Folded Reload
	buffer_load_dword v110, off, s[24:27], 0 offset:164 ; 4-byte Folded Reload
	v_ashrrev_i32_e32 v102, 31, v101
	v_lshlrev_b64 v[97:98], 2, v[101:102]
	s_waitcnt vmcnt(1)
	v_add_co_u32_e32 v97, vcc, v109, v97
	s_waitcnt vmcnt(0)
	v_addc_co_u32_e32 v98, vcc, v110, v98, vcc
	global_load_dword v0, v[97:98], off
	global_load_dword v99, v[109:110], off offset:68
	s_waitcnt vmcnt(1)
	global_store_dword v[109:110], v0, off offset:68
	s_waitcnt vmcnt(1)
	global_store_dword v[97:98], v99, off
.LBB72_371:
	s_or_b64 exec, exec, s[20:21]
	v_mov_b32_e32 v109, v101
	v_mov_b32_e32 v0, v101
.LBB72_372:
	s_or_b64 exec, exec, s[18:19]
.LBB72_373:
	s_andn2_saveexec_b64 s[0:1], s[0:1]
	s_cbranch_execz .LBB72_375
; %bb.374:
	v_mov_b32_e32 v109, 17
	ds_write2_b64 v103, v[69:70], v[71:72] offset0:36 offset1:37
	ds_write2_b64 v103, v[65:66], v[67:68] offset0:38 offset1:39
	;; [unrolled: 1-line block ×19, first 2 shown]
.LBB72_375:
	s_or_b64 exec, exec, s[0:1]
	v_cmp_lt_i32_e32 vcc, 17, v109
	s_waitcnt vmcnt(0) lgkmcnt(0)
	s_barrier
	s_and_saveexec_b64 s[0:1], vcc
	s_cbranch_execz .LBB72_377
; %bb.376:
	v_mul_f64 v[97:98], v[123:124], v[75:76]
	v_mul_f64 v[75:76], v[121:122], v[75:76]
	v_fma_f64 v[125:126], v[121:122], v[73:74], -v[97:98]
	v_fma_f64 v[75:76], v[123:124], v[73:74], v[75:76]
	ds_read2_b64 v[97:100], v103 offset0:36 offset1:37
	s_waitcnt lgkmcnt(0)
	v_mul_f64 v[73:74], v[99:100], v[75:76]
	v_fma_f64 v[73:74], v[97:98], v[125:126], -v[73:74]
	v_mul_f64 v[97:98], v[97:98], v[75:76]
	v_add_f64 v[69:70], v[69:70], -v[73:74]
	v_fma_f64 v[97:98], v[99:100], v[125:126], v[97:98]
	v_add_f64 v[71:72], v[71:72], -v[97:98]
	ds_read2_b64 v[97:100], v103 offset0:38 offset1:39
	s_waitcnt lgkmcnt(0)
	v_mul_f64 v[73:74], v[99:100], v[75:76]
	v_fma_f64 v[73:74], v[97:98], v[125:126], -v[73:74]
	v_mul_f64 v[97:98], v[97:98], v[75:76]
	v_add_f64 v[65:66], v[65:66], -v[73:74]
	v_fma_f64 v[97:98], v[99:100], v[125:126], v[97:98]
	v_add_f64 v[67:68], v[67:68], -v[97:98]
	;; [unrolled: 8-line block ×18, first 2 shown]
	ds_read2_b64 v[97:100], v103 offset0:72 offset1:73
	s_waitcnt lgkmcnt(0)
	v_mul_f64 v[73:74], v[99:100], v[75:76]
	v_fma_f64 v[73:74], v[97:98], v[125:126], -v[73:74]
	v_mul_f64 v[97:98], v[97:98], v[75:76]
	v_add_f64 v[105:106], v[105:106], -v[73:74]
	v_fma_f64 v[97:98], v[99:100], v[125:126], v[97:98]
	v_mov_b32_e32 v73, v125
	v_mov_b32_e32 v74, v126
	v_add_f64 v[107:108], v[107:108], -v[97:98]
.LBB72_377:
	s_or_b64 exec, exec, s[0:1]
	v_lshl_add_u32 v97, v109, 4, v103
	s_barrier
	ds_write2_b64 v97, v[69:70], v[71:72] offset1:1
	s_waitcnt lgkmcnt(0)
	s_barrier
	ds_read2_b64 v[121:124], v103 offset0:36 offset1:37
	s_cmp_lt_i32 s3, 20
	v_mov_b32_e32 v101, 18
	s_cbranch_scc1 .LBB72_380
; %bb.378:
	v_add_u32_e32 v97, 0x130, v103
	s_mov_b32 s0, 19
	v_mov_b32_e32 v101, 18
.LBB72_379:                             ; =>This Inner Loop Header: Depth=1
	s_waitcnt lgkmcnt(0)
	v_cmp_gt_f64_e32 vcc, 0, v[121:122]
	v_xor_b32_e32 v98, 0x80000000, v122
	ds_read2_b64 v[112:115], v97 offset1:1
	v_xor_b32_e32 v100, 0x80000000, v124
	v_mov_b32_e32 v116, v123
	v_add_u32_e32 v97, 16, v97
	s_waitcnt lgkmcnt(0)
	v_mov_b32_e32 v118, v114
	v_cndmask_b32_e32 v99, v122, v98, vcc
	v_cmp_gt_f64_e32 vcc, 0, v[123:124]
	v_mov_b32_e32 v98, v121
	v_cndmask_b32_e32 v117, v124, v100, vcc
	v_cmp_gt_f64_e32 vcc, 0, v[112:113]
	v_xor_b32_e32 v100, 0x80000000, v113
	v_add_f64 v[98:99], v[98:99], v[116:117]
	v_mov_b32_e32 v116, v112
	v_cndmask_b32_e32 v117, v113, v100, vcc
	v_cmp_gt_f64_e32 vcc, 0, v[114:115]
	v_xor_b32_e32 v100, 0x80000000, v115
	v_cndmask_b32_e32 v119, v115, v100, vcc
	v_add_f64 v[116:117], v[116:117], v[118:119]
	v_cmp_lt_f64_e32 vcc, v[98:99], v[116:117]
	v_mov_b32_e32 v98, s0
	s_add_i32 s0, s0, 1
	s_cmp_lg_u32 s3, s0
	v_cndmask_b32_e32 v122, v122, v113, vcc
	v_cndmask_b32_e32 v121, v121, v112, vcc
	;; [unrolled: 1-line block ×5, first 2 shown]
	s_cbranch_scc1 .LBB72_379
.LBB72_380:
	s_waitcnt lgkmcnt(0)
	v_cmp_eq_f64_e32 vcc, 0, v[121:122]
	v_cmp_eq_f64_e64 s[0:1], 0, v[123:124]
	s_and_b64 s[0:1], vcc, s[0:1]
	s_and_saveexec_b64 s[18:19], s[0:1]
	s_xor_b64 s[0:1], exec, s[18:19]
; %bb.381:
	v_cmp_ne_u32_e32 vcc, 0, v111
	v_cndmask_b32_e32 v111, 19, v111, vcc
; %bb.382:
	s_andn2_saveexec_b64 s[0:1], s[0:1]
	s_cbranch_execz .LBB72_388
; %bb.383:
	v_cmp_ngt_f64_e64 s[18:19], |v[121:122]|, |v[123:124]|
	s_and_saveexec_b64 s[20:21], s[18:19]
	s_xor_b64 s[18:19], exec, s[20:21]
	s_cbranch_execz .LBB72_385
; %bb.384:
	v_div_scale_f64 v[97:98], s[20:21], v[123:124], v[123:124], v[121:122]
	v_rcp_f64_e32 v[99:100], v[97:98]
	v_fma_f64 v[112:113], -v[97:98], v[99:100], 1.0
	v_fma_f64 v[99:100], v[99:100], v[112:113], v[99:100]
	v_div_scale_f64 v[112:113], vcc, v[121:122], v[123:124], v[121:122]
	v_fma_f64 v[114:115], -v[97:98], v[99:100], 1.0
	v_fma_f64 v[99:100], v[99:100], v[114:115], v[99:100]
	v_mul_f64 v[114:115], v[112:113], v[99:100]
	v_fma_f64 v[97:98], -v[97:98], v[114:115], v[112:113]
	v_div_fmas_f64 v[97:98], v[97:98], v[99:100], v[114:115]
	v_div_fixup_f64 v[97:98], v[97:98], v[123:124], v[121:122]
	v_fma_f64 v[99:100], v[121:122], v[97:98], v[123:124]
	v_div_scale_f64 v[112:113], s[20:21], v[99:100], v[99:100], 1.0
	v_div_scale_f64 v[118:119], vcc, 1.0, v[99:100], 1.0
	v_rcp_f64_e32 v[114:115], v[112:113]
	v_fma_f64 v[116:117], -v[112:113], v[114:115], 1.0
	v_fma_f64 v[114:115], v[114:115], v[116:117], v[114:115]
	v_fma_f64 v[116:117], -v[112:113], v[114:115], 1.0
	v_fma_f64 v[114:115], v[114:115], v[116:117], v[114:115]
	v_mul_f64 v[116:117], v[118:119], v[114:115]
	v_fma_f64 v[112:113], -v[112:113], v[116:117], v[118:119]
	v_div_fmas_f64 v[112:113], v[112:113], v[114:115], v[116:117]
	v_div_fixup_f64 v[123:124], v[112:113], v[99:100], 1.0
	v_mul_f64 v[121:122], v[97:98], v[123:124]
	v_xor_b32_e32 v124, 0x80000000, v124
.LBB72_385:
	s_andn2_saveexec_b64 s[18:19], s[18:19]
	s_cbranch_execz .LBB72_387
; %bb.386:
	v_div_scale_f64 v[97:98], s[20:21], v[121:122], v[121:122], v[123:124]
	v_rcp_f64_e32 v[99:100], v[97:98]
	v_fma_f64 v[112:113], -v[97:98], v[99:100], 1.0
	v_fma_f64 v[99:100], v[99:100], v[112:113], v[99:100]
	v_div_scale_f64 v[112:113], vcc, v[123:124], v[121:122], v[123:124]
	v_fma_f64 v[114:115], -v[97:98], v[99:100], 1.0
	v_fma_f64 v[99:100], v[99:100], v[114:115], v[99:100]
	v_mul_f64 v[114:115], v[112:113], v[99:100]
	v_fma_f64 v[97:98], -v[97:98], v[114:115], v[112:113]
	v_div_fmas_f64 v[97:98], v[97:98], v[99:100], v[114:115]
	v_div_fixup_f64 v[97:98], v[97:98], v[121:122], v[123:124]
	v_fma_f64 v[99:100], v[123:124], v[97:98], v[121:122]
	v_div_scale_f64 v[112:113], s[20:21], v[99:100], v[99:100], 1.0
	v_div_scale_f64 v[118:119], vcc, 1.0, v[99:100], 1.0
	v_rcp_f64_e32 v[114:115], v[112:113]
	v_fma_f64 v[116:117], -v[112:113], v[114:115], 1.0
	v_fma_f64 v[114:115], v[114:115], v[116:117], v[114:115]
	v_fma_f64 v[116:117], -v[112:113], v[114:115], 1.0
	v_fma_f64 v[114:115], v[114:115], v[116:117], v[114:115]
	v_mul_f64 v[116:117], v[118:119], v[114:115]
	v_fma_f64 v[112:113], -v[112:113], v[116:117], v[118:119]
	v_div_fmas_f64 v[112:113], v[112:113], v[114:115], v[116:117]
	v_div_fixup_f64 v[121:122], v[112:113], v[99:100], 1.0
	v_mul_f64 v[123:124], v[97:98], -v[121:122]
.LBB72_387:
	s_or_b64 exec, exec, s[18:19]
.LBB72_388:
	s_or_b64 exec, exec, s[0:1]
	v_cmp_ne_u32_e32 vcc, v109, v101
	s_and_saveexec_b64 s[0:1], vcc
	s_xor_b64 s[0:1], exec, s[0:1]
	s_cbranch_execz .LBB72_394
; %bb.389:
	v_cmp_eq_u32_e32 vcc, 18, v109
	s_and_saveexec_b64 s[18:19], vcc
	s_cbranch_execz .LBB72_393
; %bb.390:
	v_cmp_ne_u32_e32 vcc, 18, v101
	s_xor_b64 s[20:21], s[6:7], -1
	s_and_b64 s[22:23], s[20:21], vcc
	s_and_saveexec_b64 s[20:21], s[22:23]
	s_cbranch_execz .LBB72_392
; %bb.391:
	buffer_load_dword v109, off, s[24:27], 0 offset:160 ; 4-byte Folded Reload
	buffer_load_dword v110, off, s[24:27], 0 offset:164 ; 4-byte Folded Reload
	v_ashrrev_i32_e32 v102, 31, v101
	v_lshlrev_b64 v[97:98], 2, v[101:102]
	s_waitcnt vmcnt(1)
	v_add_co_u32_e32 v97, vcc, v109, v97
	s_waitcnt vmcnt(0)
	v_addc_co_u32_e32 v98, vcc, v110, v98, vcc
	global_load_dword v0, v[97:98], off
	global_load_dword v99, v[109:110], off offset:72
	s_waitcnt vmcnt(1)
	global_store_dword v[109:110], v0, off offset:72
	s_waitcnt vmcnt(1)
	global_store_dword v[97:98], v99, off
.LBB72_392:
	s_or_b64 exec, exec, s[20:21]
	v_mov_b32_e32 v109, v101
	v_mov_b32_e32 v0, v101
.LBB72_393:
	s_or_b64 exec, exec, s[18:19]
.LBB72_394:
	s_andn2_saveexec_b64 s[0:1], s[0:1]
	s_cbranch_execz .LBB72_396
; %bb.395:
	v_mov_b32_e32 v109, 18
	ds_write2_b64 v103, v[65:66], v[67:68] offset0:38 offset1:39
	ds_write2_b64 v103, v[61:62], v[63:64] offset0:40 offset1:41
	;; [unrolled: 1-line block ×18, first 2 shown]
.LBB72_396:
	s_or_b64 exec, exec, s[0:1]
	v_cmp_lt_i32_e32 vcc, 18, v109
	s_waitcnt vmcnt(0) lgkmcnt(0)
	s_barrier
	s_and_saveexec_b64 s[0:1], vcc
	s_cbranch_execz .LBB72_398
; %bb.397:
	v_mul_f64 v[97:98], v[123:124], v[71:72]
	v_mul_f64 v[71:72], v[121:122], v[71:72]
	v_fma_f64 v[125:126], v[121:122], v[69:70], -v[97:98]
	v_fma_f64 v[71:72], v[123:124], v[69:70], v[71:72]
	ds_read2_b64 v[97:100], v103 offset0:38 offset1:39
	s_waitcnt lgkmcnt(0)
	v_mul_f64 v[69:70], v[99:100], v[71:72]
	v_fma_f64 v[69:70], v[97:98], v[125:126], -v[69:70]
	v_mul_f64 v[97:98], v[97:98], v[71:72]
	v_add_f64 v[65:66], v[65:66], -v[69:70]
	v_fma_f64 v[97:98], v[99:100], v[125:126], v[97:98]
	v_add_f64 v[67:68], v[67:68], -v[97:98]
	ds_read2_b64 v[97:100], v103 offset0:40 offset1:41
	s_waitcnt lgkmcnt(0)
	v_mul_f64 v[69:70], v[99:100], v[71:72]
	v_fma_f64 v[69:70], v[97:98], v[125:126], -v[69:70]
	v_mul_f64 v[97:98], v[97:98], v[71:72]
	v_add_f64 v[61:62], v[61:62], -v[69:70]
	v_fma_f64 v[97:98], v[99:100], v[125:126], v[97:98]
	v_add_f64 v[63:64], v[63:64], -v[97:98]
	;; [unrolled: 8-line block ×17, first 2 shown]
	ds_read2_b64 v[97:100], v103 offset0:72 offset1:73
	s_waitcnt lgkmcnt(0)
	v_mul_f64 v[69:70], v[99:100], v[71:72]
	v_fma_f64 v[69:70], v[97:98], v[125:126], -v[69:70]
	v_mul_f64 v[97:98], v[97:98], v[71:72]
	v_add_f64 v[105:106], v[105:106], -v[69:70]
	v_fma_f64 v[97:98], v[99:100], v[125:126], v[97:98]
	v_mov_b32_e32 v69, v125
	v_mov_b32_e32 v70, v126
	v_add_f64 v[107:108], v[107:108], -v[97:98]
.LBB72_398:
	s_or_b64 exec, exec, s[0:1]
	v_lshl_add_u32 v97, v109, 4, v103
	s_barrier
	ds_write2_b64 v97, v[65:66], v[67:68] offset1:1
	s_waitcnt lgkmcnt(0)
	s_barrier
	ds_read2_b64 v[121:124], v103 offset0:38 offset1:39
	s_cmp_lt_i32 s3, 21
	v_mov_b32_e32 v101, 19
	s_cbranch_scc1 .LBB72_401
; %bb.399:
	v_add_u32_e32 v97, 0x140, v103
	s_mov_b32 s0, 20
	v_mov_b32_e32 v101, 19
.LBB72_400:                             ; =>This Inner Loop Header: Depth=1
	s_waitcnt lgkmcnt(0)
	v_cmp_gt_f64_e32 vcc, 0, v[121:122]
	v_xor_b32_e32 v98, 0x80000000, v122
	ds_read2_b64 v[112:115], v97 offset1:1
	v_xor_b32_e32 v100, 0x80000000, v124
	v_mov_b32_e32 v116, v123
	v_add_u32_e32 v97, 16, v97
	s_waitcnt lgkmcnt(0)
	v_mov_b32_e32 v118, v114
	v_cndmask_b32_e32 v99, v122, v98, vcc
	v_cmp_gt_f64_e32 vcc, 0, v[123:124]
	v_mov_b32_e32 v98, v121
	v_cndmask_b32_e32 v117, v124, v100, vcc
	v_cmp_gt_f64_e32 vcc, 0, v[112:113]
	v_xor_b32_e32 v100, 0x80000000, v113
	v_add_f64 v[98:99], v[98:99], v[116:117]
	v_mov_b32_e32 v116, v112
	v_cndmask_b32_e32 v117, v113, v100, vcc
	v_cmp_gt_f64_e32 vcc, 0, v[114:115]
	v_xor_b32_e32 v100, 0x80000000, v115
	v_cndmask_b32_e32 v119, v115, v100, vcc
	v_add_f64 v[116:117], v[116:117], v[118:119]
	v_cmp_lt_f64_e32 vcc, v[98:99], v[116:117]
	v_mov_b32_e32 v98, s0
	s_add_i32 s0, s0, 1
	s_cmp_lg_u32 s3, s0
	v_cndmask_b32_e32 v122, v122, v113, vcc
	v_cndmask_b32_e32 v121, v121, v112, vcc
	;; [unrolled: 1-line block ×5, first 2 shown]
	s_cbranch_scc1 .LBB72_400
.LBB72_401:
	s_waitcnt lgkmcnt(0)
	v_cmp_eq_f64_e32 vcc, 0, v[121:122]
	v_cmp_eq_f64_e64 s[0:1], 0, v[123:124]
	s_and_b64 s[0:1], vcc, s[0:1]
	s_and_saveexec_b64 s[18:19], s[0:1]
	s_xor_b64 s[0:1], exec, s[18:19]
; %bb.402:
	v_cmp_ne_u32_e32 vcc, 0, v111
	v_cndmask_b32_e32 v111, 20, v111, vcc
; %bb.403:
	s_andn2_saveexec_b64 s[0:1], s[0:1]
	s_cbranch_execz .LBB72_409
; %bb.404:
	v_cmp_ngt_f64_e64 s[18:19], |v[121:122]|, |v[123:124]|
	s_and_saveexec_b64 s[20:21], s[18:19]
	s_xor_b64 s[18:19], exec, s[20:21]
	s_cbranch_execz .LBB72_406
; %bb.405:
	v_div_scale_f64 v[97:98], s[20:21], v[123:124], v[123:124], v[121:122]
	v_rcp_f64_e32 v[99:100], v[97:98]
	v_fma_f64 v[112:113], -v[97:98], v[99:100], 1.0
	v_fma_f64 v[99:100], v[99:100], v[112:113], v[99:100]
	v_div_scale_f64 v[112:113], vcc, v[121:122], v[123:124], v[121:122]
	v_fma_f64 v[114:115], -v[97:98], v[99:100], 1.0
	v_fma_f64 v[99:100], v[99:100], v[114:115], v[99:100]
	v_mul_f64 v[114:115], v[112:113], v[99:100]
	v_fma_f64 v[97:98], -v[97:98], v[114:115], v[112:113]
	v_div_fmas_f64 v[97:98], v[97:98], v[99:100], v[114:115]
	v_div_fixup_f64 v[97:98], v[97:98], v[123:124], v[121:122]
	v_fma_f64 v[99:100], v[121:122], v[97:98], v[123:124]
	v_div_scale_f64 v[112:113], s[20:21], v[99:100], v[99:100], 1.0
	v_div_scale_f64 v[118:119], vcc, 1.0, v[99:100], 1.0
	v_rcp_f64_e32 v[114:115], v[112:113]
	v_fma_f64 v[116:117], -v[112:113], v[114:115], 1.0
	v_fma_f64 v[114:115], v[114:115], v[116:117], v[114:115]
	v_fma_f64 v[116:117], -v[112:113], v[114:115], 1.0
	v_fma_f64 v[114:115], v[114:115], v[116:117], v[114:115]
	v_mul_f64 v[116:117], v[118:119], v[114:115]
	v_fma_f64 v[112:113], -v[112:113], v[116:117], v[118:119]
	v_div_fmas_f64 v[112:113], v[112:113], v[114:115], v[116:117]
	v_div_fixup_f64 v[123:124], v[112:113], v[99:100], 1.0
	v_mul_f64 v[121:122], v[97:98], v[123:124]
	v_xor_b32_e32 v124, 0x80000000, v124
.LBB72_406:
	s_andn2_saveexec_b64 s[18:19], s[18:19]
	s_cbranch_execz .LBB72_408
; %bb.407:
	v_div_scale_f64 v[97:98], s[20:21], v[121:122], v[121:122], v[123:124]
	v_rcp_f64_e32 v[99:100], v[97:98]
	v_fma_f64 v[112:113], -v[97:98], v[99:100], 1.0
	v_fma_f64 v[99:100], v[99:100], v[112:113], v[99:100]
	v_div_scale_f64 v[112:113], vcc, v[123:124], v[121:122], v[123:124]
	v_fma_f64 v[114:115], -v[97:98], v[99:100], 1.0
	v_fma_f64 v[99:100], v[99:100], v[114:115], v[99:100]
	v_mul_f64 v[114:115], v[112:113], v[99:100]
	v_fma_f64 v[97:98], -v[97:98], v[114:115], v[112:113]
	v_div_fmas_f64 v[97:98], v[97:98], v[99:100], v[114:115]
	v_div_fixup_f64 v[97:98], v[97:98], v[121:122], v[123:124]
	v_fma_f64 v[99:100], v[123:124], v[97:98], v[121:122]
	v_div_scale_f64 v[112:113], s[20:21], v[99:100], v[99:100], 1.0
	v_div_scale_f64 v[118:119], vcc, 1.0, v[99:100], 1.0
	v_rcp_f64_e32 v[114:115], v[112:113]
	v_fma_f64 v[116:117], -v[112:113], v[114:115], 1.0
	v_fma_f64 v[114:115], v[114:115], v[116:117], v[114:115]
	v_fma_f64 v[116:117], -v[112:113], v[114:115], 1.0
	v_fma_f64 v[114:115], v[114:115], v[116:117], v[114:115]
	v_mul_f64 v[116:117], v[118:119], v[114:115]
	v_fma_f64 v[112:113], -v[112:113], v[116:117], v[118:119]
	v_div_fmas_f64 v[112:113], v[112:113], v[114:115], v[116:117]
	v_div_fixup_f64 v[121:122], v[112:113], v[99:100], 1.0
	v_mul_f64 v[123:124], v[97:98], -v[121:122]
.LBB72_408:
	s_or_b64 exec, exec, s[18:19]
.LBB72_409:
	s_or_b64 exec, exec, s[0:1]
	v_cmp_ne_u32_e32 vcc, v109, v101
	s_and_saveexec_b64 s[0:1], vcc
	s_xor_b64 s[0:1], exec, s[0:1]
	s_cbranch_execz .LBB72_415
; %bb.410:
	v_cmp_eq_u32_e32 vcc, 19, v109
	s_and_saveexec_b64 s[18:19], vcc
	s_cbranch_execz .LBB72_414
; %bb.411:
	v_cmp_ne_u32_e32 vcc, 19, v101
	s_xor_b64 s[20:21], s[6:7], -1
	s_and_b64 s[22:23], s[20:21], vcc
	s_and_saveexec_b64 s[20:21], s[22:23]
	s_cbranch_execz .LBB72_413
; %bb.412:
	buffer_load_dword v109, off, s[24:27], 0 offset:160 ; 4-byte Folded Reload
	buffer_load_dword v110, off, s[24:27], 0 offset:164 ; 4-byte Folded Reload
	v_ashrrev_i32_e32 v102, 31, v101
	v_lshlrev_b64 v[97:98], 2, v[101:102]
	s_waitcnt vmcnt(1)
	v_add_co_u32_e32 v97, vcc, v109, v97
	s_waitcnt vmcnt(0)
	v_addc_co_u32_e32 v98, vcc, v110, v98, vcc
	global_load_dword v0, v[97:98], off
	global_load_dword v99, v[109:110], off offset:76
	s_waitcnt vmcnt(1)
	global_store_dword v[109:110], v0, off offset:76
	s_waitcnt vmcnt(1)
	global_store_dword v[97:98], v99, off
.LBB72_413:
	s_or_b64 exec, exec, s[20:21]
	v_mov_b32_e32 v109, v101
	v_mov_b32_e32 v0, v101
.LBB72_414:
	s_or_b64 exec, exec, s[18:19]
.LBB72_415:
	s_andn2_saveexec_b64 s[0:1], s[0:1]
	s_cbranch_execz .LBB72_417
; %bb.416:
	v_mov_b32_e32 v109, 19
	ds_write2_b64 v103, v[61:62], v[63:64] offset0:40 offset1:41
	ds_write2_b64 v103, v[57:58], v[59:60] offset0:42 offset1:43
	;; [unrolled: 1-line block ×17, first 2 shown]
.LBB72_417:
	s_or_b64 exec, exec, s[0:1]
	v_cmp_lt_i32_e32 vcc, 19, v109
	s_waitcnt vmcnt(0) lgkmcnt(0)
	s_barrier
	s_and_saveexec_b64 s[0:1], vcc
	s_cbranch_execz .LBB72_419
; %bb.418:
	v_mul_f64 v[97:98], v[123:124], v[67:68]
	v_mul_f64 v[67:68], v[121:122], v[67:68]
	v_fma_f64 v[125:126], v[121:122], v[65:66], -v[97:98]
	v_fma_f64 v[67:68], v[123:124], v[65:66], v[67:68]
	ds_read2_b64 v[97:100], v103 offset0:40 offset1:41
	s_waitcnt lgkmcnt(0)
	v_mul_f64 v[65:66], v[99:100], v[67:68]
	v_fma_f64 v[65:66], v[97:98], v[125:126], -v[65:66]
	v_mul_f64 v[97:98], v[97:98], v[67:68]
	v_add_f64 v[61:62], v[61:62], -v[65:66]
	v_fma_f64 v[97:98], v[99:100], v[125:126], v[97:98]
	v_add_f64 v[63:64], v[63:64], -v[97:98]
	ds_read2_b64 v[97:100], v103 offset0:42 offset1:43
	s_waitcnt lgkmcnt(0)
	v_mul_f64 v[65:66], v[99:100], v[67:68]
	v_fma_f64 v[65:66], v[97:98], v[125:126], -v[65:66]
	v_mul_f64 v[97:98], v[97:98], v[67:68]
	v_add_f64 v[57:58], v[57:58], -v[65:66]
	v_fma_f64 v[97:98], v[99:100], v[125:126], v[97:98]
	v_add_f64 v[59:60], v[59:60], -v[97:98]
	;; [unrolled: 8-line block ×16, first 2 shown]
	ds_read2_b64 v[97:100], v103 offset0:72 offset1:73
	s_waitcnt lgkmcnt(0)
	v_mul_f64 v[65:66], v[99:100], v[67:68]
	v_fma_f64 v[65:66], v[97:98], v[125:126], -v[65:66]
	v_mul_f64 v[97:98], v[97:98], v[67:68]
	v_add_f64 v[105:106], v[105:106], -v[65:66]
	v_fma_f64 v[97:98], v[99:100], v[125:126], v[97:98]
	v_mov_b32_e32 v65, v125
	v_mov_b32_e32 v66, v126
	v_add_f64 v[107:108], v[107:108], -v[97:98]
.LBB72_419:
	s_or_b64 exec, exec, s[0:1]
	v_lshl_add_u32 v97, v109, 4, v103
	s_barrier
	ds_write2_b64 v97, v[61:62], v[63:64] offset1:1
	s_waitcnt lgkmcnt(0)
	s_barrier
	ds_read2_b64 v[121:124], v103 offset0:40 offset1:41
	s_cmp_lt_i32 s3, 22
	v_mov_b32_e32 v101, 20
	s_cbranch_scc1 .LBB72_422
; %bb.420:
	v_add_u32_e32 v97, 0x150, v103
	s_mov_b32 s0, 21
	v_mov_b32_e32 v101, 20
.LBB72_421:                             ; =>This Inner Loop Header: Depth=1
	s_waitcnt lgkmcnt(0)
	v_cmp_gt_f64_e32 vcc, 0, v[121:122]
	v_xor_b32_e32 v98, 0x80000000, v122
	ds_read2_b64 v[112:115], v97 offset1:1
	v_xor_b32_e32 v100, 0x80000000, v124
	v_mov_b32_e32 v116, v123
	v_add_u32_e32 v97, 16, v97
	s_waitcnt lgkmcnt(0)
	v_mov_b32_e32 v118, v114
	v_cndmask_b32_e32 v99, v122, v98, vcc
	v_cmp_gt_f64_e32 vcc, 0, v[123:124]
	v_mov_b32_e32 v98, v121
	v_cndmask_b32_e32 v117, v124, v100, vcc
	v_cmp_gt_f64_e32 vcc, 0, v[112:113]
	v_xor_b32_e32 v100, 0x80000000, v113
	v_add_f64 v[98:99], v[98:99], v[116:117]
	v_mov_b32_e32 v116, v112
	v_cndmask_b32_e32 v117, v113, v100, vcc
	v_cmp_gt_f64_e32 vcc, 0, v[114:115]
	v_xor_b32_e32 v100, 0x80000000, v115
	v_cndmask_b32_e32 v119, v115, v100, vcc
	v_add_f64 v[116:117], v[116:117], v[118:119]
	v_cmp_lt_f64_e32 vcc, v[98:99], v[116:117]
	v_mov_b32_e32 v98, s0
	s_add_i32 s0, s0, 1
	s_cmp_lg_u32 s3, s0
	v_cndmask_b32_e32 v122, v122, v113, vcc
	v_cndmask_b32_e32 v121, v121, v112, vcc
	;; [unrolled: 1-line block ×5, first 2 shown]
	s_cbranch_scc1 .LBB72_421
.LBB72_422:
	s_waitcnt lgkmcnt(0)
	v_cmp_eq_f64_e32 vcc, 0, v[121:122]
	v_cmp_eq_f64_e64 s[0:1], 0, v[123:124]
	s_and_b64 s[0:1], vcc, s[0:1]
	s_and_saveexec_b64 s[18:19], s[0:1]
	s_xor_b64 s[0:1], exec, s[18:19]
; %bb.423:
	v_cmp_ne_u32_e32 vcc, 0, v111
	v_cndmask_b32_e32 v111, 21, v111, vcc
; %bb.424:
	s_andn2_saveexec_b64 s[0:1], s[0:1]
	s_cbranch_execz .LBB72_430
; %bb.425:
	v_cmp_ngt_f64_e64 s[18:19], |v[121:122]|, |v[123:124]|
	s_and_saveexec_b64 s[20:21], s[18:19]
	s_xor_b64 s[18:19], exec, s[20:21]
	s_cbranch_execz .LBB72_427
; %bb.426:
	v_div_scale_f64 v[97:98], s[20:21], v[123:124], v[123:124], v[121:122]
	v_rcp_f64_e32 v[99:100], v[97:98]
	v_fma_f64 v[112:113], -v[97:98], v[99:100], 1.0
	v_fma_f64 v[99:100], v[99:100], v[112:113], v[99:100]
	v_div_scale_f64 v[112:113], vcc, v[121:122], v[123:124], v[121:122]
	v_fma_f64 v[114:115], -v[97:98], v[99:100], 1.0
	v_fma_f64 v[99:100], v[99:100], v[114:115], v[99:100]
	v_mul_f64 v[114:115], v[112:113], v[99:100]
	v_fma_f64 v[97:98], -v[97:98], v[114:115], v[112:113]
	v_div_fmas_f64 v[97:98], v[97:98], v[99:100], v[114:115]
	v_div_fixup_f64 v[97:98], v[97:98], v[123:124], v[121:122]
	v_fma_f64 v[99:100], v[121:122], v[97:98], v[123:124]
	v_div_scale_f64 v[112:113], s[20:21], v[99:100], v[99:100], 1.0
	v_div_scale_f64 v[118:119], vcc, 1.0, v[99:100], 1.0
	v_rcp_f64_e32 v[114:115], v[112:113]
	v_fma_f64 v[116:117], -v[112:113], v[114:115], 1.0
	v_fma_f64 v[114:115], v[114:115], v[116:117], v[114:115]
	v_fma_f64 v[116:117], -v[112:113], v[114:115], 1.0
	v_fma_f64 v[114:115], v[114:115], v[116:117], v[114:115]
	v_mul_f64 v[116:117], v[118:119], v[114:115]
	v_fma_f64 v[112:113], -v[112:113], v[116:117], v[118:119]
	v_div_fmas_f64 v[112:113], v[112:113], v[114:115], v[116:117]
	v_div_fixup_f64 v[123:124], v[112:113], v[99:100], 1.0
	v_mul_f64 v[121:122], v[97:98], v[123:124]
	v_xor_b32_e32 v124, 0x80000000, v124
.LBB72_427:
	s_andn2_saveexec_b64 s[18:19], s[18:19]
	s_cbranch_execz .LBB72_429
; %bb.428:
	v_div_scale_f64 v[97:98], s[20:21], v[121:122], v[121:122], v[123:124]
	v_rcp_f64_e32 v[99:100], v[97:98]
	v_fma_f64 v[112:113], -v[97:98], v[99:100], 1.0
	v_fma_f64 v[99:100], v[99:100], v[112:113], v[99:100]
	v_div_scale_f64 v[112:113], vcc, v[123:124], v[121:122], v[123:124]
	v_fma_f64 v[114:115], -v[97:98], v[99:100], 1.0
	v_fma_f64 v[99:100], v[99:100], v[114:115], v[99:100]
	v_mul_f64 v[114:115], v[112:113], v[99:100]
	v_fma_f64 v[97:98], -v[97:98], v[114:115], v[112:113]
	v_div_fmas_f64 v[97:98], v[97:98], v[99:100], v[114:115]
	v_div_fixup_f64 v[97:98], v[97:98], v[121:122], v[123:124]
	v_fma_f64 v[99:100], v[123:124], v[97:98], v[121:122]
	v_div_scale_f64 v[112:113], s[20:21], v[99:100], v[99:100], 1.0
	v_div_scale_f64 v[118:119], vcc, 1.0, v[99:100], 1.0
	v_rcp_f64_e32 v[114:115], v[112:113]
	v_fma_f64 v[116:117], -v[112:113], v[114:115], 1.0
	v_fma_f64 v[114:115], v[114:115], v[116:117], v[114:115]
	v_fma_f64 v[116:117], -v[112:113], v[114:115], 1.0
	v_fma_f64 v[114:115], v[114:115], v[116:117], v[114:115]
	v_mul_f64 v[116:117], v[118:119], v[114:115]
	v_fma_f64 v[112:113], -v[112:113], v[116:117], v[118:119]
	v_div_fmas_f64 v[112:113], v[112:113], v[114:115], v[116:117]
	v_div_fixup_f64 v[121:122], v[112:113], v[99:100], 1.0
	v_mul_f64 v[123:124], v[97:98], -v[121:122]
.LBB72_429:
	s_or_b64 exec, exec, s[18:19]
.LBB72_430:
	s_or_b64 exec, exec, s[0:1]
	v_cmp_ne_u32_e32 vcc, v109, v101
	s_and_saveexec_b64 s[0:1], vcc
	s_xor_b64 s[0:1], exec, s[0:1]
	s_cbranch_execz .LBB72_436
; %bb.431:
	v_cmp_eq_u32_e32 vcc, 20, v109
	s_and_saveexec_b64 s[18:19], vcc
	s_cbranch_execz .LBB72_435
; %bb.432:
	v_cmp_ne_u32_e32 vcc, 20, v101
	s_xor_b64 s[20:21], s[6:7], -1
	s_and_b64 s[22:23], s[20:21], vcc
	s_and_saveexec_b64 s[20:21], s[22:23]
	s_cbranch_execz .LBB72_434
; %bb.433:
	buffer_load_dword v109, off, s[24:27], 0 offset:160 ; 4-byte Folded Reload
	buffer_load_dword v110, off, s[24:27], 0 offset:164 ; 4-byte Folded Reload
	v_ashrrev_i32_e32 v102, 31, v101
	v_lshlrev_b64 v[97:98], 2, v[101:102]
	s_waitcnt vmcnt(1)
	v_add_co_u32_e32 v97, vcc, v109, v97
	s_waitcnt vmcnt(0)
	v_addc_co_u32_e32 v98, vcc, v110, v98, vcc
	global_load_dword v0, v[97:98], off
	global_load_dword v99, v[109:110], off offset:80
	s_waitcnt vmcnt(1)
	global_store_dword v[109:110], v0, off offset:80
	s_waitcnt vmcnt(1)
	global_store_dword v[97:98], v99, off
.LBB72_434:
	s_or_b64 exec, exec, s[20:21]
	v_mov_b32_e32 v109, v101
	v_mov_b32_e32 v0, v101
.LBB72_435:
	s_or_b64 exec, exec, s[18:19]
.LBB72_436:
	s_andn2_saveexec_b64 s[0:1], s[0:1]
	s_cbranch_execz .LBB72_438
; %bb.437:
	v_mov_b32_e32 v109, 20
	ds_write2_b64 v103, v[57:58], v[59:60] offset0:42 offset1:43
	ds_write2_b64 v103, v[53:54], v[55:56] offset0:44 offset1:45
	;; [unrolled: 1-line block ×16, first 2 shown]
.LBB72_438:
	s_or_b64 exec, exec, s[0:1]
	v_cmp_lt_i32_e32 vcc, 20, v109
	s_waitcnt vmcnt(0) lgkmcnt(0)
	s_barrier
	s_and_saveexec_b64 s[0:1], vcc
	s_cbranch_execz .LBB72_440
; %bb.439:
	v_mul_f64 v[97:98], v[121:122], v[63:64]
	v_mul_f64 v[63:64], v[123:124], v[63:64]
	v_fma_f64 v[101:102], v[123:124], v[61:62], v[97:98]
	ds_read2_b64 v[97:100], v103 offset0:42 offset1:43
	v_fma_f64 v[61:62], v[121:122], v[61:62], -v[63:64]
	s_waitcnt lgkmcnt(0)
	v_mul_f64 v[63:64], v[99:100], v[101:102]
	v_fma_f64 v[63:64], v[97:98], v[61:62], -v[63:64]
	v_mul_f64 v[97:98], v[97:98], v[101:102]
	v_add_f64 v[57:58], v[57:58], -v[63:64]
	v_fma_f64 v[97:98], v[99:100], v[61:62], v[97:98]
	v_add_f64 v[59:60], v[59:60], -v[97:98]
	ds_read2_b64 v[97:100], v103 offset0:44 offset1:45
	s_waitcnt lgkmcnt(0)
	v_mul_f64 v[63:64], v[99:100], v[101:102]
	v_fma_f64 v[63:64], v[97:98], v[61:62], -v[63:64]
	v_mul_f64 v[97:98], v[97:98], v[101:102]
	v_add_f64 v[53:54], v[53:54], -v[63:64]
	v_fma_f64 v[97:98], v[99:100], v[61:62], v[97:98]
	v_add_f64 v[55:56], v[55:56], -v[97:98]
	ds_read2_b64 v[97:100], v103 offset0:46 offset1:47
	;; [unrolled: 8-line block ×15, first 2 shown]
	s_waitcnt lgkmcnt(0)
	v_mul_f64 v[63:64], v[99:100], v[101:102]
	v_fma_f64 v[63:64], v[97:98], v[61:62], -v[63:64]
	v_mul_f64 v[97:98], v[97:98], v[101:102]
	v_add_f64 v[105:106], v[105:106], -v[63:64]
	v_fma_f64 v[97:98], v[99:100], v[61:62], v[97:98]
	v_mov_b32_e32 v63, v101
	v_mov_b32_e32 v64, v102
	v_add_f64 v[107:108], v[107:108], -v[97:98]
.LBB72_440:
	s_or_b64 exec, exec, s[0:1]
	v_lshl_add_u32 v97, v109, 4, v103
	s_barrier
	ds_write2_b64 v97, v[57:58], v[59:60] offset1:1
	s_waitcnt lgkmcnt(0)
	s_barrier
	ds_read2_b64 v[121:124], v103 offset0:42 offset1:43
	s_cmp_lt_i32 s3, 23
	v_mov_b32_e32 v101, 21
	s_cbranch_scc1 .LBB72_443
; %bb.441:
	v_add_u32_e32 v97, 0x160, v103
	s_mov_b32 s0, 22
	v_mov_b32_e32 v101, 21
.LBB72_442:                             ; =>This Inner Loop Header: Depth=1
	s_waitcnt lgkmcnt(0)
	v_cmp_gt_f64_e32 vcc, 0, v[121:122]
	v_xor_b32_e32 v98, 0x80000000, v122
	ds_read2_b64 v[112:115], v97 offset1:1
	v_xor_b32_e32 v100, 0x80000000, v124
	v_mov_b32_e32 v116, v123
	v_add_u32_e32 v97, 16, v97
	s_waitcnt lgkmcnt(0)
	v_mov_b32_e32 v118, v114
	v_cndmask_b32_e32 v99, v122, v98, vcc
	v_cmp_gt_f64_e32 vcc, 0, v[123:124]
	v_mov_b32_e32 v98, v121
	v_cndmask_b32_e32 v117, v124, v100, vcc
	v_cmp_gt_f64_e32 vcc, 0, v[112:113]
	v_xor_b32_e32 v100, 0x80000000, v113
	v_add_f64 v[98:99], v[98:99], v[116:117]
	v_mov_b32_e32 v116, v112
	v_cndmask_b32_e32 v117, v113, v100, vcc
	v_cmp_gt_f64_e32 vcc, 0, v[114:115]
	v_xor_b32_e32 v100, 0x80000000, v115
	v_cndmask_b32_e32 v119, v115, v100, vcc
	v_add_f64 v[116:117], v[116:117], v[118:119]
	v_cmp_lt_f64_e32 vcc, v[98:99], v[116:117]
	v_mov_b32_e32 v98, s0
	s_add_i32 s0, s0, 1
	s_cmp_lg_u32 s3, s0
	v_cndmask_b32_e32 v122, v122, v113, vcc
	v_cndmask_b32_e32 v121, v121, v112, vcc
	v_cndmask_b32_e32 v124, v124, v115, vcc
	v_cndmask_b32_e32 v123, v123, v114, vcc
	v_cndmask_b32_e32 v101, v101, v98, vcc
	s_cbranch_scc1 .LBB72_442
.LBB72_443:
	s_waitcnt lgkmcnt(0)
	v_cmp_eq_f64_e32 vcc, 0, v[121:122]
	v_cmp_eq_f64_e64 s[0:1], 0, v[123:124]
	s_and_b64 s[0:1], vcc, s[0:1]
	s_and_saveexec_b64 s[18:19], s[0:1]
	s_xor_b64 s[0:1], exec, s[18:19]
; %bb.444:
	v_cmp_ne_u32_e32 vcc, 0, v111
	v_cndmask_b32_e32 v111, 22, v111, vcc
; %bb.445:
	s_andn2_saveexec_b64 s[0:1], s[0:1]
	s_cbranch_execz .LBB72_451
; %bb.446:
	v_cmp_ngt_f64_e64 s[18:19], |v[121:122]|, |v[123:124]|
	s_and_saveexec_b64 s[20:21], s[18:19]
	s_xor_b64 s[18:19], exec, s[20:21]
	s_cbranch_execz .LBB72_448
; %bb.447:
	v_div_scale_f64 v[97:98], s[20:21], v[123:124], v[123:124], v[121:122]
	v_rcp_f64_e32 v[99:100], v[97:98]
	v_fma_f64 v[112:113], -v[97:98], v[99:100], 1.0
	v_fma_f64 v[99:100], v[99:100], v[112:113], v[99:100]
	v_div_scale_f64 v[112:113], vcc, v[121:122], v[123:124], v[121:122]
	v_fma_f64 v[114:115], -v[97:98], v[99:100], 1.0
	v_fma_f64 v[99:100], v[99:100], v[114:115], v[99:100]
	v_mul_f64 v[114:115], v[112:113], v[99:100]
	v_fma_f64 v[97:98], -v[97:98], v[114:115], v[112:113]
	v_div_fmas_f64 v[97:98], v[97:98], v[99:100], v[114:115]
	v_div_fixup_f64 v[97:98], v[97:98], v[123:124], v[121:122]
	v_fma_f64 v[99:100], v[121:122], v[97:98], v[123:124]
	v_div_scale_f64 v[112:113], s[20:21], v[99:100], v[99:100], 1.0
	v_div_scale_f64 v[118:119], vcc, 1.0, v[99:100], 1.0
	v_rcp_f64_e32 v[114:115], v[112:113]
	v_fma_f64 v[116:117], -v[112:113], v[114:115], 1.0
	v_fma_f64 v[114:115], v[114:115], v[116:117], v[114:115]
	v_fma_f64 v[116:117], -v[112:113], v[114:115], 1.0
	v_fma_f64 v[114:115], v[114:115], v[116:117], v[114:115]
	v_mul_f64 v[116:117], v[118:119], v[114:115]
	v_fma_f64 v[112:113], -v[112:113], v[116:117], v[118:119]
	v_div_fmas_f64 v[112:113], v[112:113], v[114:115], v[116:117]
	v_div_fixup_f64 v[123:124], v[112:113], v[99:100], 1.0
	v_mul_f64 v[121:122], v[97:98], v[123:124]
	v_xor_b32_e32 v124, 0x80000000, v124
.LBB72_448:
	s_andn2_saveexec_b64 s[18:19], s[18:19]
	s_cbranch_execz .LBB72_450
; %bb.449:
	v_div_scale_f64 v[97:98], s[20:21], v[121:122], v[121:122], v[123:124]
	v_rcp_f64_e32 v[99:100], v[97:98]
	v_fma_f64 v[112:113], -v[97:98], v[99:100], 1.0
	v_fma_f64 v[99:100], v[99:100], v[112:113], v[99:100]
	v_div_scale_f64 v[112:113], vcc, v[123:124], v[121:122], v[123:124]
	v_fma_f64 v[114:115], -v[97:98], v[99:100], 1.0
	v_fma_f64 v[99:100], v[99:100], v[114:115], v[99:100]
	v_mul_f64 v[114:115], v[112:113], v[99:100]
	v_fma_f64 v[97:98], -v[97:98], v[114:115], v[112:113]
	v_div_fmas_f64 v[97:98], v[97:98], v[99:100], v[114:115]
	v_div_fixup_f64 v[97:98], v[97:98], v[121:122], v[123:124]
	v_fma_f64 v[99:100], v[123:124], v[97:98], v[121:122]
	v_div_scale_f64 v[112:113], s[20:21], v[99:100], v[99:100], 1.0
	v_div_scale_f64 v[118:119], vcc, 1.0, v[99:100], 1.0
	v_rcp_f64_e32 v[114:115], v[112:113]
	v_fma_f64 v[116:117], -v[112:113], v[114:115], 1.0
	v_fma_f64 v[114:115], v[114:115], v[116:117], v[114:115]
	v_fma_f64 v[116:117], -v[112:113], v[114:115], 1.0
	v_fma_f64 v[114:115], v[114:115], v[116:117], v[114:115]
	v_mul_f64 v[116:117], v[118:119], v[114:115]
	v_fma_f64 v[112:113], -v[112:113], v[116:117], v[118:119]
	v_div_fmas_f64 v[112:113], v[112:113], v[114:115], v[116:117]
	v_div_fixup_f64 v[121:122], v[112:113], v[99:100], 1.0
	v_mul_f64 v[123:124], v[97:98], -v[121:122]
.LBB72_450:
	s_or_b64 exec, exec, s[18:19]
.LBB72_451:
	s_or_b64 exec, exec, s[0:1]
	v_cmp_ne_u32_e32 vcc, v109, v101
	s_and_saveexec_b64 s[0:1], vcc
	s_xor_b64 s[0:1], exec, s[0:1]
	s_cbranch_execz .LBB72_457
; %bb.452:
	v_cmp_eq_u32_e32 vcc, 21, v109
	s_and_saveexec_b64 s[18:19], vcc
	s_cbranch_execz .LBB72_456
; %bb.453:
	v_cmp_ne_u32_e32 vcc, 21, v101
	s_xor_b64 s[20:21], s[6:7], -1
	s_and_b64 s[22:23], s[20:21], vcc
	s_and_saveexec_b64 s[20:21], s[22:23]
	s_cbranch_execz .LBB72_455
; %bb.454:
	buffer_load_dword v109, off, s[24:27], 0 offset:160 ; 4-byte Folded Reload
	buffer_load_dword v110, off, s[24:27], 0 offset:164 ; 4-byte Folded Reload
	v_ashrrev_i32_e32 v102, 31, v101
	v_lshlrev_b64 v[97:98], 2, v[101:102]
	s_waitcnt vmcnt(1)
	v_add_co_u32_e32 v97, vcc, v109, v97
	s_waitcnt vmcnt(0)
	v_addc_co_u32_e32 v98, vcc, v110, v98, vcc
	global_load_dword v0, v[97:98], off
	global_load_dword v99, v[109:110], off offset:84
	s_waitcnt vmcnt(1)
	global_store_dword v[109:110], v0, off offset:84
	s_waitcnt vmcnt(1)
	global_store_dword v[97:98], v99, off
.LBB72_455:
	s_or_b64 exec, exec, s[20:21]
	v_mov_b32_e32 v109, v101
	v_mov_b32_e32 v0, v101
.LBB72_456:
	s_or_b64 exec, exec, s[18:19]
.LBB72_457:
	s_andn2_saveexec_b64 s[0:1], s[0:1]
	s_cbranch_execz .LBB72_459
; %bb.458:
	v_mov_b32_e32 v109, 21
	ds_write2_b64 v103, v[53:54], v[55:56] offset0:44 offset1:45
	ds_write2_b64 v103, v[49:50], v[51:52] offset0:46 offset1:47
	;; [unrolled: 1-line block ×15, first 2 shown]
.LBB72_459:
	s_or_b64 exec, exec, s[0:1]
	v_cmp_lt_i32_e32 vcc, 21, v109
	s_waitcnt vmcnt(0) lgkmcnt(0)
	s_barrier
	s_and_saveexec_b64 s[0:1], vcc
	s_cbranch_execz .LBB72_461
; %bb.460:
	v_mul_f64 v[97:98], v[121:122], v[59:60]
	v_mul_f64 v[59:60], v[123:124], v[59:60]
	v_fma_f64 v[101:102], v[123:124], v[57:58], v[97:98]
	ds_read2_b64 v[97:100], v103 offset0:44 offset1:45
	v_fma_f64 v[57:58], v[121:122], v[57:58], -v[59:60]
	s_waitcnt lgkmcnt(0)
	v_mul_f64 v[59:60], v[99:100], v[101:102]
	v_fma_f64 v[59:60], v[97:98], v[57:58], -v[59:60]
	v_mul_f64 v[97:98], v[97:98], v[101:102]
	v_add_f64 v[53:54], v[53:54], -v[59:60]
	v_fma_f64 v[97:98], v[99:100], v[57:58], v[97:98]
	v_add_f64 v[55:56], v[55:56], -v[97:98]
	ds_read2_b64 v[97:100], v103 offset0:46 offset1:47
	s_waitcnt lgkmcnt(0)
	v_mul_f64 v[59:60], v[99:100], v[101:102]
	v_fma_f64 v[59:60], v[97:98], v[57:58], -v[59:60]
	v_mul_f64 v[97:98], v[97:98], v[101:102]
	v_add_f64 v[49:50], v[49:50], -v[59:60]
	v_fma_f64 v[97:98], v[99:100], v[57:58], v[97:98]
	v_add_f64 v[51:52], v[51:52], -v[97:98]
	ds_read2_b64 v[97:100], v103 offset0:48 offset1:49
	;; [unrolled: 8-line block ×14, first 2 shown]
	s_waitcnt lgkmcnt(0)
	v_mul_f64 v[59:60], v[99:100], v[101:102]
	v_fma_f64 v[59:60], v[97:98], v[57:58], -v[59:60]
	v_mul_f64 v[97:98], v[97:98], v[101:102]
	v_add_f64 v[105:106], v[105:106], -v[59:60]
	v_fma_f64 v[97:98], v[99:100], v[57:58], v[97:98]
	v_mov_b32_e32 v59, v101
	v_mov_b32_e32 v60, v102
	v_add_f64 v[107:108], v[107:108], -v[97:98]
.LBB72_461:
	s_or_b64 exec, exec, s[0:1]
	v_lshl_add_u32 v97, v109, 4, v103
	s_barrier
	ds_write2_b64 v97, v[53:54], v[55:56] offset1:1
	s_waitcnt lgkmcnt(0)
	s_barrier
	ds_read2_b64 v[121:124], v103 offset0:44 offset1:45
	s_cmp_lt_i32 s3, 24
	v_mov_b32_e32 v101, 22
	s_cbranch_scc1 .LBB72_464
; %bb.462:
	v_add_u32_e32 v97, 0x170, v103
	s_mov_b32 s0, 23
	v_mov_b32_e32 v101, 22
.LBB72_463:                             ; =>This Inner Loop Header: Depth=1
	s_waitcnt lgkmcnt(0)
	v_cmp_gt_f64_e32 vcc, 0, v[121:122]
	v_xor_b32_e32 v98, 0x80000000, v122
	ds_read2_b64 v[112:115], v97 offset1:1
	v_xor_b32_e32 v100, 0x80000000, v124
	v_mov_b32_e32 v116, v123
	v_add_u32_e32 v97, 16, v97
	s_waitcnt lgkmcnt(0)
	v_mov_b32_e32 v118, v114
	v_cndmask_b32_e32 v99, v122, v98, vcc
	v_cmp_gt_f64_e32 vcc, 0, v[123:124]
	v_mov_b32_e32 v98, v121
	v_cndmask_b32_e32 v117, v124, v100, vcc
	v_cmp_gt_f64_e32 vcc, 0, v[112:113]
	v_xor_b32_e32 v100, 0x80000000, v113
	v_add_f64 v[98:99], v[98:99], v[116:117]
	v_mov_b32_e32 v116, v112
	v_cndmask_b32_e32 v117, v113, v100, vcc
	v_cmp_gt_f64_e32 vcc, 0, v[114:115]
	v_xor_b32_e32 v100, 0x80000000, v115
	v_cndmask_b32_e32 v119, v115, v100, vcc
	v_add_f64 v[116:117], v[116:117], v[118:119]
	v_cmp_lt_f64_e32 vcc, v[98:99], v[116:117]
	v_mov_b32_e32 v98, s0
	s_add_i32 s0, s0, 1
	s_cmp_lg_u32 s3, s0
	v_cndmask_b32_e32 v122, v122, v113, vcc
	v_cndmask_b32_e32 v121, v121, v112, vcc
	;; [unrolled: 1-line block ×5, first 2 shown]
	s_cbranch_scc1 .LBB72_463
.LBB72_464:
	s_waitcnt lgkmcnt(0)
	v_cmp_eq_f64_e32 vcc, 0, v[121:122]
	v_cmp_eq_f64_e64 s[0:1], 0, v[123:124]
	s_and_b64 s[0:1], vcc, s[0:1]
	s_and_saveexec_b64 s[18:19], s[0:1]
	s_xor_b64 s[0:1], exec, s[18:19]
; %bb.465:
	v_cmp_ne_u32_e32 vcc, 0, v111
	v_cndmask_b32_e32 v111, 23, v111, vcc
; %bb.466:
	s_andn2_saveexec_b64 s[0:1], s[0:1]
	s_cbranch_execz .LBB72_472
; %bb.467:
	v_cmp_ngt_f64_e64 s[18:19], |v[121:122]|, |v[123:124]|
	s_and_saveexec_b64 s[20:21], s[18:19]
	s_xor_b64 s[18:19], exec, s[20:21]
	s_cbranch_execz .LBB72_469
; %bb.468:
	v_div_scale_f64 v[97:98], s[20:21], v[123:124], v[123:124], v[121:122]
	v_rcp_f64_e32 v[99:100], v[97:98]
	v_fma_f64 v[112:113], -v[97:98], v[99:100], 1.0
	v_fma_f64 v[99:100], v[99:100], v[112:113], v[99:100]
	v_div_scale_f64 v[112:113], vcc, v[121:122], v[123:124], v[121:122]
	v_fma_f64 v[114:115], -v[97:98], v[99:100], 1.0
	v_fma_f64 v[99:100], v[99:100], v[114:115], v[99:100]
	v_mul_f64 v[114:115], v[112:113], v[99:100]
	v_fma_f64 v[97:98], -v[97:98], v[114:115], v[112:113]
	v_div_fmas_f64 v[97:98], v[97:98], v[99:100], v[114:115]
	v_div_fixup_f64 v[97:98], v[97:98], v[123:124], v[121:122]
	v_fma_f64 v[99:100], v[121:122], v[97:98], v[123:124]
	v_div_scale_f64 v[112:113], s[20:21], v[99:100], v[99:100], 1.0
	v_div_scale_f64 v[118:119], vcc, 1.0, v[99:100], 1.0
	v_rcp_f64_e32 v[114:115], v[112:113]
	v_fma_f64 v[116:117], -v[112:113], v[114:115], 1.0
	v_fma_f64 v[114:115], v[114:115], v[116:117], v[114:115]
	v_fma_f64 v[116:117], -v[112:113], v[114:115], 1.0
	v_fma_f64 v[114:115], v[114:115], v[116:117], v[114:115]
	v_mul_f64 v[116:117], v[118:119], v[114:115]
	v_fma_f64 v[112:113], -v[112:113], v[116:117], v[118:119]
	v_div_fmas_f64 v[112:113], v[112:113], v[114:115], v[116:117]
	v_div_fixup_f64 v[123:124], v[112:113], v[99:100], 1.0
	v_mul_f64 v[121:122], v[97:98], v[123:124]
	v_xor_b32_e32 v124, 0x80000000, v124
.LBB72_469:
	s_andn2_saveexec_b64 s[18:19], s[18:19]
	s_cbranch_execz .LBB72_471
; %bb.470:
	v_div_scale_f64 v[97:98], s[20:21], v[121:122], v[121:122], v[123:124]
	v_rcp_f64_e32 v[99:100], v[97:98]
	v_fma_f64 v[112:113], -v[97:98], v[99:100], 1.0
	v_fma_f64 v[99:100], v[99:100], v[112:113], v[99:100]
	v_div_scale_f64 v[112:113], vcc, v[123:124], v[121:122], v[123:124]
	v_fma_f64 v[114:115], -v[97:98], v[99:100], 1.0
	v_fma_f64 v[99:100], v[99:100], v[114:115], v[99:100]
	v_mul_f64 v[114:115], v[112:113], v[99:100]
	v_fma_f64 v[97:98], -v[97:98], v[114:115], v[112:113]
	v_div_fmas_f64 v[97:98], v[97:98], v[99:100], v[114:115]
	v_div_fixup_f64 v[97:98], v[97:98], v[121:122], v[123:124]
	v_fma_f64 v[99:100], v[123:124], v[97:98], v[121:122]
	v_div_scale_f64 v[112:113], s[20:21], v[99:100], v[99:100], 1.0
	v_div_scale_f64 v[118:119], vcc, 1.0, v[99:100], 1.0
	v_rcp_f64_e32 v[114:115], v[112:113]
	v_fma_f64 v[116:117], -v[112:113], v[114:115], 1.0
	v_fma_f64 v[114:115], v[114:115], v[116:117], v[114:115]
	v_fma_f64 v[116:117], -v[112:113], v[114:115], 1.0
	v_fma_f64 v[114:115], v[114:115], v[116:117], v[114:115]
	v_mul_f64 v[116:117], v[118:119], v[114:115]
	v_fma_f64 v[112:113], -v[112:113], v[116:117], v[118:119]
	v_div_fmas_f64 v[112:113], v[112:113], v[114:115], v[116:117]
	v_div_fixup_f64 v[121:122], v[112:113], v[99:100], 1.0
	v_mul_f64 v[123:124], v[97:98], -v[121:122]
.LBB72_471:
	s_or_b64 exec, exec, s[18:19]
.LBB72_472:
	s_or_b64 exec, exec, s[0:1]
	v_cmp_ne_u32_e32 vcc, v109, v101
	s_and_saveexec_b64 s[0:1], vcc
	s_xor_b64 s[0:1], exec, s[0:1]
	s_cbranch_execz .LBB72_478
; %bb.473:
	v_cmp_eq_u32_e32 vcc, 22, v109
	s_and_saveexec_b64 s[18:19], vcc
	s_cbranch_execz .LBB72_477
; %bb.474:
	v_cmp_ne_u32_e32 vcc, 22, v101
	s_xor_b64 s[20:21], s[6:7], -1
	s_and_b64 s[22:23], s[20:21], vcc
	s_and_saveexec_b64 s[20:21], s[22:23]
	s_cbranch_execz .LBB72_476
; %bb.475:
	buffer_load_dword v109, off, s[24:27], 0 offset:160 ; 4-byte Folded Reload
	buffer_load_dword v110, off, s[24:27], 0 offset:164 ; 4-byte Folded Reload
	v_ashrrev_i32_e32 v102, 31, v101
	v_lshlrev_b64 v[97:98], 2, v[101:102]
	s_waitcnt vmcnt(1)
	v_add_co_u32_e32 v97, vcc, v109, v97
	s_waitcnt vmcnt(0)
	v_addc_co_u32_e32 v98, vcc, v110, v98, vcc
	global_load_dword v0, v[97:98], off
	global_load_dword v99, v[109:110], off offset:88
	s_waitcnt vmcnt(1)
	global_store_dword v[109:110], v0, off offset:88
	s_waitcnt vmcnt(1)
	global_store_dword v[97:98], v99, off
.LBB72_476:
	s_or_b64 exec, exec, s[20:21]
	v_mov_b32_e32 v109, v101
	v_mov_b32_e32 v0, v101
.LBB72_477:
	s_or_b64 exec, exec, s[18:19]
.LBB72_478:
	s_andn2_saveexec_b64 s[0:1], s[0:1]
	s_cbranch_execz .LBB72_480
; %bb.479:
	v_mov_b32_e32 v109, 22
	ds_write2_b64 v103, v[49:50], v[51:52] offset0:46 offset1:47
	ds_write2_b64 v103, v[45:46], v[47:48] offset0:48 offset1:49
	;; [unrolled: 1-line block ×14, first 2 shown]
.LBB72_480:
	s_or_b64 exec, exec, s[0:1]
	v_cmp_lt_i32_e32 vcc, 22, v109
	s_waitcnt vmcnt(0) lgkmcnt(0)
	s_barrier
	s_and_saveexec_b64 s[0:1], vcc
	s_cbranch_execz .LBB72_482
; %bb.481:
	v_mul_f64 v[97:98], v[121:122], v[55:56]
	v_mul_f64 v[55:56], v[123:124], v[55:56]
	v_fma_f64 v[101:102], v[123:124], v[53:54], v[97:98]
	ds_read2_b64 v[97:100], v103 offset0:46 offset1:47
	v_fma_f64 v[53:54], v[121:122], v[53:54], -v[55:56]
	s_waitcnt lgkmcnt(0)
	v_mul_f64 v[55:56], v[99:100], v[101:102]
	v_fma_f64 v[55:56], v[97:98], v[53:54], -v[55:56]
	v_mul_f64 v[97:98], v[97:98], v[101:102]
	v_add_f64 v[49:50], v[49:50], -v[55:56]
	v_fma_f64 v[97:98], v[99:100], v[53:54], v[97:98]
	v_add_f64 v[51:52], v[51:52], -v[97:98]
	ds_read2_b64 v[97:100], v103 offset0:48 offset1:49
	s_waitcnt lgkmcnt(0)
	v_mul_f64 v[55:56], v[99:100], v[101:102]
	v_fma_f64 v[55:56], v[97:98], v[53:54], -v[55:56]
	v_mul_f64 v[97:98], v[97:98], v[101:102]
	v_add_f64 v[45:46], v[45:46], -v[55:56]
	v_fma_f64 v[97:98], v[99:100], v[53:54], v[97:98]
	v_add_f64 v[47:48], v[47:48], -v[97:98]
	ds_read2_b64 v[97:100], v103 offset0:50 offset1:51
	;; [unrolled: 8-line block ×13, first 2 shown]
	s_waitcnt lgkmcnt(0)
	v_mul_f64 v[55:56], v[99:100], v[101:102]
	v_fma_f64 v[55:56], v[97:98], v[53:54], -v[55:56]
	v_mul_f64 v[97:98], v[97:98], v[101:102]
	v_add_f64 v[105:106], v[105:106], -v[55:56]
	v_fma_f64 v[97:98], v[99:100], v[53:54], v[97:98]
	v_mov_b32_e32 v55, v101
	v_mov_b32_e32 v56, v102
	v_add_f64 v[107:108], v[107:108], -v[97:98]
.LBB72_482:
	s_or_b64 exec, exec, s[0:1]
	v_lshl_add_u32 v97, v109, 4, v103
	s_barrier
	ds_write2_b64 v97, v[49:50], v[51:52] offset1:1
	s_waitcnt lgkmcnt(0)
	s_barrier
	ds_read2_b64 v[121:124], v103 offset0:46 offset1:47
	s_cmp_lt_i32 s3, 25
	v_mov_b32_e32 v101, 23
	s_cbranch_scc1 .LBB72_485
; %bb.483:
	v_add_u32_e32 v97, 0x180, v103
	s_mov_b32 s0, 24
	v_mov_b32_e32 v101, 23
.LBB72_484:                             ; =>This Inner Loop Header: Depth=1
	s_waitcnt lgkmcnt(0)
	v_cmp_gt_f64_e32 vcc, 0, v[121:122]
	v_xor_b32_e32 v98, 0x80000000, v122
	ds_read2_b64 v[112:115], v97 offset1:1
	v_xor_b32_e32 v100, 0x80000000, v124
	v_mov_b32_e32 v116, v123
	v_add_u32_e32 v97, 16, v97
	s_waitcnt lgkmcnt(0)
	v_mov_b32_e32 v118, v114
	v_cndmask_b32_e32 v99, v122, v98, vcc
	v_cmp_gt_f64_e32 vcc, 0, v[123:124]
	v_mov_b32_e32 v98, v121
	v_cndmask_b32_e32 v117, v124, v100, vcc
	v_cmp_gt_f64_e32 vcc, 0, v[112:113]
	v_xor_b32_e32 v100, 0x80000000, v113
	v_add_f64 v[98:99], v[98:99], v[116:117]
	v_mov_b32_e32 v116, v112
	v_cndmask_b32_e32 v117, v113, v100, vcc
	v_cmp_gt_f64_e32 vcc, 0, v[114:115]
	v_xor_b32_e32 v100, 0x80000000, v115
	v_cndmask_b32_e32 v119, v115, v100, vcc
	v_add_f64 v[116:117], v[116:117], v[118:119]
	v_cmp_lt_f64_e32 vcc, v[98:99], v[116:117]
	v_mov_b32_e32 v98, s0
	s_add_i32 s0, s0, 1
	s_cmp_lg_u32 s3, s0
	v_cndmask_b32_e32 v122, v122, v113, vcc
	v_cndmask_b32_e32 v121, v121, v112, vcc
	;; [unrolled: 1-line block ×5, first 2 shown]
	s_cbranch_scc1 .LBB72_484
.LBB72_485:
	s_waitcnt lgkmcnt(0)
	v_cmp_eq_f64_e32 vcc, 0, v[121:122]
	v_cmp_eq_f64_e64 s[0:1], 0, v[123:124]
	s_and_b64 s[0:1], vcc, s[0:1]
	s_and_saveexec_b64 s[18:19], s[0:1]
	s_xor_b64 s[0:1], exec, s[18:19]
; %bb.486:
	v_cmp_ne_u32_e32 vcc, 0, v111
	v_cndmask_b32_e32 v111, 24, v111, vcc
; %bb.487:
	s_andn2_saveexec_b64 s[0:1], s[0:1]
	s_cbranch_execz .LBB72_493
; %bb.488:
	v_cmp_ngt_f64_e64 s[18:19], |v[121:122]|, |v[123:124]|
	s_and_saveexec_b64 s[20:21], s[18:19]
	s_xor_b64 s[18:19], exec, s[20:21]
	s_cbranch_execz .LBB72_490
; %bb.489:
	v_div_scale_f64 v[97:98], s[20:21], v[123:124], v[123:124], v[121:122]
	v_rcp_f64_e32 v[99:100], v[97:98]
	v_fma_f64 v[112:113], -v[97:98], v[99:100], 1.0
	v_fma_f64 v[99:100], v[99:100], v[112:113], v[99:100]
	v_div_scale_f64 v[112:113], vcc, v[121:122], v[123:124], v[121:122]
	v_fma_f64 v[114:115], -v[97:98], v[99:100], 1.0
	v_fma_f64 v[99:100], v[99:100], v[114:115], v[99:100]
	v_mul_f64 v[114:115], v[112:113], v[99:100]
	v_fma_f64 v[97:98], -v[97:98], v[114:115], v[112:113]
	v_div_fmas_f64 v[97:98], v[97:98], v[99:100], v[114:115]
	v_div_fixup_f64 v[97:98], v[97:98], v[123:124], v[121:122]
	v_fma_f64 v[99:100], v[121:122], v[97:98], v[123:124]
	v_div_scale_f64 v[112:113], s[20:21], v[99:100], v[99:100], 1.0
	v_div_scale_f64 v[118:119], vcc, 1.0, v[99:100], 1.0
	v_rcp_f64_e32 v[114:115], v[112:113]
	v_fma_f64 v[116:117], -v[112:113], v[114:115], 1.0
	v_fma_f64 v[114:115], v[114:115], v[116:117], v[114:115]
	v_fma_f64 v[116:117], -v[112:113], v[114:115], 1.0
	v_fma_f64 v[114:115], v[114:115], v[116:117], v[114:115]
	v_mul_f64 v[116:117], v[118:119], v[114:115]
	v_fma_f64 v[112:113], -v[112:113], v[116:117], v[118:119]
	v_div_fmas_f64 v[112:113], v[112:113], v[114:115], v[116:117]
	v_div_fixup_f64 v[123:124], v[112:113], v[99:100], 1.0
	v_mul_f64 v[121:122], v[97:98], v[123:124]
	v_xor_b32_e32 v124, 0x80000000, v124
.LBB72_490:
	s_andn2_saveexec_b64 s[18:19], s[18:19]
	s_cbranch_execz .LBB72_492
; %bb.491:
	v_div_scale_f64 v[97:98], s[20:21], v[121:122], v[121:122], v[123:124]
	v_rcp_f64_e32 v[99:100], v[97:98]
	v_fma_f64 v[112:113], -v[97:98], v[99:100], 1.0
	v_fma_f64 v[99:100], v[99:100], v[112:113], v[99:100]
	v_div_scale_f64 v[112:113], vcc, v[123:124], v[121:122], v[123:124]
	v_fma_f64 v[114:115], -v[97:98], v[99:100], 1.0
	v_fma_f64 v[99:100], v[99:100], v[114:115], v[99:100]
	v_mul_f64 v[114:115], v[112:113], v[99:100]
	v_fma_f64 v[97:98], -v[97:98], v[114:115], v[112:113]
	v_div_fmas_f64 v[97:98], v[97:98], v[99:100], v[114:115]
	v_div_fixup_f64 v[97:98], v[97:98], v[121:122], v[123:124]
	v_fma_f64 v[99:100], v[123:124], v[97:98], v[121:122]
	v_div_scale_f64 v[112:113], s[20:21], v[99:100], v[99:100], 1.0
	v_div_scale_f64 v[118:119], vcc, 1.0, v[99:100], 1.0
	v_rcp_f64_e32 v[114:115], v[112:113]
	v_fma_f64 v[116:117], -v[112:113], v[114:115], 1.0
	v_fma_f64 v[114:115], v[114:115], v[116:117], v[114:115]
	v_fma_f64 v[116:117], -v[112:113], v[114:115], 1.0
	v_fma_f64 v[114:115], v[114:115], v[116:117], v[114:115]
	v_mul_f64 v[116:117], v[118:119], v[114:115]
	v_fma_f64 v[112:113], -v[112:113], v[116:117], v[118:119]
	v_div_fmas_f64 v[112:113], v[112:113], v[114:115], v[116:117]
	v_div_fixup_f64 v[121:122], v[112:113], v[99:100], 1.0
	v_mul_f64 v[123:124], v[97:98], -v[121:122]
.LBB72_492:
	s_or_b64 exec, exec, s[18:19]
.LBB72_493:
	s_or_b64 exec, exec, s[0:1]
	v_cmp_ne_u32_e32 vcc, v109, v101
	s_and_saveexec_b64 s[0:1], vcc
	s_xor_b64 s[0:1], exec, s[0:1]
	s_cbranch_execz .LBB72_499
; %bb.494:
	v_cmp_eq_u32_e32 vcc, 23, v109
	s_and_saveexec_b64 s[18:19], vcc
	s_cbranch_execz .LBB72_498
; %bb.495:
	v_cmp_ne_u32_e32 vcc, 23, v101
	s_xor_b64 s[20:21], s[6:7], -1
	s_and_b64 s[22:23], s[20:21], vcc
	s_and_saveexec_b64 s[20:21], s[22:23]
	s_cbranch_execz .LBB72_497
; %bb.496:
	buffer_load_dword v109, off, s[24:27], 0 offset:160 ; 4-byte Folded Reload
	buffer_load_dword v110, off, s[24:27], 0 offset:164 ; 4-byte Folded Reload
	v_ashrrev_i32_e32 v102, 31, v101
	v_lshlrev_b64 v[97:98], 2, v[101:102]
	s_waitcnt vmcnt(1)
	v_add_co_u32_e32 v97, vcc, v109, v97
	s_waitcnt vmcnt(0)
	v_addc_co_u32_e32 v98, vcc, v110, v98, vcc
	global_load_dword v0, v[97:98], off
	global_load_dword v99, v[109:110], off offset:92
	s_waitcnt vmcnt(1)
	global_store_dword v[109:110], v0, off offset:92
	s_waitcnt vmcnt(1)
	global_store_dword v[97:98], v99, off
.LBB72_497:
	s_or_b64 exec, exec, s[20:21]
	v_mov_b32_e32 v109, v101
	v_mov_b32_e32 v0, v101
.LBB72_498:
	s_or_b64 exec, exec, s[18:19]
.LBB72_499:
	s_andn2_saveexec_b64 s[0:1], s[0:1]
	s_cbranch_execz .LBB72_501
; %bb.500:
	v_mov_b32_e32 v109, 23
	ds_write2_b64 v103, v[45:46], v[47:48] offset0:48 offset1:49
	ds_write2_b64 v103, v[41:42], v[43:44] offset0:50 offset1:51
	;; [unrolled: 1-line block ×13, first 2 shown]
.LBB72_501:
	s_or_b64 exec, exec, s[0:1]
	v_cmp_lt_i32_e32 vcc, 23, v109
	s_waitcnt vmcnt(0) lgkmcnt(0)
	s_barrier
	s_and_saveexec_b64 s[0:1], vcc
	s_cbranch_execz .LBB72_503
; %bb.502:
	v_mul_f64 v[97:98], v[121:122], v[51:52]
	v_mul_f64 v[51:52], v[123:124], v[51:52]
	v_fma_f64 v[101:102], v[123:124], v[49:50], v[97:98]
	ds_read2_b64 v[97:100], v103 offset0:48 offset1:49
	v_fma_f64 v[49:50], v[121:122], v[49:50], -v[51:52]
	s_waitcnt lgkmcnt(0)
	v_mul_f64 v[51:52], v[99:100], v[101:102]
	v_fma_f64 v[51:52], v[97:98], v[49:50], -v[51:52]
	v_mul_f64 v[97:98], v[97:98], v[101:102]
	v_add_f64 v[45:46], v[45:46], -v[51:52]
	v_fma_f64 v[97:98], v[99:100], v[49:50], v[97:98]
	v_add_f64 v[47:48], v[47:48], -v[97:98]
	ds_read2_b64 v[97:100], v103 offset0:50 offset1:51
	s_waitcnt lgkmcnt(0)
	v_mul_f64 v[51:52], v[99:100], v[101:102]
	v_fma_f64 v[51:52], v[97:98], v[49:50], -v[51:52]
	v_mul_f64 v[97:98], v[97:98], v[101:102]
	v_add_f64 v[41:42], v[41:42], -v[51:52]
	v_fma_f64 v[97:98], v[99:100], v[49:50], v[97:98]
	v_add_f64 v[43:44], v[43:44], -v[97:98]
	ds_read2_b64 v[97:100], v103 offset0:52 offset1:53
	;; [unrolled: 8-line block ×12, first 2 shown]
	s_waitcnt lgkmcnt(0)
	v_mul_f64 v[51:52], v[99:100], v[101:102]
	v_fma_f64 v[51:52], v[97:98], v[49:50], -v[51:52]
	v_mul_f64 v[97:98], v[97:98], v[101:102]
	v_add_f64 v[105:106], v[105:106], -v[51:52]
	v_fma_f64 v[97:98], v[99:100], v[49:50], v[97:98]
	v_mov_b32_e32 v51, v101
	v_mov_b32_e32 v52, v102
	v_add_f64 v[107:108], v[107:108], -v[97:98]
.LBB72_503:
	s_or_b64 exec, exec, s[0:1]
	v_lshl_add_u32 v97, v109, 4, v103
	s_barrier
	ds_write2_b64 v97, v[45:46], v[47:48] offset1:1
	s_waitcnt lgkmcnt(0)
	s_barrier
	ds_read2_b64 v[121:124], v103 offset0:48 offset1:49
	s_cmp_lt_i32 s3, 26
	v_mov_b32_e32 v101, 24
	s_cbranch_scc1 .LBB72_506
; %bb.504:
	v_add_u32_e32 v97, 0x190, v103
	s_mov_b32 s0, 25
	v_mov_b32_e32 v101, 24
.LBB72_505:                             ; =>This Inner Loop Header: Depth=1
	s_waitcnt lgkmcnt(0)
	v_cmp_gt_f64_e32 vcc, 0, v[121:122]
	v_xor_b32_e32 v98, 0x80000000, v122
	ds_read2_b64 v[112:115], v97 offset1:1
	v_xor_b32_e32 v100, 0x80000000, v124
	v_mov_b32_e32 v116, v123
	v_add_u32_e32 v97, 16, v97
	s_waitcnt lgkmcnt(0)
	v_mov_b32_e32 v118, v114
	v_cndmask_b32_e32 v99, v122, v98, vcc
	v_cmp_gt_f64_e32 vcc, 0, v[123:124]
	v_mov_b32_e32 v98, v121
	v_cndmask_b32_e32 v117, v124, v100, vcc
	v_cmp_gt_f64_e32 vcc, 0, v[112:113]
	v_xor_b32_e32 v100, 0x80000000, v113
	v_add_f64 v[98:99], v[98:99], v[116:117]
	v_mov_b32_e32 v116, v112
	v_cndmask_b32_e32 v117, v113, v100, vcc
	v_cmp_gt_f64_e32 vcc, 0, v[114:115]
	v_xor_b32_e32 v100, 0x80000000, v115
	v_cndmask_b32_e32 v119, v115, v100, vcc
	v_add_f64 v[116:117], v[116:117], v[118:119]
	v_cmp_lt_f64_e32 vcc, v[98:99], v[116:117]
	v_mov_b32_e32 v98, s0
	s_add_i32 s0, s0, 1
	s_cmp_lg_u32 s3, s0
	v_cndmask_b32_e32 v122, v122, v113, vcc
	v_cndmask_b32_e32 v121, v121, v112, vcc
	;; [unrolled: 1-line block ×5, first 2 shown]
	s_cbranch_scc1 .LBB72_505
.LBB72_506:
	s_waitcnt lgkmcnt(0)
	v_cmp_eq_f64_e32 vcc, 0, v[121:122]
	v_cmp_eq_f64_e64 s[0:1], 0, v[123:124]
	s_and_b64 s[0:1], vcc, s[0:1]
	s_and_saveexec_b64 s[18:19], s[0:1]
	s_xor_b64 s[0:1], exec, s[18:19]
; %bb.507:
	v_cmp_ne_u32_e32 vcc, 0, v111
	v_cndmask_b32_e32 v111, 25, v111, vcc
; %bb.508:
	s_andn2_saveexec_b64 s[0:1], s[0:1]
	s_cbranch_execz .LBB72_514
; %bb.509:
	v_cmp_ngt_f64_e64 s[18:19], |v[121:122]|, |v[123:124]|
	s_and_saveexec_b64 s[20:21], s[18:19]
	s_xor_b64 s[18:19], exec, s[20:21]
	s_cbranch_execz .LBB72_511
; %bb.510:
	v_div_scale_f64 v[97:98], s[20:21], v[123:124], v[123:124], v[121:122]
	v_rcp_f64_e32 v[99:100], v[97:98]
	v_fma_f64 v[112:113], -v[97:98], v[99:100], 1.0
	v_fma_f64 v[99:100], v[99:100], v[112:113], v[99:100]
	v_div_scale_f64 v[112:113], vcc, v[121:122], v[123:124], v[121:122]
	v_fma_f64 v[114:115], -v[97:98], v[99:100], 1.0
	v_fma_f64 v[99:100], v[99:100], v[114:115], v[99:100]
	v_mul_f64 v[114:115], v[112:113], v[99:100]
	v_fma_f64 v[97:98], -v[97:98], v[114:115], v[112:113]
	v_div_fmas_f64 v[97:98], v[97:98], v[99:100], v[114:115]
	v_div_fixup_f64 v[97:98], v[97:98], v[123:124], v[121:122]
	v_fma_f64 v[99:100], v[121:122], v[97:98], v[123:124]
	v_div_scale_f64 v[112:113], s[20:21], v[99:100], v[99:100], 1.0
	v_div_scale_f64 v[118:119], vcc, 1.0, v[99:100], 1.0
	v_rcp_f64_e32 v[114:115], v[112:113]
	v_fma_f64 v[116:117], -v[112:113], v[114:115], 1.0
	v_fma_f64 v[114:115], v[114:115], v[116:117], v[114:115]
	v_fma_f64 v[116:117], -v[112:113], v[114:115], 1.0
	v_fma_f64 v[114:115], v[114:115], v[116:117], v[114:115]
	v_mul_f64 v[116:117], v[118:119], v[114:115]
	v_fma_f64 v[112:113], -v[112:113], v[116:117], v[118:119]
	v_div_fmas_f64 v[112:113], v[112:113], v[114:115], v[116:117]
	v_div_fixup_f64 v[123:124], v[112:113], v[99:100], 1.0
	v_mul_f64 v[121:122], v[97:98], v[123:124]
	v_xor_b32_e32 v124, 0x80000000, v124
.LBB72_511:
	s_andn2_saveexec_b64 s[18:19], s[18:19]
	s_cbranch_execz .LBB72_513
; %bb.512:
	v_div_scale_f64 v[97:98], s[20:21], v[121:122], v[121:122], v[123:124]
	v_rcp_f64_e32 v[99:100], v[97:98]
	v_fma_f64 v[112:113], -v[97:98], v[99:100], 1.0
	v_fma_f64 v[99:100], v[99:100], v[112:113], v[99:100]
	v_div_scale_f64 v[112:113], vcc, v[123:124], v[121:122], v[123:124]
	v_fma_f64 v[114:115], -v[97:98], v[99:100], 1.0
	v_fma_f64 v[99:100], v[99:100], v[114:115], v[99:100]
	v_mul_f64 v[114:115], v[112:113], v[99:100]
	v_fma_f64 v[97:98], -v[97:98], v[114:115], v[112:113]
	v_div_fmas_f64 v[97:98], v[97:98], v[99:100], v[114:115]
	v_div_fixup_f64 v[97:98], v[97:98], v[121:122], v[123:124]
	v_fma_f64 v[99:100], v[123:124], v[97:98], v[121:122]
	v_div_scale_f64 v[112:113], s[20:21], v[99:100], v[99:100], 1.0
	v_div_scale_f64 v[118:119], vcc, 1.0, v[99:100], 1.0
	v_rcp_f64_e32 v[114:115], v[112:113]
	v_fma_f64 v[116:117], -v[112:113], v[114:115], 1.0
	v_fma_f64 v[114:115], v[114:115], v[116:117], v[114:115]
	v_fma_f64 v[116:117], -v[112:113], v[114:115], 1.0
	v_fma_f64 v[114:115], v[114:115], v[116:117], v[114:115]
	v_mul_f64 v[116:117], v[118:119], v[114:115]
	v_fma_f64 v[112:113], -v[112:113], v[116:117], v[118:119]
	v_div_fmas_f64 v[112:113], v[112:113], v[114:115], v[116:117]
	v_div_fixup_f64 v[121:122], v[112:113], v[99:100], 1.0
	v_mul_f64 v[123:124], v[97:98], -v[121:122]
.LBB72_513:
	s_or_b64 exec, exec, s[18:19]
.LBB72_514:
	s_or_b64 exec, exec, s[0:1]
	v_cmp_ne_u32_e32 vcc, v109, v101
	s_and_saveexec_b64 s[0:1], vcc
	s_xor_b64 s[0:1], exec, s[0:1]
	s_cbranch_execz .LBB72_520
; %bb.515:
	v_cmp_eq_u32_e32 vcc, 24, v109
	s_and_saveexec_b64 s[18:19], vcc
	s_cbranch_execz .LBB72_519
; %bb.516:
	v_cmp_ne_u32_e32 vcc, 24, v101
	s_xor_b64 s[20:21], s[6:7], -1
	s_and_b64 s[22:23], s[20:21], vcc
	s_and_saveexec_b64 s[20:21], s[22:23]
	s_cbranch_execz .LBB72_518
; %bb.517:
	buffer_load_dword v109, off, s[24:27], 0 offset:160 ; 4-byte Folded Reload
	buffer_load_dword v110, off, s[24:27], 0 offset:164 ; 4-byte Folded Reload
	v_ashrrev_i32_e32 v102, 31, v101
	v_lshlrev_b64 v[97:98], 2, v[101:102]
	s_waitcnt vmcnt(1)
	v_add_co_u32_e32 v97, vcc, v109, v97
	s_waitcnt vmcnt(0)
	v_addc_co_u32_e32 v98, vcc, v110, v98, vcc
	global_load_dword v0, v[97:98], off
	global_load_dword v99, v[109:110], off offset:96
	s_waitcnt vmcnt(1)
	global_store_dword v[109:110], v0, off offset:96
	s_waitcnt vmcnt(1)
	global_store_dword v[97:98], v99, off
.LBB72_518:
	s_or_b64 exec, exec, s[20:21]
	v_mov_b32_e32 v109, v101
	v_mov_b32_e32 v0, v101
.LBB72_519:
	s_or_b64 exec, exec, s[18:19]
.LBB72_520:
	s_andn2_saveexec_b64 s[0:1], s[0:1]
	s_cbranch_execz .LBB72_522
; %bb.521:
	v_mov_b32_e32 v109, 24
	ds_write2_b64 v103, v[41:42], v[43:44] offset0:50 offset1:51
	ds_write2_b64 v103, v[37:38], v[39:40] offset0:52 offset1:53
	;; [unrolled: 1-line block ×12, first 2 shown]
.LBB72_522:
	s_or_b64 exec, exec, s[0:1]
	v_cmp_lt_i32_e32 vcc, 24, v109
	s_waitcnt vmcnt(0) lgkmcnt(0)
	s_barrier
	s_and_saveexec_b64 s[0:1], vcc
	s_cbranch_execz .LBB72_524
; %bb.523:
	v_mul_f64 v[97:98], v[121:122], v[47:48]
	v_mul_f64 v[47:48], v[123:124], v[47:48]
	v_fma_f64 v[101:102], v[123:124], v[45:46], v[97:98]
	ds_read2_b64 v[97:100], v103 offset0:50 offset1:51
	v_fma_f64 v[45:46], v[121:122], v[45:46], -v[47:48]
	s_waitcnt lgkmcnt(0)
	v_mul_f64 v[47:48], v[99:100], v[101:102]
	v_fma_f64 v[47:48], v[97:98], v[45:46], -v[47:48]
	v_mul_f64 v[97:98], v[97:98], v[101:102]
	v_add_f64 v[41:42], v[41:42], -v[47:48]
	v_fma_f64 v[97:98], v[99:100], v[45:46], v[97:98]
	v_add_f64 v[43:44], v[43:44], -v[97:98]
	ds_read2_b64 v[97:100], v103 offset0:52 offset1:53
	s_waitcnt lgkmcnt(0)
	v_mul_f64 v[47:48], v[99:100], v[101:102]
	v_fma_f64 v[47:48], v[97:98], v[45:46], -v[47:48]
	v_mul_f64 v[97:98], v[97:98], v[101:102]
	v_add_f64 v[37:38], v[37:38], -v[47:48]
	v_fma_f64 v[97:98], v[99:100], v[45:46], v[97:98]
	v_add_f64 v[39:40], v[39:40], -v[97:98]
	ds_read2_b64 v[97:100], v103 offset0:54 offset1:55
	;; [unrolled: 8-line block ×11, first 2 shown]
	s_waitcnt lgkmcnt(0)
	v_mul_f64 v[47:48], v[99:100], v[101:102]
	v_fma_f64 v[47:48], v[97:98], v[45:46], -v[47:48]
	v_mul_f64 v[97:98], v[97:98], v[101:102]
	v_add_f64 v[105:106], v[105:106], -v[47:48]
	v_fma_f64 v[97:98], v[99:100], v[45:46], v[97:98]
	v_mov_b32_e32 v47, v101
	v_mov_b32_e32 v48, v102
	v_add_f64 v[107:108], v[107:108], -v[97:98]
.LBB72_524:
	s_or_b64 exec, exec, s[0:1]
	v_lshl_add_u32 v97, v109, 4, v103
	s_barrier
	ds_write2_b64 v97, v[41:42], v[43:44] offset1:1
	s_waitcnt lgkmcnt(0)
	s_barrier
	ds_read2_b64 v[121:124], v103 offset0:50 offset1:51
	s_cmp_lt_i32 s3, 27
	v_mov_b32_e32 v101, 25
	s_cbranch_scc1 .LBB72_527
; %bb.525:
	v_add_u32_e32 v97, 0x1a0, v103
	s_mov_b32 s0, 26
	v_mov_b32_e32 v101, 25
.LBB72_526:                             ; =>This Inner Loop Header: Depth=1
	s_waitcnt lgkmcnt(0)
	v_cmp_gt_f64_e32 vcc, 0, v[121:122]
	v_xor_b32_e32 v98, 0x80000000, v122
	ds_read2_b64 v[112:115], v97 offset1:1
	v_xor_b32_e32 v100, 0x80000000, v124
	v_mov_b32_e32 v116, v123
	v_add_u32_e32 v97, 16, v97
	s_waitcnt lgkmcnt(0)
	v_mov_b32_e32 v118, v114
	v_cndmask_b32_e32 v99, v122, v98, vcc
	v_cmp_gt_f64_e32 vcc, 0, v[123:124]
	v_mov_b32_e32 v98, v121
	v_cndmask_b32_e32 v117, v124, v100, vcc
	v_cmp_gt_f64_e32 vcc, 0, v[112:113]
	v_xor_b32_e32 v100, 0x80000000, v113
	v_add_f64 v[98:99], v[98:99], v[116:117]
	v_mov_b32_e32 v116, v112
	v_cndmask_b32_e32 v117, v113, v100, vcc
	v_cmp_gt_f64_e32 vcc, 0, v[114:115]
	v_xor_b32_e32 v100, 0x80000000, v115
	v_cndmask_b32_e32 v119, v115, v100, vcc
	v_add_f64 v[116:117], v[116:117], v[118:119]
	v_cmp_lt_f64_e32 vcc, v[98:99], v[116:117]
	v_mov_b32_e32 v98, s0
	s_add_i32 s0, s0, 1
	s_cmp_lg_u32 s3, s0
	v_cndmask_b32_e32 v122, v122, v113, vcc
	v_cndmask_b32_e32 v121, v121, v112, vcc
	;; [unrolled: 1-line block ×5, first 2 shown]
	s_cbranch_scc1 .LBB72_526
.LBB72_527:
	s_waitcnt lgkmcnt(0)
	v_cmp_eq_f64_e32 vcc, 0, v[121:122]
	v_cmp_eq_f64_e64 s[0:1], 0, v[123:124]
	s_and_b64 s[0:1], vcc, s[0:1]
	s_and_saveexec_b64 s[18:19], s[0:1]
	s_xor_b64 s[0:1], exec, s[18:19]
; %bb.528:
	v_cmp_ne_u32_e32 vcc, 0, v111
	v_cndmask_b32_e32 v111, 26, v111, vcc
; %bb.529:
	s_andn2_saveexec_b64 s[0:1], s[0:1]
	s_cbranch_execz .LBB72_535
; %bb.530:
	v_cmp_ngt_f64_e64 s[18:19], |v[121:122]|, |v[123:124]|
	s_and_saveexec_b64 s[20:21], s[18:19]
	s_xor_b64 s[18:19], exec, s[20:21]
	s_cbranch_execz .LBB72_532
; %bb.531:
	v_div_scale_f64 v[97:98], s[20:21], v[123:124], v[123:124], v[121:122]
	v_rcp_f64_e32 v[99:100], v[97:98]
	v_fma_f64 v[112:113], -v[97:98], v[99:100], 1.0
	v_fma_f64 v[99:100], v[99:100], v[112:113], v[99:100]
	v_div_scale_f64 v[112:113], vcc, v[121:122], v[123:124], v[121:122]
	v_fma_f64 v[114:115], -v[97:98], v[99:100], 1.0
	v_fma_f64 v[99:100], v[99:100], v[114:115], v[99:100]
	v_mul_f64 v[114:115], v[112:113], v[99:100]
	v_fma_f64 v[97:98], -v[97:98], v[114:115], v[112:113]
	v_div_fmas_f64 v[97:98], v[97:98], v[99:100], v[114:115]
	v_div_fixup_f64 v[97:98], v[97:98], v[123:124], v[121:122]
	v_fma_f64 v[99:100], v[121:122], v[97:98], v[123:124]
	v_div_scale_f64 v[112:113], s[20:21], v[99:100], v[99:100], 1.0
	v_div_scale_f64 v[118:119], vcc, 1.0, v[99:100], 1.0
	v_rcp_f64_e32 v[114:115], v[112:113]
	v_fma_f64 v[116:117], -v[112:113], v[114:115], 1.0
	v_fma_f64 v[114:115], v[114:115], v[116:117], v[114:115]
	v_fma_f64 v[116:117], -v[112:113], v[114:115], 1.0
	v_fma_f64 v[114:115], v[114:115], v[116:117], v[114:115]
	v_mul_f64 v[116:117], v[118:119], v[114:115]
	v_fma_f64 v[112:113], -v[112:113], v[116:117], v[118:119]
	v_div_fmas_f64 v[112:113], v[112:113], v[114:115], v[116:117]
	v_div_fixup_f64 v[123:124], v[112:113], v[99:100], 1.0
	v_mul_f64 v[121:122], v[97:98], v[123:124]
	v_xor_b32_e32 v124, 0x80000000, v124
.LBB72_532:
	s_andn2_saveexec_b64 s[18:19], s[18:19]
	s_cbranch_execz .LBB72_534
; %bb.533:
	v_div_scale_f64 v[97:98], s[20:21], v[121:122], v[121:122], v[123:124]
	v_rcp_f64_e32 v[99:100], v[97:98]
	v_fma_f64 v[112:113], -v[97:98], v[99:100], 1.0
	v_fma_f64 v[99:100], v[99:100], v[112:113], v[99:100]
	v_div_scale_f64 v[112:113], vcc, v[123:124], v[121:122], v[123:124]
	v_fma_f64 v[114:115], -v[97:98], v[99:100], 1.0
	v_fma_f64 v[99:100], v[99:100], v[114:115], v[99:100]
	v_mul_f64 v[114:115], v[112:113], v[99:100]
	v_fma_f64 v[97:98], -v[97:98], v[114:115], v[112:113]
	v_div_fmas_f64 v[97:98], v[97:98], v[99:100], v[114:115]
	v_div_fixup_f64 v[97:98], v[97:98], v[121:122], v[123:124]
	v_fma_f64 v[99:100], v[123:124], v[97:98], v[121:122]
	v_div_scale_f64 v[112:113], s[20:21], v[99:100], v[99:100], 1.0
	v_div_scale_f64 v[118:119], vcc, 1.0, v[99:100], 1.0
	v_rcp_f64_e32 v[114:115], v[112:113]
	v_fma_f64 v[116:117], -v[112:113], v[114:115], 1.0
	v_fma_f64 v[114:115], v[114:115], v[116:117], v[114:115]
	v_fma_f64 v[116:117], -v[112:113], v[114:115], 1.0
	v_fma_f64 v[114:115], v[114:115], v[116:117], v[114:115]
	v_mul_f64 v[116:117], v[118:119], v[114:115]
	v_fma_f64 v[112:113], -v[112:113], v[116:117], v[118:119]
	v_div_fmas_f64 v[112:113], v[112:113], v[114:115], v[116:117]
	v_div_fixup_f64 v[121:122], v[112:113], v[99:100], 1.0
	v_mul_f64 v[123:124], v[97:98], -v[121:122]
.LBB72_534:
	s_or_b64 exec, exec, s[18:19]
.LBB72_535:
	s_or_b64 exec, exec, s[0:1]
	v_cmp_ne_u32_e32 vcc, v109, v101
	s_and_saveexec_b64 s[0:1], vcc
	s_xor_b64 s[0:1], exec, s[0:1]
	s_cbranch_execz .LBB72_541
; %bb.536:
	v_cmp_eq_u32_e32 vcc, 25, v109
	s_and_saveexec_b64 s[18:19], vcc
	s_cbranch_execz .LBB72_540
; %bb.537:
	v_cmp_ne_u32_e32 vcc, 25, v101
	s_xor_b64 s[20:21], s[6:7], -1
	s_and_b64 s[22:23], s[20:21], vcc
	s_and_saveexec_b64 s[20:21], s[22:23]
	s_cbranch_execz .LBB72_539
; %bb.538:
	buffer_load_dword v109, off, s[24:27], 0 offset:160 ; 4-byte Folded Reload
	buffer_load_dword v110, off, s[24:27], 0 offset:164 ; 4-byte Folded Reload
	v_ashrrev_i32_e32 v102, 31, v101
	v_lshlrev_b64 v[97:98], 2, v[101:102]
	s_waitcnt vmcnt(1)
	v_add_co_u32_e32 v97, vcc, v109, v97
	s_waitcnt vmcnt(0)
	v_addc_co_u32_e32 v98, vcc, v110, v98, vcc
	global_load_dword v0, v[97:98], off
	global_load_dword v99, v[109:110], off offset:100
	s_waitcnt vmcnt(1)
	global_store_dword v[109:110], v0, off offset:100
	s_waitcnt vmcnt(1)
	global_store_dword v[97:98], v99, off
.LBB72_539:
	s_or_b64 exec, exec, s[20:21]
	v_mov_b32_e32 v109, v101
	v_mov_b32_e32 v0, v101
.LBB72_540:
	s_or_b64 exec, exec, s[18:19]
.LBB72_541:
	s_andn2_saveexec_b64 s[0:1], s[0:1]
	s_cbranch_execz .LBB72_543
; %bb.542:
	v_mov_b32_e32 v109, 25
	ds_write2_b64 v103, v[37:38], v[39:40] offset0:52 offset1:53
	ds_write2_b64 v103, v[33:34], v[35:36] offset0:54 offset1:55
	;; [unrolled: 1-line block ×11, first 2 shown]
.LBB72_543:
	s_or_b64 exec, exec, s[0:1]
	v_cmp_lt_i32_e32 vcc, 25, v109
	s_waitcnt vmcnt(0) lgkmcnt(0)
	s_barrier
	s_and_saveexec_b64 s[0:1], vcc
	s_cbranch_execz .LBB72_545
; %bb.544:
	v_mul_f64 v[97:98], v[121:122], v[43:44]
	v_mul_f64 v[43:44], v[123:124], v[43:44]
	v_fma_f64 v[101:102], v[123:124], v[41:42], v[97:98]
	ds_read2_b64 v[97:100], v103 offset0:52 offset1:53
	v_fma_f64 v[41:42], v[121:122], v[41:42], -v[43:44]
	s_waitcnt lgkmcnt(0)
	v_mul_f64 v[43:44], v[99:100], v[101:102]
	v_fma_f64 v[43:44], v[97:98], v[41:42], -v[43:44]
	v_mul_f64 v[97:98], v[97:98], v[101:102]
	v_add_f64 v[37:38], v[37:38], -v[43:44]
	v_fma_f64 v[97:98], v[99:100], v[41:42], v[97:98]
	v_add_f64 v[39:40], v[39:40], -v[97:98]
	ds_read2_b64 v[97:100], v103 offset0:54 offset1:55
	s_waitcnt lgkmcnt(0)
	v_mul_f64 v[43:44], v[99:100], v[101:102]
	v_fma_f64 v[43:44], v[97:98], v[41:42], -v[43:44]
	v_mul_f64 v[97:98], v[97:98], v[101:102]
	v_add_f64 v[33:34], v[33:34], -v[43:44]
	v_fma_f64 v[97:98], v[99:100], v[41:42], v[97:98]
	v_add_f64 v[35:36], v[35:36], -v[97:98]
	ds_read2_b64 v[97:100], v103 offset0:56 offset1:57
	;; [unrolled: 8-line block ×10, first 2 shown]
	s_waitcnt lgkmcnt(0)
	v_mul_f64 v[43:44], v[99:100], v[101:102]
	v_fma_f64 v[43:44], v[97:98], v[41:42], -v[43:44]
	v_mul_f64 v[97:98], v[97:98], v[101:102]
	v_add_f64 v[105:106], v[105:106], -v[43:44]
	v_fma_f64 v[97:98], v[99:100], v[41:42], v[97:98]
	v_mov_b32_e32 v43, v101
	v_mov_b32_e32 v44, v102
	v_add_f64 v[107:108], v[107:108], -v[97:98]
.LBB72_545:
	s_or_b64 exec, exec, s[0:1]
	v_lshl_add_u32 v97, v109, 4, v103
	s_barrier
	ds_write2_b64 v97, v[37:38], v[39:40] offset1:1
	s_waitcnt lgkmcnt(0)
	s_barrier
	ds_read2_b64 v[121:124], v103 offset0:52 offset1:53
	s_cmp_lt_i32 s3, 28
	v_mov_b32_e32 v101, 26
	s_cbranch_scc1 .LBB72_548
; %bb.546:
	v_add_u32_e32 v97, 0x1b0, v103
	s_mov_b32 s0, 27
	v_mov_b32_e32 v101, 26
.LBB72_547:                             ; =>This Inner Loop Header: Depth=1
	s_waitcnt lgkmcnt(0)
	v_cmp_gt_f64_e32 vcc, 0, v[121:122]
	v_xor_b32_e32 v98, 0x80000000, v122
	ds_read2_b64 v[112:115], v97 offset1:1
	v_xor_b32_e32 v100, 0x80000000, v124
	v_mov_b32_e32 v116, v123
	v_add_u32_e32 v97, 16, v97
	s_waitcnt lgkmcnt(0)
	v_mov_b32_e32 v118, v114
	v_cndmask_b32_e32 v99, v122, v98, vcc
	v_cmp_gt_f64_e32 vcc, 0, v[123:124]
	v_mov_b32_e32 v98, v121
	v_cndmask_b32_e32 v117, v124, v100, vcc
	v_cmp_gt_f64_e32 vcc, 0, v[112:113]
	v_xor_b32_e32 v100, 0x80000000, v113
	v_add_f64 v[98:99], v[98:99], v[116:117]
	v_mov_b32_e32 v116, v112
	v_cndmask_b32_e32 v117, v113, v100, vcc
	v_cmp_gt_f64_e32 vcc, 0, v[114:115]
	v_xor_b32_e32 v100, 0x80000000, v115
	v_cndmask_b32_e32 v119, v115, v100, vcc
	v_add_f64 v[116:117], v[116:117], v[118:119]
	v_cmp_lt_f64_e32 vcc, v[98:99], v[116:117]
	v_mov_b32_e32 v98, s0
	s_add_i32 s0, s0, 1
	s_cmp_lg_u32 s3, s0
	v_cndmask_b32_e32 v122, v122, v113, vcc
	v_cndmask_b32_e32 v121, v121, v112, vcc
	;; [unrolled: 1-line block ×5, first 2 shown]
	s_cbranch_scc1 .LBB72_547
.LBB72_548:
	s_waitcnt lgkmcnt(0)
	v_cmp_eq_f64_e32 vcc, 0, v[121:122]
	v_cmp_eq_f64_e64 s[0:1], 0, v[123:124]
	s_and_b64 s[0:1], vcc, s[0:1]
	s_and_saveexec_b64 s[18:19], s[0:1]
	s_xor_b64 s[0:1], exec, s[18:19]
; %bb.549:
	v_cmp_ne_u32_e32 vcc, 0, v111
	v_cndmask_b32_e32 v111, 27, v111, vcc
; %bb.550:
	s_andn2_saveexec_b64 s[0:1], s[0:1]
	s_cbranch_execz .LBB72_556
; %bb.551:
	v_cmp_ngt_f64_e64 s[18:19], |v[121:122]|, |v[123:124]|
	s_and_saveexec_b64 s[20:21], s[18:19]
	s_xor_b64 s[18:19], exec, s[20:21]
	s_cbranch_execz .LBB72_553
; %bb.552:
	v_div_scale_f64 v[97:98], s[20:21], v[123:124], v[123:124], v[121:122]
	v_rcp_f64_e32 v[99:100], v[97:98]
	v_fma_f64 v[112:113], -v[97:98], v[99:100], 1.0
	v_fma_f64 v[99:100], v[99:100], v[112:113], v[99:100]
	v_div_scale_f64 v[112:113], vcc, v[121:122], v[123:124], v[121:122]
	v_fma_f64 v[114:115], -v[97:98], v[99:100], 1.0
	v_fma_f64 v[99:100], v[99:100], v[114:115], v[99:100]
	v_mul_f64 v[114:115], v[112:113], v[99:100]
	v_fma_f64 v[97:98], -v[97:98], v[114:115], v[112:113]
	v_div_fmas_f64 v[97:98], v[97:98], v[99:100], v[114:115]
	v_div_fixup_f64 v[97:98], v[97:98], v[123:124], v[121:122]
	v_fma_f64 v[99:100], v[121:122], v[97:98], v[123:124]
	v_div_scale_f64 v[112:113], s[20:21], v[99:100], v[99:100], 1.0
	v_div_scale_f64 v[118:119], vcc, 1.0, v[99:100], 1.0
	v_rcp_f64_e32 v[114:115], v[112:113]
	v_fma_f64 v[116:117], -v[112:113], v[114:115], 1.0
	v_fma_f64 v[114:115], v[114:115], v[116:117], v[114:115]
	v_fma_f64 v[116:117], -v[112:113], v[114:115], 1.0
	v_fma_f64 v[114:115], v[114:115], v[116:117], v[114:115]
	v_mul_f64 v[116:117], v[118:119], v[114:115]
	v_fma_f64 v[112:113], -v[112:113], v[116:117], v[118:119]
	v_div_fmas_f64 v[112:113], v[112:113], v[114:115], v[116:117]
	v_div_fixup_f64 v[123:124], v[112:113], v[99:100], 1.0
	v_mul_f64 v[121:122], v[97:98], v[123:124]
	v_xor_b32_e32 v124, 0x80000000, v124
.LBB72_553:
	s_andn2_saveexec_b64 s[18:19], s[18:19]
	s_cbranch_execz .LBB72_555
; %bb.554:
	v_div_scale_f64 v[97:98], s[20:21], v[121:122], v[121:122], v[123:124]
	v_rcp_f64_e32 v[99:100], v[97:98]
	v_fma_f64 v[112:113], -v[97:98], v[99:100], 1.0
	v_fma_f64 v[99:100], v[99:100], v[112:113], v[99:100]
	v_div_scale_f64 v[112:113], vcc, v[123:124], v[121:122], v[123:124]
	v_fma_f64 v[114:115], -v[97:98], v[99:100], 1.0
	v_fma_f64 v[99:100], v[99:100], v[114:115], v[99:100]
	v_mul_f64 v[114:115], v[112:113], v[99:100]
	v_fma_f64 v[97:98], -v[97:98], v[114:115], v[112:113]
	v_div_fmas_f64 v[97:98], v[97:98], v[99:100], v[114:115]
	v_div_fixup_f64 v[97:98], v[97:98], v[121:122], v[123:124]
	v_fma_f64 v[99:100], v[123:124], v[97:98], v[121:122]
	v_div_scale_f64 v[112:113], s[20:21], v[99:100], v[99:100], 1.0
	v_div_scale_f64 v[118:119], vcc, 1.0, v[99:100], 1.0
	v_rcp_f64_e32 v[114:115], v[112:113]
	v_fma_f64 v[116:117], -v[112:113], v[114:115], 1.0
	v_fma_f64 v[114:115], v[114:115], v[116:117], v[114:115]
	v_fma_f64 v[116:117], -v[112:113], v[114:115], 1.0
	v_fma_f64 v[114:115], v[114:115], v[116:117], v[114:115]
	v_mul_f64 v[116:117], v[118:119], v[114:115]
	v_fma_f64 v[112:113], -v[112:113], v[116:117], v[118:119]
	v_div_fmas_f64 v[112:113], v[112:113], v[114:115], v[116:117]
	v_div_fixup_f64 v[121:122], v[112:113], v[99:100], 1.0
	v_mul_f64 v[123:124], v[97:98], -v[121:122]
.LBB72_555:
	s_or_b64 exec, exec, s[18:19]
.LBB72_556:
	s_or_b64 exec, exec, s[0:1]
	v_cmp_ne_u32_e32 vcc, v109, v101
	s_and_saveexec_b64 s[0:1], vcc
	s_xor_b64 s[0:1], exec, s[0:1]
	s_cbranch_execz .LBB72_562
; %bb.557:
	v_cmp_eq_u32_e32 vcc, 26, v109
	s_and_saveexec_b64 s[18:19], vcc
	s_cbranch_execz .LBB72_561
; %bb.558:
	v_cmp_ne_u32_e32 vcc, 26, v101
	s_xor_b64 s[20:21], s[6:7], -1
	s_and_b64 s[22:23], s[20:21], vcc
	s_and_saveexec_b64 s[20:21], s[22:23]
	s_cbranch_execz .LBB72_560
; %bb.559:
	buffer_load_dword v109, off, s[24:27], 0 offset:160 ; 4-byte Folded Reload
	buffer_load_dword v110, off, s[24:27], 0 offset:164 ; 4-byte Folded Reload
	v_ashrrev_i32_e32 v102, 31, v101
	v_lshlrev_b64 v[97:98], 2, v[101:102]
	s_waitcnt vmcnt(1)
	v_add_co_u32_e32 v97, vcc, v109, v97
	s_waitcnt vmcnt(0)
	v_addc_co_u32_e32 v98, vcc, v110, v98, vcc
	global_load_dword v0, v[97:98], off
	global_load_dword v99, v[109:110], off offset:104
	s_waitcnt vmcnt(1)
	global_store_dword v[109:110], v0, off offset:104
	s_waitcnt vmcnt(1)
	global_store_dword v[97:98], v99, off
.LBB72_560:
	s_or_b64 exec, exec, s[20:21]
	v_mov_b32_e32 v109, v101
	v_mov_b32_e32 v0, v101
.LBB72_561:
	s_or_b64 exec, exec, s[18:19]
.LBB72_562:
	s_andn2_saveexec_b64 s[0:1], s[0:1]
	s_cbranch_execz .LBB72_564
; %bb.563:
	v_mov_b32_e32 v109, 26
	ds_write2_b64 v103, v[33:34], v[35:36] offset0:54 offset1:55
	ds_write2_b64 v103, v[29:30], v[31:32] offset0:56 offset1:57
	;; [unrolled: 1-line block ×10, first 2 shown]
.LBB72_564:
	s_or_b64 exec, exec, s[0:1]
	v_cmp_lt_i32_e32 vcc, 26, v109
	s_waitcnt vmcnt(0) lgkmcnt(0)
	s_barrier
	s_and_saveexec_b64 s[0:1], vcc
	s_cbranch_execz .LBB72_566
; %bb.565:
	v_mul_f64 v[97:98], v[121:122], v[39:40]
	v_mul_f64 v[39:40], v[123:124], v[39:40]
	v_fma_f64 v[101:102], v[123:124], v[37:38], v[97:98]
	ds_read2_b64 v[97:100], v103 offset0:54 offset1:55
	v_fma_f64 v[37:38], v[121:122], v[37:38], -v[39:40]
	s_waitcnt lgkmcnt(0)
	v_mul_f64 v[39:40], v[99:100], v[101:102]
	v_fma_f64 v[39:40], v[97:98], v[37:38], -v[39:40]
	v_mul_f64 v[97:98], v[97:98], v[101:102]
	v_add_f64 v[33:34], v[33:34], -v[39:40]
	v_fma_f64 v[97:98], v[99:100], v[37:38], v[97:98]
	v_add_f64 v[35:36], v[35:36], -v[97:98]
	ds_read2_b64 v[97:100], v103 offset0:56 offset1:57
	s_waitcnt lgkmcnt(0)
	v_mul_f64 v[39:40], v[99:100], v[101:102]
	v_fma_f64 v[39:40], v[97:98], v[37:38], -v[39:40]
	v_mul_f64 v[97:98], v[97:98], v[101:102]
	v_add_f64 v[29:30], v[29:30], -v[39:40]
	v_fma_f64 v[97:98], v[99:100], v[37:38], v[97:98]
	v_add_f64 v[31:32], v[31:32], -v[97:98]
	ds_read2_b64 v[97:100], v103 offset0:58 offset1:59
	;; [unrolled: 8-line block ×9, first 2 shown]
	s_waitcnt lgkmcnt(0)
	v_mul_f64 v[39:40], v[99:100], v[101:102]
	v_fma_f64 v[39:40], v[97:98], v[37:38], -v[39:40]
	v_mul_f64 v[97:98], v[97:98], v[101:102]
	v_add_f64 v[105:106], v[105:106], -v[39:40]
	v_fma_f64 v[97:98], v[99:100], v[37:38], v[97:98]
	v_mov_b32_e32 v39, v101
	v_mov_b32_e32 v40, v102
	v_add_f64 v[107:108], v[107:108], -v[97:98]
.LBB72_566:
	s_or_b64 exec, exec, s[0:1]
	v_lshl_add_u32 v97, v109, 4, v103
	s_barrier
	ds_write2_b64 v97, v[33:34], v[35:36] offset1:1
	s_waitcnt lgkmcnt(0)
	s_barrier
	ds_read2_b64 v[121:124], v103 offset0:54 offset1:55
	s_cmp_lt_i32 s3, 29
	v_mov_b32_e32 v101, 27
	s_cbranch_scc1 .LBB72_569
; %bb.567:
	v_add_u32_e32 v97, 0x1c0, v103
	s_mov_b32 s0, 28
	v_mov_b32_e32 v101, 27
.LBB72_568:                             ; =>This Inner Loop Header: Depth=1
	s_waitcnt lgkmcnt(0)
	v_cmp_gt_f64_e32 vcc, 0, v[121:122]
	v_xor_b32_e32 v98, 0x80000000, v122
	ds_read2_b64 v[112:115], v97 offset1:1
	v_xor_b32_e32 v100, 0x80000000, v124
	v_mov_b32_e32 v116, v123
	v_add_u32_e32 v97, 16, v97
	s_waitcnt lgkmcnt(0)
	v_mov_b32_e32 v118, v114
	v_cndmask_b32_e32 v99, v122, v98, vcc
	v_cmp_gt_f64_e32 vcc, 0, v[123:124]
	v_mov_b32_e32 v98, v121
	v_cndmask_b32_e32 v117, v124, v100, vcc
	v_cmp_gt_f64_e32 vcc, 0, v[112:113]
	v_xor_b32_e32 v100, 0x80000000, v113
	v_add_f64 v[98:99], v[98:99], v[116:117]
	v_mov_b32_e32 v116, v112
	v_cndmask_b32_e32 v117, v113, v100, vcc
	v_cmp_gt_f64_e32 vcc, 0, v[114:115]
	v_xor_b32_e32 v100, 0x80000000, v115
	v_cndmask_b32_e32 v119, v115, v100, vcc
	v_add_f64 v[116:117], v[116:117], v[118:119]
	v_cmp_lt_f64_e32 vcc, v[98:99], v[116:117]
	v_mov_b32_e32 v98, s0
	s_add_i32 s0, s0, 1
	s_cmp_lg_u32 s3, s0
	v_cndmask_b32_e32 v122, v122, v113, vcc
	v_cndmask_b32_e32 v121, v121, v112, vcc
	;; [unrolled: 1-line block ×5, first 2 shown]
	s_cbranch_scc1 .LBB72_568
.LBB72_569:
	s_waitcnt lgkmcnt(0)
	v_cmp_eq_f64_e32 vcc, 0, v[121:122]
	v_cmp_eq_f64_e64 s[0:1], 0, v[123:124]
	s_and_b64 s[0:1], vcc, s[0:1]
	s_and_saveexec_b64 s[18:19], s[0:1]
	s_xor_b64 s[0:1], exec, s[18:19]
; %bb.570:
	v_cmp_ne_u32_e32 vcc, 0, v111
	v_cndmask_b32_e32 v111, 28, v111, vcc
; %bb.571:
	s_andn2_saveexec_b64 s[0:1], s[0:1]
	s_cbranch_execz .LBB72_577
; %bb.572:
	v_cmp_ngt_f64_e64 s[18:19], |v[121:122]|, |v[123:124]|
	s_and_saveexec_b64 s[20:21], s[18:19]
	s_xor_b64 s[18:19], exec, s[20:21]
	s_cbranch_execz .LBB72_574
; %bb.573:
	v_div_scale_f64 v[97:98], s[20:21], v[123:124], v[123:124], v[121:122]
	v_rcp_f64_e32 v[99:100], v[97:98]
	v_fma_f64 v[112:113], -v[97:98], v[99:100], 1.0
	v_fma_f64 v[99:100], v[99:100], v[112:113], v[99:100]
	v_div_scale_f64 v[112:113], vcc, v[121:122], v[123:124], v[121:122]
	v_fma_f64 v[114:115], -v[97:98], v[99:100], 1.0
	v_fma_f64 v[99:100], v[99:100], v[114:115], v[99:100]
	v_mul_f64 v[114:115], v[112:113], v[99:100]
	v_fma_f64 v[97:98], -v[97:98], v[114:115], v[112:113]
	v_div_fmas_f64 v[97:98], v[97:98], v[99:100], v[114:115]
	v_div_fixup_f64 v[97:98], v[97:98], v[123:124], v[121:122]
	v_fma_f64 v[99:100], v[121:122], v[97:98], v[123:124]
	v_div_scale_f64 v[112:113], s[20:21], v[99:100], v[99:100], 1.0
	v_div_scale_f64 v[118:119], vcc, 1.0, v[99:100], 1.0
	v_rcp_f64_e32 v[114:115], v[112:113]
	v_fma_f64 v[116:117], -v[112:113], v[114:115], 1.0
	v_fma_f64 v[114:115], v[114:115], v[116:117], v[114:115]
	v_fma_f64 v[116:117], -v[112:113], v[114:115], 1.0
	v_fma_f64 v[114:115], v[114:115], v[116:117], v[114:115]
	v_mul_f64 v[116:117], v[118:119], v[114:115]
	v_fma_f64 v[112:113], -v[112:113], v[116:117], v[118:119]
	v_div_fmas_f64 v[112:113], v[112:113], v[114:115], v[116:117]
	v_div_fixup_f64 v[123:124], v[112:113], v[99:100], 1.0
	v_mul_f64 v[121:122], v[97:98], v[123:124]
	v_xor_b32_e32 v124, 0x80000000, v124
.LBB72_574:
	s_andn2_saveexec_b64 s[18:19], s[18:19]
	s_cbranch_execz .LBB72_576
; %bb.575:
	v_div_scale_f64 v[97:98], s[20:21], v[121:122], v[121:122], v[123:124]
	v_rcp_f64_e32 v[99:100], v[97:98]
	v_fma_f64 v[112:113], -v[97:98], v[99:100], 1.0
	v_fma_f64 v[99:100], v[99:100], v[112:113], v[99:100]
	v_div_scale_f64 v[112:113], vcc, v[123:124], v[121:122], v[123:124]
	v_fma_f64 v[114:115], -v[97:98], v[99:100], 1.0
	v_fma_f64 v[99:100], v[99:100], v[114:115], v[99:100]
	v_mul_f64 v[114:115], v[112:113], v[99:100]
	v_fma_f64 v[97:98], -v[97:98], v[114:115], v[112:113]
	v_div_fmas_f64 v[97:98], v[97:98], v[99:100], v[114:115]
	v_div_fixup_f64 v[97:98], v[97:98], v[121:122], v[123:124]
	v_fma_f64 v[99:100], v[123:124], v[97:98], v[121:122]
	v_div_scale_f64 v[112:113], s[20:21], v[99:100], v[99:100], 1.0
	v_div_scale_f64 v[118:119], vcc, 1.0, v[99:100], 1.0
	v_rcp_f64_e32 v[114:115], v[112:113]
	v_fma_f64 v[116:117], -v[112:113], v[114:115], 1.0
	v_fma_f64 v[114:115], v[114:115], v[116:117], v[114:115]
	v_fma_f64 v[116:117], -v[112:113], v[114:115], 1.0
	v_fma_f64 v[114:115], v[114:115], v[116:117], v[114:115]
	v_mul_f64 v[116:117], v[118:119], v[114:115]
	v_fma_f64 v[112:113], -v[112:113], v[116:117], v[118:119]
	v_div_fmas_f64 v[112:113], v[112:113], v[114:115], v[116:117]
	v_div_fixup_f64 v[121:122], v[112:113], v[99:100], 1.0
	v_mul_f64 v[123:124], v[97:98], -v[121:122]
.LBB72_576:
	s_or_b64 exec, exec, s[18:19]
.LBB72_577:
	s_or_b64 exec, exec, s[0:1]
	v_cmp_ne_u32_e32 vcc, v109, v101
	s_and_saveexec_b64 s[0:1], vcc
	s_xor_b64 s[0:1], exec, s[0:1]
	s_cbranch_execz .LBB72_583
; %bb.578:
	v_cmp_eq_u32_e32 vcc, 27, v109
	s_and_saveexec_b64 s[18:19], vcc
	s_cbranch_execz .LBB72_582
; %bb.579:
	v_cmp_ne_u32_e32 vcc, 27, v101
	s_xor_b64 s[20:21], s[6:7], -1
	s_and_b64 s[22:23], s[20:21], vcc
	s_and_saveexec_b64 s[20:21], s[22:23]
	s_cbranch_execz .LBB72_581
; %bb.580:
	buffer_load_dword v109, off, s[24:27], 0 offset:160 ; 4-byte Folded Reload
	buffer_load_dword v110, off, s[24:27], 0 offset:164 ; 4-byte Folded Reload
	v_ashrrev_i32_e32 v102, 31, v101
	v_lshlrev_b64 v[97:98], 2, v[101:102]
	s_waitcnt vmcnt(1)
	v_add_co_u32_e32 v97, vcc, v109, v97
	s_waitcnt vmcnt(0)
	v_addc_co_u32_e32 v98, vcc, v110, v98, vcc
	global_load_dword v0, v[97:98], off
	global_load_dword v99, v[109:110], off offset:108
	s_waitcnt vmcnt(1)
	global_store_dword v[109:110], v0, off offset:108
	s_waitcnt vmcnt(1)
	global_store_dword v[97:98], v99, off
.LBB72_581:
	s_or_b64 exec, exec, s[20:21]
	v_mov_b32_e32 v109, v101
	v_mov_b32_e32 v0, v101
.LBB72_582:
	s_or_b64 exec, exec, s[18:19]
.LBB72_583:
	s_andn2_saveexec_b64 s[0:1], s[0:1]
	s_cbranch_execz .LBB72_585
; %bb.584:
	v_mov_b32_e32 v109, 27
	ds_write2_b64 v103, v[29:30], v[31:32] offset0:56 offset1:57
	ds_write2_b64 v103, v[25:26], v[27:28] offset0:58 offset1:59
	;; [unrolled: 1-line block ×9, first 2 shown]
.LBB72_585:
	s_or_b64 exec, exec, s[0:1]
	v_cmp_lt_i32_e32 vcc, 27, v109
	s_waitcnt vmcnt(0) lgkmcnt(0)
	s_barrier
	s_and_saveexec_b64 s[0:1], vcc
	s_cbranch_execz .LBB72_587
; %bb.586:
	v_mul_f64 v[97:98], v[121:122], v[35:36]
	v_mul_f64 v[35:36], v[123:124], v[35:36]
	v_fma_f64 v[101:102], v[123:124], v[33:34], v[97:98]
	ds_read2_b64 v[97:100], v103 offset0:56 offset1:57
	v_fma_f64 v[33:34], v[121:122], v[33:34], -v[35:36]
	s_waitcnt lgkmcnt(0)
	v_mul_f64 v[35:36], v[99:100], v[101:102]
	v_fma_f64 v[35:36], v[97:98], v[33:34], -v[35:36]
	v_mul_f64 v[97:98], v[97:98], v[101:102]
	v_add_f64 v[29:30], v[29:30], -v[35:36]
	v_fma_f64 v[97:98], v[99:100], v[33:34], v[97:98]
	v_add_f64 v[31:32], v[31:32], -v[97:98]
	ds_read2_b64 v[97:100], v103 offset0:58 offset1:59
	s_waitcnt lgkmcnt(0)
	v_mul_f64 v[35:36], v[99:100], v[101:102]
	v_fma_f64 v[35:36], v[97:98], v[33:34], -v[35:36]
	v_mul_f64 v[97:98], v[97:98], v[101:102]
	v_add_f64 v[25:26], v[25:26], -v[35:36]
	v_fma_f64 v[97:98], v[99:100], v[33:34], v[97:98]
	v_add_f64 v[27:28], v[27:28], -v[97:98]
	ds_read2_b64 v[97:100], v103 offset0:60 offset1:61
	;; [unrolled: 8-line block ×8, first 2 shown]
	s_waitcnt lgkmcnt(0)
	v_mul_f64 v[35:36], v[99:100], v[101:102]
	v_fma_f64 v[35:36], v[97:98], v[33:34], -v[35:36]
	v_mul_f64 v[97:98], v[97:98], v[101:102]
	v_add_f64 v[105:106], v[105:106], -v[35:36]
	v_fma_f64 v[97:98], v[99:100], v[33:34], v[97:98]
	v_mov_b32_e32 v35, v101
	v_mov_b32_e32 v36, v102
	v_add_f64 v[107:108], v[107:108], -v[97:98]
.LBB72_587:
	s_or_b64 exec, exec, s[0:1]
	v_lshl_add_u32 v97, v109, 4, v103
	s_barrier
	ds_write2_b64 v97, v[29:30], v[31:32] offset1:1
	s_waitcnt lgkmcnt(0)
	s_barrier
	ds_read2_b64 v[121:124], v103 offset0:56 offset1:57
	s_cmp_lt_i32 s3, 30
	v_mov_b32_e32 v101, 28
	s_cbranch_scc1 .LBB72_590
; %bb.588:
	v_add_u32_e32 v97, 0x1d0, v103
	s_mov_b32 s0, 29
	v_mov_b32_e32 v101, 28
.LBB72_589:                             ; =>This Inner Loop Header: Depth=1
	s_waitcnt lgkmcnt(0)
	v_cmp_gt_f64_e32 vcc, 0, v[121:122]
	v_xor_b32_e32 v98, 0x80000000, v122
	ds_read2_b64 v[112:115], v97 offset1:1
	v_xor_b32_e32 v100, 0x80000000, v124
	v_mov_b32_e32 v116, v123
	v_add_u32_e32 v97, 16, v97
	s_waitcnt lgkmcnt(0)
	v_mov_b32_e32 v118, v114
	v_cndmask_b32_e32 v99, v122, v98, vcc
	v_cmp_gt_f64_e32 vcc, 0, v[123:124]
	v_mov_b32_e32 v98, v121
	v_cndmask_b32_e32 v117, v124, v100, vcc
	v_cmp_gt_f64_e32 vcc, 0, v[112:113]
	v_xor_b32_e32 v100, 0x80000000, v113
	v_add_f64 v[98:99], v[98:99], v[116:117]
	v_mov_b32_e32 v116, v112
	v_cndmask_b32_e32 v117, v113, v100, vcc
	v_cmp_gt_f64_e32 vcc, 0, v[114:115]
	v_xor_b32_e32 v100, 0x80000000, v115
	v_cndmask_b32_e32 v119, v115, v100, vcc
	v_add_f64 v[116:117], v[116:117], v[118:119]
	v_cmp_lt_f64_e32 vcc, v[98:99], v[116:117]
	v_mov_b32_e32 v98, s0
	s_add_i32 s0, s0, 1
	s_cmp_lg_u32 s3, s0
	v_cndmask_b32_e32 v122, v122, v113, vcc
	v_cndmask_b32_e32 v121, v121, v112, vcc
	;; [unrolled: 1-line block ×5, first 2 shown]
	s_cbranch_scc1 .LBB72_589
.LBB72_590:
	s_waitcnt lgkmcnt(0)
	v_cmp_eq_f64_e32 vcc, 0, v[121:122]
	v_cmp_eq_f64_e64 s[0:1], 0, v[123:124]
	s_and_b64 s[0:1], vcc, s[0:1]
	s_and_saveexec_b64 s[18:19], s[0:1]
	s_xor_b64 s[0:1], exec, s[18:19]
; %bb.591:
	v_cmp_ne_u32_e32 vcc, 0, v111
	v_cndmask_b32_e32 v111, 29, v111, vcc
; %bb.592:
	s_andn2_saveexec_b64 s[0:1], s[0:1]
	s_cbranch_execz .LBB72_598
; %bb.593:
	v_cmp_ngt_f64_e64 s[18:19], |v[121:122]|, |v[123:124]|
	s_and_saveexec_b64 s[20:21], s[18:19]
	s_xor_b64 s[18:19], exec, s[20:21]
	s_cbranch_execz .LBB72_595
; %bb.594:
	v_div_scale_f64 v[97:98], s[20:21], v[123:124], v[123:124], v[121:122]
	v_rcp_f64_e32 v[99:100], v[97:98]
	v_fma_f64 v[112:113], -v[97:98], v[99:100], 1.0
	v_fma_f64 v[99:100], v[99:100], v[112:113], v[99:100]
	v_div_scale_f64 v[112:113], vcc, v[121:122], v[123:124], v[121:122]
	v_fma_f64 v[114:115], -v[97:98], v[99:100], 1.0
	v_fma_f64 v[99:100], v[99:100], v[114:115], v[99:100]
	v_mul_f64 v[114:115], v[112:113], v[99:100]
	v_fma_f64 v[97:98], -v[97:98], v[114:115], v[112:113]
	v_div_fmas_f64 v[97:98], v[97:98], v[99:100], v[114:115]
	v_div_fixup_f64 v[97:98], v[97:98], v[123:124], v[121:122]
	v_fma_f64 v[99:100], v[121:122], v[97:98], v[123:124]
	v_div_scale_f64 v[112:113], s[20:21], v[99:100], v[99:100], 1.0
	v_div_scale_f64 v[118:119], vcc, 1.0, v[99:100], 1.0
	v_rcp_f64_e32 v[114:115], v[112:113]
	v_fma_f64 v[116:117], -v[112:113], v[114:115], 1.0
	v_fma_f64 v[114:115], v[114:115], v[116:117], v[114:115]
	v_fma_f64 v[116:117], -v[112:113], v[114:115], 1.0
	v_fma_f64 v[114:115], v[114:115], v[116:117], v[114:115]
	v_mul_f64 v[116:117], v[118:119], v[114:115]
	v_fma_f64 v[112:113], -v[112:113], v[116:117], v[118:119]
	v_div_fmas_f64 v[112:113], v[112:113], v[114:115], v[116:117]
	v_div_fixup_f64 v[123:124], v[112:113], v[99:100], 1.0
	v_mul_f64 v[121:122], v[97:98], v[123:124]
	v_xor_b32_e32 v124, 0x80000000, v124
.LBB72_595:
	s_andn2_saveexec_b64 s[18:19], s[18:19]
	s_cbranch_execz .LBB72_597
; %bb.596:
	v_div_scale_f64 v[97:98], s[20:21], v[121:122], v[121:122], v[123:124]
	v_rcp_f64_e32 v[99:100], v[97:98]
	v_fma_f64 v[112:113], -v[97:98], v[99:100], 1.0
	v_fma_f64 v[99:100], v[99:100], v[112:113], v[99:100]
	v_div_scale_f64 v[112:113], vcc, v[123:124], v[121:122], v[123:124]
	v_fma_f64 v[114:115], -v[97:98], v[99:100], 1.0
	v_fma_f64 v[99:100], v[99:100], v[114:115], v[99:100]
	v_mul_f64 v[114:115], v[112:113], v[99:100]
	v_fma_f64 v[97:98], -v[97:98], v[114:115], v[112:113]
	v_div_fmas_f64 v[97:98], v[97:98], v[99:100], v[114:115]
	v_div_fixup_f64 v[97:98], v[97:98], v[121:122], v[123:124]
	v_fma_f64 v[99:100], v[123:124], v[97:98], v[121:122]
	v_div_scale_f64 v[112:113], s[20:21], v[99:100], v[99:100], 1.0
	v_div_scale_f64 v[118:119], vcc, 1.0, v[99:100], 1.0
	v_rcp_f64_e32 v[114:115], v[112:113]
	v_fma_f64 v[116:117], -v[112:113], v[114:115], 1.0
	v_fma_f64 v[114:115], v[114:115], v[116:117], v[114:115]
	v_fma_f64 v[116:117], -v[112:113], v[114:115], 1.0
	v_fma_f64 v[114:115], v[114:115], v[116:117], v[114:115]
	v_mul_f64 v[116:117], v[118:119], v[114:115]
	v_fma_f64 v[112:113], -v[112:113], v[116:117], v[118:119]
	v_div_fmas_f64 v[112:113], v[112:113], v[114:115], v[116:117]
	v_div_fixup_f64 v[121:122], v[112:113], v[99:100], 1.0
	v_mul_f64 v[123:124], v[97:98], -v[121:122]
.LBB72_597:
	s_or_b64 exec, exec, s[18:19]
.LBB72_598:
	s_or_b64 exec, exec, s[0:1]
	v_cmp_ne_u32_e32 vcc, v109, v101
	s_and_saveexec_b64 s[0:1], vcc
	s_xor_b64 s[0:1], exec, s[0:1]
	s_cbranch_execz .LBB72_604
; %bb.599:
	v_cmp_eq_u32_e32 vcc, 28, v109
	s_and_saveexec_b64 s[18:19], vcc
	s_cbranch_execz .LBB72_603
; %bb.600:
	v_cmp_ne_u32_e32 vcc, 28, v101
	s_xor_b64 s[20:21], s[6:7], -1
	s_and_b64 s[22:23], s[20:21], vcc
	s_and_saveexec_b64 s[20:21], s[22:23]
	s_cbranch_execz .LBB72_602
; %bb.601:
	buffer_load_dword v109, off, s[24:27], 0 offset:160 ; 4-byte Folded Reload
	buffer_load_dword v110, off, s[24:27], 0 offset:164 ; 4-byte Folded Reload
	v_ashrrev_i32_e32 v102, 31, v101
	v_lshlrev_b64 v[97:98], 2, v[101:102]
	s_waitcnt vmcnt(1)
	v_add_co_u32_e32 v97, vcc, v109, v97
	s_waitcnt vmcnt(0)
	v_addc_co_u32_e32 v98, vcc, v110, v98, vcc
	global_load_dword v0, v[97:98], off
	global_load_dword v99, v[109:110], off offset:112
	s_waitcnt vmcnt(1)
	global_store_dword v[109:110], v0, off offset:112
	s_waitcnt vmcnt(1)
	global_store_dword v[97:98], v99, off
.LBB72_602:
	s_or_b64 exec, exec, s[20:21]
	v_mov_b32_e32 v109, v101
	v_mov_b32_e32 v0, v101
.LBB72_603:
	s_or_b64 exec, exec, s[18:19]
.LBB72_604:
	s_andn2_saveexec_b64 s[0:1], s[0:1]
	s_cbranch_execz .LBB72_606
; %bb.605:
	v_mov_b32_e32 v109, 28
	ds_write2_b64 v103, v[25:26], v[27:28] offset0:58 offset1:59
	ds_write2_b64 v103, v[21:22], v[23:24] offset0:60 offset1:61
	;; [unrolled: 1-line block ×8, first 2 shown]
.LBB72_606:
	s_or_b64 exec, exec, s[0:1]
	v_cmp_lt_i32_e32 vcc, 28, v109
	s_waitcnt vmcnt(0) lgkmcnt(0)
	s_barrier
	s_and_saveexec_b64 s[0:1], vcc
	s_cbranch_execz .LBB72_608
; %bb.607:
	v_mul_f64 v[97:98], v[121:122], v[31:32]
	v_mul_f64 v[31:32], v[123:124], v[31:32]
	v_fma_f64 v[101:102], v[123:124], v[29:30], v[97:98]
	ds_read2_b64 v[97:100], v103 offset0:58 offset1:59
	v_fma_f64 v[29:30], v[121:122], v[29:30], -v[31:32]
	s_waitcnt lgkmcnt(0)
	v_mul_f64 v[31:32], v[99:100], v[101:102]
	v_fma_f64 v[31:32], v[97:98], v[29:30], -v[31:32]
	v_mul_f64 v[97:98], v[97:98], v[101:102]
	v_add_f64 v[25:26], v[25:26], -v[31:32]
	v_fma_f64 v[97:98], v[99:100], v[29:30], v[97:98]
	v_add_f64 v[27:28], v[27:28], -v[97:98]
	ds_read2_b64 v[97:100], v103 offset0:60 offset1:61
	s_waitcnt lgkmcnt(0)
	v_mul_f64 v[31:32], v[99:100], v[101:102]
	v_fma_f64 v[31:32], v[97:98], v[29:30], -v[31:32]
	v_mul_f64 v[97:98], v[97:98], v[101:102]
	v_add_f64 v[21:22], v[21:22], -v[31:32]
	v_fma_f64 v[97:98], v[99:100], v[29:30], v[97:98]
	v_add_f64 v[23:24], v[23:24], -v[97:98]
	ds_read2_b64 v[97:100], v103 offset0:62 offset1:63
	;; [unrolled: 8-line block ×7, first 2 shown]
	s_waitcnt lgkmcnt(0)
	v_mul_f64 v[31:32], v[99:100], v[101:102]
	v_fma_f64 v[31:32], v[97:98], v[29:30], -v[31:32]
	v_mul_f64 v[97:98], v[97:98], v[101:102]
	v_add_f64 v[105:106], v[105:106], -v[31:32]
	v_fma_f64 v[97:98], v[99:100], v[29:30], v[97:98]
	v_mov_b32_e32 v31, v101
	v_mov_b32_e32 v32, v102
	v_add_f64 v[107:108], v[107:108], -v[97:98]
.LBB72_608:
	s_or_b64 exec, exec, s[0:1]
	v_lshl_add_u32 v97, v109, 4, v103
	s_barrier
	ds_write2_b64 v97, v[25:26], v[27:28] offset1:1
	s_waitcnt lgkmcnt(0)
	s_barrier
	ds_read2_b64 v[121:124], v103 offset0:58 offset1:59
	s_cmp_lt_i32 s3, 31
	v_mov_b32_e32 v101, 29
	s_cbranch_scc1 .LBB72_611
; %bb.609:
	v_add_u32_e32 v97, 0x1e0, v103
	s_mov_b32 s0, 30
	v_mov_b32_e32 v101, 29
.LBB72_610:                             ; =>This Inner Loop Header: Depth=1
	s_waitcnt lgkmcnt(0)
	v_cmp_gt_f64_e32 vcc, 0, v[121:122]
	v_xor_b32_e32 v98, 0x80000000, v122
	ds_read2_b64 v[112:115], v97 offset1:1
	v_xor_b32_e32 v100, 0x80000000, v124
	v_mov_b32_e32 v116, v123
	v_add_u32_e32 v97, 16, v97
	s_waitcnt lgkmcnt(0)
	v_mov_b32_e32 v118, v114
	v_cndmask_b32_e32 v99, v122, v98, vcc
	v_cmp_gt_f64_e32 vcc, 0, v[123:124]
	v_mov_b32_e32 v98, v121
	v_cndmask_b32_e32 v117, v124, v100, vcc
	v_cmp_gt_f64_e32 vcc, 0, v[112:113]
	v_xor_b32_e32 v100, 0x80000000, v113
	v_add_f64 v[98:99], v[98:99], v[116:117]
	v_mov_b32_e32 v116, v112
	v_cndmask_b32_e32 v117, v113, v100, vcc
	v_cmp_gt_f64_e32 vcc, 0, v[114:115]
	v_xor_b32_e32 v100, 0x80000000, v115
	v_cndmask_b32_e32 v119, v115, v100, vcc
	v_add_f64 v[116:117], v[116:117], v[118:119]
	v_cmp_lt_f64_e32 vcc, v[98:99], v[116:117]
	v_mov_b32_e32 v98, s0
	s_add_i32 s0, s0, 1
	s_cmp_lg_u32 s3, s0
	v_cndmask_b32_e32 v122, v122, v113, vcc
	v_cndmask_b32_e32 v121, v121, v112, vcc
	;; [unrolled: 1-line block ×5, first 2 shown]
	s_cbranch_scc1 .LBB72_610
.LBB72_611:
	s_waitcnt lgkmcnt(0)
	v_cmp_eq_f64_e32 vcc, 0, v[121:122]
	v_cmp_eq_f64_e64 s[0:1], 0, v[123:124]
	s_and_b64 s[0:1], vcc, s[0:1]
	s_and_saveexec_b64 s[18:19], s[0:1]
	s_xor_b64 s[0:1], exec, s[18:19]
; %bb.612:
	v_cmp_ne_u32_e32 vcc, 0, v111
	v_cndmask_b32_e32 v111, 30, v111, vcc
; %bb.613:
	s_andn2_saveexec_b64 s[0:1], s[0:1]
	s_cbranch_execz .LBB72_619
; %bb.614:
	v_cmp_ngt_f64_e64 s[18:19], |v[121:122]|, |v[123:124]|
	s_and_saveexec_b64 s[20:21], s[18:19]
	s_xor_b64 s[18:19], exec, s[20:21]
	s_cbranch_execz .LBB72_616
; %bb.615:
	v_div_scale_f64 v[97:98], s[20:21], v[123:124], v[123:124], v[121:122]
	v_rcp_f64_e32 v[99:100], v[97:98]
	v_fma_f64 v[112:113], -v[97:98], v[99:100], 1.0
	v_fma_f64 v[99:100], v[99:100], v[112:113], v[99:100]
	v_div_scale_f64 v[112:113], vcc, v[121:122], v[123:124], v[121:122]
	v_fma_f64 v[114:115], -v[97:98], v[99:100], 1.0
	v_fma_f64 v[99:100], v[99:100], v[114:115], v[99:100]
	v_mul_f64 v[114:115], v[112:113], v[99:100]
	v_fma_f64 v[97:98], -v[97:98], v[114:115], v[112:113]
	v_div_fmas_f64 v[97:98], v[97:98], v[99:100], v[114:115]
	v_div_fixup_f64 v[97:98], v[97:98], v[123:124], v[121:122]
	v_fma_f64 v[99:100], v[121:122], v[97:98], v[123:124]
	v_div_scale_f64 v[112:113], s[20:21], v[99:100], v[99:100], 1.0
	v_div_scale_f64 v[118:119], vcc, 1.0, v[99:100], 1.0
	v_rcp_f64_e32 v[114:115], v[112:113]
	v_fma_f64 v[116:117], -v[112:113], v[114:115], 1.0
	v_fma_f64 v[114:115], v[114:115], v[116:117], v[114:115]
	v_fma_f64 v[116:117], -v[112:113], v[114:115], 1.0
	v_fma_f64 v[114:115], v[114:115], v[116:117], v[114:115]
	v_mul_f64 v[116:117], v[118:119], v[114:115]
	v_fma_f64 v[112:113], -v[112:113], v[116:117], v[118:119]
	v_div_fmas_f64 v[112:113], v[112:113], v[114:115], v[116:117]
	v_div_fixup_f64 v[123:124], v[112:113], v[99:100], 1.0
	v_mul_f64 v[121:122], v[97:98], v[123:124]
	v_xor_b32_e32 v124, 0x80000000, v124
.LBB72_616:
	s_andn2_saveexec_b64 s[18:19], s[18:19]
	s_cbranch_execz .LBB72_618
; %bb.617:
	v_div_scale_f64 v[97:98], s[20:21], v[121:122], v[121:122], v[123:124]
	v_rcp_f64_e32 v[99:100], v[97:98]
	v_fma_f64 v[112:113], -v[97:98], v[99:100], 1.0
	v_fma_f64 v[99:100], v[99:100], v[112:113], v[99:100]
	v_div_scale_f64 v[112:113], vcc, v[123:124], v[121:122], v[123:124]
	v_fma_f64 v[114:115], -v[97:98], v[99:100], 1.0
	v_fma_f64 v[99:100], v[99:100], v[114:115], v[99:100]
	v_mul_f64 v[114:115], v[112:113], v[99:100]
	v_fma_f64 v[97:98], -v[97:98], v[114:115], v[112:113]
	v_div_fmas_f64 v[97:98], v[97:98], v[99:100], v[114:115]
	v_div_fixup_f64 v[97:98], v[97:98], v[121:122], v[123:124]
	v_fma_f64 v[99:100], v[123:124], v[97:98], v[121:122]
	v_div_scale_f64 v[112:113], s[20:21], v[99:100], v[99:100], 1.0
	v_div_scale_f64 v[118:119], vcc, 1.0, v[99:100], 1.0
	v_rcp_f64_e32 v[114:115], v[112:113]
	v_fma_f64 v[116:117], -v[112:113], v[114:115], 1.0
	v_fma_f64 v[114:115], v[114:115], v[116:117], v[114:115]
	v_fma_f64 v[116:117], -v[112:113], v[114:115], 1.0
	v_fma_f64 v[114:115], v[114:115], v[116:117], v[114:115]
	v_mul_f64 v[116:117], v[118:119], v[114:115]
	v_fma_f64 v[112:113], -v[112:113], v[116:117], v[118:119]
	v_div_fmas_f64 v[112:113], v[112:113], v[114:115], v[116:117]
	v_div_fixup_f64 v[121:122], v[112:113], v[99:100], 1.0
	v_mul_f64 v[123:124], v[97:98], -v[121:122]
.LBB72_618:
	s_or_b64 exec, exec, s[18:19]
.LBB72_619:
	s_or_b64 exec, exec, s[0:1]
	v_cmp_ne_u32_e32 vcc, v109, v101
	s_and_saveexec_b64 s[0:1], vcc
	s_xor_b64 s[0:1], exec, s[0:1]
	s_cbranch_execz .LBB72_625
; %bb.620:
	v_cmp_eq_u32_e32 vcc, 29, v109
	s_and_saveexec_b64 s[18:19], vcc
	s_cbranch_execz .LBB72_624
; %bb.621:
	v_cmp_ne_u32_e32 vcc, 29, v101
	s_xor_b64 s[20:21], s[6:7], -1
	s_and_b64 s[22:23], s[20:21], vcc
	s_and_saveexec_b64 s[20:21], s[22:23]
	s_cbranch_execz .LBB72_623
; %bb.622:
	buffer_load_dword v109, off, s[24:27], 0 offset:160 ; 4-byte Folded Reload
	buffer_load_dword v110, off, s[24:27], 0 offset:164 ; 4-byte Folded Reload
	v_ashrrev_i32_e32 v102, 31, v101
	v_lshlrev_b64 v[97:98], 2, v[101:102]
	s_waitcnt vmcnt(1)
	v_add_co_u32_e32 v97, vcc, v109, v97
	s_waitcnt vmcnt(0)
	v_addc_co_u32_e32 v98, vcc, v110, v98, vcc
	global_load_dword v0, v[97:98], off
	global_load_dword v99, v[109:110], off offset:116
	s_waitcnt vmcnt(1)
	global_store_dword v[109:110], v0, off offset:116
	s_waitcnt vmcnt(1)
	global_store_dword v[97:98], v99, off
.LBB72_623:
	s_or_b64 exec, exec, s[20:21]
	v_mov_b32_e32 v109, v101
	v_mov_b32_e32 v0, v101
.LBB72_624:
	s_or_b64 exec, exec, s[18:19]
.LBB72_625:
	s_andn2_saveexec_b64 s[0:1], s[0:1]
	s_cbranch_execz .LBB72_627
; %bb.626:
	v_mov_b32_e32 v109, 29
	ds_write2_b64 v103, v[21:22], v[23:24] offset0:60 offset1:61
	ds_write2_b64 v103, v[17:18], v[19:20] offset0:62 offset1:63
	;; [unrolled: 1-line block ×7, first 2 shown]
.LBB72_627:
	s_or_b64 exec, exec, s[0:1]
	v_cmp_lt_i32_e32 vcc, 29, v109
	s_waitcnt vmcnt(0) lgkmcnt(0)
	s_barrier
	s_and_saveexec_b64 s[0:1], vcc
	s_cbranch_execz .LBB72_629
; %bb.628:
	v_mul_f64 v[97:98], v[121:122], v[27:28]
	v_mul_f64 v[27:28], v[123:124], v[27:28]
	v_fma_f64 v[101:102], v[123:124], v[25:26], v[97:98]
	ds_read2_b64 v[97:100], v103 offset0:60 offset1:61
	v_fma_f64 v[25:26], v[121:122], v[25:26], -v[27:28]
	s_waitcnt lgkmcnt(0)
	v_mul_f64 v[27:28], v[99:100], v[101:102]
	v_fma_f64 v[27:28], v[97:98], v[25:26], -v[27:28]
	v_mul_f64 v[97:98], v[97:98], v[101:102]
	v_add_f64 v[21:22], v[21:22], -v[27:28]
	v_fma_f64 v[97:98], v[99:100], v[25:26], v[97:98]
	v_add_f64 v[23:24], v[23:24], -v[97:98]
	ds_read2_b64 v[97:100], v103 offset0:62 offset1:63
	s_waitcnt lgkmcnt(0)
	v_mul_f64 v[27:28], v[99:100], v[101:102]
	v_fma_f64 v[27:28], v[97:98], v[25:26], -v[27:28]
	v_mul_f64 v[97:98], v[97:98], v[101:102]
	v_add_f64 v[17:18], v[17:18], -v[27:28]
	v_fma_f64 v[97:98], v[99:100], v[25:26], v[97:98]
	v_add_f64 v[19:20], v[19:20], -v[97:98]
	ds_read2_b64 v[97:100], v103 offset0:64 offset1:65
	;; [unrolled: 8-line block ×6, first 2 shown]
	s_waitcnt lgkmcnt(0)
	v_mul_f64 v[27:28], v[99:100], v[101:102]
	v_fma_f64 v[27:28], v[97:98], v[25:26], -v[27:28]
	v_mul_f64 v[97:98], v[97:98], v[101:102]
	v_add_f64 v[105:106], v[105:106], -v[27:28]
	v_fma_f64 v[97:98], v[99:100], v[25:26], v[97:98]
	v_mov_b32_e32 v27, v101
	v_mov_b32_e32 v28, v102
	v_add_f64 v[107:108], v[107:108], -v[97:98]
.LBB72_629:
	s_or_b64 exec, exec, s[0:1]
	v_lshl_add_u32 v97, v109, 4, v103
	s_barrier
	ds_write2_b64 v97, v[21:22], v[23:24] offset1:1
	s_waitcnt lgkmcnt(0)
	s_barrier
	ds_read2_b64 v[121:124], v103 offset0:60 offset1:61
	s_cmp_lt_i32 s3, 32
	v_mov_b32_e32 v101, 30
	s_cbranch_scc1 .LBB72_632
; %bb.630:
	v_add_u32_e32 v97, 0x1f0, v103
	s_mov_b32 s0, 31
	v_mov_b32_e32 v101, 30
.LBB72_631:                             ; =>This Inner Loop Header: Depth=1
	s_waitcnt lgkmcnt(0)
	v_cmp_gt_f64_e32 vcc, 0, v[121:122]
	v_xor_b32_e32 v98, 0x80000000, v122
	ds_read2_b64 v[112:115], v97 offset1:1
	v_xor_b32_e32 v100, 0x80000000, v124
	v_mov_b32_e32 v116, v123
	v_add_u32_e32 v97, 16, v97
	s_waitcnt lgkmcnt(0)
	v_mov_b32_e32 v118, v114
	v_cndmask_b32_e32 v99, v122, v98, vcc
	v_cmp_gt_f64_e32 vcc, 0, v[123:124]
	v_mov_b32_e32 v98, v121
	v_cndmask_b32_e32 v117, v124, v100, vcc
	v_cmp_gt_f64_e32 vcc, 0, v[112:113]
	v_xor_b32_e32 v100, 0x80000000, v113
	v_add_f64 v[98:99], v[98:99], v[116:117]
	v_mov_b32_e32 v116, v112
	v_cndmask_b32_e32 v117, v113, v100, vcc
	v_cmp_gt_f64_e32 vcc, 0, v[114:115]
	v_xor_b32_e32 v100, 0x80000000, v115
	v_cndmask_b32_e32 v119, v115, v100, vcc
	v_add_f64 v[116:117], v[116:117], v[118:119]
	v_cmp_lt_f64_e32 vcc, v[98:99], v[116:117]
	v_mov_b32_e32 v98, s0
	s_add_i32 s0, s0, 1
	s_cmp_lg_u32 s3, s0
	v_cndmask_b32_e32 v122, v122, v113, vcc
	v_cndmask_b32_e32 v121, v121, v112, vcc
	;; [unrolled: 1-line block ×5, first 2 shown]
	s_cbranch_scc1 .LBB72_631
.LBB72_632:
	s_waitcnt lgkmcnt(0)
	v_cmp_eq_f64_e32 vcc, 0, v[121:122]
	v_cmp_eq_f64_e64 s[0:1], 0, v[123:124]
	s_and_b64 s[0:1], vcc, s[0:1]
	s_and_saveexec_b64 s[18:19], s[0:1]
	s_xor_b64 s[0:1], exec, s[18:19]
; %bb.633:
	v_cmp_ne_u32_e32 vcc, 0, v111
	v_cndmask_b32_e32 v111, 31, v111, vcc
; %bb.634:
	s_andn2_saveexec_b64 s[0:1], s[0:1]
	s_cbranch_execz .LBB72_640
; %bb.635:
	v_cmp_ngt_f64_e64 s[18:19], |v[121:122]|, |v[123:124]|
	s_and_saveexec_b64 s[20:21], s[18:19]
	s_xor_b64 s[18:19], exec, s[20:21]
	s_cbranch_execz .LBB72_637
; %bb.636:
	v_div_scale_f64 v[97:98], s[20:21], v[123:124], v[123:124], v[121:122]
	v_rcp_f64_e32 v[99:100], v[97:98]
	v_fma_f64 v[112:113], -v[97:98], v[99:100], 1.0
	v_fma_f64 v[99:100], v[99:100], v[112:113], v[99:100]
	v_div_scale_f64 v[112:113], vcc, v[121:122], v[123:124], v[121:122]
	v_fma_f64 v[114:115], -v[97:98], v[99:100], 1.0
	v_fma_f64 v[99:100], v[99:100], v[114:115], v[99:100]
	v_mul_f64 v[114:115], v[112:113], v[99:100]
	v_fma_f64 v[97:98], -v[97:98], v[114:115], v[112:113]
	v_div_fmas_f64 v[97:98], v[97:98], v[99:100], v[114:115]
	v_div_fixup_f64 v[97:98], v[97:98], v[123:124], v[121:122]
	v_fma_f64 v[99:100], v[121:122], v[97:98], v[123:124]
	v_div_scale_f64 v[112:113], s[20:21], v[99:100], v[99:100], 1.0
	v_div_scale_f64 v[118:119], vcc, 1.0, v[99:100], 1.0
	v_rcp_f64_e32 v[114:115], v[112:113]
	v_fma_f64 v[116:117], -v[112:113], v[114:115], 1.0
	v_fma_f64 v[114:115], v[114:115], v[116:117], v[114:115]
	v_fma_f64 v[116:117], -v[112:113], v[114:115], 1.0
	v_fma_f64 v[114:115], v[114:115], v[116:117], v[114:115]
	v_mul_f64 v[116:117], v[118:119], v[114:115]
	v_fma_f64 v[112:113], -v[112:113], v[116:117], v[118:119]
	v_div_fmas_f64 v[112:113], v[112:113], v[114:115], v[116:117]
	v_div_fixup_f64 v[123:124], v[112:113], v[99:100], 1.0
	v_mul_f64 v[121:122], v[97:98], v[123:124]
	v_xor_b32_e32 v124, 0x80000000, v124
.LBB72_637:
	s_andn2_saveexec_b64 s[18:19], s[18:19]
	s_cbranch_execz .LBB72_639
; %bb.638:
	v_div_scale_f64 v[97:98], s[20:21], v[121:122], v[121:122], v[123:124]
	v_rcp_f64_e32 v[99:100], v[97:98]
	v_fma_f64 v[112:113], -v[97:98], v[99:100], 1.0
	v_fma_f64 v[99:100], v[99:100], v[112:113], v[99:100]
	v_div_scale_f64 v[112:113], vcc, v[123:124], v[121:122], v[123:124]
	v_fma_f64 v[114:115], -v[97:98], v[99:100], 1.0
	v_fma_f64 v[99:100], v[99:100], v[114:115], v[99:100]
	v_mul_f64 v[114:115], v[112:113], v[99:100]
	v_fma_f64 v[97:98], -v[97:98], v[114:115], v[112:113]
	v_div_fmas_f64 v[97:98], v[97:98], v[99:100], v[114:115]
	v_div_fixup_f64 v[97:98], v[97:98], v[121:122], v[123:124]
	v_fma_f64 v[99:100], v[123:124], v[97:98], v[121:122]
	v_div_scale_f64 v[112:113], s[20:21], v[99:100], v[99:100], 1.0
	v_div_scale_f64 v[118:119], vcc, 1.0, v[99:100], 1.0
	v_rcp_f64_e32 v[114:115], v[112:113]
	v_fma_f64 v[116:117], -v[112:113], v[114:115], 1.0
	v_fma_f64 v[114:115], v[114:115], v[116:117], v[114:115]
	v_fma_f64 v[116:117], -v[112:113], v[114:115], 1.0
	v_fma_f64 v[114:115], v[114:115], v[116:117], v[114:115]
	v_mul_f64 v[116:117], v[118:119], v[114:115]
	v_fma_f64 v[112:113], -v[112:113], v[116:117], v[118:119]
	v_div_fmas_f64 v[112:113], v[112:113], v[114:115], v[116:117]
	v_div_fixup_f64 v[121:122], v[112:113], v[99:100], 1.0
	v_mul_f64 v[123:124], v[97:98], -v[121:122]
.LBB72_639:
	s_or_b64 exec, exec, s[18:19]
.LBB72_640:
	s_or_b64 exec, exec, s[0:1]
	v_cmp_ne_u32_e32 vcc, v109, v101
	s_and_saveexec_b64 s[0:1], vcc
	s_xor_b64 s[0:1], exec, s[0:1]
	s_cbranch_execz .LBB72_646
; %bb.641:
	v_cmp_eq_u32_e32 vcc, 30, v109
	s_and_saveexec_b64 s[18:19], vcc
	s_cbranch_execz .LBB72_645
; %bb.642:
	v_cmp_ne_u32_e32 vcc, 30, v101
	s_xor_b64 s[20:21], s[6:7], -1
	s_and_b64 s[22:23], s[20:21], vcc
	s_and_saveexec_b64 s[20:21], s[22:23]
	s_cbranch_execz .LBB72_644
; %bb.643:
	buffer_load_dword v109, off, s[24:27], 0 offset:160 ; 4-byte Folded Reload
	buffer_load_dword v110, off, s[24:27], 0 offset:164 ; 4-byte Folded Reload
	v_ashrrev_i32_e32 v102, 31, v101
	v_lshlrev_b64 v[97:98], 2, v[101:102]
	s_waitcnt vmcnt(1)
	v_add_co_u32_e32 v97, vcc, v109, v97
	s_waitcnt vmcnt(0)
	v_addc_co_u32_e32 v98, vcc, v110, v98, vcc
	global_load_dword v0, v[97:98], off
	global_load_dword v99, v[109:110], off offset:120
	s_waitcnt vmcnt(1)
	global_store_dword v[109:110], v0, off offset:120
	s_waitcnt vmcnt(1)
	global_store_dword v[97:98], v99, off
.LBB72_644:
	s_or_b64 exec, exec, s[20:21]
	v_mov_b32_e32 v109, v101
	v_mov_b32_e32 v0, v101
.LBB72_645:
	s_or_b64 exec, exec, s[18:19]
.LBB72_646:
	s_andn2_saveexec_b64 s[0:1], s[0:1]
	s_cbranch_execz .LBB72_648
; %bb.647:
	v_mov_b32_e32 v109, 30
	ds_write2_b64 v103, v[17:18], v[19:20] offset0:62 offset1:63
	ds_write2_b64 v103, v[13:14], v[15:16] offset0:64 offset1:65
	;; [unrolled: 1-line block ×6, first 2 shown]
.LBB72_648:
	s_or_b64 exec, exec, s[0:1]
	v_cmp_lt_i32_e32 vcc, 30, v109
	s_waitcnt vmcnt(0) lgkmcnt(0)
	s_barrier
	s_and_saveexec_b64 s[0:1], vcc
	s_cbranch_execz .LBB72_650
; %bb.649:
	v_mul_f64 v[97:98], v[121:122], v[23:24]
	v_mul_f64 v[23:24], v[123:124], v[23:24]
	v_fma_f64 v[101:102], v[123:124], v[21:22], v[97:98]
	ds_read2_b64 v[97:100], v103 offset0:62 offset1:63
	v_fma_f64 v[21:22], v[121:122], v[21:22], -v[23:24]
	s_waitcnt lgkmcnt(0)
	v_mul_f64 v[23:24], v[99:100], v[101:102]
	v_fma_f64 v[23:24], v[97:98], v[21:22], -v[23:24]
	v_mul_f64 v[97:98], v[97:98], v[101:102]
	v_add_f64 v[17:18], v[17:18], -v[23:24]
	v_fma_f64 v[97:98], v[99:100], v[21:22], v[97:98]
	v_add_f64 v[19:20], v[19:20], -v[97:98]
	ds_read2_b64 v[97:100], v103 offset0:64 offset1:65
	s_waitcnt lgkmcnt(0)
	v_mul_f64 v[23:24], v[99:100], v[101:102]
	v_fma_f64 v[23:24], v[97:98], v[21:22], -v[23:24]
	v_mul_f64 v[97:98], v[97:98], v[101:102]
	v_add_f64 v[13:14], v[13:14], -v[23:24]
	v_fma_f64 v[97:98], v[99:100], v[21:22], v[97:98]
	v_add_f64 v[15:16], v[15:16], -v[97:98]
	ds_read2_b64 v[97:100], v103 offset0:66 offset1:67
	;; [unrolled: 8-line block ×5, first 2 shown]
	s_waitcnt lgkmcnt(0)
	v_mul_f64 v[23:24], v[99:100], v[101:102]
	v_fma_f64 v[23:24], v[97:98], v[21:22], -v[23:24]
	v_mul_f64 v[97:98], v[97:98], v[101:102]
	v_add_f64 v[105:106], v[105:106], -v[23:24]
	v_fma_f64 v[97:98], v[99:100], v[21:22], v[97:98]
	v_mov_b32_e32 v23, v101
	v_mov_b32_e32 v24, v102
	v_add_f64 v[107:108], v[107:108], -v[97:98]
.LBB72_650:
	s_or_b64 exec, exec, s[0:1]
	v_lshl_add_u32 v97, v109, 4, v103
	s_barrier
	ds_write2_b64 v97, v[17:18], v[19:20] offset1:1
	s_waitcnt lgkmcnt(0)
	s_barrier
	ds_read2_b64 v[121:124], v103 offset0:62 offset1:63
	s_cmp_lt_i32 s3, 33
	v_mov_b32_e32 v101, 31
	s_cbranch_scc1 .LBB72_653
; %bb.651:
	v_add_u32_e32 v97, 0x200, v103
	s_mov_b32 s0, 32
	v_mov_b32_e32 v101, 31
.LBB72_652:                             ; =>This Inner Loop Header: Depth=1
	s_waitcnt lgkmcnt(0)
	v_cmp_gt_f64_e32 vcc, 0, v[121:122]
	v_xor_b32_e32 v98, 0x80000000, v122
	ds_read2_b64 v[112:115], v97 offset1:1
	v_xor_b32_e32 v100, 0x80000000, v124
	v_mov_b32_e32 v116, v123
	v_add_u32_e32 v97, 16, v97
	s_waitcnt lgkmcnt(0)
	v_mov_b32_e32 v118, v114
	v_cndmask_b32_e32 v99, v122, v98, vcc
	v_cmp_gt_f64_e32 vcc, 0, v[123:124]
	v_mov_b32_e32 v98, v121
	v_cndmask_b32_e32 v117, v124, v100, vcc
	v_cmp_gt_f64_e32 vcc, 0, v[112:113]
	v_xor_b32_e32 v100, 0x80000000, v113
	v_add_f64 v[98:99], v[98:99], v[116:117]
	v_mov_b32_e32 v116, v112
	v_cndmask_b32_e32 v117, v113, v100, vcc
	v_cmp_gt_f64_e32 vcc, 0, v[114:115]
	v_xor_b32_e32 v100, 0x80000000, v115
	v_cndmask_b32_e32 v119, v115, v100, vcc
	v_add_f64 v[116:117], v[116:117], v[118:119]
	v_cmp_lt_f64_e32 vcc, v[98:99], v[116:117]
	v_mov_b32_e32 v98, s0
	s_add_i32 s0, s0, 1
	s_cmp_lg_u32 s3, s0
	v_cndmask_b32_e32 v122, v122, v113, vcc
	v_cndmask_b32_e32 v121, v121, v112, vcc
	;; [unrolled: 1-line block ×5, first 2 shown]
	s_cbranch_scc1 .LBB72_652
.LBB72_653:
	s_waitcnt lgkmcnt(0)
	v_cmp_eq_f64_e32 vcc, 0, v[121:122]
	v_cmp_eq_f64_e64 s[0:1], 0, v[123:124]
	s_and_b64 s[0:1], vcc, s[0:1]
	s_and_saveexec_b64 s[18:19], s[0:1]
	s_xor_b64 s[0:1], exec, s[18:19]
; %bb.654:
	v_cmp_ne_u32_e32 vcc, 0, v111
	v_cndmask_b32_e32 v111, 32, v111, vcc
; %bb.655:
	s_andn2_saveexec_b64 s[0:1], s[0:1]
	s_cbranch_execz .LBB72_661
; %bb.656:
	v_cmp_ngt_f64_e64 s[18:19], |v[121:122]|, |v[123:124]|
	s_and_saveexec_b64 s[20:21], s[18:19]
	s_xor_b64 s[18:19], exec, s[20:21]
	s_cbranch_execz .LBB72_658
; %bb.657:
	v_div_scale_f64 v[97:98], s[20:21], v[123:124], v[123:124], v[121:122]
	v_rcp_f64_e32 v[99:100], v[97:98]
	v_fma_f64 v[112:113], -v[97:98], v[99:100], 1.0
	v_fma_f64 v[99:100], v[99:100], v[112:113], v[99:100]
	v_div_scale_f64 v[112:113], vcc, v[121:122], v[123:124], v[121:122]
	v_fma_f64 v[114:115], -v[97:98], v[99:100], 1.0
	v_fma_f64 v[99:100], v[99:100], v[114:115], v[99:100]
	v_mul_f64 v[114:115], v[112:113], v[99:100]
	v_fma_f64 v[97:98], -v[97:98], v[114:115], v[112:113]
	v_div_fmas_f64 v[97:98], v[97:98], v[99:100], v[114:115]
	v_div_fixup_f64 v[97:98], v[97:98], v[123:124], v[121:122]
	v_fma_f64 v[99:100], v[121:122], v[97:98], v[123:124]
	v_div_scale_f64 v[112:113], s[20:21], v[99:100], v[99:100], 1.0
	v_div_scale_f64 v[118:119], vcc, 1.0, v[99:100], 1.0
	v_rcp_f64_e32 v[114:115], v[112:113]
	v_fma_f64 v[116:117], -v[112:113], v[114:115], 1.0
	v_fma_f64 v[114:115], v[114:115], v[116:117], v[114:115]
	v_fma_f64 v[116:117], -v[112:113], v[114:115], 1.0
	v_fma_f64 v[114:115], v[114:115], v[116:117], v[114:115]
	v_mul_f64 v[116:117], v[118:119], v[114:115]
	v_fma_f64 v[112:113], -v[112:113], v[116:117], v[118:119]
	v_div_fmas_f64 v[112:113], v[112:113], v[114:115], v[116:117]
	v_div_fixup_f64 v[123:124], v[112:113], v[99:100], 1.0
	v_mul_f64 v[121:122], v[97:98], v[123:124]
	v_xor_b32_e32 v124, 0x80000000, v124
.LBB72_658:
	s_andn2_saveexec_b64 s[18:19], s[18:19]
	s_cbranch_execz .LBB72_660
; %bb.659:
	v_div_scale_f64 v[97:98], s[20:21], v[121:122], v[121:122], v[123:124]
	v_rcp_f64_e32 v[99:100], v[97:98]
	v_fma_f64 v[112:113], -v[97:98], v[99:100], 1.0
	v_fma_f64 v[99:100], v[99:100], v[112:113], v[99:100]
	v_div_scale_f64 v[112:113], vcc, v[123:124], v[121:122], v[123:124]
	v_fma_f64 v[114:115], -v[97:98], v[99:100], 1.0
	v_fma_f64 v[99:100], v[99:100], v[114:115], v[99:100]
	v_mul_f64 v[114:115], v[112:113], v[99:100]
	v_fma_f64 v[97:98], -v[97:98], v[114:115], v[112:113]
	v_div_fmas_f64 v[97:98], v[97:98], v[99:100], v[114:115]
	v_div_fixup_f64 v[97:98], v[97:98], v[121:122], v[123:124]
	v_fma_f64 v[99:100], v[123:124], v[97:98], v[121:122]
	v_div_scale_f64 v[112:113], s[20:21], v[99:100], v[99:100], 1.0
	v_div_scale_f64 v[118:119], vcc, 1.0, v[99:100], 1.0
	v_rcp_f64_e32 v[114:115], v[112:113]
	v_fma_f64 v[116:117], -v[112:113], v[114:115], 1.0
	v_fma_f64 v[114:115], v[114:115], v[116:117], v[114:115]
	v_fma_f64 v[116:117], -v[112:113], v[114:115], 1.0
	v_fma_f64 v[114:115], v[114:115], v[116:117], v[114:115]
	v_mul_f64 v[116:117], v[118:119], v[114:115]
	v_fma_f64 v[112:113], -v[112:113], v[116:117], v[118:119]
	v_div_fmas_f64 v[112:113], v[112:113], v[114:115], v[116:117]
	v_div_fixup_f64 v[121:122], v[112:113], v[99:100], 1.0
	v_mul_f64 v[123:124], v[97:98], -v[121:122]
.LBB72_660:
	s_or_b64 exec, exec, s[18:19]
.LBB72_661:
	s_or_b64 exec, exec, s[0:1]
	v_cmp_ne_u32_e32 vcc, v109, v101
	s_and_saveexec_b64 s[0:1], vcc
	s_xor_b64 s[0:1], exec, s[0:1]
	s_cbranch_execz .LBB72_667
; %bb.662:
	v_cmp_eq_u32_e32 vcc, 31, v109
	s_and_saveexec_b64 s[18:19], vcc
	s_cbranch_execz .LBB72_666
; %bb.663:
	v_cmp_ne_u32_e32 vcc, 31, v101
	s_xor_b64 s[20:21], s[6:7], -1
	s_and_b64 s[22:23], s[20:21], vcc
	s_and_saveexec_b64 s[20:21], s[22:23]
	s_cbranch_execz .LBB72_665
; %bb.664:
	buffer_load_dword v109, off, s[24:27], 0 offset:160 ; 4-byte Folded Reload
	buffer_load_dword v110, off, s[24:27], 0 offset:164 ; 4-byte Folded Reload
	v_ashrrev_i32_e32 v102, 31, v101
	v_lshlrev_b64 v[97:98], 2, v[101:102]
	s_waitcnt vmcnt(1)
	v_add_co_u32_e32 v97, vcc, v109, v97
	s_waitcnt vmcnt(0)
	v_addc_co_u32_e32 v98, vcc, v110, v98, vcc
	global_load_dword v0, v[97:98], off
	global_load_dword v99, v[109:110], off offset:124
	s_waitcnt vmcnt(1)
	global_store_dword v[109:110], v0, off offset:124
	s_waitcnt vmcnt(1)
	global_store_dword v[97:98], v99, off
.LBB72_665:
	s_or_b64 exec, exec, s[20:21]
	v_mov_b32_e32 v109, v101
	v_mov_b32_e32 v0, v101
.LBB72_666:
	s_or_b64 exec, exec, s[18:19]
.LBB72_667:
	s_andn2_saveexec_b64 s[0:1], s[0:1]
	s_cbranch_execz .LBB72_669
; %bb.668:
	v_mov_b32_e32 v109, 31
	ds_write2_b64 v103, v[13:14], v[15:16] offset0:64 offset1:65
	ds_write2_b64 v103, v[9:10], v[11:12] offset0:66 offset1:67
	;; [unrolled: 1-line block ×5, first 2 shown]
.LBB72_669:
	s_or_b64 exec, exec, s[0:1]
	v_cmp_lt_i32_e32 vcc, 31, v109
	s_waitcnt vmcnt(0) lgkmcnt(0)
	s_barrier
	s_and_saveexec_b64 s[0:1], vcc
	s_cbranch_execz .LBB72_671
; %bb.670:
	v_mul_f64 v[97:98], v[121:122], v[19:20]
	v_mul_f64 v[19:20], v[123:124], v[19:20]
	v_fma_f64 v[101:102], v[123:124], v[17:18], v[97:98]
	ds_read2_b64 v[97:100], v103 offset0:64 offset1:65
	v_fma_f64 v[17:18], v[121:122], v[17:18], -v[19:20]
	s_waitcnt lgkmcnt(0)
	v_mul_f64 v[19:20], v[99:100], v[101:102]
	v_fma_f64 v[19:20], v[97:98], v[17:18], -v[19:20]
	v_mul_f64 v[97:98], v[97:98], v[101:102]
	v_add_f64 v[13:14], v[13:14], -v[19:20]
	v_fma_f64 v[97:98], v[99:100], v[17:18], v[97:98]
	v_add_f64 v[15:16], v[15:16], -v[97:98]
	ds_read2_b64 v[97:100], v103 offset0:66 offset1:67
	s_waitcnt lgkmcnt(0)
	v_mul_f64 v[19:20], v[99:100], v[101:102]
	v_fma_f64 v[19:20], v[97:98], v[17:18], -v[19:20]
	v_mul_f64 v[97:98], v[97:98], v[101:102]
	v_add_f64 v[9:10], v[9:10], -v[19:20]
	v_fma_f64 v[97:98], v[99:100], v[17:18], v[97:98]
	v_add_f64 v[11:12], v[11:12], -v[97:98]
	ds_read2_b64 v[97:100], v103 offset0:68 offset1:69
	;; [unrolled: 8-line block ×4, first 2 shown]
	s_waitcnt lgkmcnt(0)
	v_mul_f64 v[19:20], v[99:100], v[101:102]
	v_fma_f64 v[19:20], v[97:98], v[17:18], -v[19:20]
	v_mul_f64 v[97:98], v[97:98], v[101:102]
	v_add_f64 v[105:106], v[105:106], -v[19:20]
	v_fma_f64 v[97:98], v[99:100], v[17:18], v[97:98]
	v_mov_b32_e32 v19, v101
	v_mov_b32_e32 v20, v102
	v_add_f64 v[107:108], v[107:108], -v[97:98]
.LBB72_671:
	s_or_b64 exec, exec, s[0:1]
	v_lshl_add_u32 v97, v109, 4, v103
	s_barrier
	ds_write2_b64 v97, v[13:14], v[15:16] offset1:1
	s_waitcnt lgkmcnt(0)
	s_barrier
	ds_read2_b64 v[121:124], v103 offset0:64 offset1:65
	s_cmp_lt_i32 s3, 34
	v_mov_b32_e32 v101, 32
	s_cbranch_scc1 .LBB72_674
; %bb.672:
	v_add_u32_e32 v97, 0x210, v103
	s_mov_b32 s0, 33
	v_mov_b32_e32 v101, 32
.LBB72_673:                             ; =>This Inner Loop Header: Depth=1
	s_waitcnt lgkmcnt(0)
	v_cmp_gt_f64_e32 vcc, 0, v[121:122]
	v_xor_b32_e32 v98, 0x80000000, v122
	ds_read2_b64 v[112:115], v97 offset1:1
	v_xor_b32_e32 v100, 0x80000000, v124
	v_mov_b32_e32 v116, v123
	v_add_u32_e32 v97, 16, v97
	s_waitcnt lgkmcnt(0)
	v_mov_b32_e32 v118, v114
	v_cndmask_b32_e32 v99, v122, v98, vcc
	v_cmp_gt_f64_e32 vcc, 0, v[123:124]
	v_mov_b32_e32 v98, v121
	v_cndmask_b32_e32 v117, v124, v100, vcc
	v_cmp_gt_f64_e32 vcc, 0, v[112:113]
	v_xor_b32_e32 v100, 0x80000000, v113
	v_add_f64 v[98:99], v[98:99], v[116:117]
	v_mov_b32_e32 v116, v112
	v_cndmask_b32_e32 v117, v113, v100, vcc
	v_cmp_gt_f64_e32 vcc, 0, v[114:115]
	v_xor_b32_e32 v100, 0x80000000, v115
	v_cndmask_b32_e32 v119, v115, v100, vcc
	v_add_f64 v[116:117], v[116:117], v[118:119]
	v_cmp_lt_f64_e32 vcc, v[98:99], v[116:117]
	v_mov_b32_e32 v98, s0
	s_add_i32 s0, s0, 1
	s_cmp_lg_u32 s3, s0
	v_cndmask_b32_e32 v122, v122, v113, vcc
	v_cndmask_b32_e32 v121, v121, v112, vcc
	;; [unrolled: 1-line block ×5, first 2 shown]
	s_cbranch_scc1 .LBB72_673
.LBB72_674:
	s_waitcnt lgkmcnt(0)
	v_cmp_eq_f64_e32 vcc, 0, v[121:122]
	v_cmp_eq_f64_e64 s[0:1], 0, v[123:124]
	s_and_b64 s[0:1], vcc, s[0:1]
	s_and_saveexec_b64 s[18:19], s[0:1]
	s_xor_b64 s[0:1], exec, s[18:19]
; %bb.675:
	v_cmp_ne_u32_e32 vcc, 0, v111
	v_cndmask_b32_e32 v111, 33, v111, vcc
; %bb.676:
	s_andn2_saveexec_b64 s[0:1], s[0:1]
	s_cbranch_execz .LBB72_682
; %bb.677:
	v_cmp_ngt_f64_e64 s[18:19], |v[121:122]|, |v[123:124]|
	s_and_saveexec_b64 s[20:21], s[18:19]
	s_xor_b64 s[18:19], exec, s[20:21]
	s_cbranch_execz .LBB72_679
; %bb.678:
	v_div_scale_f64 v[97:98], s[20:21], v[123:124], v[123:124], v[121:122]
	v_rcp_f64_e32 v[99:100], v[97:98]
	v_fma_f64 v[112:113], -v[97:98], v[99:100], 1.0
	v_fma_f64 v[99:100], v[99:100], v[112:113], v[99:100]
	v_div_scale_f64 v[112:113], vcc, v[121:122], v[123:124], v[121:122]
	v_fma_f64 v[114:115], -v[97:98], v[99:100], 1.0
	v_fma_f64 v[99:100], v[99:100], v[114:115], v[99:100]
	v_mul_f64 v[114:115], v[112:113], v[99:100]
	v_fma_f64 v[97:98], -v[97:98], v[114:115], v[112:113]
	v_div_fmas_f64 v[97:98], v[97:98], v[99:100], v[114:115]
	v_div_fixup_f64 v[97:98], v[97:98], v[123:124], v[121:122]
	v_fma_f64 v[99:100], v[121:122], v[97:98], v[123:124]
	v_div_scale_f64 v[112:113], s[20:21], v[99:100], v[99:100], 1.0
	v_div_scale_f64 v[118:119], vcc, 1.0, v[99:100], 1.0
	v_rcp_f64_e32 v[114:115], v[112:113]
	v_fma_f64 v[116:117], -v[112:113], v[114:115], 1.0
	v_fma_f64 v[114:115], v[114:115], v[116:117], v[114:115]
	v_fma_f64 v[116:117], -v[112:113], v[114:115], 1.0
	v_fma_f64 v[114:115], v[114:115], v[116:117], v[114:115]
	v_mul_f64 v[116:117], v[118:119], v[114:115]
	v_fma_f64 v[112:113], -v[112:113], v[116:117], v[118:119]
	v_div_fmas_f64 v[112:113], v[112:113], v[114:115], v[116:117]
	v_div_fixup_f64 v[123:124], v[112:113], v[99:100], 1.0
	v_mul_f64 v[121:122], v[97:98], v[123:124]
	v_xor_b32_e32 v124, 0x80000000, v124
.LBB72_679:
	s_andn2_saveexec_b64 s[18:19], s[18:19]
	s_cbranch_execz .LBB72_681
; %bb.680:
	v_div_scale_f64 v[97:98], s[20:21], v[121:122], v[121:122], v[123:124]
	v_rcp_f64_e32 v[99:100], v[97:98]
	v_fma_f64 v[112:113], -v[97:98], v[99:100], 1.0
	v_fma_f64 v[99:100], v[99:100], v[112:113], v[99:100]
	v_div_scale_f64 v[112:113], vcc, v[123:124], v[121:122], v[123:124]
	v_fma_f64 v[114:115], -v[97:98], v[99:100], 1.0
	v_fma_f64 v[99:100], v[99:100], v[114:115], v[99:100]
	v_mul_f64 v[114:115], v[112:113], v[99:100]
	v_fma_f64 v[97:98], -v[97:98], v[114:115], v[112:113]
	v_div_fmas_f64 v[97:98], v[97:98], v[99:100], v[114:115]
	v_div_fixup_f64 v[97:98], v[97:98], v[121:122], v[123:124]
	v_fma_f64 v[99:100], v[123:124], v[97:98], v[121:122]
	v_div_scale_f64 v[112:113], s[20:21], v[99:100], v[99:100], 1.0
	v_div_scale_f64 v[118:119], vcc, 1.0, v[99:100], 1.0
	v_rcp_f64_e32 v[114:115], v[112:113]
	v_fma_f64 v[116:117], -v[112:113], v[114:115], 1.0
	v_fma_f64 v[114:115], v[114:115], v[116:117], v[114:115]
	v_fma_f64 v[116:117], -v[112:113], v[114:115], 1.0
	v_fma_f64 v[114:115], v[114:115], v[116:117], v[114:115]
	v_mul_f64 v[116:117], v[118:119], v[114:115]
	v_fma_f64 v[112:113], -v[112:113], v[116:117], v[118:119]
	v_div_fmas_f64 v[112:113], v[112:113], v[114:115], v[116:117]
	v_div_fixup_f64 v[121:122], v[112:113], v[99:100], 1.0
	v_mul_f64 v[123:124], v[97:98], -v[121:122]
.LBB72_681:
	s_or_b64 exec, exec, s[18:19]
.LBB72_682:
	s_or_b64 exec, exec, s[0:1]
	v_cmp_ne_u32_e32 vcc, v109, v101
	s_and_saveexec_b64 s[0:1], vcc
	s_xor_b64 s[0:1], exec, s[0:1]
	s_cbranch_execz .LBB72_688
; %bb.683:
	v_cmp_eq_u32_e32 vcc, 32, v109
	s_and_saveexec_b64 s[18:19], vcc
	s_cbranch_execz .LBB72_687
; %bb.684:
	v_cmp_ne_u32_e32 vcc, 32, v101
	s_xor_b64 s[20:21], s[6:7], -1
	s_and_b64 s[22:23], s[20:21], vcc
	s_and_saveexec_b64 s[20:21], s[22:23]
	s_cbranch_execz .LBB72_686
; %bb.685:
	buffer_load_dword v109, off, s[24:27], 0 offset:160 ; 4-byte Folded Reload
	buffer_load_dword v110, off, s[24:27], 0 offset:164 ; 4-byte Folded Reload
	v_ashrrev_i32_e32 v102, 31, v101
	v_lshlrev_b64 v[97:98], 2, v[101:102]
	s_waitcnt vmcnt(1)
	v_add_co_u32_e32 v97, vcc, v109, v97
	s_waitcnt vmcnt(0)
	v_addc_co_u32_e32 v98, vcc, v110, v98, vcc
	global_load_dword v0, v[97:98], off
	global_load_dword v99, v[109:110], off offset:128
	s_waitcnt vmcnt(1)
	global_store_dword v[109:110], v0, off offset:128
	s_waitcnt vmcnt(1)
	global_store_dword v[97:98], v99, off
.LBB72_686:
	s_or_b64 exec, exec, s[20:21]
	v_mov_b32_e32 v109, v101
	v_mov_b32_e32 v0, v101
.LBB72_687:
	s_or_b64 exec, exec, s[18:19]
.LBB72_688:
	s_andn2_saveexec_b64 s[0:1], s[0:1]
	s_cbranch_execz .LBB72_690
; %bb.689:
	v_mov_b32_e32 v109, 32
	ds_write2_b64 v103, v[9:10], v[11:12] offset0:66 offset1:67
	ds_write2_b64 v103, v[5:6], v[7:8] offset0:68 offset1:69
	;; [unrolled: 1-line block ×4, first 2 shown]
.LBB72_690:
	s_or_b64 exec, exec, s[0:1]
	v_cmp_lt_i32_e32 vcc, 32, v109
	s_waitcnt vmcnt(0) lgkmcnt(0)
	s_barrier
	s_and_saveexec_b64 s[0:1], vcc
	s_cbranch_execz .LBB72_692
; %bb.691:
	v_mul_f64 v[97:98], v[121:122], v[15:16]
	v_mul_f64 v[15:16], v[123:124], v[15:16]
	v_fma_f64 v[101:102], v[123:124], v[13:14], v[97:98]
	ds_read2_b64 v[97:100], v103 offset0:66 offset1:67
	v_fma_f64 v[13:14], v[121:122], v[13:14], -v[15:16]
	s_waitcnt lgkmcnt(0)
	v_mul_f64 v[15:16], v[99:100], v[101:102]
	v_fma_f64 v[15:16], v[97:98], v[13:14], -v[15:16]
	v_mul_f64 v[97:98], v[97:98], v[101:102]
	v_add_f64 v[9:10], v[9:10], -v[15:16]
	v_fma_f64 v[97:98], v[99:100], v[13:14], v[97:98]
	v_add_f64 v[11:12], v[11:12], -v[97:98]
	ds_read2_b64 v[97:100], v103 offset0:68 offset1:69
	s_waitcnt lgkmcnt(0)
	v_mul_f64 v[15:16], v[99:100], v[101:102]
	v_fma_f64 v[15:16], v[97:98], v[13:14], -v[15:16]
	v_mul_f64 v[97:98], v[97:98], v[101:102]
	v_add_f64 v[5:6], v[5:6], -v[15:16]
	v_fma_f64 v[97:98], v[99:100], v[13:14], v[97:98]
	v_add_f64 v[7:8], v[7:8], -v[97:98]
	ds_read2_b64 v[97:100], v103 offset0:70 offset1:71
	;; [unrolled: 8-line block ×3, first 2 shown]
	s_waitcnt lgkmcnt(0)
	v_mul_f64 v[15:16], v[99:100], v[101:102]
	v_fma_f64 v[15:16], v[97:98], v[13:14], -v[15:16]
	v_mul_f64 v[97:98], v[97:98], v[101:102]
	v_add_f64 v[105:106], v[105:106], -v[15:16]
	v_fma_f64 v[97:98], v[99:100], v[13:14], v[97:98]
	v_mov_b32_e32 v15, v101
	v_mov_b32_e32 v16, v102
	v_add_f64 v[107:108], v[107:108], -v[97:98]
.LBB72_692:
	s_or_b64 exec, exec, s[0:1]
	v_lshl_add_u32 v97, v109, 4, v103
	s_barrier
	ds_write2_b64 v97, v[9:10], v[11:12] offset1:1
	s_waitcnt lgkmcnt(0)
	s_barrier
	ds_read2_b64 v[121:124], v103 offset0:66 offset1:67
	s_cmp_lt_i32 s3, 35
	v_mov_b32_e32 v101, 33
	s_cbranch_scc1 .LBB72_695
; %bb.693:
	v_add_u32_e32 v97, 0x220, v103
	s_mov_b32 s0, 34
	v_mov_b32_e32 v101, 33
.LBB72_694:                             ; =>This Inner Loop Header: Depth=1
	s_waitcnt lgkmcnt(0)
	v_cmp_gt_f64_e32 vcc, 0, v[121:122]
	v_xor_b32_e32 v98, 0x80000000, v122
	ds_read2_b64 v[112:115], v97 offset1:1
	v_xor_b32_e32 v100, 0x80000000, v124
	v_mov_b32_e32 v116, v123
	v_add_u32_e32 v97, 16, v97
	s_waitcnt lgkmcnt(0)
	v_mov_b32_e32 v118, v114
	v_cndmask_b32_e32 v99, v122, v98, vcc
	v_cmp_gt_f64_e32 vcc, 0, v[123:124]
	v_mov_b32_e32 v98, v121
	v_cndmask_b32_e32 v117, v124, v100, vcc
	v_cmp_gt_f64_e32 vcc, 0, v[112:113]
	v_xor_b32_e32 v100, 0x80000000, v113
	v_add_f64 v[98:99], v[98:99], v[116:117]
	v_mov_b32_e32 v116, v112
	v_cndmask_b32_e32 v117, v113, v100, vcc
	v_cmp_gt_f64_e32 vcc, 0, v[114:115]
	v_xor_b32_e32 v100, 0x80000000, v115
	v_cndmask_b32_e32 v119, v115, v100, vcc
	v_add_f64 v[116:117], v[116:117], v[118:119]
	v_cmp_lt_f64_e32 vcc, v[98:99], v[116:117]
	v_mov_b32_e32 v98, s0
	s_add_i32 s0, s0, 1
	s_cmp_lg_u32 s3, s0
	v_cndmask_b32_e32 v122, v122, v113, vcc
	v_cndmask_b32_e32 v121, v121, v112, vcc
	;; [unrolled: 1-line block ×5, first 2 shown]
	s_cbranch_scc1 .LBB72_694
.LBB72_695:
	s_waitcnt lgkmcnt(0)
	v_cmp_eq_f64_e32 vcc, 0, v[121:122]
	v_cmp_eq_f64_e64 s[0:1], 0, v[123:124]
	s_and_b64 s[0:1], vcc, s[0:1]
	s_and_saveexec_b64 s[18:19], s[0:1]
	s_xor_b64 s[0:1], exec, s[18:19]
; %bb.696:
	v_cmp_ne_u32_e32 vcc, 0, v111
	v_cndmask_b32_e32 v111, 34, v111, vcc
; %bb.697:
	s_andn2_saveexec_b64 s[0:1], s[0:1]
	s_cbranch_execz .LBB72_703
; %bb.698:
	v_cmp_ngt_f64_e64 s[18:19], |v[121:122]|, |v[123:124]|
	s_and_saveexec_b64 s[20:21], s[18:19]
	s_xor_b64 s[18:19], exec, s[20:21]
	s_cbranch_execz .LBB72_700
; %bb.699:
	v_div_scale_f64 v[97:98], s[20:21], v[123:124], v[123:124], v[121:122]
	v_rcp_f64_e32 v[99:100], v[97:98]
	v_fma_f64 v[112:113], -v[97:98], v[99:100], 1.0
	v_fma_f64 v[99:100], v[99:100], v[112:113], v[99:100]
	v_div_scale_f64 v[112:113], vcc, v[121:122], v[123:124], v[121:122]
	v_fma_f64 v[114:115], -v[97:98], v[99:100], 1.0
	v_fma_f64 v[99:100], v[99:100], v[114:115], v[99:100]
	v_mul_f64 v[114:115], v[112:113], v[99:100]
	v_fma_f64 v[97:98], -v[97:98], v[114:115], v[112:113]
	v_div_fmas_f64 v[97:98], v[97:98], v[99:100], v[114:115]
	v_div_fixup_f64 v[97:98], v[97:98], v[123:124], v[121:122]
	v_fma_f64 v[99:100], v[121:122], v[97:98], v[123:124]
	v_div_scale_f64 v[112:113], s[20:21], v[99:100], v[99:100], 1.0
	v_div_scale_f64 v[118:119], vcc, 1.0, v[99:100], 1.0
	v_rcp_f64_e32 v[114:115], v[112:113]
	v_fma_f64 v[116:117], -v[112:113], v[114:115], 1.0
	v_fma_f64 v[114:115], v[114:115], v[116:117], v[114:115]
	v_fma_f64 v[116:117], -v[112:113], v[114:115], 1.0
	v_fma_f64 v[114:115], v[114:115], v[116:117], v[114:115]
	v_mul_f64 v[116:117], v[118:119], v[114:115]
	v_fma_f64 v[112:113], -v[112:113], v[116:117], v[118:119]
	v_div_fmas_f64 v[112:113], v[112:113], v[114:115], v[116:117]
	v_div_fixup_f64 v[123:124], v[112:113], v[99:100], 1.0
	v_mul_f64 v[121:122], v[97:98], v[123:124]
	v_xor_b32_e32 v124, 0x80000000, v124
.LBB72_700:
	s_andn2_saveexec_b64 s[18:19], s[18:19]
	s_cbranch_execz .LBB72_702
; %bb.701:
	v_div_scale_f64 v[97:98], s[20:21], v[121:122], v[121:122], v[123:124]
	v_rcp_f64_e32 v[99:100], v[97:98]
	v_fma_f64 v[112:113], -v[97:98], v[99:100], 1.0
	v_fma_f64 v[99:100], v[99:100], v[112:113], v[99:100]
	v_div_scale_f64 v[112:113], vcc, v[123:124], v[121:122], v[123:124]
	v_fma_f64 v[114:115], -v[97:98], v[99:100], 1.0
	v_fma_f64 v[99:100], v[99:100], v[114:115], v[99:100]
	v_mul_f64 v[114:115], v[112:113], v[99:100]
	v_fma_f64 v[97:98], -v[97:98], v[114:115], v[112:113]
	v_div_fmas_f64 v[97:98], v[97:98], v[99:100], v[114:115]
	v_div_fixup_f64 v[97:98], v[97:98], v[121:122], v[123:124]
	v_fma_f64 v[99:100], v[123:124], v[97:98], v[121:122]
	v_div_scale_f64 v[112:113], s[20:21], v[99:100], v[99:100], 1.0
	v_div_scale_f64 v[118:119], vcc, 1.0, v[99:100], 1.0
	v_rcp_f64_e32 v[114:115], v[112:113]
	v_fma_f64 v[116:117], -v[112:113], v[114:115], 1.0
	v_fma_f64 v[114:115], v[114:115], v[116:117], v[114:115]
	v_fma_f64 v[116:117], -v[112:113], v[114:115], 1.0
	v_fma_f64 v[114:115], v[114:115], v[116:117], v[114:115]
	v_mul_f64 v[116:117], v[118:119], v[114:115]
	v_fma_f64 v[112:113], -v[112:113], v[116:117], v[118:119]
	v_div_fmas_f64 v[112:113], v[112:113], v[114:115], v[116:117]
	v_div_fixup_f64 v[121:122], v[112:113], v[99:100], 1.0
	v_mul_f64 v[123:124], v[97:98], -v[121:122]
.LBB72_702:
	s_or_b64 exec, exec, s[18:19]
.LBB72_703:
	s_or_b64 exec, exec, s[0:1]
	v_cmp_ne_u32_e32 vcc, v109, v101
	s_and_saveexec_b64 s[0:1], vcc
	s_xor_b64 s[0:1], exec, s[0:1]
	s_cbranch_execz .LBB72_709
; %bb.704:
	v_cmp_eq_u32_e32 vcc, 33, v109
	s_and_saveexec_b64 s[18:19], vcc
	s_cbranch_execz .LBB72_708
; %bb.705:
	v_cmp_ne_u32_e32 vcc, 33, v101
	s_xor_b64 s[20:21], s[6:7], -1
	s_and_b64 s[22:23], s[20:21], vcc
	s_and_saveexec_b64 s[20:21], s[22:23]
	s_cbranch_execz .LBB72_707
; %bb.706:
	buffer_load_dword v109, off, s[24:27], 0 offset:160 ; 4-byte Folded Reload
	buffer_load_dword v110, off, s[24:27], 0 offset:164 ; 4-byte Folded Reload
	v_ashrrev_i32_e32 v102, 31, v101
	v_lshlrev_b64 v[97:98], 2, v[101:102]
	s_waitcnt vmcnt(1)
	v_add_co_u32_e32 v97, vcc, v109, v97
	s_waitcnt vmcnt(0)
	v_addc_co_u32_e32 v98, vcc, v110, v98, vcc
	global_load_dword v0, v[97:98], off
	global_load_dword v99, v[109:110], off offset:132
	s_waitcnt vmcnt(1)
	global_store_dword v[109:110], v0, off offset:132
	s_waitcnt vmcnt(1)
	global_store_dword v[97:98], v99, off
.LBB72_707:
	s_or_b64 exec, exec, s[20:21]
	v_mov_b32_e32 v109, v101
	v_mov_b32_e32 v0, v101
.LBB72_708:
	s_or_b64 exec, exec, s[18:19]
.LBB72_709:
	s_andn2_saveexec_b64 s[0:1], s[0:1]
	s_cbranch_execz .LBB72_711
; %bb.710:
	v_mov_b32_e32 v109, 33
	ds_write2_b64 v103, v[5:6], v[7:8] offset0:68 offset1:69
	ds_write2_b64 v103, v[1:2], v[3:4] offset0:70 offset1:71
	ds_write2_b64 v103, v[105:106], v[107:108] offset0:72 offset1:73
.LBB72_711:
	s_or_b64 exec, exec, s[0:1]
	v_cmp_lt_i32_e32 vcc, 33, v109
	s_waitcnt vmcnt(0) lgkmcnt(0)
	s_barrier
	s_and_saveexec_b64 s[0:1], vcc
	s_cbranch_execz .LBB72_713
; %bb.712:
	v_mul_f64 v[97:98], v[121:122], v[11:12]
	v_mul_f64 v[11:12], v[123:124], v[11:12]
	v_fma_f64 v[101:102], v[123:124], v[9:10], v[97:98]
	ds_read2_b64 v[97:100], v103 offset0:68 offset1:69
	v_fma_f64 v[9:10], v[121:122], v[9:10], -v[11:12]
	s_waitcnt lgkmcnt(0)
	v_mul_f64 v[11:12], v[99:100], v[101:102]
	v_fma_f64 v[11:12], v[97:98], v[9:10], -v[11:12]
	v_mul_f64 v[97:98], v[97:98], v[101:102]
	v_add_f64 v[5:6], v[5:6], -v[11:12]
	v_fma_f64 v[97:98], v[99:100], v[9:10], v[97:98]
	v_add_f64 v[7:8], v[7:8], -v[97:98]
	ds_read2_b64 v[97:100], v103 offset0:70 offset1:71
	s_waitcnt lgkmcnt(0)
	v_mul_f64 v[11:12], v[99:100], v[101:102]
	v_fma_f64 v[11:12], v[97:98], v[9:10], -v[11:12]
	v_mul_f64 v[97:98], v[97:98], v[101:102]
	v_add_f64 v[1:2], v[1:2], -v[11:12]
	v_fma_f64 v[97:98], v[99:100], v[9:10], v[97:98]
	v_add_f64 v[3:4], v[3:4], -v[97:98]
	ds_read2_b64 v[97:100], v103 offset0:72 offset1:73
	s_waitcnt lgkmcnt(0)
	v_mul_f64 v[11:12], v[99:100], v[101:102]
	v_fma_f64 v[11:12], v[97:98], v[9:10], -v[11:12]
	v_mul_f64 v[97:98], v[97:98], v[101:102]
	v_add_f64 v[105:106], v[105:106], -v[11:12]
	v_fma_f64 v[97:98], v[99:100], v[9:10], v[97:98]
	v_mov_b32_e32 v11, v101
	v_mov_b32_e32 v12, v102
	v_add_f64 v[107:108], v[107:108], -v[97:98]
.LBB72_713:
	s_or_b64 exec, exec, s[0:1]
	v_lshl_add_u32 v97, v109, 4, v103
	s_barrier
	ds_write2_b64 v97, v[5:6], v[7:8] offset1:1
	s_waitcnt lgkmcnt(0)
	s_barrier
	ds_read2_b64 v[121:124], v103 offset0:68 offset1:69
	s_cmp_lt_i32 s3, 36
	v_mov_b32_e32 v101, 34
	s_cbranch_scc1 .LBB72_716
; %bb.714:
	v_add_u32_e32 v97, 0x230, v103
	s_mov_b32 s0, 35
	v_mov_b32_e32 v101, 34
.LBB72_715:                             ; =>This Inner Loop Header: Depth=1
	s_waitcnt lgkmcnt(0)
	v_cmp_gt_f64_e32 vcc, 0, v[121:122]
	v_xor_b32_e32 v98, 0x80000000, v122
	ds_read2_b64 v[112:115], v97 offset1:1
	v_xor_b32_e32 v100, 0x80000000, v124
	v_mov_b32_e32 v116, v123
	v_add_u32_e32 v97, 16, v97
	s_waitcnt lgkmcnt(0)
	v_mov_b32_e32 v118, v114
	v_cndmask_b32_e32 v99, v122, v98, vcc
	v_cmp_gt_f64_e32 vcc, 0, v[123:124]
	v_mov_b32_e32 v98, v121
	v_cndmask_b32_e32 v117, v124, v100, vcc
	v_cmp_gt_f64_e32 vcc, 0, v[112:113]
	v_xor_b32_e32 v100, 0x80000000, v113
	v_add_f64 v[98:99], v[98:99], v[116:117]
	v_mov_b32_e32 v116, v112
	v_cndmask_b32_e32 v117, v113, v100, vcc
	v_cmp_gt_f64_e32 vcc, 0, v[114:115]
	v_xor_b32_e32 v100, 0x80000000, v115
	v_cndmask_b32_e32 v119, v115, v100, vcc
	v_add_f64 v[116:117], v[116:117], v[118:119]
	v_cmp_lt_f64_e32 vcc, v[98:99], v[116:117]
	v_mov_b32_e32 v98, s0
	s_add_i32 s0, s0, 1
	s_cmp_lg_u32 s3, s0
	v_cndmask_b32_e32 v122, v122, v113, vcc
	v_cndmask_b32_e32 v121, v121, v112, vcc
	;; [unrolled: 1-line block ×5, first 2 shown]
	s_cbranch_scc1 .LBB72_715
.LBB72_716:
	s_waitcnt lgkmcnt(0)
	v_cmp_eq_f64_e32 vcc, 0, v[121:122]
	v_cmp_eq_f64_e64 s[0:1], 0, v[123:124]
	s_and_b64 s[0:1], vcc, s[0:1]
	s_and_saveexec_b64 s[18:19], s[0:1]
	s_xor_b64 s[0:1], exec, s[18:19]
; %bb.717:
	v_cmp_ne_u32_e32 vcc, 0, v111
	v_cndmask_b32_e32 v111, 35, v111, vcc
; %bb.718:
	s_andn2_saveexec_b64 s[0:1], s[0:1]
	s_cbranch_execz .LBB72_724
; %bb.719:
	v_cmp_ngt_f64_e64 s[18:19], |v[121:122]|, |v[123:124]|
	s_and_saveexec_b64 s[20:21], s[18:19]
	s_xor_b64 s[18:19], exec, s[20:21]
	s_cbranch_execz .LBB72_721
; %bb.720:
	v_div_scale_f64 v[97:98], s[20:21], v[123:124], v[123:124], v[121:122]
	v_rcp_f64_e32 v[99:100], v[97:98]
	v_fma_f64 v[112:113], -v[97:98], v[99:100], 1.0
	v_fma_f64 v[99:100], v[99:100], v[112:113], v[99:100]
	v_div_scale_f64 v[112:113], vcc, v[121:122], v[123:124], v[121:122]
	v_fma_f64 v[114:115], -v[97:98], v[99:100], 1.0
	v_fma_f64 v[99:100], v[99:100], v[114:115], v[99:100]
	v_mul_f64 v[114:115], v[112:113], v[99:100]
	v_fma_f64 v[97:98], -v[97:98], v[114:115], v[112:113]
	v_div_fmas_f64 v[97:98], v[97:98], v[99:100], v[114:115]
	v_div_fixup_f64 v[97:98], v[97:98], v[123:124], v[121:122]
	v_fma_f64 v[99:100], v[121:122], v[97:98], v[123:124]
	v_div_scale_f64 v[112:113], s[20:21], v[99:100], v[99:100], 1.0
	v_div_scale_f64 v[118:119], vcc, 1.0, v[99:100], 1.0
	v_rcp_f64_e32 v[114:115], v[112:113]
	v_fma_f64 v[116:117], -v[112:113], v[114:115], 1.0
	v_fma_f64 v[114:115], v[114:115], v[116:117], v[114:115]
	v_fma_f64 v[116:117], -v[112:113], v[114:115], 1.0
	v_fma_f64 v[114:115], v[114:115], v[116:117], v[114:115]
	v_mul_f64 v[116:117], v[118:119], v[114:115]
	v_fma_f64 v[112:113], -v[112:113], v[116:117], v[118:119]
	v_div_fmas_f64 v[112:113], v[112:113], v[114:115], v[116:117]
	v_div_fixup_f64 v[123:124], v[112:113], v[99:100], 1.0
	v_mul_f64 v[121:122], v[97:98], v[123:124]
	v_xor_b32_e32 v124, 0x80000000, v124
.LBB72_721:
	s_andn2_saveexec_b64 s[18:19], s[18:19]
	s_cbranch_execz .LBB72_723
; %bb.722:
	v_div_scale_f64 v[97:98], s[20:21], v[121:122], v[121:122], v[123:124]
	v_rcp_f64_e32 v[99:100], v[97:98]
	v_fma_f64 v[112:113], -v[97:98], v[99:100], 1.0
	v_fma_f64 v[99:100], v[99:100], v[112:113], v[99:100]
	v_div_scale_f64 v[112:113], vcc, v[123:124], v[121:122], v[123:124]
	v_fma_f64 v[114:115], -v[97:98], v[99:100], 1.0
	v_fma_f64 v[99:100], v[99:100], v[114:115], v[99:100]
	v_mul_f64 v[114:115], v[112:113], v[99:100]
	v_fma_f64 v[97:98], -v[97:98], v[114:115], v[112:113]
	v_div_fmas_f64 v[97:98], v[97:98], v[99:100], v[114:115]
	v_div_fixup_f64 v[97:98], v[97:98], v[121:122], v[123:124]
	v_fma_f64 v[99:100], v[123:124], v[97:98], v[121:122]
	v_div_scale_f64 v[112:113], s[20:21], v[99:100], v[99:100], 1.0
	v_div_scale_f64 v[118:119], vcc, 1.0, v[99:100], 1.0
	v_rcp_f64_e32 v[114:115], v[112:113]
	v_fma_f64 v[116:117], -v[112:113], v[114:115], 1.0
	v_fma_f64 v[114:115], v[114:115], v[116:117], v[114:115]
	v_fma_f64 v[116:117], -v[112:113], v[114:115], 1.0
	v_fma_f64 v[114:115], v[114:115], v[116:117], v[114:115]
	v_mul_f64 v[116:117], v[118:119], v[114:115]
	v_fma_f64 v[112:113], -v[112:113], v[116:117], v[118:119]
	v_div_fmas_f64 v[112:113], v[112:113], v[114:115], v[116:117]
	v_div_fixup_f64 v[121:122], v[112:113], v[99:100], 1.0
	v_mul_f64 v[123:124], v[97:98], -v[121:122]
.LBB72_723:
	s_or_b64 exec, exec, s[18:19]
.LBB72_724:
	s_or_b64 exec, exec, s[0:1]
	v_cmp_ne_u32_e32 vcc, v109, v101
	s_and_saveexec_b64 s[0:1], vcc
	s_xor_b64 s[0:1], exec, s[0:1]
	s_cbranch_execz .LBB72_730
; %bb.725:
	v_cmp_eq_u32_e32 vcc, 34, v109
	s_and_saveexec_b64 s[18:19], vcc
	s_cbranch_execz .LBB72_729
; %bb.726:
	v_cmp_ne_u32_e32 vcc, 34, v101
	s_xor_b64 s[20:21], s[6:7], -1
	s_and_b64 s[22:23], s[20:21], vcc
	s_and_saveexec_b64 s[20:21], s[22:23]
	s_cbranch_execz .LBB72_728
; %bb.727:
	buffer_load_dword v109, off, s[24:27], 0 offset:160 ; 4-byte Folded Reload
	buffer_load_dword v110, off, s[24:27], 0 offset:164 ; 4-byte Folded Reload
	v_ashrrev_i32_e32 v102, 31, v101
	v_lshlrev_b64 v[97:98], 2, v[101:102]
	s_waitcnt vmcnt(1)
	v_add_co_u32_e32 v97, vcc, v109, v97
	s_waitcnt vmcnt(0)
	v_addc_co_u32_e32 v98, vcc, v110, v98, vcc
	global_load_dword v0, v[97:98], off
	global_load_dword v99, v[109:110], off offset:136
	s_waitcnt vmcnt(1)
	global_store_dword v[109:110], v0, off offset:136
	s_waitcnt vmcnt(1)
	global_store_dword v[97:98], v99, off
.LBB72_728:
	s_or_b64 exec, exec, s[20:21]
	v_mov_b32_e32 v109, v101
	v_mov_b32_e32 v0, v101
.LBB72_729:
	s_or_b64 exec, exec, s[18:19]
.LBB72_730:
	s_andn2_saveexec_b64 s[0:1], s[0:1]
	s_cbranch_execz .LBB72_732
; %bb.731:
	v_mov_b32_e32 v109, 34
	ds_write2_b64 v103, v[1:2], v[3:4] offset0:70 offset1:71
	ds_write2_b64 v103, v[105:106], v[107:108] offset0:72 offset1:73
.LBB72_732:
	s_or_b64 exec, exec, s[0:1]
	v_cmp_lt_i32_e32 vcc, 34, v109
	s_waitcnt vmcnt(0) lgkmcnt(0)
	s_barrier
	s_and_saveexec_b64 s[0:1], vcc
	s_cbranch_execz .LBB72_734
; %bb.733:
	v_mul_f64 v[97:98], v[121:122], v[7:8]
	v_mul_f64 v[7:8], v[123:124], v[7:8]
	v_fma_f64 v[101:102], v[123:124], v[5:6], v[97:98]
	ds_read2_b64 v[97:100], v103 offset0:70 offset1:71
	v_fma_f64 v[5:6], v[121:122], v[5:6], -v[7:8]
	s_waitcnt lgkmcnt(0)
	v_mul_f64 v[7:8], v[99:100], v[101:102]
	v_fma_f64 v[7:8], v[97:98], v[5:6], -v[7:8]
	v_mul_f64 v[97:98], v[97:98], v[101:102]
	v_add_f64 v[1:2], v[1:2], -v[7:8]
	v_fma_f64 v[97:98], v[99:100], v[5:6], v[97:98]
	v_add_f64 v[3:4], v[3:4], -v[97:98]
	ds_read2_b64 v[97:100], v103 offset0:72 offset1:73
	s_waitcnt lgkmcnt(0)
	v_mul_f64 v[7:8], v[99:100], v[101:102]
	v_fma_f64 v[7:8], v[97:98], v[5:6], -v[7:8]
	v_mul_f64 v[97:98], v[97:98], v[101:102]
	v_add_f64 v[105:106], v[105:106], -v[7:8]
	v_fma_f64 v[97:98], v[99:100], v[5:6], v[97:98]
	v_mov_b32_e32 v7, v101
	v_mov_b32_e32 v8, v102
	v_add_f64 v[107:108], v[107:108], -v[97:98]
.LBB72_734:
	s_or_b64 exec, exec, s[0:1]
	v_lshl_add_u32 v97, v109, 4, v103
	s_barrier
	ds_write2_b64 v97, v[1:2], v[3:4] offset1:1
	s_waitcnt lgkmcnt(0)
	s_barrier
	ds_read2_b64 v[121:124], v103 offset0:70 offset1:71
	s_cmp_lt_i32 s3, 37
	v_mov_b32_e32 v101, 35
	s_cbranch_scc1 .LBB72_737
; %bb.735:
	v_add_u32_e32 v97, 0x240, v103
	s_mov_b32 s0, 36
	v_mov_b32_e32 v101, 35
.LBB72_736:                             ; =>This Inner Loop Header: Depth=1
	s_waitcnt lgkmcnt(0)
	v_cmp_gt_f64_e32 vcc, 0, v[121:122]
	v_xor_b32_e32 v98, 0x80000000, v122
	ds_read2_b64 v[112:115], v97 offset1:1
	v_xor_b32_e32 v100, 0x80000000, v124
	v_mov_b32_e32 v116, v123
	v_add_u32_e32 v97, 16, v97
	s_waitcnt lgkmcnt(0)
	v_mov_b32_e32 v118, v114
	v_cndmask_b32_e32 v99, v122, v98, vcc
	v_cmp_gt_f64_e32 vcc, 0, v[123:124]
	v_mov_b32_e32 v98, v121
	v_cndmask_b32_e32 v117, v124, v100, vcc
	v_cmp_gt_f64_e32 vcc, 0, v[112:113]
	v_xor_b32_e32 v100, 0x80000000, v113
	v_add_f64 v[98:99], v[98:99], v[116:117]
	v_mov_b32_e32 v116, v112
	v_cndmask_b32_e32 v117, v113, v100, vcc
	v_cmp_gt_f64_e32 vcc, 0, v[114:115]
	v_xor_b32_e32 v100, 0x80000000, v115
	v_cndmask_b32_e32 v119, v115, v100, vcc
	v_add_f64 v[116:117], v[116:117], v[118:119]
	v_cmp_lt_f64_e32 vcc, v[98:99], v[116:117]
	v_mov_b32_e32 v98, s0
	s_add_i32 s0, s0, 1
	s_cmp_lg_u32 s3, s0
	v_cndmask_b32_e32 v122, v122, v113, vcc
	v_cndmask_b32_e32 v121, v121, v112, vcc
	;; [unrolled: 1-line block ×5, first 2 shown]
	s_cbranch_scc1 .LBB72_736
.LBB72_737:
	s_waitcnt lgkmcnt(0)
	v_cmp_eq_f64_e32 vcc, 0, v[121:122]
	v_cmp_eq_f64_e64 s[0:1], 0, v[123:124]
	s_and_b64 s[0:1], vcc, s[0:1]
	s_and_saveexec_b64 s[18:19], s[0:1]
	s_xor_b64 s[0:1], exec, s[18:19]
; %bb.738:
	v_cmp_ne_u32_e32 vcc, 0, v111
	v_cndmask_b32_e32 v111, 36, v111, vcc
; %bb.739:
	s_andn2_saveexec_b64 s[0:1], s[0:1]
	s_cbranch_execz .LBB72_745
; %bb.740:
	v_cmp_ngt_f64_e64 s[18:19], |v[121:122]|, |v[123:124]|
	s_and_saveexec_b64 s[20:21], s[18:19]
	s_xor_b64 s[18:19], exec, s[20:21]
	s_cbranch_execz .LBB72_742
; %bb.741:
	v_div_scale_f64 v[97:98], s[20:21], v[123:124], v[123:124], v[121:122]
	v_rcp_f64_e32 v[99:100], v[97:98]
	v_fma_f64 v[112:113], -v[97:98], v[99:100], 1.0
	v_fma_f64 v[99:100], v[99:100], v[112:113], v[99:100]
	v_div_scale_f64 v[112:113], vcc, v[121:122], v[123:124], v[121:122]
	v_fma_f64 v[114:115], -v[97:98], v[99:100], 1.0
	v_fma_f64 v[99:100], v[99:100], v[114:115], v[99:100]
	v_mul_f64 v[114:115], v[112:113], v[99:100]
	v_fma_f64 v[97:98], -v[97:98], v[114:115], v[112:113]
	v_div_fmas_f64 v[97:98], v[97:98], v[99:100], v[114:115]
	v_div_fixup_f64 v[97:98], v[97:98], v[123:124], v[121:122]
	v_fma_f64 v[99:100], v[121:122], v[97:98], v[123:124]
	v_div_scale_f64 v[112:113], s[20:21], v[99:100], v[99:100], 1.0
	v_div_scale_f64 v[118:119], vcc, 1.0, v[99:100], 1.0
	v_rcp_f64_e32 v[114:115], v[112:113]
	v_fma_f64 v[116:117], -v[112:113], v[114:115], 1.0
	v_fma_f64 v[114:115], v[114:115], v[116:117], v[114:115]
	v_fma_f64 v[116:117], -v[112:113], v[114:115], 1.0
	v_fma_f64 v[114:115], v[114:115], v[116:117], v[114:115]
	v_mul_f64 v[116:117], v[118:119], v[114:115]
	v_fma_f64 v[112:113], -v[112:113], v[116:117], v[118:119]
	v_div_fmas_f64 v[112:113], v[112:113], v[114:115], v[116:117]
	v_div_fixup_f64 v[123:124], v[112:113], v[99:100], 1.0
	v_mul_f64 v[121:122], v[97:98], v[123:124]
	v_xor_b32_e32 v124, 0x80000000, v124
.LBB72_742:
	s_andn2_saveexec_b64 s[18:19], s[18:19]
	s_cbranch_execz .LBB72_744
; %bb.743:
	v_div_scale_f64 v[97:98], s[20:21], v[121:122], v[121:122], v[123:124]
	v_rcp_f64_e32 v[99:100], v[97:98]
	v_fma_f64 v[112:113], -v[97:98], v[99:100], 1.0
	v_fma_f64 v[99:100], v[99:100], v[112:113], v[99:100]
	v_div_scale_f64 v[112:113], vcc, v[123:124], v[121:122], v[123:124]
	v_fma_f64 v[114:115], -v[97:98], v[99:100], 1.0
	v_fma_f64 v[99:100], v[99:100], v[114:115], v[99:100]
	v_mul_f64 v[114:115], v[112:113], v[99:100]
	v_fma_f64 v[97:98], -v[97:98], v[114:115], v[112:113]
	v_div_fmas_f64 v[97:98], v[97:98], v[99:100], v[114:115]
	v_div_fixup_f64 v[97:98], v[97:98], v[121:122], v[123:124]
	v_fma_f64 v[99:100], v[123:124], v[97:98], v[121:122]
	v_div_scale_f64 v[112:113], s[20:21], v[99:100], v[99:100], 1.0
	v_div_scale_f64 v[118:119], vcc, 1.0, v[99:100], 1.0
	v_rcp_f64_e32 v[114:115], v[112:113]
	v_fma_f64 v[116:117], -v[112:113], v[114:115], 1.0
	v_fma_f64 v[114:115], v[114:115], v[116:117], v[114:115]
	v_fma_f64 v[116:117], -v[112:113], v[114:115], 1.0
	v_fma_f64 v[114:115], v[114:115], v[116:117], v[114:115]
	v_mul_f64 v[116:117], v[118:119], v[114:115]
	v_fma_f64 v[112:113], -v[112:113], v[116:117], v[118:119]
	v_div_fmas_f64 v[112:113], v[112:113], v[114:115], v[116:117]
	v_div_fixup_f64 v[121:122], v[112:113], v[99:100], 1.0
	v_mul_f64 v[123:124], v[97:98], -v[121:122]
.LBB72_744:
	s_or_b64 exec, exec, s[18:19]
.LBB72_745:
	s_or_b64 exec, exec, s[0:1]
	v_cmp_ne_u32_e32 vcc, v109, v101
	s_and_saveexec_b64 s[0:1], vcc
	s_xor_b64 s[0:1], exec, s[0:1]
	s_cbranch_execz .LBB72_751
; %bb.746:
	v_cmp_eq_u32_e32 vcc, 35, v109
	s_and_saveexec_b64 s[18:19], vcc
	s_cbranch_execz .LBB72_750
; %bb.747:
	v_cmp_ne_u32_e32 vcc, 35, v101
	s_xor_b64 s[20:21], s[6:7], -1
	s_and_b64 s[22:23], s[20:21], vcc
	s_and_saveexec_b64 s[20:21], s[22:23]
	s_cbranch_execz .LBB72_749
; %bb.748:
	buffer_load_dword v109, off, s[24:27], 0 offset:160 ; 4-byte Folded Reload
	buffer_load_dword v110, off, s[24:27], 0 offset:164 ; 4-byte Folded Reload
	v_ashrrev_i32_e32 v102, 31, v101
	v_lshlrev_b64 v[97:98], 2, v[101:102]
	s_waitcnt vmcnt(1)
	v_add_co_u32_e32 v97, vcc, v109, v97
	s_waitcnt vmcnt(0)
	v_addc_co_u32_e32 v98, vcc, v110, v98, vcc
	global_load_dword v0, v[97:98], off
	global_load_dword v99, v[109:110], off offset:140
	s_waitcnt vmcnt(1)
	global_store_dword v[109:110], v0, off offset:140
	s_waitcnt vmcnt(1)
	global_store_dword v[97:98], v99, off
.LBB72_749:
	s_or_b64 exec, exec, s[20:21]
	v_mov_b32_e32 v109, v101
	v_mov_b32_e32 v0, v101
.LBB72_750:
	s_or_b64 exec, exec, s[18:19]
.LBB72_751:
	s_andn2_saveexec_b64 s[0:1], s[0:1]
; %bb.752:
	v_mov_b32_e32 v109, 35
	ds_write2_b64 v103, v[105:106], v[107:108] offset0:72 offset1:73
; %bb.753:
	s_or_b64 exec, exec, s[0:1]
	v_cmp_lt_i32_e32 vcc, 35, v109
	s_waitcnt vmcnt(0) lgkmcnt(0)
	s_barrier
	s_and_saveexec_b64 s[0:1], vcc
	s_cbranch_execz .LBB72_755
; %bb.754:
	v_mul_f64 v[97:98], v[121:122], v[3:4]
	v_mul_f64 v[3:4], v[123:124], v[3:4]
	v_fma_f64 v[101:102], v[123:124], v[1:2], v[97:98]
	ds_read2_b64 v[97:100], v103 offset0:72 offset1:73
	v_fma_f64 v[1:2], v[121:122], v[1:2], -v[3:4]
	s_waitcnt lgkmcnt(0)
	v_mul_f64 v[3:4], v[99:100], v[101:102]
	v_fma_f64 v[3:4], v[97:98], v[1:2], -v[3:4]
	v_mul_f64 v[97:98], v[97:98], v[101:102]
	v_add_f64 v[105:106], v[105:106], -v[3:4]
	v_fma_f64 v[97:98], v[99:100], v[1:2], v[97:98]
	v_mov_b32_e32 v3, v101
	v_mov_b32_e32 v4, v102
	v_add_f64 v[107:108], v[107:108], -v[97:98]
.LBB72_755:
	s_or_b64 exec, exec, s[0:1]
	v_lshl_add_u32 v97, v109, 4, v103
	s_barrier
	ds_write2_b64 v97, v[105:106], v[107:108] offset1:1
	s_waitcnt lgkmcnt(0)
	s_barrier
	ds_read2_b64 v[121:124], v103 offset0:72 offset1:73
	s_cmp_lt_i32 s3, 38
	v_mov_b32_e32 v101, 36
	s_cbranch_scc1 .LBB72_758
; %bb.756:
	v_add_u32_e32 v97, 0x250, v103
	s_mov_b32 s0, 37
	v_mov_b32_e32 v101, 36
.LBB72_757:                             ; =>This Inner Loop Header: Depth=1
	s_waitcnt lgkmcnt(0)
	v_cmp_gt_f64_e32 vcc, 0, v[121:122]
	v_xor_b32_e32 v98, 0x80000000, v122
	ds_read2_b64 v[112:115], v97 offset1:1
	v_xor_b32_e32 v100, 0x80000000, v124
	v_mov_b32_e32 v102, v123
	v_add_u32_e32 v97, 16, v97
	s_waitcnt lgkmcnt(0)
	v_mov_b32_e32 v116, v114
	v_cndmask_b32_e32 v99, v122, v98, vcc
	v_cmp_gt_f64_e32 vcc, 0, v[123:124]
	v_mov_b32_e32 v98, v121
	v_cndmask_b32_e32 v103, v124, v100, vcc
	v_cmp_gt_f64_e32 vcc, 0, v[112:113]
	v_xor_b32_e32 v100, 0x80000000, v113
	v_add_f64 v[98:99], v[98:99], v[102:103]
	v_mov_b32_e32 v102, v112
	v_cndmask_b32_e32 v103, v113, v100, vcc
	v_cmp_gt_f64_e32 vcc, 0, v[114:115]
	v_xor_b32_e32 v100, 0x80000000, v115
	v_cndmask_b32_e32 v117, v115, v100, vcc
	v_add_f64 v[102:103], v[102:103], v[116:117]
	v_cmp_lt_f64_e32 vcc, v[98:99], v[102:103]
	v_mov_b32_e32 v98, s0
	s_add_i32 s0, s0, 1
	s_cmp_lg_u32 s3, s0
	v_cndmask_b32_e32 v122, v122, v113, vcc
	v_cndmask_b32_e32 v121, v121, v112, vcc
	;; [unrolled: 1-line block ×5, first 2 shown]
	s_cbranch_scc1 .LBB72_757
.LBB72_758:
	s_waitcnt lgkmcnt(0)
	v_cmp_eq_f64_e32 vcc, 0, v[121:122]
	v_cmp_eq_f64_e64 s[0:1], 0, v[123:124]
	s_and_b64 s[0:1], vcc, s[0:1]
	s_and_saveexec_b64 s[18:19], s[0:1]
	s_xor_b64 s[0:1], exec, s[18:19]
; %bb.759:
	v_cmp_ne_u32_e32 vcc, 0, v111
	v_cndmask_b32_e32 v111, 37, v111, vcc
; %bb.760:
	s_andn2_saveexec_b64 s[0:1], s[0:1]
	s_cbranch_execz .LBB72_766
; %bb.761:
	v_cmp_ngt_f64_e64 s[18:19], |v[121:122]|, |v[123:124]|
	s_and_saveexec_b64 s[20:21], s[18:19]
	s_xor_b64 s[18:19], exec, s[20:21]
	s_cbranch_execz .LBB72_763
; %bb.762:
	v_div_scale_f64 v[97:98], s[20:21], v[123:124], v[123:124], v[121:122]
	v_rcp_f64_e32 v[99:100], v[97:98]
	v_fma_f64 v[102:103], -v[97:98], v[99:100], 1.0
	v_fma_f64 v[99:100], v[99:100], v[102:103], v[99:100]
	v_div_scale_f64 v[102:103], vcc, v[121:122], v[123:124], v[121:122]
	v_fma_f64 v[112:113], -v[97:98], v[99:100], 1.0
	v_fma_f64 v[99:100], v[99:100], v[112:113], v[99:100]
	v_mul_f64 v[112:113], v[102:103], v[99:100]
	v_fma_f64 v[97:98], -v[97:98], v[112:113], v[102:103]
	v_div_fmas_f64 v[97:98], v[97:98], v[99:100], v[112:113]
	v_div_fixup_f64 v[97:98], v[97:98], v[123:124], v[121:122]
	v_fma_f64 v[99:100], v[121:122], v[97:98], v[123:124]
	v_div_scale_f64 v[102:103], s[20:21], v[99:100], v[99:100], 1.0
	v_div_scale_f64 v[116:117], vcc, 1.0, v[99:100], 1.0
	v_rcp_f64_e32 v[112:113], v[102:103]
	v_fma_f64 v[114:115], -v[102:103], v[112:113], 1.0
	v_fma_f64 v[112:113], v[112:113], v[114:115], v[112:113]
	v_fma_f64 v[114:115], -v[102:103], v[112:113], 1.0
	v_fma_f64 v[112:113], v[112:113], v[114:115], v[112:113]
	v_mul_f64 v[114:115], v[116:117], v[112:113]
	v_fma_f64 v[102:103], -v[102:103], v[114:115], v[116:117]
	v_div_fmas_f64 v[102:103], v[102:103], v[112:113], v[114:115]
	v_div_fixup_f64 v[123:124], v[102:103], v[99:100], 1.0
	v_mul_f64 v[121:122], v[97:98], v[123:124]
	v_xor_b32_e32 v124, 0x80000000, v124
.LBB72_763:
	s_andn2_saveexec_b64 s[18:19], s[18:19]
	s_cbranch_execz .LBB72_765
; %bb.764:
	v_div_scale_f64 v[97:98], s[20:21], v[121:122], v[121:122], v[123:124]
	v_rcp_f64_e32 v[99:100], v[97:98]
	v_fma_f64 v[102:103], -v[97:98], v[99:100], 1.0
	v_fma_f64 v[99:100], v[99:100], v[102:103], v[99:100]
	v_div_scale_f64 v[102:103], vcc, v[123:124], v[121:122], v[123:124]
	v_fma_f64 v[112:113], -v[97:98], v[99:100], 1.0
	v_fma_f64 v[99:100], v[99:100], v[112:113], v[99:100]
	v_mul_f64 v[112:113], v[102:103], v[99:100]
	v_fma_f64 v[97:98], -v[97:98], v[112:113], v[102:103]
	v_div_fmas_f64 v[97:98], v[97:98], v[99:100], v[112:113]
	v_div_fixup_f64 v[97:98], v[97:98], v[121:122], v[123:124]
	v_fma_f64 v[99:100], v[123:124], v[97:98], v[121:122]
	v_div_scale_f64 v[102:103], s[20:21], v[99:100], v[99:100], 1.0
	v_div_scale_f64 v[116:117], vcc, 1.0, v[99:100], 1.0
	v_rcp_f64_e32 v[112:113], v[102:103]
	v_fma_f64 v[114:115], -v[102:103], v[112:113], 1.0
	v_fma_f64 v[112:113], v[112:113], v[114:115], v[112:113]
	v_fma_f64 v[114:115], -v[102:103], v[112:113], 1.0
	v_fma_f64 v[112:113], v[112:113], v[114:115], v[112:113]
	v_mul_f64 v[114:115], v[116:117], v[112:113]
	v_fma_f64 v[102:103], -v[102:103], v[114:115], v[116:117]
	v_div_fmas_f64 v[102:103], v[102:103], v[112:113], v[114:115]
	v_div_fixup_f64 v[121:122], v[102:103], v[99:100], 1.0
	v_mul_f64 v[123:124], v[97:98], -v[121:122]
.LBB72_765:
	s_or_b64 exec, exec, s[18:19]
.LBB72_766:
	s_or_b64 exec, exec, s[0:1]
	v_cmp_ne_u32_e32 vcc, v109, v101
	v_mov_b32_e32 v102, 36
	s_and_saveexec_b64 s[0:1], vcc
	s_cbranch_execz .LBB72_772
; %bb.767:
	v_cmp_eq_u32_e32 vcc, 36, v109
	s_and_saveexec_b64 s[18:19], vcc
	s_cbranch_execz .LBB72_771
; %bb.768:
	v_cmp_ne_u32_e32 vcc, 36, v101
	s_xor_b64 s[6:7], s[6:7], -1
	s_and_b64 s[20:21], s[6:7], vcc
	s_and_saveexec_b64 s[6:7], s[20:21]
	s_cbranch_execz .LBB72_770
; %bb.769:
	v_ashrrev_i32_e32 v102, 31, v101
	v_lshlrev_b64 v[97:98], 2, v[101:102]
	buffer_load_dword v102, off, s[24:27], 0 offset:160 ; 4-byte Folded Reload
	buffer_load_dword v103, off, s[24:27], 0 offset:164 ; 4-byte Folded Reload
	s_waitcnt vmcnt(1)
	v_add_co_u32_e32 v97, vcc, v102, v97
	s_waitcnt vmcnt(0)
	v_addc_co_u32_e32 v98, vcc, v103, v98, vcc
	global_load_dword v0, v[97:98], off
	global_load_dword v99, v[102:103], off offset:144
	s_waitcnt vmcnt(1)
	global_store_dword v[102:103], v0, off offset:144
	s_waitcnt vmcnt(1)
	global_store_dword v[97:98], v99, off
.LBB72_770:
	s_or_b64 exec, exec, s[6:7]
	v_mov_b32_e32 v109, v101
	v_mov_b32_e32 v0, v101
.LBB72_771:
	s_or_b64 exec, exec, s[18:19]
	v_mov_b32_e32 v102, v109
.LBB72_772:
	s_or_b64 exec, exec, s[0:1]
	v_cmp_gt_i32_e32 vcc, 37, v102
	v_ashrrev_i32_e32 v103, 31, v102
	s_waitcnt vmcnt(0)
	s_barrier
	s_barrier
	s_and_saveexec_b64 s[0:1], vcc
	s_cbranch_execz .LBB72_774
; %bb.773:
	buffer_load_dword v97, off, s[24:27], 0 offset:200 ; 4-byte Folded Reload
	buffer_load_dword v98, off, s[24:27], 0 offset:204 ; 4-byte Folded Reload
	v_add3_u32 v0, v0, s17, 1
	s_waitcnt vmcnt(1)
	v_mul_lo_u32 v99, s15, v97
	s_waitcnt vmcnt(0)
	v_mul_lo_u32 v100, s14, v98
	v_mad_u64_u32 v[97:98], s[6:7], s14, v97, 0
	s_lshl_b64 s[6:7], s[12:13], 2
	v_add3_u32 v98, v98, v100, v99
	v_lshlrev_b64 v[97:98], 2, v[97:98]
	v_mov_b32_e32 v99, s11
	v_add_co_u32_e32 v97, vcc, s10, v97
	v_addc_co_u32_e32 v98, vcc, v99, v98, vcc
	v_mov_b32_e32 v99, s7
	v_add_co_u32_e32 v100, vcc, s6, v97
	v_addc_co_u32_e32 v99, vcc, v98, v99, vcc
	v_lshlrev_b64 v[97:98], 2, v[102:103]
	v_add_co_u32_e32 v97, vcc, v100, v97
	v_addc_co_u32_e32 v98, vcc, v99, v98, vcc
	global_store_dword v[97:98], v0, off
.LBB72_774:
	s_or_b64 exec, exec, s[0:1]
	v_cmp_eq_u32_e32 vcc, 0, v102
	s_and_saveexec_b64 s[6:7], vcc
	s_cbranch_execz .LBB72_777
; %bb.775:
	buffer_load_dword v97, off, s[24:27], 0 offset:200 ; 4-byte Folded Reload
	buffer_load_dword v98, off, s[24:27], 0 offset:204 ; 4-byte Folded Reload
	v_mov_b32_e32 v0, s5
	v_cmp_ne_u32_e64 s[0:1], 0, v111
	s_waitcnt vmcnt(0)
	v_lshlrev_b64 v[97:98], 2, v[97:98]
	v_add_co_u32_e32 v109, vcc, s4, v97
	v_addc_co_u32_e32 v110, vcc, v0, v98, vcc
	global_load_dword v0, v[109:110], off
	s_waitcnt vmcnt(0)
	v_cmp_eq_u32_e32 vcc, 0, v0
	s_and_b64 s[0:1], vcc, s[0:1]
	s_and_b64 exec, exec, s[0:1]
	s_cbranch_execz .LBB72_777
; %bb.776:
	v_add_u32_e32 v0, s17, v111
	global_store_dword v[109:110], v0, off
.LBB72_777:
	s_or_b64 exec, exec, s[6:7]
	buffer_load_dword v109, off, s[24:27], 0 offset:184 ; 4-byte Folded Reload
	buffer_load_dword v110, off, s[24:27], 0 offset:188 ; 4-byte Folded Reload
	;; [unrolled: 1-line block ×4, first 2 shown]
	v_mul_f64 v[97:98], v[121:122], v[107:108]
	v_mul_f64 v[99:100], v[123:124], v[107:108]
	v_cmp_lt_i32_e32 vcc, 36, v102
	v_mov_b32_e32 v0, s9
	v_fma_f64 v[97:98], v[123:124], v[105:106], v[97:98]
	v_fma_f64 v[99:100], v[121:122], v[105:106], -v[99:100]
	v_cndmask_b32_e32 v108, v108, v98, vcc
	v_cndmask_b32_e32 v107, v107, v97, vcc
	v_lshlrev_b64 v[97:98], 4, v[102:103]
	v_cndmask_b32_e32 v106, v106, v100, vcc
	v_cndmask_b32_e32 v105, v105, v99, vcc
	v_add_co_u32_e32 v97, vcc, v104, v97
	v_addc_co_u32_e32 v98, vcc, v127, v98, vcc
	s_waitcnt vmcnt(0)
	global_store_dwordx4 v[97:98], v[109:112], off
	buffer_load_dword v109, off, s[24:27], 0 offset:168 ; 4-byte Folded Reload
	s_nop 0
	buffer_load_dword v110, off, s[24:27], 0 offset:172 ; 4-byte Folded Reload
	buffer_load_dword v111, off, s[24:27], 0 offset:176 ; 4-byte Folded Reload
	buffer_load_dword v112, off, s[24:27], 0 offset:180 ; 4-byte Folded Reload
	v_add_co_u32_e32 v97, vcc, s8, v97
	v_addc_co_u32_e32 v98, vcc, v98, v0, vcc
	s_waitcnt vmcnt(0)
	global_store_dwordx4 v[97:98], v[109:112], off
	v_add_u32_e32 v97, s16, v102
	buffer_load_dword v100, off, s[24:27], 0 offset:144 ; 4-byte Folded Reload
	buffer_load_dword v101, off, s[24:27], 0 offset:148 ; 4-byte Folded Reload
	;; [unrolled: 1-line block ×4, first 2 shown]
	v_ashrrev_i32_e32 v98, 31, v97
	v_lshlrev_b64 v[98:99], 4, v[97:98]
	v_add_u32_e32 v97, s2, v97
	v_add_co_u32_e32 v98, vcc, v104, v98
	v_addc_co_u32_e32 v99, vcc, v127, v99, vcc
	s_waitcnt vmcnt(0)
	global_store_dwordx4 v[98:99], v[100:103], off
	buffer_load_dword v100, off, s[24:27], 0 offset:128 ; 4-byte Folded Reload
	s_nop 0
	buffer_load_dword v101, off, s[24:27], 0 offset:132 ; 4-byte Folded Reload
	buffer_load_dword v102, off, s[24:27], 0 offset:136 ; 4-byte Folded Reload
	buffer_load_dword v103, off, s[24:27], 0 offset:140 ; 4-byte Folded Reload
	v_ashrrev_i32_e32 v98, 31, v97
	v_lshlrev_b64 v[98:99], 4, v[97:98]
	v_add_u32_e32 v97, s2, v97
	v_add_co_u32_e32 v98, vcc, v104, v98
	v_addc_co_u32_e32 v99, vcc, v127, v99, vcc
	s_waitcnt vmcnt(0)
	global_store_dwordx4 v[98:99], v[100:103], off
	buffer_load_dword v100, off, s[24:27], 0 offset:112 ; 4-byte Folded Reload
	s_nop 0
	buffer_load_dword v101, off, s[24:27], 0 offset:116 ; 4-byte Folded Reload
	buffer_load_dword v102, off, s[24:27], 0 offset:120 ; 4-byte Folded Reload
	buffer_load_dword v103, off, s[24:27], 0 offset:124 ; 4-byte Folded Reload
	;; [unrolled: 12-line block ×8, first 2 shown]
	v_ashrrev_i32_e32 v98, 31, v97
	v_lshlrev_b64 v[98:99], 4, v[97:98]
	v_add_u32_e32 v97, s2, v97
	v_add_co_u32_e32 v98, vcc, v104, v98
	v_addc_co_u32_e32 v99, vcc, v127, v99, vcc
	s_waitcnt vmcnt(0)
	global_store_dwordx4 v[98:99], v[100:103], off
	buffer_load_dword v100, off, s[24:27], 0 ; 4-byte Folded Reload
	s_nop 0
	buffer_load_dword v101, off, s[24:27], 0 offset:4 ; 4-byte Folded Reload
	buffer_load_dword v102, off, s[24:27], 0 offset:8 ; 4-byte Folded Reload
	;; [unrolled: 1-line block ×3, first 2 shown]
	v_ashrrev_i32_e32 v98, 31, v97
	v_lshlrev_b64 v[98:99], 4, v[97:98]
	v_add_u32_e32 v97, s2, v97
	v_add_co_u32_e32 v98, vcc, v104, v98
	v_addc_co_u32_e32 v99, vcc, v127, v99, vcc
	s_waitcnt vmcnt(0)
	global_store_dwordx4 v[98:99], v[100:103], off
	v_ashrrev_i32_e32 v98, 31, v97
	v_lshlrev_b64 v[98:99], 4, v[97:98]
	v_add_co_u32_e32 v98, vcc, v104, v98
	v_addc_co_u32_e32 v99, vcc, v127, v99, vcc
	global_store_dwordx4 v[98:99], v[93:96], off
	s_nop 0
	v_add_u32_e32 v93, s2, v97
	v_ashrrev_i32_e32 v94, 31, v93
	v_lshlrev_b64 v[94:95], 4, v[93:94]
	v_add_co_u32_e32 v94, vcc, v104, v94
	v_addc_co_u32_e32 v95, vcc, v127, v95, vcc
	global_store_dwordx4 v[94:95], v[89:92], off
	s_nop 0
	v_add_u32_e32 v89, s2, v93
	;; [unrolled: 7-line block ×23, first 2 shown]
	v_ashrrev_i32_e32 v6, 31, v5
	v_lshlrev_b64 v[6:7], 4, v[5:6]
	v_add_u32_e32 v0, s2, v5
	v_add_co_u32_e32 v6, vcc, v104, v6
	v_addc_co_u32_e32 v7, vcc, v127, v7, vcc
	global_store_dwordx4 v[6:7], v[1:4], off
	s_nop 0
	v_ashrrev_i32_e32 v1, 31, v0
	v_lshlrev_b64 v[0:1], 4, v[0:1]
	v_add_co_u32_e32 v0, vcc, v104, v0
	v_addc_co_u32_e32 v1, vcc, v127, v1, vcc
	global_store_dwordx4 v[0:1], v[105:108], off
.LBB72_778:
	s_endpgm
	.section	.rodata,"a",@progbits
	.p2align	6, 0x0
	.amdhsa_kernel _ZN9rocsolver6v33100L18getf2_small_kernelILi37E19rocblas_complex_numIdEiiPS3_EEvT1_T3_lS5_lPS5_llPT2_S5_S5_S7_l
		.amdhsa_group_segment_fixed_size 0
		.amdhsa_private_segment_fixed_size 212
		.amdhsa_kernarg_size 352
		.amdhsa_user_sgpr_count 6
		.amdhsa_user_sgpr_private_segment_buffer 1
		.amdhsa_user_sgpr_dispatch_ptr 0
		.amdhsa_user_sgpr_queue_ptr 0
		.amdhsa_user_sgpr_kernarg_segment_ptr 1
		.amdhsa_user_sgpr_dispatch_id 0
		.amdhsa_user_sgpr_flat_scratch_init 0
		.amdhsa_user_sgpr_private_segment_size 0
		.amdhsa_uses_dynamic_stack 0
		.amdhsa_system_sgpr_private_segment_wavefront_offset 1
		.amdhsa_system_sgpr_workgroup_id_x 1
		.amdhsa_system_sgpr_workgroup_id_y 1
		.amdhsa_system_sgpr_workgroup_id_z 0
		.amdhsa_system_sgpr_workgroup_info 0
		.amdhsa_system_vgpr_workitem_id 1
		.amdhsa_next_free_vgpr 128
		.amdhsa_next_free_sgpr 28
		.amdhsa_reserve_vcc 1
		.amdhsa_reserve_flat_scratch 0
		.amdhsa_float_round_mode_32 0
		.amdhsa_float_round_mode_16_64 0
		.amdhsa_float_denorm_mode_32 3
		.amdhsa_float_denorm_mode_16_64 3
		.amdhsa_dx10_clamp 1
		.amdhsa_ieee_mode 1
		.amdhsa_fp16_overflow 0
		.amdhsa_exception_fp_ieee_invalid_op 0
		.amdhsa_exception_fp_denorm_src 0
		.amdhsa_exception_fp_ieee_div_zero 0
		.amdhsa_exception_fp_ieee_overflow 0
		.amdhsa_exception_fp_ieee_underflow 0
		.amdhsa_exception_fp_ieee_inexact 0
		.amdhsa_exception_int_div_zero 0
	.end_amdhsa_kernel
	.section	.text._ZN9rocsolver6v33100L18getf2_small_kernelILi37E19rocblas_complex_numIdEiiPS3_EEvT1_T3_lS5_lPS5_llPT2_S5_S5_S7_l,"axG",@progbits,_ZN9rocsolver6v33100L18getf2_small_kernelILi37E19rocblas_complex_numIdEiiPS3_EEvT1_T3_lS5_lPS5_llPT2_S5_S5_S7_l,comdat
.Lfunc_end72:
	.size	_ZN9rocsolver6v33100L18getf2_small_kernelILi37E19rocblas_complex_numIdEiiPS3_EEvT1_T3_lS5_lPS5_llPT2_S5_S5_S7_l, .Lfunc_end72-_ZN9rocsolver6v33100L18getf2_small_kernelILi37E19rocblas_complex_numIdEiiPS3_EEvT1_T3_lS5_lPS5_llPT2_S5_S5_S7_l
                                        ; -- End function
	.set _ZN9rocsolver6v33100L18getf2_small_kernelILi37E19rocblas_complex_numIdEiiPS3_EEvT1_T3_lS5_lPS5_llPT2_S5_S5_S7_l.num_vgpr, 128
	.set _ZN9rocsolver6v33100L18getf2_small_kernelILi37E19rocblas_complex_numIdEiiPS3_EEvT1_T3_lS5_lPS5_llPT2_S5_S5_S7_l.num_agpr, 0
	.set _ZN9rocsolver6v33100L18getf2_small_kernelILi37E19rocblas_complex_numIdEiiPS3_EEvT1_T3_lS5_lPS5_llPT2_S5_S5_S7_l.numbered_sgpr, 28
	.set _ZN9rocsolver6v33100L18getf2_small_kernelILi37E19rocblas_complex_numIdEiiPS3_EEvT1_T3_lS5_lPS5_llPT2_S5_S5_S7_l.num_named_barrier, 0
	.set _ZN9rocsolver6v33100L18getf2_small_kernelILi37E19rocblas_complex_numIdEiiPS3_EEvT1_T3_lS5_lPS5_llPT2_S5_S5_S7_l.private_seg_size, 212
	.set _ZN9rocsolver6v33100L18getf2_small_kernelILi37E19rocblas_complex_numIdEiiPS3_EEvT1_T3_lS5_lPS5_llPT2_S5_S5_S7_l.uses_vcc, 1
	.set _ZN9rocsolver6v33100L18getf2_small_kernelILi37E19rocblas_complex_numIdEiiPS3_EEvT1_T3_lS5_lPS5_llPT2_S5_S5_S7_l.uses_flat_scratch, 0
	.set _ZN9rocsolver6v33100L18getf2_small_kernelILi37E19rocblas_complex_numIdEiiPS3_EEvT1_T3_lS5_lPS5_llPT2_S5_S5_S7_l.has_dyn_sized_stack, 0
	.set _ZN9rocsolver6v33100L18getf2_small_kernelILi37E19rocblas_complex_numIdEiiPS3_EEvT1_T3_lS5_lPS5_llPT2_S5_S5_S7_l.has_recursion, 0
	.set _ZN9rocsolver6v33100L18getf2_small_kernelILi37E19rocblas_complex_numIdEiiPS3_EEvT1_T3_lS5_lPS5_llPT2_S5_S5_S7_l.has_indirect_call, 0
	.section	.AMDGPU.csdata,"",@progbits
; Kernel info:
; codeLenInByte = 91404
; TotalNumSgprs: 32
; NumVgprs: 128
; ScratchSize: 212
; MemoryBound: 0
; FloatMode: 240
; IeeeMode: 1
; LDSByteSize: 0 bytes/workgroup (compile time only)
; SGPRBlocks: 3
; VGPRBlocks: 31
; NumSGPRsForWavesPerEU: 32
; NumVGPRsForWavesPerEU: 128
; Occupancy: 2
; WaveLimiterHint : 0
; COMPUTE_PGM_RSRC2:SCRATCH_EN: 1
; COMPUTE_PGM_RSRC2:USER_SGPR: 6
; COMPUTE_PGM_RSRC2:TRAP_HANDLER: 0
; COMPUTE_PGM_RSRC2:TGID_X_EN: 1
; COMPUTE_PGM_RSRC2:TGID_Y_EN: 1
; COMPUTE_PGM_RSRC2:TGID_Z_EN: 0
; COMPUTE_PGM_RSRC2:TIDIG_COMP_CNT: 1
	.section	.text._ZN9rocsolver6v33100L23getf2_npvt_small_kernelILi37E19rocblas_complex_numIdEiiPS3_EEvT1_T3_lS5_lPT2_S5_S5_,"axG",@progbits,_ZN9rocsolver6v33100L23getf2_npvt_small_kernelILi37E19rocblas_complex_numIdEiiPS3_EEvT1_T3_lS5_lPT2_S5_S5_,comdat
	.globl	_ZN9rocsolver6v33100L23getf2_npvt_small_kernelILi37E19rocblas_complex_numIdEiiPS3_EEvT1_T3_lS5_lPT2_S5_S5_ ; -- Begin function _ZN9rocsolver6v33100L23getf2_npvt_small_kernelILi37E19rocblas_complex_numIdEiiPS3_EEvT1_T3_lS5_lPT2_S5_S5_
	.p2align	8
	.type	_ZN9rocsolver6v33100L23getf2_npvt_small_kernelILi37E19rocblas_complex_numIdEiiPS3_EEvT1_T3_lS5_lPT2_S5_S5_,@function
_ZN9rocsolver6v33100L23getf2_npvt_small_kernelILi37E19rocblas_complex_numIdEiiPS3_EEvT1_T3_lS5_lPT2_S5_S5_: ; @_ZN9rocsolver6v33100L23getf2_npvt_small_kernelILi37E19rocblas_complex_numIdEiiPS3_EEvT1_T3_lS5_lPT2_S5_S5_
; %bb.0:
	s_mov_b64 s[22:23], s[2:3]
	s_mov_b64 s[20:21], s[0:1]
	s_load_dword s0, s[4:5], 0x44
	s_load_dwordx2 s[12:13], s[4:5], 0x30
	s_add_u32 s20, s20, s8
	s_addc_u32 s21, s21, 0
	s_waitcnt lgkmcnt(0)
	s_lshr_b32 s2, s0, 16
	s_mul_i32 s7, s7, s2
	v_add_u32_e32 v3, s7, v1
	v_mov_b32_e32 v2, v3
	v_cmp_gt_i32_e32 vcc, s12, v3
	s_and_saveexec_b64 s[0:1], vcc
	s_cbranch_execz .LBB73_336
; %bb.1:
	s_load_dwordx4 s[8:11], s[4:5], 0x20
	s_load_dwordx4 s[16:19], s[4:5], 0x8
	v_ashrrev_i32_e32 v3, 31, v2
	s_mulk_i32 s2, 0x250
	s_waitcnt lgkmcnt(0)
	v_mul_lo_u32 v4, s9, v2
	v_mul_lo_u32 v5, s8, v3
	buffer_store_dword v2, off, s[20:23], 0 offset:1016 ; 4-byte Folded Spill
	s_nop 0
	buffer_store_dword v3, off, s[20:23], 0 offset:1020 ; 4-byte Folded Spill
	v_mov_b32_e32 v6, s17
	v_mad_u64_u32 v[2:3], s[0:1], s8, v2, 0
	s_load_dword s0, s[4:5], 0x18
	s_lshl_b64 s[4:5], s[18:19], 4
	v_add3_u32 v3, v3, v5, v4
	v_lshlrev_b64 v[2:3], 4, v[2:3]
	v_mov_b32_e32 v4, s5
	v_add_co_u32_e32 v2, vcc, s16, v2
	v_addc_co_u32_e32 v3, vcc, v6, v3, vcc
	v_add_co_u32_e32 v2, vcc, s4, v2
	s_waitcnt lgkmcnt(0)
	s_add_i32 s1, s0, s0
	v_addc_co_u32_e32 v3, vcc, v3, v4, vcc
	v_add_u32_e32 v4, s1, v0
	v_ashrrev_i32_e32 v5, 31, v4
	v_lshlrev_b64 v[5:6], 4, v[4:5]
	v_add_u32_e32 v4, s0, v4
	v_add_co_u32_e32 v51, vcc, v2, v5
	v_ashrrev_i32_e32 v5, 31, v4
	v_addc_co_u32_e32 v52, vcc, v3, v6, vcc
	v_lshlrev_b64 v[5:6], 4, v[4:5]
	v_add_u32_e32 v4, s0, v4
	v_add_co_u32_e32 v7, vcc, v2, v5
	v_ashrrev_i32_e32 v5, 31, v4
	v_addc_co_u32_e32 v8, vcc, v3, v6, vcc
	;; [unrolled: 5-line block ×33, first 2 shown]
	v_lshlrev_b64 v[5:6], 4, v[4:5]
	v_add_u32_e32 v4, s0, v4
	v_add_co_u32_e32 v109, vcc, v2, v5
	v_ashrrev_i32_e32 v5, 31, v4
	v_lshlrev_b64 v[4:5], 4, v[4:5]
	v_addc_co_u32_e32 v110, vcc, v3, v6, vcc
	v_add_co_u32_e32 v111, vcc, v2, v4
	v_addc_co_u32_e32 v112, vcc, v3, v5, vcc
	v_lshlrev_b32_e32 v4, 4, v0
	v_add_co_u32_e32 v4, vcc, v2, v4
	s_ashr_i32 s1, s0, 31
	v_addc_co_u32_e32 v5, vcc, 0, v3, vcc
	s_lshl_b64 s[0:1], s[0:1], 4
	v_mov_b32_e32 v2, s1
	v_add_co_u32_e32 v53, vcc, s0, v4
	v_addc_co_u32_e32 v54, vcc, v5, v2, vcc
	buffer_store_dword v4, off, s[20:23], 0 offset:520 ; 4-byte Folded Spill
	s_nop 0
	buffer_store_dword v5, off, s[20:23], 0 offset:524 ; 4-byte Folded Spill
	s_movk_i32 s0, 0x250
	s_add_i32 s1, s2, 0
	v_mad_u32_u24 v125, v1, s0, 0
	v_lshl_add_u32 v127, v1, 4, s1
	v_cmp_ne_u32_e64 s[2:3], 0, v0
	v_cmp_eq_u32_e64 s[0:1], 0, v0
	global_load_dwordx4 v[1:4], v[4:5], off
	s_waitcnt vmcnt(0)
	buffer_store_dword v1, off, s[20:23], 0 offset:176 ; 4-byte Folded Spill
	s_nop 0
	buffer_store_dword v2, off, s[20:23], 0 offset:180 ; 4-byte Folded Spill
	buffer_store_dword v3, off, s[20:23], 0 offset:184 ; 4-byte Folded Spill
	buffer_store_dword v4, off, s[20:23], 0 offset:188 ; 4-byte Folded Spill
	buffer_store_dword v53, off, s[20:23], 0 offset:528 ; 4-byte Folded Spill
	s_nop 0
	buffer_store_dword v54, off, s[20:23], 0 offset:532 ; 4-byte Folded Spill
	global_load_dwordx4 v[1:4], v[53:54], off
	s_waitcnt vmcnt(0)
	buffer_store_dword v1, off, s[20:23], 0 offset:160 ; 4-byte Folded Spill
	s_nop 0
	buffer_store_dword v2, off, s[20:23], 0 offset:164 ; 4-byte Folded Spill
	buffer_store_dword v3, off, s[20:23], 0 offset:168 ; 4-byte Folded Spill
	buffer_store_dword v4, off, s[20:23], 0 offset:172 ; 4-byte Folded Spill
	buffer_store_dword v51, off, s[20:23], 0 offset:496 ; 4-byte Folded Spill
	s_nop 0
	buffer_store_dword v52, off, s[20:23], 0 offset:500 ; 4-byte Folded Spill
	;; [unrolled: 10-line block ×7, first 2 shown]
	global_load_dwordx4 v[73:76], v[13:14], off
	s_nop 0
	buffer_store_dword v15, off, s[20:23], 0 offset:240 ; 4-byte Folded Spill
	s_nop 0
	buffer_store_dword v16, off, s[20:23], 0 offset:244 ; 4-byte Folded Spill
	global_load_dwordx4 v[77:80], v[15:16], off
	s_nop 0
	buffer_store_dword v17, off, s[20:23], 0 offset:248 ; 4-byte Folded Spill
	s_nop 0
	buffer_store_dword v18, off, s[20:23], 0 offset:252 ; 4-byte Folded Spill
	global_load_dwordx4 v[1:4], v[17:18], off
	s_waitcnt vmcnt(0)
	buffer_store_dword v1, off, s[20:23], 0 offset:64 ; 4-byte Folded Spill
	s_nop 0
	buffer_store_dword v2, off, s[20:23], 0 offset:68 ; 4-byte Folded Spill
	buffer_store_dword v3, off, s[20:23], 0 offset:72 ; 4-byte Folded Spill
	;; [unrolled: 1-line block ×4, first 2 shown]
	s_nop 0
	buffer_store_dword v20, off, s[20:23], 0 offset:260 ; 4-byte Folded Spill
	global_load_dwordx4 v[113:116], v[19:20], off
	s_nop 0
	buffer_store_dword v21, off, s[20:23], 0 offset:264 ; 4-byte Folded Spill
	s_nop 0
	buffer_store_dword v22, off, s[20:23], 0 offset:268 ; 4-byte Folded Spill
	global_load_dwordx4 v[83:86], v[21:22], off
	s_nop 0
	buffer_store_dword v23, off, s[20:23], 0 offset:272 ; 4-byte Folded Spill
	;; [unrolled: 5-line block ×4, first 2 shown]
	s_nop 0
	buffer_store_dword v28, off, s[20:23], 0 offset:292 ; 4-byte Folded Spill
	global_load_dwordx4 v[1:4], v[27:28], off
	s_waitcnt vmcnt(0)
	buffer_store_dword v1, off, s[20:23], 0 offset:48 ; 4-byte Folded Spill
	s_nop 0
	buffer_store_dword v2, off, s[20:23], 0 offset:52 ; 4-byte Folded Spill
	buffer_store_dword v3, off, s[20:23], 0 offset:56 ; 4-byte Folded Spill
	;; [unrolled: 1-line block ×4, first 2 shown]
	s_nop 0
	buffer_store_dword v30, off, s[20:23], 0 offset:300 ; 4-byte Folded Spill
	global_load_dwordx4 v[1:4], v[29:30], off
	s_nop 0
	buffer_store_dword v31, off, s[20:23], 0 offset:304 ; 4-byte Folded Spill
	s_nop 0
	buffer_store_dword v32, off, s[20:23], 0 offset:308 ; 4-byte Folded Spill
	global_load_dwordx4 v[5:8], v[31:32], off
	s_waitcnt vmcnt(0)
	buffer_store_dword v5, off, s[20:23], 0 offset:16 ; 4-byte Folded Spill
	s_nop 0
	buffer_store_dword v6, off, s[20:23], 0 offset:20 ; 4-byte Folded Spill
	buffer_store_dword v7, off, s[20:23], 0 offset:24 ; 4-byte Folded Spill
	;; [unrolled: 1-line block ×4, first 2 shown]
	s_nop 0
	buffer_store_dword v34, off, s[20:23], 0 offset:316 ; 4-byte Folded Spill
	global_load_dwordx4 v[5:8], v[33:34], off
	s_waitcnt vmcnt(0)
	buffer_store_dword v5, off, s[20:23], 0 ; 4-byte Folded Spill
	s_nop 0
	buffer_store_dword v6, off, s[20:23], 0 offset:4 ; 4-byte Folded Spill
	buffer_store_dword v7, off, s[20:23], 0 offset:8 ; 4-byte Folded Spill
	;; [unrolled: 1-line block ×4, first 2 shown]
	s_nop 0
	buffer_store_dword v36, off, s[20:23], 0 offset:324 ; 4-byte Folded Spill
	global_load_dwordx4 v[69:72], v[35:36], off
	s_nop 0
	buffer_store_dword v37, off, s[20:23], 0 offset:328 ; 4-byte Folded Spill
	s_nop 0
	buffer_store_dword v38, off, s[20:23], 0 offset:332 ; 4-byte Folded Spill
	global_load_dwordx4 v[65:68], v[37:38], off
	s_nop 0
	buffer_store_dword v39, off, s[20:23], 0 offset:336 ; 4-byte Folded Spill
	;; [unrolled: 5-line block ×9, first 2 shown]
	s_nop 0
	buffer_store_dword v94, off, s[20:23], 0 offset:388 ; 4-byte Folded Spill
	v_mov_b32_e32 v92, v76
	v_mov_b32_e32 v91, v75
	;; [unrolled: 1-line block ×4, first 2 shown]
	global_load_dwordx4 v[33:36], v[93:94], off
	s_nop 0
	buffer_store_dword v95, off, s[20:23], 0 offset:392 ; 4-byte Folded Spill
	s_nop 0
	buffer_store_dword v96, off, s[20:23], 0 offset:396 ; 4-byte Folded Spill
	global_load_dwordx4 v[29:32], v[95:96], off
	s_nop 0
	buffer_store_dword v97, off, s[20:23], 0 offset:400 ; 4-byte Folded Spill
	s_nop 0
	buffer_store_dword v98, off, s[20:23], 0 offset:404 ; 4-byte Folded Spill
	v_mov_b32_e32 v96, v4
	v_mov_b32_e32 v95, v3
	;; [unrolled: 1-line block ×4, first 2 shown]
	global_load_dwordx4 v[25:28], v[97:98], off
	s_nop 0
	buffer_store_dword v99, off, s[20:23], 0 offset:408 ; 4-byte Folded Spill
	s_nop 0
	buffer_store_dword v100, off, s[20:23], 0 offset:412 ; 4-byte Folded Spill
	global_load_dwordx4 v[21:24], v[99:100], off
	s_nop 0
	buffer_store_dword v101, off, s[20:23], 0 offset:416 ; 4-byte Folded Spill
	s_nop 0
	buffer_store_dword v102, off, s[20:23], 0 offset:420 ; 4-byte Folded Spill
	;; [unrolled: 5-line block ×7, first 2 shown]
	global_load_dwordx4 v[97:100], v[111:112], off
	v_mov_b32_e32 v109, v117
	v_mov_b32_e32 v110, v118
	;; [unrolled: 1-line block ×20, first 2 shown]
	s_waitcnt vmcnt(0)
	buffer_store_dword v97, off, s[20:23], 0 offset:32 ; 4-byte Folded Spill
	s_nop 0
	buffer_store_dword v98, off, s[20:23], 0 offset:36 ; 4-byte Folded Spill
	buffer_store_dword v99, off, s[20:23], 0 offset:40 ; 4-byte Folded Spill
	;; [unrolled: 1-line block ×3, first 2 shown]
	s_and_saveexec_b64 s[6:7], s[0:1]
	s_cbranch_execz .LBB73_8
; %bb.2:
	buffer_load_dword v73, off, s[20:23], 0 offset:176 ; 4-byte Folded Reload
	buffer_load_dword v74, off, s[20:23], 0 offset:180 ; 4-byte Folded Reload
	;; [unrolled: 1-line block ×4, first 2 shown]
	s_waitcnt vmcnt(0)
	ds_write2_b64 v127, v[73:74], v[75:76] offset1:1
	buffer_load_dword v73, off, s[20:23], 0 offset:160 ; 4-byte Folded Reload
	buffer_load_dword v74, off, s[20:23], 0 offset:164 ; 4-byte Folded Reload
	buffer_load_dword v75, off, s[20:23], 0 offset:168 ; 4-byte Folded Reload
	buffer_load_dword v76, off, s[20:23], 0 offset:172 ; 4-byte Folded Reload
	s_waitcnt vmcnt(0)
	ds_write2_b64 v125, v[73:74], v[75:76] offset0:2 offset1:3
	buffer_load_dword v73, off, s[20:23], 0 offset:144 ; 4-byte Folded Reload
	buffer_load_dword v74, off, s[20:23], 0 offset:148 ; 4-byte Folded Reload
	buffer_load_dword v75, off, s[20:23], 0 offset:152 ; 4-byte Folded Reload
	buffer_load_dword v76, off, s[20:23], 0 offset:156 ; 4-byte Folded Reload
	s_waitcnt vmcnt(0)
	ds_write2_b64 v125, v[73:74], v[75:76] offset0:4 offset1:5
	;; [unrolled: 6-line block ×6, first 2 shown]
	ds_write2_b64 v125, v[89:90], v[91:92] offset0:14 offset1:15
	ds_write2_b64 v125, v[85:86], v[87:88] offset0:16 offset1:17
	buffer_load_dword v73, off, s[20:23], 0 offset:64 ; 4-byte Folded Reload
	buffer_load_dword v74, off, s[20:23], 0 offset:68 ; 4-byte Folded Reload
	;; [unrolled: 1-line block ×4, first 2 shown]
	s_waitcnt vmcnt(0)
	ds_write2_b64 v125, v[73:74], v[75:76] offset0:18 offset1:19
	ds_write2_b64 v125, v[81:82], v[83:84] offset0:20 offset1:21
	;; [unrolled: 1-line block ×5, first 2 shown]
	buffer_load_dword v97, off, s[20:23], 0 offset:48 ; 4-byte Folded Reload
	buffer_load_dword v98, off, s[20:23], 0 offset:52 ; 4-byte Folded Reload
	;; [unrolled: 1-line block ×4, first 2 shown]
	s_waitcnt vmcnt(0)
	ds_write2_b64 v125, v[97:98], v[99:100] offset0:28 offset1:29
	ds_write2_b64 v125, v[93:94], v[95:96] offset0:30 offset1:31
	buffer_load_dword v77, off, s[20:23], 0 offset:16 ; 4-byte Folded Reload
	buffer_load_dword v78, off, s[20:23], 0 offset:20 ; 4-byte Folded Reload
	;; [unrolled: 1-line block ×4, first 2 shown]
	s_waitcnt vmcnt(0)
	ds_write2_b64 v125, v[77:78], v[79:80] offset0:32 offset1:33
	buffer_load_dword v73, off, s[20:23], 0 ; 4-byte Folded Reload
	buffer_load_dword v74, off, s[20:23], 0 offset:4 ; 4-byte Folded Reload
	buffer_load_dword v75, off, s[20:23], 0 offset:8 ; 4-byte Folded Reload
	;; [unrolled: 1-line block ×3, first 2 shown]
	s_waitcnt vmcnt(0)
	ds_write2_b64 v125, v[73:74], v[75:76] offset0:34 offset1:35
	ds_write2_b64 v125, v[69:70], v[71:72] offset0:36 offset1:37
	;; [unrolled: 1-line block ×19, first 2 shown]
	buffer_load_dword v73, off, s[20:23], 0 offset:32 ; 4-byte Folded Reload
	buffer_load_dword v74, off, s[20:23], 0 offset:36 ; 4-byte Folded Reload
	;; [unrolled: 1-line block ×4, first 2 shown]
	s_waitcnt vmcnt(0)
	ds_write2_b64 v125, v[73:74], v[75:76] offset0:72 offset1:73
	ds_read2_b64 v[97:100], v127 offset1:1
	s_waitcnt lgkmcnt(0)
	v_cmp_neq_f64_e32 vcc, 0, v[97:98]
	v_cmp_neq_f64_e64 s[4:5], 0, v[99:100]
	s_or_b64 s[4:5], vcc, s[4:5]
	s_and_b64 exec, exec, s[4:5]
	s_cbranch_execz .LBB73_8
; %bb.3:
	v_cmp_ngt_f64_e64 s[4:5], |v[97:98]|, |v[99:100]|
                                        ; implicit-def: $vgpr101_vgpr102
	s_and_saveexec_b64 s[8:9], s[4:5]
	s_xor_b64 s[4:5], exec, s[8:9]
                                        ; implicit-def: $vgpr103_vgpr104
	s_cbranch_execz .LBB73_5
; %bb.4:
	v_div_scale_f64 v[101:102], s[8:9], v[99:100], v[99:100], v[97:98]
	v_rcp_f64_e32 v[103:104], v[101:102]
	v_fma_f64 v[105:106], -v[101:102], v[103:104], 1.0
	v_fma_f64 v[103:104], v[103:104], v[105:106], v[103:104]
	v_div_scale_f64 v[105:106], vcc, v[97:98], v[99:100], v[97:98]
	v_fma_f64 v[107:108], -v[101:102], v[103:104], 1.0
	v_fma_f64 v[103:104], v[103:104], v[107:108], v[103:104]
	v_mul_f64 v[107:108], v[105:106], v[103:104]
	v_fma_f64 v[101:102], -v[101:102], v[107:108], v[105:106]
	v_div_fmas_f64 v[101:102], v[101:102], v[103:104], v[107:108]
	v_div_fixup_f64 v[101:102], v[101:102], v[99:100], v[97:98]
	v_fma_f64 v[97:98], v[97:98], v[101:102], v[99:100]
	v_div_scale_f64 v[99:100], s[8:9], v[97:98], v[97:98], 1.0
	v_div_scale_f64 v[107:108], vcc, 1.0, v[97:98], 1.0
	v_rcp_f64_e32 v[103:104], v[99:100]
	v_fma_f64 v[105:106], -v[99:100], v[103:104], 1.0
	v_fma_f64 v[103:104], v[103:104], v[105:106], v[103:104]
	v_fma_f64 v[105:106], -v[99:100], v[103:104], 1.0
	v_fma_f64 v[103:104], v[103:104], v[105:106], v[103:104]
	v_mul_f64 v[105:106], v[107:108], v[103:104]
	v_fma_f64 v[99:100], -v[99:100], v[105:106], v[107:108]
	v_div_fmas_f64 v[99:100], v[99:100], v[103:104], v[105:106]
	v_div_fixup_f64 v[103:104], v[99:100], v[97:98], 1.0
                                        ; implicit-def: $vgpr97_vgpr98
	v_mul_f64 v[101:102], v[101:102], v[103:104]
	v_xor_b32_e32 v104, 0x80000000, v104
.LBB73_5:
	s_andn2_saveexec_b64 s[4:5], s[4:5]
	s_cbranch_execz .LBB73_7
; %bb.6:
	v_div_scale_f64 v[101:102], s[8:9], v[97:98], v[97:98], v[99:100]
	v_rcp_f64_e32 v[103:104], v[101:102]
	v_fma_f64 v[105:106], -v[101:102], v[103:104], 1.0
	v_fma_f64 v[103:104], v[103:104], v[105:106], v[103:104]
	v_div_scale_f64 v[105:106], vcc, v[99:100], v[97:98], v[99:100]
	v_fma_f64 v[107:108], -v[101:102], v[103:104], 1.0
	v_fma_f64 v[103:104], v[103:104], v[107:108], v[103:104]
	v_mul_f64 v[107:108], v[105:106], v[103:104]
	v_fma_f64 v[101:102], -v[101:102], v[107:108], v[105:106]
	v_div_fmas_f64 v[101:102], v[101:102], v[103:104], v[107:108]
	v_div_fixup_f64 v[103:104], v[101:102], v[97:98], v[99:100]
	v_fma_f64 v[97:98], v[99:100], v[103:104], v[97:98]
	v_div_scale_f64 v[99:100], s[8:9], v[97:98], v[97:98], 1.0
	v_div_scale_f64 v[107:108], vcc, 1.0, v[97:98], 1.0
	v_rcp_f64_e32 v[101:102], v[99:100]
	v_fma_f64 v[105:106], -v[99:100], v[101:102], 1.0
	v_fma_f64 v[101:102], v[101:102], v[105:106], v[101:102]
	v_fma_f64 v[105:106], -v[99:100], v[101:102], 1.0
	v_fma_f64 v[101:102], v[101:102], v[105:106], v[101:102]
	v_mul_f64 v[105:106], v[107:108], v[101:102]
	v_fma_f64 v[99:100], -v[99:100], v[105:106], v[107:108]
	v_div_fmas_f64 v[99:100], v[99:100], v[101:102], v[105:106]
	v_div_fixup_f64 v[101:102], v[99:100], v[97:98], 1.0
	v_mul_f64 v[103:104], v[103:104], -v[101:102]
.LBB73_7:
	s_or_b64 exec, exec, s[4:5]
	ds_write2_b64 v127, v[101:102], v[103:104] offset1:1
.LBB73_8:
	s_or_b64 exec, exec, s[6:7]
	s_waitcnt vmcnt(0) lgkmcnt(0)
	s_barrier
	ds_read2_b64 v[73:76], v127 offset1:1
	s_waitcnt lgkmcnt(0)
	buffer_store_dword v73, off, s[20:23], 0 offset:536 ; 4-byte Folded Spill
	s_nop 0
	buffer_store_dword v74, off, s[20:23], 0 offset:540 ; 4-byte Folded Spill
	buffer_store_dword v75, off, s[20:23], 0 offset:544 ; 4-byte Folded Spill
	;; [unrolled: 1-line block ×3, first 2 shown]
	s_and_saveexec_b64 s[4:5], s[2:3]
	s_cbranch_execz .LBB73_10
; %bb.9:
	buffer_load_dword v113, off, s[20:23], 0 offset:176 ; 4-byte Folded Reload
	buffer_load_dword v114, off, s[20:23], 0 offset:180 ; 4-byte Folded Reload
	;; [unrolled: 1-line block ×8, first 2 shown]
	s_waitcnt vmcnt(2)
	v_mul_f64 v[99:100], v[73:74], v[115:116]
	s_waitcnt vmcnt(0)
	v_mul_f64 v[97:98], v[75:76], v[115:116]
	v_fma_f64 v[115:116], v[75:76], v[113:114], v[99:100]
	ds_read2_b64 v[99:102], v125 offset0:2 offset1:3
	v_fma_f64 v[97:98], v[73:74], v[113:114], -v[97:98]
	buffer_load_dword v73, off, s[20:23], 0 offset:160 ; 4-byte Folded Reload
	buffer_load_dword v74, off, s[20:23], 0 offset:164 ; 4-byte Folded Reload
	buffer_load_dword v75, off, s[20:23], 0 offset:168 ; 4-byte Folded Reload
	buffer_load_dword v76, off, s[20:23], 0 offset:172 ; 4-byte Folded Reload
	s_waitcnt lgkmcnt(0)
	v_mul_f64 v[103:104], v[101:102], v[115:116]
	v_mov_b32_e32 v114, v98
	v_mov_b32_e32 v113, v97
	v_fma_f64 v[103:104], v[99:100], v[97:98], -v[103:104]
	v_mul_f64 v[99:100], v[99:100], v[115:116]
	v_fma_f64 v[99:100], v[101:102], v[97:98], v[99:100]
	s_waitcnt vmcnt(2)
	v_add_f64 v[73:74], v[73:74], -v[103:104]
	s_waitcnt vmcnt(0)
	v_add_f64 v[75:76], v[75:76], -v[99:100]
	buffer_store_dword v73, off, s[20:23], 0 offset:160 ; 4-byte Folded Spill
	s_nop 0
	buffer_store_dword v74, off, s[20:23], 0 offset:164 ; 4-byte Folded Spill
	buffer_store_dword v75, off, s[20:23], 0 offset:168 ; 4-byte Folded Spill
	buffer_store_dword v76, off, s[20:23], 0 offset:172 ; 4-byte Folded Spill
	ds_read2_b64 v[99:102], v125 offset0:4 offset1:5
	buffer_load_dword v73, off, s[20:23], 0 offset:144 ; 4-byte Folded Reload
	buffer_load_dword v74, off, s[20:23], 0 offset:148 ; 4-byte Folded Reload
	buffer_load_dword v75, off, s[20:23], 0 offset:152 ; 4-byte Folded Reload
	buffer_load_dword v76, off, s[20:23], 0 offset:156 ; 4-byte Folded Reload
	s_waitcnt lgkmcnt(0)
	v_mul_f64 v[103:104], v[101:102], v[115:116]
	v_fma_f64 v[103:104], v[99:100], v[97:98], -v[103:104]
	v_mul_f64 v[99:100], v[99:100], v[115:116]
	v_fma_f64 v[99:100], v[101:102], v[97:98], v[99:100]
	s_waitcnt vmcnt(2)
	v_add_f64 v[73:74], v[73:74], -v[103:104]
	s_waitcnt vmcnt(0)
	v_add_f64 v[75:76], v[75:76], -v[99:100]
	buffer_store_dword v73, off, s[20:23], 0 offset:144 ; 4-byte Folded Spill
	s_nop 0
	buffer_store_dword v74, off, s[20:23], 0 offset:148 ; 4-byte Folded Spill
	buffer_store_dword v75, off, s[20:23], 0 offset:152 ; 4-byte Folded Spill
	buffer_store_dword v76, off, s[20:23], 0 offset:156 ; 4-byte Folded Spill
	ds_read2_b64 v[99:102], v125 offset0:6 offset1:7
	buffer_load_dword v73, off, s[20:23], 0 offset:128 ; 4-byte Folded Reload
	buffer_load_dword v74, off, s[20:23], 0 offset:132 ; 4-byte Folded Reload
	buffer_load_dword v75, off, s[20:23], 0 offset:136 ; 4-byte Folded Reload
	buffer_load_dword v76, off, s[20:23], 0 offset:140 ; 4-byte Folded Reload
	s_waitcnt lgkmcnt(0)
	v_mul_f64 v[103:104], v[101:102], v[115:116]
	;; [unrolled: 19-line block ×5, first 2 shown]
	v_fma_f64 v[103:104], v[99:100], v[97:98], -v[103:104]
	v_mul_f64 v[99:100], v[99:100], v[115:116]
	v_fma_f64 v[99:100], v[101:102], v[97:98], v[99:100]
	s_waitcnt vmcnt(2)
	v_add_f64 v[73:74], v[73:74], -v[103:104]
	s_waitcnt vmcnt(0)
	v_add_f64 v[75:76], v[75:76], -v[99:100]
	buffer_store_dword v73, off, s[20:23], 0 offset:80 ; 4-byte Folded Spill
	s_nop 0
	buffer_store_dword v74, off, s[20:23], 0 offset:84 ; 4-byte Folded Spill
	buffer_store_dword v75, off, s[20:23], 0 offset:88 ; 4-byte Folded Spill
	;; [unrolled: 1-line block ×3, first 2 shown]
	ds_read2_b64 v[99:102], v125 offset0:14 offset1:15
	s_waitcnt lgkmcnt(0)
	v_mul_f64 v[103:104], v[101:102], v[115:116]
	v_fma_f64 v[103:104], v[99:100], v[97:98], -v[103:104]
	v_mul_f64 v[99:100], v[99:100], v[115:116]
	v_add_f64 v[89:90], v[89:90], -v[103:104]
	v_fma_f64 v[99:100], v[101:102], v[97:98], v[99:100]
	v_add_f64 v[91:92], v[91:92], -v[99:100]
	ds_read2_b64 v[99:102], v125 offset0:16 offset1:17
	s_waitcnt lgkmcnt(0)
	v_mul_f64 v[103:104], v[101:102], v[115:116]
	v_fma_f64 v[103:104], v[99:100], v[97:98], -v[103:104]
	v_mul_f64 v[99:100], v[99:100], v[115:116]
	v_add_f64 v[85:86], v[85:86], -v[103:104]
	v_fma_f64 v[99:100], v[101:102], v[97:98], v[99:100]
	v_add_f64 v[87:88], v[87:88], -v[99:100]
	ds_read2_b64 v[99:102], v125 offset0:18 offset1:19
	buffer_load_dword v73, off, s[20:23], 0 offset:64 ; 4-byte Folded Reload
	buffer_load_dword v74, off, s[20:23], 0 offset:68 ; 4-byte Folded Reload
	;; [unrolled: 1-line block ×4, first 2 shown]
	s_waitcnt lgkmcnt(0)
	v_mul_f64 v[103:104], v[101:102], v[115:116]
	v_fma_f64 v[103:104], v[99:100], v[97:98], -v[103:104]
	v_mul_f64 v[99:100], v[99:100], v[115:116]
	v_fma_f64 v[99:100], v[101:102], v[97:98], v[99:100]
	s_waitcnt vmcnt(2)
	v_add_f64 v[73:74], v[73:74], -v[103:104]
	s_waitcnt vmcnt(0)
	v_add_f64 v[75:76], v[75:76], -v[99:100]
	buffer_store_dword v73, off, s[20:23], 0 offset:64 ; 4-byte Folded Spill
	s_nop 0
	buffer_store_dword v74, off, s[20:23], 0 offset:68 ; 4-byte Folded Spill
	buffer_store_dword v75, off, s[20:23], 0 offset:72 ; 4-byte Folded Spill
	;; [unrolled: 1-line block ×3, first 2 shown]
	ds_read2_b64 v[99:102], v125 offset0:20 offset1:21
	s_waitcnt lgkmcnt(0)
	v_mul_f64 v[103:104], v[101:102], v[115:116]
	v_fma_f64 v[103:104], v[99:100], v[97:98], -v[103:104]
	v_mul_f64 v[99:100], v[99:100], v[115:116]
	v_add_f64 v[81:82], v[81:82], -v[103:104]
	v_fma_f64 v[99:100], v[101:102], v[97:98], v[99:100]
	v_add_f64 v[83:84], v[83:84], -v[99:100]
	ds_read2_b64 v[99:102], v125 offset0:22 offset1:23
	s_waitcnt lgkmcnt(0)
	v_mul_f64 v[103:104], v[101:102], v[115:116]
	v_fma_f64 v[103:104], v[99:100], v[97:98], -v[103:104]
	v_mul_f64 v[99:100], v[99:100], v[115:116]
	v_add_f64 v[121:122], v[121:122], -v[103:104]
	v_fma_f64 v[99:100], v[101:102], v[97:98], v[99:100]
	v_add_f64 v[123:124], v[123:124], -v[99:100]
	;; [unrolled: 8-line block ×4, first 2 shown]
	ds_read2_b64 v[99:102], v125 offset0:28 offset1:29
	buffer_load_dword v105, off, s[20:23], 0 offset:48 ; 4-byte Folded Reload
	buffer_load_dword v106, off, s[20:23], 0 offset:52 ; 4-byte Folded Reload
	;; [unrolled: 1-line block ×4, first 2 shown]
	s_waitcnt lgkmcnt(0)
	v_mul_f64 v[103:104], v[101:102], v[115:116]
	v_fma_f64 v[103:104], v[99:100], v[97:98], -v[103:104]
	v_mul_f64 v[99:100], v[99:100], v[115:116]
	v_fma_f64 v[99:100], v[101:102], v[97:98], v[99:100]
	s_waitcnt vmcnt(2)
	v_add_f64 v[105:106], v[105:106], -v[103:104]
	s_waitcnt vmcnt(0)
	v_add_f64 v[107:108], v[107:108], -v[99:100]
	buffer_store_dword v105, off, s[20:23], 0 offset:48 ; 4-byte Folded Spill
	s_nop 0
	buffer_store_dword v106, off, s[20:23], 0 offset:52 ; 4-byte Folded Spill
	buffer_store_dword v107, off, s[20:23], 0 offset:56 ; 4-byte Folded Spill
	buffer_store_dword v108, off, s[20:23], 0 offset:60 ; 4-byte Folded Spill
	ds_read2_b64 v[99:102], v125 offset0:30 offset1:31
	s_waitcnt lgkmcnt(0)
	v_mul_f64 v[103:104], v[101:102], v[115:116]
	v_fma_f64 v[103:104], v[99:100], v[97:98], -v[103:104]
	v_mul_f64 v[99:100], v[99:100], v[115:116]
	v_add_f64 v[93:94], v[93:94], -v[103:104]
	v_fma_f64 v[99:100], v[101:102], v[97:98], v[99:100]
	v_add_f64 v[95:96], v[95:96], -v[99:100]
	ds_read2_b64 v[99:102], v125 offset0:32 offset1:33
	buffer_load_dword v77, off, s[20:23], 0 offset:16 ; 4-byte Folded Reload
	buffer_load_dword v78, off, s[20:23], 0 offset:20 ; 4-byte Folded Reload
	;; [unrolled: 1-line block ×4, first 2 shown]
	s_waitcnt lgkmcnt(0)
	v_mul_f64 v[103:104], v[101:102], v[115:116]
	v_fma_f64 v[103:104], v[99:100], v[97:98], -v[103:104]
	v_mul_f64 v[99:100], v[99:100], v[115:116]
	v_fma_f64 v[99:100], v[101:102], v[97:98], v[99:100]
	s_waitcnt vmcnt(2)
	v_add_f64 v[77:78], v[77:78], -v[103:104]
	s_waitcnt vmcnt(0)
	v_add_f64 v[79:80], v[79:80], -v[99:100]
	buffer_store_dword v77, off, s[20:23], 0 offset:16 ; 4-byte Folded Spill
	s_nop 0
	buffer_store_dword v78, off, s[20:23], 0 offset:20 ; 4-byte Folded Spill
	buffer_store_dword v79, off, s[20:23], 0 offset:24 ; 4-byte Folded Spill
	;; [unrolled: 1-line block ×3, first 2 shown]
	ds_read2_b64 v[99:102], v125 offset0:34 offset1:35
	buffer_load_dword v73, off, s[20:23], 0 ; 4-byte Folded Reload
	buffer_load_dword v74, off, s[20:23], 0 offset:4 ; 4-byte Folded Reload
	buffer_load_dword v75, off, s[20:23], 0 offset:8 ; 4-byte Folded Reload
	;; [unrolled: 1-line block ×3, first 2 shown]
	s_waitcnt lgkmcnt(0)
	v_mul_f64 v[103:104], v[101:102], v[115:116]
	v_fma_f64 v[103:104], v[99:100], v[97:98], -v[103:104]
	v_mul_f64 v[99:100], v[99:100], v[115:116]
	v_fma_f64 v[99:100], v[101:102], v[97:98], v[99:100]
	s_waitcnt vmcnt(2)
	v_add_f64 v[73:74], v[73:74], -v[103:104]
	s_waitcnt vmcnt(0)
	v_add_f64 v[75:76], v[75:76], -v[99:100]
	buffer_store_dword v73, off, s[20:23], 0 ; 4-byte Folded Spill
	s_nop 0
	buffer_store_dword v74, off, s[20:23], 0 offset:4 ; 4-byte Folded Spill
	buffer_store_dword v75, off, s[20:23], 0 offset:8 ; 4-byte Folded Spill
	;; [unrolled: 1-line block ×3, first 2 shown]
	ds_read2_b64 v[99:102], v125 offset0:36 offset1:37
	s_waitcnt lgkmcnt(0)
	v_mul_f64 v[103:104], v[101:102], v[115:116]
	v_fma_f64 v[103:104], v[99:100], v[97:98], -v[103:104]
	v_mul_f64 v[99:100], v[99:100], v[115:116]
	v_add_f64 v[69:70], v[69:70], -v[103:104]
	v_fma_f64 v[99:100], v[101:102], v[97:98], v[99:100]
	v_add_f64 v[71:72], v[71:72], -v[99:100]
	ds_read2_b64 v[99:102], v125 offset0:38 offset1:39
	s_waitcnt lgkmcnt(0)
	v_mul_f64 v[103:104], v[101:102], v[115:116]
	v_fma_f64 v[103:104], v[99:100], v[97:98], -v[103:104]
	v_mul_f64 v[99:100], v[99:100], v[115:116]
	v_add_f64 v[65:66], v[65:66], -v[103:104]
	v_fma_f64 v[99:100], v[101:102], v[97:98], v[99:100]
	v_add_f64 v[67:68], v[67:68], -v[99:100]
	;; [unrolled: 8-line block ×18, first 2 shown]
	ds_read2_b64 v[99:102], v125 offset0:72 offset1:73
	buffer_load_dword v73, off, s[20:23], 0 offset:32 ; 4-byte Folded Reload
	buffer_load_dword v74, off, s[20:23], 0 offset:36 ; 4-byte Folded Reload
	;; [unrolled: 1-line block ×4, first 2 shown]
	s_waitcnt lgkmcnt(0)
	v_mul_f64 v[103:104], v[101:102], v[115:116]
	v_fma_f64 v[103:104], v[99:100], v[97:98], -v[103:104]
	v_mul_f64 v[99:100], v[99:100], v[115:116]
	v_fma_f64 v[99:100], v[101:102], v[97:98], v[99:100]
	s_waitcnt vmcnt(2)
	v_add_f64 v[73:74], v[73:74], -v[103:104]
	s_waitcnt vmcnt(0)
	v_add_f64 v[75:76], v[75:76], -v[99:100]
	buffer_store_dword v73, off, s[20:23], 0 offset:32 ; 4-byte Folded Spill
	s_nop 0
	buffer_store_dword v74, off, s[20:23], 0 offset:36 ; 4-byte Folded Spill
	buffer_store_dword v75, off, s[20:23], 0 offset:40 ; 4-byte Folded Spill
	;; [unrolled: 1-line block ×4, first 2 shown]
	s_nop 0
	buffer_store_dword v114, off, s[20:23], 0 offset:180 ; 4-byte Folded Spill
	buffer_store_dword v115, off, s[20:23], 0 offset:184 ; 4-byte Folded Spill
	buffer_store_dword v116, off, s[20:23], 0 offset:188 ; 4-byte Folded Spill
.LBB73_10:
	s_or_b64 exec, exec, s[4:5]
	v_cmp_eq_u32_e32 vcc, 1, v0
	s_waitcnt vmcnt(0)
	s_barrier
	s_and_saveexec_b64 s[4:5], vcc
	s_cbranch_execz .LBB73_17
; %bb.11:
	buffer_load_dword v73, off, s[20:23], 0 offset:160 ; 4-byte Folded Reload
	buffer_load_dword v74, off, s[20:23], 0 offset:164 ; 4-byte Folded Reload
	;; [unrolled: 1-line block ×4, first 2 shown]
	s_waitcnt vmcnt(0)
	ds_write2_b64 v127, v[73:74], v[75:76] offset1:1
	buffer_load_dword v73, off, s[20:23], 0 offset:144 ; 4-byte Folded Reload
	buffer_load_dword v74, off, s[20:23], 0 offset:148 ; 4-byte Folded Reload
	buffer_load_dword v75, off, s[20:23], 0 offset:152 ; 4-byte Folded Reload
	buffer_load_dword v76, off, s[20:23], 0 offset:156 ; 4-byte Folded Reload
	s_waitcnt vmcnt(0)
	ds_write2_b64 v125, v[73:74], v[75:76] offset0:4 offset1:5
	buffer_load_dword v73, off, s[20:23], 0 offset:128 ; 4-byte Folded Reload
	buffer_load_dword v74, off, s[20:23], 0 offset:132 ; 4-byte Folded Reload
	buffer_load_dword v75, off, s[20:23], 0 offset:136 ; 4-byte Folded Reload
	buffer_load_dword v76, off, s[20:23], 0 offset:140 ; 4-byte Folded Reload
	s_waitcnt vmcnt(0)
	ds_write2_b64 v125, v[73:74], v[75:76] offset0:6 offset1:7
	;; [unrolled: 6-line block ×5, first 2 shown]
	ds_write2_b64 v125, v[89:90], v[91:92] offset0:14 offset1:15
	ds_write2_b64 v125, v[85:86], v[87:88] offset0:16 offset1:17
	buffer_load_dword v73, off, s[20:23], 0 offset:64 ; 4-byte Folded Reload
	buffer_load_dword v74, off, s[20:23], 0 offset:68 ; 4-byte Folded Reload
	;; [unrolled: 1-line block ×4, first 2 shown]
	s_waitcnt vmcnt(0)
	ds_write2_b64 v125, v[73:74], v[75:76] offset0:18 offset1:19
	ds_write2_b64 v125, v[81:82], v[83:84] offset0:20 offset1:21
	;; [unrolled: 1-line block ×5, first 2 shown]
	buffer_load_dword v97, off, s[20:23], 0 offset:48 ; 4-byte Folded Reload
	buffer_load_dword v98, off, s[20:23], 0 offset:52 ; 4-byte Folded Reload
	buffer_load_dword v99, off, s[20:23], 0 offset:56 ; 4-byte Folded Reload
	buffer_load_dword v100, off, s[20:23], 0 offset:60 ; 4-byte Folded Reload
	s_waitcnt vmcnt(0)
	ds_write2_b64 v125, v[97:98], v[99:100] offset0:28 offset1:29
	ds_write2_b64 v125, v[93:94], v[95:96] offset0:30 offset1:31
	buffer_load_dword v77, off, s[20:23], 0 offset:16 ; 4-byte Folded Reload
	buffer_load_dword v78, off, s[20:23], 0 offset:20 ; 4-byte Folded Reload
	;; [unrolled: 1-line block ×4, first 2 shown]
	s_waitcnt vmcnt(0)
	ds_write2_b64 v125, v[77:78], v[79:80] offset0:32 offset1:33
	buffer_load_dword v73, off, s[20:23], 0 ; 4-byte Folded Reload
	buffer_load_dword v74, off, s[20:23], 0 offset:4 ; 4-byte Folded Reload
	buffer_load_dword v75, off, s[20:23], 0 offset:8 ; 4-byte Folded Reload
	;; [unrolled: 1-line block ×3, first 2 shown]
	s_waitcnt vmcnt(0)
	ds_write2_b64 v125, v[73:74], v[75:76] offset0:34 offset1:35
	ds_write2_b64 v125, v[69:70], v[71:72] offset0:36 offset1:37
	;; [unrolled: 1-line block ×19, first 2 shown]
	buffer_load_dword v73, off, s[20:23], 0 offset:32 ; 4-byte Folded Reload
	buffer_load_dword v74, off, s[20:23], 0 offset:36 ; 4-byte Folded Reload
	;; [unrolled: 1-line block ×4, first 2 shown]
	s_waitcnt vmcnt(0)
	ds_write2_b64 v125, v[73:74], v[75:76] offset0:72 offset1:73
	ds_read2_b64 v[97:100], v127 offset1:1
	s_waitcnt lgkmcnt(0)
	v_cmp_neq_f64_e32 vcc, 0, v[97:98]
	v_cmp_neq_f64_e64 s[2:3], 0, v[99:100]
	s_or_b64 s[2:3], vcc, s[2:3]
	s_and_b64 exec, exec, s[2:3]
	s_cbranch_execz .LBB73_17
; %bb.12:
	v_cmp_ngt_f64_e64 s[2:3], |v[97:98]|, |v[99:100]|
                                        ; implicit-def: $vgpr101_vgpr102
	s_and_saveexec_b64 s[6:7], s[2:3]
	s_xor_b64 s[2:3], exec, s[6:7]
                                        ; implicit-def: $vgpr103_vgpr104
	s_cbranch_execz .LBB73_14
; %bb.13:
	v_div_scale_f64 v[101:102], s[6:7], v[99:100], v[99:100], v[97:98]
	v_rcp_f64_e32 v[103:104], v[101:102]
	v_fma_f64 v[105:106], -v[101:102], v[103:104], 1.0
	v_fma_f64 v[103:104], v[103:104], v[105:106], v[103:104]
	v_div_scale_f64 v[105:106], vcc, v[97:98], v[99:100], v[97:98]
	v_fma_f64 v[107:108], -v[101:102], v[103:104], 1.0
	v_fma_f64 v[103:104], v[103:104], v[107:108], v[103:104]
	v_mul_f64 v[107:108], v[105:106], v[103:104]
	v_fma_f64 v[101:102], -v[101:102], v[107:108], v[105:106]
	v_div_fmas_f64 v[101:102], v[101:102], v[103:104], v[107:108]
	v_div_fixup_f64 v[101:102], v[101:102], v[99:100], v[97:98]
	v_fma_f64 v[97:98], v[97:98], v[101:102], v[99:100]
	v_div_scale_f64 v[99:100], s[6:7], v[97:98], v[97:98], 1.0
	v_div_scale_f64 v[107:108], vcc, 1.0, v[97:98], 1.0
	v_rcp_f64_e32 v[103:104], v[99:100]
	v_fma_f64 v[105:106], -v[99:100], v[103:104], 1.0
	v_fma_f64 v[103:104], v[103:104], v[105:106], v[103:104]
	v_fma_f64 v[105:106], -v[99:100], v[103:104], 1.0
	v_fma_f64 v[103:104], v[103:104], v[105:106], v[103:104]
	v_mul_f64 v[105:106], v[107:108], v[103:104]
	v_fma_f64 v[99:100], -v[99:100], v[105:106], v[107:108]
	v_div_fmas_f64 v[99:100], v[99:100], v[103:104], v[105:106]
	v_div_fixup_f64 v[103:104], v[99:100], v[97:98], 1.0
                                        ; implicit-def: $vgpr97_vgpr98
	v_mul_f64 v[101:102], v[101:102], v[103:104]
	v_xor_b32_e32 v104, 0x80000000, v104
.LBB73_14:
	s_andn2_saveexec_b64 s[2:3], s[2:3]
	s_cbranch_execz .LBB73_16
; %bb.15:
	v_div_scale_f64 v[101:102], s[6:7], v[97:98], v[97:98], v[99:100]
	v_rcp_f64_e32 v[103:104], v[101:102]
	v_fma_f64 v[105:106], -v[101:102], v[103:104], 1.0
	v_fma_f64 v[103:104], v[103:104], v[105:106], v[103:104]
	v_div_scale_f64 v[105:106], vcc, v[99:100], v[97:98], v[99:100]
	v_fma_f64 v[107:108], -v[101:102], v[103:104], 1.0
	v_fma_f64 v[103:104], v[103:104], v[107:108], v[103:104]
	v_mul_f64 v[107:108], v[105:106], v[103:104]
	v_fma_f64 v[101:102], -v[101:102], v[107:108], v[105:106]
	v_div_fmas_f64 v[101:102], v[101:102], v[103:104], v[107:108]
	v_div_fixup_f64 v[103:104], v[101:102], v[97:98], v[99:100]
	v_fma_f64 v[97:98], v[99:100], v[103:104], v[97:98]
	v_div_scale_f64 v[99:100], s[6:7], v[97:98], v[97:98], 1.0
	v_div_scale_f64 v[107:108], vcc, 1.0, v[97:98], 1.0
	v_rcp_f64_e32 v[101:102], v[99:100]
	v_fma_f64 v[105:106], -v[99:100], v[101:102], 1.0
	v_fma_f64 v[101:102], v[101:102], v[105:106], v[101:102]
	v_fma_f64 v[105:106], -v[99:100], v[101:102], 1.0
	v_fma_f64 v[101:102], v[101:102], v[105:106], v[101:102]
	v_mul_f64 v[105:106], v[107:108], v[101:102]
	v_fma_f64 v[99:100], -v[99:100], v[105:106], v[107:108]
	v_div_fmas_f64 v[99:100], v[99:100], v[101:102], v[105:106]
	v_div_fixup_f64 v[101:102], v[99:100], v[97:98], 1.0
	v_mul_f64 v[103:104], v[103:104], -v[101:102]
.LBB73_16:
	s_or_b64 exec, exec, s[2:3]
	ds_write2_b64 v127, v[101:102], v[103:104] offset1:1
.LBB73_17:
	s_or_b64 exec, exec, s[4:5]
	s_waitcnt lgkmcnt(0)
	s_barrier
	ds_read2_b64 v[73:76], v127 offset1:1
	v_cmp_lt_u32_e32 vcc, 1, v0
	s_waitcnt lgkmcnt(0)
	buffer_store_dword v73, off, s[20:23], 0 offset:552 ; 4-byte Folded Spill
	s_nop 0
	buffer_store_dword v74, off, s[20:23], 0 offset:556 ; 4-byte Folded Spill
	buffer_store_dword v75, off, s[20:23], 0 offset:560 ; 4-byte Folded Spill
	;; [unrolled: 1-line block ×3, first 2 shown]
	s_and_saveexec_b64 s[2:3], vcc
	s_cbranch_execz .LBB73_19
; %bb.18:
	buffer_load_dword v113, off, s[20:23], 0 offset:160 ; 4-byte Folded Reload
	buffer_load_dword v114, off, s[20:23], 0 offset:164 ; 4-byte Folded Reload
	buffer_load_dword v115, off, s[20:23], 0 offset:168 ; 4-byte Folded Reload
	buffer_load_dword v116, off, s[20:23], 0 offset:172 ; 4-byte Folded Reload
	buffer_load_dword v73, off, s[20:23], 0 offset:552 ; 4-byte Folded Reload
	buffer_load_dword v74, off, s[20:23], 0 offset:556 ; 4-byte Folded Reload
	buffer_load_dword v75, off, s[20:23], 0 offset:560 ; 4-byte Folded Reload
	buffer_load_dword v76, off, s[20:23], 0 offset:564 ; 4-byte Folded Reload
	s_waitcnt vmcnt(2)
	v_mul_f64 v[99:100], v[73:74], v[115:116]
	s_waitcnt vmcnt(0)
	v_mul_f64 v[97:98], v[75:76], v[115:116]
	v_fma_f64 v[115:116], v[75:76], v[113:114], v[99:100]
	ds_read2_b64 v[99:102], v125 offset0:4 offset1:5
	v_fma_f64 v[97:98], v[73:74], v[113:114], -v[97:98]
	buffer_load_dword v73, off, s[20:23], 0 offset:144 ; 4-byte Folded Reload
	buffer_load_dword v74, off, s[20:23], 0 offset:148 ; 4-byte Folded Reload
	;; [unrolled: 1-line block ×4, first 2 shown]
	s_waitcnt lgkmcnt(0)
	v_mul_f64 v[103:104], v[101:102], v[115:116]
	v_mov_b32_e32 v114, v98
	v_mov_b32_e32 v113, v97
	v_fma_f64 v[103:104], v[99:100], v[97:98], -v[103:104]
	v_mul_f64 v[99:100], v[99:100], v[115:116]
	v_fma_f64 v[99:100], v[101:102], v[97:98], v[99:100]
	s_waitcnt vmcnt(2)
	v_add_f64 v[73:74], v[73:74], -v[103:104]
	s_waitcnt vmcnt(0)
	v_add_f64 v[75:76], v[75:76], -v[99:100]
	buffer_store_dword v73, off, s[20:23], 0 offset:144 ; 4-byte Folded Spill
	s_nop 0
	buffer_store_dword v74, off, s[20:23], 0 offset:148 ; 4-byte Folded Spill
	buffer_store_dword v75, off, s[20:23], 0 offset:152 ; 4-byte Folded Spill
	buffer_store_dword v76, off, s[20:23], 0 offset:156 ; 4-byte Folded Spill
	ds_read2_b64 v[99:102], v125 offset0:6 offset1:7
	buffer_load_dword v73, off, s[20:23], 0 offset:128 ; 4-byte Folded Reload
	buffer_load_dword v74, off, s[20:23], 0 offset:132 ; 4-byte Folded Reload
	buffer_load_dword v75, off, s[20:23], 0 offset:136 ; 4-byte Folded Reload
	buffer_load_dword v76, off, s[20:23], 0 offset:140 ; 4-byte Folded Reload
	s_waitcnt lgkmcnt(0)
	v_mul_f64 v[103:104], v[101:102], v[115:116]
	v_fma_f64 v[103:104], v[99:100], v[97:98], -v[103:104]
	v_mul_f64 v[99:100], v[99:100], v[115:116]
	v_fma_f64 v[99:100], v[101:102], v[97:98], v[99:100]
	s_waitcnt vmcnt(2)
	v_add_f64 v[73:74], v[73:74], -v[103:104]
	s_waitcnt vmcnt(0)
	v_add_f64 v[75:76], v[75:76], -v[99:100]
	buffer_store_dword v73, off, s[20:23], 0 offset:128 ; 4-byte Folded Spill
	s_nop 0
	buffer_store_dword v74, off, s[20:23], 0 offset:132 ; 4-byte Folded Spill
	buffer_store_dword v75, off, s[20:23], 0 offset:136 ; 4-byte Folded Spill
	buffer_store_dword v76, off, s[20:23], 0 offset:140 ; 4-byte Folded Spill
	ds_read2_b64 v[99:102], v125 offset0:8 offset1:9
	buffer_load_dword v73, off, s[20:23], 0 offset:112 ; 4-byte Folded Reload
	buffer_load_dword v74, off, s[20:23], 0 offset:116 ; 4-byte Folded Reload
	buffer_load_dword v75, off, s[20:23], 0 offset:120 ; 4-byte Folded Reload
	buffer_load_dword v76, off, s[20:23], 0 offset:124 ; 4-byte Folded Reload
	s_waitcnt lgkmcnt(0)
	v_mul_f64 v[103:104], v[101:102], v[115:116]
	;; [unrolled: 19-line block ×4, first 2 shown]
	v_fma_f64 v[103:104], v[99:100], v[97:98], -v[103:104]
	v_mul_f64 v[99:100], v[99:100], v[115:116]
	v_fma_f64 v[99:100], v[101:102], v[97:98], v[99:100]
	s_waitcnt vmcnt(2)
	v_add_f64 v[73:74], v[73:74], -v[103:104]
	s_waitcnt vmcnt(0)
	v_add_f64 v[75:76], v[75:76], -v[99:100]
	buffer_store_dword v73, off, s[20:23], 0 offset:80 ; 4-byte Folded Spill
	s_nop 0
	buffer_store_dword v74, off, s[20:23], 0 offset:84 ; 4-byte Folded Spill
	buffer_store_dword v75, off, s[20:23], 0 offset:88 ; 4-byte Folded Spill
	;; [unrolled: 1-line block ×3, first 2 shown]
	ds_read2_b64 v[99:102], v125 offset0:14 offset1:15
	s_waitcnt lgkmcnt(0)
	v_mul_f64 v[103:104], v[101:102], v[115:116]
	v_fma_f64 v[103:104], v[99:100], v[97:98], -v[103:104]
	v_mul_f64 v[99:100], v[99:100], v[115:116]
	v_add_f64 v[89:90], v[89:90], -v[103:104]
	v_fma_f64 v[99:100], v[101:102], v[97:98], v[99:100]
	v_add_f64 v[91:92], v[91:92], -v[99:100]
	ds_read2_b64 v[99:102], v125 offset0:16 offset1:17
	s_waitcnt lgkmcnt(0)
	v_mul_f64 v[103:104], v[101:102], v[115:116]
	v_fma_f64 v[103:104], v[99:100], v[97:98], -v[103:104]
	v_mul_f64 v[99:100], v[99:100], v[115:116]
	v_add_f64 v[85:86], v[85:86], -v[103:104]
	v_fma_f64 v[99:100], v[101:102], v[97:98], v[99:100]
	v_add_f64 v[87:88], v[87:88], -v[99:100]
	ds_read2_b64 v[99:102], v125 offset0:18 offset1:19
	buffer_load_dword v73, off, s[20:23], 0 offset:64 ; 4-byte Folded Reload
	buffer_load_dword v74, off, s[20:23], 0 offset:68 ; 4-byte Folded Reload
	buffer_load_dword v75, off, s[20:23], 0 offset:72 ; 4-byte Folded Reload
	buffer_load_dword v76, off, s[20:23], 0 offset:76 ; 4-byte Folded Reload
	s_waitcnt lgkmcnt(0)
	v_mul_f64 v[103:104], v[101:102], v[115:116]
	v_fma_f64 v[103:104], v[99:100], v[97:98], -v[103:104]
	v_mul_f64 v[99:100], v[99:100], v[115:116]
	v_fma_f64 v[99:100], v[101:102], v[97:98], v[99:100]
	s_waitcnt vmcnt(2)
	v_add_f64 v[73:74], v[73:74], -v[103:104]
	s_waitcnt vmcnt(0)
	v_add_f64 v[75:76], v[75:76], -v[99:100]
	buffer_store_dword v73, off, s[20:23], 0 offset:64 ; 4-byte Folded Spill
	s_nop 0
	buffer_store_dword v74, off, s[20:23], 0 offset:68 ; 4-byte Folded Spill
	buffer_store_dword v75, off, s[20:23], 0 offset:72 ; 4-byte Folded Spill
	;; [unrolled: 1-line block ×3, first 2 shown]
	ds_read2_b64 v[99:102], v125 offset0:20 offset1:21
	s_waitcnt lgkmcnt(0)
	v_mul_f64 v[103:104], v[101:102], v[115:116]
	v_fma_f64 v[103:104], v[99:100], v[97:98], -v[103:104]
	v_mul_f64 v[99:100], v[99:100], v[115:116]
	v_add_f64 v[81:82], v[81:82], -v[103:104]
	v_fma_f64 v[99:100], v[101:102], v[97:98], v[99:100]
	v_add_f64 v[83:84], v[83:84], -v[99:100]
	ds_read2_b64 v[99:102], v125 offset0:22 offset1:23
	s_waitcnt lgkmcnt(0)
	v_mul_f64 v[103:104], v[101:102], v[115:116]
	v_fma_f64 v[103:104], v[99:100], v[97:98], -v[103:104]
	v_mul_f64 v[99:100], v[99:100], v[115:116]
	v_add_f64 v[121:122], v[121:122], -v[103:104]
	v_fma_f64 v[99:100], v[101:102], v[97:98], v[99:100]
	v_add_f64 v[123:124], v[123:124], -v[99:100]
	;; [unrolled: 8-line block ×4, first 2 shown]
	ds_read2_b64 v[99:102], v125 offset0:28 offset1:29
	buffer_load_dword v105, off, s[20:23], 0 offset:48 ; 4-byte Folded Reload
	buffer_load_dword v106, off, s[20:23], 0 offset:52 ; 4-byte Folded Reload
	;; [unrolled: 1-line block ×4, first 2 shown]
	s_waitcnt lgkmcnt(0)
	v_mul_f64 v[103:104], v[101:102], v[115:116]
	v_fma_f64 v[103:104], v[99:100], v[97:98], -v[103:104]
	v_mul_f64 v[99:100], v[99:100], v[115:116]
	v_fma_f64 v[99:100], v[101:102], v[97:98], v[99:100]
	s_waitcnt vmcnt(2)
	v_add_f64 v[105:106], v[105:106], -v[103:104]
	s_waitcnt vmcnt(0)
	v_add_f64 v[107:108], v[107:108], -v[99:100]
	buffer_store_dword v105, off, s[20:23], 0 offset:48 ; 4-byte Folded Spill
	s_nop 0
	buffer_store_dword v106, off, s[20:23], 0 offset:52 ; 4-byte Folded Spill
	buffer_store_dword v107, off, s[20:23], 0 offset:56 ; 4-byte Folded Spill
	buffer_store_dword v108, off, s[20:23], 0 offset:60 ; 4-byte Folded Spill
	ds_read2_b64 v[99:102], v125 offset0:30 offset1:31
	s_waitcnt lgkmcnt(0)
	v_mul_f64 v[103:104], v[101:102], v[115:116]
	v_fma_f64 v[103:104], v[99:100], v[97:98], -v[103:104]
	v_mul_f64 v[99:100], v[99:100], v[115:116]
	v_add_f64 v[93:94], v[93:94], -v[103:104]
	v_fma_f64 v[99:100], v[101:102], v[97:98], v[99:100]
	v_add_f64 v[95:96], v[95:96], -v[99:100]
	ds_read2_b64 v[99:102], v125 offset0:32 offset1:33
	buffer_load_dword v77, off, s[20:23], 0 offset:16 ; 4-byte Folded Reload
	buffer_load_dword v78, off, s[20:23], 0 offset:20 ; 4-byte Folded Reload
	;; [unrolled: 1-line block ×4, first 2 shown]
	s_waitcnt lgkmcnt(0)
	v_mul_f64 v[103:104], v[101:102], v[115:116]
	v_fma_f64 v[103:104], v[99:100], v[97:98], -v[103:104]
	v_mul_f64 v[99:100], v[99:100], v[115:116]
	v_fma_f64 v[99:100], v[101:102], v[97:98], v[99:100]
	s_waitcnt vmcnt(2)
	v_add_f64 v[77:78], v[77:78], -v[103:104]
	s_waitcnt vmcnt(0)
	v_add_f64 v[79:80], v[79:80], -v[99:100]
	buffer_store_dword v77, off, s[20:23], 0 offset:16 ; 4-byte Folded Spill
	s_nop 0
	buffer_store_dword v78, off, s[20:23], 0 offset:20 ; 4-byte Folded Spill
	buffer_store_dword v79, off, s[20:23], 0 offset:24 ; 4-byte Folded Spill
	;; [unrolled: 1-line block ×3, first 2 shown]
	ds_read2_b64 v[99:102], v125 offset0:34 offset1:35
	buffer_load_dword v73, off, s[20:23], 0 ; 4-byte Folded Reload
	buffer_load_dword v74, off, s[20:23], 0 offset:4 ; 4-byte Folded Reload
	buffer_load_dword v75, off, s[20:23], 0 offset:8 ; 4-byte Folded Reload
	;; [unrolled: 1-line block ×3, first 2 shown]
	s_waitcnt lgkmcnt(0)
	v_mul_f64 v[103:104], v[101:102], v[115:116]
	v_fma_f64 v[103:104], v[99:100], v[97:98], -v[103:104]
	v_mul_f64 v[99:100], v[99:100], v[115:116]
	v_fma_f64 v[99:100], v[101:102], v[97:98], v[99:100]
	s_waitcnt vmcnt(2)
	v_add_f64 v[73:74], v[73:74], -v[103:104]
	s_waitcnt vmcnt(0)
	v_add_f64 v[75:76], v[75:76], -v[99:100]
	buffer_store_dword v73, off, s[20:23], 0 ; 4-byte Folded Spill
	s_nop 0
	buffer_store_dword v74, off, s[20:23], 0 offset:4 ; 4-byte Folded Spill
	buffer_store_dword v75, off, s[20:23], 0 offset:8 ; 4-byte Folded Spill
	;; [unrolled: 1-line block ×3, first 2 shown]
	ds_read2_b64 v[99:102], v125 offset0:36 offset1:37
	s_waitcnt lgkmcnt(0)
	v_mul_f64 v[103:104], v[101:102], v[115:116]
	v_fma_f64 v[103:104], v[99:100], v[97:98], -v[103:104]
	v_mul_f64 v[99:100], v[99:100], v[115:116]
	v_add_f64 v[69:70], v[69:70], -v[103:104]
	v_fma_f64 v[99:100], v[101:102], v[97:98], v[99:100]
	v_add_f64 v[71:72], v[71:72], -v[99:100]
	ds_read2_b64 v[99:102], v125 offset0:38 offset1:39
	s_waitcnt lgkmcnt(0)
	v_mul_f64 v[103:104], v[101:102], v[115:116]
	v_fma_f64 v[103:104], v[99:100], v[97:98], -v[103:104]
	v_mul_f64 v[99:100], v[99:100], v[115:116]
	v_add_f64 v[65:66], v[65:66], -v[103:104]
	v_fma_f64 v[99:100], v[101:102], v[97:98], v[99:100]
	v_add_f64 v[67:68], v[67:68], -v[99:100]
	;; [unrolled: 8-line block ×18, first 2 shown]
	ds_read2_b64 v[99:102], v125 offset0:72 offset1:73
	buffer_load_dword v73, off, s[20:23], 0 offset:32 ; 4-byte Folded Reload
	buffer_load_dword v74, off, s[20:23], 0 offset:36 ; 4-byte Folded Reload
	;; [unrolled: 1-line block ×4, first 2 shown]
	s_waitcnt lgkmcnt(0)
	v_mul_f64 v[103:104], v[101:102], v[115:116]
	v_fma_f64 v[103:104], v[99:100], v[97:98], -v[103:104]
	v_mul_f64 v[99:100], v[99:100], v[115:116]
	v_fma_f64 v[99:100], v[101:102], v[97:98], v[99:100]
	s_waitcnt vmcnt(2)
	v_add_f64 v[73:74], v[73:74], -v[103:104]
	s_waitcnt vmcnt(0)
	v_add_f64 v[75:76], v[75:76], -v[99:100]
	buffer_store_dword v73, off, s[20:23], 0 offset:32 ; 4-byte Folded Spill
	s_nop 0
	buffer_store_dword v74, off, s[20:23], 0 offset:36 ; 4-byte Folded Spill
	buffer_store_dword v75, off, s[20:23], 0 offset:40 ; 4-byte Folded Spill
	;; [unrolled: 1-line block ×4, first 2 shown]
	s_nop 0
	buffer_store_dword v114, off, s[20:23], 0 offset:164 ; 4-byte Folded Spill
	buffer_store_dword v115, off, s[20:23], 0 offset:168 ; 4-byte Folded Spill
	;; [unrolled: 1-line block ×3, first 2 shown]
.LBB73_19:
	s_or_b64 exec, exec, s[2:3]
	v_cmp_eq_u32_e32 vcc, 2, v0
	s_waitcnt vmcnt(0)
	s_barrier
	s_and_saveexec_b64 s[4:5], vcc
	s_cbranch_execz .LBB73_26
; %bb.20:
	buffer_load_dword v73, off, s[20:23], 0 offset:144 ; 4-byte Folded Reload
	buffer_load_dword v74, off, s[20:23], 0 offset:148 ; 4-byte Folded Reload
	;; [unrolled: 1-line block ×4, first 2 shown]
	s_waitcnt vmcnt(0)
	ds_write2_b64 v127, v[73:74], v[75:76] offset1:1
	buffer_load_dword v73, off, s[20:23], 0 offset:128 ; 4-byte Folded Reload
	buffer_load_dword v74, off, s[20:23], 0 offset:132 ; 4-byte Folded Reload
	buffer_load_dword v75, off, s[20:23], 0 offset:136 ; 4-byte Folded Reload
	buffer_load_dword v76, off, s[20:23], 0 offset:140 ; 4-byte Folded Reload
	s_waitcnt vmcnt(0)
	ds_write2_b64 v125, v[73:74], v[75:76] offset0:6 offset1:7
	buffer_load_dword v73, off, s[20:23], 0 offset:112 ; 4-byte Folded Reload
	buffer_load_dword v74, off, s[20:23], 0 offset:116 ; 4-byte Folded Reload
	buffer_load_dword v75, off, s[20:23], 0 offset:120 ; 4-byte Folded Reload
	buffer_load_dword v76, off, s[20:23], 0 offset:124 ; 4-byte Folded Reload
	s_waitcnt vmcnt(0)
	ds_write2_b64 v125, v[73:74], v[75:76] offset0:8 offset1:9
	;; [unrolled: 6-line block ×4, first 2 shown]
	ds_write2_b64 v125, v[89:90], v[91:92] offset0:14 offset1:15
	ds_write2_b64 v125, v[85:86], v[87:88] offset0:16 offset1:17
	buffer_load_dword v73, off, s[20:23], 0 offset:64 ; 4-byte Folded Reload
	buffer_load_dword v74, off, s[20:23], 0 offset:68 ; 4-byte Folded Reload
	;; [unrolled: 1-line block ×4, first 2 shown]
	s_waitcnt vmcnt(0)
	ds_write2_b64 v125, v[73:74], v[75:76] offset0:18 offset1:19
	ds_write2_b64 v125, v[81:82], v[83:84] offset0:20 offset1:21
	;; [unrolled: 1-line block ×5, first 2 shown]
	buffer_load_dword v97, off, s[20:23], 0 offset:48 ; 4-byte Folded Reload
	buffer_load_dword v98, off, s[20:23], 0 offset:52 ; 4-byte Folded Reload
	;; [unrolled: 1-line block ×4, first 2 shown]
	s_waitcnt vmcnt(0)
	ds_write2_b64 v125, v[97:98], v[99:100] offset0:28 offset1:29
	ds_write2_b64 v125, v[93:94], v[95:96] offset0:30 offset1:31
	buffer_load_dword v77, off, s[20:23], 0 offset:16 ; 4-byte Folded Reload
	buffer_load_dword v78, off, s[20:23], 0 offset:20 ; 4-byte Folded Reload
	buffer_load_dword v79, off, s[20:23], 0 offset:24 ; 4-byte Folded Reload
	buffer_load_dword v80, off, s[20:23], 0 offset:28 ; 4-byte Folded Reload
	s_waitcnt vmcnt(0)
	ds_write2_b64 v125, v[77:78], v[79:80] offset0:32 offset1:33
	buffer_load_dword v73, off, s[20:23], 0 ; 4-byte Folded Reload
	buffer_load_dword v74, off, s[20:23], 0 offset:4 ; 4-byte Folded Reload
	buffer_load_dword v75, off, s[20:23], 0 offset:8 ; 4-byte Folded Reload
	;; [unrolled: 1-line block ×3, first 2 shown]
	s_waitcnt vmcnt(0)
	ds_write2_b64 v125, v[73:74], v[75:76] offset0:34 offset1:35
	ds_write2_b64 v125, v[69:70], v[71:72] offset0:36 offset1:37
	ds_write2_b64 v125, v[65:66], v[67:68] offset0:38 offset1:39
	ds_write2_b64 v125, v[61:62], v[63:64] offset0:40 offset1:41
	ds_write2_b64 v125, v[57:58], v[59:60] offset0:42 offset1:43
	ds_write2_b64 v125, v[53:54], v[55:56] offset0:44 offset1:45
	ds_write2_b64 v125, v[49:50], v[51:52] offset0:46 offset1:47
	ds_write2_b64 v125, v[45:46], v[47:48] offset0:48 offset1:49
	ds_write2_b64 v125, v[41:42], v[43:44] offset0:50 offset1:51
	ds_write2_b64 v125, v[37:38], v[39:40] offset0:52 offset1:53
	ds_write2_b64 v125, v[33:34], v[35:36] offset0:54 offset1:55
	ds_write2_b64 v125, v[29:30], v[31:32] offset0:56 offset1:57
	ds_write2_b64 v125, v[25:26], v[27:28] offset0:58 offset1:59
	ds_write2_b64 v125, v[21:22], v[23:24] offset0:60 offset1:61
	ds_write2_b64 v125, v[17:18], v[19:20] offset0:62 offset1:63
	ds_write2_b64 v125, v[13:14], v[15:16] offset0:64 offset1:65
	ds_write2_b64 v125, v[9:10], v[11:12] offset0:66 offset1:67
	ds_write2_b64 v125, v[5:6], v[7:8] offset0:68 offset1:69
	ds_write2_b64 v125, v[1:2], v[3:4] offset0:70 offset1:71
	buffer_load_dword v73, off, s[20:23], 0 offset:32 ; 4-byte Folded Reload
	buffer_load_dword v74, off, s[20:23], 0 offset:36 ; 4-byte Folded Reload
	buffer_load_dword v75, off, s[20:23], 0 offset:40 ; 4-byte Folded Reload
	buffer_load_dword v76, off, s[20:23], 0 offset:44 ; 4-byte Folded Reload
	s_waitcnt vmcnt(0)
	ds_write2_b64 v125, v[73:74], v[75:76] offset0:72 offset1:73
	ds_read2_b64 v[97:100], v127 offset1:1
	s_waitcnt lgkmcnt(0)
	v_cmp_neq_f64_e32 vcc, 0, v[97:98]
	v_cmp_neq_f64_e64 s[2:3], 0, v[99:100]
	s_or_b64 s[2:3], vcc, s[2:3]
	s_and_b64 exec, exec, s[2:3]
	s_cbranch_execz .LBB73_26
; %bb.21:
	v_cmp_ngt_f64_e64 s[2:3], |v[97:98]|, |v[99:100]|
                                        ; implicit-def: $vgpr101_vgpr102
	s_and_saveexec_b64 s[6:7], s[2:3]
	s_xor_b64 s[2:3], exec, s[6:7]
                                        ; implicit-def: $vgpr103_vgpr104
	s_cbranch_execz .LBB73_23
; %bb.22:
	v_div_scale_f64 v[101:102], s[6:7], v[99:100], v[99:100], v[97:98]
	v_rcp_f64_e32 v[103:104], v[101:102]
	v_fma_f64 v[105:106], -v[101:102], v[103:104], 1.0
	v_fma_f64 v[103:104], v[103:104], v[105:106], v[103:104]
	v_div_scale_f64 v[105:106], vcc, v[97:98], v[99:100], v[97:98]
	v_fma_f64 v[107:108], -v[101:102], v[103:104], 1.0
	v_fma_f64 v[103:104], v[103:104], v[107:108], v[103:104]
	v_mul_f64 v[107:108], v[105:106], v[103:104]
	v_fma_f64 v[101:102], -v[101:102], v[107:108], v[105:106]
	v_div_fmas_f64 v[101:102], v[101:102], v[103:104], v[107:108]
	v_div_fixup_f64 v[101:102], v[101:102], v[99:100], v[97:98]
	v_fma_f64 v[97:98], v[97:98], v[101:102], v[99:100]
	v_div_scale_f64 v[99:100], s[6:7], v[97:98], v[97:98], 1.0
	v_div_scale_f64 v[107:108], vcc, 1.0, v[97:98], 1.0
	v_rcp_f64_e32 v[103:104], v[99:100]
	v_fma_f64 v[105:106], -v[99:100], v[103:104], 1.0
	v_fma_f64 v[103:104], v[103:104], v[105:106], v[103:104]
	v_fma_f64 v[105:106], -v[99:100], v[103:104], 1.0
	v_fma_f64 v[103:104], v[103:104], v[105:106], v[103:104]
	v_mul_f64 v[105:106], v[107:108], v[103:104]
	v_fma_f64 v[99:100], -v[99:100], v[105:106], v[107:108]
	v_div_fmas_f64 v[99:100], v[99:100], v[103:104], v[105:106]
	v_div_fixup_f64 v[103:104], v[99:100], v[97:98], 1.0
                                        ; implicit-def: $vgpr97_vgpr98
	v_mul_f64 v[101:102], v[101:102], v[103:104]
	v_xor_b32_e32 v104, 0x80000000, v104
.LBB73_23:
	s_andn2_saveexec_b64 s[2:3], s[2:3]
	s_cbranch_execz .LBB73_25
; %bb.24:
	v_div_scale_f64 v[101:102], s[6:7], v[97:98], v[97:98], v[99:100]
	v_rcp_f64_e32 v[103:104], v[101:102]
	v_fma_f64 v[105:106], -v[101:102], v[103:104], 1.0
	v_fma_f64 v[103:104], v[103:104], v[105:106], v[103:104]
	v_div_scale_f64 v[105:106], vcc, v[99:100], v[97:98], v[99:100]
	v_fma_f64 v[107:108], -v[101:102], v[103:104], 1.0
	v_fma_f64 v[103:104], v[103:104], v[107:108], v[103:104]
	v_mul_f64 v[107:108], v[105:106], v[103:104]
	v_fma_f64 v[101:102], -v[101:102], v[107:108], v[105:106]
	v_div_fmas_f64 v[101:102], v[101:102], v[103:104], v[107:108]
	v_div_fixup_f64 v[103:104], v[101:102], v[97:98], v[99:100]
	v_fma_f64 v[97:98], v[99:100], v[103:104], v[97:98]
	v_div_scale_f64 v[99:100], s[6:7], v[97:98], v[97:98], 1.0
	v_div_scale_f64 v[107:108], vcc, 1.0, v[97:98], 1.0
	v_rcp_f64_e32 v[101:102], v[99:100]
	v_fma_f64 v[105:106], -v[99:100], v[101:102], 1.0
	v_fma_f64 v[101:102], v[101:102], v[105:106], v[101:102]
	v_fma_f64 v[105:106], -v[99:100], v[101:102], 1.0
	v_fma_f64 v[101:102], v[101:102], v[105:106], v[101:102]
	v_mul_f64 v[105:106], v[107:108], v[101:102]
	v_fma_f64 v[99:100], -v[99:100], v[105:106], v[107:108]
	v_div_fmas_f64 v[99:100], v[99:100], v[101:102], v[105:106]
	v_div_fixup_f64 v[101:102], v[99:100], v[97:98], 1.0
	v_mul_f64 v[103:104], v[103:104], -v[101:102]
.LBB73_25:
	s_or_b64 exec, exec, s[2:3]
	ds_write2_b64 v127, v[101:102], v[103:104] offset1:1
.LBB73_26:
	s_or_b64 exec, exec, s[4:5]
	s_waitcnt lgkmcnt(0)
	s_barrier
	ds_read2_b64 v[73:76], v127 offset1:1
	v_cmp_lt_u32_e32 vcc, 2, v0
	s_waitcnt lgkmcnt(0)
	buffer_store_dword v73, off, s[20:23], 0 offset:568 ; 4-byte Folded Spill
	s_nop 0
	buffer_store_dword v74, off, s[20:23], 0 offset:572 ; 4-byte Folded Spill
	buffer_store_dword v75, off, s[20:23], 0 offset:576 ; 4-byte Folded Spill
	;; [unrolled: 1-line block ×3, first 2 shown]
	s_and_saveexec_b64 s[2:3], vcc
	s_cbranch_execz .LBB73_28
; %bb.27:
	buffer_load_dword v113, off, s[20:23], 0 offset:144 ; 4-byte Folded Reload
	buffer_load_dword v114, off, s[20:23], 0 offset:148 ; 4-byte Folded Reload
	;; [unrolled: 1-line block ×8, first 2 shown]
	s_waitcnt vmcnt(2)
	v_mul_f64 v[99:100], v[73:74], v[115:116]
	s_waitcnt vmcnt(0)
	v_mul_f64 v[97:98], v[75:76], v[115:116]
	v_fma_f64 v[115:116], v[75:76], v[113:114], v[99:100]
	ds_read2_b64 v[99:102], v125 offset0:6 offset1:7
	v_fma_f64 v[97:98], v[73:74], v[113:114], -v[97:98]
	buffer_load_dword v73, off, s[20:23], 0 offset:128 ; 4-byte Folded Reload
	buffer_load_dword v74, off, s[20:23], 0 offset:132 ; 4-byte Folded Reload
	;; [unrolled: 1-line block ×4, first 2 shown]
	s_waitcnt lgkmcnt(0)
	v_mul_f64 v[103:104], v[101:102], v[115:116]
	v_mov_b32_e32 v114, v98
	v_mov_b32_e32 v113, v97
	v_fma_f64 v[103:104], v[99:100], v[97:98], -v[103:104]
	v_mul_f64 v[99:100], v[99:100], v[115:116]
	v_fma_f64 v[99:100], v[101:102], v[97:98], v[99:100]
	s_waitcnt vmcnt(2)
	v_add_f64 v[73:74], v[73:74], -v[103:104]
	s_waitcnt vmcnt(0)
	v_add_f64 v[75:76], v[75:76], -v[99:100]
	buffer_store_dword v73, off, s[20:23], 0 offset:128 ; 4-byte Folded Spill
	s_nop 0
	buffer_store_dword v74, off, s[20:23], 0 offset:132 ; 4-byte Folded Spill
	buffer_store_dword v75, off, s[20:23], 0 offset:136 ; 4-byte Folded Spill
	buffer_store_dword v76, off, s[20:23], 0 offset:140 ; 4-byte Folded Spill
	ds_read2_b64 v[99:102], v125 offset0:8 offset1:9
	buffer_load_dword v73, off, s[20:23], 0 offset:112 ; 4-byte Folded Reload
	buffer_load_dword v74, off, s[20:23], 0 offset:116 ; 4-byte Folded Reload
	buffer_load_dword v75, off, s[20:23], 0 offset:120 ; 4-byte Folded Reload
	buffer_load_dword v76, off, s[20:23], 0 offset:124 ; 4-byte Folded Reload
	s_waitcnt lgkmcnt(0)
	v_mul_f64 v[103:104], v[101:102], v[115:116]
	v_fma_f64 v[103:104], v[99:100], v[97:98], -v[103:104]
	v_mul_f64 v[99:100], v[99:100], v[115:116]
	v_fma_f64 v[99:100], v[101:102], v[97:98], v[99:100]
	s_waitcnt vmcnt(2)
	v_add_f64 v[73:74], v[73:74], -v[103:104]
	s_waitcnt vmcnt(0)
	v_add_f64 v[75:76], v[75:76], -v[99:100]
	buffer_store_dword v73, off, s[20:23], 0 offset:112 ; 4-byte Folded Spill
	s_nop 0
	buffer_store_dword v74, off, s[20:23], 0 offset:116 ; 4-byte Folded Spill
	buffer_store_dword v75, off, s[20:23], 0 offset:120 ; 4-byte Folded Spill
	buffer_store_dword v76, off, s[20:23], 0 offset:124 ; 4-byte Folded Spill
	ds_read2_b64 v[99:102], v125 offset0:10 offset1:11
	buffer_load_dword v73, off, s[20:23], 0 offset:96 ; 4-byte Folded Reload
	buffer_load_dword v74, off, s[20:23], 0 offset:100 ; 4-byte Folded Reload
	buffer_load_dword v75, off, s[20:23], 0 offset:104 ; 4-byte Folded Reload
	buffer_load_dword v76, off, s[20:23], 0 offset:108 ; 4-byte Folded Reload
	s_waitcnt lgkmcnt(0)
	v_mul_f64 v[103:104], v[101:102], v[115:116]
	;; [unrolled: 19-line block ×3, first 2 shown]
	v_fma_f64 v[103:104], v[99:100], v[97:98], -v[103:104]
	v_mul_f64 v[99:100], v[99:100], v[115:116]
	v_fma_f64 v[99:100], v[101:102], v[97:98], v[99:100]
	s_waitcnt vmcnt(2)
	v_add_f64 v[73:74], v[73:74], -v[103:104]
	s_waitcnt vmcnt(0)
	v_add_f64 v[75:76], v[75:76], -v[99:100]
	buffer_store_dword v73, off, s[20:23], 0 offset:80 ; 4-byte Folded Spill
	s_nop 0
	buffer_store_dword v74, off, s[20:23], 0 offset:84 ; 4-byte Folded Spill
	buffer_store_dword v75, off, s[20:23], 0 offset:88 ; 4-byte Folded Spill
	;; [unrolled: 1-line block ×3, first 2 shown]
	ds_read2_b64 v[99:102], v125 offset0:14 offset1:15
	s_waitcnt lgkmcnt(0)
	v_mul_f64 v[103:104], v[101:102], v[115:116]
	v_fma_f64 v[103:104], v[99:100], v[97:98], -v[103:104]
	v_mul_f64 v[99:100], v[99:100], v[115:116]
	v_add_f64 v[89:90], v[89:90], -v[103:104]
	v_fma_f64 v[99:100], v[101:102], v[97:98], v[99:100]
	v_add_f64 v[91:92], v[91:92], -v[99:100]
	ds_read2_b64 v[99:102], v125 offset0:16 offset1:17
	s_waitcnt lgkmcnt(0)
	v_mul_f64 v[103:104], v[101:102], v[115:116]
	v_fma_f64 v[103:104], v[99:100], v[97:98], -v[103:104]
	v_mul_f64 v[99:100], v[99:100], v[115:116]
	v_add_f64 v[85:86], v[85:86], -v[103:104]
	v_fma_f64 v[99:100], v[101:102], v[97:98], v[99:100]
	v_add_f64 v[87:88], v[87:88], -v[99:100]
	ds_read2_b64 v[99:102], v125 offset0:18 offset1:19
	buffer_load_dword v73, off, s[20:23], 0 offset:64 ; 4-byte Folded Reload
	buffer_load_dword v74, off, s[20:23], 0 offset:68 ; 4-byte Folded Reload
	;; [unrolled: 1-line block ×4, first 2 shown]
	s_waitcnt lgkmcnt(0)
	v_mul_f64 v[103:104], v[101:102], v[115:116]
	v_fma_f64 v[103:104], v[99:100], v[97:98], -v[103:104]
	v_mul_f64 v[99:100], v[99:100], v[115:116]
	v_fma_f64 v[99:100], v[101:102], v[97:98], v[99:100]
	s_waitcnt vmcnt(2)
	v_add_f64 v[73:74], v[73:74], -v[103:104]
	s_waitcnt vmcnt(0)
	v_add_f64 v[75:76], v[75:76], -v[99:100]
	buffer_store_dword v73, off, s[20:23], 0 offset:64 ; 4-byte Folded Spill
	s_nop 0
	buffer_store_dword v74, off, s[20:23], 0 offset:68 ; 4-byte Folded Spill
	buffer_store_dword v75, off, s[20:23], 0 offset:72 ; 4-byte Folded Spill
	;; [unrolled: 1-line block ×3, first 2 shown]
	ds_read2_b64 v[99:102], v125 offset0:20 offset1:21
	s_waitcnt lgkmcnt(0)
	v_mul_f64 v[103:104], v[101:102], v[115:116]
	v_fma_f64 v[103:104], v[99:100], v[97:98], -v[103:104]
	v_mul_f64 v[99:100], v[99:100], v[115:116]
	v_add_f64 v[81:82], v[81:82], -v[103:104]
	v_fma_f64 v[99:100], v[101:102], v[97:98], v[99:100]
	v_add_f64 v[83:84], v[83:84], -v[99:100]
	ds_read2_b64 v[99:102], v125 offset0:22 offset1:23
	s_waitcnt lgkmcnt(0)
	v_mul_f64 v[103:104], v[101:102], v[115:116]
	v_fma_f64 v[103:104], v[99:100], v[97:98], -v[103:104]
	v_mul_f64 v[99:100], v[99:100], v[115:116]
	v_add_f64 v[121:122], v[121:122], -v[103:104]
	v_fma_f64 v[99:100], v[101:102], v[97:98], v[99:100]
	v_add_f64 v[123:124], v[123:124], -v[99:100]
	;; [unrolled: 8-line block ×4, first 2 shown]
	ds_read2_b64 v[99:102], v125 offset0:28 offset1:29
	buffer_load_dword v105, off, s[20:23], 0 offset:48 ; 4-byte Folded Reload
	buffer_load_dword v106, off, s[20:23], 0 offset:52 ; 4-byte Folded Reload
	buffer_load_dword v107, off, s[20:23], 0 offset:56 ; 4-byte Folded Reload
	buffer_load_dword v108, off, s[20:23], 0 offset:60 ; 4-byte Folded Reload
	s_waitcnt lgkmcnt(0)
	v_mul_f64 v[103:104], v[101:102], v[115:116]
	v_fma_f64 v[103:104], v[99:100], v[97:98], -v[103:104]
	v_mul_f64 v[99:100], v[99:100], v[115:116]
	v_fma_f64 v[99:100], v[101:102], v[97:98], v[99:100]
	s_waitcnt vmcnt(2)
	v_add_f64 v[105:106], v[105:106], -v[103:104]
	s_waitcnt vmcnt(0)
	v_add_f64 v[107:108], v[107:108], -v[99:100]
	buffer_store_dword v105, off, s[20:23], 0 offset:48 ; 4-byte Folded Spill
	s_nop 0
	buffer_store_dword v106, off, s[20:23], 0 offset:52 ; 4-byte Folded Spill
	buffer_store_dword v107, off, s[20:23], 0 offset:56 ; 4-byte Folded Spill
	;; [unrolled: 1-line block ×3, first 2 shown]
	ds_read2_b64 v[99:102], v125 offset0:30 offset1:31
	s_waitcnt lgkmcnt(0)
	v_mul_f64 v[103:104], v[101:102], v[115:116]
	v_fma_f64 v[103:104], v[99:100], v[97:98], -v[103:104]
	v_mul_f64 v[99:100], v[99:100], v[115:116]
	v_add_f64 v[93:94], v[93:94], -v[103:104]
	v_fma_f64 v[99:100], v[101:102], v[97:98], v[99:100]
	v_add_f64 v[95:96], v[95:96], -v[99:100]
	ds_read2_b64 v[99:102], v125 offset0:32 offset1:33
	buffer_load_dword v77, off, s[20:23], 0 offset:16 ; 4-byte Folded Reload
	buffer_load_dword v78, off, s[20:23], 0 offset:20 ; 4-byte Folded Reload
	;; [unrolled: 1-line block ×4, first 2 shown]
	s_waitcnt lgkmcnt(0)
	v_mul_f64 v[103:104], v[101:102], v[115:116]
	v_fma_f64 v[103:104], v[99:100], v[97:98], -v[103:104]
	v_mul_f64 v[99:100], v[99:100], v[115:116]
	v_fma_f64 v[99:100], v[101:102], v[97:98], v[99:100]
	s_waitcnt vmcnt(2)
	v_add_f64 v[77:78], v[77:78], -v[103:104]
	s_waitcnt vmcnt(0)
	v_add_f64 v[79:80], v[79:80], -v[99:100]
	buffer_store_dword v77, off, s[20:23], 0 offset:16 ; 4-byte Folded Spill
	s_nop 0
	buffer_store_dword v78, off, s[20:23], 0 offset:20 ; 4-byte Folded Spill
	buffer_store_dword v79, off, s[20:23], 0 offset:24 ; 4-byte Folded Spill
	;; [unrolled: 1-line block ×3, first 2 shown]
	ds_read2_b64 v[99:102], v125 offset0:34 offset1:35
	buffer_load_dword v73, off, s[20:23], 0 ; 4-byte Folded Reload
	buffer_load_dword v74, off, s[20:23], 0 offset:4 ; 4-byte Folded Reload
	buffer_load_dword v75, off, s[20:23], 0 offset:8 ; 4-byte Folded Reload
	;; [unrolled: 1-line block ×3, first 2 shown]
	s_waitcnt lgkmcnt(0)
	v_mul_f64 v[103:104], v[101:102], v[115:116]
	v_fma_f64 v[103:104], v[99:100], v[97:98], -v[103:104]
	v_mul_f64 v[99:100], v[99:100], v[115:116]
	v_fma_f64 v[99:100], v[101:102], v[97:98], v[99:100]
	s_waitcnt vmcnt(2)
	v_add_f64 v[73:74], v[73:74], -v[103:104]
	s_waitcnt vmcnt(0)
	v_add_f64 v[75:76], v[75:76], -v[99:100]
	buffer_store_dword v73, off, s[20:23], 0 ; 4-byte Folded Spill
	s_nop 0
	buffer_store_dword v74, off, s[20:23], 0 offset:4 ; 4-byte Folded Spill
	buffer_store_dword v75, off, s[20:23], 0 offset:8 ; 4-byte Folded Spill
	;; [unrolled: 1-line block ×3, first 2 shown]
	ds_read2_b64 v[99:102], v125 offset0:36 offset1:37
	s_waitcnt lgkmcnt(0)
	v_mul_f64 v[103:104], v[101:102], v[115:116]
	v_fma_f64 v[103:104], v[99:100], v[97:98], -v[103:104]
	v_mul_f64 v[99:100], v[99:100], v[115:116]
	v_add_f64 v[69:70], v[69:70], -v[103:104]
	v_fma_f64 v[99:100], v[101:102], v[97:98], v[99:100]
	v_add_f64 v[71:72], v[71:72], -v[99:100]
	ds_read2_b64 v[99:102], v125 offset0:38 offset1:39
	s_waitcnt lgkmcnt(0)
	v_mul_f64 v[103:104], v[101:102], v[115:116]
	v_fma_f64 v[103:104], v[99:100], v[97:98], -v[103:104]
	v_mul_f64 v[99:100], v[99:100], v[115:116]
	v_add_f64 v[65:66], v[65:66], -v[103:104]
	v_fma_f64 v[99:100], v[101:102], v[97:98], v[99:100]
	v_add_f64 v[67:68], v[67:68], -v[99:100]
	;; [unrolled: 8-line block ×18, first 2 shown]
	ds_read2_b64 v[99:102], v125 offset0:72 offset1:73
	buffer_load_dword v73, off, s[20:23], 0 offset:32 ; 4-byte Folded Reload
	buffer_load_dword v74, off, s[20:23], 0 offset:36 ; 4-byte Folded Reload
	;; [unrolled: 1-line block ×4, first 2 shown]
	s_waitcnt lgkmcnt(0)
	v_mul_f64 v[103:104], v[101:102], v[115:116]
	v_fma_f64 v[103:104], v[99:100], v[97:98], -v[103:104]
	v_mul_f64 v[99:100], v[99:100], v[115:116]
	v_fma_f64 v[99:100], v[101:102], v[97:98], v[99:100]
	s_waitcnt vmcnt(2)
	v_add_f64 v[73:74], v[73:74], -v[103:104]
	s_waitcnt vmcnt(0)
	v_add_f64 v[75:76], v[75:76], -v[99:100]
	buffer_store_dword v73, off, s[20:23], 0 offset:32 ; 4-byte Folded Spill
	s_nop 0
	buffer_store_dword v74, off, s[20:23], 0 offset:36 ; 4-byte Folded Spill
	buffer_store_dword v75, off, s[20:23], 0 offset:40 ; 4-byte Folded Spill
	;; [unrolled: 1-line block ×4, first 2 shown]
	s_nop 0
	buffer_store_dword v114, off, s[20:23], 0 offset:148 ; 4-byte Folded Spill
	buffer_store_dword v115, off, s[20:23], 0 offset:152 ; 4-byte Folded Spill
	;; [unrolled: 1-line block ×3, first 2 shown]
.LBB73_28:
	s_or_b64 exec, exec, s[2:3]
	v_cmp_eq_u32_e32 vcc, 3, v0
	s_waitcnt vmcnt(0)
	s_barrier
	s_and_saveexec_b64 s[4:5], vcc
	s_cbranch_execz .LBB73_35
; %bb.29:
	buffer_load_dword v73, off, s[20:23], 0 offset:128 ; 4-byte Folded Reload
	buffer_load_dword v74, off, s[20:23], 0 offset:132 ; 4-byte Folded Reload
	;; [unrolled: 1-line block ×4, first 2 shown]
	s_waitcnt vmcnt(0)
	ds_write2_b64 v127, v[73:74], v[75:76] offset1:1
	buffer_load_dword v73, off, s[20:23], 0 offset:112 ; 4-byte Folded Reload
	buffer_load_dword v74, off, s[20:23], 0 offset:116 ; 4-byte Folded Reload
	buffer_load_dword v75, off, s[20:23], 0 offset:120 ; 4-byte Folded Reload
	buffer_load_dword v76, off, s[20:23], 0 offset:124 ; 4-byte Folded Reload
	s_waitcnt vmcnt(0)
	ds_write2_b64 v125, v[73:74], v[75:76] offset0:8 offset1:9
	buffer_load_dword v73, off, s[20:23], 0 offset:96 ; 4-byte Folded Reload
	buffer_load_dword v74, off, s[20:23], 0 offset:100 ; 4-byte Folded Reload
	buffer_load_dword v75, off, s[20:23], 0 offset:104 ; 4-byte Folded Reload
	buffer_load_dword v76, off, s[20:23], 0 offset:108 ; 4-byte Folded Reload
	s_waitcnt vmcnt(0)
	ds_write2_b64 v125, v[73:74], v[75:76] offset0:10 offset1:11
	;; [unrolled: 6-line block ×3, first 2 shown]
	ds_write2_b64 v125, v[89:90], v[91:92] offset0:14 offset1:15
	ds_write2_b64 v125, v[85:86], v[87:88] offset0:16 offset1:17
	buffer_load_dword v73, off, s[20:23], 0 offset:64 ; 4-byte Folded Reload
	buffer_load_dword v74, off, s[20:23], 0 offset:68 ; 4-byte Folded Reload
	;; [unrolled: 1-line block ×4, first 2 shown]
	s_waitcnt vmcnt(0)
	ds_write2_b64 v125, v[73:74], v[75:76] offset0:18 offset1:19
	ds_write2_b64 v125, v[81:82], v[83:84] offset0:20 offset1:21
	ds_write2_b64 v125, v[121:122], v[123:124] offset0:22 offset1:23
	ds_write2_b64 v125, v[117:118], v[119:120] offset0:24 offset1:25
	ds_write2_b64 v125, v[109:110], v[111:112] offset0:26 offset1:27
	buffer_load_dword v97, off, s[20:23], 0 offset:48 ; 4-byte Folded Reload
	buffer_load_dword v98, off, s[20:23], 0 offset:52 ; 4-byte Folded Reload
	;; [unrolled: 1-line block ×4, first 2 shown]
	s_waitcnt vmcnt(0)
	ds_write2_b64 v125, v[97:98], v[99:100] offset0:28 offset1:29
	ds_write2_b64 v125, v[93:94], v[95:96] offset0:30 offset1:31
	buffer_load_dword v77, off, s[20:23], 0 offset:16 ; 4-byte Folded Reload
	buffer_load_dword v78, off, s[20:23], 0 offset:20 ; 4-byte Folded Reload
	;; [unrolled: 1-line block ×4, first 2 shown]
	s_waitcnt vmcnt(0)
	ds_write2_b64 v125, v[77:78], v[79:80] offset0:32 offset1:33
	buffer_load_dword v73, off, s[20:23], 0 ; 4-byte Folded Reload
	buffer_load_dword v74, off, s[20:23], 0 offset:4 ; 4-byte Folded Reload
	buffer_load_dword v75, off, s[20:23], 0 offset:8 ; 4-byte Folded Reload
	;; [unrolled: 1-line block ×3, first 2 shown]
	s_waitcnt vmcnt(0)
	ds_write2_b64 v125, v[73:74], v[75:76] offset0:34 offset1:35
	ds_write2_b64 v125, v[69:70], v[71:72] offset0:36 offset1:37
	;; [unrolled: 1-line block ×19, first 2 shown]
	buffer_load_dword v73, off, s[20:23], 0 offset:32 ; 4-byte Folded Reload
	buffer_load_dword v74, off, s[20:23], 0 offset:36 ; 4-byte Folded Reload
	buffer_load_dword v75, off, s[20:23], 0 offset:40 ; 4-byte Folded Reload
	buffer_load_dword v76, off, s[20:23], 0 offset:44 ; 4-byte Folded Reload
	s_waitcnt vmcnt(0)
	ds_write2_b64 v125, v[73:74], v[75:76] offset0:72 offset1:73
	ds_read2_b64 v[97:100], v127 offset1:1
	s_waitcnt lgkmcnt(0)
	v_cmp_neq_f64_e32 vcc, 0, v[97:98]
	v_cmp_neq_f64_e64 s[2:3], 0, v[99:100]
	s_or_b64 s[2:3], vcc, s[2:3]
	s_and_b64 exec, exec, s[2:3]
	s_cbranch_execz .LBB73_35
; %bb.30:
	v_cmp_ngt_f64_e64 s[2:3], |v[97:98]|, |v[99:100]|
                                        ; implicit-def: $vgpr101_vgpr102
	s_and_saveexec_b64 s[6:7], s[2:3]
	s_xor_b64 s[2:3], exec, s[6:7]
                                        ; implicit-def: $vgpr103_vgpr104
	s_cbranch_execz .LBB73_32
; %bb.31:
	v_div_scale_f64 v[101:102], s[6:7], v[99:100], v[99:100], v[97:98]
	v_rcp_f64_e32 v[103:104], v[101:102]
	v_fma_f64 v[105:106], -v[101:102], v[103:104], 1.0
	v_fma_f64 v[103:104], v[103:104], v[105:106], v[103:104]
	v_div_scale_f64 v[105:106], vcc, v[97:98], v[99:100], v[97:98]
	v_fma_f64 v[107:108], -v[101:102], v[103:104], 1.0
	v_fma_f64 v[103:104], v[103:104], v[107:108], v[103:104]
	v_mul_f64 v[107:108], v[105:106], v[103:104]
	v_fma_f64 v[101:102], -v[101:102], v[107:108], v[105:106]
	v_div_fmas_f64 v[101:102], v[101:102], v[103:104], v[107:108]
	v_div_fixup_f64 v[101:102], v[101:102], v[99:100], v[97:98]
	v_fma_f64 v[97:98], v[97:98], v[101:102], v[99:100]
	v_div_scale_f64 v[99:100], s[6:7], v[97:98], v[97:98], 1.0
	v_div_scale_f64 v[107:108], vcc, 1.0, v[97:98], 1.0
	v_rcp_f64_e32 v[103:104], v[99:100]
	v_fma_f64 v[105:106], -v[99:100], v[103:104], 1.0
	v_fma_f64 v[103:104], v[103:104], v[105:106], v[103:104]
	v_fma_f64 v[105:106], -v[99:100], v[103:104], 1.0
	v_fma_f64 v[103:104], v[103:104], v[105:106], v[103:104]
	v_mul_f64 v[105:106], v[107:108], v[103:104]
	v_fma_f64 v[99:100], -v[99:100], v[105:106], v[107:108]
	v_div_fmas_f64 v[99:100], v[99:100], v[103:104], v[105:106]
	v_div_fixup_f64 v[103:104], v[99:100], v[97:98], 1.0
                                        ; implicit-def: $vgpr97_vgpr98
	v_mul_f64 v[101:102], v[101:102], v[103:104]
	v_xor_b32_e32 v104, 0x80000000, v104
.LBB73_32:
	s_andn2_saveexec_b64 s[2:3], s[2:3]
	s_cbranch_execz .LBB73_34
; %bb.33:
	v_div_scale_f64 v[101:102], s[6:7], v[97:98], v[97:98], v[99:100]
	v_rcp_f64_e32 v[103:104], v[101:102]
	v_fma_f64 v[105:106], -v[101:102], v[103:104], 1.0
	v_fma_f64 v[103:104], v[103:104], v[105:106], v[103:104]
	v_div_scale_f64 v[105:106], vcc, v[99:100], v[97:98], v[99:100]
	v_fma_f64 v[107:108], -v[101:102], v[103:104], 1.0
	v_fma_f64 v[103:104], v[103:104], v[107:108], v[103:104]
	v_mul_f64 v[107:108], v[105:106], v[103:104]
	v_fma_f64 v[101:102], -v[101:102], v[107:108], v[105:106]
	v_div_fmas_f64 v[101:102], v[101:102], v[103:104], v[107:108]
	v_div_fixup_f64 v[103:104], v[101:102], v[97:98], v[99:100]
	v_fma_f64 v[97:98], v[99:100], v[103:104], v[97:98]
	v_div_scale_f64 v[99:100], s[6:7], v[97:98], v[97:98], 1.0
	v_div_scale_f64 v[107:108], vcc, 1.0, v[97:98], 1.0
	v_rcp_f64_e32 v[101:102], v[99:100]
	v_fma_f64 v[105:106], -v[99:100], v[101:102], 1.0
	v_fma_f64 v[101:102], v[101:102], v[105:106], v[101:102]
	v_fma_f64 v[105:106], -v[99:100], v[101:102], 1.0
	v_fma_f64 v[101:102], v[101:102], v[105:106], v[101:102]
	v_mul_f64 v[105:106], v[107:108], v[101:102]
	v_fma_f64 v[99:100], -v[99:100], v[105:106], v[107:108]
	v_div_fmas_f64 v[99:100], v[99:100], v[101:102], v[105:106]
	v_div_fixup_f64 v[101:102], v[99:100], v[97:98], 1.0
	v_mul_f64 v[103:104], v[103:104], -v[101:102]
.LBB73_34:
	s_or_b64 exec, exec, s[2:3]
	ds_write2_b64 v127, v[101:102], v[103:104] offset1:1
.LBB73_35:
	s_or_b64 exec, exec, s[4:5]
	s_waitcnt lgkmcnt(0)
	s_barrier
	ds_read2_b64 v[73:76], v127 offset1:1
	v_cmp_lt_u32_e32 vcc, 3, v0
	s_waitcnt lgkmcnt(0)
	buffer_store_dword v73, off, s[20:23], 0 offset:584 ; 4-byte Folded Spill
	s_nop 0
	buffer_store_dword v74, off, s[20:23], 0 offset:588 ; 4-byte Folded Spill
	buffer_store_dword v75, off, s[20:23], 0 offset:592 ; 4-byte Folded Spill
	;; [unrolled: 1-line block ×3, first 2 shown]
	s_and_saveexec_b64 s[2:3], vcc
	s_cbranch_execz .LBB73_37
; %bb.36:
	buffer_load_dword v113, off, s[20:23], 0 offset:128 ; 4-byte Folded Reload
	buffer_load_dword v114, off, s[20:23], 0 offset:132 ; 4-byte Folded Reload
	;; [unrolled: 1-line block ×8, first 2 shown]
	s_waitcnt vmcnt(2)
	v_mul_f64 v[99:100], v[73:74], v[115:116]
	s_waitcnt vmcnt(0)
	v_mul_f64 v[97:98], v[75:76], v[115:116]
	v_fma_f64 v[115:116], v[75:76], v[113:114], v[99:100]
	ds_read2_b64 v[99:102], v125 offset0:8 offset1:9
	v_fma_f64 v[97:98], v[73:74], v[113:114], -v[97:98]
	buffer_load_dword v73, off, s[20:23], 0 offset:112 ; 4-byte Folded Reload
	buffer_load_dword v74, off, s[20:23], 0 offset:116 ; 4-byte Folded Reload
	;; [unrolled: 1-line block ×4, first 2 shown]
	s_waitcnt lgkmcnt(0)
	v_mul_f64 v[103:104], v[101:102], v[115:116]
	v_mov_b32_e32 v114, v98
	v_mov_b32_e32 v113, v97
	v_fma_f64 v[103:104], v[99:100], v[97:98], -v[103:104]
	v_mul_f64 v[99:100], v[99:100], v[115:116]
	v_fma_f64 v[99:100], v[101:102], v[97:98], v[99:100]
	s_waitcnt vmcnt(2)
	v_add_f64 v[73:74], v[73:74], -v[103:104]
	s_waitcnt vmcnt(0)
	v_add_f64 v[75:76], v[75:76], -v[99:100]
	buffer_store_dword v73, off, s[20:23], 0 offset:112 ; 4-byte Folded Spill
	s_nop 0
	buffer_store_dword v74, off, s[20:23], 0 offset:116 ; 4-byte Folded Spill
	buffer_store_dword v75, off, s[20:23], 0 offset:120 ; 4-byte Folded Spill
	;; [unrolled: 1-line block ×3, first 2 shown]
	ds_read2_b64 v[99:102], v125 offset0:10 offset1:11
	buffer_load_dword v73, off, s[20:23], 0 offset:96 ; 4-byte Folded Reload
	buffer_load_dword v74, off, s[20:23], 0 offset:100 ; 4-byte Folded Reload
	;; [unrolled: 1-line block ×4, first 2 shown]
	s_waitcnt lgkmcnt(0)
	v_mul_f64 v[103:104], v[101:102], v[115:116]
	v_fma_f64 v[103:104], v[99:100], v[97:98], -v[103:104]
	v_mul_f64 v[99:100], v[99:100], v[115:116]
	v_fma_f64 v[99:100], v[101:102], v[97:98], v[99:100]
	s_waitcnt vmcnt(2)
	v_add_f64 v[73:74], v[73:74], -v[103:104]
	s_waitcnt vmcnt(0)
	v_add_f64 v[75:76], v[75:76], -v[99:100]
	buffer_store_dword v73, off, s[20:23], 0 offset:96 ; 4-byte Folded Spill
	s_nop 0
	buffer_store_dword v74, off, s[20:23], 0 offset:100 ; 4-byte Folded Spill
	buffer_store_dword v75, off, s[20:23], 0 offset:104 ; 4-byte Folded Spill
	;; [unrolled: 1-line block ×3, first 2 shown]
	ds_read2_b64 v[99:102], v125 offset0:12 offset1:13
	buffer_load_dword v73, off, s[20:23], 0 offset:80 ; 4-byte Folded Reload
	buffer_load_dword v74, off, s[20:23], 0 offset:84 ; 4-byte Folded Reload
	;; [unrolled: 1-line block ×4, first 2 shown]
	s_waitcnt lgkmcnt(0)
	v_mul_f64 v[103:104], v[101:102], v[115:116]
	v_fma_f64 v[103:104], v[99:100], v[97:98], -v[103:104]
	v_mul_f64 v[99:100], v[99:100], v[115:116]
	v_fma_f64 v[99:100], v[101:102], v[97:98], v[99:100]
	s_waitcnt vmcnt(2)
	v_add_f64 v[73:74], v[73:74], -v[103:104]
	s_waitcnt vmcnt(0)
	v_add_f64 v[75:76], v[75:76], -v[99:100]
	buffer_store_dword v73, off, s[20:23], 0 offset:80 ; 4-byte Folded Spill
	s_nop 0
	buffer_store_dword v74, off, s[20:23], 0 offset:84 ; 4-byte Folded Spill
	buffer_store_dword v75, off, s[20:23], 0 offset:88 ; 4-byte Folded Spill
	;; [unrolled: 1-line block ×3, first 2 shown]
	ds_read2_b64 v[99:102], v125 offset0:14 offset1:15
	s_waitcnt lgkmcnt(0)
	v_mul_f64 v[103:104], v[101:102], v[115:116]
	v_fma_f64 v[103:104], v[99:100], v[97:98], -v[103:104]
	v_mul_f64 v[99:100], v[99:100], v[115:116]
	v_add_f64 v[89:90], v[89:90], -v[103:104]
	v_fma_f64 v[99:100], v[101:102], v[97:98], v[99:100]
	v_add_f64 v[91:92], v[91:92], -v[99:100]
	ds_read2_b64 v[99:102], v125 offset0:16 offset1:17
	s_waitcnt lgkmcnt(0)
	v_mul_f64 v[103:104], v[101:102], v[115:116]
	v_fma_f64 v[103:104], v[99:100], v[97:98], -v[103:104]
	v_mul_f64 v[99:100], v[99:100], v[115:116]
	v_add_f64 v[85:86], v[85:86], -v[103:104]
	v_fma_f64 v[99:100], v[101:102], v[97:98], v[99:100]
	v_add_f64 v[87:88], v[87:88], -v[99:100]
	ds_read2_b64 v[99:102], v125 offset0:18 offset1:19
	buffer_load_dword v73, off, s[20:23], 0 offset:64 ; 4-byte Folded Reload
	buffer_load_dword v74, off, s[20:23], 0 offset:68 ; 4-byte Folded Reload
	;; [unrolled: 1-line block ×4, first 2 shown]
	s_waitcnt lgkmcnt(0)
	v_mul_f64 v[103:104], v[101:102], v[115:116]
	v_fma_f64 v[103:104], v[99:100], v[97:98], -v[103:104]
	v_mul_f64 v[99:100], v[99:100], v[115:116]
	v_fma_f64 v[99:100], v[101:102], v[97:98], v[99:100]
	s_waitcnt vmcnt(2)
	v_add_f64 v[73:74], v[73:74], -v[103:104]
	s_waitcnt vmcnt(0)
	v_add_f64 v[75:76], v[75:76], -v[99:100]
	buffer_store_dword v73, off, s[20:23], 0 offset:64 ; 4-byte Folded Spill
	s_nop 0
	buffer_store_dword v74, off, s[20:23], 0 offset:68 ; 4-byte Folded Spill
	buffer_store_dword v75, off, s[20:23], 0 offset:72 ; 4-byte Folded Spill
	;; [unrolled: 1-line block ×3, first 2 shown]
	ds_read2_b64 v[99:102], v125 offset0:20 offset1:21
	s_waitcnt lgkmcnt(0)
	v_mul_f64 v[103:104], v[101:102], v[115:116]
	v_fma_f64 v[103:104], v[99:100], v[97:98], -v[103:104]
	v_mul_f64 v[99:100], v[99:100], v[115:116]
	v_add_f64 v[81:82], v[81:82], -v[103:104]
	v_fma_f64 v[99:100], v[101:102], v[97:98], v[99:100]
	v_add_f64 v[83:84], v[83:84], -v[99:100]
	ds_read2_b64 v[99:102], v125 offset0:22 offset1:23
	s_waitcnt lgkmcnt(0)
	v_mul_f64 v[103:104], v[101:102], v[115:116]
	v_fma_f64 v[103:104], v[99:100], v[97:98], -v[103:104]
	v_mul_f64 v[99:100], v[99:100], v[115:116]
	v_add_f64 v[121:122], v[121:122], -v[103:104]
	v_fma_f64 v[99:100], v[101:102], v[97:98], v[99:100]
	v_add_f64 v[123:124], v[123:124], -v[99:100]
	;; [unrolled: 8-line block ×4, first 2 shown]
	ds_read2_b64 v[99:102], v125 offset0:28 offset1:29
	buffer_load_dword v105, off, s[20:23], 0 offset:48 ; 4-byte Folded Reload
	buffer_load_dword v106, off, s[20:23], 0 offset:52 ; 4-byte Folded Reload
	;; [unrolled: 1-line block ×4, first 2 shown]
	s_waitcnt lgkmcnt(0)
	v_mul_f64 v[103:104], v[101:102], v[115:116]
	v_fma_f64 v[103:104], v[99:100], v[97:98], -v[103:104]
	v_mul_f64 v[99:100], v[99:100], v[115:116]
	v_fma_f64 v[99:100], v[101:102], v[97:98], v[99:100]
	s_waitcnt vmcnt(2)
	v_add_f64 v[105:106], v[105:106], -v[103:104]
	s_waitcnt vmcnt(0)
	v_add_f64 v[107:108], v[107:108], -v[99:100]
	buffer_store_dword v105, off, s[20:23], 0 offset:48 ; 4-byte Folded Spill
	s_nop 0
	buffer_store_dword v106, off, s[20:23], 0 offset:52 ; 4-byte Folded Spill
	buffer_store_dword v107, off, s[20:23], 0 offset:56 ; 4-byte Folded Spill
	buffer_store_dword v108, off, s[20:23], 0 offset:60 ; 4-byte Folded Spill
	ds_read2_b64 v[99:102], v125 offset0:30 offset1:31
	s_waitcnt lgkmcnt(0)
	v_mul_f64 v[103:104], v[101:102], v[115:116]
	v_fma_f64 v[103:104], v[99:100], v[97:98], -v[103:104]
	v_mul_f64 v[99:100], v[99:100], v[115:116]
	v_add_f64 v[93:94], v[93:94], -v[103:104]
	v_fma_f64 v[99:100], v[101:102], v[97:98], v[99:100]
	v_add_f64 v[95:96], v[95:96], -v[99:100]
	ds_read2_b64 v[99:102], v125 offset0:32 offset1:33
	buffer_load_dword v77, off, s[20:23], 0 offset:16 ; 4-byte Folded Reload
	buffer_load_dword v78, off, s[20:23], 0 offset:20 ; 4-byte Folded Reload
	;; [unrolled: 1-line block ×4, first 2 shown]
	s_waitcnt lgkmcnt(0)
	v_mul_f64 v[103:104], v[101:102], v[115:116]
	v_fma_f64 v[103:104], v[99:100], v[97:98], -v[103:104]
	v_mul_f64 v[99:100], v[99:100], v[115:116]
	v_fma_f64 v[99:100], v[101:102], v[97:98], v[99:100]
	s_waitcnt vmcnt(2)
	v_add_f64 v[77:78], v[77:78], -v[103:104]
	s_waitcnt vmcnt(0)
	v_add_f64 v[79:80], v[79:80], -v[99:100]
	buffer_store_dword v77, off, s[20:23], 0 offset:16 ; 4-byte Folded Spill
	s_nop 0
	buffer_store_dword v78, off, s[20:23], 0 offset:20 ; 4-byte Folded Spill
	buffer_store_dword v79, off, s[20:23], 0 offset:24 ; 4-byte Folded Spill
	;; [unrolled: 1-line block ×3, first 2 shown]
	ds_read2_b64 v[99:102], v125 offset0:34 offset1:35
	buffer_load_dword v73, off, s[20:23], 0 ; 4-byte Folded Reload
	buffer_load_dword v74, off, s[20:23], 0 offset:4 ; 4-byte Folded Reload
	buffer_load_dword v75, off, s[20:23], 0 offset:8 ; 4-byte Folded Reload
	;; [unrolled: 1-line block ×3, first 2 shown]
	s_waitcnt lgkmcnt(0)
	v_mul_f64 v[103:104], v[101:102], v[115:116]
	v_fma_f64 v[103:104], v[99:100], v[97:98], -v[103:104]
	v_mul_f64 v[99:100], v[99:100], v[115:116]
	v_fma_f64 v[99:100], v[101:102], v[97:98], v[99:100]
	s_waitcnt vmcnt(2)
	v_add_f64 v[73:74], v[73:74], -v[103:104]
	s_waitcnt vmcnt(0)
	v_add_f64 v[75:76], v[75:76], -v[99:100]
	buffer_store_dword v73, off, s[20:23], 0 ; 4-byte Folded Spill
	s_nop 0
	buffer_store_dword v74, off, s[20:23], 0 offset:4 ; 4-byte Folded Spill
	buffer_store_dword v75, off, s[20:23], 0 offset:8 ; 4-byte Folded Spill
	;; [unrolled: 1-line block ×3, first 2 shown]
	ds_read2_b64 v[99:102], v125 offset0:36 offset1:37
	s_waitcnt lgkmcnt(0)
	v_mul_f64 v[103:104], v[101:102], v[115:116]
	v_fma_f64 v[103:104], v[99:100], v[97:98], -v[103:104]
	v_mul_f64 v[99:100], v[99:100], v[115:116]
	v_add_f64 v[69:70], v[69:70], -v[103:104]
	v_fma_f64 v[99:100], v[101:102], v[97:98], v[99:100]
	v_add_f64 v[71:72], v[71:72], -v[99:100]
	ds_read2_b64 v[99:102], v125 offset0:38 offset1:39
	s_waitcnt lgkmcnt(0)
	v_mul_f64 v[103:104], v[101:102], v[115:116]
	v_fma_f64 v[103:104], v[99:100], v[97:98], -v[103:104]
	v_mul_f64 v[99:100], v[99:100], v[115:116]
	v_add_f64 v[65:66], v[65:66], -v[103:104]
	v_fma_f64 v[99:100], v[101:102], v[97:98], v[99:100]
	v_add_f64 v[67:68], v[67:68], -v[99:100]
	;; [unrolled: 8-line block ×18, first 2 shown]
	ds_read2_b64 v[99:102], v125 offset0:72 offset1:73
	buffer_load_dword v73, off, s[20:23], 0 offset:32 ; 4-byte Folded Reload
	buffer_load_dword v74, off, s[20:23], 0 offset:36 ; 4-byte Folded Reload
	;; [unrolled: 1-line block ×4, first 2 shown]
	s_waitcnt lgkmcnt(0)
	v_mul_f64 v[103:104], v[101:102], v[115:116]
	v_fma_f64 v[103:104], v[99:100], v[97:98], -v[103:104]
	v_mul_f64 v[99:100], v[99:100], v[115:116]
	v_fma_f64 v[99:100], v[101:102], v[97:98], v[99:100]
	s_waitcnt vmcnt(2)
	v_add_f64 v[73:74], v[73:74], -v[103:104]
	s_waitcnt vmcnt(0)
	v_add_f64 v[75:76], v[75:76], -v[99:100]
	buffer_store_dword v73, off, s[20:23], 0 offset:32 ; 4-byte Folded Spill
	s_nop 0
	buffer_store_dword v74, off, s[20:23], 0 offset:36 ; 4-byte Folded Spill
	buffer_store_dword v75, off, s[20:23], 0 offset:40 ; 4-byte Folded Spill
	;; [unrolled: 1-line block ×4, first 2 shown]
	s_nop 0
	buffer_store_dword v114, off, s[20:23], 0 offset:132 ; 4-byte Folded Spill
	buffer_store_dword v115, off, s[20:23], 0 offset:136 ; 4-byte Folded Spill
	;; [unrolled: 1-line block ×3, first 2 shown]
.LBB73_37:
	s_or_b64 exec, exec, s[2:3]
	v_cmp_eq_u32_e32 vcc, 4, v0
	s_waitcnt vmcnt(0)
	s_barrier
	s_and_saveexec_b64 s[4:5], vcc
	s_cbranch_execz .LBB73_44
; %bb.38:
	buffer_load_dword v73, off, s[20:23], 0 offset:112 ; 4-byte Folded Reload
	buffer_load_dword v74, off, s[20:23], 0 offset:116 ; 4-byte Folded Reload
	;; [unrolled: 1-line block ×4, first 2 shown]
	s_waitcnt vmcnt(0)
	ds_write2_b64 v127, v[73:74], v[75:76] offset1:1
	buffer_load_dword v73, off, s[20:23], 0 offset:96 ; 4-byte Folded Reload
	buffer_load_dword v74, off, s[20:23], 0 offset:100 ; 4-byte Folded Reload
	;; [unrolled: 1-line block ×4, first 2 shown]
	s_waitcnt vmcnt(0)
	ds_write2_b64 v125, v[73:74], v[75:76] offset0:10 offset1:11
	buffer_load_dword v73, off, s[20:23], 0 offset:80 ; 4-byte Folded Reload
	buffer_load_dword v74, off, s[20:23], 0 offset:84 ; 4-byte Folded Reload
	;; [unrolled: 1-line block ×4, first 2 shown]
	s_waitcnt vmcnt(0)
	ds_write2_b64 v125, v[73:74], v[75:76] offset0:12 offset1:13
	ds_write2_b64 v125, v[89:90], v[91:92] offset0:14 offset1:15
	ds_write2_b64 v125, v[85:86], v[87:88] offset0:16 offset1:17
	buffer_load_dword v73, off, s[20:23], 0 offset:64 ; 4-byte Folded Reload
	buffer_load_dword v74, off, s[20:23], 0 offset:68 ; 4-byte Folded Reload
	buffer_load_dword v75, off, s[20:23], 0 offset:72 ; 4-byte Folded Reload
	buffer_load_dword v76, off, s[20:23], 0 offset:76 ; 4-byte Folded Reload
	s_waitcnt vmcnt(0)
	ds_write2_b64 v125, v[73:74], v[75:76] offset0:18 offset1:19
	ds_write2_b64 v125, v[81:82], v[83:84] offset0:20 offset1:21
	;; [unrolled: 1-line block ×5, first 2 shown]
	buffer_load_dword v97, off, s[20:23], 0 offset:48 ; 4-byte Folded Reload
	buffer_load_dword v98, off, s[20:23], 0 offset:52 ; 4-byte Folded Reload
	;; [unrolled: 1-line block ×4, first 2 shown]
	s_waitcnt vmcnt(0)
	ds_write2_b64 v125, v[97:98], v[99:100] offset0:28 offset1:29
	ds_write2_b64 v125, v[93:94], v[95:96] offset0:30 offset1:31
	buffer_load_dword v77, off, s[20:23], 0 offset:16 ; 4-byte Folded Reload
	buffer_load_dword v78, off, s[20:23], 0 offset:20 ; 4-byte Folded Reload
	buffer_load_dword v79, off, s[20:23], 0 offset:24 ; 4-byte Folded Reload
	buffer_load_dword v80, off, s[20:23], 0 offset:28 ; 4-byte Folded Reload
	s_waitcnt vmcnt(0)
	ds_write2_b64 v125, v[77:78], v[79:80] offset0:32 offset1:33
	buffer_load_dword v73, off, s[20:23], 0 ; 4-byte Folded Reload
	buffer_load_dword v74, off, s[20:23], 0 offset:4 ; 4-byte Folded Reload
	buffer_load_dword v75, off, s[20:23], 0 offset:8 ; 4-byte Folded Reload
	;; [unrolled: 1-line block ×3, first 2 shown]
	s_waitcnt vmcnt(0)
	ds_write2_b64 v125, v[73:74], v[75:76] offset0:34 offset1:35
	ds_write2_b64 v125, v[69:70], v[71:72] offset0:36 offset1:37
	;; [unrolled: 1-line block ×19, first 2 shown]
	buffer_load_dword v73, off, s[20:23], 0 offset:32 ; 4-byte Folded Reload
	buffer_load_dword v74, off, s[20:23], 0 offset:36 ; 4-byte Folded Reload
	;; [unrolled: 1-line block ×4, first 2 shown]
	s_waitcnt vmcnt(0)
	ds_write2_b64 v125, v[73:74], v[75:76] offset0:72 offset1:73
	ds_read2_b64 v[97:100], v127 offset1:1
	s_waitcnt lgkmcnt(0)
	v_cmp_neq_f64_e32 vcc, 0, v[97:98]
	v_cmp_neq_f64_e64 s[2:3], 0, v[99:100]
	s_or_b64 s[2:3], vcc, s[2:3]
	s_and_b64 exec, exec, s[2:3]
	s_cbranch_execz .LBB73_44
; %bb.39:
	v_cmp_ngt_f64_e64 s[2:3], |v[97:98]|, |v[99:100]|
                                        ; implicit-def: $vgpr101_vgpr102
	s_and_saveexec_b64 s[6:7], s[2:3]
	s_xor_b64 s[2:3], exec, s[6:7]
                                        ; implicit-def: $vgpr103_vgpr104
	s_cbranch_execz .LBB73_41
; %bb.40:
	v_div_scale_f64 v[101:102], s[6:7], v[99:100], v[99:100], v[97:98]
	v_rcp_f64_e32 v[103:104], v[101:102]
	v_fma_f64 v[105:106], -v[101:102], v[103:104], 1.0
	v_fma_f64 v[103:104], v[103:104], v[105:106], v[103:104]
	v_div_scale_f64 v[105:106], vcc, v[97:98], v[99:100], v[97:98]
	v_fma_f64 v[107:108], -v[101:102], v[103:104], 1.0
	v_fma_f64 v[103:104], v[103:104], v[107:108], v[103:104]
	v_mul_f64 v[107:108], v[105:106], v[103:104]
	v_fma_f64 v[101:102], -v[101:102], v[107:108], v[105:106]
	v_div_fmas_f64 v[101:102], v[101:102], v[103:104], v[107:108]
	v_div_fixup_f64 v[101:102], v[101:102], v[99:100], v[97:98]
	v_fma_f64 v[97:98], v[97:98], v[101:102], v[99:100]
	v_div_scale_f64 v[99:100], s[6:7], v[97:98], v[97:98], 1.0
	v_div_scale_f64 v[107:108], vcc, 1.0, v[97:98], 1.0
	v_rcp_f64_e32 v[103:104], v[99:100]
	v_fma_f64 v[105:106], -v[99:100], v[103:104], 1.0
	v_fma_f64 v[103:104], v[103:104], v[105:106], v[103:104]
	v_fma_f64 v[105:106], -v[99:100], v[103:104], 1.0
	v_fma_f64 v[103:104], v[103:104], v[105:106], v[103:104]
	v_mul_f64 v[105:106], v[107:108], v[103:104]
	v_fma_f64 v[99:100], -v[99:100], v[105:106], v[107:108]
	v_div_fmas_f64 v[99:100], v[99:100], v[103:104], v[105:106]
	v_div_fixup_f64 v[103:104], v[99:100], v[97:98], 1.0
                                        ; implicit-def: $vgpr97_vgpr98
	v_mul_f64 v[101:102], v[101:102], v[103:104]
	v_xor_b32_e32 v104, 0x80000000, v104
.LBB73_41:
	s_andn2_saveexec_b64 s[2:3], s[2:3]
	s_cbranch_execz .LBB73_43
; %bb.42:
	v_div_scale_f64 v[101:102], s[6:7], v[97:98], v[97:98], v[99:100]
	v_rcp_f64_e32 v[103:104], v[101:102]
	v_fma_f64 v[105:106], -v[101:102], v[103:104], 1.0
	v_fma_f64 v[103:104], v[103:104], v[105:106], v[103:104]
	v_div_scale_f64 v[105:106], vcc, v[99:100], v[97:98], v[99:100]
	v_fma_f64 v[107:108], -v[101:102], v[103:104], 1.0
	v_fma_f64 v[103:104], v[103:104], v[107:108], v[103:104]
	v_mul_f64 v[107:108], v[105:106], v[103:104]
	v_fma_f64 v[101:102], -v[101:102], v[107:108], v[105:106]
	v_div_fmas_f64 v[101:102], v[101:102], v[103:104], v[107:108]
	v_div_fixup_f64 v[103:104], v[101:102], v[97:98], v[99:100]
	v_fma_f64 v[97:98], v[99:100], v[103:104], v[97:98]
	v_div_scale_f64 v[99:100], s[6:7], v[97:98], v[97:98], 1.0
	v_div_scale_f64 v[107:108], vcc, 1.0, v[97:98], 1.0
	v_rcp_f64_e32 v[101:102], v[99:100]
	v_fma_f64 v[105:106], -v[99:100], v[101:102], 1.0
	v_fma_f64 v[101:102], v[101:102], v[105:106], v[101:102]
	v_fma_f64 v[105:106], -v[99:100], v[101:102], 1.0
	v_fma_f64 v[101:102], v[101:102], v[105:106], v[101:102]
	v_mul_f64 v[105:106], v[107:108], v[101:102]
	v_fma_f64 v[99:100], -v[99:100], v[105:106], v[107:108]
	v_div_fmas_f64 v[99:100], v[99:100], v[101:102], v[105:106]
	v_div_fixup_f64 v[101:102], v[99:100], v[97:98], 1.0
	v_mul_f64 v[103:104], v[103:104], -v[101:102]
.LBB73_43:
	s_or_b64 exec, exec, s[2:3]
	ds_write2_b64 v127, v[101:102], v[103:104] offset1:1
.LBB73_44:
	s_or_b64 exec, exec, s[4:5]
	s_waitcnt lgkmcnt(0)
	s_barrier
	ds_read2_b64 v[73:76], v127 offset1:1
	v_cmp_lt_u32_e32 vcc, 4, v0
	s_waitcnt lgkmcnt(0)
	buffer_store_dword v73, off, s[20:23], 0 offset:600 ; 4-byte Folded Spill
	s_nop 0
	buffer_store_dword v74, off, s[20:23], 0 offset:604 ; 4-byte Folded Spill
	buffer_store_dword v75, off, s[20:23], 0 offset:608 ; 4-byte Folded Spill
	buffer_store_dword v76, off, s[20:23], 0 offset:612 ; 4-byte Folded Spill
	s_and_saveexec_b64 s[2:3], vcc
	s_cbranch_execz .LBB73_46
; %bb.45:
	buffer_load_dword v113, off, s[20:23], 0 offset:112 ; 4-byte Folded Reload
	buffer_load_dword v114, off, s[20:23], 0 offset:116 ; 4-byte Folded Reload
	;; [unrolled: 1-line block ×8, first 2 shown]
	s_waitcnt vmcnt(2)
	v_mul_f64 v[99:100], v[73:74], v[115:116]
	s_waitcnt vmcnt(0)
	v_mul_f64 v[97:98], v[75:76], v[115:116]
	v_fma_f64 v[115:116], v[75:76], v[113:114], v[99:100]
	ds_read2_b64 v[99:102], v125 offset0:10 offset1:11
	v_fma_f64 v[97:98], v[73:74], v[113:114], -v[97:98]
	buffer_load_dword v73, off, s[20:23], 0 offset:96 ; 4-byte Folded Reload
	buffer_load_dword v74, off, s[20:23], 0 offset:100 ; 4-byte Folded Reload
	buffer_load_dword v75, off, s[20:23], 0 offset:104 ; 4-byte Folded Reload
	buffer_load_dword v76, off, s[20:23], 0 offset:108 ; 4-byte Folded Reload
	s_waitcnt lgkmcnt(0)
	v_mul_f64 v[103:104], v[101:102], v[115:116]
	v_mov_b32_e32 v114, v98
	v_mov_b32_e32 v113, v97
	v_fma_f64 v[103:104], v[99:100], v[97:98], -v[103:104]
	v_mul_f64 v[99:100], v[99:100], v[115:116]
	v_fma_f64 v[99:100], v[101:102], v[97:98], v[99:100]
	s_waitcnt vmcnt(2)
	v_add_f64 v[73:74], v[73:74], -v[103:104]
	s_waitcnt vmcnt(0)
	v_add_f64 v[75:76], v[75:76], -v[99:100]
	buffer_store_dword v73, off, s[20:23], 0 offset:96 ; 4-byte Folded Spill
	s_nop 0
	buffer_store_dword v74, off, s[20:23], 0 offset:100 ; 4-byte Folded Spill
	buffer_store_dword v75, off, s[20:23], 0 offset:104 ; 4-byte Folded Spill
	;; [unrolled: 1-line block ×3, first 2 shown]
	ds_read2_b64 v[99:102], v125 offset0:12 offset1:13
	buffer_load_dword v73, off, s[20:23], 0 offset:80 ; 4-byte Folded Reload
	buffer_load_dword v74, off, s[20:23], 0 offset:84 ; 4-byte Folded Reload
	;; [unrolled: 1-line block ×4, first 2 shown]
	s_waitcnt lgkmcnt(0)
	v_mul_f64 v[103:104], v[101:102], v[115:116]
	v_fma_f64 v[103:104], v[99:100], v[97:98], -v[103:104]
	v_mul_f64 v[99:100], v[99:100], v[115:116]
	v_fma_f64 v[99:100], v[101:102], v[97:98], v[99:100]
	s_waitcnt vmcnt(2)
	v_add_f64 v[73:74], v[73:74], -v[103:104]
	s_waitcnt vmcnt(0)
	v_add_f64 v[75:76], v[75:76], -v[99:100]
	buffer_store_dword v73, off, s[20:23], 0 offset:80 ; 4-byte Folded Spill
	s_nop 0
	buffer_store_dword v74, off, s[20:23], 0 offset:84 ; 4-byte Folded Spill
	buffer_store_dword v75, off, s[20:23], 0 offset:88 ; 4-byte Folded Spill
	;; [unrolled: 1-line block ×3, first 2 shown]
	ds_read2_b64 v[99:102], v125 offset0:14 offset1:15
	s_waitcnt lgkmcnt(0)
	v_mul_f64 v[103:104], v[101:102], v[115:116]
	v_fma_f64 v[103:104], v[99:100], v[97:98], -v[103:104]
	v_mul_f64 v[99:100], v[99:100], v[115:116]
	v_add_f64 v[89:90], v[89:90], -v[103:104]
	v_fma_f64 v[99:100], v[101:102], v[97:98], v[99:100]
	v_add_f64 v[91:92], v[91:92], -v[99:100]
	ds_read2_b64 v[99:102], v125 offset0:16 offset1:17
	s_waitcnt lgkmcnt(0)
	v_mul_f64 v[103:104], v[101:102], v[115:116]
	v_fma_f64 v[103:104], v[99:100], v[97:98], -v[103:104]
	v_mul_f64 v[99:100], v[99:100], v[115:116]
	v_add_f64 v[85:86], v[85:86], -v[103:104]
	v_fma_f64 v[99:100], v[101:102], v[97:98], v[99:100]
	v_add_f64 v[87:88], v[87:88], -v[99:100]
	ds_read2_b64 v[99:102], v125 offset0:18 offset1:19
	buffer_load_dword v73, off, s[20:23], 0 offset:64 ; 4-byte Folded Reload
	buffer_load_dword v74, off, s[20:23], 0 offset:68 ; 4-byte Folded Reload
	;; [unrolled: 1-line block ×4, first 2 shown]
	s_waitcnt lgkmcnt(0)
	v_mul_f64 v[103:104], v[101:102], v[115:116]
	v_fma_f64 v[103:104], v[99:100], v[97:98], -v[103:104]
	v_mul_f64 v[99:100], v[99:100], v[115:116]
	v_fma_f64 v[99:100], v[101:102], v[97:98], v[99:100]
	s_waitcnt vmcnt(2)
	v_add_f64 v[73:74], v[73:74], -v[103:104]
	s_waitcnt vmcnt(0)
	v_add_f64 v[75:76], v[75:76], -v[99:100]
	buffer_store_dword v73, off, s[20:23], 0 offset:64 ; 4-byte Folded Spill
	s_nop 0
	buffer_store_dword v74, off, s[20:23], 0 offset:68 ; 4-byte Folded Spill
	buffer_store_dword v75, off, s[20:23], 0 offset:72 ; 4-byte Folded Spill
	;; [unrolled: 1-line block ×3, first 2 shown]
	ds_read2_b64 v[99:102], v125 offset0:20 offset1:21
	s_waitcnt lgkmcnt(0)
	v_mul_f64 v[103:104], v[101:102], v[115:116]
	v_fma_f64 v[103:104], v[99:100], v[97:98], -v[103:104]
	v_mul_f64 v[99:100], v[99:100], v[115:116]
	v_add_f64 v[81:82], v[81:82], -v[103:104]
	v_fma_f64 v[99:100], v[101:102], v[97:98], v[99:100]
	v_add_f64 v[83:84], v[83:84], -v[99:100]
	ds_read2_b64 v[99:102], v125 offset0:22 offset1:23
	s_waitcnt lgkmcnt(0)
	v_mul_f64 v[103:104], v[101:102], v[115:116]
	v_fma_f64 v[103:104], v[99:100], v[97:98], -v[103:104]
	v_mul_f64 v[99:100], v[99:100], v[115:116]
	v_add_f64 v[121:122], v[121:122], -v[103:104]
	v_fma_f64 v[99:100], v[101:102], v[97:98], v[99:100]
	v_add_f64 v[123:124], v[123:124], -v[99:100]
	;; [unrolled: 8-line block ×4, first 2 shown]
	ds_read2_b64 v[99:102], v125 offset0:28 offset1:29
	buffer_load_dword v105, off, s[20:23], 0 offset:48 ; 4-byte Folded Reload
	buffer_load_dword v106, off, s[20:23], 0 offset:52 ; 4-byte Folded Reload
	buffer_load_dword v107, off, s[20:23], 0 offset:56 ; 4-byte Folded Reload
	buffer_load_dword v108, off, s[20:23], 0 offset:60 ; 4-byte Folded Reload
	s_waitcnt lgkmcnt(0)
	v_mul_f64 v[103:104], v[101:102], v[115:116]
	v_fma_f64 v[103:104], v[99:100], v[97:98], -v[103:104]
	v_mul_f64 v[99:100], v[99:100], v[115:116]
	v_fma_f64 v[99:100], v[101:102], v[97:98], v[99:100]
	s_waitcnt vmcnt(2)
	v_add_f64 v[105:106], v[105:106], -v[103:104]
	s_waitcnt vmcnt(0)
	v_add_f64 v[107:108], v[107:108], -v[99:100]
	buffer_store_dword v105, off, s[20:23], 0 offset:48 ; 4-byte Folded Spill
	s_nop 0
	buffer_store_dword v106, off, s[20:23], 0 offset:52 ; 4-byte Folded Spill
	buffer_store_dword v107, off, s[20:23], 0 offset:56 ; 4-byte Folded Spill
	;; [unrolled: 1-line block ×3, first 2 shown]
	ds_read2_b64 v[99:102], v125 offset0:30 offset1:31
	s_waitcnt lgkmcnt(0)
	v_mul_f64 v[103:104], v[101:102], v[115:116]
	v_fma_f64 v[103:104], v[99:100], v[97:98], -v[103:104]
	v_mul_f64 v[99:100], v[99:100], v[115:116]
	v_add_f64 v[93:94], v[93:94], -v[103:104]
	v_fma_f64 v[99:100], v[101:102], v[97:98], v[99:100]
	v_add_f64 v[95:96], v[95:96], -v[99:100]
	ds_read2_b64 v[99:102], v125 offset0:32 offset1:33
	buffer_load_dword v77, off, s[20:23], 0 offset:16 ; 4-byte Folded Reload
	buffer_load_dword v78, off, s[20:23], 0 offset:20 ; 4-byte Folded Reload
	;; [unrolled: 1-line block ×4, first 2 shown]
	s_waitcnt lgkmcnt(0)
	v_mul_f64 v[103:104], v[101:102], v[115:116]
	v_fma_f64 v[103:104], v[99:100], v[97:98], -v[103:104]
	v_mul_f64 v[99:100], v[99:100], v[115:116]
	v_fma_f64 v[99:100], v[101:102], v[97:98], v[99:100]
	s_waitcnt vmcnt(2)
	v_add_f64 v[77:78], v[77:78], -v[103:104]
	s_waitcnt vmcnt(0)
	v_add_f64 v[79:80], v[79:80], -v[99:100]
	buffer_store_dword v77, off, s[20:23], 0 offset:16 ; 4-byte Folded Spill
	s_nop 0
	buffer_store_dword v78, off, s[20:23], 0 offset:20 ; 4-byte Folded Spill
	buffer_store_dword v79, off, s[20:23], 0 offset:24 ; 4-byte Folded Spill
	;; [unrolled: 1-line block ×3, first 2 shown]
	ds_read2_b64 v[99:102], v125 offset0:34 offset1:35
	buffer_load_dword v73, off, s[20:23], 0 ; 4-byte Folded Reload
	buffer_load_dword v74, off, s[20:23], 0 offset:4 ; 4-byte Folded Reload
	buffer_load_dword v75, off, s[20:23], 0 offset:8 ; 4-byte Folded Reload
	;; [unrolled: 1-line block ×3, first 2 shown]
	s_waitcnt lgkmcnt(0)
	v_mul_f64 v[103:104], v[101:102], v[115:116]
	v_fma_f64 v[103:104], v[99:100], v[97:98], -v[103:104]
	v_mul_f64 v[99:100], v[99:100], v[115:116]
	v_fma_f64 v[99:100], v[101:102], v[97:98], v[99:100]
	s_waitcnt vmcnt(2)
	v_add_f64 v[73:74], v[73:74], -v[103:104]
	s_waitcnt vmcnt(0)
	v_add_f64 v[75:76], v[75:76], -v[99:100]
	buffer_store_dword v73, off, s[20:23], 0 ; 4-byte Folded Spill
	s_nop 0
	buffer_store_dword v74, off, s[20:23], 0 offset:4 ; 4-byte Folded Spill
	buffer_store_dword v75, off, s[20:23], 0 offset:8 ; 4-byte Folded Spill
	;; [unrolled: 1-line block ×3, first 2 shown]
	ds_read2_b64 v[99:102], v125 offset0:36 offset1:37
	s_waitcnt lgkmcnt(0)
	v_mul_f64 v[103:104], v[101:102], v[115:116]
	v_fma_f64 v[103:104], v[99:100], v[97:98], -v[103:104]
	v_mul_f64 v[99:100], v[99:100], v[115:116]
	v_add_f64 v[69:70], v[69:70], -v[103:104]
	v_fma_f64 v[99:100], v[101:102], v[97:98], v[99:100]
	v_add_f64 v[71:72], v[71:72], -v[99:100]
	ds_read2_b64 v[99:102], v125 offset0:38 offset1:39
	s_waitcnt lgkmcnt(0)
	v_mul_f64 v[103:104], v[101:102], v[115:116]
	v_fma_f64 v[103:104], v[99:100], v[97:98], -v[103:104]
	v_mul_f64 v[99:100], v[99:100], v[115:116]
	v_add_f64 v[65:66], v[65:66], -v[103:104]
	v_fma_f64 v[99:100], v[101:102], v[97:98], v[99:100]
	v_add_f64 v[67:68], v[67:68], -v[99:100]
	;; [unrolled: 8-line block ×18, first 2 shown]
	ds_read2_b64 v[99:102], v125 offset0:72 offset1:73
	buffer_load_dword v73, off, s[20:23], 0 offset:32 ; 4-byte Folded Reload
	buffer_load_dword v74, off, s[20:23], 0 offset:36 ; 4-byte Folded Reload
	;; [unrolled: 1-line block ×4, first 2 shown]
	s_waitcnt lgkmcnt(0)
	v_mul_f64 v[103:104], v[101:102], v[115:116]
	v_fma_f64 v[103:104], v[99:100], v[97:98], -v[103:104]
	v_mul_f64 v[99:100], v[99:100], v[115:116]
	v_fma_f64 v[99:100], v[101:102], v[97:98], v[99:100]
	s_waitcnt vmcnt(2)
	v_add_f64 v[73:74], v[73:74], -v[103:104]
	s_waitcnt vmcnt(0)
	v_add_f64 v[75:76], v[75:76], -v[99:100]
	buffer_store_dword v73, off, s[20:23], 0 offset:32 ; 4-byte Folded Spill
	s_nop 0
	buffer_store_dword v74, off, s[20:23], 0 offset:36 ; 4-byte Folded Spill
	buffer_store_dword v75, off, s[20:23], 0 offset:40 ; 4-byte Folded Spill
	;; [unrolled: 1-line block ×4, first 2 shown]
	s_nop 0
	buffer_store_dword v114, off, s[20:23], 0 offset:116 ; 4-byte Folded Spill
	buffer_store_dword v115, off, s[20:23], 0 offset:120 ; 4-byte Folded Spill
	;; [unrolled: 1-line block ×3, first 2 shown]
.LBB73_46:
	s_or_b64 exec, exec, s[2:3]
	v_cmp_eq_u32_e32 vcc, 5, v0
	s_waitcnt vmcnt(0)
	s_barrier
	s_and_saveexec_b64 s[4:5], vcc
	s_cbranch_execz .LBB73_53
; %bb.47:
	buffer_load_dword v73, off, s[20:23], 0 offset:96 ; 4-byte Folded Reload
	buffer_load_dword v74, off, s[20:23], 0 offset:100 ; 4-byte Folded Reload
	;; [unrolled: 1-line block ×4, first 2 shown]
	s_waitcnt vmcnt(0)
	ds_write2_b64 v127, v[73:74], v[75:76] offset1:1
	buffer_load_dword v73, off, s[20:23], 0 offset:80 ; 4-byte Folded Reload
	buffer_load_dword v74, off, s[20:23], 0 offset:84 ; 4-byte Folded Reload
	;; [unrolled: 1-line block ×4, first 2 shown]
	s_waitcnt vmcnt(0)
	ds_write2_b64 v125, v[73:74], v[75:76] offset0:12 offset1:13
	ds_write2_b64 v125, v[89:90], v[91:92] offset0:14 offset1:15
	;; [unrolled: 1-line block ×3, first 2 shown]
	buffer_load_dword v73, off, s[20:23], 0 offset:64 ; 4-byte Folded Reload
	buffer_load_dword v74, off, s[20:23], 0 offset:68 ; 4-byte Folded Reload
	;; [unrolled: 1-line block ×4, first 2 shown]
	s_waitcnt vmcnt(0)
	ds_write2_b64 v125, v[73:74], v[75:76] offset0:18 offset1:19
	ds_write2_b64 v125, v[81:82], v[83:84] offset0:20 offset1:21
	;; [unrolled: 1-line block ×5, first 2 shown]
	buffer_load_dword v97, off, s[20:23], 0 offset:48 ; 4-byte Folded Reload
	buffer_load_dword v98, off, s[20:23], 0 offset:52 ; 4-byte Folded Reload
	;; [unrolled: 1-line block ×4, first 2 shown]
	s_waitcnt vmcnt(0)
	ds_write2_b64 v125, v[97:98], v[99:100] offset0:28 offset1:29
	ds_write2_b64 v125, v[93:94], v[95:96] offset0:30 offset1:31
	buffer_load_dword v77, off, s[20:23], 0 offset:16 ; 4-byte Folded Reload
	buffer_load_dword v78, off, s[20:23], 0 offset:20 ; 4-byte Folded Reload
	;; [unrolled: 1-line block ×4, first 2 shown]
	s_waitcnt vmcnt(0)
	ds_write2_b64 v125, v[77:78], v[79:80] offset0:32 offset1:33
	buffer_load_dword v73, off, s[20:23], 0 ; 4-byte Folded Reload
	buffer_load_dword v74, off, s[20:23], 0 offset:4 ; 4-byte Folded Reload
	buffer_load_dword v75, off, s[20:23], 0 offset:8 ; 4-byte Folded Reload
	;; [unrolled: 1-line block ×3, first 2 shown]
	s_waitcnt vmcnt(0)
	ds_write2_b64 v125, v[73:74], v[75:76] offset0:34 offset1:35
	ds_write2_b64 v125, v[69:70], v[71:72] offset0:36 offset1:37
	;; [unrolled: 1-line block ×19, first 2 shown]
	buffer_load_dword v73, off, s[20:23], 0 offset:32 ; 4-byte Folded Reload
	buffer_load_dword v74, off, s[20:23], 0 offset:36 ; 4-byte Folded Reload
	buffer_load_dword v75, off, s[20:23], 0 offset:40 ; 4-byte Folded Reload
	buffer_load_dword v76, off, s[20:23], 0 offset:44 ; 4-byte Folded Reload
	s_waitcnt vmcnt(0)
	ds_write2_b64 v125, v[73:74], v[75:76] offset0:72 offset1:73
	ds_read2_b64 v[97:100], v127 offset1:1
	s_waitcnt lgkmcnt(0)
	v_cmp_neq_f64_e32 vcc, 0, v[97:98]
	v_cmp_neq_f64_e64 s[2:3], 0, v[99:100]
	s_or_b64 s[2:3], vcc, s[2:3]
	s_and_b64 exec, exec, s[2:3]
	s_cbranch_execz .LBB73_53
; %bb.48:
	v_cmp_ngt_f64_e64 s[2:3], |v[97:98]|, |v[99:100]|
                                        ; implicit-def: $vgpr101_vgpr102
	s_and_saveexec_b64 s[6:7], s[2:3]
	s_xor_b64 s[2:3], exec, s[6:7]
                                        ; implicit-def: $vgpr103_vgpr104
	s_cbranch_execz .LBB73_50
; %bb.49:
	v_div_scale_f64 v[101:102], s[6:7], v[99:100], v[99:100], v[97:98]
	v_rcp_f64_e32 v[103:104], v[101:102]
	v_fma_f64 v[105:106], -v[101:102], v[103:104], 1.0
	v_fma_f64 v[103:104], v[103:104], v[105:106], v[103:104]
	v_div_scale_f64 v[105:106], vcc, v[97:98], v[99:100], v[97:98]
	v_fma_f64 v[107:108], -v[101:102], v[103:104], 1.0
	v_fma_f64 v[103:104], v[103:104], v[107:108], v[103:104]
	v_mul_f64 v[107:108], v[105:106], v[103:104]
	v_fma_f64 v[101:102], -v[101:102], v[107:108], v[105:106]
	v_div_fmas_f64 v[101:102], v[101:102], v[103:104], v[107:108]
	v_div_fixup_f64 v[101:102], v[101:102], v[99:100], v[97:98]
	v_fma_f64 v[97:98], v[97:98], v[101:102], v[99:100]
	v_div_scale_f64 v[99:100], s[6:7], v[97:98], v[97:98], 1.0
	v_div_scale_f64 v[107:108], vcc, 1.0, v[97:98], 1.0
	v_rcp_f64_e32 v[103:104], v[99:100]
	v_fma_f64 v[105:106], -v[99:100], v[103:104], 1.0
	v_fma_f64 v[103:104], v[103:104], v[105:106], v[103:104]
	v_fma_f64 v[105:106], -v[99:100], v[103:104], 1.0
	v_fma_f64 v[103:104], v[103:104], v[105:106], v[103:104]
	v_mul_f64 v[105:106], v[107:108], v[103:104]
	v_fma_f64 v[99:100], -v[99:100], v[105:106], v[107:108]
	v_div_fmas_f64 v[99:100], v[99:100], v[103:104], v[105:106]
	v_div_fixup_f64 v[103:104], v[99:100], v[97:98], 1.0
                                        ; implicit-def: $vgpr97_vgpr98
	v_mul_f64 v[101:102], v[101:102], v[103:104]
	v_xor_b32_e32 v104, 0x80000000, v104
.LBB73_50:
	s_andn2_saveexec_b64 s[2:3], s[2:3]
	s_cbranch_execz .LBB73_52
; %bb.51:
	v_div_scale_f64 v[101:102], s[6:7], v[97:98], v[97:98], v[99:100]
	v_rcp_f64_e32 v[103:104], v[101:102]
	v_fma_f64 v[105:106], -v[101:102], v[103:104], 1.0
	v_fma_f64 v[103:104], v[103:104], v[105:106], v[103:104]
	v_div_scale_f64 v[105:106], vcc, v[99:100], v[97:98], v[99:100]
	v_fma_f64 v[107:108], -v[101:102], v[103:104], 1.0
	v_fma_f64 v[103:104], v[103:104], v[107:108], v[103:104]
	v_mul_f64 v[107:108], v[105:106], v[103:104]
	v_fma_f64 v[101:102], -v[101:102], v[107:108], v[105:106]
	v_div_fmas_f64 v[101:102], v[101:102], v[103:104], v[107:108]
	v_div_fixup_f64 v[103:104], v[101:102], v[97:98], v[99:100]
	v_fma_f64 v[97:98], v[99:100], v[103:104], v[97:98]
	v_div_scale_f64 v[99:100], s[6:7], v[97:98], v[97:98], 1.0
	v_div_scale_f64 v[107:108], vcc, 1.0, v[97:98], 1.0
	v_rcp_f64_e32 v[101:102], v[99:100]
	v_fma_f64 v[105:106], -v[99:100], v[101:102], 1.0
	v_fma_f64 v[101:102], v[101:102], v[105:106], v[101:102]
	v_fma_f64 v[105:106], -v[99:100], v[101:102], 1.0
	v_fma_f64 v[101:102], v[101:102], v[105:106], v[101:102]
	v_mul_f64 v[105:106], v[107:108], v[101:102]
	v_fma_f64 v[99:100], -v[99:100], v[105:106], v[107:108]
	v_div_fmas_f64 v[99:100], v[99:100], v[101:102], v[105:106]
	v_div_fixup_f64 v[101:102], v[99:100], v[97:98], 1.0
	v_mul_f64 v[103:104], v[103:104], -v[101:102]
.LBB73_52:
	s_or_b64 exec, exec, s[2:3]
	ds_write2_b64 v127, v[101:102], v[103:104] offset1:1
.LBB73_53:
	s_or_b64 exec, exec, s[4:5]
	s_waitcnt lgkmcnt(0)
	s_barrier
	ds_read2_b64 v[73:76], v127 offset1:1
	v_cmp_lt_u32_e32 vcc, 5, v0
	s_waitcnt lgkmcnt(0)
	buffer_store_dword v73, off, s[20:23], 0 offset:616 ; 4-byte Folded Spill
	s_nop 0
	buffer_store_dword v74, off, s[20:23], 0 offset:620 ; 4-byte Folded Spill
	buffer_store_dword v75, off, s[20:23], 0 offset:624 ; 4-byte Folded Spill
	;; [unrolled: 1-line block ×3, first 2 shown]
	s_and_saveexec_b64 s[2:3], vcc
	s_cbranch_execz .LBB73_55
; %bb.54:
	buffer_load_dword v113, off, s[20:23], 0 offset:96 ; 4-byte Folded Reload
	buffer_load_dword v114, off, s[20:23], 0 offset:100 ; 4-byte Folded Reload
	buffer_load_dword v115, off, s[20:23], 0 offset:104 ; 4-byte Folded Reload
	buffer_load_dword v116, off, s[20:23], 0 offset:108 ; 4-byte Folded Reload
	buffer_load_dword v73, off, s[20:23], 0 offset:616 ; 4-byte Folded Reload
	buffer_load_dword v74, off, s[20:23], 0 offset:620 ; 4-byte Folded Reload
	buffer_load_dword v75, off, s[20:23], 0 offset:624 ; 4-byte Folded Reload
	buffer_load_dword v76, off, s[20:23], 0 offset:628 ; 4-byte Folded Reload
	s_waitcnt vmcnt(2)
	v_mul_f64 v[99:100], v[73:74], v[115:116]
	s_waitcnt vmcnt(0)
	v_mul_f64 v[97:98], v[75:76], v[115:116]
	v_fma_f64 v[115:116], v[75:76], v[113:114], v[99:100]
	ds_read2_b64 v[99:102], v125 offset0:12 offset1:13
	v_fma_f64 v[97:98], v[73:74], v[113:114], -v[97:98]
	buffer_load_dword v73, off, s[20:23], 0 offset:80 ; 4-byte Folded Reload
	buffer_load_dword v74, off, s[20:23], 0 offset:84 ; 4-byte Folded Reload
	;; [unrolled: 1-line block ×4, first 2 shown]
	s_waitcnt lgkmcnt(0)
	v_mul_f64 v[103:104], v[101:102], v[115:116]
	v_mov_b32_e32 v114, v98
	v_mov_b32_e32 v113, v97
	v_fma_f64 v[103:104], v[99:100], v[97:98], -v[103:104]
	v_mul_f64 v[99:100], v[99:100], v[115:116]
	v_fma_f64 v[99:100], v[101:102], v[97:98], v[99:100]
	s_waitcnt vmcnt(2)
	v_add_f64 v[73:74], v[73:74], -v[103:104]
	s_waitcnt vmcnt(0)
	v_add_f64 v[75:76], v[75:76], -v[99:100]
	buffer_store_dword v73, off, s[20:23], 0 offset:80 ; 4-byte Folded Spill
	s_nop 0
	buffer_store_dword v74, off, s[20:23], 0 offset:84 ; 4-byte Folded Spill
	buffer_store_dword v75, off, s[20:23], 0 offset:88 ; 4-byte Folded Spill
	;; [unrolled: 1-line block ×3, first 2 shown]
	ds_read2_b64 v[99:102], v125 offset0:14 offset1:15
	s_waitcnt lgkmcnt(0)
	v_mul_f64 v[103:104], v[101:102], v[115:116]
	v_fma_f64 v[103:104], v[99:100], v[97:98], -v[103:104]
	v_mul_f64 v[99:100], v[99:100], v[115:116]
	v_add_f64 v[89:90], v[89:90], -v[103:104]
	v_fma_f64 v[99:100], v[101:102], v[97:98], v[99:100]
	v_add_f64 v[91:92], v[91:92], -v[99:100]
	ds_read2_b64 v[99:102], v125 offset0:16 offset1:17
	s_waitcnt lgkmcnt(0)
	v_mul_f64 v[103:104], v[101:102], v[115:116]
	v_fma_f64 v[103:104], v[99:100], v[97:98], -v[103:104]
	v_mul_f64 v[99:100], v[99:100], v[115:116]
	v_add_f64 v[85:86], v[85:86], -v[103:104]
	v_fma_f64 v[99:100], v[101:102], v[97:98], v[99:100]
	v_add_f64 v[87:88], v[87:88], -v[99:100]
	ds_read2_b64 v[99:102], v125 offset0:18 offset1:19
	buffer_load_dword v73, off, s[20:23], 0 offset:64 ; 4-byte Folded Reload
	buffer_load_dword v74, off, s[20:23], 0 offset:68 ; 4-byte Folded Reload
	;; [unrolled: 1-line block ×4, first 2 shown]
	s_waitcnt lgkmcnt(0)
	v_mul_f64 v[103:104], v[101:102], v[115:116]
	v_fma_f64 v[103:104], v[99:100], v[97:98], -v[103:104]
	v_mul_f64 v[99:100], v[99:100], v[115:116]
	v_fma_f64 v[99:100], v[101:102], v[97:98], v[99:100]
	s_waitcnt vmcnt(2)
	v_add_f64 v[73:74], v[73:74], -v[103:104]
	s_waitcnt vmcnt(0)
	v_add_f64 v[75:76], v[75:76], -v[99:100]
	buffer_store_dword v73, off, s[20:23], 0 offset:64 ; 4-byte Folded Spill
	s_nop 0
	buffer_store_dword v74, off, s[20:23], 0 offset:68 ; 4-byte Folded Spill
	buffer_store_dword v75, off, s[20:23], 0 offset:72 ; 4-byte Folded Spill
	;; [unrolled: 1-line block ×3, first 2 shown]
	ds_read2_b64 v[99:102], v125 offset0:20 offset1:21
	s_waitcnt lgkmcnt(0)
	v_mul_f64 v[103:104], v[101:102], v[115:116]
	v_fma_f64 v[103:104], v[99:100], v[97:98], -v[103:104]
	v_mul_f64 v[99:100], v[99:100], v[115:116]
	v_add_f64 v[81:82], v[81:82], -v[103:104]
	v_fma_f64 v[99:100], v[101:102], v[97:98], v[99:100]
	v_add_f64 v[83:84], v[83:84], -v[99:100]
	ds_read2_b64 v[99:102], v125 offset0:22 offset1:23
	s_waitcnt lgkmcnt(0)
	v_mul_f64 v[103:104], v[101:102], v[115:116]
	v_fma_f64 v[103:104], v[99:100], v[97:98], -v[103:104]
	v_mul_f64 v[99:100], v[99:100], v[115:116]
	v_add_f64 v[121:122], v[121:122], -v[103:104]
	v_fma_f64 v[99:100], v[101:102], v[97:98], v[99:100]
	v_add_f64 v[123:124], v[123:124], -v[99:100]
	;; [unrolled: 8-line block ×4, first 2 shown]
	ds_read2_b64 v[99:102], v125 offset0:28 offset1:29
	buffer_load_dword v105, off, s[20:23], 0 offset:48 ; 4-byte Folded Reload
	buffer_load_dword v106, off, s[20:23], 0 offset:52 ; 4-byte Folded Reload
	;; [unrolled: 1-line block ×4, first 2 shown]
	s_waitcnt lgkmcnt(0)
	v_mul_f64 v[103:104], v[101:102], v[115:116]
	v_fma_f64 v[103:104], v[99:100], v[97:98], -v[103:104]
	v_mul_f64 v[99:100], v[99:100], v[115:116]
	v_fma_f64 v[99:100], v[101:102], v[97:98], v[99:100]
	s_waitcnt vmcnt(2)
	v_add_f64 v[105:106], v[105:106], -v[103:104]
	s_waitcnt vmcnt(0)
	v_add_f64 v[107:108], v[107:108], -v[99:100]
	buffer_store_dword v105, off, s[20:23], 0 offset:48 ; 4-byte Folded Spill
	s_nop 0
	buffer_store_dword v106, off, s[20:23], 0 offset:52 ; 4-byte Folded Spill
	buffer_store_dword v107, off, s[20:23], 0 offset:56 ; 4-byte Folded Spill
	;; [unrolled: 1-line block ×3, first 2 shown]
	ds_read2_b64 v[99:102], v125 offset0:30 offset1:31
	s_waitcnt lgkmcnt(0)
	v_mul_f64 v[103:104], v[101:102], v[115:116]
	v_fma_f64 v[103:104], v[99:100], v[97:98], -v[103:104]
	v_mul_f64 v[99:100], v[99:100], v[115:116]
	v_add_f64 v[93:94], v[93:94], -v[103:104]
	v_fma_f64 v[99:100], v[101:102], v[97:98], v[99:100]
	v_add_f64 v[95:96], v[95:96], -v[99:100]
	ds_read2_b64 v[99:102], v125 offset0:32 offset1:33
	buffer_load_dword v77, off, s[20:23], 0 offset:16 ; 4-byte Folded Reload
	buffer_load_dword v78, off, s[20:23], 0 offset:20 ; 4-byte Folded Reload
	;; [unrolled: 1-line block ×4, first 2 shown]
	s_waitcnt lgkmcnt(0)
	v_mul_f64 v[103:104], v[101:102], v[115:116]
	v_fma_f64 v[103:104], v[99:100], v[97:98], -v[103:104]
	v_mul_f64 v[99:100], v[99:100], v[115:116]
	v_fma_f64 v[99:100], v[101:102], v[97:98], v[99:100]
	s_waitcnt vmcnt(2)
	v_add_f64 v[77:78], v[77:78], -v[103:104]
	s_waitcnt vmcnt(0)
	v_add_f64 v[79:80], v[79:80], -v[99:100]
	buffer_store_dword v77, off, s[20:23], 0 offset:16 ; 4-byte Folded Spill
	s_nop 0
	buffer_store_dword v78, off, s[20:23], 0 offset:20 ; 4-byte Folded Spill
	buffer_store_dword v79, off, s[20:23], 0 offset:24 ; 4-byte Folded Spill
	;; [unrolled: 1-line block ×3, first 2 shown]
	ds_read2_b64 v[99:102], v125 offset0:34 offset1:35
	buffer_load_dword v73, off, s[20:23], 0 ; 4-byte Folded Reload
	buffer_load_dword v74, off, s[20:23], 0 offset:4 ; 4-byte Folded Reload
	buffer_load_dword v75, off, s[20:23], 0 offset:8 ; 4-byte Folded Reload
	;; [unrolled: 1-line block ×3, first 2 shown]
	s_waitcnt lgkmcnt(0)
	v_mul_f64 v[103:104], v[101:102], v[115:116]
	v_fma_f64 v[103:104], v[99:100], v[97:98], -v[103:104]
	v_mul_f64 v[99:100], v[99:100], v[115:116]
	v_fma_f64 v[99:100], v[101:102], v[97:98], v[99:100]
	s_waitcnt vmcnt(2)
	v_add_f64 v[73:74], v[73:74], -v[103:104]
	s_waitcnt vmcnt(0)
	v_add_f64 v[75:76], v[75:76], -v[99:100]
	buffer_store_dword v73, off, s[20:23], 0 ; 4-byte Folded Spill
	s_nop 0
	buffer_store_dword v74, off, s[20:23], 0 offset:4 ; 4-byte Folded Spill
	buffer_store_dword v75, off, s[20:23], 0 offset:8 ; 4-byte Folded Spill
	;; [unrolled: 1-line block ×3, first 2 shown]
	ds_read2_b64 v[99:102], v125 offset0:36 offset1:37
	s_waitcnt lgkmcnt(0)
	v_mul_f64 v[103:104], v[101:102], v[115:116]
	v_fma_f64 v[103:104], v[99:100], v[97:98], -v[103:104]
	v_mul_f64 v[99:100], v[99:100], v[115:116]
	v_add_f64 v[69:70], v[69:70], -v[103:104]
	v_fma_f64 v[99:100], v[101:102], v[97:98], v[99:100]
	v_add_f64 v[71:72], v[71:72], -v[99:100]
	ds_read2_b64 v[99:102], v125 offset0:38 offset1:39
	s_waitcnt lgkmcnt(0)
	v_mul_f64 v[103:104], v[101:102], v[115:116]
	v_fma_f64 v[103:104], v[99:100], v[97:98], -v[103:104]
	v_mul_f64 v[99:100], v[99:100], v[115:116]
	v_add_f64 v[65:66], v[65:66], -v[103:104]
	v_fma_f64 v[99:100], v[101:102], v[97:98], v[99:100]
	v_add_f64 v[67:68], v[67:68], -v[99:100]
	;; [unrolled: 8-line block ×18, first 2 shown]
	ds_read2_b64 v[99:102], v125 offset0:72 offset1:73
	buffer_load_dword v73, off, s[20:23], 0 offset:32 ; 4-byte Folded Reload
	buffer_load_dword v74, off, s[20:23], 0 offset:36 ; 4-byte Folded Reload
	;; [unrolled: 1-line block ×4, first 2 shown]
	s_waitcnt lgkmcnt(0)
	v_mul_f64 v[103:104], v[101:102], v[115:116]
	v_fma_f64 v[103:104], v[99:100], v[97:98], -v[103:104]
	v_mul_f64 v[99:100], v[99:100], v[115:116]
	v_fma_f64 v[99:100], v[101:102], v[97:98], v[99:100]
	s_waitcnt vmcnt(2)
	v_add_f64 v[73:74], v[73:74], -v[103:104]
	s_waitcnt vmcnt(0)
	v_add_f64 v[75:76], v[75:76], -v[99:100]
	buffer_store_dword v73, off, s[20:23], 0 offset:32 ; 4-byte Folded Spill
	s_nop 0
	buffer_store_dword v74, off, s[20:23], 0 offset:36 ; 4-byte Folded Spill
	buffer_store_dword v75, off, s[20:23], 0 offset:40 ; 4-byte Folded Spill
	buffer_store_dword v76, off, s[20:23], 0 offset:44 ; 4-byte Folded Spill
	buffer_store_dword v113, off, s[20:23], 0 offset:96 ; 4-byte Folded Spill
	s_nop 0
	buffer_store_dword v114, off, s[20:23], 0 offset:100 ; 4-byte Folded Spill
	buffer_store_dword v115, off, s[20:23], 0 offset:104 ; 4-byte Folded Spill
	;; [unrolled: 1-line block ×3, first 2 shown]
.LBB73_55:
	s_or_b64 exec, exec, s[2:3]
	v_cmp_eq_u32_e32 vcc, 6, v0
	s_waitcnt vmcnt(0)
	s_barrier
	s_and_saveexec_b64 s[4:5], vcc
	s_cbranch_execz .LBB73_62
; %bb.56:
	buffer_load_dword v73, off, s[20:23], 0 offset:80 ; 4-byte Folded Reload
	buffer_load_dword v74, off, s[20:23], 0 offset:84 ; 4-byte Folded Reload
	;; [unrolled: 1-line block ×4, first 2 shown]
	s_waitcnt vmcnt(0)
	ds_write2_b64 v127, v[73:74], v[75:76] offset1:1
	ds_write2_b64 v125, v[89:90], v[91:92] offset0:14 offset1:15
	ds_write2_b64 v125, v[85:86], v[87:88] offset0:16 offset1:17
	buffer_load_dword v73, off, s[20:23], 0 offset:64 ; 4-byte Folded Reload
	buffer_load_dword v74, off, s[20:23], 0 offset:68 ; 4-byte Folded Reload
	buffer_load_dword v75, off, s[20:23], 0 offset:72 ; 4-byte Folded Reload
	buffer_load_dword v76, off, s[20:23], 0 offset:76 ; 4-byte Folded Reload
	s_waitcnt vmcnt(0)
	ds_write2_b64 v125, v[73:74], v[75:76] offset0:18 offset1:19
	ds_write2_b64 v125, v[81:82], v[83:84] offset0:20 offset1:21
	;; [unrolled: 1-line block ×5, first 2 shown]
	buffer_load_dword v97, off, s[20:23], 0 offset:48 ; 4-byte Folded Reload
	buffer_load_dword v98, off, s[20:23], 0 offset:52 ; 4-byte Folded Reload
	;; [unrolled: 1-line block ×4, first 2 shown]
	s_waitcnt vmcnt(0)
	ds_write2_b64 v125, v[97:98], v[99:100] offset0:28 offset1:29
	ds_write2_b64 v125, v[93:94], v[95:96] offset0:30 offset1:31
	buffer_load_dword v77, off, s[20:23], 0 offset:16 ; 4-byte Folded Reload
	buffer_load_dword v78, off, s[20:23], 0 offset:20 ; 4-byte Folded Reload
	;; [unrolled: 1-line block ×4, first 2 shown]
	s_waitcnt vmcnt(0)
	ds_write2_b64 v125, v[77:78], v[79:80] offset0:32 offset1:33
	buffer_load_dword v73, off, s[20:23], 0 ; 4-byte Folded Reload
	buffer_load_dword v74, off, s[20:23], 0 offset:4 ; 4-byte Folded Reload
	buffer_load_dword v75, off, s[20:23], 0 offset:8 ; 4-byte Folded Reload
	buffer_load_dword v76, off, s[20:23], 0 offset:12 ; 4-byte Folded Reload
	s_waitcnt vmcnt(0)
	ds_write2_b64 v125, v[73:74], v[75:76] offset0:34 offset1:35
	ds_write2_b64 v125, v[69:70], v[71:72] offset0:36 offset1:37
	;; [unrolled: 1-line block ×19, first 2 shown]
	buffer_load_dword v73, off, s[20:23], 0 offset:32 ; 4-byte Folded Reload
	buffer_load_dword v74, off, s[20:23], 0 offset:36 ; 4-byte Folded Reload
	;; [unrolled: 1-line block ×4, first 2 shown]
	s_waitcnt vmcnt(0)
	ds_write2_b64 v125, v[73:74], v[75:76] offset0:72 offset1:73
	ds_read2_b64 v[97:100], v127 offset1:1
	s_waitcnt lgkmcnt(0)
	v_cmp_neq_f64_e32 vcc, 0, v[97:98]
	v_cmp_neq_f64_e64 s[2:3], 0, v[99:100]
	s_or_b64 s[2:3], vcc, s[2:3]
	s_and_b64 exec, exec, s[2:3]
	s_cbranch_execz .LBB73_62
; %bb.57:
	v_cmp_ngt_f64_e64 s[2:3], |v[97:98]|, |v[99:100]|
                                        ; implicit-def: $vgpr101_vgpr102
	s_and_saveexec_b64 s[6:7], s[2:3]
	s_xor_b64 s[2:3], exec, s[6:7]
                                        ; implicit-def: $vgpr103_vgpr104
	s_cbranch_execz .LBB73_59
; %bb.58:
	v_div_scale_f64 v[101:102], s[6:7], v[99:100], v[99:100], v[97:98]
	v_rcp_f64_e32 v[103:104], v[101:102]
	v_fma_f64 v[105:106], -v[101:102], v[103:104], 1.0
	v_fma_f64 v[103:104], v[103:104], v[105:106], v[103:104]
	v_div_scale_f64 v[105:106], vcc, v[97:98], v[99:100], v[97:98]
	v_fma_f64 v[107:108], -v[101:102], v[103:104], 1.0
	v_fma_f64 v[103:104], v[103:104], v[107:108], v[103:104]
	v_mul_f64 v[107:108], v[105:106], v[103:104]
	v_fma_f64 v[101:102], -v[101:102], v[107:108], v[105:106]
	v_div_fmas_f64 v[101:102], v[101:102], v[103:104], v[107:108]
	v_div_fixup_f64 v[101:102], v[101:102], v[99:100], v[97:98]
	v_fma_f64 v[97:98], v[97:98], v[101:102], v[99:100]
	v_div_scale_f64 v[99:100], s[6:7], v[97:98], v[97:98], 1.0
	v_div_scale_f64 v[107:108], vcc, 1.0, v[97:98], 1.0
	v_rcp_f64_e32 v[103:104], v[99:100]
	v_fma_f64 v[105:106], -v[99:100], v[103:104], 1.0
	v_fma_f64 v[103:104], v[103:104], v[105:106], v[103:104]
	v_fma_f64 v[105:106], -v[99:100], v[103:104], 1.0
	v_fma_f64 v[103:104], v[103:104], v[105:106], v[103:104]
	v_mul_f64 v[105:106], v[107:108], v[103:104]
	v_fma_f64 v[99:100], -v[99:100], v[105:106], v[107:108]
	v_div_fmas_f64 v[99:100], v[99:100], v[103:104], v[105:106]
	v_div_fixup_f64 v[103:104], v[99:100], v[97:98], 1.0
                                        ; implicit-def: $vgpr97_vgpr98
	v_mul_f64 v[101:102], v[101:102], v[103:104]
	v_xor_b32_e32 v104, 0x80000000, v104
.LBB73_59:
	s_andn2_saveexec_b64 s[2:3], s[2:3]
	s_cbranch_execz .LBB73_61
; %bb.60:
	v_div_scale_f64 v[101:102], s[6:7], v[97:98], v[97:98], v[99:100]
	v_rcp_f64_e32 v[103:104], v[101:102]
	v_fma_f64 v[105:106], -v[101:102], v[103:104], 1.0
	v_fma_f64 v[103:104], v[103:104], v[105:106], v[103:104]
	v_div_scale_f64 v[105:106], vcc, v[99:100], v[97:98], v[99:100]
	v_fma_f64 v[107:108], -v[101:102], v[103:104], 1.0
	v_fma_f64 v[103:104], v[103:104], v[107:108], v[103:104]
	v_mul_f64 v[107:108], v[105:106], v[103:104]
	v_fma_f64 v[101:102], -v[101:102], v[107:108], v[105:106]
	v_div_fmas_f64 v[101:102], v[101:102], v[103:104], v[107:108]
	v_div_fixup_f64 v[103:104], v[101:102], v[97:98], v[99:100]
	v_fma_f64 v[97:98], v[99:100], v[103:104], v[97:98]
	v_div_scale_f64 v[99:100], s[6:7], v[97:98], v[97:98], 1.0
	v_div_scale_f64 v[107:108], vcc, 1.0, v[97:98], 1.0
	v_rcp_f64_e32 v[101:102], v[99:100]
	v_fma_f64 v[105:106], -v[99:100], v[101:102], 1.0
	v_fma_f64 v[101:102], v[101:102], v[105:106], v[101:102]
	v_fma_f64 v[105:106], -v[99:100], v[101:102], 1.0
	v_fma_f64 v[101:102], v[101:102], v[105:106], v[101:102]
	v_mul_f64 v[105:106], v[107:108], v[101:102]
	v_fma_f64 v[99:100], -v[99:100], v[105:106], v[107:108]
	v_div_fmas_f64 v[99:100], v[99:100], v[101:102], v[105:106]
	v_div_fixup_f64 v[101:102], v[99:100], v[97:98], 1.0
	v_mul_f64 v[103:104], v[103:104], -v[101:102]
.LBB73_61:
	s_or_b64 exec, exec, s[2:3]
	ds_write2_b64 v127, v[101:102], v[103:104] offset1:1
.LBB73_62:
	s_or_b64 exec, exec, s[4:5]
	s_waitcnt lgkmcnt(0)
	s_barrier
	ds_read2_b64 v[73:76], v127 offset1:1
	v_cmp_lt_u32_e32 vcc, 6, v0
	s_waitcnt lgkmcnt(0)
	buffer_store_dword v73, off, s[20:23], 0 offset:632 ; 4-byte Folded Spill
	s_nop 0
	buffer_store_dword v74, off, s[20:23], 0 offset:636 ; 4-byte Folded Spill
	buffer_store_dword v75, off, s[20:23], 0 offset:640 ; 4-byte Folded Spill
	;; [unrolled: 1-line block ×3, first 2 shown]
	s_and_saveexec_b64 s[2:3], vcc
	s_cbranch_execz .LBB73_64
; %bb.63:
	buffer_load_dword v113, off, s[20:23], 0 offset:80 ; 4-byte Folded Reload
	buffer_load_dword v114, off, s[20:23], 0 offset:84 ; 4-byte Folded Reload
	;; [unrolled: 1-line block ×8, first 2 shown]
	s_waitcnt vmcnt(2)
	v_mul_f64 v[99:100], v[73:74], v[115:116]
	s_waitcnt vmcnt(0)
	v_mul_f64 v[97:98], v[75:76], v[115:116]
	v_fma_f64 v[115:116], v[75:76], v[113:114], v[99:100]
	ds_read2_b64 v[99:102], v125 offset0:14 offset1:15
	v_fma_f64 v[97:98], v[73:74], v[113:114], -v[97:98]
	s_waitcnt lgkmcnt(0)
	v_mul_f64 v[103:104], v[101:102], v[115:116]
	v_mov_b32_e32 v114, v98
	v_mov_b32_e32 v113, v97
	v_fma_f64 v[103:104], v[99:100], v[97:98], -v[103:104]
	v_mul_f64 v[99:100], v[99:100], v[115:116]
	v_add_f64 v[89:90], v[89:90], -v[103:104]
	v_fma_f64 v[99:100], v[101:102], v[97:98], v[99:100]
	v_add_f64 v[91:92], v[91:92], -v[99:100]
	ds_read2_b64 v[99:102], v125 offset0:16 offset1:17
	s_waitcnt lgkmcnt(0)
	v_mul_f64 v[103:104], v[101:102], v[115:116]
	v_fma_f64 v[103:104], v[99:100], v[97:98], -v[103:104]
	v_mul_f64 v[99:100], v[99:100], v[115:116]
	v_add_f64 v[85:86], v[85:86], -v[103:104]
	v_fma_f64 v[99:100], v[101:102], v[97:98], v[99:100]
	v_add_f64 v[87:88], v[87:88], -v[99:100]
	ds_read2_b64 v[99:102], v125 offset0:18 offset1:19
	buffer_load_dword v73, off, s[20:23], 0 offset:64 ; 4-byte Folded Reload
	buffer_load_dword v74, off, s[20:23], 0 offset:68 ; 4-byte Folded Reload
	;; [unrolled: 1-line block ×4, first 2 shown]
	s_waitcnt lgkmcnt(0)
	v_mul_f64 v[103:104], v[101:102], v[115:116]
	v_fma_f64 v[103:104], v[99:100], v[97:98], -v[103:104]
	v_mul_f64 v[99:100], v[99:100], v[115:116]
	v_fma_f64 v[99:100], v[101:102], v[97:98], v[99:100]
	s_waitcnt vmcnt(2)
	v_add_f64 v[73:74], v[73:74], -v[103:104]
	s_waitcnt vmcnt(0)
	v_add_f64 v[75:76], v[75:76], -v[99:100]
	buffer_store_dword v73, off, s[20:23], 0 offset:64 ; 4-byte Folded Spill
	s_nop 0
	buffer_store_dword v74, off, s[20:23], 0 offset:68 ; 4-byte Folded Spill
	buffer_store_dword v75, off, s[20:23], 0 offset:72 ; 4-byte Folded Spill
	;; [unrolled: 1-line block ×3, first 2 shown]
	ds_read2_b64 v[99:102], v125 offset0:20 offset1:21
	s_waitcnt lgkmcnt(0)
	v_mul_f64 v[103:104], v[101:102], v[115:116]
	v_fma_f64 v[103:104], v[99:100], v[97:98], -v[103:104]
	v_mul_f64 v[99:100], v[99:100], v[115:116]
	v_add_f64 v[81:82], v[81:82], -v[103:104]
	v_fma_f64 v[99:100], v[101:102], v[97:98], v[99:100]
	v_add_f64 v[83:84], v[83:84], -v[99:100]
	ds_read2_b64 v[99:102], v125 offset0:22 offset1:23
	s_waitcnt lgkmcnt(0)
	v_mul_f64 v[103:104], v[101:102], v[115:116]
	v_fma_f64 v[103:104], v[99:100], v[97:98], -v[103:104]
	v_mul_f64 v[99:100], v[99:100], v[115:116]
	v_add_f64 v[121:122], v[121:122], -v[103:104]
	v_fma_f64 v[99:100], v[101:102], v[97:98], v[99:100]
	v_add_f64 v[123:124], v[123:124], -v[99:100]
	;; [unrolled: 8-line block ×4, first 2 shown]
	ds_read2_b64 v[99:102], v125 offset0:28 offset1:29
	buffer_load_dword v105, off, s[20:23], 0 offset:48 ; 4-byte Folded Reload
	buffer_load_dword v106, off, s[20:23], 0 offset:52 ; 4-byte Folded Reload
	;; [unrolled: 1-line block ×4, first 2 shown]
	s_waitcnt lgkmcnt(0)
	v_mul_f64 v[103:104], v[101:102], v[115:116]
	v_fma_f64 v[103:104], v[99:100], v[97:98], -v[103:104]
	v_mul_f64 v[99:100], v[99:100], v[115:116]
	v_fma_f64 v[99:100], v[101:102], v[97:98], v[99:100]
	s_waitcnt vmcnt(2)
	v_add_f64 v[105:106], v[105:106], -v[103:104]
	s_waitcnt vmcnt(0)
	v_add_f64 v[107:108], v[107:108], -v[99:100]
	buffer_store_dword v105, off, s[20:23], 0 offset:48 ; 4-byte Folded Spill
	s_nop 0
	buffer_store_dword v106, off, s[20:23], 0 offset:52 ; 4-byte Folded Spill
	buffer_store_dword v107, off, s[20:23], 0 offset:56 ; 4-byte Folded Spill
	;; [unrolled: 1-line block ×3, first 2 shown]
	ds_read2_b64 v[99:102], v125 offset0:30 offset1:31
	s_waitcnt lgkmcnt(0)
	v_mul_f64 v[103:104], v[101:102], v[115:116]
	v_fma_f64 v[103:104], v[99:100], v[97:98], -v[103:104]
	v_mul_f64 v[99:100], v[99:100], v[115:116]
	v_add_f64 v[93:94], v[93:94], -v[103:104]
	v_fma_f64 v[99:100], v[101:102], v[97:98], v[99:100]
	v_add_f64 v[95:96], v[95:96], -v[99:100]
	ds_read2_b64 v[99:102], v125 offset0:32 offset1:33
	buffer_load_dword v77, off, s[20:23], 0 offset:16 ; 4-byte Folded Reload
	buffer_load_dword v78, off, s[20:23], 0 offset:20 ; 4-byte Folded Reload
	buffer_load_dword v79, off, s[20:23], 0 offset:24 ; 4-byte Folded Reload
	buffer_load_dword v80, off, s[20:23], 0 offset:28 ; 4-byte Folded Reload
	s_waitcnt lgkmcnt(0)
	v_mul_f64 v[103:104], v[101:102], v[115:116]
	v_fma_f64 v[103:104], v[99:100], v[97:98], -v[103:104]
	v_mul_f64 v[99:100], v[99:100], v[115:116]
	v_fma_f64 v[99:100], v[101:102], v[97:98], v[99:100]
	s_waitcnt vmcnt(2)
	v_add_f64 v[77:78], v[77:78], -v[103:104]
	s_waitcnt vmcnt(0)
	v_add_f64 v[79:80], v[79:80], -v[99:100]
	buffer_store_dword v77, off, s[20:23], 0 offset:16 ; 4-byte Folded Spill
	s_nop 0
	buffer_store_dword v78, off, s[20:23], 0 offset:20 ; 4-byte Folded Spill
	buffer_store_dword v79, off, s[20:23], 0 offset:24 ; 4-byte Folded Spill
	;; [unrolled: 1-line block ×3, first 2 shown]
	ds_read2_b64 v[99:102], v125 offset0:34 offset1:35
	buffer_load_dword v73, off, s[20:23], 0 ; 4-byte Folded Reload
	buffer_load_dword v74, off, s[20:23], 0 offset:4 ; 4-byte Folded Reload
	buffer_load_dword v75, off, s[20:23], 0 offset:8 ; 4-byte Folded Reload
	;; [unrolled: 1-line block ×3, first 2 shown]
	s_waitcnt lgkmcnt(0)
	v_mul_f64 v[103:104], v[101:102], v[115:116]
	v_fma_f64 v[103:104], v[99:100], v[97:98], -v[103:104]
	v_mul_f64 v[99:100], v[99:100], v[115:116]
	v_fma_f64 v[99:100], v[101:102], v[97:98], v[99:100]
	s_waitcnt vmcnt(2)
	v_add_f64 v[73:74], v[73:74], -v[103:104]
	s_waitcnt vmcnt(0)
	v_add_f64 v[75:76], v[75:76], -v[99:100]
	buffer_store_dword v73, off, s[20:23], 0 ; 4-byte Folded Spill
	s_nop 0
	buffer_store_dword v74, off, s[20:23], 0 offset:4 ; 4-byte Folded Spill
	buffer_store_dword v75, off, s[20:23], 0 offset:8 ; 4-byte Folded Spill
	;; [unrolled: 1-line block ×3, first 2 shown]
	ds_read2_b64 v[99:102], v125 offset0:36 offset1:37
	s_waitcnt lgkmcnt(0)
	v_mul_f64 v[103:104], v[101:102], v[115:116]
	v_fma_f64 v[103:104], v[99:100], v[97:98], -v[103:104]
	v_mul_f64 v[99:100], v[99:100], v[115:116]
	v_add_f64 v[69:70], v[69:70], -v[103:104]
	v_fma_f64 v[99:100], v[101:102], v[97:98], v[99:100]
	v_add_f64 v[71:72], v[71:72], -v[99:100]
	ds_read2_b64 v[99:102], v125 offset0:38 offset1:39
	s_waitcnt lgkmcnt(0)
	v_mul_f64 v[103:104], v[101:102], v[115:116]
	v_fma_f64 v[103:104], v[99:100], v[97:98], -v[103:104]
	v_mul_f64 v[99:100], v[99:100], v[115:116]
	v_add_f64 v[65:66], v[65:66], -v[103:104]
	v_fma_f64 v[99:100], v[101:102], v[97:98], v[99:100]
	v_add_f64 v[67:68], v[67:68], -v[99:100]
	;; [unrolled: 8-line block ×18, first 2 shown]
	ds_read2_b64 v[99:102], v125 offset0:72 offset1:73
	buffer_load_dword v73, off, s[20:23], 0 offset:32 ; 4-byte Folded Reload
	buffer_load_dword v74, off, s[20:23], 0 offset:36 ; 4-byte Folded Reload
	;; [unrolled: 1-line block ×4, first 2 shown]
	s_waitcnt lgkmcnt(0)
	v_mul_f64 v[103:104], v[101:102], v[115:116]
	v_fma_f64 v[103:104], v[99:100], v[97:98], -v[103:104]
	v_mul_f64 v[99:100], v[99:100], v[115:116]
	v_fma_f64 v[99:100], v[101:102], v[97:98], v[99:100]
	s_waitcnt vmcnt(2)
	v_add_f64 v[73:74], v[73:74], -v[103:104]
	s_waitcnt vmcnt(0)
	v_add_f64 v[75:76], v[75:76], -v[99:100]
	buffer_store_dword v73, off, s[20:23], 0 offset:32 ; 4-byte Folded Spill
	s_nop 0
	buffer_store_dword v74, off, s[20:23], 0 offset:36 ; 4-byte Folded Spill
	buffer_store_dword v75, off, s[20:23], 0 offset:40 ; 4-byte Folded Spill
	;; [unrolled: 1-line block ×4, first 2 shown]
	s_nop 0
	buffer_store_dword v114, off, s[20:23], 0 offset:84 ; 4-byte Folded Spill
	buffer_store_dword v115, off, s[20:23], 0 offset:88 ; 4-byte Folded Spill
	;; [unrolled: 1-line block ×3, first 2 shown]
.LBB73_64:
	s_or_b64 exec, exec, s[2:3]
	v_cmp_eq_u32_e32 vcc, 7, v0
	s_waitcnt vmcnt(0)
	s_barrier
	s_and_saveexec_b64 s[4:5], vcc
	s_cbranch_execz .LBB73_71
; %bb.65:
	ds_write2_b64 v127, v[89:90], v[91:92] offset1:1
	ds_write2_b64 v125, v[85:86], v[87:88] offset0:16 offset1:17
	buffer_load_dword v73, off, s[20:23], 0 offset:64 ; 4-byte Folded Reload
	buffer_load_dword v74, off, s[20:23], 0 offset:68 ; 4-byte Folded Reload
	;; [unrolled: 1-line block ×4, first 2 shown]
	s_waitcnt vmcnt(0)
	ds_write2_b64 v125, v[73:74], v[75:76] offset0:18 offset1:19
	ds_write2_b64 v125, v[81:82], v[83:84] offset0:20 offset1:21
	;; [unrolled: 1-line block ×5, first 2 shown]
	buffer_load_dword v97, off, s[20:23], 0 offset:48 ; 4-byte Folded Reload
	buffer_load_dword v98, off, s[20:23], 0 offset:52 ; 4-byte Folded Reload
	;; [unrolled: 1-line block ×4, first 2 shown]
	s_waitcnt vmcnt(0)
	ds_write2_b64 v125, v[97:98], v[99:100] offset0:28 offset1:29
	ds_write2_b64 v125, v[93:94], v[95:96] offset0:30 offset1:31
	buffer_load_dword v77, off, s[20:23], 0 offset:16 ; 4-byte Folded Reload
	buffer_load_dword v78, off, s[20:23], 0 offset:20 ; 4-byte Folded Reload
	;; [unrolled: 1-line block ×4, first 2 shown]
	s_waitcnt vmcnt(0)
	ds_write2_b64 v125, v[77:78], v[79:80] offset0:32 offset1:33
	buffer_load_dword v73, off, s[20:23], 0 ; 4-byte Folded Reload
	buffer_load_dword v74, off, s[20:23], 0 offset:4 ; 4-byte Folded Reload
	buffer_load_dword v75, off, s[20:23], 0 offset:8 ; 4-byte Folded Reload
	;; [unrolled: 1-line block ×3, first 2 shown]
	s_waitcnt vmcnt(0)
	ds_write2_b64 v125, v[73:74], v[75:76] offset0:34 offset1:35
	ds_write2_b64 v125, v[69:70], v[71:72] offset0:36 offset1:37
	;; [unrolled: 1-line block ×19, first 2 shown]
	buffer_load_dword v73, off, s[20:23], 0 offset:32 ; 4-byte Folded Reload
	buffer_load_dword v74, off, s[20:23], 0 offset:36 ; 4-byte Folded Reload
	buffer_load_dword v75, off, s[20:23], 0 offset:40 ; 4-byte Folded Reload
	buffer_load_dword v76, off, s[20:23], 0 offset:44 ; 4-byte Folded Reload
	s_waitcnt vmcnt(0)
	ds_write2_b64 v125, v[73:74], v[75:76] offset0:72 offset1:73
	ds_read2_b64 v[97:100], v127 offset1:1
	s_waitcnt lgkmcnt(0)
	v_cmp_neq_f64_e32 vcc, 0, v[97:98]
	v_cmp_neq_f64_e64 s[2:3], 0, v[99:100]
	s_or_b64 s[2:3], vcc, s[2:3]
	s_and_b64 exec, exec, s[2:3]
	s_cbranch_execz .LBB73_71
; %bb.66:
	v_cmp_ngt_f64_e64 s[2:3], |v[97:98]|, |v[99:100]|
                                        ; implicit-def: $vgpr101_vgpr102
	s_and_saveexec_b64 s[6:7], s[2:3]
	s_xor_b64 s[2:3], exec, s[6:7]
                                        ; implicit-def: $vgpr103_vgpr104
	s_cbranch_execz .LBB73_68
; %bb.67:
	v_div_scale_f64 v[101:102], s[6:7], v[99:100], v[99:100], v[97:98]
	v_rcp_f64_e32 v[103:104], v[101:102]
	v_fma_f64 v[105:106], -v[101:102], v[103:104], 1.0
	v_fma_f64 v[103:104], v[103:104], v[105:106], v[103:104]
	v_div_scale_f64 v[105:106], vcc, v[97:98], v[99:100], v[97:98]
	v_fma_f64 v[107:108], -v[101:102], v[103:104], 1.0
	v_fma_f64 v[103:104], v[103:104], v[107:108], v[103:104]
	v_mul_f64 v[107:108], v[105:106], v[103:104]
	v_fma_f64 v[101:102], -v[101:102], v[107:108], v[105:106]
	v_div_fmas_f64 v[101:102], v[101:102], v[103:104], v[107:108]
	v_div_fixup_f64 v[101:102], v[101:102], v[99:100], v[97:98]
	v_fma_f64 v[97:98], v[97:98], v[101:102], v[99:100]
	v_div_scale_f64 v[99:100], s[6:7], v[97:98], v[97:98], 1.0
	v_div_scale_f64 v[107:108], vcc, 1.0, v[97:98], 1.0
	v_rcp_f64_e32 v[103:104], v[99:100]
	v_fma_f64 v[105:106], -v[99:100], v[103:104], 1.0
	v_fma_f64 v[103:104], v[103:104], v[105:106], v[103:104]
	v_fma_f64 v[105:106], -v[99:100], v[103:104], 1.0
	v_fma_f64 v[103:104], v[103:104], v[105:106], v[103:104]
	v_mul_f64 v[105:106], v[107:108], v[103:104]
	v_fma_f64 v[99:100], -v[99:100], v[105:106], v[107:108]
	v_div_fmas_f64 v[99:100], v[99:100], v[103:104], v[105:106]
	v_div_fixup_f64 v[103:104], v[99:100], v[97:98], 1.0
                                        ; implicit-def: $vgpr97_vgpr98
	v_mul_f64 v[101:102], v[101:102], v[103:104]
	v_xor_b32_e32 v104, 0x80000000, v104
.LBB73_68:
	s_andn2_saveexec_b64 s[2:3], s[2:3]
	s_cbranch_execz .LBB73_70
; %bb.69:
	v_div_scale_f64 v[101:102], s[6:7], v[97:98], v[97:98], v[99:100]
	v_rcp_f64_e32 v[103:104], v[101:102]
	v_fma_f64 v[105:106], -v[101:102], v[103:104], 1.0
	v_fma_f64 v[103:104], v[103:104], v[105:106], v[103:104]
	v_div_scale_f64 v[105:106], vcc, v[99:100], v[97:98], v[99:100]
	v_fma_f64 v[107:108], -v[101:102], v[103:104], 1.0
	v_fma_f64 v[103:104], v[103:104], v[107:108], v[103:104]
	v_mul_f64 v[107:108], v[105:106], v[103:104]
	v_fma_f64 v[101:102], -v[101:102], v[107:108], v[105:106]
	v_div_fmas_f64 v[101:102], v[101:102], v[103:104], v[107:108]
	v_div_fixup_f64 v[103:104], v[101:102], v[97:98], v[99:100]
	v_fma_f64 v[97:98], v[99:100], v[103:104], v[97:98]
	v_div_scale_f64 v[99:100], s[6:7], v[97:98], v[97:98], 1.0
	v_div_scale_f64 v[107:108], vcc, 1.0, v[97:98], 1.0
	v_rcp_f64_e32 v[101:102], v[99:100]
	v_fma_f64 v[105:106], -v[99:100], v[101:102], 1.0
	v_fma_f64 v[101:102], v[101:102], v[105:106], v[101:102]
	v_fma_f64 v[105:106], -v[99:100], v[101:102], 1.0
	v_fma_f64 v[101:102], v[101:102], v[105:106], v[101:102]
	v_mul_f64 v[105:106], v[107:108], v[101:102]
	v_fma_f64 v[99:100], -v[99:100], v[105:106], v[107:108]
	v_div_fmas_f64 v[99:100], v[99:100], v[101:102], v[105:106]
	v_div_fixup_f64 v[101:102], v[99:100], v[97:98], 1.0
	v_mul_f64 v[103:104], v[103:104], -v[101:102]
.LBB73_70:
	s_or_b64 exec, exec, s[2:3]
	ds_write2_b64 v127, v[101:102], v[103:104] offset1:1
.LBB73_71:
	s_or_b64 exec, exec, s[4:5]
	s_waitcnt lgkmcnt(0)
	s_barrier
	ds_read2_b64 v[73:76], v127 offset1:1
	v_cmp_lt_u32_e32 vcc, 7, v0
	s_waitcnt lgkmcnt(0)
	buffer_store_dword v73, off, s[20:23], 0 offset:648 ; 4-byte Folded Spill
	s_nop 0
	buffer_store_dword v74, off, s[20:23], 0 offset:652 ; 4-byte Folded Spill
	buffer_store_dword v75, off, s[20:23], 0 offset:656 ; 4-byte Folded Spill
	;; [unrolled: 1-line block ×3, first 2 shown]
	s_and_saveexec_b64 s[2:3], vcc
	s_cbranch_execz .LBB73_73
; %bb.72:
	buffer_load_dword v73, off, s[20:23], 0 offset:648 ; 4-byte Folded Reload
	buffer_load_dword v74, off, s[20:23], 0 offset:652 ; 4-byte Folded Reload
	;; [unrolled: 1-line block ×4, first 2 shown]
	s_waitcnt vmcnt(2)
	v_mul_f64 v[99:100], v[73:74], v[91:92]
	s_waitcnt vmcnt(0)
	v_mul_f64 v[97:98], v[75:76], v[91:92]
	v_fma_f64 v[91:92], v[75:76], v[89:90], v[99:100]
	ds_read2_b64 v[99:102], v125 offset0:16 offset1:17
	v_fma_f64 v[97:98], v[73:74], v[89:90], -v[97:98]
	s_waitcnt lgkmcnt(0)
	v_mul_f64 v[103:104], v[101:102], v[91:92]
	v_mov_b32_e32 v89, v97
	v_mov_b32_e32 v90, v98
	v_fma_f64 v[103:104], v[99:100], v[97:98], -v[103:104]
	v_mul_f64 v[99:100], v[99:100], v[91:92]
	v_add_f64 v[85:86], v[85:86], -v[103:104]
	v_fma_f64 v[99:100], v[101:102], v[97:98], v[99:100]
	v_add_f64 v[87:88], v[87:88], -v[99:100]
	ds_read2_b64 v[99:102], v125 offset0:18 offset1:19
	buffer_load_dword v73, off, s[20:23], 0 offset:64 ; 4-byte Folded Reload
	buffer_load_dword v74, off, s[20:23], 0 offset:68 ; 4-byte Folded Reload
	;; [unrolled: 1-line block ×4, first 2 shown]
	s_waitcnt lgkmcnt(0)
	v_mul_f64 v[103:104], v[101:102], v[91:92]
	v_fma_f64 v[103:104], v[99:100], v[97:98], -v[103:104]
	v_mul_f64 v[99:100], v[99:100], v[91:92]
	v_fma_f64 v[99:100], v[101:102], v[97:98], v[99:100]
	s_waitcnt vmcnt(2)
	v_add_f64 v[73:74], v[73:74], -v[103:104]
	s_waitcnt vmcnt(0)
	v_add_f64 v[75:76], v[75:76], -v[99:100]
	buffer_store_dword v73, off, s[20:23], 0 offset:64 ; 4-byte Folded Spill
	s_nop 0
	buffer_store_dword v74, off, s[20:23], 0 offset:68 ; 4-byte Folded Spill
	buffer_store_dword v75, off, s[20:23], 0 offset:72 ; 4-byte Folded Spill
	;; [unrolled: 1-line block ×3, first 2 shown]
	ds_read2_b64 v[99:102], v125 offset0:20 offset1:21
	s_waitcnt lgkmcnt(0)
	v_mul_f64 v[103:104], v[101:102], v[91:92]
	v_fma_f64 v[103:104], v[99:100], v[97:98], -v[103:104]
	v_mul_f64 v[99:100], v[99:100], v[91:92]
	v_add_f64 v[81:82], v[81:82], -v[103:104]
	v_fma_f64 v[99:100], v[101:102], v[97:98], v[99:100]
	v_add_f64 v[83:84], v[83:84], -v[99:100]
	ds_read2_b64 v[99:102], v125 offset0:22 offset1:23
	s_waitcnt lgkmcnt(0)
	v_mul_f64 v[103:104], v[101:102], v[91:92]
	v_fma_f64 v[103:104], v[99:100], v[97:98], -v[103:104]
	v_mul_f64 v[99:100], v[99:100], v[91:92]
	v_add_f64 v[121:122], v[121:122], -v[103:104]
	v_fma_f64 v[99:100], v[101:102], v[97:98], v[99:100]
	v_add_f64 v[123:124], v[123:124], -v[99:100]
	;; [unrolled: 8-line block ×4, first 2 shown]
	ds_read2_b64 v[99:102], v125 offset0:28 offset1:29
	buffer_load_dword v105, off, s[20:23], 0 offset:48 ; 4-byte Folded Reload
	buffer_load_dword v106, off, s[20:23], 0 offset:52 ; 4-byte Folded Reload
	;; [unrolled: 1-line block ×4, first 2 shown]
	s_waitcnt lgkmcnt(0)
	v_mul_f64 v[103:104], v[101:102], v[91:92]
	v_fma_f64 v[103:104], v[99:100], v[97:98], -v[103:104]
	v_mul_f64 v[99:100], v[99:100], v[91:92]
	v_fma_f64 v[99:100], v[101:102], v[97:98], v[99:100]
	s_waitcnt vmcnt(2)
	v_add_f64 v[105:106], v[105:106], -v[103:104]
	s_waitcnt vmcnt(0)
	v_add_f64 v[107:108], v[107:108], -v[99:100]
	buffer_store_dword v105, off, s[20:23], 0 offset:48 ; 4-byte Folded Spill
	s_nop 0
	buffer_store_dword v106, off, s[20:23], 0 offset:52 ; 4-byte Folded Spill
	buffer_store_dword v107, off, s[20:23], 0 offset:56 ; 4-byte Folded Spill
	;; [unrolled: 1-line block ×3, first 2 shown]
	ds_read2_b64 v[99:102], v125 offset0:30 offset1:31
	s_waitcnt lgkmcnt(0)
	v_mul_f64 v[103:104], v[101:102], v[91:92]
	v_fma_f64 v[103:104], v[99:100], v[97:98], -v[103:104]
	v_mul_f64 v[99:100], v[99:100], v[91:92]
	v_add_f64 v[93:94], v[93:94], -v[103:104]
	v_fma_f64 v[99:100], v[101:102], v[97:98], v[99:100]
	v_add_f64 v[95:96], v[95:96], -v[99:100]
	ds_read2_b64 v[99:102], v125 offset0:32 offset1:33
	buffer_load_dword v77, off, s[20:23], 0 offset:16 ; 4-byte Folded Reload
	buffer_load_dword v78, off, s[20:23], 0 offset:20 ; 4-byte Folded Reload
	;; [unrolled: 1-line block ×4, first 2 shown]
	s_waitcnt lgkmcnt(0)
	v_mul_f64 v[103:104], v[101:102], v[91:92]
	v_fma_f64 v[103:104], v[99:100], v[97:98], -v[103:104]
	v_mul_f64 v[99:100], v[99:100], v[91:92]
	v_fma_f64 v[99:100], v[101:102], v[97:98], v[99:100]
	s_waitcnt vmcnt(2)
	v_add_f64 v[77:78], v[77:78], -v[103:104]
	s_waitcnt vmcnt(0)
	v_add_f64 v[79:80], v[79:80], -v[99:100]
	buffer_store_dword v77, off, s[20:23], 0 offset:16 ; 4-byte Folded Spill
	s_nop 0
	buffer_store_dword v78, off, s[20:23], 0 offset:20 ; 4-byte Folded Spill
	buffer_store_dword v79, off, s[20:23], 0 offset:24 ; 4-byte Folded Spill
	;; [unrolled: 1-line block ×3, first 2 shown]
	ds_read2_b64 v[99:102], v125 offset0:34 offset1:35
	buffer_load_dword v73, off, s[20:23], 0 ; 4-byte Folded Reload
	buffer_load_dword v74, off, s[20:23], 0 offset:4 ; 4-byte Folded Reload
	buffer_load_dword v75, off, s[20:23], 0 offset:8 ; 4-byte Folded Reload
	;; [unrolled: 1-line block ×3, first 2 shown]
	s_waitcnt lgkmcnt(0)
	v_mul_f64 v[103:104], v[101:102], v[91:92]
	v_fma_f64 v[103:104], v[99:100], v[97:98], -v[103:104]
	v_mul_f64 v[99:100], v[99:100], v[91:92]
	v_fma_f64 v[99:100], v[101:102], v[97:98], v[99:100]
	s_waitcnt vmcnt(2)
	v_add_f64 v[73:74], v[73:74], -v[103:104]
	s_waitcnt vmcnt(0)
	v_add_f64 v[75:76], v[75:76], -v[99:100]
	buffer_store_dword v73, off, s[20:23], 0 ; 4-byte Folded Spill
	s_nop 0
	buffer_store_dword v74, off, s[20:23], 0 offset:4 ; 4-byte Folded Spill
	buffer_store_dword v75, off, s[20:23], 0 offset:8 ; 4-byte Folded Spill
	;; [unrolled: 1-line block ×3, first 2 shown]
	ds_read2_b64 v[99:102], v125 offset0:36 offset1:37
	s_waitcnt lgkmcnt(0)
	v_mul_f64 v[103:104], v[101:102], v[91:92]
	v_fma_f64 v[103:104], v[99:100], v[97:98], -v[103:104]
	v_mul_f64 v[99:100], v[99:100], v[91:92]
	v_add_f64 v[69:70], v[69:70], -v[103:104]
	v_fma_f64 v[99:100], v[101:102], v[97:98], v[99:100]
	v_add_f64 v[71:72], v[71:72], -v[99:100]
	ds_read2_b64 v[99:102], v125 offset0:38 offset1:39
	s_waitcnt lgkmcnt(0)
	v_mul_f64 v[103:104], v[101:102], v[91:92]
	v_fma_f64 v[103:104], v[99:100], v[97:98], -v[103:104]
	v_mul_f64 v[99:100], v[99:100], v[91:92]
	v_add_f64 v[65:66], v[65:66], -v[103:104]
	v_fma_f64 v[99:100], v[101:102], v[97:98], v[99:100]
	v_add_f64 v[67:68], v[67:68], -v[99:100]
	;; [unrolled: 8-line block ×18, first 2 shown]
	ds_read2_b64 v[99:102], v125 offset0:72 offset1:73
	buffer_load_dword v73, off, s[20:23], 0 offset:32 ; 4-byte Folded Reload
	buffer_load_dword v74, off, s[20:23], 0 offset:36 ; 4-byte Folded Reload
	;; [unrolled: 1-line block ×4, first 2 shown]
	s_waitcnt lgkmcnt(0)
	v_mul_f64 v[103:104], v[101:102], v[91:92]
	v_fma_f64 v[103:104], v[99:100], v[97:98], -v[103:104]
	v_mul_f64 v[99:100], v[99:100], v[91:92]
	v_fma_f64 v[99:100], v[101:102], v[97:98], v[99:100]
	s_waitcnt vmcnt(2)
	v_add_f64 v[73:74], v[73:74], -v[103:104]
	s_waitcnt vmcnt(0)
	v_add_f64 v[75:76], v[75:76], -v[99:100]
	buffer_store_dword v73, off, s[20:23], 0 offset:32 ; 4-byte Folded Spill
	s_nop 0
	buffer_store_dword v74, off, s[20:23], 0 offset:36 ; 4-byte Folded Spill
	buffer_store_dword v75, off, s[20:23], 0 offset:40 ; 4-byte Folded Spill
	buffer_store_dword v76, off, s[20:23], 0 offset:44 ; 4-byte Folded Spill
.LBB73_73:
	s_or_b64 exec, exec, s[2:3]
	v_cmp_eq_u32_e32 vcc, 8, v0
	s_waitcnt vmcnt(0)
	s_barrier
	s_and_saveexec_b64 s[4:5], vcc
	s_cbranch_execz .LBB73_80
; %bb.74:
	ds_write2_b64 v127, v[85:86], v[87:88] offset1:1
	buffer_load_dword v73, off, s[20:23], 0 offset:64 ; 4-byte Folded Reload
	buffer_load_dword v74, off, s[20:23], 0 offset:68 ; 4-byte Folded Reload
	;; [unrolled: 1-line block ×4, first 2 shown]
	s_waitcnt vmcnt(0)
	ds_write2_b64 v125, v[73:74], v[75:76] offset0:18 offset1:19
	ds_write2_b64 v125, v[81:82], v[83:84] offset0:20 offset1:21
	;; [unrolled: 1-line block ×5, first 2 shown]
	buffer_load_dword v97, off, s[20:23], 0 offset:48 ; 4-byte Folded Reload
	buffer_load_dword v98, off, s[20:23], 0 offset:52 ; 4-byte Folded Reload
	;; [unrolled: 1-line block ×4, first 2 shown]
	s_waitcnt vmcnt(0)
	ds_write2_b64 v125, v[97:98], v[99:100] offset0:28 offset1:29
	ds_write2_b64 v125, v[93:94], v[95:96] offset0:30 offset1:31
	buffer_load_dword v77, off, s[20:23], 0 offset:16 ; 4-byte Folded Reload
	buffer_load_dword v78, off, s[20:23], 0 offset:20 ; 4-byte Folded Reload
	;; [unrolled: 1-line block ×4, first 2 shown]
	s_waitcnt vmcnt(0)
	ds_write2_b64 v125, v[77:78], v[79:80] offset0:32 offset1:33
	buffer_load_dword v73, off, s[20:23], 0 ; 4-byte Folded Reload
	buffer_load_dword v74, off, s[20:23], 0 offset:4 ; 4-byte Folded Reload
	buffer_load_dword v75, off, s[20:23], 0 offset:8 ; 4-byte Folded Reload
	;; [unrolled: 1-line block ×3, first 2 shown]
	s_waitcnt vmcnt(0)
	ds_write2_b64 v125, v[73:74], v[75:76] offset0:34 offset1:35
	ds_write2_b64 v125, v[69:70], v[71:72] offset0:36 offset1:37
	;; [unrolled: 1-line block ×19, first 2 shown]
	buffer_load_dword v73, off, s[20:23], 0 offset:32 ; 4-byte Folded Reload
	buffer_load_dword v74, off, s[20:23], 0 offset:36 ; 4-byte Folded Reload
	;; [unrolled: 1-line block ×4, first 2 shown]
	s_waitcnt vmcnt(0)
	ds_write2_b64 v125, v[73:74], v[75:76] offset0:72 offset1:73
	ds_read2_b64 v[97:100], v127 offset1:1
	s_waitcnt lgkmcnt(0)
	v_cmp_neq_f64_e32 vcc, 0, v[97:98]
	v_cmp_neq_f64_e64 s[2:3], 0, v[99:100]
	s_or_b64 s[2:3], vcc, s[2:3]
	s_and_b64 exec, exec, s[2:3]
	s_cbranch_execz .LBB73_80
; %bb.75:
	v_cmp_ngt_f64_e64 s[2:3], |v[97:98]|, |v[99:100]|
                                        ; implicit-def: $vgpr101_vgpr102
	s_and_saveexec_b64 s[6:7], s[2:3]
	s_xor_b64 s[2:3], exec, s[6:7]
                                        ; implicit-def: $vgpr103_vgpr104
	s_cbranch_execz .LBB73_77
; %bb.76:
	v_div_scale_f64 v[101:102], s[6:7], v[99:100], v[99:100], v[97:98]
	v_rcp_f64_e32 v[103:104], v[101:102]
	v_fma_f64 v[105:106], -v[101:102], v[103:104], 1.0
	v_fma_f64 v[103:104], v[103:104], v[105:106], v[103:104]
	v_div_scale_f64 v[105:106], vcc, v[97:98], v[99:100], v[97:98]
	v_fma_f64 v[107:108], -v[101:102], v[103:104], 1.0
	v_fma_f64 v[103:104], v[103:104], v[107:108], v[103:104]
	v_mul_f64 v[107:108], v[105:106], v[103:104]
	v_fma_f64 v[101:102], -v[101:102], v[107:108], v[105:106]
	v_div_fmas_f64 v[101:102], v[101:102], v[103:104], v[107:108]
	v_div_fixup_f64 v[101:102], v[101:102], v[99:100], v[97:98]
	v_fma_f64 v[97:98], v[97:98], v[101:102], v[99:100]
	v_div_scale_f64 v[99:100], s[6:7], v[97:98], v[97:98], 1.0
	v_div_scale_f64 v[107:108], vcc, 1.0, v[97:98], 1.0
	v_rcp_f64_e32 v[103:104], v[99:100]
	v_fma_f64 v[105:106], -v[99:100], v[103:104], 1.0
	v_fma_f64 v[103:104], v[103:104], v[105:106], v[103:104]
	v_fma_f64 v[105:106], -v[99:100], v[103:104], 1.0
	v_fma_f64 v[103:104], v[103:104], v[105:106], v[103:104]
	v_mul_f64 v[105:106], v[107:108], v[103:104]
	v_fma_f64 v[99:100], -v[99:100], v[105:106], v[107:108]
	v_div_fmas_f64 v[99:100], v[99:100], v[103:104], v[105:106]
	v_div_fixup_f64 v[103:104], v[99:100], v[97:98], 1.0
                                        ; implicit-def: $vgpr97_vgpr98
	v_mul_f64 v[101:102], v[101:102], v[103:104]
	v_xor_b32_e32 v104, 0x80000000, v104
.LBB73_77:
	s_andn2_saveexec_b64 s[2:3], s[2:3]
	s_cbranch_execz .LBB73_79
; %bb.78:
	v_div_scale_f64 v[101:102], s[6:7], v[97:98], v[97:98], v[99:100]
	v_rcp_f64_e32 v[103:104], v[101:102]
	v_fma_f64 v[105:106], -v[101:102], v[103:104], 1.0
	v_fma_f64 v[103:104], v[103:104], v[105:106], v[103:104]
	v_div_scale_f64 v[105:106], vcc, v[99:100], v[97:98], v[99:100]
	v_fma_f64 v[107:108], -v[101:102], v[103:104], 1.0
	v_fma_f64 v[103:104], v[103:104], v[107:108], v[103:104]
	v_mul_f64 v[107:108], v[105:106], v[103:104]
	v_fma_f64 v[101:102], -v[101:102], v[107:108], v[105:106]
	v_div_fmas_f64 v[101:102], v[101:102], v[103:104], v[107:108]
	v_div_fixup_f64 v[103:104], v[101:102], v[97:98], v[99:100]
	v_fma_f64 v[97:98], v[99:100], v[103:104], v[97:98]
	v_div_scale_f64 v[99:100], s[6:7], v[97:98], v[97:98], 1.0
	v_div_scale_f64 v[107:108], vcc, 1.0, v[97:98], 1.0
	v_rcp_f64_e32 v[101:102], v[99:100]
	v_fma_f64 v[105:106], -v[99:100], v[101:102], 1.0
	v_fma_f64 v[101:102], v[101:102], v[105:106], v[101:102]
	v_fma_f64 v[105:106], -v[99:100], v[101:102], 1.0
	v_fma_f64 v[101:102], v[101:102], v[105:106], v[101:102]
	v_mul_f64 v[105:106], v[107:108], v[101:102]
	v_fma_f64 v[99:100], -v[99:100], v[105:106], v[107:108]
	v_div_fmas_f64 v[99:100], v[99:100], v[101:102], v[105:106]
	v_div_fixup_f64 v[101:102], v[99:100], v[97:98], 1.0
	v_mul_f64 v[103:104], v[103:104], -v[101:102]
.LBB73_79:
	s_or_b64 exec, exec, s[2:3]
	ds_write2_b64 v127, v[101:102], v[103:104] offset1:1
.LBB73_80:
	s_or_b64 exec, exec, s[4:5]
	s_waitcnt lgkmcnt(0)
	s_barrier
	ds_read2_b64 v[73:76], v127 offset1:1
	v_cmp_lt_u32_e32 vcc, 8, v0
	s_waitcnt lgkmcnt(0)
	buffer_store_dword v73, off, s[20:23], 0 offset:664 ; 4-byte Folded Spill
	s_nop 0
	buffer_store_dword v74, off, s[20:23], 0 offset:668 ; 4-byte Folded Spill
	buffer_store_dword v75, off, s[20:23], 0 offset:672 ; 4-byte Folded Spill
	;; [unrolled: 1-line block ×3, first 2 shown]
	s_and_saveexec_b64 s[2:3], vcc
	s_cbranch_execz .LBB73_82
; %bb.81:
	buffer_load_dword v73, off, s[20:23], 0 offset:664 ; 4-byte Folded Reload
	buffer_load_dword v74, off, s[20:23], 0 offset:668 ; 4-byte Folded Reload
	;; [unrolled: 1-line block ×4, first 2 shown]
	s_waitcnt vmcnt(2)
	v_mul_f64 v[99:100], v[73:74], v[87:88]
	s_waitcnt vmcnt(0)
	v_mul_f64 v[97:98], v[75:76], v[87:88]
	v_fma_f64 v[87:88], v[75:76], v[85:86], v[99:100]
	ds_read2_b64 v[99:102], v125 offset0:18 offset1:19
	v_fma_f64 v[97:98], v[73:74], v[85:86], -v[97:98]
	buffer_load_dword v73, off, s[20:23], 0 offset:64 ; 4-byte Folded Reload
	buffer_load_dword v74, off, s[20:23], 0 offset:68 ; 4-byte Folded Reload
	;; [unrolled: 1-line block ×4, first 2 shown]
	s_waitcnt lgkmcnt(0)
	v_mul_f64 v[103:104], v[101:102], v[87:88]
	v_mov_b32_e32 v85, v97
	v_mov_b32_e32 v86, v98
	v_fma_f64 v[103:104], v[99:100], v[97:98], -v[103:104]
	v_mul_f64 v[99:100], v[99:100], v[87:88]
	v_fma_f64 v[99:100], v[101:102], v[97:98], v[99:100]
	s_waitcnt vmcnt(2)
	v_add_f64 v[73:74], v[73:74], -v[103:104]
	s_waitcnt vmcnt(0)
	v_add_f64 v[75:76], v[75:76], -v[99:100]
	buffer_store_dword v73, off, s[20:23], 0 offset:64 ; 4-byte Folded Spill
	s_nop 0
	buffer_store_dword v74, off, s[20:23], 0 offset:68 ; 4-byte Folded Spill
	buffer_store_dword v75, off, s[20:23], 0 offset:72 ; 4-byte Folded Spill
	;; [unrolled: 1-line block ×3, first 2 shown]
	ds_read2_b64 v[99:102], v125 offset0:20 offset1:21
	s_waitcnt lgkmcnt(0)
	v_mul_f64 v[103:104], v[101:102], v[87:88]
	v_fma_f64 v[103:104], v[99:100], v[97:98], -v[103:104]
	v_mul_f64 v[99:100], v[99:100], v[87:88]
	v_add_f64 v[81:82], v[81:82], -v[103:104]
	v_fma_f64 v[99:100], v[101:102], v[97:98], v[99:100]
	v_add_f64 v[83:84], v[83:84], -v[99:100]
	ds_read2_b64 v[99:102], v125 offset0:22 offset1:23
	s_waitcnt lgkmcnt(0)
	v_mul_f64 v[103:104], v[101:102], v[87:88]
	v_fma_f64 v[103:104], v[99:100], v[97:98], -v[103:104]
	v_mul_f64 v[99:100], v[99:100], v[87:88]
	v_add_f64 v[121:122], v[121:122], -v[103:104]
	v_fma_f64 v[99:100], v[101:102], v[97:98], v[99:100]
	v_add_f64 v[123:124], v[123:124], -v[99:100]
	;; [unrolled: 8-line block ×4, first 2 shown]
	ds_read2_b64 v[99:102], v125 offset0:28 offset1:29
	buffer_load_dword v105, off, s[20:23], 0 offset:48 ; 4-byte Folded Reload
	buffer_load_dword v106, off, s[20:23], 0 offset:52 ; 4-byte Folded Reload
	;; [unrolled: 1-line block ×4, first 2 shown]
	s_waitcnt lgkmcnt(0)
	v_mul_f64 v[103:104], v[101:102], v[87:88]
	v_fma_f64 v[103:104], v[99:100], v[97:98], -v[103:104]
	v_mul_f64 v[99:100], v[99:100], v[87:88]
	v_fma_f64 v[99:100], v[101:102], v[97:98], v[99:100]
	s_waitcnt vmcnt(2)
	v_add_f64 v[105:106], v[105:106], -v[103:104]
	s_waitcnt vmcnt(0)
	v_add_f64 v[107:108], v[107:108], -v[99:100]
	buffer_store_dword v105, off, s[20:23], 0 offset:48 ; 4-byte Folded Spill
	s_nop 0
	buffer_store_dword v106, off, s[20:23], 0 offset:52 ; 4-byte Folded Spill
	buffer_store_dword v107, off, s[20:23], 0 offset:56 ; 4-byte Folded Spill
	buffer_store_dword v108, off, s[20:23], 0 offset:60 ; 4-byte Folded Spill
	ds_read2_b64 v[99:102], v125 offset0:30 offset1:31
	s_waitcnt lgkmcnt(0)
	v_mul_f64 v[103:104], v[101:102], v[87:88]
	v_fma_f64 v[103:104], v[99:100], v[97:98], -v[103:104]
	v_mul_f64 v[99:100], v[99:100], v[87:88]
	v_add_f64 v[93:94], v[93:94], -v[103:104]
	v_fma_f64 v[99:100], v[101:102], v[97:98], v[99:100]
	v_add_f64 v[95:96], v[95:96], -v[99:100]
	ds_read2_b64 v[99:102], v125 offset0:32 offset1:33
	buffer_load_dword v77, off, s[20:23], 0 offset:16 ; 4-byte Folded Reload
	buffer_load_dword v78, off, s[20:23], 0 offset:20 ; 4-byte Folded Reload
	;; [unrolled: 1-line block ×4, first 2 shown]
	s_waitcnt lgkmcnt(0)
	v_mul_f64 v[103:104], v[101:102], v[87:88]
	v_fma_f64 v[103:104], v[99:100], v[97:98], -v[103:104]
	v_mul_f64 v[99:100], v[99:100], v[87:88]
	v_fma_f64 v[99:100], v[101:102], v[97:98], v[99:100]
	s_waitcnt vmcnt(2)
	v_add_f64 v[77:78], v[77:78], -v[103:104]
	s_waitcnt vmcnt(0)
	v_add_f64 v[79:80], v[79:80], -v[99:100]
	buffer_store_dword v77, off, s[20:23], 0 offset:16 ; 4-byte Folded Spill
	s_nop 0
	buffer_store_dword v78, off, s[20:23], 0 offset:20 ; 4-byte Folded Spill
	buffer_store_dword v79, off, s[20:23], 0 offset:24 ; 4-byte Folded Spill
	;; [unrolled: 1-line block ×3, first 2 shown]
	ds_read2_b64 v[99:102], v125 offset0:34 offset1:35
	buffer_load_dword v73, off, s[20:23], 0 ; 4-byte Folded Reload
	buffer_load_dword v74, off, s[20:23], 0 offset:4 ; 4-byte Folded Reload
	buffer_load_dword v75, off, s[20:23], 0 offset:8 ; 4-byte Folded Reload
	;; [unrolled: 1-line block ×3, first 2 shown]
	s_waitcnt lgkmcnt(0)
	v_mul_f64 v[103:104], v[101:102], v[87:88]
	v_fma_f64 v[103:104], v[99:100], v[97:98], -v[103:104]
	v_mul_f64 v[99:100], v[99:100], v[87:88]
	v_fma_f64 v[99:100], v[101:102], v[97:98], v[99:100]
	s_waitcnt vmcnt(2)
	v_add_f64 v[73:74], v[73:74], -v[103:104]
	s_waitcnt vmcnt(0)
	v_add_f64 v[75:76], v[75:76], -v[99:100]
	buffer_store_dword v73, off, s[20:23], 0 ; 4-byte Folded Spill
	s_nop 0
	buffer_store_dword v74, off, s[20:23], 0 offset:4 ; 4-byte Folded Spill
	buffer_store_dword v75, off, s[20:23], 0 offset:8 ; 4-byte Folded Spill
	;; [unrolled: 1-line block ×3, first 2 shown]
	ds_read2_b64 v[99:102], v125 offset0:36 offset1:37
	s_waitcnt lgkmcnt(0)
	v_mul_f64 v[103:104], v[101:102], v[87:88]
	v_fma_f64 v[103:104], v[99:100], v[97:98], -v[103:104]
	v_mul_f64 v[99:100], v[99:100], v[87:88]
	v_add_f64 v[69:70], v[69:70], -v[103:104]
	v_fma_f64 v[99:100], v[101:102], v[97:98], v[99:100]
	v_add_f64 v[71:72], v[71:72], -v[99:100]
	ds_read2_b64 v[99:102], v125 offset0:38 offset1:39
	s_waitcnt lgkmcnt(0)
	v_mul_f64 v[103:104], v[101:102], v[87:88]
	v_fma_f64 v[103:104], v[99:100], v[97:98], -v[103:104]
	v_mul_f64 v[99:100], v[99:100], v[87:88]
	v_add_f64 v[65:66], v[65:66], -v[103:104]
	v_fma_f64 v[99:100], v[101:102], v[97:98], v[99:100]
	v_add_f64 v[67:68], v[67:68], -v[99:100]
	;; [unrolled: 8-line block ×18, first 2 shown]
	ds_read2_b64 v[99:102], v125 offset0:72 offset1:73
	buffer_load_dword v73, off, s[20:23], 0 offset:32 ; 4-byte Folded Reload
	buffer_load_dword v74, off, s[20:23], 0 offset:36 ; 4-byte Folded Reload
	;; [unrolled: 1-line block ×4, first 2 shown]
	s_waitcnt lgkmcnt(0)
	v_mul_f64 v[103:104], v[101:102], v[87:88]
	v_fma_f64 v[103:104], v[99:100], v[97:98], -v[103:104]
	v_mul_f64 v[99:100], v[99:100], v[87:88]
	v_fma_f64 v[99:100], v[101:102], v[97:98], v[99:100]
	s_waitcnt vmcnt(2)
	v_add_f64 v[73:74], v[73:74], -v[103:104]
	s_waitcnt vmcnt(0)
	v_add_f64 v[75:76], v[75:76], -v[99:100]
	buffer_store_dword v73, off, s[20:23], 0 offset:32 ; 4-byte Folded Spill
	s_nop 0
	buffer_store_dword v74, off, s[20:23], 0 offset:36 ; 4-byte Folded Spill
	buffer_store_dword v75, off, s[20:23], 0 offset:40 ; 4-byte Folded Spill
	;; [unrolled: 1-line block ×3, first 2 shown]
.LBB73_82:
	s_or_b64 exec, exec, s[2:3]
	v_cmp_eq_u32_e32 vcc, 9, v0
	s_waitcnt vmcnt(0)
	s_barrier
	s_and_saveexec_b64 s[4:5], vcc
	s_cbranch_execz .LBB73_89
; %bb.83:
	buffer_load_dword v73, off, s[20:23], 0 offset:64 ; 4-byte Folded Reload
	buffer_load_dword v74, off, s[20:23], 0 offset:68 ; 4-byte Folded Reload
	;; [unrolled: 1-line block ×4, first 2 shown]
	s_waitcnt vmcnt(0)
	ds_write2_b64 v127, v[73:74], v[75:76] offset1:1
	ds_write2_b64 v125, v[81:82], v[83:84] offset0:20 offset1:21
	ds_write2_b64 v125, v[121:122], v[123:124] offset0:22 offset1:23
	;; [unrolled: 1-line block ×4, first 2 shown]
	buffer_load_dword v97, off, s[20:23], 0 offset:48 ; 4-byte Folded Reload
	buffer_load_dword v98, off, s[20:23], 0 offset:52 ; 4-byte Folded Reload
	;; [unrolled: 1-line block ×4, first 2 shown]
	s_waitcnt vmcnt(0)
	ds_write2_b64 v125, v[97:98], v[99:100] offset0:28 offset1:29
	ds_write2_b64 v125, v[93:94], v[95:96] offset0:30 offset1:31
	buffer_load_dword v77, off, s[20:23], 0 offset:16 ; 4-byte Folded Reload
	buffer_load_dword v78, off, s[20:23], 0 offset:20 ; 4-byte Folded Reload
	;; [unrolled: 1-line block ×4, first 2 shown]
	s_waitcnt vmcnt(0)
	ds_write2_b64 v125, v[77:78], v[79:80] offset0:32 offset1:33
	buffer_load_dword v73, off, s[20:23], 0 ; 4-byte Folded Reload
	buffer_load_dword v74, off, s[20:23], 0 offset:4 ; 4-byte Folded Reload
	buffer_load_dword v75, off, s[20:23], 0 offset:8 ; 4-byte Folded Reload
	;; [unrolled: 1-line block ×3, first 2 shown]
	s_waitcnt vmcnt(0)
	ds_write2_b64 v125, v[73:74], v[75:76] offset0:34 offset1:35
	ds_write2_b64 v125, v[69:70], v[71:72] offset0:36 offset1:37
	;; [unrolled: 1-line block ×19, first 2 shown]
	buffer_load_dword v73, off, s[20:23], 0 offset:32 ; 4-byte Folded Reload
	buffer_load_dword v74, off, s[20:23], 0 offset:36 ; 4-byte Folded Reload
	;; [unrolled: 1-line block ×4, first 2 shown]
	s_waitcnt vmcnt(0)
	ds_write2_b64 v125, v[73:74], v[75:76] offset0:72 offset1:73
	ds_read2_b64 v[97:100], v127 offset1:1
	s_waitcnt lgkmcnt(0)
	v_cmp_neq_f64_e32 vcc, 0, v[97:98]
	v_cmp_neq_f64_e64 s[2:3], 0, v[99:100]
	s_or_b64 s[2:3], vcc, s[2:3]
	s_and_b64 exec, exec, s[2:3]
	s_cbranch_execz .LBB73_89
; %bb.84:
	v_cmp_ngt_f64_e64 s[2:3], |v[97:98]|, |v[99:100]|
                                        ; implicit-def: $vgpr101_vgpr102
	s_and_saveexec_b64 s[6:7], s[2:3]
	s_xor_b64 s[2:3], exec, s[6:7]
                                        ; implicit-def: $vgpr103_vgpr104
	s_cbranch_execz .LBB73_86
; %bb.85:
	v_div_scale_f64 v[101:102], s[6:7], v[99:100], v[99:100], v[97:98]
	v_rcp_f64_e32 v[103:104], v[101:102]
	v_fma_f64 v[105:106], -v[101:102], v[103:104], 1.0
	v_fma_f64 v[103:104], v[103:104], v[105:106], v[103:104]
	v_div_scale_f64 v[105:106], vcc, v[97:98], v[99:100], v[97:98]
	v_fma_f64 v[107:108], -v[101:102], v[103:104], 1.0
	v_fma_f64 v[103:104], v[103:104], v[107:108], v[103:104]
	v_mul_f64 v[107:108], v[105:106], v[103:104]
	v_fma_f64 v[101:102], -v[101:102], v[107:108], v[105:106]
	v_div_fmas_f64 v[101:102], v[101:102], v[103:104], v[107:108]
	v_div_fixup_f64 v[101:102], v[101:102], v[99:100], v[97:98]
	v_fma_f64 v[97:98], v[97:98], v[101:102], v[99:100]
	v_div_scale_f64 v[99:100], s[6:7], v[97:98], v[97:98], 1.0
	v_div_scale_f64 v[107:108], vcc, 1.0, v[97:98], 1.0
	v_rcp_f64_e32 v[103:104], v[99:100]
	v_fma_f64 v[105:106], -v[99:100], v[103:104], 1.0
	v_fma_f64 v[103:104], v[103:104], v[105:106], v[103:104]
	v_fma_f64 v[105:106], -v[99:100], v[103:104], 1.0
	v_fma_f64 v[103:104], v[103:104], v[105:106], v[103:104]
	v_mul_f64 v[105:106], v[107:108], v[103:104]
	v_fma_f64 v[99:100], -v[99:100], v[105:106], v[107:108]
	v_div_fmas_f64 v[99:100], v[99:100], v[103:104], v[105:106]
	v_div_fixup_f64 v[103:104], v[99:100], v[97:98], 1.0
                                        ; implicit-def: $vgpr97_vgpr98
	v_mul_f64 v[101:102], v[101:102], v[103:104]
	v_xor_b32_e32 v104, 0x80000000, v104
.LBB73_86:
	s_andn2_saveexec_b64 s[2:3], s[2:3]
	s_cbranch_execz .LBB73_88
; %bb.87:
	v_div_scale_f64 v[101:102], s[6:7], v[97:98], v[97:98], v[99:100]
	v_rcp_f64_e32 v[103:104], v[101:102]
	v_fma_f64 v[105:106], -v[101:102], v[103:104], 1.0
	v_fma_f64 v[103:104], v[103:104], v[105:106], v[103:104]
	v_div_scale_f64 v[105:106], vcc, v[99:100], v[97:98], v[99:100]
	v_fma_f64 v[107:108], -v[101:102], v[103:104], 1.0
	v_fma_f64 v[103:104], v[103:104], v[107:108], v[103:104]
	v_mul_f64 v[107:108], v[105:106], v[103:104]
	v_fma_f64 v[101:102], -v[101:102], v[107:108], v[105:106]
	v_div_fmas_f64 v[101:102], v[101:102], v[103:104], v[107:108]
	v_div_fixup_f64 v[103:104], v[101:102], v[97:98], v[99:100]
	v_fma_f64 v[97:98], v[99:100], v[103:104], v[97:98]
	v_div_scale_f64 v[99:100], s[6:7], v[97:98], v[97:98], 1.0
	v_div_scale_f64 v[107:108], vcc, 1.0, v[97:98], 1.0
	v_rcp_f64_e32 v[101:102], v[99:100]
	v_fma_f64 v[105:106], -v[99:100], v[101:102], 1.0
	v_fma_f64 v[101:102], v[101:102], v[105:106], v[101:102]
	v_fma_f64 v[105:106], -v[99:100], v[101:102], 1.0
	v_fma_f64 v[101:102], v[101:102], v[105:106], v[101:102]
	v_mul_f64 v[105:106], v[107:108], v[101:102]
	v_fma_f64 v[99:100], -v[99:100], v[105:106], v[107:108]
	v_div_fmas_f64 v[99:100], v[99:100], v[101:102], v[105:106]
	v_div_fixup_f64 v[101:102], v[99:100], v[97:98], 1.0
	v_mul_f64 v[103:104], v[103:104], -v[101:102]
.LBB73_88:
	s_or_b64 exec, exec, s[2:3]
	ds_write2_b64 v127, v[101:102], v[103:104] offset1:1
.LBB73_89:
	s_or_b64 exec, exec, s[4:5]
	s_waitcnt lgkmcnt(0)
	s_barrier
	ds_read2_b64 v[73:76], v127 offset1:1
	v_cmp_lt_u32_e32 vcc, 9, v0
	s_waitcnt lgkmcnt(0)
	buffer_store_dword v73, off, s[20:23], 0 offset:680 ; 4-byte Folded Spill
	s_nop 0
	buffer_store_dword v74, off, s[20:23], 0 offset:684 ; 4-byte Folded Spill
	buffer_store_dword v75, off, s[20:23], 0 offset:688 ; 4-byte Folded Spill
	;; [unrolled: 1-line block ×3, first 2 shown]
	s_and_saveexec_b64 s[2:3], vcc
	s_cbranch_execz .LBB73_91
; %bb.90:
	buffer_load_dword v113, off, s[20:23], 0 offset:64 ; 4-byte Folded Reload
	buffer_load_dword v114, off, s[20:23], 0 offset:68 ; 4-byte Folded Reload
	;; [unrolled: 1-line block ×8, first 2 shown]
	s_waitcnt vmcnt(2)
	v_mul_f64 v[99:100], v[73:74], v[115:116]
	s_waitcnt vmcnt(0)
	v_mul_f64 v[97:98], v[75:76], v[115:116]
	v_fma_f64 v[115:116], v[75:76], v[113:114], v[99:100]
	ds_read2_b64 v[99:102], v125 offset0:20 offset1:21
	v_fma_f64 v[97:98], v[73:74], v[113:114], -v[97:98]
	s_waitcnt lgkmcnt(0)
	v_mul_f64 v[103:104], v[101:102], v[115:116]
	v_mov_b32_e32 v114, v98
	v_mov_b32_e32 v113, v97
	v_fma_f64 v[103:104], v[99:100], v[97:98], -v[103:104]
	v_mul_f64 v[99:100], v[99:100], v[115:116]
	v_add_f64 v[81:82], v[81:82], -v[103:104]
	v_fma_f64 v[99:100], v[101:102], v[97:98], v[99:100]
	v_add_f64 v[83:84], v[83:84], -v[99:100]
	ds_read2_b64 v[99:102], v125 offset0:22 offset1:23
	s_waitcnt lgkmcnt(0)
	v_mul_f64 v[103:104], v[101:102], v[115:116]
	v_fma_f64 v[103:104], v[99:100], v[97:98], -v[103:104]
	v_mul_f64 v[99:100], v[99:100], v[115:116]
	v_add_f64 v[121:122], v[121:122], -v[103:104]
	v_fma_f64 v[99:100], v[101:102], v[97:98], v[99:100]
	v_add_f64 v[123:124], v[123:124], -v[99:100]
	ds_read2_b64 v[99:102], v125 offset0:24 offset1:25
	s_waitcnt lgkmcnt(0)
	v_mul_f64 v[103:104], v[101:102], v[115:116]
	;; [unrolled: 8-line block ×3, first 2 shown]
	v_fma_f64 v[103:104], v[99:100], v[97:98], -v[103:104]
	v_mul_f64 v[99:100], v[99:100], v[115:116]
	v_add_f64 v[109:110], v[109:110], -v[103:104]
	v_fma_f64 v[99:100], v[101:102], v[97:98], v[99:100]
	v_add_f64 v[111:112], v[111:112], -v[99:100]
	ds_read2_b64 v[99:102], v125 offset0:28 offset1:29
	buffer_load_dword v105, off, s[20:23], 0 offset:48 ; 4-byte Folded Reload
	buffer_load_dword v106, off, s[20:23], 0 offset:52 ; 4-byte Folded Reload
	;; [unrolled: 1-line block ×4, first 2 shown]
	s_waitcnt lgkmcnt(0)
	v_mul_f64 v[103:104], v[101:102], v[115:116]
	v_fma_f64 v[103:104], v[99:100], v[97:98], -v[103:104]
	v_mul_f64 v[99:100], v[99:100], v[115:116]
	v_fma_f64 v[99:100], v[101:102], v[97:98], v[99:100]
	s_waitcnt vmcnt(2)
	v_add_f64 v[105:106], v[105:106], -v[103:104]
	s_waitcnt vmcnt(0)
	v_add_f64 v[107:108], v[107:108], -v[99:100]
	buffer_store_dword v105, off, s[20:23], 0 offset:48 ; 4-byte Folded Spill
	s_nop 0
	buffer_store_dword v106, off, s[20:23], 0 offset:52 ; 4-byte Folded Spill
	buffer_store_dword v107, off, s[20:23], 0 offset:56 ; 4-byte Folded Spill
	;; [unrolled: 1-line block ×3, first 2 shown]
	ds_read2_b64 v[99:102], v125 offset0:30 offset1:31
	s_waitcnt lgkmcnt(0)
	v_mul_f64 v[103:104], v[101:102], v[115:116]
	v_fma_f64 v[103:104], v[99:100], v[97:98], -v[103:104]
	v_mul_f64 v[99:100], v[99:100], v[115:116]
	v_add_f64 v[93:94], v[93:94], -v[103:104]
	v_fma_f64 v[99:100], v[101:102], v[97:98], v[99:100]
	v_add_f64 v[95:96], v[95:96], -v[99:100]
	ds_read2_b64 v[99:102], v125 offset0:32 offset1:33
	buffer_load_dword v77, off, s[20:23], 0 offset:16 ; 4-byte Folded Reload
	buffer_load_dword v78, off, s[20:23], 0 offset:20 ; 4-byte Folded Reload
	;; [unrolled: 1-line block ×4, first 2 shown]
	s_waitcnt lgkmcnt(0)
	v_mul_f64 v[103:104], v[101:102], v[115:116]
	v_fma_f64 v[103:104], v[99:100], v[97:98], -v[103:104]
	v_mul_f64 v[99:100], v[99:100], v[115:116]
	v_fma_f64 v[99:100], v[101:102], v[97:98], v[99:100]
	s_waitcnt vmcnt(2)
	v_add_f64 v[77:78], v[77:78], -v[103:104]
	s_waitcnt vmcnt(0)
	v_add_f64 v[79:80], v[79:80], -v[99:100]
	buffer_store_dword v77, off, s[20:23], 0 offset:16 ; 4-byte Folded Spill
	s_nop 0
	buffer_store_dword v78, off, s[20:23], 0 offset:20 ; 4-byte Folded Spill
	buffer_store_dword v79, off, s[20:23], 0 offset:24 ; 4-byte Folded Spill
	buffer_store_dword v80, off, s[20:23], 0 offset:28 ; 4-byte Folded Spill
	ds_read2_b64 v[99:102], v125 offset0:34 offset1:35
	buffer_load_dword v73, off, s[20:23], 0 ; 4-byte Folded Reload
	buffer_load_dword v74, off, s[20:23], 0 offset:4 ; 4-byte Folded Reload
	buffer_load_dword v75, off, s[20:23], 0 offset:8 ; 4-byte Folded Reload
	;; [unrolled: 1-line block ×3, first 2 shown]
	s_waitcnt lgkmcnt(0)
	v_mul_f64 v[103:104], v[101:102], v[115:116]
	v_fma_f64 v[103:104], v[99:100], v[97:98], -v[103:104]
	v_mul_f64 v[99:100], v[99:100], v[115:116]
	v_fma_f64 v[99:100], v[101:102], v[97:98], v[99:100]
	s_waitcnt vmcnt(2)
	v_add_f64 v[73:74], v[73:74], -v[103:104]
	s_waitcnt vmcnt(0)
	v_add_f64 v[75:76], v[75:76], -v[99:100]
	buffer_store_dword v73, off, s[20:23], 0 ; 4-byte Folded Spill
	s_nop 0
	buffer_store_dword v74, off, s[20:23], 0 offset:4 ; 4-byte Folded Spill
	buffer_store_dword v75, off, s[20:23], 0 offset:8 ; 4-byte Folded Spill
	;; [unrolled: 1-line block ×3, first 2 shown]
	ds_read2_b64 v[99:102], v125 offset0:36 offset1:37
	s_waitcnt lgkmcnt(0)
	v_mul_f64 v[103:104], v[101:102], v[115:116]
	v_fma_f64 v[103:104], v[99:100], v[97:98], -v[103:104]
	v_mul_f64 v[99:100], v[99:100], v[115:116]
	v_add_f64 v[69:70], v[69:70], -v[103:104]
	v_fma_f64 v[99:100], v[101:102], v[97:98], v[99:100]
	v_add_f64 v[71:72], v[71:72], -v[99:100]
	ds_read2_b64 v[99:102], v125 offset0:38 offset1:39
	s_waitcnt lgkmcnt(0)
	v_mul_f64 v[103:104], v[101:102], v[115:116]
	v_fma_f64 v[103:104], v[99:100], v[97:98], -v[103:104]
	v_mul_f64 v[99:100], v[99:100], v[115:116]
	v_add_f64 v[65:66], v[65:66], -v[103:104]
	v_fma_f64 v[99:100], v[101:102], v[97:98], v[99:100]
	v_add_f64 v[67:68], v[67:68], -v[99:100]
	;; [unrolled: 8-line block ×18, first 2 shown]
	ds_read2_b64 v[99:102], v125 offset0:72 offset1:73
	buffer_load_dword v73, off, s[20:23], 0 offset:32 ; 4-byte Folded Reload
	buffer_load_dword v74, off, s[20:23], 0 offset:36 ; 4-byte Folded Reload
	;; [unrolled: 1-line block ×4, first 2 shown]
	s_waitcnt lgkmcnt(0)
	v_mul_f64 v[103:104], v[101:102], v[115:116]
	v_fma_f64 v[103:104], v[99:100], v[97:98], -v[103:104]
	v_mul_f64 v[99:100], v[99:100], v[115:116]
	v_fma_f64 v[99:100], v[101:102], v[97:98], v[99:100]
	s_waitcnt vmcnt(2)
	v_add_f64 v[73:74], v[73:74], -v[103:104]
	s_waitcnt vmcnt(0)
	v_add_f64 v[75:76], v[75:76], -v[99:100]
	buffer_store_dword v73, off, s[20:23], 0 offset:32 ; 4-byte Folded Spill
	s_nop 0
	buffer_store_dword v74, off, s[20:23], 0 offset:36 ; 4-byte Folded Spill
	buffer_store_dword v75, off, s[20:23], 0 offset:40 ; 4-byte Folded Spill
	;; [unrolled: 1-line block ×4, first 2 shown]
	s_nop 0
	buffer_store_dword v114, off, s[20:23], 0 offset:68 ; 4-byte Folded Spill
	buffer_store_dword v115, off, s[20:23], 0 offset:72 ; 4-byte Folded Spill
	;; [unrolled: 1-line block ×3, first 2 shown]
.LBB73_91:
	s_or_b64 exec, exec, s[2:3]
	v_cmp_eq_u32_e32 vcc, 10, v0
	s_waitcnt vmcnt(0)
	s_barrier
	s_and_saveexec_b64 s[4:5], vcc
	s_cbranch_execz .LBB73_98
; %bb.92:
	ds_write2_b64 v127, v[81:82], v[83:84] offset1:1
	ds_write2_b64 v125, v[121:122], v[123:124] offset0:22 offset1:23
	ds_write2_b64 v125, v[117:118], v[119:120] offset0:24 offset1:25
	;; [unrolled: 1-line block ×3, first 2 shown]
	buffer_load_dword v97, off, s[20:23], 0 offset:48 ; 4-byte Folded Reload
	buffer_load_dword v98, off, s[20:23], 0 offset:52 ; 4-byte Folded Reload
	;; [unrolled: 1-line block ×4, first 2 shown]
	s_waitcnt vmcnt(0)
	ds_write2_b64 v125, v[97:98], v[99:100] offset0:28 offset1:29
	ds_write2_b64 v125, v[93:94], v[95:96] offset0:30 offset1:31
	buffer_load_dword v77, off, s[20:23], 0 offset:16 ; 4-byte Folded Reload
	buffer_load_dword v78, off, s[20:23], 0 offset:20 ; 4-byte Folded Reload
	;; [unrolled: 1-line block ×4, first 2 shown]
	s_waitcnt vmcnt(0)
	ds_write2_b64 v125, v[77:78], v[79:80] offset0:32 offset1:33
	buffer_load_dword v73, off, s[20:23], 0 ; 4-byte Folded Reload
	buffer_load_dword v74, off, s[20:23], 0 offset:4 ; 4-byte Folded Reload
	buffer_load_dword v75, off, s[20:23], 0 offset:8 ; 4-byte Folded Reload
	;; [unrolled: 1-line block ×3, first 2 shown]
	s_waitcnt vmcnt(0)
	ds_write2_b64 v125, v[73:74], v[75:76] offset0:34 offset1:35
	ds_write2_b64 v125, v[69:70], v[71:72] offset0:36 offset1:37
	;; [unrolled: 1-line block ×19, first 2 shown]
	buffer_load_dword v73, off, s[20:23], 0 offset:32 ; 4-byte Folded Reload
	buffer_load_dword v74, off, s[20:23], 0 offset:36 ; 4-byte Folded Reload
	;; [unrolled: 1-line block ×4, first 2 shown]
	s_waitcnt vmcnt(0)
	ds_write2_b64 v125, v[73:74], v[75:76] offset0:72 offset1:73
	ds_read2_b64 v[97:100], v127 offset1:1
	s_waitcnt lgkmcnt(0)
	v_cmp_neq_f64_e32 vcc, 0, v[97:98]
	v_cmp_neq_f64_e64 s[2:3], 0, v[99:100]
	s_or_b64 s[2:3], vcc, s[2:3]
	s_and_b64 exec, exec, s[2:3]
	s_cbranch_execz .LBB73_98
; %bb.93:
	v_cmp_ngt_f64_e64 s[2:3], |v[97:98]|, |v[99:100]|
                                        ; implicit-def: $vgpr101_vgpr102
	s_and_saveexec_b64 s[6:7], s[2:3]
	s_xor_b64 s[2:3], exec, s[6:7]
                                        ; implicit-def: $vgpr103_vgpr104
	s_cbranch_execz .LBB73_95
; %bb.94:
	v_div_scale_f64 v[101:102], s[6:7], v[99:100], v[99:100], v[97:98]
	v_rcp_f64_e32 v[103:104], v[101:102]
	v_fma_f64 v[105:106], -v[101:102], v[103:104], 1.0
	v_fma_f64 v[103:104], v[103:104], v[105:106], v[103:104]
	v_div_scale_f64 v[105:106], vcc, v[97:98], v[99:100], v[97:98]
	v_fma_f64 v[107:108], -v[101:102], v[103:104], 1.0
	v_fma_f64 v[103:104], v[103:104], v[107:108], v[103:104]
	v_mul_f64 v[107:108], v[105:106], v[103:104]
	v_fma_f64 v[101:102], -v[101:102], v[107:108], v[105:106]
	v_div_fmas_f64 v[101:102], v[101:102], v[103:104], v[107:108]
	v_div_fixup_f64 v[101:102], v[101:102], v[99:100], v[97:98]
	v_fma_f64 v[97:98], v[97:98], v[101:102], v[99:100]
	v_div_scale_f64 v[99:100], s[6:7], v[97:98], v[97:98], 1.0
	v_div_scale_f64 v[107:108], vcc, 1.0, v[97:98], 1.0
	v_rcp_f64_e32 v[103:104], v[99:100]
	v_fma_f64 v[105:106], -v[99:100], v[103:104], 1.0
	v_fma_f64 v[103:104], v[103:104], v[105:106], v[103:104]
	v_fma_f64 v[105:106], -v[99:100], v[103:104], 1.0
	v_fma_f64 v[103:104], v[103:104], v[105:106], v[103:104]
	v_mul_f64 v[105:106], v[107:108], v[103:104]
	v_fma_f64 v[99:100], -v[99:100], v[105:106], v[107:108]
	v_div_fmas_f64 v[99:100], v[99:100], v[103:104], v[105:106]
	v_div_fixup_f64 v[103:104], v[99:100], v[97:98], 1.0
                                        ; implicit-def: $vgpr97_vgpr98
	v_mul_f64 v[101:102], v[101:102], v[103:104]
	v_xor_b32_e32 v104, 0x80000000, v104
.LBB73_95:
	s_andn2_saveexec_b64 s[2:3], s[2:3]
	s_cbranch_execz .LBB73_97
; %bb.96:
	v_div_scale_f64 v[101:102], s[6:7], v[97:98], v[97:98], v[99:100]
	v_rcp_f64_e32 v[103:104], v[101:102]
	v_fma_f64 v[105:106], -v[101:102], v[103:104], 1.0
	v_fma_f64 v[103:104], v[103:104], v[105:106], v[103:104]
	v_div_scale_f64 v[105:106], vcc, v[99:100], v[97:98], v[99:100]
	v_fma_f64 v[107:108], -v[101:102], v[103:104], 1.0
	v_fma_f64 v[103:104], v[103:104], v[107:108], v[103:104]
	v_mul_f64 v[107:108], v[105:106], v[103:104]
	v_fma_f64 v[101:102], -v[101:102], v[107:108], v[105:106]
	v_div_fmas_f64 v[101:102], v[101:102], v[103:104], v[107:108]
	v_div_fixup_f64 v[103:104], v[101:102], v[97:98], v[99:100]
	v_fma_f64 v[97:98], v[99:100], v[103:104], v[97:98]
	v_div_scale_f64 v[99:100], s[6:7], v[97:98], v[97:98], 1.0
	v_div_scale_f64 v[107:108], vcc, 1.0, v[97:98], 1.0
	v_rcp_f64_e32 v[101:102], v[99:100]
	v_fma_f64 v[105:106], -v[99:100], v[101:102], 1.0
	v_fma_f64 v[101:102], v[101:102], v[105:106], v[101:102]
	v_fma_f64 v[105:106], -v[99:100], v[101:102], 1.0
	v_fma_f64 v[101:102], v[101:102], v[105:106], v[101:102]
	v_mul_f64 v[105:106], v[107:108], v[101:102]
	v_fma_f64 v[99:100], -v[99:100], v[105:106], v[107:108]
	v_div_fmas_f64 v[99:100], v[99:100], v[101:102], v[105:106]
	v_div_fixup_f64 v[101:102], v[99:100], v[97:98], 1.0
	v_mul_f64 v[103:104], v[103:104], -v[101:102]
.LBB73_97:
	s_or_b64 exec, exec, s[2:3]
	ds_write2_b64 v127, v[101:102], v[103:104] offset1:1
.LBB73_98:
	s_or_b64 exec, exec, s[4:5]
	s_waitcnt lgkmcnt(0)
	s_barrier
	ds_read2_b64 v[73:76], v127 offset1:1
	v_cmp_lt_u32_e32 vcc, 10, v0
	s_waitcnt lgkmcnt(0)
	buffer_store_dword v73, off, s[20:23], 0 offset:824 ; 4-byte Folded Spill
	s_nop 0
	buffer_store_dword v74, off, s[20:23], 0 offset:828 ; 4-byte Folded Spill
	buffer_store_dword v75, off, s[20:23], 0 offset:832 ; 4-byte Folded Spill
	;; [unrolled: 1-line block ×3, first 2 shown]
	s_and_saveexec_b64 s[2:3], vcc
	s_cbranch_execz .LBB73_100
; %bb.99:
	buffer_load_dword v73, off, s[20:23], 0 offset:824 ; 4-byte Folded Reload
	buffer_load_dword v74, off, s[20:23], 0 offset:828 ; 4-byte Folded Reload
	;; [unrolled: 1-line block ×4, first 2 shown]
	s_waitcnt vmcnt(2)
	v_mul_f64 v[99:100], v[73:74], v[83:84]
	s_waitcnt vmcnt(0)
	v_mul_f64 v[97:98], v[75:76], v[83:84]
	v_fma_f64 v[83:84], v[75:76], v[81:82], v[99:100]
	ds_read2_b64 v[99:102], v125 offset0:22 offset1:23
	v_fma_f64 v[97:98], v[73:74], v[81:82], -v[97:98]
	s_waitcnt lgkmcnt(0)
	v_mul_f64 v[103:104], v[101:102], v[83:84]
	v_mov_b32_e32 v81, v97
	v_mov_b32_e32 v82, v98
	v_fma_f64 v[103:104], v[99:100], v[97:98], -v[103:104]
	v_mul_f64 v[99:100], v[99:100], v[83:84]
	v_add_f64 v[121:122], v[121:122], -v[103:104]
	v_fma_f64 v[99:100], v[101:102], v[97:98], v[99:100]
	v_add_f64 v[123:124], v[123:124], -v[99:100]
	ds_read2_b64 v[99:102], v125 offset0:24 offset1:25
	s_waitcnt lgkmcnt(0)
	v_mul_f64 v[103:104], v[101:102], v[83:84]
	v_fma_f64 v[103:104], v[99:100], v[97:98], -v[103:104]
	v_mul_f64 v[99:100], v[99:100], v[83:84]
	v_add_f64 v[117:118], v[117:118], -v[103:104]
	v_fma_f64 v[99:100], v[101:102], v[97:98], v[99:100]
	v_add_f64 v[119:120], v[119:120], -v[99:100]
	ds_read2_b64 v[99:102], v125 offset0:26 offset1:27
	s_waitcnt lgkmcnt(0)
	v_mul_f64 v[103:104], v[101:102], v[83:84]
	v_fma_f64 v[103:104], v[99:100], v[97:98], -v[103:104]
	v_mul_f64 v[99:100], v[99:100], v[83:84]
	v_add_f64 v[109:110], v[109:110], -v[103:104]
	v_fma_f64 v[99:100], v[101:102], v[97:98], v[99:100]
	v_add_f64 v[111:112], v[111:112], -v[99:100]
	ds_read2_b64 v[99:102], v125 offset0:28 offset1:29
	buffer_load_dword v105, off, s[20:23], 0 offset:48 ; 4-byte Folded Reload
	buffer_load_dword v106, off, s[20:23], 0 offset:52 ; 4-byte Folded Reload
	;; [unrolled: 1-line block ×4, first 2 shown]
	s_waitcnt lgkmcnt(0)
	v_mul_f64 v[103:104], v[101:102], v[83:84]
	v_fma_f64 v[103:104], v[99:100], v[97:98], -v[103:104]
	v_mul_f64 v[99:100], v[99:100], v[83:84]
	v_fma_f64 v[99:100], v[101:102], v[97:98], v[99:100]
	s_waitcnt vmcnt(2)
	v_add_f64 v[105:106], v[105:106], -v[103:104]
	s_waitcnt vmcnt(0)
	v_add_f64 v[107:108], v[107:108], -v[99:100]
	buffer_store_dword v105, off, s[20:23], 0 offset:48 ; 4-byte Folded Spill
	s_nop 0
	buffer_store_dword v106, off, s[20:23], 0 offset:52 ; 4-byte Folded Spill
	buffer_store_dword v107, off, s[20:23], 0 offset:56 ; 4-byte Folded Spill
	;; [unrolled: 1-line block ×3, first 2 shown]
	ds_read2_b64 v[99:102], v125 offset0:30 offset1:31
	s_waitcnt lgkmcnt(0)
	v_mul_f64 v[103:104], v[101:102], v[83:84]
	v_fma_f64 v[103:104], v[99:100], v[97:98], -v[103:104]
	v_mul_f64 v[99:100], v[99:100], v[83:84]
	v_add_f64 v[93:94], v[93:94], -v[103:104]
	v_fma_f64 v[99:100], v[101:102], v[97:98], v[99:100]
	v_add_f64 v[95:96], v[95:96], -v[99:100]
	ds_read2_b64 v[99:102], v125 offset0:32 offset1:33
	buffer_load_dword v77, off, s[20:23], 0 offset:16 ; 4-byte Folded Reload
	buffer_load_dword v78, off, s[20:23], 0 offset:20 ; 4-byte Folded Reload
	;; [unrolled: 1-line block ×4, first 2 shown]
	s_waitcnt lgkmcnt(0)
	v_mul_f64 v[103:104], v[101:102], v[83:84]
	v_fma_f64 v[103:104], v[99:100], v[97:98], -v[103:104]
	v_mul_f64 v[99:100], v[99:100], v[83:84]
	v_fma_f64 v[99:100], v[101:102], v[97:98], v[99:100]
	s_waitcnt vmcnt(2)
	v_add_f64 v[77:78], v[77:78], -v[103:104]
	s_waitcnt vmcnt(0)
	v_add_f64 v[79:80], v[79:80], -v[99:100]
	buffer_store_dword v77, off, s[20:23], 0 offset:16 ; 4-byte Folded Spill
	s_nop 0
	buffer_store_dword v78, off, s[20:23], 0 offset:20 ; 4-byte Folded Spill
	buffer_store_dword v79, off, s[20:23], 0 offset:24 ; 4-byte Folded Spill
	;; [unrolled: 1-line block ×3, first 2 shown]
	ds_read2_b64 v[99:102], v125 offset0:34 offset1:35
	buffer_load_dword v73, off, s[20:23], 0 ; 4-byte Folded Reload
	buffer_load_dword v74, off, s[20:23], 0 offset:4 ; 4-byte Folded Reload
	buffer_load_dword v75, off, s[20:23], 0 offset:8 ; 4-byte Folded Reload
	;; [unrolled: 1-line block ×3, first 2 shown]
	s_waitcnt lgkmcnt(0)
	v_mul_f64 v[103:104], v[101:102], v[83:84]
	v_fma_f64 v[103:104], v[99:100], v[97:98], -v[103:104]
	v_mul_f64 v[99:100], v[99:100], v[83:84]
	v_fma_f64 v[99:100], v[101:102], v[97:98], v[99:100]
	s_waitcnt vmcnt(2)
	v_add_f64 v[73:74], v[73:74], -v[103:104]
	s_waitcnt vmcnt(0)
	v_add_f64 v[75:76], v[75:76], -v[99:100]
	buffer_store_dword v73, off, s[20:23], 0 ; 4-byte Folded Spill
	s_nop 0
	buffer_store_dword v74, off, s[20:23], 0 offset:4 ; 4-byte Folded Spill
	buffer_store_dword v75, off, s[20:23], 0 offset:8 ; 4-byte Folded Spill
	;; [unrolled: 1-line block ×3, first 2 shown]
	ds_read2_b64 v[99:102], v125 offset0:36 offset1:37
	s_waitcnt lgkmcnt(0)
	v_mul_f64 v[103:104], v[101:102], v[83:84]
	v_fma_f64 v[103:104], v[99:100], v[97:98], -v[103:104]
	v_mul_f64 v[99:100], v[99:100], v[83:84]
	v_add_f64 v[69:70], v[69:70], -v[103:104]
	v_fma_f64 v[99:100], v[101:102], v[97:98], v[99:100]
	v_add_f64 v[71:72], v[71:72], -v[99:100]
	ds_read2_b64 v[99:102], v125 offset0:38 offset1:39
	s_waitcnt lgkmcnt(0)
	v_mul_f64 v[103:104], v[101:102], v[83:84]
	v_fma_f64 v[103:104], v[99:100], v[97:98], -v[103:104]
	v_mul_f64 v[99:100], v[99:100], v[83:84]
	v_add_f64 v[65:66], v[65:66], -v[103:104]
	v_fma_f64 v[99:100], v[101:102], v[97:98], v[99:100]
	v_add_f64 v[67:68], v[67:68], -v[99:100]
	ds_read2_b64 v[99:102], v125 offset0:40 offset1:41
	s_waitcnt lgkmcnt(0)
	v_mul_f64 v[103:104], v[101:102], v[83:84]
	v_fma_f64 v[103:104], v[99:100], v[97:98], -v[103:104]
	v_mul_f64 v[99:100], v[99:100], v[83:84]
	v_add_f64 v[61:62], v[61:62], -v[103:104]
	v_fma_f64 v[99:100], v[101:102], v[97:98], v[99:100]
	v_add_f64 v[63:64], v[63:64], -v[99:100]
	ds_read2_b64 v[99:102], v125 offset0:42 offset1:43
	s_waitcnt lgkmcnt(0)
	v_mul_f64 v[103:104], v[101:102], v[83:84]
	v_fma_f64 v[103:104], v[99:100], v[97:98], -v[103:104]
	v_mul_f64 v[99:100], v[99:100], v[83:84]
	v_add_f64 v[57:58], v[57:58], -v[103:104]
	v_fma_f64 v[99:100], v[101:102], v[97:98], v[99:100]
	v_add_f64 v[59:60], v[59:60], -v[99:100]
	ds_read2_b64 v[99:102], v125 offset0:44 offset1:45
	s_waitcnt lgkmcnt(0)
	v_mul_f64 v[103:104], v[101:102], v[83:84]
	v_fma_f64 v[103:104], v[99:100], v[97:98], -v[103:104]
	v_mul_f64 v[99:100], v[99:100], v[83:84]
	v_add_f64 v[53:54], v[53:54], -v[103:104]
	v_fma_f64 v[99:100], v[101:102], v[97:98], v[99:100]
	v_add_f64 v[55:56], v[55:56], -v[99:100]
	ds_read2_b64 v[99:102], v125 offset0:46 offset1:47
	s_waitcnt lgkmcnt(0)
	v_mul_f64 v[103:104], v[101:102], v[83:84]
	v_fma_f64 v[103:104], v[99:100], v[97:98], -v[103:104]
	v_mul_f64 v[99:100], v[99:100], v[83:84]
	v_add_f64 v[49:50], v[49:50], -v[103:104]
	v_fma_f64 v[99:100], v[101:102], v[97:98], v[99:100]
	v_add_f64 v[51:52], v[51:52], -v[99:100]
	ds_read2_b64 v[99:102], v125 offset0:48 offset1:49
	s_waitcnt lgkmcnt(0)
	v_mul_f64 v[103:104], v[101:102], v[83:84]
	v_fma_f64 v[103:104], v[99:100], v[97:98], -v[103:104]
	v_mul_f64 v[99:100], v[99:100], v[83:84]
	v_add_f64 v[45:46], v[45:46], -v[103:104]
	v_fma_f64 v[99:100], v[101:102], v[97:98], v[99:100]
	v_add_f64 v[47:48], v[47:48], -v[99:100]
	ds_read2_b64 v[99:102], v125 offset0:50 offset1:51
	s_waitcnt lgkmcnt(0)
	v_mul_f64 v[103:104], v[101:102], v[83:84]
	v_fma_f64 v[103:104], v[99:100], v[97:98], -v[103:104]
	v_mul_f64 v[99:100], v[99:100], v[83:84]
	v_add_f64 v[41:42], v[41:42], -v[103:104]
	v_fma_f64 v[99:100], v[101:102], v[97:98], v[99:100]
	v_add_f64 v[43:44], v[43:44], -v[99:100]
	ds_read2_b64 v[99:102], v125 offset0:52 offset1:53
	s_waitcnt lgkmcnt(0)
	v_mul_f64 v[103:104], v[101:102], v[83:84]
	v_fma_f64 v[103:104], v[99:100], v[97:98], -v[103:104]
	v_mul_f64 v[99:100], v[99:100], v[83:84]
	v_add_f64 v[37:38], v[37:38], -v[103:104]
	v_fma_f64 v[99:100], v[101:102], v[97:98], v[99:100]
	v_add_f64 v[39:40], v[39:40], -v[99:100]
	ds_read2_b64 v[99:102], v125 offset0:54 offset1:55
	s_waitcnt lgkmcnt(0)
	v_mul_f64 v[103:104], v[101:102], v[83:84]
	v_fma_f64 v[103:104], v[99:100], v[97:98], -v[103:104]
	v_mul_f64 v[99:100], v[99:100], v[83:84]
	v_add_f64 v[33:34], v[33:34], -v[103:104]
	v_fma_f64 v[99:100], v[101:102], v[97:98], v[99:100]
	v_add_f64 v[35:36], v[35:36], -v[99:100]
	ds_read2_b64 v[99:102], v125 offset0:56 offset1:57
	s_waitcnt lgkmcnt(0)
	v_mul_f64 v[103:104], v[101:102], v[83:84]
	v_fma_f64 v[103:104], v[99:100], v[97:98], -v[103:104]
	v_mul_f64 v[99:100], v[99:100], v[83:84]
	v_add_f64 v[29:30], v[29:30], -v[103:104]
	v_fma_f64 v[99:100], v[101:102], v[97:98], v[99:100]
	v_add_f64 v[31:32], v[31:32], -v[99:100]
	ds_read2_b64 v[99:102], v125 offset0:58 offset1:59
	s_waitcnt lgkmcnt(0)
	v_mul_f64 v[103:104], v[101:102], v[83:84]
	v_fma_f64 v[103:104], v[99:100], v[97:98], -v[103:104]
	v_mul_f64 v[99:100], v[99:100], v[83:84]
	v_add_f64 v[25:26], v[25:26], -v[103:104]
	v_fma_f64 v[99:100], v[101:102], v[97:98], v[99:100]
	v_add_f64 v[27:28], v[27:28], -v[99:100]
	ds_read2_b64 v[99:102], v125 offset0:60 offset1:61
	s_waitcnt lgkmcnt(0)
	v_mul_f64 v[103:104], v[101:102], v[83:84]
	v_fma_f64 v[103:104], v[99:100], v[97:98], -v[103:104]
	v_mul_f64 v[99:100], v[99:100], v[83:84]
	v_add_f64 v[21:22], v[21:22], -v[103:104]
	v_fma_f64 v[99:100], v[101:102], v[97:98], v[99:100]
	v_add_f64 v[23:24], v[23:24], -v[99:100]
	ds_read2_b64 v[99:102], v125 offset0:62 offset1:63
	s_waitcnt lgkmcnt(0)
	v_mul_f64 v[103:104], v[101:102], v[83:84]
	v_fma_f64 v[103:104], v[99:100], v[97:98], -v[103:104]
	v_mul_f64 v[99:100], v[99:100], v[83:84]
	v_add_f64 v[17:18], v[17:18], -v[103:104]
	v_fma_f64 v[99:100], v[101:102], v[97:98], v[99:100]
	v_add_f64 v[19:20], v[19:20], -v[99:100]
	ds_read2_b64 v[99:102], v125 offset0:64 offset1:65
	s_waitcnt lgkmcnt(0)
	v_mul_f64 v[103:104], v[101:102], v[83:84]
	v_fma_f64 v[103:104], v[99:100], v[97:98], -v[103:104]
	v_mul_f64 v[99:100], v[99:100], v[83:84]
	v_add_f64 v[13:14], v[13:14], -v[103:104]
	v_fma_f64 v[99:100], v[101:102], v[97:98], v[99:100]
	v_add_f64 v[15:16], v[15:16], -v[99:100]
	ds_read2_b64 v[99:102], v125 offset0:66 offset1:67
	s_waitcnt lgkmcnt(0)
	v_mul_f64 v[103:104], v[101:102], v[83:84]
	v_fma_f64 v[103:104], v[99:100], v[97:98], -v[103:104]
	v_mul_f64 v[99:100], v[99:100], v[83:84]
	v_add_f64 v[9:10], v[9:10], -v[103:104]
	v_fma_f64 v[99:100], v[101:102], v[97:98], v[99:100]
	v_add_f64 v[11:12], v[11:12], -v[99:100]
	ds_read2_b64 v[99:102], v125 offset0:68 offset1:69
	s_waitcnt lgkmcnt(0)
	v_mul_f64 v[103:104], v[101:102], v[83:84]
	v_fma_f64 v[103:104], v[99:100], v[97:98], -v[103:104]
	v_mul_f64 v[99:100], v[99:100], v[83:84]
	v_add_f64 v[5:6], v[5:6], -v[103:104]
	v_fma_f64 v[99:100], v[101:102], v[97:98], v[99:100]
	v_add_f64 v[7:8], v[7:8], -v[99:100]
	ds_read2_b64 v[99:102], v125 offset0:70 offset1:71
	s_waitcnt lgkmcnt(0)
	v_mul_f64 v[103:104], v[101:102], v[83:84]
	v_fma_f64 v[103:104], v[99:100], v[97:98], -v[103:104]
	v_mul_f64 v[99:100], v[99:100], v[83:84]
	v_add_f64 v[1:2], v[1:2], -v[103:104]
	v_fma_f64 v[99:100], v[101:102], v[97:98], v[99:100]
	v_add_f64 v[3:4], v[3:4], -v[99:100]
	ds_read2_b64 v[99:102], v125 offset0:72 offset1:73
	buffer_load_dword v73, off, s[20:23], 0 offset:32 ; 4-byte Folded Reload
	buffer_load_dword v74, off, s[20:23], 0 offset:36 ; 4-byte Folded Reload
	;; [unrolled: 1-line block ×4, first 2 shown]
	s_waitcnt lgkmcnt(0)
	v_mul_f64 v[103:104], v[101:102], v[83:84]
	v_fma_f64 v[103:104], v[99:100], v[97:98], -v[103:104]
	v_mul_f64 v[99:100], v[99:100], v[83:84]
	v_fma_f64 v[99:100], v[101:102], v[97:98], v[99:100]
	s_waitcnt vmcnt(2)
	v_add_f64 v[73:74], v[73:74], -v[103:104]
	s_waitcnt vmcnt(0)
	v_add_f64 v[75:76], v[75:76], -v[99:100]
	buffer_store_dword v73, off, s[20:23], 0 offset:32 ; 4-byte Folded Spill
	s_nop 0
	buffer_store_dword v74, off, s[20:23], 0 offset:36 ; 4-byte Folded Spill
	buffer_store_dword v75, off, s[20:23], 0 offset:40 ; 4-byte Folded Spill
	;; [unrolled: 1-line block ×3, first 2 shown]
.LBB73_100:
	s_or_b64 exec, exec, s[2:3]
	v_cmp_eq_u32_e32 vcc, 11, v0
	s_waitcnt vmcnt(0)
	s_barrier
	s_and_saveexec_b64 s[4:5], vcc
	s_cbranch_execz .LBB73_107
; %bb.101:
	ds_write2_b64 v127, v[121:122], v[123:124] offset1:1
	ds_write2_b64 v125, v[117:118], v[119:120] offset0:24 offset1:25
	ds_write2_b64 v125, v[109:110], v[111:112] offset0:26 offset1:27
	buffer_load_dword v97, off, s[20:23], 0 offset:48 ; 4-byte Folded Reload
	buffer_load_dword v98, off, s[20:23], 0 offset:52 ; 4-byte Folded Reload
	;; [unrolled: 1-line block ×4, first 2 shown]
	s_waitcnt vmcnt(0)
	ds_write2_b64 v125, v[97:98], v[99:100] offset0:28 offset1:29
	ds_write2_b64 v125, v[93:94], v[95:96] offset0:30 offset1:31
	buffer_load_dword v77, off, s[20:23], 0 offset:16 ; 4-byte Folded Reload
	buffer_load_dword v78, off, s[20:23], 0 offset:20 ; 4-byte Folded Reload
	;; [unrolled: 1-line block ×4, first 2 shown]
	s_waitcnt vmcnt(0)
	ds_write2_b64 v125, v[77:78], v[79:80] offset0:32 offset1:33
	buffer_load_dword v73, off, s[20:23], 0 ; 4-byte Folded Reload
	buffer_load_dword v74, off, s[20:23], 0 offset:4 ; 4-byte Folded Reload
	buffer_load_dword v75, off, s[20:23], 0 offset:8 ; 4-byte Folded Reload
	;; [unrolled: 1-line block ×3, first 2 shown]
	s_waitcnt vmcnt(0)
	ds_write2_b64 v125, v[73:74], v[75:76] offset0:34 offset1:35
	ds_write2_b64 v125, v[69:70], v[71:72] offset0:36 offset1:37
	;; [unrolled: 1-line block ×19, first 2 shown]
	buffer_load_dword v73, off, s[20:23], 0 offset:32 ; 4-byte Folded Reload
	buffer_load_dword v74, off, s[20:23], 0 offset:36 ; 4-byte Folded Reload
	;; [unrolled: 1-line block ×4, first 2 shown]
	s_waitcnt vmcnt(0)
	ds_write2_b64 v125, v[73:74], v[75:76] offset0:72 offset1:73
	ds_read2_b64 v[97:100], v127 offset1:1
	s_waitcnt lgkmcnt(0)
	v_cmp_neq_f64_e32 vcc, 0, v[97:98]
	v_cmp_neq_f64_e64 s[2:3], 0, v[99:100]
	s_or_b64 s[2:3], vcc, s[2:3]
	s_and_b64 exec, exec, s[2:3]
	s_cbranch_execz .LBB73_107
; %bb.102:
	v_cmp_ngt_f64_e64 s[2:3], |v[97:98]|, |v[99:100]|
                                        ; implicit-def: $vgpr101_vgpr102
	s_and_saveexec_b64 s[6:7], s[2:3]
	s_xor_b64 s[2:3], exec, s[6:7]
                                        ; implicit-def: $vgpr103_vgpr104
	s_cbranch_execz .LBB73_104
; %bb.103:
	v_div_scale_f64 v[101:102], s[6:7], v[99:100], v[99:100], v[97:98]
	v_rcp_f64_e32 v[103:104], v[101:102]
	v_fma_f64 v[105:106], -v[101:102], v[103:104], 1.0
	v_fma_f64 v[103:104], v[103:104], v[105:106], v[103:104]
	v_div_scale_f64 v[105:106], vcc, v[97:98], v[99:100], v[97:98]
	v_fma_f64 v[107:108], -v[101:102], v[103:104], 1.0
	v_fma_f64 v[103:104], v[103:104], v[107:108], v[103:104]
	v_mul_f64 v[107:108], v[105:106], v[103:104]
	v_fma_f64 v[101:102], -v[101:102], v[107:108], v[105:106]
	v_div_fmas_f64 v[101:102], v[101:102], v[103:104], v[107:108]
	v_div_fixup_f64 v[101:102], v[101:102], v[99:100], v[97:98]
	v_fma_f64 v[97:98], v[97:98], v[101:102], v[99:100]
	v_div_scale_f64 v[99:100], s[6:7], v[97:98], v[97:98], 1.0
	v_div_scale_f64 v[107:108], vcc, 1.0, v[97:98], 1.0
	v_rcp_f64_e32 v[103:104], v[99:100]
	v_fma_f64 v[105:106], -v[99:100], v[103:104], 1.0
	v_fma_f64 v[103:104], v[103:104], v[105:106], v[103:104]
	v_fma_f64 v[105:106], -v[99:100], v[103:104], 1.0
	v_fma_f64 v[103:104], v[103:104], v[105:106], v[103:104]
	v_mul_f64 v[105:106], v[107:108], v[103:104]
	v_fma_f64 v[99:100], -v[99:100], v[105:106], v[107:108]
	v_div_fmas_f64 v[99:100], v[99:100], v[103:104], v[105:106]
	v_div_fixup_f64 v[103:104], v[99:100], v[97:98], 1.0
                                        ; implicit-def: $vgpr97_vgpr98
	v_mul_f64 v[101:102], v[101:102], v[103:104]
	v_xor_b32_e32 v104, 0x80000000, v104
.LBB73_104:
	s_andn2_saveexec_b64 s[2:3], s[2:3]
	s_cbranch_execz .LBB73_106
; %bb.105:
	v_div_scale_f64 v[101:102], s[6:7], v[97:98], v[97:98], v[99:100]
	v_rcp_f64_e32 v[103:104], v[101:102]
	v_fma_f64 v[105:106], -v[101:102], v[103:104], 1.0
	v_fma_f64 v[103:104], v[103:104], v[105:106], v[103:104]
	v_div_scale_f64 v[105:106], vcc, v[99:100], v[97:98], v[99:100]
	v_fma_f64 v[107:108], -v[101:102], v[103:104], 1.0
	v_fma_f64 v[103:104], v[103:104], v[107:108], v[103:104]
	v_mul_f64 v[107:108], v[105:106], v[103:104]
	v_fma_f64 v[101:102], -v[101:102], v[107:108], v[105:106]
	v_div_fmas_f64 v[101:102], v[101:102], v[103:104], v[107:108]
	v_div_fixup_f64 v[103:104], v[101:102], v[97:98], v[99:100]
	v_fma_f64 v[97:98], v[99:100], v[103:104], v[97:98]
	v_div_scale_f64 v[99:100], s[6:7], v[97:98], v[97:98], 1.0
	v_div_scale_f64 v[107:108], vcc, 1.0, v[97:98], 1.0
	v_rcp_f64_e32 v[101:102], v[99:100]
	v_fma_f64 v[105:106], -v[99:100], v[101:102], 1.0
	v_fma_f64 v[101:102], v[101:102], v[105:106], v[101:102]
	v_fma_f64 v[105:106], -v[99:100], v[101:102], 1.0
	v_fma_f64 v[101:102], v[101:102], v[105:106], v[101:102]
	v_mul_f64 v[105:106], v[107:108], v[101:102]
	v_fma_f64 v[99:100], -v[99:100], v[105:106], v[107:108]
	v_div_fmas_f64 v[99:100], v[99:100], v[101:102], v[105:106]
	v_div_fixup_f64 v[101:102], v[99:100], v[97:98], 1.0
	v_mul_f64 v[103:104], v[103:104], -v[101:102]
.LBB73_106:
	s_or_b64 exec, exec, s[2:3]
	ds_write2_b64 v127, v[101:102], v[103:104] offset1:1
.LBB73_107:
	s_or_b64 exec, exec, s[4:5]
	s_waitcnt lgkmcnt(0)
	s_barrier
	ds_read2_b64 v[73:76], v127 offset1:1
	v_cmp_lt_u32_e32 vcc, 11, v0
	s_waitcnt lgkmcnt(0)
	buffer_store_dword v73, off, s[20:23], 0 offset:696 ; 4-byte Folded Spill
	s_nop 0
	buffer_store_dword v74, off, s[20:23], 0 offset:700 ; 4-byte Folded Spill
	buffer_store_dword v75, off, s[20:23], 0 offset:704 ; 4-byte Folded Spill
	;; [unrolled: 1-line block ×3, first 2 shown]
	s_and_saveexec_b64 s[2:3], vcc
	s_cbranch_execz .LBB73_109
; %bb.108:
	buffer_load_dword v73, off, s[20:23], 0 offset:696 ; 4-byte Folded Reload
	buffer_load_dword v74, off, s[20:23], 0 offset:700 ; 4-byte Folded Reload
	;; [unrolled: 1-line block ×4, first 2 shown]
	s_waitcnt vmcnt(2)
	v_mul_f64 v[99:100], v[73:74], v[123:124]
	s_waitcnt vmcnt(0)
	v_mul_f64 v[97:98], v[75:76], v[123:124]
	v_fma_f64 v[123:124], v[75:76], v[121:122], v[99:100]
	ds_read2_b64 v[99:102], v125 offset0:24 offset1:25
	v_fma_f64 v[97:98], v[73:74], v[121:122], -v[97:98]
	s_waitcnt lgkmcnt(0)
	v_mul_f64 v[103:104], v[101:102], v[123:124]
	v_mov_b32_e32 v122, v98
	v_mov_b32_e32 v121, v97
	v_fma_f64 v[103:104], v[99:100], v[97:98], -v[103:104]
	v_mul_f64 v[99:100], v[99:100], v[123:124]
	v_add_f64 v[117:118], v[117:118], -v[103:104]
	v_fma_f64 v[99:100], v[101:102], v[97:98], v[99:100]
	v_add_f64 v[119:120], v[119:120], -v[99:100]
	ds_read2_b64 v[99:102], v125 offset0:26 offset1:27
	s_waitcnt lgkmcnt(0)
	v_mul_f64 v[103:104], v[101:102], v[123:124]
	v_fma_f64 v[103:104], v[99:100], v[97:98], -v[103:104]
	v_mul_f64 v[99:100], v[99:100], v[123:124]
	v_add_f64 v[109:110], v[109:110], -v[103:104]
	v_fma_f64 v[99:100], v[101:102], v[97:98], v[99:100]
	v_add_f64 v[111:112], v[111:112], -v[99:100]
	ds_read2_b64 v[99:102], v125 offset0:28 offset1:29
	buffer_load_dword v105, off, s[20:23], 0 offset:48 ; 4-byte Folded Reload
	buffer_load_dword v106, off, s[20:23], 0 offset:52 ; 4-byte Folded Reload
	;; [unrolled: 1-line block ×4, first 2 shown]
	s_waitcnt lgkmcnt(0)
	v_mul_f64 v[103:104], v[101:102], v[123:124]
	v_fma_f64 v[103:104], v[99:100], v[97:98], -v[103:104]
	v_mul_f64 v[99:100], v[99:100], v[123:124]
	v_fma_f64 v[99:100], v[101:102], v[97:98], v[99:100]
	s_waitcnt vmcnt(2)
	v_add_f64 v[105:106], v[105:106], -v[103:104]
	s_waitcnt vmcnt(0)
	v_add_f64 v[107:108], v[107:108], -v[99:100]
	buffer_store_dword v105, off, s[20:23], 0 offset:48 ; 4-byte Folded Spill
	s_nop 0
	buffer_store_dword v106, off, s[20:23], 0 offset:52 ; 4-byte Folded Spill
	buffer_store_dword v107, off, s[20:23], 0 offset:56 ; 4-byte Folded Spill
	;; [unrolled: 1-line block ×3, first 2 shown]
	ds_read2_b64 v[99:102], v125 offset0:30 offset1:31
	s_waitcnt lgkmcnt(0)
	v_mul_f64 v[103:104], v[101:102], v[123:124]
	v_fma_f64 v[103:104], v[99:100], v[97:98], -v[103:104]
	v_mul_f64 v[99:100], v[99:100], v[123:124]
	v_add_f64 v[93:94], v[93:94], -v[103:104]
	v_fma_f64 v[99:100], v[101:102], v[97:98], v[99:100]
	v_add_f64 v[95:96], v[95:96], -v[99:100]
	ds_read2_b64 v[99:102], v125 offset0:32 offset1:33
	buffer_load_dword v77, off, s[20:23], 0 offset:16 ; 4-byte Folded Reload
	buffer_load_dword v78, off, s[20:23], 0 offset:20 ; 4-byte Folded Reload
	;; [unrolled: 1-line block ×4, first 2 shown]
	s_waitcnt lgkmcnt(0)
	v_mul_f64 v[103:104], v[101:102], v[123:124]
	v_fma_f64 v[103:104], v[99:100], v[97:98], -v[103:104]
	v_mul_f64 v[99:100], v[99:100], v[123:124]
	v_fma_f64 v[99:100], v[101:102], v[97:98], v[99:100]
	s_waitcnt vmcnt(2)
	v_add_f64 v[77:78], v[77:78], -v[103:104]
	s_waitcnt vmcnt(0)
	v_add_f64 v[79:80], v[79:80], -v[99:100]
	buffer_store_dword v77, off, s[20:23], 0 offset:16 ; 4-byte Folded Spill
	s_nop 0
	buffer_store_dword v78, off, s[20:23], 0 offset:20 ; 4-byte Folded Spill
	buffer_store_dword v79, off, s[20:23], 0 offset:24 ; 4-byte Folded Spill
	;; [unrolled: 1-line block ×3, first 2 shown]
	ds_read2_b64 v[99:102], v125 offset0:34 offset1:35
	buffer_load_dword v73, off, s[20:23], 0 ; 4-byte Folded Reload
	buffer_load_dword v74, off, s[20:23], 0 offset:4 ; 4-byte Folded Reload
	buffer_load_dword v75, off, s[20:23], 0 offset:8 ; 4-byte Folded Reload
	;; [unrolled: 1-line block ×3, first 2 shown]
	s_waitcnt lgkmcnt(0)
	v_mul_f64 v[103:104], v[101:102], v[123:124]
	v_fma_f64 v[103:104], v[99:100], v[97:98], -v[103:104]
	v_mul_f64 v[99:100], v[99:100], v[123:124]
	v_fma_f64 v[99:100], v[101:102], v[97:98], v[99:100]
	s_waitcnt vmcnt(2)
	v_add_f64 v[73:74], v[73:74], -v[103:104]
	s_waitcnt vmcnt(0)
	v_add_f64 v[75:76], v[75:76], -v[99:100]
	buffer_store_dword v73, off, s[20:23], 0 ; 4-byte Folded Spill
	s_nop 0
	buffer_store_dword v74, off, s[20:23], 0 offset:4 ; 4-byte Folded Spill
	buffer_store_dword v75, off, s[20:23], 0 offset:8 ; 4-byte Folded Spill
	;; [unrolled: 1-line block ×3, first 2 shown]
	ds_read2_b64 v[99:102], v125 offset0:36 offset1:37
	s_waitcnt lgkmcnt(0)
	v_mul_f64 v[103:104], v[101:102], v[123:124]
	v_fma_f64 v[103:104], v[99:100], v[97:98], -v[103:104]
	v_mul_f64 v[99:100], v[99:100], v[123:124]
	v_add_f64 v[69:70], v[69:70], -v[103:104]
	v_fma_f64 v[99:100], v[101:102], v[97:98], v[99:100]
	v_add_f64 v[71:72], v[71:72], -v[99:100]
	ds_read2_b64 v[99:102], v125 offset0:38 offset1:39
	s_waitcnt lgkmcnt(0)
	v_mul_f64 v[103:104], v[101:102], v[123:124]
	v_fma_f64 v[103:104], v[99:100], v[97:98], -v[103:104]
	v_mul_f64 v[99:100], v[99:100], v[123:124]
	v_add_f64 v[65:66], v[65:66], -v[103:104]
	v_fma_f64 v[99:100], v[101:102], v[97:98], v[99:100]
	v_add_f64 v[67:68], v[67:68], -v[99:100]
	;; [unrolled: 8-line block ×18, first 2 shown]
	ds_read2_b64 v[99:102], v125 offset0:72 offset1:73
	buffer_load_dword v73, off, s[20:23], 0 offset:32 ; 4-byte Folded Reload
	buffer_load_dword v74, off, s[20:23], 0 offset:36 ; 4-byte Folded Reload
	;; [unrolled: 1-line block ×4, first 2 shown]
	s_waitcnt lgkmcnt(0)
	v_mul_f64 v[103:104], v[101:102], v[123:124]
	v_fma_f64 v[103:104], v[99:100], v[97:98], -v[103:104]
	v_mul_f64 v[99:100], v[99:100], v[123:124]
	v_fma_f64 v[99:100], v[101:102], v[97:98], v[99:100]
	s_waitcnt vmcnt(2)
	v_add_f64 v[73:74], v[73:74], -v[103:104]
	s_waitcnt vmcnt(0)
	v_add_f64 v[75:76], v[75:76], -v[99:100]
	buffer_store_dword v73, off, s[20:23], 0 offset:32 ; 4-byte Folded Spill
	s_nop 0
	buffer_store_dword v74, off, s[20:23], 0 offset:36 ; 4-byte Folded Spill
	buffer_store_dword v75, off, s[20:23], 0 offset:40 ; 4-byte Folded Spill
	;; [unrolled: 1-line block ×3, first 2 shown]
.LBB73_109:
	s_or_b64 exec, exec, s[2:3]
	v_cmp_eq_u32_e32 vcc, 12, v0
	s_waitcnt vmcnt(0)
	s_barrier
	s_and_saveexec_b64 s[4:5], vcc
	s_cbranch_execz .LBB73_116
; %bb.110:
	ds_write2_b64 v127, v[117:118], v[119:120] offset1:1
	ds_write2_b64 v125, v[109:110], v[111:112] offset0:26 offset1:27
	buffer_load_dword v97, off, s[20:23], 0 offset:48 ; 4-byte Folded Reload
	buffer_load_dword v98, off, s[20:23], 0 offset:52 ; 4-byte Folded Reload
	;; [unrolled: 1-line block ×4, first 2 shown]
	s_waitcnt vmcnt(0)
	ds_write2_b64 v125, v[97:98], v[99:100] offset0:28 offset1:29
	ds_write2_b64 v125, v[93:94], v[95:96] offset0:30 offset1:31
	buffer_load_dword v77, off, s[20:23], 0 offset:16 ; 4-byte Folded Reload
	buffer_load_dword v78, off, s[20:23], 0 offset:20 ; 4-byte Folded Reload
	;; [unrolled: 1-line block ×4, first 2 shown]
	s_waitcnt vmcnt(0)
	ds_write2_b64 v125, v[77:78], v[79:80] offset0:32 offset1:33
	buffer_load_dword v73, off, s[20:23], 0 ; 4-byte Folded Reload
	buffer_load_dword v74, off, s[20:23], 0 offset:4 ; 4-byte Folded Reload
	buffer_load_dword v75, off, s[20:23], 0 offset:8 ; 4-byte Folded Reload
	buffer_load_dword v76, off, s[20:23], 0 offset:12 ; 4-byte Folded Reload
	s_waitcnt vmcnt(0)
	ds_write2_b64 v125, v[73:74], v[75:76] offset0:34 offset1:35
	ds_write2_b64 v125, v[69:70], v[71:72] offset0:36 offset1:37
	ds_write2_b64 v125, v[65:66], v[67:68] offset0:38 offset1:39
	ds_write2_b64 v125, v[61:62], v[63:64] offset0:40 offset1:41
	ds_write2_b64 v125, v[57:58], v[59:60] offset0:42 offset1:43
	ds_write2_b64 v125, v[53:54], v[55:56] offset0:44 offset1:45
	ds_write2_b64 v125, v[49:50], v[51:52] offset0:46 offset1:47
	ds_write2_b64 v125, v[45:46], v[47:48] offset0:48 offset1:49
	ds_write2_b64 v125, v[41:42], v[43:44] offset0:50 offset1:51
	ds_write2_b64 v125, v[37:38], v[39:40] offset0:52 offset1:53
	ds_write2_b64 v125, v[33:34], v[35:36] offset0:54 offset1:55
	ds_write2_b64 v125, v[29:30], v[31:32] offset0:56 offset1:57
	ds_write2_b64 v125, v[25:26], v[27:28] offset0:58 offset1:59
	ds_write2_b64 v125, v[21:22], v[23:24] offset0:60 offset1:61
	ds_write2_b64 v125, v[17:18], v[19:20] offset0:62 offset1:63
	ds_write2_b64 v125, v[13:14], v[15:16] offset0:64 offset1:65
	ds_write2_b64 v125, v[9:10], v[11:12] offset0:66 offset1:67
	ds_write2_b64 v125, v[5:6], v[7:8] offset0:68 offset1:69
	ds_write2_b64 v125, v[1:2], v[3:4] offset0:70 offset1:71
	buffer_load_dword v73, off, s[20:23], 0 offset:32 ; 4-byte Folded Reload
	buffer_load_dword v74, off, s[20:23], 0 offset:36 ; 4-byte Folded Reload
	;; [unrolled: 1-line block ×4, first 2 shown]
	s_waitcnt vmcnt(0)
	ds_write2_b64 v125, v[73:74], v[75:76] offset0:72 offset1:73
	ds_read2_b64 v[97:100], v127 offset1:1
	s_waitcnt lgkmcnt(0)
	v_cmp_neq_f64_e32 vcc, 0, v[97:98]
	v_cmp_neq_f64_e64 s[2:3], 0, v[99:100]
	s_or_b64 s[2:3], vcc, s[2:3]
	s_and_b64 exec, exec, s[2:3]
	s_cbranch_execz .LBB73_116
; %bb.111:
	v_cmp_ngt_f64_e64 s[2:3], |v[97:98]|, |v[99:100]|
                                        ; implicit-def: $vgpr101_vgpr102
	s_and_saveexec_b64 s[6:7], s[2:3]
	s_xor_b64 s[2:3], exec, s[6:7]
                                        ; implicit-def: $vgpr103_vgpr104
	s_cbranch_execz .LBB73_113
; %bb.112:
	v_div_scale_f64 v[101:102], s[6:7], v[99:100], v[99:100], v[97:98]
	v_rcp_f64_e32 v[103:104], v[101:102]
	v_fma_f64 v[105:106], -v[101:102], v[103:104], 1.0
	v_fma_f64 v[103:104], v[103:104], v[105:106], v[103:104]
	v_div_scale_f64 v[105:106], vcc, v[97:98], v[99:100], v[97:98]
	v_fma_f64 v[107:108], -v[101:102], v[103:104], 1.0
	v_fma_f64 v[103:104], v[103:104], v[107:108], v[103:104]
	v_mul_f64 v[107:108], v[105:106], v[103:104]
	v_fma_f64 v[101:102], -v[101:102], v[107:108], v[105:106]
	v_div_fmas_f64 v[101:102], v[101:102], v[103:104], v[107:108]
	v_div_fixup_f64 v[101:102], v[101:102], v[99:100], v[97:98]
	v_fma_f64 v[97:98], v[97:98], v[101:102], v[99:100]
	v_div_scale_f64 v[99:100], s[6:7], v[97:98], v[97:98], 1.0
	v_div_scale_f64 v[107:108], vcc, 1.0, v[97:98], 1.0
	v_rcp_f64_e32 v[103:104], v[99:100]
	v_fma_f64 v[105:106], -v[99:100], v[103:104], 1.0
	v_fma_f64 v[103:104], v[103:104], v[105:106], v[103:104]
	v_fma_f64 v[105:106], -v[99:100], v[103:104], 1.0
	v_fma_f64 v[103:104], v[103:104], v[105:106], v[103:104]
	v_mul_f64 v[105:106], v[107:108], v[103:104]
	v_fma_f64 v[99:100], -v[99:100], v[105:106], v[107:108]
	v_div_fmas_f64 v[99:100], v[99:100], v[103:104], v[105:106]
	v_div_fixup_f64 v[103:104], v[99:100], v[97:98], 1.0
                                        ; implicit-def: $vgpr97_vgpr98
	v_mul_f64 v[101:102], v[101:102], v[103:104]
	v_xor_b32_e32 v104, 0x80000000, v104
.LBB73_113:
	s_andn2_saveexec_b64 s[2:3], s[2:3]
	s_cbranch_execz .LBB73_115
; %bb.114:
	v_div_scale_f64 v[101:102], s[6:7], v[97:98], v[97:98], v[99:100]
	v_rcp_f64_e32 v[103:104], v[101:102]
	v_fma_f64 v[105:106], -v[101:102], v[103:104], 1.0
	v_fma_f64 v[103:104], v[103:104], v[105:106], v[103:104]
	v_div_scale_f64 v[105:106], vcc, v[99:100], v[97:98], v[99:100]
	v_fma_f64 v[107:108], -v[101:102], v[103:104], 1.0
	v_fma_f64 v[103:104], v[103:104], v[107:108], v[103:104]
	v_mul_f64 v[107:108], v[105:106], v[103:104]
	v_fma_f64 v[101:102], -v[101:102], v[107:108], v[105:106]
	v_div_fmas_f64 v[101:102], v[101:102], v[103:104], v[107:108]
	v_div_fixup_f64 v[103:104], v[101:102], v[97:98], v[99:100]
	v_fma_f64 v[97:98], v[99:100], v[103:104], v[97:98]
	v_div_scale_f64 v[99:100], s[6:7], v[97:98], v[97:98], 1.0
	v_div_scale_f64 v[107:108], vcc, 1.0, v[97:98], 1.0
	v_rcp_f64_e32 v[101:102], v[99:100]
	v_fma_f64 v[105:106], -v[99:100], v[101:102], 1.0
	v_fma_f64 v[101:102], v[101:102], v[105:106], v[101:102]
	v_fma_f64 v[105:106], -v[99:100], v[101:102], 1.0
	v_fma_f64 v[101:102], v[101:102], v[105:106], v[101:102]
	v_mul_f64 v[105:106], v[107:108], v[101:102]
	v_fma_f64 v[99:100], -v[99:100], v[105:106], v[107:108]
	v_div_fmas_f64 v[99:100], v[99:100], v[101:102], v[105:106]
	v_div_fixup_f64 v[101:102], v[99:100], v[97:98], 1.0
	v_mul_f64 v[103:104], v[103:104], -v[101:102]
.LBB73_115:
	s_or_b64 exec, exec, s[2:3]
	ds_write2_b64 v127, v[101:102], v[103:104] offset1:1
.LBB73_116:
	s_or_b64 exec, exec, s[4:5]
	s_waitcnt lgkmcnt(0)
	s_barrier
	ds_read2_b64 v[73:76], v127 offset1:1
	v_cmp_lt_u32_e32 vcc, 12, v0
	s_waitcnt lgkmcnt(0)
	buffer_store_dword v73, off, s[20:23], 0 offset:712 ; 4-byte Folded Spill
	s_nop 0
	buffer_store_dword v74, off, s[20:23], 0 offset:716 ; 4-byte Folded Spill
	buffer_store_dword v75, off, s[20:23], 0 offset:720 ; 4-byte Folded Spill
	;; [unrolled: 1-line block ×3, first 2 shown]
	s_mov_b64 s[2:3], exec
	s_and_b64 s[4:5], s[2:3], vcc
	buffer_store_dword v89, off, s[20:23], 0 offset:192 ; 4-byte Folded Spill
	s_nop 0
	buffer_store_dword v90, off, s[20:23], 0 offset:196 ; 4-byte Folded Spill
	buffer_store_dword v91, off, s[20:23], 0 offset:200 ; 4-byte Folded Spill
	;; [unrolled: 1-line block ×3, first 2 shown]
	s_mov_b64 exec, s[4:5]
	s_cbranch_execz .LBB73_118
; %bb.117:
	buffer_load_dword v73, off, s[20:23], 0 offset:712 ; 4-byte Folded Reload
	buffer_load_dword v74, off, s[20:23], 0 offset:716 ; 4-byte Folded Reload
	;; [unrolled: 1-line block ×4, first 2 shown]
	v_mov_b32_e32 v106, v96
	v_mov_b32_e32 v105, v95
	;; [unrolled: 1-line block ×4, first 2 shown]
	ds_read2_b64 v[99:102], v125 offset0:26 offset1:27
	s_waitcnt vmcnt(2)
	v_mul_f64 v[95:96], v[73:74], v[119:120]
	s_waitcnt vmcnt(0)
	v_mul_f64 v[97:98], v[75:76], v[119:120]
	v_fma_f64 v[119:120], v[75:76], v[117:118], v[95:96]
	v_fma_f64 v[97:98], v[73:74], v[117:118], -v[97:98]
	s_waitcnt lgkmcnt(0)
	v_mul_f64 v[93:94], v[101:102], v[119:120]
	v_mov_b32_e32 v118, v98
	v_mov_b32_e32 v117, v97
	v_fma_f64 v[93:94], v[99:100], v[97:98], -v[93:94]
	v_mul_f64 v[99:100], v[99:100], v[119:120]
	v_add_f64 v[109:110], v[109:110], -v[93:94]
	v_fma_f64 v[99:100], v[101:102], v[97:98], v[99:100]
	v_add_f64 v[111:112], v[111:112], -v[99:100]
	ds_read2_b64 v[99:102], v125 offset0:28 offset1:29
	buffer_load_dword v113, off, s[20:23], 0 offset:48 ; 4-byte Folded Reload
	buffer_load_dword v114, off, s[20:23], 0 offset:52 ; 4-byte Folded Reload
	;; [unrolled: 1-line block ×4, first 2 shown]
	s_waitcnt lgkmcnt(0)
	v_mul_f64 v[93:94], v[101:102], v[119:120]
	v_fma_f64 v[93:94], v[99:100], v[97:98], -v[93:94]
	v_mul_f64 v[99:100], v[99:100], v[119:120]
	v_fma_f64 v[99:100], v[101:102], v[97:98], v[99:100]
	s_waitcnt vmcnt(2)
	v_add_f64 v[113:114], v[113:114], -v[93:94]
	s_waitcnt vmcnt(0)
	v_add_f64 v[115:116], v[115:116], -v[99:100]
	buffer_store_dword v113, off, s[20:23], 0 offset:48 ; 4-byte Folded Spill
	s_nop 0
	buffer_store_dword v114, off, s[20:23], 0 offset:52 ; 4-byte Folded Spill
	buffer_store_dword v115, off, s[20:23], 0 offset:56 ; 4-byte Folded Spill
	;; [unrolled: 1-line block ×3, first 2 shown]
	buffer_load_dword v89, off, s[20:23], 0 offset:192 ; 4-byte Folded Reload
	buffer_load_dword v90, off, s[20:23], 0 offset:196 ; 4-byte Folded Reload
	;; [unrolled: 1-line block ×4, first 2 shown]
	ds_read2_b64 v[99:102], v125 offset0:30 offset1:31
	s_waitcnt lgkmcnt(0)
	v_mul_f64 v[93:94], v[101:102], v[119:120]
	v_fma_f64 v[93:94], v[99:100], v[97:98], -v[93:94]
	v_mul_f64 v[99:100], v[99:100], v[119:120]
	v_add_f64 v[103:104], v[103:104], -v[93:94]
	v_fma_f64 v[99:100], v[101:102], v[97:98], v[99:100]
	v_add_f64 v[105:106], v[105:106], -v[99:100]
	ds_read2_b64 v[99:102], v125 offset0:32 offset1:33
	buffer_load_dword v77, off, s[20:23], 0 offset:16 ; 4-byte Folded Reload
	buffer_load_dword v78, off, s[20:23], 0 offset:20 ; 4-byte Folded Reload
	;; [unrolled: 1-line block ×4, first 2 shown]
	s_waitcnt lgkmcnt(0)
	v_mul_f64 v[93:94], v[101:102], v[119:120]
	v_fma_f64 v[93:94], v[99:100], v[97:98], -v[93:94]
	v_mul_f64 v[99:100], v[99:100], v[119:120]
	v_fma_f64 v[99:100], v[101:102], v[97:98], v[99:100]
	s_waitcnt vmcnt(2)
	v_add_f64 v[77:78], v[77:78], -v[93:94]
	s_waitcnt vmcnt(0)
	v_add_f64 v[79:80], v[79:80], -v[99:100]
	buffer_store_dword v77, off, s[20:23], 0 offset:16 ; 4-byte Folded Spill
	s_nop 0
	buffer_store_dword v78, off, s[20:23], 0 offset:20 ; 4-byte Folded Spill
	buffer_store_dword v79, off, s[20:23], 0 offset:24 ; 4-byte Folded Spill
	;; [unrolled: 1-line block ×3, first 2 shown]
	ds_read2_b64 v[99:102], v125 offset0:34 offset1:35
	buffer_load_dword v73, off, s[20:23], 0 ; 4-byte Folded Reload
	buffer_load_dword v74, off, s[20:23], 0 offset:4 ; 4-byte Folded Reload
	buffer_load_dword v75, off, s[20:23], 0 offset:8 ; 4-byte Folded Reload
	;; [unrolled: 1-line block ×3, first 2 shown]
	s_waitcnt lgkmcnt(0)
	v_mul_f64 v[93:94], v[101:102], v[119:120]
	v_fma_f64 v[93:94], v[99:100], v[97:98], -v[93:94]
	v_mul_f64 v[99:100], v[99:100], v[119:120]
	v_fma_f64 v[99:100], v[101:102], v[97:98], v[99:100]
	s_waitcnt vmcnt(2)
	v_add_f64 v[73:74], v[73:74], -v[93:94]
	s_waitcnt vmcnt(0)
	v_add_f64 v[75:76], v[75:76], -v[99:100]
	buffer_store_dword v73, off, s[20:23], 0 ; 4-byte Folded Spill
	s_nop 0
	buffer_store_dword v74, off, s[20:23], 0 offset:4 ; 4-byte Folded Spill
	buffer_store_dword v75, off, s[20:23], 0 offset:8 ; 4-byte Folded Spill
	;; [unrolled: 1-line block ×3, first 2 shown]
	ds_read2_b64 v[99:102], v125 offset0:36 offset1:37
	s_waitcnt lgkmcnt(0)
	v_mul_f64 v[93:94], v[101:102], v[119:120]
	v_fma_f64 v[93:94], v[99:100], v[97:98], -v[93:94]
	v_mul_f64 v[99:100], v[99:100], v[119:120]
	v_add_f64 v[69:70], v[69:70], -v[93:94]
	v_fma_f64 v[99:100], v[101:102], v[97:98], v[99:100]
	v_add_f64 v[71:72], v[71:72], -v[99:100]
	ds_read2_b64 v[99:102], v125 offset0:38 offset1:39
	s_waitcnt lgkmcnt(0)
	v_mul_f64 v[93:94], v[101:102], v[119:120]
	v_fma_f64 v[93:94], v[99:100], v[97:98], -v[93:94]
	v_mul_f64 v[99:100], v[99:100], v[119:120]
	v_add_f64 v[65:66], v[65:66], -v[93:94]
	v_fma_f64 v[99:100], v[101:102], v[97:98], v[99:100]
	v_add_f64 v[67:68], v[67:68], -v[99:100]
	;; [unrolled: 8-line block ×18, first 2 shown]
	ds_read2_b64 v[99:102], v125 offset0:72 offset1:73
	buffer_load_dword v73, off, s[20:23], 0 offset:32 ; 4-byte Folded Reload
	buffer_load_dword v74, off, s[20:23], 0 offset:36 ; 4-byte Folded Reload
	;; [unrolled: 1-line block ×4, first 2 shown]
	s_waitcnt lgkmcnt(0)
	v_mul_f64 v[93:94], v[101:102], v[119:120]
	v_fma_f64 v[93:94], v[99:100], v[97:98], -v[93:94]
	v_mul_f64 v[99:100], v[99:100], v[119:120]
	v_fma_f64 v[99:100], v[101:102], v[97:98], v[99:100]
	s_waitcnt vmcnt(2)
	v_add_f64 v[73:74], v[73:74], -v[93:94]
	v_mov_b32_e32 v93, v103
	s_waitcnt vmcnt(0)
	v_add_f64 v[75:76], v[75:76], -v[99:100]
	v_mov_b32_e32 v94, v104
	v_mov_b32_e32 v95, v105
	;; [unrolled: 1-line block ×3, first 2 shown]
	buffer_store_dword v73, off, s[20:23], 0 offset:32 ; 4-byte Folded Spill
	s_nop 0
	buffer_store_dword v74, off, s[20:23], 0 offset:36 ; 4-byte Folded Spill
	buffer_store_dword v75, off, s[20:23], 0 offset:40 ; 4-byte Folded Spill
	;; [unrolled: 1-line block ×3, first 2 shown]
.LBB73_118:
	s_or_b64 exec, exec, s[2:3]
	v_cmp_eq_u32_e32 vcc, 13, v0
	s_waitcnt vmcnt(0)
	s_barrier
	s_and_saveexec_b64 s[4:5], vcc
	s_cbranch_execz .LBB73_125
; %bb.119:
	ds_write2_b64 v127, v[109:110], v[111:112] offset1:1
	buffer_load_dword v97, off, s[20:23], 0 offset:48 ; 4-byte Folded Reload
	buffer_load_dword v98, off, s[20:23], 0 offset:52 ; 4-byte Folded Reload
	;; [unrolled: 1-line block ×4, first 2 shown]
	s_waitcnt vmcnt(0)
	ds_write2_b64 v125, v[97:98], v[99:100] offset0:28 offset1:29
	ds_write2_b64 v125, v[93:94], v[95:96] offset0:30 offset1:31
	buffer_load_dword v77, off, s[20:23], 0 offset:16 ; 4-byte Folded Reload
	buffer_load_dword v78, off, s[20:23], 0 offset:20 ; 4-byte Folded Reload
	;; [unrolled: 1-line block ×4, first 2 shown]
	s_waitcnt vmcnt(0)
	ds_write2_b64 v125, v[77:78], v[79:80] offset0:32 offset1:33
	buffer_load_dword v73, off, s[20:23], 0 ; 4-byte Folded Reload
	buffer_load_dword v74, off, s[20:23], 0 offset:4 ; 4-byte Folded Reload
	buffer_load_dword v75, off, s[20:23], 0 offset:8 ; 4-byte Folded Reload
	;; [unrolled: 1-line block ×3, first 2 shown]
	s_waitcnt vmcnt(0)
	ds_write2_b64 v125, v[73:74], v[75:76] offset0:34 offset1:35
	ds_write2_b64 v125, v[69:70], v[71:72] offset0:36 offset1:37
	;; [unrolled: 1-line block ×19, first 2 shown]
	buffer_load_dword v73, off, s[20:23], 0 offset:32 ; 4-byte Folded Reload
	buffer_load_dword v74, off, s[20:23], 0 offset:36 ; 4-byte Folded Reload
	;; [unrolled: 1-line block ×4, first 2 shown]
	s_waitcnt vmcnt(0)
	ds_write2_b64 v125, v[73:74], v[75:76] offset0:72 offset1:73
	ds_read2_b64 v[97:100], v127 offset1:1
	s_waitcnt lgkmcnt(0)
	v_cmp_neq_f64_e32 vcc, 0, v[97:98]
	v_cmp_neq_f64_e64 s[2:3], 0, v[99:100]
	s_or_b64 s[2:3], vcc, s[2:3]
	s_and_b64 exec, exec, s[2:3]
	s_cbranch_execz .LBB73_125
; %bb.120:
	v_cmp_ngt_f64_e64 s[2:3], |v[97:98]|, |v[99:100]|
                                        ; implicit-def: $vgpr101_vgpr102
	s_and_saveexec_b64 s[6:7], s[2:3]
	s_xor_b64 s[2:3], exec, s[6:7]
                                        ; implicit-def: $vgpr103_vgpr104
	s_cbranch_execz .LBB73_122
; %bb.121:
	v_div_scale_f64 v[101:102], s[6:7], v[99:100], v[99:100], v[97:98]
	v_rcp_f64_e32 v[103:104], v[101:102]
	v_fma_f64 v[105:106], -v[101:102], v[103:104], 1.0
	v_fma_f64 v[103:104], v[103:104], v[105:106], v[103:104]
	v_div_scale_f64 v[105:106], vcc, v[97:98], v[99:100], v[97:98]
	v_fma_f64 v[107:108], -v[101:102], v[103:104], 1.0
	v_fma_f64 v[103:104], v[103:104], v[107:108], v[103:104]
	v_mul_f64 v[107:108], v[105:106], v[103:104]
	v_fma_f64 v[101:102], -v[101:102], v[107:108], v[105:106]
	v_div_fmas_f64 v[101:102], v[101:102], v[103:104], v[107:108]
	v_div_fixup_f64 v[101:102], v[101:102], v[99:100], v[97:98]
	v_fma_f64 v[97:98], v[97:98], v[101:102], v[99:100]
	v_div_scale_f64 v[99:100], s[6:7], v[97:98], v[97:98], 1.0
	v_div_scale_f64 v[107:108], vcc, 1.0, v[97:98], 1.0
	v_rcp_f64_e32 v[103:104], v[99:100]
	v_fma_f64 v[105:106], -v[99:100], v[103:104], 1.0
	v_fma_f64 v[103:104], v[103:104], v[105:106], v[103:104]
	v_fma_f64 v[105:106], -v[99:100], v[103:104], 1.0
	v_fma_f64 v[103:104], v[103:104], v[105:106], v[103:104]
	v_mul_f64 v[105:106], v[107:108], v[103:104]
	v_fma_f64 v[99:100], -v[99:100], v[105:106], v[107:108]
	v_div_fmas_f64 v[99:100], v[99:100], v[103:104], v[105:106]
	v_div_fixup_f64 v[103:104], v[99:100], v[97:98], 1.0
                                        ; implicit-def: $vgpr97_vgpr98
	v_mul_f64 v[101:102], v[101:102], v[103:104]
	v_xor_b32_e32 v104, 0x80000000, v104
.LBB73_122:
	s_andn2_saveexec_b64 s[2:3], s[2:3]
	s_cbranch_execz .LBB73_124
; %bb.123:
	v_div_scale_f64 v[101:102], s[6:7], v[97:98], v[97:98], v[99:100]
	v_rcp_f64_e32 v[103:104], v[101:102]
	v_fma_f64 v[105:106], -v[101:102], v[103:104], 1.0
	v_fma_f64 v[103:104], v[103:104], v[105:106], v[103:104]
	v_div_scale_f64 v[105:106], vcc, v[99:100], v[97:98], v[99:100]
	v_fma_f64 v[107:108], -v[101:102], v[103:104], 1.0
	v_fma_f64 v[103:104], v[103:104], v[107:108], v[103:104]
	v_mul_f64 v[107:108], v[105:106], v[103:104]
	v_fma_f64 v[101:102], -v[101:102], v[107:108], v[105:106]
	v_div_fmas_f64 v[101:102], v[101:102], v[103:104], v[107:108]
	v_div_fixup_f64 v[103:104], v[101:102], v[97:98], v[99:100]
	v_fma_f64 v[97:98], v[99:100], v[103:104], v[97:98]
	v_div_scale_f64 v[99:100], s[6:7], v[97:98], v[97:98], 1.0
	v_div_scale_f64 v[107:108], vcc, 1.0, v[97:98], 1.0
	v_rcp_f64_e32 v[101:102], v[99:100]
	v_fma_f64 v[105:106], -v[99:100], v[101:102], 1.0
	v_fma_f64 v[101:102], v[101:102], v[105:106], v[101:102]
	v_fma_f64 v[105:106], -v[99:100], v[101:102], 1.0
	v_fma_f64 v[101:102], v[101:102], v[105:106], v[101:102]
	v_mul_f64 v[105:106], v[107:108], v[101:102]
	v_fma_f64 v[99:100], -v[99:100], v[105:106], v[107:108]
	v_div_fmas_f64 v[99:100], v[99:100], v[101:102], v[105:106]
	v_div_fixup_f64 v[101:102], v[99:100], v[97:98], 1.0
	v_mul_f64 v[103:104], v[103:104], -v[101:102]
.LBB73_124:
	s_or_b64 exec, exec, s[2:3]
	ds_write2_b64 v127, v[101:102], v[103:104] offset1:1
.LBB73_125:
	s_or_b64 exec, exec, s[4:5]
	s_waitcnt lgkmcnt(0)
	s_barrier
	ds_read2_b64 v[73:76], v127 offset1:1
	v_cmp_lt_u32_e32 vcc, 13, v0
	s_waitcnt lgkmcnt(0)
	buffer_store_dword v73, off, s[20:23], 0 offset:728 ; 4-byte Folded Spill
	s_nop 0
	buffer_store_dword v74, off, s[20:23], 0 offset:732 ; 4-byte Folded Spill
	buffer_store_dword v75, off, s[20:23], 0 offset:736 ; 4-byte Folded Spill
	;; [unrolled: 1-line block ×3, first 2 shown]
	s_and_saveexec_b64 s[2:3], vcc
	s_cbranch_execz .LBB73_127
; %bb.126:
	buffer_load_dword v73, off, s[20:23], 0 offset:728 ; 4-byte Folded Reload
	buffer_load_dword v74, off, s[20:23], 0 offset:732 ; 4-byte Folded Reload
	;; [unrolled: 1-line block ×4, first 2 shown]
	ds_read2_b64 v[99:102], v125 offset0:28 offset1:29
	s_waitcnt vmcnt(2)
	v_mul_f64 v[91:92], v[73:74], v[111:112]
	s_waitcnt vmcnt(0)
	v_mul_f64 v[97:98], v[75:76], v[111:112]
	v_fma_f64 v[111:112], v[75:76], v[109:110], v[91:92]
	v_fma_f64 v[97:98], v[73:74], v[109:110], -v[97:98]
	s_waitcnt lgkmcnt(0)
	v_mul_f64 v[89:90], v[101:102], v[111:112]
	v_mov_b32_e32 v110, v98
	v_mov_b32_e32 v109, v97
	v_fma_f64 v[89:90], v[99:100], v[97:98], -v[89:90]
	v_mul_f64 v[99:100], v[99:100], v[111:112]
	v_fma_f64 v[99:100], v[101:102], v[97:98], v[99:100]
	buffer_load_dword v101, off, s[20:23], 0 offset:48 ; 4-byte Folded Reload
	buffer_load_dword v102, off, s[20:23], 0 offset:52 ; 4-byte Folded Reload
	;; [unrolled: 1-line block ×4, first 2 shown]
	s_waitcnt vmcnt(2)
	v_add_f64 v[101:102], v[101:102], -v[89:90]
	s_waitcnt vmcnt(0)
	v_add_f64 v[103:104], v[103:104], -v[99:100]
	buffer_store_dword v101, off, s[20:23], 0 offset:48 ; 4-byte Folded Spill
	s_nop 0
	buffer_store_dword v102, off, s[20:23], 0 offset:52 ; 4-byte Folded Spill
	buffer_store_dword v103, off, s[20:23], 0 offset:56 ; 4-byte Folded Spill
	;; [unrolled: 1-line block ×3, first 2 shown]
	ds_read2_b64 v[99:102], v125 offset0:30 offset1:31
	s_waitcnt lgkmcnt(0)
	v_mul_f64 v[89:90], v[101:102], v[111:112]
	v_fma_f64 v[89:90], v[99:100], v[97:98], -v[89:90]
	v_mul_f64 v[99:100], v[99:100], v[111:112]
	v_add_f64 v[93:94], v[93:94], -v[89:90]
	v_fma_f64 v[99:100], v[101:102], v[97:98], v[99:100]
	v_add_f64 v[95:96], v[95:96], -v[99:100]
	ds_read2_b64 v[99:102], v125 offset0:32 offset1:33
	buffer_load_dword v77, off, s[20:23], 0 offset:16 ; 4-byte Folded Reload
	buffer_load_dword v78, off, s[20:23], 0 offset:20 ; 4-byte Folded Reload
	;; [unrolled: 1-line block ×4, first 2 shown]
	s_waitcnt lgkmcnt(0)
	v_mul_f64 v[89:90], v[101:102], v[111:112]
	v_fma_f64 v[89:90], v[99:100], v[97:98], -v[89:90]
	v_mul_f64 v[99:100], v[99:100], v[111:112]
	v_fma_f64 v[99:100], v[101:102], v[97:98], v[99:100]
	s_waitcnt vmcnt(2)
	v_add_f64 v[77:78], v[77:78], -v[89:90]
	s_waitcnt vmcnt(0)
	v_add_f64 v[79:80], v[79:80], -v[99:100]
	buffer_store_dword v77, off, s[20:23], 0 offset:16 ; 4-byte Folded Spill
	s_nop 0
	buffer_store_dword v78, off, s[20:23], 0 offset:20 ; 4-byte Folded Spill
	buffer_store_dword v79, off, s[20:23], 0 offset:24 ; 4-byte Folded Spill
	;; [unrolled: 1-line block ×3, first 2 shown]
	ds_read2_b64 v[99:102], v125 offset0:34 offset1:35
	buffer_load_dword v73, off, s[20:23], 0 ; 4-byte Folded Reload
	buffer_load_dword v74, off, s[20:23], 0 offset:4 ; 4-byte Folded Reload
	buffer_load_dword v75, off, s[20:23], 0 offset:8 ; 4-byte Folded Reload
	;; [unrolled: 1-line block ×3, first 2 shown]
	s_waitcnt lgkmcnt(0)
	v_mul_f64 v[89:90], v[101:102], v[111:112]
	v_fma_f64 v[89:90], v[99:100], v[97:98], -v[89:90]
	v_mul_f64 v[99:100], v[99:100], v[111:112]
	v_fma_f64 v[99:100], v[101:102], v[97:98], v[99:100]
	s_waitcnt vmcnt(2)
	v_add_f64 v[73:74], v[73:74], -v[89:90]
	s_waitcnt vmcnt(0)
	v_add_f64 v[75:76], v[75:76], -v[99:100]
	buffer_store_dword v73, off, s[20:23], 0 ; 4-byte Folded Spill
	s_nop 0
	buffer_store_dword v74, off, s[20:23], 0 offset:4 ; 4-byte Folded Spill
	buffer_store_dword v75, off, s[20:23], 0 offset:8 ; 4-byte Folded Spill
	;; [unrolled: 1-line block ×3, first 2 shown]
	ds_read2_b64 v[99:102], v125 offset0:36 offset1:37
	s_waitcnt lgkmcnt(0)
	v_mul_f64 v[89:90], v[101:102], v[111:112]
	v_fma_f64 v[89:90], v[99:100], v[97:98], -v[89:90]
	v_mul_f64 v[99:100], v[99:100], v[111:112]
	v_add_f64 v[69:70], v[69:70], -v[89:90]
	v_fma_f64 v[99:100], v[101:102], v[97:98], v[99:100]
	v_add_f64 v[71:72], v[71:72], -v[99:100]
	ds_read2_b64 v[99:102], v125 offset0:38 offset1:39
	s_waitcnt lgkmcnt(0)
	v_mul_f64 v[89:90], v[101:102], v[111:112]
	v_fma_f64 v[89:90], v[99:100], v[97:98], -v[89:90]
	v_mul_f64 v[99:100], v[99:100], v[111:112]
	v_add_f64 v[65:66], v[65:66], -v[89:90]
	v_fma_f64 v[99:100], v[101:102], v[97:98], v[99:100]
	v_add_f64 v[67:68], v[67:68], -v[99:100]
	ds_read2_b64 v[99:102], v125 offset0:40 offset1:41
	s_waitcnt lgkmcnt(0)
	v_mul_f64 v[89:90], v[101:102], v[111:112]
	v_fma_f64 v[89:90], v[99:100], v[97:98], -v[89:90]
	v_mul_f64 v[99:100], v[99:100], v[111:112]
	v_add_f64 v[61:62], v[61:62], -v[89:90]
	v_fma_f64 v[99:100], v[101:102], v[97:98], v[99:100]
	v_add_f64 v[63:64], v[63:64], -v[99:100]
	ds_read2_b64 v[99:102], v125 offset0:42 offset1:43
	s_waitcnt lgkmcnt(0)
	v_mul_f64 v[89:90], v[101:102], v[111:112]
	v_fma_f64 v[89:90], v[99:100], v[97:98], -v[89:90]
	v_mul_f64 v[99:100], v[99:100], v[111:112]
	v_add_f64 v[57:58], v[57:58], -v[89:90]
	v_fma_f64 v[99:100], v[101:102], v[97:98], v[99:100]
	v_add_f64 v[59:60], v[59:60], -v[99:100]
	ds_read2_b64 v[99:102], v125 offset0:44 offset1:45
	s_waitcnt lgkmcnt(0)
	v_mul_f64 v[89:90], v[101:102], v[111:112]
	v_fma_f64 v[89:90], v[99:100], v[97:98], -v[89:90]
	v_mul_f64 v[99:100], v[99:100], v[111:112]
	v_add_f64 v[53:54], v[53:54], -v[89:90]
	v_fma_f64 v[99:100], v[101:102], v[97:98], v[99:100]
	v_add_f64 v[55:56], v[55:56], -v[99:100]
	ds_read2_b64 v[99:102], v125 offset0:46 offset1:47
	s_waitcnt lgkmcnt(0)
	v_mul_f64 v[89:90], v[101:102], v[111:112]
	v_fma_f64 v[89:90], v[99:100], v[97:98], -v[89:90]
	v_mul_f64 v[99:100], v[99:100], v[111:112]
	v_add_f64 v[49:50], v[49:50], -v[89:90]
	v_fma_f64 v[99:100], v[101:102], v[97:98], v[99:100]
	v_add_f64 v[51:52], v[51:52], -v[99:100]
	ds_read2_b64 v[99:102], v125 offset0:48 offset1:49
	s_waitcnt lgkmcnt(0)
	v_mul_f64 v[89:90], v[101:102], v[111:112]
	v_fma_f64 v[89:90], v[99:100], v[97:98], -v[89:90]
	v_mul_f64 v[99:100], v[99:100], v[111:112]
	v_add_f64 v[45:46], v[45:46], -v[89:90]
	v_fma_f64 v[99:100], v[101:102], v[97:98], v[99:100]
	v_add_f64 v[47:48], v[47:48], -v[99:100]
	ds_read2_b64 v[99:102], v125 offset0:50 offset1:51
	s_waitcnt lgkmcnt(0)
	v_mul_f64 v[89:90], v[101:102], v[111:112]
	v_fma_f64 v[89:90], v[99:100], v[97:98], -v[89:90]
	v_mul_f64 v[99:100], v[99:100], v[111:112]
	v_add_f64 v[41:42], v[41:42], -v[89:90]
	v_fma_f64 v[99:100], v[101:102], v[97:98], v[99:100]
	v_add_f64 v[43:44], v[43:44], -v[99:100]
	ds_read2_b64 v[99:102], v125 offset0:52 offset1:53
	s_waitcnt lgkmcnt(0)
	v_mul_f64 v[89:90], v[101:102], v[111:112]
	v_fma_f64 v[89:90], v[99:100], v[97:98], -v[89:90]
	v_mul_f64 v[99:100], v[99:100], v[111:112]
	v_add_f64 v[37:38], v[37:38], -v[89:90]
	v_fma_f64 v[99:100], v[101:102], v[97:98], v[99:100]
	v_add_f64 v[39:40], v[39:40], -v[99:100]
	ds_read2_b64 v[99:102], v125 offset0:54 offset1:55
	s_waitcnt lgkmcnt(0)
	v_mul_f64 v[89:90], v[101:102], v[111:112]
	v_fma_f64 v[89:90], v[99:100], v[97:98], -v[89:90]
	v_mul_f64 v[99:100], v[99:100], v[111:112]
	v_add_f64 v[33:34], v[33:34], -v[89:90]
	v_fma_f64 v[99:100], v[101:102], v[97:98], v[99:100]
	v_add_f64 v[35:36], v[35:36], -v[99:100]
	ds_read2_b64 v[99:102], v125 offset0:56 offset1:57
	s_waitcnt lgkmcnt(0)
	v_mul_f64 v[89:90], v[101:102], v[111:112]
	v_fma_f64 v[89:90], v[99:100], v[97:98], -v[89:90]
	v_mul_f64 v[99:100], v[99:100], v[111:112]
	v_add_f64 v[29:30], v[29:30], -v[89:90]
	v_fma_f64 v[99:100], v[101:102], v[97:98], v[99:100]
	v_add_f64 v[31:32], v[31:32], -v[99:100]
	ds_read2_b64 v[99:102], v125 offset0:58 offset1:59
	s_waitcnt lgkmcnt(0)
	v_mul_f64 v[89:90], v[101:102], v[111:112]
	v_fma_f64 v[89:90], v[99:100], v[97:98], -v[89:90]
	v_mul_f64 v[99:100], v[99:100], v[111:112]
	v_add_f64 v[25:26], v[25:26], -v[89:90]
	v_fma_f64 v[99:100], v[101:102], v[97:98], v[99:100]
	v_add_f64 v[27:28], v[27:28], -v[99:100]
	ds_read2_b64 v[99:102], v125 offset0:60 offset1:61
	s_waitcnt lgkmcnt(0)
	v_mul_f64 v[89:90], v[101:102], v[111:112]
	v_fma_f64 v[89:90], v[99:100], v[97:98], -v[89:90]
	v_mul_f64 v[99:100], v[99:100], v[111:112]
	v_add_f64 v[21:22], v[21:22], -v[89:90]
	v_fma_f64 v[99:100], v[101:102], v[97:98], v[99:100]
	v_add_f64 v[23:24], v[23:24], -v[99:100]
	ds_read2_b64 v[99:102], v125 offset0:62 offset1:63
	s_waitcnt lgkmcnt(0)
	v_mul_f64 v[89:90], v[101:102], v[111:112]
	v_fma_f64 v[89:90], v[99:100], v[97:98], -v[89:90]
	v_mul_f64 v[99:100], v[99:100], v[111:112]
	v_add_f64 v[17:18], v[17:18], -v[89:90]
	v_fma_f64 v[99:100], v[101:102], v[97:98], v[99:100]
	v_add_f64 v[19:20], v[19:20], -v[99:100]
	ds_read2_b64 v[99:102], v125 offset0:64 offset1:65
	s_waitcnt lgkmcnt(0)
	v_mul_f64 v[89:90], v[101:102], v[111:112]
	v_fma_f64 v[89:90], v[99:100], v[97:98], -v[89:90]
	v_mul_f64 v[99:100], v[99:100], v[111:112]
	v_add_f64 v[13:14], v[13:14], -v[89:90]
	v_fma_f64 v[99:100], v[101:102], v[97:98], v[99:100]
	v_add_f64 v[15:16], v[15:16], -v[99:100]
	ds_read2_b64 v[99:102], v125 offset0:66 offset1:67
	s_waitcnt lgkmcnt(0)
	v_mul_f64 v[89:90], v[101:102], v[111:112]
	v_fma_f64 v[89:90], v[99:100], v[97:98], -v[89:90]
	v_mul_f64 v[99:100], v[99:100], v[111:112]
	v_add_f64 v[9:10], v[9:10], -v[89:90]
	v_fma_f64 v[99:100], v[101:102], v[97:98], v[99:100]
	v_add_f64 v[11:12], v[11:12], -v[99:100]
	ds_read2_b64 v[99:102], v125 offset0:68 offset1:69
	s_waitcnt lgkmcnt(0)
	v_mul_f64 v[89:90], v[101:102], v[111:112]
	v_fma_f64 v[89:90], v[99:100], v[97:98], -v[89:90]
	v_mul_f64 v[99:100], v[99:100], v[111:112]
	v_add_f64 v[5:6], v[5:6], -v[89:90]
	v_fma_f64 v[99:100], v[101:102], v[97:98], v[99:100]
	v_add_f64 v[7:8], v[7:8], -v[99:100]
	ds_read2_b64 v[99:102], v125 offset0:70 offset1:71
	s_waitcnt lgkmcnt(0)
	v_mul_f64 v[89:90], v[101:102], v[111:112]
	v_fma_f64 v[89:90], v[99:100], v[97:98], -v[89:90]
	v_mul_f64 v[99:100], v[99:100], v[111:112]
	v_add_f64 v[1:2], v[1:2], -v[89:90]
	v_fma_f64 v[99:100], v[101:102], v[97:98], v[99:100]
	v_add_f64 v[3:4], v[3:4], -v[99:100]
	ds_read2_b64 v[99:102], v125 offset0:72 offset1:73
	buffer_load_dword v73, off, s[20:23], 0 offset:32 ; 4-byte Folded Reload
	buffer_load_dword v74, off, s[20:23], 0 offset:36 ; 4-byte Folded Reload
	;; [unrolled: 1-line block ×4, first 2 shown]
	s_waitcnt lgkmcnt(0)
	v_mul_f64 v[89:90], v[101:102], v[111:112]
	v_fma_f64 v[89:90], v[99:100], v[97:98], -v[89:90]
	v_mul_f64 v[99:100], v[99:100], v[111:112]
	v_fma_f64 v[99:100], v[101:102], v[97:98], v[99:100]
	s_waitcnt vmcnt(2)
	v_add_f64 v[73:74], v[73:74], -v[89:90]
	buffer_load_dword v89, off, s[20:23], 0 offset:192 ; 4-byte Folded Reload
	buffer_load_dword v90, off, s[20:23], 0 offset:196 ; 4-byte Folded Reload
	buffer_load_dword v91, off, s[20:23], 0 offset:200 ; 4-byte Folded Reload
	buffer_load_dword v92, off, s[20:23], 0 offset:204 ; 4-byte Folded Reload
	s_waitcnt vmcnt(4)
	v_add_f64 v[75:76], v[75:76], -v[99:100]
	buffer_store_dword v73, off, s[20:23], 0 offset:32 ; 4-byte Folded Spill
	s_nop 0
	buffer_store_dword v74, off, s[20:23], 0 offset:36 ; 4-byte Folded Spill
	buffer_store_dword v75, off, s[20:23], 0 offset:40 ; 4-byte Folded Spill
	;; [unrolled: 1-line block ×3, first 2 shown]
.LBB73_127:
	s_or_b64 exec, exec, s[2:3]
	v_cmp_eq_u32_e32 vcc, 14, v0
	s_waitcnt vmcnt(0)
	s_barrier
	s_and_saveexec_b64 s[4:5], vcc
	s_cbranch_execz .LBB73_134
; %bb.128:
	buffer_load_dword v97, off, s[20:23], 0 offset:48 ; 4-byte Folded Reload
	buffer_load_dword v98, off, s[20:23], 0 offset:52 ; 4-byte Folded Reload
	;; [unrolled: 1-line block ×4, first 2 shown]
	s_waitcnt vmcnt(0)
	ds_write2_b64 v127, v[97:98], v[99:100] offset1:1
	ds_write2_b64 v125, v[93:94], v[95:96] offset0:30 offset1:31
	buffer_load_dword v77, off, s[20:23], 0 offset:16 ; 4-byte Folded Reload
	buffer_load_dword v78, off, s[20:23], 0 offset:20 ; 4-byte Folded Reload
	;; [unrolled: 1-line block ×4, first 2 shown]
	s_waitcnt vmcnt(0)
	ds_write2_b64 v125, v[77:78], v[79:80] offset0:32 offset1:33
	buffer_load_dword v73, off, s[20:23], 0 ; 4-byte Folded Reload
	buffer_load_dword v74, off, s[20:23], 0 offset:4 ; 4-byte Folded Reload
	buffer_load_dword v75, off, s[20:23], 0 offset:8 ; 4-byte Folded Reload
	;; [unrolled: 1-line block ×3, first 2 shown]
	s_waitcnt vmcnt(0)
	ds_write2_b64 v125, v[73:74], v[75:76] offset0:34 offset1:35
	ds_write2_b64 v125, v[69:70], v[71:72] offset0:36 offset1:37
	;; [unrolled: 1-line block ×19, first 2 shown]
	buffer_load_dword v73, off, s[20:23], 0 offset:32 ; 4-byte Folded Reload
	buffer_load_dword v74, off, s[20:23], 0 offset:36 ; 4-byte Folded Reload
	buffer_load_dword v75, off, s[20:23], 0 offset:40 ; 4-byte Folded Reload
	buffer_load_dword v76, off, s[20:23], 0 offset:44 ; 4-byte Folded Reload
	s_waitcnt vmcnt(0)
	ds_write2_b64 v125, v[73:74], v[75:76] offset0:72 offset1:73
	ds_read2_b64 v[97:100], v127 offset1:1
	s_waitcnt lgkmcnt(0)
	v_cmp_neq_f64_e32 vcc, 0, v[97:98]
	v_cmp_neq_f64_e64 s[2:3], 0, v[99:100]
	s_or_b64 s[2:3], vcc, s[2:3]
	s_and_b64 exec, exec, s[2:3]
	s_cbranch_execz .LBB73_134
; %bb.129:
	v_cmp_ngt_f64_e64 s[2:3], |v[97:98]|, |v[99:100]|
                                        ; implicit-def: $vgpr101_vgpr102
	s_and_saveexec_b64 s[6:7], s[2:3]
	s_xor_b64 s[2:3], exec, s[6:7]
                                        ; implicit-def: $vgpr103_vgpr104
	s_cbranch_execz .LBB73_131
; %bb.130:
	v_div_scale_f64 v[101:102], s[6:7], v[99:100], v[99:100], v[97:98]
	v_rcp_f64_e32 v[103:104], v[101:102]
	v_fma_f64 v[105:106], -v[101:102], v[103:104], 1.0
	v_fma_f64 v[103:104], v[103:104], v[105:106], v[103:104]
	v_div_scale_f64 v[105:106], vcc, v[97:98], v[99:100], v[97:98]
	v_fma_f64 v[107:108], -v[101:102], v[103:104], 1.0
	v_fma_f64 v[103:104], v[103:104], v[107:108], v[103:104]
	v_mul_f64 v[107:108], v[105:106], v[103:104]
	v_fma_f64 v[101:102], -v[101:102], v[107:108], v[105:106]
	v_div_fmas_f64 v[101:102], v[101:102], v[103:104], v[107:108]
	v_div_fixup_f64 v[101:102], v[101:102], v[99:100], v[97:98]
	v_fma_f64 v[97:98], v[97:98], v[101:102], v[99:100]
	v_div_scale_f64 v[99:100], s[6:7], v[97:98], v[97:98], 1.0
	v_div_scale_f64 v[107:108], vcc, 1.0, v[97:98], 1.0
	v_rcp_f64_e32 v[103:104], v[99:100]
	v_fma_f64 v[105:106], -v[99:100], v[103:104], 1.0
	v_fma_f64 v[103:104], v[103:104], v[105:106], v[103:104]
	v_fma_f64 v[105:106], -v[99:100], v[103:104], 1.0
	v_fma_f64 v[103:104], v[103:104], v[105:106], v[103:104]
	v_mul_f64 v[105:106], v[107:108], v[103:104]
	v_fma_f64 v[99:100], -v[99:100], v[105:106], v[107:108]
	v_div_fmas_f64 v[99:100], v[99:100], v[103:104], v[105:106]
	v_div_fixup_f64 v[103:104], v[99:100], v[97:98], 1.0
                                        ; implicit-def: $vgpr97_vgpr98
	v_mul_f64 v[101:102], v[101:102], v[103:104]
	v_xor_b32_e32 v104, 0x80000000, v104
.LBB73_131:
	s_andn2_saveexec_b64 s[2:3], s[2:3]
	s_cbranch_execz .LBB73_133
; %bb.132:
	v_div_scale_f64 v[101:102], s[6:7], v[97:98], v[97:98], v[99:100]
	v_rcp_f64_e32 v[103:104], v[101:102]
	v_fma_f64 v[105:106], -v[101:102], v[103:104], 1.0
	v_fma_f64 v[103:104], v[103:104], v[105:106], v[103:104]
	v_div_scale_f64 v[105:106], vcc, v[99:100], v[97:98], v[99:100]
	v_fma_f64 v[107:108], -v[101:102], v[103:104], 1.0
	v_fma_f64 v[103:104], v[103:104], v[107:108], v[103:104]
	v_mul_f64 v[107:108], v[105:106], v[103:104]
	v_fma_f64 v[101:102], -v[101:102], v[107:108], v[105:106]
	v_div_fmas_f64 v[101:102], v[101:102], v[103:104], v[107:108]
	v_div_fixup_f64 v[103:104], v[101:102], v[97:98], v[99:100]
	v_fma_f64 v[97:98], v[99:100], v[103:104], v[97:98]
	v_div_scale_f64 v[99:100], s[6:7], v[97:98], v[97:98], 1.0
	v_div_scale_f64 v[107:108], vcc, 1.0, v[97:98], 1.0
	v_rcp_f64_e32 v[101:102], v[99:100]
	v_fma_f64 v[105:106], -v[99:100], v[101:102], 1.0
	v_fma_f64 v[101:102], v[101:102], v[105:106], v[101:102]
	v_fma_f64 v[105:106], -v[99:100], v[101:102], 1.0
	v_fma_f64 v[101:102], v[101:102], v[105:106], v[101:102]
	v_mul_f64 v[105:106], v[107:108], v[101:102]
	v_fma_f64 v[99:100], -v[99:100], v[105:106], v[107:108]
	v_div_fmas_f64 v[99:100], v[99:100], v[101:102], v[105:106]
	v_div_fixup_f64 v[101:102], v[99:100], v[97:98], 1.0
	v_mul_f64 v[103:104], v[103:104], -v[101:102]
.LBB73_133:
	s_or_b64 exec, exec, s[2:3]
	ds_write2_b64 v127, v[101:102], v[103:104] offset1:1
.LBB73_134:
	s_or_b64 exec, exec, s[4:5]
	s_waitcnt lgkmcnt(0)
	s_barrier
	ds_read2_b64 v[73:76], v127 offset1:1
	v_cmp_lt_u32_e32 vcc, 14, v0
	s_waitcnt lgkmcnt(0)
	buffer_store_dword v73, off, s[20:23], 0 offset:744 ; 4-byte Folded Spill
	s_nop 0
	buffer_store_dword v74, off, s[20:23], 0 offset:748 ; 4-byte Folded Spill
	buffer_store_dword v75, off, s[20:23], 0 offset:752 ; 4-byte Folded Spill
	buffer_store_dword v76, off, s[20:23], 0 offset:756 ; 4-byte Folded Spill
	s_mov_b64 s[2:3], exec
	s_and_b64 s[4:5], s[2:3], vcc
	buffer_store_dword v85, off, s[20:23], 0 offset:504 ; 4-byte Folded Spill
	s_nop 0
	buffer_store_dword v86, off, s[20:23], 0 offset:508 ; 4-byte Folded Spill
	buffer_store_dword v87, off, s[20:23], 0 offset:512 ; 4-byte Folded Spill
	;; [unrolled: 1-line block ×3, first 2 shown]
	s_mov_b64 exec, s[4:5]
	s_cbranch_execz .LBB73_136
; %bb.135:
	buffer_load_dword v101, off, s[20:23], 0 offset:48 ; 4-byte Folded Reload
	buffer_load_dword v102, off, s[20:23], 0 offset:52 ; 4-byte Folded Reload
	;; [unrolled: 1-line block ×8, first 2 shown]
	s_waitcnt vmcnt(2)
	v_mul_f64 v[87:88], v[73:74], v[103:104]
	s_waitcnt vmcnt(0)
	v_mul_f64 v[97:98], v[75:76], v[103:104]
	v_fma_f64 v[103:104], v[75:76], v[101:102], v[87:88]
	v_fma_f64 v[97:98], v[73:74], v[101:102], -v[97:98]
	ds_read2_b64 v[99:102], v125 offset0:30 offset1:31
	s_waitcnt lgkmcnt(0)
	v_mul_f64 v[85:86], v[101:102], v[103:104]
	v_fma_f64 v[85:86], v[99:100], v[97:98], -v[85:86]
	v_mul_f64 v[99:100], v[99:100], v[103:104]
	v_add_f64 v[93:94], v[93:94], -v[85:86]
	v_fma_f64 v[99:100], v[101:102], v[97:98], v[99:100]
	v_add_f64 v[95:96], v[95:96], -v[99:100]
	ds_read2_b64 v[99:102], v125 offset0:32 offset1:33
	buffer_load_dword v77, off, s[20:23], 0 offset:16 ; 4-byte Folded Reload
	buffer_load_dword v78, off, s[20:23], 0 offset:20 ; 4-byte Folded Reload
	;; [unrolled: 1-line block ×4, first 2 shown]
	s_waitcnt lgkmcnt(0)
	v_mul_f64 v[85:86], v[101:102], v[103:104]
	v_fma_f64 v[85:86], v[99:100], v[97:98], -v[85:86]
	v_mul_f64 v[99:100], v[99:100], v[103:104]
	v_fma_f64 v[99:100], v[101:102], v[97:98], v[99:100]
	s_waitcnt vmcnt(2)
	v_add_f64 v[77:78], v[77:78], -v[85:86]
	s_waitcnt vmcnt(0)
	v_add_f64 v[79:80], v[79:80], -v[99:100]
	buffer_store_dword v77, off, s[20:23], 0 offset:16 ; 4-byte Folded Spill
	s_nop 0
	buffer_store_dword v78, off, s[20:23], 0 offset:20 ; 4-byte Folded Spill
	buffer_store_dword v79, off, s[20:23], 0 offset:24 ; 4-byte Folded Spill
	;; [unrolled: 1-line block ×3, first 2 shown]
	ds_read2_b64 v[99:102], v125 offset0:34 offset1:35
	buffer_load_dword v73, off, s[20:23], 0 ; 4-byte Folded Reload
	buffer_load_dword v74, off, s[20:23], 0 offset:4 ; 4-byte Folded Reload
	buffer_load_dword v75, off, s[20:23], 0 offset:8 ; 4-byte Folded Reload
	;; [unrolled: 1-line block ×3, first 2 shown]
	s_waitcnt lgkmcnt(0)
	v_mul_f64 v[85:86], v[101:102], v[103:104]
	v_fma_f64 v[85:86], v[99:100], v[97:98], -v[85:86]
	v_mul_f64 v[99:100], v[99:100], v[103:104]
	v_fma_f64 v[99:100], v[101:102], v[97:98], v[99:100]
	s_waitcnt vmcnt(2)
	v_add_f64 v[73:74], v[73:74], -v[85:86]
	s_waitcnt vmcnt(0)
	v_add_f64 v[75:76], v[75:76], -v[99:100]
	buffer_store_dword v73, off, s[20:23], 0 ; 4-byte Folded Spill
	s_nop 0
	buffer_store_dword v74, off, s[20:23], 0 offset:4 ; 4-byte Folded Spill
	buffer_store_dword v75, off, s[20:23], 0 offset:8 ; 4-byte Folded Spill
	buffer_store_dword v76, off, s[20:23], 0 offset:12 ; 4-byte Folded Spill
	ds_read2_b64 v[99:102], v125 offset0:36 offset1:37
	s_waitcnt lgkmcnt(0)
	v_mul_f64 v[85:86], v[101:102], v[103:104]
	v_fma_f64 v[85:86], v[99:100], v[97:98], -v[85:86]
	v_mul_f64 v[99:100], v[99:100], v[103:104]
	v_add_f64 v[69:70], v[69:70], -v[85:86]
	v_fma_f64 v[99:100], v[101:102], v[97:98], v[99:100]
	v_add_f64 v[71:72], v[71:72], -v[99:100]
	ds_read2_b64 v[99:102], v125 offset0:38 offset1:39
	s_waitcnt lgkmcnt(0)
	v_mul_f64 v[85:86], v[101:102], v[103:104]
	v_fma_f64 v[85:86], v[99:100], v[97:98], -v[85:86]
	v_mul_f64 v[99:100], v[99:100], v[103:104]
	v_add_f64 v[65:66], v[65:66], -v[85:86]
	v_fma_f64 v[99:100], v[101:102], v[97:98], v[99:100]
	v_add_f64 v[67:68], v[67:68], -v[99:100]
	;; [unrolled: 8-line block ×18, first 2 shown]
	ds_read2_b64 v[99:102], v125 offset0:72 offset1:73
	buffer_load_dword v73, off, s[20:23], 0 offset:32 ; 4-byte Folded Reload
	buffer_load_dword v74, off, s[20:23], 0 offset:36 ; 4-byte Folded Reload
	;; [unrolled: 1-line block ×4, first 2 shown]
	s_waitcnt lgkmcnt(0)
	v_mul_f64 v[85:86], v[101:102], v[103:104]
	v_fma_f64 v[85:86], v[99:100], v[97:98], -v[85:86]
	v_mul_f64 v[99:100], v[99:100], v[103:104]
	v_fma_f64 v[99:100], v[101:102], v[97:98], v[99:100]
	v_mov_b32_e32 v102, v98
	v_mov_b32_e32 v101, v97
	s_waitcnt vmcnt(2)
	v_add_f64 v[73:74], v[73:74], -v[85:86]
	s_waitcnt vmcnt(0)
	v_add_f64 v[75:76], v[75:76], -v[99:100]
	buffer_store_dword v73, off, s[20:23], 0 offset:32 ; 4-byte Folded Spill
	s_nop 0
	buffer_store_dword v74, off, s[20:23], 0 offset:36 ; 4-byte Folded Spill
	buffer_store_dword v75, off, s[20:23], 0 offset:40 ; 4-byte Folded Spill
	;; [unrolled: 1-line block ×4, first 2 shown]
	s_nop 0
	buffer_store_dword v102, off, s[20:23], 0 offset:52 ; 4-byte Folded Spill
	buffer_store_dword v103, off, s[20:23], 0 offset:56 ; 4-byte Folded Spill
	buffer_store_dword v104, off, s[20:23], 0 offset:60 ; 4-byte Folded Spill
.LBB73_136:
	s_or_b64 exec, exec, s[2:3]
	v_cmp_eq_u32_e32 vcc, 15, v0
	s_waitcnt vmcnt(0)
	s_barrier
	s_and_saveexec_b64 s[4:5], vcc
	s_cbranch_execz .LBB73_143
; %bb.137:
	ds_write2_b64 v127, v[93:94], v[95:96] offset1:1
	buffer_load_dword v77, off, s[20:23], 0 offset:16 ; 4-byte Folded Reload
	buffer_load_dword v78, off, s[20:23], 0 offset:20 ; 4-byte Folded Reload
	;; [unrolled: 1-line block ×4, first 2 shown]
	s_waitcnt vmcnt(0)
	ds_write2_b64 v125, v[77:78], v[79:80] offset0:32 offset1:33
	buffer_load_dword v73, off, s[20:23], 0 ; 4-byte Folded Reload
	buffer_load_dword v74, off, s[20:23], 0 offset:4 ; 4-byte Folded Reload
	buffer_load_dword v75, off, s[20:23], 0 offset:8 ; 4-byte Folded Reload
	;; [unrolled: 1-line block ×3, first 2 shown]
	s_waitcnt vmcnt(0)
	ds_write2_b64 v125, v[73:74], v[75:76] offset0:34 offset1:35
	ds_write2_b64 v125, v[69:70], v[71:72] offset0:36 offset1:37
	ds_write2_b64 v125, v[65:66], v[67:68] offset0:38 offset1:39
	ds_write2_b64 v125, v[61:62], v[63:64] offset0:40 offset1:41
	ds_write2_b64 v125, v[57:58], v[59:60] offset0:42 offset1:43
	ds_write2_b64 v125, v[53:54], v[55:56] offset0:44 offset1:45
	ds_write2_b64 v125, v[49:50], v[51:52] offset0:46 offset1:47
	ds_write2_b64 v125, v[45:46], v[47:48] offset0:48 offset1:49
	ds_write2_b64 v125, v[41:42], v[43:44] offset0:50 offset1:51
	ds_write2_b64 v125, v[37:38], v[39:40] offset0:52 offset1:53
	ds_write2_b64 v125, v[33:34], v[35:36] offset0:54 offset1:55
	ds_write2_b64 v125, v[29:30], v[31:32] offset0:56 offset1:57
	ds_write2_b64 v125, v[25:26], v[27:28] offset0:58 offset1:59
	ds_write2_b64 v125, v[21:22], v[23:24] offset0:60 offset1:61
	ds_write2_b64 v125, v[17:18], v[19:20] offset0:62 offset1:63
	ds_write2_b64 v125, v[13:14], v[15:16] offset0:64 offset1:65
	ds_write2_b64 v125, v[9:10], v[11:12] offset0:66 offset1:67
	ds_write2_b64 v125, v[5:6], v[7:8] offset0:68 offset1:69
	ds_write2_b64 v125, v[1:2], v[3:4] offset0:70 offset1:71
	buffer_load_dword v73, off, s[20:23], 0 offset:32 ; 4-byte Folded Reload
	buffer_load_dword v74, off, s[20:23], 0 offset:36 ; 4-byte Folded Reload
	;; [unrolled: 1-line block ×4, first 2 shown]
	s_waitcnt vmcnt(0)
	ds_write2_b64 v125, v[73:74], v[75:76] offset0:72 offset1:73
	ds_read2_b64 v[97:100], v127 offset1:1
	s_waitcnt lgkmcnt(0)
	v_cmp_neq_f64_e32 vcc, 0, v[97:98]
	v_cmp_neq_f64_e64 s[2:3], 0, v[99:100]
	s_or_b64 s[2:3], vcc, s[2:3]
	s_and_b64 exec, exec, s[2:3]
	s_cbranch_execz .LBB73_143
; %bb.138:
	v_cmp_ngt_f64_e64 s[2:3], |v[97:98]|, |v[99:100]|
                                        ; implicit-def: $vgpr101_vgpr102
	s_and_saveexec_b64 s[6:7], s[2:3]
	s_xor_b64 s[2:3], exec, s[6:7]
                                        ; implicit-def: $vgpr103_vgpr104
	s_cbranch_execz .LBB73_140
; %bb.139:
	v_div_scale_f64 v[101:102], s[6:7], v[99:100], v[99:100], v[97:98]
	v_rcp_f64_e32 v[103:104], v[101:102]
	v_fma_f64 v[105:106], -v[101:102], v[103:104], 1.0
	v_fma_f64 v[103:104], v[103:104], v[105:106], v[103:104]
	v_div_scale_f64 v[105:106], vcc, v[97:98], v[99:100], v[97:98]
	v_fma_f64 v[107:108], -v[101:102], v[103:104], 1.0
	v_fma_f64 v[103:104], v[103:104], v[107:108], v[103:104]
	v_mul_f64 v[107:108], v[105:106], v[103:104]
	v_fma_f64 v[101:102], -v[101:102], v[107:108], v[105:106]
	v_div_fmas_f64 v[101:102], v[101:102], v[103:104], v[107:108]
	v_div_fixup_f64 v[101:102], v[101:102], v[99:100], v[97:98]
	v_fma_f64 v[97:98], v[97:98], v[101:102], v[99:100]
	v_div_scale_f64 v[99:100], s[6:7], v[97:98], v[97:98], 1.0
	v_div_scale_f64 v[107:108], vcc, 1.0, v[97:98], 1.0
	v_rcp_f64_e32 v[103:104], v[99:100]
	v_fma_f64 v[105:106], -v[99:100], v[103:104], 1.0
	v_fma_f64 v[103:104], v[103:104], v[105:106], v[103:104]
	v_fma_f64 v[105:106], -v[99:100], v[103:104], 1.0
	v_fma_f64 v[103:104], v[103:104], v[105:106], v[103:104]
	v_mul_f64 v[105:106], v[107:108], v[103:104]
	v_fma_f64 v[99:100], -v[99:100], v[105:106], v[107:108]
	v_div_fmas_f64 v[99:100], v[99:100], v[103:104], v[105:106]
	v_div_fixup_f64 v[103:104], v[99:100], v[97:98], 1.0
                                        ; implicit-def: $vgpr97_vgpr98
	v_mul_f64 v[101:102], v[101:102], v[103:104]
	v_xor_b32_e32 v104, 0x80000000, v104
.LBB73_140:
	s_andn2_saveexec_b64 s[2:3], s[2:3]
	s_cbranch_execz .LBB73_142
; %bb.141:
	v_div_scale_f64 v[101:102], s[6:7], v[97:98], v[97:98], v[99:100]
	v_rcp_f64_e32 v[103:104], v[101:102]
	v_fma_f64 v[105:106], -v[101:102], v[103:104], 1.0
	v_fma_f64 v[103:104], v[103:104], v[105:106], v[103:104]
	v_div_scale_f64 v[105:106], vcc, v[99:100], v[97:98], v[99:100]
	v_fma_f64 v[107:108], -v[101:102], v[103:104], 1.0
	v_fma_f64 v[103:104], v[103:104], v[107:108], v[103:104]
	v_mul_f64 v[107:108], v[105:106], v[103:104]
	v_fma_f64 v[101:102], -v[101:102], v[107:108], v[105:106]
	v_div_fmas_f64 v[101:102], v[101:102], v[103:104], v[107:108]
	v_div_fixup_f64 v[103:104], v[101:102], v[97:98], v[99:100]
	v_fma_f64 v[97:98], v[99:100], v[103:104], v[97:98]
	v_div_scale_f64 v[99:100], s[6:7], v[97:98], v[97:98], 1.0
	v_div_scale_f64 v[107:108], vcc, 1.0, v[97:98], 1.0
	v_rcp_f64_e32 v[101:102], v[99:100]
	v_fma_f64 v[105:106], -v[99:100], v[101:102], 1.0
	v_fma_f64 v[101:102], v[101:102], v[105:106], v[101:102]
	v_fma_f64 v[105:106], -v[99:100], v[101:102], 1.0
	v_fma_f64 v[101:102], v[101:102], v[105:106], v[101:102]
	v_mul_f64 v[105:106], v[107:108], v[101:102]
	v_fma_f64 v[99:100], -v[99:100], v[105:106], v[107:108]
	v_div_fmas_f64 v[99:100], v[99:100], v[101:102], v[105:106]
	v_div_fixup_f64 v[101:102], v[99:100], v[97:98], 1.0
	v_mul_f64 v[103:104], v[103:104], -v[101:102]
.LBB73_142:
	s_or_b64 exec, exec, s[2:3]
	ds_write2_b64 v127, v[101:102], v[103:104] offset1:1
.LBB73_143:
	s_or_b64 exec, exec, s[4:5]
	s_waitcnt lgkmcnt(0)
	s_barrier
	ds_read2_b64 v[73:76], v127 offset1:1
	v_cmp_lt_u32_e32 vcc, 15, v0
	s_waitcnt lgkmcnt(0)
	buffer_store_dword v73, off, s[20:23], 0 offset:840 ; 4-byte Folded Spill
	s_nop 0
	buffer_store_dword v74, off, s[20:23], 0 offset:844 ; 4-byte Folded Spill
	buffer_store_dword v75, off, s[20:23], 0 offset:848 ; 4-byte Folded Spill
	;; [unrolled: 1-line block ×3, first 2 shown]
	s_mov_b64 s[2:3], exec
	s_and_b64 s[4:5], s[2:3], vcc
	buffer_store_dword v81, off, s[20:23], 0 offset:480 ; 4-byte Folded Spill
	s_nop 0
	buffer_store_dword v82, off, s[20:23], 0 offset:484 ; 4-byte Folded Spill
	buffer_store_dword v83, off, s[20:23], 0 offset:488 ; 4-byte Folded Spill
	;; [unrolled: 1-line block ×3, first 2 shown]
	s_mov_b64 exec, s[4:5]
	s_cbranch_execz .LBB73_145
; %bb.144:
	buffer_load_dword v73, off, s[20:23], 0 offset:840 ; 4-byte Folded Reload
	buffer_load_dword v74, off, s[20:23], 0 offset:844 ; 4-byte Folded Reload
	;; [unrolled: 1-line block ×4, first 2 shown]
	ds_read2_b64 v[99:102], v125 offset0:32 offset1:33
	buffer_load_dword v77, off, s[20:23], 0 offset:16 ; 4-byte Folded Reload
	buffer_load_dword v78, off, s[20:23], 0 offset:20 ; 4-byte Folded Reload
	;; [unrolled: 1-line block ×4, first 2 shown]
	s_waitcnt vmcnt(6)
	v_mul_f64 v[83:84], v[73:74], v[95:96]
	s_waitcnt vmcnt(4)
	v_mul_f64 v[97:98], v[75:76], v[95:96]
	v_fma_f64 v[95:96], v[75:76], v[93:94], v[83:84]
	v_fma_f64 v[97:98], v[73:74], v[93:94], -v[97:98]
	s_waitcnt lgkmcnt(0)
	v_mul_f64 v[81:82], v[101:102], v[95:96]
	v_mov_b32_e32 v93, v97
	v_mov_b32_e32 v94, v98
	v_fma_f64 v[81:82], v[99:100], v[97:98], -v[81:82]
	v_mul_f64 v[99:100], v[99:100], v[95:96]
	s_waitcnt vmcnt(2)
	v_add_f64 v[77:78], v[77:78], -v[81:82]
	v_fma_f64 v[99:100], v[101:102], v[97:98], v[99:100]
	s_waitcnt vmcnt(0)
	v_add_f64 v[79:80], v[79:80], -v[99:100]
	buffer_store_dword v77, off, s[20:23], 0 offset:16 ; 4-byte Folded Spill
	s_nop 0
	buffer_store_dword v78, off, s[20:23], 0 offset:20 ; 4-byte Folded Spill
	buffer_store_dword v79, off, s[20:23], 0 offset:24 ; 4-byte Folded Spill
	;; [unrolled: 1-line block ×3, first 2 shown]
	ds_read2_b64 v[99:102], v125 offset0:34 offset1:35
	buffer_load_dword v73, off, s[20:23], 0 ; 4-byte Folded Reload
	buffer_load_dword v74, off, s[20:23], 0 offset:4 ; 4-byte Folded Reload
	buffer_load_dword v75, off, s[20:23], 0 offset:8 ; 4-byte Folded Reload
	;; [unrolled: 1-line block ×3, first 2 shown]
	s_waitcnt lgkmcnt(0)
	v_mul_f64 v[81:82], v[101:102], v[95:96]
	v_fma_f64 v[81:82], v[99:100], v[97:98], -v[81:82]
	v_mul_f64 v[99:100], v[99:100], v[95:96]
	v_fma_f64 v[99:100], v[101:102], v[97:98], v[99:100]
	s_waitcnt vmcnt(2)
	v_add_f64 v[73:74], v[73:74], -v[81:82]
	s_waitcnt vmcnt(0)
	v_add_f64 v[75:76], v[75:76], -v[99:100]
	buffer_store_dword v73, off, s[20:23], 0 ; 4-byte Folded Spill
	s_nop 0
	buffer_store_dword v74, off, s[20:23], 0 offset:4 ; 4-byte Folded Spill
	buffer_store_dword v75, off, s[20:23], 0 offset:8 ; 4-byte Folded Spill
	;; [unrolled: 1-line block ×3, first 2 shown]
	ds_read2_b64 v[99:102], v125 offset0:36 offset1:37
	s_waitcnt lgkmcnt(0)
	v_mul_f64 v[81:82], v[101:102], v[95:96]
	v_fma_f64 v[81:82], v[99:100], v[97:98], -v[81:82]
	v_mul_f64 v[99:100], v[99:100], v[95:96]
	v_add_f64 v[69:70], v[69:70], -v[81:82]
	v_fma_f64 v[99:100], v[101:102], v[97:98], v[99:100]
	v_add_f64 v[71:72], v[71:72], -v[99:100]
	ds_read2_b64 v[99:102], v125 offset0:38 offset1:39
	s_waitcnt lgkmcnt(0)
	v_mul_f64 v[81:82], v[101:102], v[95:96]
	v_fma_f64 v[81:82], v[99:100], v[97:98], -v[81:82]
	v_mul_f64 v[99:100], v[99:100], v[95:96]
	v_add_f64 v[65:66], v[65:66], -v[81:82]
	v_fma_f64 v[99:100], v[101:102], v[97:98], v[99:100]
	v_add_f64 v[67:68], v[67:68], -v[99:100]
	;; [unrolled: 8-line block ×18, first 2 shown]
	ds_read2_b64 v[99:102], v125 offset0:72 offset1:73
	buffer_load_dword v73, off, s[20:23], 0 offset:32 ; 4-byte Folded Reload
	buffer_load_dword v74, off, s[20:23], 0 offset:36 ; 4-byte Folded Reload
	;; [unrolled: 1-line block ×4, first 2 shown]
	s_waitcnt lgkmcnt(0)
	v_mul_f64 v[81:82], v[101:102], v[95:96]
	v_fma_f64 v[81:82], v[99:100], v[97:98], -v[81:82]
	v_mul_f64 v[99:100], v[99:100], v[95:96]
	v_fma_f64 v[99:100], v[101:102], v[97:98], v[99:100]
	s_waitcnt vmcnt(2)
	v_add_f64 v[73:74], v[73:74], -v[81:82]
	s_waitcnt vmcnt(0)
	v_add_f64 v[75:76], v[75:76], -v[99:100]
	buffer_store_dword v73, off, s[20:23], 0 offset:32 ; 4-byte Folded Spill
	s_nop 0
	buffer_store_dword v74, off, s[20:23], 0 offset:36 ; 4-byte Folded Spill
	buffer_store_dword v75, off, s[20:23], 0 offset:40 ; 4-byte Folded Spill
	;; [unrolled: 1-line block ×3, first 2 shown]
.LBB73_145:
	s_or_b64 exec, exec, s[2:3]
	v_cmp_eq_u32_e32 vcc, 16, v0
	s_waitcnt vmcnt(0)
	s_barrier
	s_and_saveexec_b64 s[4:5], vcc
	s_cbranch_execz .LBB73_152
; %bb.146:
	buffer_load_dword v77, off, s[20:23], 0 offset:16 ; 4-byte Folded Reload
	buffer_load_dword v78, off, s[20:23], 0 offset:20 ; 4-byte Folded Reload
	;; [unrolled: 1-line block ×4, first 2 shown]
	s_waitcnt vmcnt(0)
	ds_write2_b64 v127, v[77:78], v[79:80] offset1:1
	buffer_load_dword v73, off, s[20:23], 0 ; 4-byte Folded Reload
	buffer_load_dword v74, off, s[20:23], 0 offset:4 ; 4-byte Folded Reload
	buffer_load_dword v75, off, s[20:23], 0 offset:8 ; 4-byte Folded Reload
	buffer_load_dword v76, off, s[20:23], 0 offset:12 ; 4-byte Folded Reload
	s_waitcnt vmcnt(0)
	ds_write2_b64 v125, v[73:74], v[75:76] offset0:34 offset1:35
	ds_write2_b64 v125, v[69:70], v[71:72] offset0:36 offset1:37
	;; [unrolled: 1-line block ×19, first 2 shown]
	buffer_load_dword v73, off, s[20:23], 0 offset:32 ; 4-byte Folded Reload
	buffer_load_dword v74, off, s[20:23], 0 offset:36 ; 4-byte Folded Reload
	;; [unrolled: 1-line block ×4, first 2 shown]
	s_waitcnt vmcnt(0)
	ds_write2_b64 v125, v[73:74], v[75:76] offset0:72 offset1:73
	ds_read2_b64 v[97:100], v127 offset1:1
	s_waitcnt lgkmcnt(0)
	v_cmp_neq_f64_e32 vcc, 0, v[97:98]
	v_cmp_neq_f64_e64 s[2:3], 0, v[99:100]
	s_or_b64 s[2:3], vcc, s[2:3]
	s_and_b64 exec, exec, s[2:3]
	s_cbranch_execz .LBB73_152
; %bb.147:
	v_cmp_ngt_f64_e64 s[2:3], |v[97:98]|, |v[99:100]|
                                        ; implicit-def: $vgpr101_vgpr102
	s_and_saveexec_b64 s[6:7], s[2:3]
	s_xor_b64 s[2:3], exec, s[6:7]
                                        ; implicit-def: $vgpr103_vgpr104
	s_cbranch_execz .LBB73_149
; %bb.148:
	v_div_scale_f64 v[101:102], s[6:7], v[99:100], v[99:100], v[97:98]
	v_rcp_f64_e32 v[103:104], v[101:102]
	v_fma_f64 v[105:106], -v[101:102], v[103:104], 1.0
	v_fma_f64 v[103:104], v[103:104], v[105:106], v[103:104]
	v_div_scale_f64 v[105:106], vcc, v[97:98], v[99:100], v[97:98]
	v_fma_f64 v[107:108], -v[101:102], v[103:104], 1.0
	v_fma_f64 v[103:104], v[103:104], v[107:108], v[103:104]
	v_mul_f64 v[107:108], v[105:106], v[103:104]
	v_fma_f64 v[101:102], -v[101:102], v[107:108], v[105:106]
	v_div_fmas_f64 v[101:102], v[101:102], v[103:104], v[107:108]
	v_div_fixup_f64 v[101:102], v[101:102], v[99:100], v[97:98]
	v_fma_f64 v[97:98], v[97:98], v[101:102], v[99:100]
	v_div_scale_f64 v[99:100], s[6:7], v[97:98], v[97:98], 1.0
	v_div_scale_f64 v[107:108], vcc, 1.0, v[97:98], 1.0
	v_rcp_f64_e32 v[103:104], v[99:100]
	v_fma_f64 v[105:106], -v[99:100], v[103:104], 1.0
	v_fma_f64 v[103:104], v[103:104], v[105:106], v[103:104]
	v_fma_f64 v[105:106], -v[99:100], v[103:104], 1.0
	v_fma_f64 v[103:104], v[103:104], v[105:106], v[103:104]
	v_mul_f64 v[105:106], v[107:108], v[103:104]
	v_fma_f64 v[99:100], -v[99:100], v[105:106], v[107:108]
	v_div_fmas_f64 v[99:100], v[99:100], v[103:104], v[105:106]
	v_div_fixup_f64 v[103:104], v[99:100], v[97:98], 1.0
                                        ; implicit-def: $vgpr97_vgpr98
	v_mul_f64 v[101:102], v[101:102], v[103:104]
	v_xor_b32_e32 v104, 0x80000000, v104
.LBB73_149:
	s_andn2_saveexec_b64 s[2:3], s[2:3]
	s_cbranch_execz .LBB73_151
; %bb.150:
	v_div_scale_f64 v[101:102], s[6:7], v[97:98], v[97:98], v[99:100]
	v_rcp_f64_e32 v[103:104], v[101:102]
	v_fma_f64 v[105:106], -v[101:102], v[103:104], 1.0
	v_fma_f64 v[103:104], v[103:104], v[105:106], v[103:104]
	v_div_scale_f64 v[105:106], vcc, v[99:100], v[97:98], v[99:100]
	v_fma_f64 v[107:108], -v[101:102], v[103:104], 1.0
	v_fma_f64 v[103:104], v[103:104], v[107:108], v[103:104]
	v_mul_f64 v[107:108], v[105:106], v[103:104]
	v_fma_f64 v[101:102], -v[101:102], v[107:108], v[105:106]
	v_div_fmas_f64 v[101:102], v[101:102], v[103:104], v[107:108]
	v_div_fixup_f64 v[103:104], v[101:102], v[97:98], v[99:100]
	v_fma_f64 v[97:98], v[99:100], v[103:104], v[97:98]
	v_div_scale_f64 v[99:100], s[6:7], v[97:98], v[97:98], 1.0
	v_div_scale_f64 v[107:108], vcc, 1.0, v[97:98], 1.0
	v_rcp_f64_e32 v[101:102], v[99:100]
	v_fma_f64 v[105:106], -v[99:100], v[101:102], 1.0
	v_fma_f64 v[101:102], v[101:102], v[105:106], v[101:102]
	v_fma_f64 v[105:106], -v[99:100], v[101:102], 1.0
	v_fma_f64 v[101:102], v[101:102], v[105:106], v[101:102]
	v_mul_f64 v[105:106], v[107:108], v[101:102]
	v_fma_f64 v[99:100], -v[99:100], v[105:106], v[107:108]
	v_div_fmas_f64 v[99:100], v[99:100], v[101:102], v[105:106]
	v_div_fixup_f64 v[101:102], v[99:100], v[97:98], 1.0
	v_mul_f64 v[103:104], v[103:104], -v[101:102]
.LBB73_151:
	s_or_b64 exec, exec, s[2:3]
	ds_write2_b64 v127, v[101:102], v[103:104] offset1:1
.LBB73_152:
	s_or_b64 exec, exec, s[4:5]
	s_waitcnt lgkmcnt(0)
	s_barrier
	ds_read2_b64 v[81:84], v127 offset1:1
	v_cmp_lt_u32_e32 vcc, 16, v0
	s_and_saveexec_b64 s[2:3], vcc
	s_cbranch_execz .LBB73_154
; %bb.153:
	buffer_load_dword v77, off, s[20:23], 0 offset:16 ; 4-byte Folded Reload
	buffer_load_dword v78, off, s[20:23], 0 offset:20 ; 4-byte Folded Reload
	buffer_load_dword v79, off, s[20:23], 0 offset:24 ; 4-byte Folded Reload
	buffer_load_dword v80, off, s[20:23], 0 offset:28 ; 4-byte Folded Reload
	ds_read2_b64 v[99:102], v125 offset0:34 offset1:35
	buffer_load_dword v73, off, s[20:23], 0 ; 4-byte Folded Reload
	buffer_load_dword v74, off, s[20:23], 0 offset:4 ; 4-byte Folded Reload
	buffer_load_dword v75, off, s[20:23], 0 offset:8 ; 4-byte Folded Reload
	;; [unrolled: 1-line block ×3, first 2 shown]
	s_waitcnt vmcnt(4) lgkmcnt(1)
	v_mul_f64 v[97:98], v[83:84], v[79:80]
	v_mul_f64 v[79:80], v[81:82], v[79:80]
	v_fma_f64 v[97:98], v[81:82], v[77:78], -v[97:98]
	v_fma_f64 v[79:80], v[83:84], v[77:78], v[79:80]
	s_waitcnt lgkmcnt(0)
	v_mul_f64 v[77:78], v[101:102], v[79:80]
	v_fma_f64 v[77:78], v[99:100], v[97:98], -v[77:78]
	v_mul_f64 v[99:100], v[99:100], v[79:80]
	s_waitcnt vmcnt(2)
	v_add_f64 v[73:74], v[73:74], -v[77:78]
	v_fma_f64 v[99:100], v[101:102], v[97:98], v[99:100]
	s_waitcnt vmcnt(0)
	v_add_f64 v[75:76], v[75:76], -v[99:100]
	buffer_store_dword v73, off, s[20:23], 0 ; 4-byte Folded Spill
	s_nop 0
	buffer_store_dword v74, off, s[20:23], 0 offset:4 ; 4-byte Folded Spill
	buffer_store_dword v75, off, s[20:23], 0 offset:8 ; 4-byte Folded Spill
	;; [unrolled: 1-line block ×3, first 2 shown]
	ds_read2_b64 v[99:102], v125 offset0:36 offset1:37
	s_waitcnt lgkmcnt(0)
	v_mul_f64 v[77:78], v[101:102], v[79:80]
	v_fma_f64 v[77:78], v[99:100], v[97:98], -v[77:78]
	v_mul_f64 v[99:100], v[99:100], v[79:80]
	v_add_f64 v[69:70], v[69:70], -v[77:78]
	v_fma_f64 v[99:100], v[101:102], v[97:98], v[99:100]
	v_add_f64 v[71:72], v[71:72], -v[99:100]
	ds_read2_b64 v[99:102], v125 offset0:38 offset1:39
	s_waitcnt lgkmcnt(0)
	v_mul_f64 v[77:78], v[101:102], v[79:80]
	v_fma_f64 v[77:78], v[99:100], v[97:98], -v[77:78]
	v_mul_f64 v[99:100], v[99:100], v[79:80]
	v_add_f64 v[65:66], v[65:66], -v[77:78]
	v_fma_f64 v[99:100], v[101:102], v[97:98], v[99:100]
	v_add_f64 v[67:68], v[67:68], -v[99:100]
	;; [unrolled: 8-line block ×18, first 2 shown]
	ds_read2_b64 v[99:102], v125 offset0:72 offset1:73
	buffer_load_dword v73, off, s[20:23], 0 offset:32 ; 4-byte Folded Reload
	buffer_load_dword v74, off, s[20:23], 0 offset:36 ; 4-byte Folded Reload
	buffer_load_dword v75, off, s[20:23], 0 offset:40 ; 4-byte Folded Reload
	buffer_load_dword v76, off, s[20:23], 0 offset:44 ; 4-byte Folded Reload
	s_waitcnt lgkmcnt(0)
	v_mul_f64 v[77:78], v[101:102], v[79:80]
	v_fma_f64 v[77:78], v[99:100], v[97:98], -v[77:78]
	v_mul_f64 v[99:100], v[99:100], v[79:80]
	v_fma_f64 v[99:100], v[101:102], v[97:98], v[99:100]
	s_waitcnt vmcnt(2)
	v_add_f64 v[73:74], v[73:74], -v[77:78]
	v_mov_b32_e32 v77, v97
	s_waitcnt vmcnt(0)
	v_add_f64 v[75:76], v[75:76], -v[99:100]
	v_mov_b32_e32 v78, v98
	buffer_store_dword v73, off, s[20:23], 0 offset:32 ; 4-byte Folded Spill
	s_nop 0
	buffer_store_dword v74, off, s[20:23], 0 offset:36 ; 4-byte Folded Spill
	buffer_store_dword v75, off, s[20:23], 0 offset:40 ; 4-byte Folded Spill
	;; [unrolled: 1-line block ×4, first 2 shown]
	s_nop 0
	buffer_store_dword v78, off, s[20:23], 0 offset:20 ; 4-byte Folded Spill
	buffer_store_dword v79, off, s[20:23], 0 offset:24 ; 4-byte Folded Spill
	;; [unrolled: 1-line block ×3, first 2 shown]
.LBB73_154:
	s_or_b64 exec, exec, s[2:3]
	s_waitcnt vmcnt(0) lgkmcnt(0)
	s_barrier
	v_cmp_eq_u32_e32 vcc, 17, v0
	s_mov_b64 s[4:5], exec
	buffer_load_dword v77, off, s[20:23], 0 offset:32 ; 4-byte Folded Reload
	buffer_load_dword v78, off, s[20:23], 0 offset:36 ; 4-byte Folded Reload
	;; [unrolled: 1-line block ×4, first 2 shown]
	s_and_b64 s[2:3], s[4:5], vcc
	s_mov_b64 exec, s[2:3]
	s_cbranch_execz .LBB73_161
; %bb.155:
	buffer_load_dword v73, off, s[20:23], 0 ; 4-byte Folded Reload
	buffer_load_dword v74, off, s[20:23], 0 offset:4 ; 4-byte Folded Reload
	buffer_load_dword v75, off, s[20:23], 0 offset:8 ; 4-byte Folded Reload
	;; [unrolled: 1-line block ×3, first 2 shown]
	s_waitcnt vmcnt(0)
	ds_write2_b64 v127, v[73:74], v[75:76] offset1:1
	ds_write2_b64 v125, v[69:70], v[71:72] offset0:36 offset1:37
	ds_write2_b64 v125, v[65:66], v[67:68] offset0:38 offset1:39
	;; [unrolled: 1-line block ×19, first 2 shown]
	ds_read2_b64 v[97:100], v127 offset1:1
	s_waitcnt lgkmcnt(0)
	v_cmp_neq_f64_e32 vcc, 0, v[97:98]
	v_cmp_neq_f64_e64 s[2:3], 0, v[99:100]
	s_or_b64 s[2:3], vcc, s[2:3]
	s_and_b64 exec, exec, s[2:3]
	s_cbranch_execz .LBB73_161
; %bb.156:
	v_cmp_ngt_f64_e64 s[2:3], |v[97:98]|, |v[99:100]|
                                        ; implicit-def: $vgpr101_vgpr102
	s_and_saveexec_b64 s[6:7], s[2:3]
	s_xor_b64 s[2:3], exec, s[6:7]
                                        ; implicit-def: $vgpr103_vgpr104
	s_cbranch_execz .LBB73_158
; %bb.157:
	v_div_scale_f64 v[101:102], s[6:7], v[99:100], v[99:100], v[97:98]
	v_rcp_f64_e32 v[103:104], v[101:102]
	v_fma_f64 v[105:106], -v[101:102], v[103:104], 1.0
	v_fma_f64 v[103:104], v[103:104], v[105:106], v[103:104]
	v_div_scale_f64 v[105:106], vcc, v[97:98], v[99:100], v[97:98]
	v_fma_f64 v[107:108], -v[101:102], v[103:104], 1.0
	v_fma_f64 v[103:104], v[103:104], v[107:108], v[103:104]
	v_mul_f64 v[107:108], v[105:106], v[103:104]
	v_fma_f64 v[101:102], -v[101:102], v[107:108], v[105:106]
	v_div_fmas_f64 v[101:102], v[101:102], v[103:104], v[107:108]
	v_div_fixup_f64 v[101:102], v[101:102], v[99:100], v[97:98]
	v_fma_f64 v[97:98], v[97:98], v[101:102], v[99:100]
	v_div_scale_f64 v[99:100], s[6:7], v[97:98], v[97:98], 1.0
	v_div_scale_f64 v[107:108], vcc, 1.0, v[97:98], 1.0
	v_rcp_f64_e32 v[103:104], v[99:100]
	v_fma_f64 v[105:106], -v[99:100], v[103:104], 1.0
	v_fma_f64 v[103:104], v[103:104], v[105:106], v[103:104]
	v_fma_f64 v[105:106], -v[99:100], v[103:104], 1.0
	v_fma_f64 v[103:104], v[103:104], v[105:106], v[103:104]
	v_mul_f64 v[105:106], v[107:108], v[103:104]
	v_fma_f64 v[99:100], -v[99:100], v[105:106], v[107:108]
	v_div_fmas_f64 v[99:100], v[99:100], v[103:104], v[105:106]
	v_div_fixup_f64 v[103:104], v[99:100], v[97:98], 1.0
                                        ; implicit-def: $vgpr97_vgpr98
	v_mul_f64 v[101:102], v[101:102], v[103:104]
	v_xor_b32_e32 v104, 0x80000000, v104
.LBB73_158:
	s_andn2_saveexec_b64 s[2:3], s[2:3]
	s_cbranch_execz .LBB73_160
; %bb.159:
	v_div_scale_f64 v[101:102], s[6:7], v[97:98], v[97:98], v[99:100]
	v_rcp_f64_e32 v[103:104], v[101:102]
	v_fma_f64 v[105:106], -v[101:102], v[103:104], 1.0
	v_fma_f64 v[103:104], v[103:104], v[105:106], v[103:104]
	v_div_scale_f64 v[105:106], vcc, v[99:100], v[97:98], v[99:100]
	v_fma_f64 v[107:108], -v[101:102], v[103:104], 1.0
	v_fma_f64 v[103:104], v[103:104], v[107:108], v[103:104]
	v_mul_f64 v[107:108], v[105:106], v[103:104]
	v_fma_f64 v[101:102], -v[101:102], v[107:108], v[105:106]
	v_div_fmas_f64 v[101:102], v[101:102], v[103:104], v[107:108]
	v_div_fixup_f64 v[103:104], v[101:102], v[97:98], v[99:100]
	v_fma_f64 v[97:98], v[99:100], v[103:104], v[97:98]
	v_div_scale_f64 v[99:100], s[6:7], v[97:98], v[97:98], 1.0
	v_div_scale_f64 v[107:108], vcc, 1.0, v[97:98], 1.0
	v_rcp_f64_e32 v[101:102], v[99:100]
	v_fma_f64 v[105:106], -v[99:100], v[101:102], 1.0
	v_fma_f64 v[101:102], v[101:102], v[105:106], v[101:102]
	v_fma_f64 v[105:106], -v[99:100], v[101:102], 1.0
	v_fma_f64 v[101:102], v[101:102], v[105:106], v[101:102]
	v_mul_f64 v[105:106], v[107:108], v[101:102]
	v_fma_f64 v[99:100], -v[99:100], v[105:106], v[107:108]
	v_div_fmas_f64 v[99:100], v[99:100], v[101:102], v[105:106]
	v_div_fixup_f64 v[101:102], v[99:100], v[97:98], 1.0
	v_mul_f64 v[103:104], v[103:104], -v[101:102]
.LBB73_160:
	s_or_b64 exec, exec, s[2:3]
	ds_write2_b64 v127, v[101:102], v[103:104] offset1:1
.LBB73_161:
	s_or_b64 exec, exec, s[4:5]
	s_waitcnt vmcnt(0) lgkmcnt(0)
	s_barrier
	ds_read2_b64 v[73:76], v127 offset1:1
	v_cmp_lt_u32_e32 vcc, 17, v0
	s_waitcnt lgkmcnt(0)
	buffer_store_dword v73, off, s[20:23], 0 offset:760 ; 4-byte Folded Spill
	s_nop 0
	buffer_store_dword v74, off, s[20:23], 0 offset:764 ; 4-byte Folded Spill
	buffer_store_dword v75, off, s[20:23], 0 offset:768 ; 4-byte Folded Spill
	;; [unrolled: 1-line block ×3, first 2 shown]
	s_and_saveexec_b64 s[2:3], vcc
	s_cbranch_execz .LBB73_163
; %bb.162:
	buffer_load_dword v73, off, s[20:23], 0 ; 4-byte Folded Reload
	buffer_load_dword v74, off, s[20:23], 0 offset:4 ; 4-byte Folded Reload
	buffer_load_dword v75, off, s[20:23], 0 offset:8 ; 4-byte Folded Reload
	;; [unrolled: 1-line block ×7, first 2 shown]
	s_waitcnt vmcnt(0)
	v_mul_f64 v[97:98], v[101:102], v[75:76]
	v_mul_f64 v[75:76], v[99:100], v[75:76]
	v_fma_f64 v[97:98], v[99:100], v[73:74], -v[97:98]
	v_fma_f64 v[75:76], v[101:102], v[73:74], v[75:76]
	ds_read2_b64 v[99:102], v125 offset0:36 offset1:37
	s_waitcnt lgkmcnt(0)
	v_mul_f64 v[73:74], v[101:102], v[75:76]
	v_fma_f64 v[73:74], v[99:100], v[97:98], -v[73:74]
	v_mul_f64 v[99:100], v[99:100], v[75:76]
	v_add_f64 v[69:70], v[69:70], -v[73:74]
	v_fma_f64 v[99:100], v[101:102], v[97:98], v[99:100]
	v_add_f64 v[71:72], v[71:72], -v[99:100]
	ds_read2_b64 v[99:102], v125 offset0:38 offset1:39
	s_waitcnt lgkmcnt(0)
	v_mul_f64 v[73:74], v[101:102], v[75:76]
	v_fma_f64 v[73:74], v[99:100], v[97:98], -v[73:74]
	v_mul_f64 v[99:100], v[99:100], v[75:76]
	v_add_f64 v[65:66], v[65:66], -v[73:74]
	v_fma_f64 v[99:100], v[101:102], v[97:98], v[99:100]
	v_add_f64 v[67:68], v[67:68], -v[99:100]
	;; [unrolled: 8-line block ×18, first 2 shown]
	ds_read2_b64 v[99:102], v125 offset0:72 offset1:73
	s_waitcnt lgkmcnt(0)
	v_mul_f64 v[73:74], v[101:102], v[75:76]
	v_fma_f64 v[73:74], v[99:100], v[97:98], -v[73:74]
	v_mul_f64 v[99:100], v[99:100], v[75:76]
	v_add_f64 v[77:78], v[77:78], -v[73:74]
	v_fma_f64 v[99:100], v[101:102], v[97:98], v[99:100]
	v_mov_b32_e32 v73, v97
	v_mov_b32_e32 v74, v98
	buffer_store_dword v73, off, s[20:23], 0 ; 4-byte Folded Spill
	s_nop 0
	buffer_store_dword v74, off, s[20:23], 0 offset:4 ; 4-byte Folded Spill
	buffer_store_dword v75, off, s[20:23], 0 offset:8 ; 4-byte Folded Spill
	;; [unrolled: 1-line block ×3, first 2 shown]
	v_add_f64 v[79:80], v[79:80], -v[99:100]
.LBB73_163:
	s_or_b64 exec, exec, s[2:3]
	v_cmp_eq_u32_e32 vcc, 18, v0
	s_waitcnt vmcnt(0)
	s_barrier
	s_and_saveexec_b64 s[4:5], vcc
	s_cbranch_execz .LBB73_170
; %bb.164:
	ds_write2_b64 v127, v[69:70], v[71:72] offset1:1
	ds_write2_b64 v125, v[65:66], v[67:68] offset0:38 offset1:39
	ds_write2_b64 v125, v[61:62], v[63:64] offset0:40 offset1:41
	;; [unrolled: 1-line block ×18, first 2 shown]
	ds_read2_b64 v[97:100], v127 offset1:1
	s_waitcnt lgkmcnt(0)
	v_cmp_neq_f64_e32 vcc, 0, v[97:98]
	v_cmp_neq_f64_e64 s[2:3], 0, v[99:100]
	s_or_b64 s[2:3], vcc, s[2:3]
	s_and_b64 exec, exec, s[2:3]
	s_cbranch_execz .LBB73_170
; %bb.165:
	v_cmp_ngt_f64_e64 s[2:3], |v[97:98]|, |v[99:100]|
                                        ; implicit-def: $vgpr101_vgpr102
	s_and_saveexec_b64 s[6:7], s[2:3]
	s_xor_b64 s[2:3], exec, s[6:7]
                                        ; implicit-def: $vgpr103_vgpr104
	s_cbranch_execz .LBB73_167
; %bb.166:
	v_div_scale_f64 v[101:102], s[6:7], v[99:100], v[99:100], v[97:98]
	v_rcp_f64_e32 v[103:104], v[101:102]
	v_fma_f64 v[105:106], -v[101:102], v[103:104], 1.0
	v_fma_f64 v[103:104], v[103:104], v[105:106], v[103:104]
	v_div_scale_f64 v[105:106], vcc, v[97:98], v[99:100], v[97:98]
	v_fma_f64 v[107:108], -v[101:102], v[103:104], 1.0
	v_fma_f64 v[103:104], v[103:104], v[107:108], v[103:104]
	v_mul_f64 v[107:108], v[105:106], v[103:104]
	v_fma_f64 v[101:102], -v[101:102], v[107:108], v[105:106]
	v_div_fmas_f64 v[101:102], v[101:102], v[103:104], v[107:108]
	v_div_fixup_f64 v[101:102], v[101:102], v[99:100], v[97:98]
	v_fma_f64 v[97:98], v[97:98], v[101:102], v[99:100]
	v_div_scale_f64 v[99:100], s[6:7], v[97:98], v[97:98], 1.0
	v_div_scale_f64 v[107:108], vcc, 1.0, v[97:98], 1.0
	v_rcp_f64_e32 v[103:104], v[99:100]
	v_fma_f64 v[105:106], -v[99:100], v[103:104], 1.0
	v_fma_f64 v[103:104], v[103:104], v[105:106], v[103:104]
	v_fma_f64 v[105:106], -v[99:100], v[103:104], 1.0
	v_fma_f64 v[103:104], v[103:104], v[105:106], v[103:104]
	v_mul_f64 v[105:106], v[107:108], v[103:104]
	v_fma_f64 v[99:100], -v[99:100], v[105:106], v[107:108]
	v_div_fmas_f64 v[99:100], v[99:100], v[103:104], v[105:106]
	v_div_fixup_f64 v[103:104], v[99:100], v[97:98], 1.0
                                        ; implicit-def: $vgpr97_vgpr98
	v_mul_f64 v[101:102], v[101:102], v[103:104]
	v_xor_b32_e32 v104, 0x80000000, v104
.LBB73_167:
	s_andn2_saveexec_b64 s[2:3], s[2:3]
	s_cbranch_execz .LBB73_169
; %bb.168:
	v_div_scale_f64 v[101:102], s[6:7], v[97:98], v[97:98], v[99:100]
	v_rcp_f64_e32 v[103:104], v[101:102]
	v_fma_f64 v[105:106], -v[101:102], v[103:104], 1.0
	v_fma_f64 v[103:104], v[103:104], v[105:106], v[103:104]
	v_div_scale_f64 v[105:106], vcc, v[99:100], v[97:98], v[99:100]
	v_fma_f64 v[107:108], -v[101:102], v[103:104], 1.0
	v_fma_f64 v[103:104], v[103:104], v[107:108], v[103:104]
	v_mul_f64 v[107:108], v[105:106], v[103:104]
	v_fma_f64 v[101:102], -v[101:102], v[107:108], v[105:106]
	v_div_fmas_f64 v[101:102], v[101:102], v[103:104], v[107:108]
	v_div_fixup_f64 v[103:104], v[101:102], v[97:98], v[99:100]
	v_fma_f64 v[97:98], v[99:100], v[103:104], v[97:98]
	v_div_scale_f64 v[99:100], s[6:7], v[97:98], v[97:98], 1.0
	v_div_scale_f64 v[107:108], vcc, 1.0, v[97:98], 1.0
	v_rcp_f64_e32 v[101:102], v[99:100]
	v_fma_f64 v[105:106], -v[99:100], v[101:102], 1.0
	v_fma_f64 v[101:102], v[101:102], v[105:106], v[101:102]
	v_fma_f64 v[105:106], -v[99:100], v[101:102], 1.0
	v_fma_f64 v[101:102], v[101:102], v[105:106], v[101:102]
	v_mul_f64 v[105:106], v[107:108], v[101:102]
	v_fma_f64 v[99:100], -v[99:100], v[105:106], v[107:108]
	v_div_fmas_f64 v[99:100], v[99:100], v[101:102], v[105:106]
	v_div_fixup_f64 v[101:102], v[99:100], v[97:98], 1.0
	v_mul_f64 v[103:104], v[103:104], -v[101:102]
.LBB73_169:
	s_or_b64 exec, exec, s[2:3]
	ds_write2_b64 v127, v[101:102], v[103:104] offset1:1
.LBB73_170:
	s_or_b64 exec, exec, s[4:5]
	s_waitcnt lgkmcnt(0)
	s_barrier
	ds_read2_b64 v[73:76], v127 offset1:1
	v_cmp_lt_u32_e32 vcc, 18, v0
	s_waitcnt lgkmcnt(0)
	buffer_store_dword v73, off, s[20:23], 0 offset:32 ; 4-byte Folded Spill
	s_nop 0
	buffer_store_dword v74, off, s[20:23], 0 offset:36 ; 4-byte Folded Spill
	buffer_store_dword v75, off, s[20:23], 0 offset:40 ; 4-byte Folded Spill
	;; [unrolled: 1-line block ×3, first 2 shown]
	s_and_saveexec_b64 s[2:3], vcc
	s_cbranch_execz .LBB73_172
; %bb.171:
	buffer_load_dword v73, off, s[20:23], 0 offset:32 ; 4-byte Folded Reload
	buffer_load_dword v74, off, s[20:23], 0 offset:36 ; 4-byte Folded Reload
	;; [unrolled: 1-line block ×4, first 2 shown]
	ds_read2_b64 v[99:102], v125 offset0:38 offset1:39
	s_waitcnt vmcnt(0)
	v_mul_f64 v[97:98], v[75:76], v[71:72]
	v_mul_f64 v[71:72], v[73:74], v[71:72]
	v_fma_f64 v[97:98], v[73:74], v[69:70], -v[97:98]
	v_fma_f64 v[71:72], v[75:76], v[69:70], v[71:72]
	s_waitcnt lgkmcnt(0)
	v_mul_f64 v[69:70], v[101:102], v[71:72]
	v_fma_f64 v[69:70], v[99:100], v[97:98], -v[69:70]
	v_mul_f64 v[99:100], v[99:100], v[71:72]
	v_add_f64 v[65:66], v[65:66], -v[69:70]
	v_fma_f64 v[99:100], v[101:102], v[97:98], v[99:100]
	v_add_f64 v[67:68], v[67:68], -v[99:100]
	ds_read2_b64 v[99:102], v125 offset0:40 offset1:41
	s_waitcnt lgkmcnt(0)
	v_mul_f64 v[69:70], v[101:102], v[71:72]
	v_fma_f64 v[69:70], v[99:100], v[97:98], -v[69:70]
	v_mul_f64 v[99:100], v[99:100], v[71:72]
	v_add_f64 v[61:62], v[61:62], -v[69:70]
	v_fma_f64 v[99:100], v[101:102], v[97:98], v[99:100]
	v_add_f64 v[63:64], v[63:64], -v[99:100]
	ds_read2_b64 v[99:102], v125 offset0:42 offset1:43
	;; [unrolled: 8-line block ×17, first 2 shown]
	s_waitcnt lgkmcnt(0)
	v_mul_f64 v[69:70], v[101:102], v[71:72]
	v_fma_f64 v[69:70], v[99:100], v[97:98], -v[69:70]
	v_mul_f64 v[99:100], v[99:100], v[71:72]
	v_add_f64 v[77:78], v[77:78], -v[69:70]
	v_fma_f64 v[99:100], v[101:102], v[97:98], v[99:100]
	v_mov_b32_e32 v69, v97
	v_mov_b32_e32 v70, v98
	v_add_f64 v[79:80], v[79:80], -v[99:100]
.LBB73_172:
	s_or_b64 exec, exec, s[2:3]
	v_cmp_eq_u32_e32 vcc, 19, v0
	s_waitcnt vmcnt(0)
	s_barrier
	s_and_saveexec_b64 s[4:5], vcc
	s_cbranch_execz .LBB73_179
; %bb.173:
	ds_write2_b64 v127, v[65:66], v[67:68] offset1:1
	ds_write2_b64 v125, v[61:62], v[63:64] offset0:40 offset1:41
	ds_write2_b64 v125, v[57:58], v[59:60] offset0:42 offset1:43
	;; [unrolled: 1-line block ×17, first 2 shown]
	ds_read2_b64 v[97:100], v127 offset1:1
	s_waitcnt lgkmcnt(0)
	v_cmp_neq_f64_e32 vcc, 0, v[97:98]
	v_cmp_neq_f64_e64 s[2:3], 0, v[99:100]
	s_or_b64 s[2:3], vcc, s[2:3]
	s_and_b64 exec, exec, s[2:3]
	s_cbranch_execz .LBB73_179
; %bb.174:
	v_cmp_ngt_f64_e64 s[2:3], |v[97:98]|, |v[99:100]|
                                        ; implicit-def: $vgpr101_vgpr102
	s_and_saveexec_b64 s[6:7], s[2:3]
	s_xor_b64 s[2:3], exec, s[6:7]
                                        ; implicit-def: $vgpr103_vgpr104
	s_cbranch_execz .LBB73_176
; %bb.175:
	v_div_scale_f64 v[101:102], s[6:7], v[99:100], v[99:100], v[97:98]
	v_rcp_f64_e32 v[103:104], v[101:102]
	v_fma_f64 v[105:106], -v[101:102], v[103:104], 1.0
	v_fma_f64 v[103:104], v[103:104], v[105:106], v[103:104]
	v_div_scale_f64 v[105:106], vcc, v[97:98], v[99:100], v[97:98]
	v_fma_f64 v[107:108], -v[101:102], v[103:104], 1.0
	v_fma_f64 v[103:104], v[103:104], v[107:108], v[103:104]
	v_mul_f64 v[107:108], v[105:106], v[103:104]
	v_fma_f64 v[101:102], -v[101:102], v[107:108], v[105:106]
	v_div_fmas_f64 v[101:102], v[101:102], v[103:104], v[107:108]
	v_div_fixup_f64 v[101:102], v[101:102], v[99:100], v[97:98]
	v_fma_f64 v[97:98], v[97:98], v[101:102], v[99:100]
	v_div_scale_f64 v[99:100], s[6:7], v[97:98], v[97:98], 1.0
	v_div_scale_f64 v[107:108], vcc, 1.0, v[97:98], 1.0
	v_rcp_f64_e32 v[103:104], v[99:100]
	v_fma_f64 v[105:106], -v[99:100], v[103:104], 1.0
	v_fma_f64 v[103:104], v[103:104], v[105:106], v[103:104]
	v_fma_f64 v[105:106], -v[99:100], v[103:104], 1.0
	v_fma_f64 v[103:104], v[103:104], v[105:106], v[103:104]
	v_mul_f64 v[105:106], v[107:108], v[103:104]
	v_fma_f64 v[99:100], -v[99:100], v[105:106], v[107:108]
	v_div_fmas_f64 v[99:100], v[99:100], v[103:104], v[105:106]
	v_div_fixup_f64 v[103:104], v[99:100], v[97:98], 1.0
                                        ; implicit-def: $vgpr97_vgpr98
	v_mul_f64 v[101:102], v[101:102], v[103:104]
	v_xor_b32_e32 v104, 0x80000000, v104
.LBB73_176:
	s_andn2_saveexec_b64 s[2:3], s[2:3]
	s_cbranch_execz .LBB73_178
; %bb.177:
	v_div_scale_f64 v[101:102], s[6:7], v[97:98], v[97:98], v[99:100]
	v_rcp_f64_e32 v[103:104], v[101:102]
	v_fma_f64 v[105:106], -v[101:102], v[103:104], 1.0
	v_fma_f64 v[103:104], v[103:104], v[105:106], v[103:104]
	v_div_scale_f64 v[105:106], vcc, v[99:100], v[97:98], v[99:100]
	v_fma_f64 v[107:108], -v[101:102], v[103:104], 1.0
	v_fma_f64 v[103:104], v[103:104], v[107:108], v[103:104]
	v_mul_f64 v[107:108], v[105:106], v[103:104]
	v_fma_f64 v[101:102], -v[101:102], v[107:108], v[105:106]
	v_div_fmas_f64 v[101:102], v[101:102], v[103:104], v[107:108]
	v_div_fixup_f64 v[103:104], v[101:102], v[97:98], v[99:100]
	v_fma_f64 v[97:98], v[99:100], v[103:104], v[97:98]
	v_div_scale_f64 v[99:100], s[6:7], v[97:98], v[97:98], 1.0
	v_div_scale_f64 v[107:108], vcc, 1.0, v[97:98], 1.0
	v_rcp_f64_e32 v[101:102], v[99:100]
	v_fma_f64 v[105:106], -v[99:100], v[101:102], 1.0
	v_fma_f64 v[101:102], v[101:102], v[105:106], v[101:102]
	v_fma_f64 v[105:106], -v[99:100], v[101:102], 1.0
	v_fma_f64 v[101:102], v[101:102], v[105:106], v[101:102]
	v_mul_f64 v[105:106], v[107:108], v[101:102]
	v_fma_f64 v[99:100], -v[99:100], v[105:106], v[107:108]
	v_div_fmas_f64 v[99:100], v[99:100], v[101:102], v[105:106]
	v_div_fixup_f64 v[101:102], v[99:100], v[97:98], 1.0
	v_mul_f64 v[103:104], v[103:104], -v[101:102]
.LBB73_178:
	s_or_b64 exec, exec, s[2:3]
	ds_write2_b64 v127, v[101:102], v[103:104] offset1:1
.LBB73_179:
	s_or_b64 exec, exec, s[4:5]
	s_waitcnt lgkmcnt(0)
	s_barrier
	ds_read2_b64 v[73:76], v127 offset1:1
	v_cmp_lt_u32_e32 vcc, 19, v0
	s_waitcnt lgkmcnt(0)
	buffer_store_dword v73, off, s[20:23], 0 offset:776 ; 4-byte Folded Spill
	s_nop 0
	buffer_store_dword v74, off, s[20:23], 0 offset:780 ; 4-byte Folded Spill
	buffer_store_dword v75, off, s[20:23], 0 offset:784 ; 4-byte Folded Spill
	;; [unrolled: 1-line block ×3, first 2 shown]
	s_and_saveexec_b64 s[2:3], vcc
	s_cbranch_execz .LBB73_181
; %bb.180:
	buffer_load_dword v73, off, s[20:23], 0 offset:776 ; 4-byte Folded Reload
	buffer_load_dword v74, off, s[20:23], 0 offset:780 ; 4-byte Folded Reload
	;; [unrolled: 1-line block ×4, first 2 shown]
	ds_read2_b64 v[99:102], v125 offset0:40 offset1:41
	s_waitcnt vmcnt(0)
	v_mul_f64 v[97:98], v[75:76], v[67:68]
	v_mul_f64 v[67:68], v[73:74], v[67:68]
	v_fma_f64 v[97:98], v[73:74], v[65:66], -v[97:98]
	v_fma_f64 v[67:68], v[75:76], v[65:66], v[67:68]
	s_waitcnt lgkmcnt(0)
	v_mul_f64 v[65:66], v[101:102], v[67:68]
	v_fma_f64 v[65:66], v[99:100], v[97:98], -v[65:66]
	v_mul_f64 v[99:100], v[99:100], v[67:68]
	v_add_f64 v[61:62], v[61:62], -v[65:66]
	v_fma_f64 v[99:100], v[101:102], v[97:98], v[99:100]
	v_add_f64 v[63:64], v[63:64], -v[99:100]
	ds_read2_b64 v[99:102], v125 offset0:42 offset1:43
	s_waitcnt lgkmcnt(0)
	v_mul_f64 v[65:66], v[101:102], v[67:68]
	v_fma_f64 v[65:66], v[99:100], v[97:98], -v[65:66]
	v_mul_f64 v[99:100], v[99:100], v[67:68]
	v_add_f64 v[57:58], v[57:58], -v[65:66]
	v_fma_f64 v[99:100], v[101:102], v[97:98], v[99:100]
	v_add_f64 v[59:60], v[59:60], -v[99:100]
	ds_read2_b64 v[99:102], v125 offset0:44 offset1:45
	;; [unrolled: 8-line block ×16, first 2 shown]
	s_waitcnt lgkmcnt(0)
	v_mul_f64 v[65:66], v[101:102], v[67:68]
	v_fma_f64 v[65:66], v[99:100], v[97:98], -v[65:66]
	v_mul_f64 v[99:100], v[99:100], v[67:68]
	v_add_f64 v[77:78], v[77:78], -v[65:66]
	v_fma_f64 v[99:100], v[101:102], v[97:98], v[99:100]
	v_mov_b32_e32 v65, v97
	v_mov_b32_e32 v66, v98
	v_add_f64 v[79:80], v[79:80], -v[99:100]
.LBB73_181:
	s_or_b64 exec, exec, s[2:3]
	v_cmp_eq_u32_e32 vcc, 20, v0
	s_waitcnt vmcnt(0)
	s_barrier
	s_and_saveexec_b64 s[4:5], vcc
	s_cbranch_execz .LBB73_188
; %bb.182:
	ds_write2_b64 v127, v[61:62], v[63:64] offset1:1
	ds_write2_b64 v125, v[57:58], v[59:60] offset0:42 offset1:43
	ds_write2_b64 v125, v[53:54], v[55:56] offset0:44 offset1:45
	;; [unrolled: 1-line block ×16, first 2 shown]
	ds_read2_b64 v[97:100], v127 offset1:1
	s_waitcnt lgkmcnt(0)
	v_cmp_neq_f64_e32 vcc, 0, v[97:98]
	v_cmp_neq_f64_e64 s[2:3], 0, v[99:100]
	s_or_b64 s[2:3], vcc, s[2:3]
	s_and_b64 exec, exec, s[2:3]
	s_cbranch_execz .LBB73_188
; %bb.183:
	v_cmp_ngt_f64_e64 s[2:3], |v[97:98]|, |v[99:100]|
                                        ; implicit-def: $vgpr101_vgpr102
	s_and_saveexec_b64 s[6:7], s[2:3]
	s_xor_b64 s[2:3], exec, s[6:7]
                                        ; implicit-def: $vgpr103_vgpr104
	s_cbranch_execz .LBB73_185
; %bb.184:
	v_div_scale_f64 v[101:102], s[6:7], v[99:100], v[99:100], v[97:98]
	v_rcp_f64_e32 v[103:104], v[101:102]
	v_fma_f64 v[105:106], -v[101:102], v[103:104], 1.0
	v_fma_f64 v[103:104], v[103:104], v[105:106], v[103:104]
	v_div_scale_f64 v[105:106], vcc, v[97:98], v[99:100], v[97:98]
	v_fma_f64 v[107:108], -v[101:102], v[103:104], 1.0
	v_fma_f64 v[103:104], v[103:104], v[107:108], v[103:104]
	v_mul_f64 v[107:108], v[105:106], v[103:104]
	v_fma_f64 v[101:102], -v[101:102], v[107:108], v[105:106]
	v_div_fmas_f64 v[101:102], v[101:102], v[103:104], v[107:108]
	v_div_fixup_f64 v[101:102], v[101:102], v[99:100], v[97:98]
	v_fma_f64 v[97:98], v[97:98], v[101:102], v[99:100]
	v_div_scale_f64 v[99:100], s[6:7], v[97:98], v[97:98], 1.0
	v_div_scale_f64 v[107:108], vcc, 1.0, v[97:98], 1.0
	v_rcp_f64_e32 v[103:104], v[99:100]
	v_fma_f64 v[105:106], -v[99:100], v[103:104], 1.0
	v_fma_f64 v[103:104], v[103:104], v[105:106], v[103:104]
	v_fma_f64 v[105:106], -v[99:100], v[103:104], 1.0
	v_fma_f64 v[103:104], v[103:104], v[105:106], v[103:104]
	v_mul_f64 v[105:106], v[107:108], v[103:104]
	v_fma_f64 v[99:100], -v[99:100], v[105:106], v[107:108]
	v_div_fmas_f64 v[99:100], v[99:100], v[103:104], v[105:106]
	v_div_fixup_f64 v[103:104], v[99:100], v[97:98], 1.0
                                        ; implicit-def: $vgpr97_vgpr98
	v_mul_f64 v[101:102], v[101:102], v[103:104]
	v_xor_b32_e32 v104, 0x80000000, v104
.LBB73_185:
	s_andn2_saveexec_b64 s[2:3], s[2:3]
	s_cbranch_execz .LBB73_187
; %bb.186:
	v_div_scale_f64 v[101:102], s[6:7], v[97:98], v[97:98], v[99:100]
	v_rcp_f64_e32 v[103:104], v[101:102]
	v_fma_f64 v[105:106], -v[101:102], v[103:104], 1.0
	v_fma_f64 v[103:104], v[103:104], v[105:106], v[103:104]
	v_div_scale_f64 v[105:106], vcc, v[99:100], v[97:98], v[99:100]
	v_fma_f64 v[107:108], -v[101:102], v[103:104], 1.0
	v_fma_f64 v[103:104], v[103:104], v[107:108], v[103:104]
	v_mul_f64 v[107:108], v[105:106], v[103:104]
	v_fma_f64 v[101:102], -v[101:102], v[107:108], v[105:106]
	v_div_fmas_f64 v[101:102], v[101:102], v[103:104], v[107:108]
	v_div_fixup_f64 v[103:104], v[101:102], v[97:98], v[99:100]
	v_fma_f64 v[97:98], v[99:100], v[103:104], v[97:98]
	v_div_scale_f64 v[99:100], s[6:7], v[97:98], v[97:98], 1.0
	v_div_scale_f64 v[107:108], vcc, 1.0, v[97:98], 1.0
	v_rcp_f64_e32 v[101:102], v[99:100]
	v_fma_f64 v[105:106], -v[99:100], v[101:102], 1.0
	v_fma_f64 v[101:102], v[101:102], v[105:106], v[101:102]
	v_fma_f64 v[105:106], -v[99:100], v[101:102], 1.0
	v_fma_f64 v[101:102], v[101:102], v[105:106], v[101:102]
	v_mul_f64 v[105:106], v[107:108], v[101:102]
	v_fma_f64 v[99:100], -v[99:100], v[105:106], v[107:108]
	v_div_fmas_f64 v[99:100], v[99:100], v[101:102], v[105:106]
	v_div_fixup_f64 v[101:102], v[99:100], v[97:98], 1.0
	v_mul_f64 v[103:104], v[103:104], -v[101:102]
.LBB73_187:
	s_or_b64 exec, exec, s[2:3]
	ds_write2_b64 v127, v[101:102], v[103:104] offset1:1
.LBB73_188:
	s_or_b64 exec, exec, s[4:5]
	s_waitcnt lgkmcnt(0)
	s_barrier
	ds_read2_b64 v[73:76], v127 offset1:1
	v_cmp_lt_u32_e32 vcc, 20, v0
	s_waitcnt lgkmcnt(0)
	buffer_store_dword v73, off, s[20:23], 0 offset:792 ; 4-byte Folded Spill
	s_nop 0
	buffer_store_dword v74, off, s[20:23], 0 offset:796 ; 4-byte Folded Spill
	buffer_store_dword v75, off, s[20:23], 0 offset:800 ; 4-byte Folded Spill
	;; [unrolled: 1-line block ×3, first 2 shown]
	s_and_saveexec_b64 s[2:3], vcc
	s_cbranch_execz .LBB73_190
; %bb.189:
	buffer_load_dword v73, off, s[20:23], 0 offset:792 ; 4-byte Folded Reload
	buffer_load_dword v74, off, s[20:23], 0 offset:796 ; 4-byte Folded Reload
	;; [unrolled: 1-line block ×4, first 2 shown]
	ds_read2_b64 v[99:102], v125 offset0:42 offset1:43
	s_waitcnt vmcnt(2)
	v_mul_f64 v[97:98], v[73:74], v[63:64]
	s_waitcnt vmcnt(0)
	v_mul_f64 v[63:64], v[75:76], v[63:64]
	v_fma_f64 v[97:98], v[75:76], v[61:62], v[97:98]
	v_fma_f64 v[61:62], v[73:74], v[61:62], -v[63:64]
	s_waitcnt lgkmcnt(0)
	v_mul_f64 v[63:64], v[101:102], v[97:98]
	v_fma_f64 v[63:64], v[99:100], v[61:62], -v[63:64]
	v_mul_f64 v[99:100], v[99:100], v[97:98]
	v_add_f64 v[57:58], v[57:58], -v[63:64]
	v_fma_f64 v[99:100], v[101:102], v[61:62], v[99:100]
	v_add_f64 v[59:60], v[59:60], -v[99:100]
	ds_read2_b64 v[99:102], v125 offset0:44 offset1:45
	s_waitcnt lgkmcnt(0)
	v_mul_f64 v[63:64], v[101:102], v[97:98]
	v_fma_f64 v[63:64], v[99:100], v[61:62], -v[63:64]
	v_mul_f64 v[99:100], v[99:100], v[97:98]
	v_add_f64 v[53:54], v[53:54], -v[63:64]
	v_fma_f64 v[99:100], v[101:102], v[61:62], v[99:100]
	v_add_f64 v[55:56], v[55:56], -v[99:100]
	ds_read2_b64 v[99:102], v125 offset0:46 offset1:47
	;; [unrolled: 8-line block ×15, first 2 shown]
	s_waitcnt lgkmcnt(0)
	v_mul_f64 v[63:64], v[101:102], v[97:98]
	v_fma_f64 v[63:64], v[99:100], v[61:62], -v[63:64]
	v_mul_f64 v[99:100], v[99:100], v[97:98]
	v_add_f64 v[77:78], v[77:78], -v[63:64]
	v_fma_f64 v[99:100], v[101:102], v[61:62], v[99:100]
	v_mov_b32_e32 v63, v97
	v_mov_b32_e32 v64, v98
	v_add_f64 v[79:80], v[79:80], -v[99:100]
.LBB73_190:
	s_or_b64 exec, exec, s[2:3]
	v_cmp_eq_u32_e32 vcc, 21, v0
	s_waitcnt vmcnt(0)
	s_barrier
	s_and_saveexec_b64 s[4:5], vcc
	s_cbranch_execz .LBB73_197
; %bb.191:
	ds_write2_b64 v127, v[57:58], v[59:60] offset1:1
	ds_write2_b64 v125, v[53:54], v[55:56] offset0:44 offset1:45
	ds_write2_b64 v125, v[49:50], v[51:52] offset0:46 offset1:47
	;; [unrolled: 1-line block ×15, first 2 shown]
	ds_read2_b64 v[97:100], v127 offset1:1
	s_waitcnt lgkmcnt(0)
	v_cmp_neq_f64_e32 vcc, 0, v[97:98]
	v_cmp_neq_f64_e64 s[2:3], 0, v[99:100]
	s_or_b64 s[2:3], vcc, s[2:3]
	s_and_b64 exec, exec, s[2:3]
	s_cbranch_execz .LBB73_197
; %bb.192:
	v_cmp_ngt_f64_e64 s[2:3], |v[97:98]|, |v[99:100]|
                                        ; implicit-def: $vgpr101_vgpr102
	s_and_saveexec_b64 s[6:7], s[2:3]
	s_xor_b64 s[2:3], exec, s[6:7]
                                        ; implicit-def: $vgpr103_vgpr104
	s_cbranch_execz .LBB73_194
; %bb.193:
	v_div_scale_f64 v[101:102], s[6:7], v[99:100], v[99:100], v[97:98]
	v_rcp_f64_e32 v[103:104], v[101:102]
	v_fma_f64 v[105:106], -v[101:102], v[103:104], 1.0
	v_fma_f64 v[103:104], v[103:104], v[105:106], v[103:104]
	v_div_scale_f64 v[105:106], vcc, v[97:98], v[99:100], v[97:98]
	v_fma_f64 v[107:108], -v[101:102], v[103:104], 1.0
	v_fma_f64 v[103:104], v[103:104], v[107:108], v[103:104]
	v_mul_f64 v[107:108], v[105:106], v[103:104]
	v_fma_f64 v[101:102], -v[101:102], v[107:108], v[105:106]
	v_div_fmas_f64 v[101:102], v[101:102], v[103:104], v[107:108]
	v_div_fixup_f64 v[101:102], v[101:102], v[99:100], v[97:98]
	v_fma_f64 v[97:98], v[97:98], v[101:102], v[99:100]
	v_div_scale_f64 v[99:100], s[6:7], v[97:98], v[97:98], 1.0
	v_div_scale_f64 v[107:108], vcc, 1.0, v[97:98], 1.0
	v_rcp_f64_e32 v[103:104], v[99:100]
	v_fma_f64 v[105:106], -v[99:100], v[103:104], 1.0
	v_fma_f64 v[103:104], v[103:104], v[105:106], v[103:104]
	v_fma_f64 v[105:106], -v[99:100], v[103:104], 1.0
	v_fma_f64 v[103:104], v[103:104], v[105:106], v[103:104]
	v_mul_f64 v[105:106], v[107:108], v[103:104]
	v_fma_f64 v[99:100], -v[99:100], v[105:106], v[107:108]
	v_div_fmas_f64 v[99:100], v[99:100], v[103:104], v[105:106]
	v_div_fixup_f64 v[103:104], v[99:100], v[97:98], 1.0
                                        ; implicit-def: $vgpr97_vgpr98
	v_mul_f64 v[101:102], v[101:102], v[103:104]
	v_xor_b32_e32 v104, 0x80000000, v104
.LBB73_194:
	s_andn2_saveexec_b64 s[2:3], s[2:3]
	s_cbranch_execz .LBB73_196
; %bb.195:
	v_div_scale_f64 v[101:102], s[6:7], v[97:98], v[97:98], v[99:100]
	v_rcp_f64_e32 v[103:104], v[101:102]
	v_fma_f64 v[105:106], -v[101:102], v[103:104], 1.0
	v_fma_f64 v[103:104], v[103:104], v[105:106], v[103:104]
	v_div_scale_f64 v[105:106], vcc, v[99:100], v[97:98], v[99:100]
	v_fma_f64 v[107:108], -v[101:102], v[103:104], 1.0
	v_fma_f64 v[103:104], v[103:104], v[107:108], v[103:104]
	v_mul_f64 v[107:108], v[105:106], v[103:104]
	v_fma_f64 v[101:102], -v[101:102], v[107:108], v[105:106]
	v_div_fmas_f64 v[101:102], v[101:102], v[103:104], v[107:108]
	v_div_fixup_f64 v[103:104], v[101:102], v[97:98], v[99:100]
	v_fma_f64 v[97:98], v[99:100], v[103:104], v[97:98]
	v_div_scale_f64 v[99:100], s[6:7], v[97:98], v[97:98], 1.0
	v_div_scale_f64 v[107:108], vcc, 1.0, v[97:98], 1.0
	v_rcp_f64_e32 v[101:102], v[99:100]
	v_fma_f64 v[105:106], -v[99:100], v[101:102], 1.0
	v_fma_f64 v[101:102], v[101:102], v[105:106], v[101:102]
	v_fma_f64 v[105:106], -v[99:100], v[101:102], 1.0
	v_fma_f64 v[101:102], v[101:102], v[105:106], v[101:102]
	v_mul_f64 v[105:106], v[107:108], v[101:102]
	v_fma_f64 v[99:100], -v[99:100], v[105:106], v[107:108]
	v_div_fmas_f64 v[99:100], v[99:100], v[101:102], v[105:106]
	v_div_fixup_f64 v[101:102], v[99:100], v[97:98], 1.0
	v_mul_f64 v[103:104], v[103:104], -v[101:102]
.LBB73_196:
	s_or_b64 exec, exec, s[2:3]
	ds_write2_b64 v127, v[101:102], v[103:104] offset1:1
.LBB73_197:
	s_or_b64 exec, exec, s[4:5]
	s_waitcnt lgkmcnt(0)
	s_barrier
	ds_read2_b64 v[73:76], v127 offset1:1
	v_cmp_lt_u32_e32 vcc, 21, v0
	s_waitcnt lgkmcnt(0)
	buffer_store_dword v73, off, s[20:23], 0 offset:808 ; 4-byte Folded Spill
	s_nop 0
	buffer_store_dword v74, off, s[20:23], 0 offset:812 ; 4-byte Folded Spill
	buffer_store_dword v75, off, s[20:23], 0 offset:816 ; 4-byte Folded Spill
	;; [unrolled: 1-line block ×3, first 2 shown]
	s_and_saveexec_b64 s[2:3], vcc
	s_cbranch_execz .LBB73_199
; %bb.198:
	buffer_load_dword v73, off, s[20:23], 0 offset:808 ; 4-byte Folded Reload
	buffer_load_dword v74, off, s[20:23], 0 offset:812 ; 4-byte Folded Reload
	;; [unrolled: 1-line block ×4, first 2 shown]
	ds_read2_b64 v[99:102], v125 offset0:44 offset1:45
	s_waitcnt vmcnt(2)
	v_mul_f64 v[97:98], v[73:74], v[59:60]
	s_waitcnt vmcnt(0)
	v_mul_f64 v[59:60], v[75:76], v[59:60]
	v_fma_f64 v[97:98], v[75:76], v[57:58], v[97:98]
	v_fma_f64 v[57:58], v[73:74], v[57:58], -v[59:60]
	s_waitcnt lgkmcnt(0)
	v_mul_f64 v[59:60], v[101:102], v[97:98]
	v_fma_f64 v[59:60], v[99:100], v[57:58], -v[59:60]
	v_mul_f64 v[99:100], v[99:100], v[97:98]
	v_add_f64 v[53:54], v[53:54], -v[59:60]
	v_fma_f64 v[99:100], v[101:102], v[57:58], v[99:100]
	v_add_f64 v[55:56], v[55:56], -v[99:100]
	ds_read2_b64 v[99:102], v125 offset0:46 offset1:47
	s_waitcnt lgkmcnt(0)
	v_mul_f64 v[59:60], v[101:102], v[97:98]
	v_fma_f64 v[59:60], v[99:100], v[57:58], -v[59:60]
	v_mul_f64 v[99:100], v[99:100], v[97:98]
	v_add_f64 v[49:50], v[49:50], -v[59:60]
	v_fma_f64 v[99:100], v[101:102], v[57:58], v[99:100]
	v_add_f64 v[51:52], v[51:52], -v[99:100]
	ds_read2_b64 v[99:102], v125 offset0:48 offset1:49
	;; [unrolled: 8-line block ×14, first 2 shown]
	s_waitcnt lgkmcnt(0)
	v_mul_f64 v[59:60], v[101:102], v[97:98]
	v_fma_f64 v[59:60], v[99:100], v[57:58], -v[59:60]
	v_mul_f64 v[99:100], v[99:100], v[97:98]
	v_add_f64 v[77:78], v[77:78], -v[59:60]
	v_fma_f64 v[99:100], v[101:102], v[57:58], v[99:100]
	v_mov_b32_e32 v59, v97
	v_mov_b32_e32 v60, v98
	v_add_f64 v[79:80], v[79:80], -v[99:100]
.LBB73_199:
	s_or_b64 exec, exec, s[2:3]
	v_cmp_eq_u32_e32 vcc, 22, v0
	s_waitcnt vmcnt(0)
	s_barrier
	s_and_saveexec_b64 s[4:5], vcc
	s_cbranch_execz .LBB73_206
; %bb.200:
	ds_write2_b64 v127, v[53:54], v[55:56] offset1:1
	ds_write2_b64 v125, v[49:50], v[51:52] offset0:46 offset1:47
	ds_write2_b64 v125, v[45:46], v[47:48] offset0:48 offset1:49
	ds_write2_b64 v125, v[41:42], v[43:44] offset0:50 offset1:51
	ds_write2_b64 v125, v[37:38], v[39:40] offset0:52 offset1:53
	ds_write2_b64 v125, v[33:34], v[35:36] offset0:54 offset1:55
	ds_write2_b64 v125, v[29:30], v[31:32] offset0:56 offset1:57
	ds_write2_b64 v125, v[25:26], v[27:28] offset0:58 offset1:59
	ds_write2_b64 v125, v[21:22], v[23:24] offset0:60 offset1:61
	ds_write2_b64 v125, v[17:18], v[19:20] offset0:62 offset1:63
	ds_write2_b64 v125, v[13:14], v[15:16] offset0:64 offset1:65
	ds_write2_b64 v125, v[9:10], v[11:12] offset0:66 offset1:67
	ds_write2_b64 v125, v[5:6], v[7:8] offset0:68 offset1:69
	ds_write2_b64 v125, v[1:2], v[3:4] offset0:70 offset1:71
	ds_write2_b64 v125, v[77:78], v[79:80] offset0:72 offset1:73
	ds_read2_b64 v[97:100], v127 offset1:1
	s_waitcnt lgkmcnt(0)
	v_cmp_neq_f64_e32 vcc, 0, v[97:98]
	v_cmp_neq_f64_e64 s[2:3], 0, v[99:100]
	s_or_b64 s[2:3], vcc, s[2:3]
	s_and_b64 exec, exec, s[2:3]
	s_cbranch_execz .LBB73_206
; %bb.201:
	v_cmp_ngt_f64_e64 s[2:3], |v[97:98]|, |v[99:100]|
                                        ; implicit-def: $vgpr101_vgpr102
	s_and_saveexec_b64 s[6:7], s[2:3]
	s_xor_b64 s[2:3], exec, s[6:7]
                                        ; implicit-def: $vgpr103_vgpr104
	s_cbranch_execz .LBB73_203
; %bb.202:
	v_div_scale_f64 v[101:102], s[6:7], v[99:100], v[99:100], v[97:98]
	v_rcp_f64_e32 v[103:104], v[101:102]
	v_fma_f64 v[105:106], -v[101:102], v[103:104], 1.0
	v_fma_f64 v[103:104], v[103:104], v[105:106], v[103:104]
	v_div_scale_f64 v[105:106], vcc, v[97:98], v[99:100], v[97:98]
	v_fma_f64 v[107:108], -v[101:102], v[103:104], 1.0
	v_fma_f64 v[103:104], v[103:104], v[107:108], v[103:104]
	v_mul_f64 v[107:108], v[105:106], v[103:104]
	v_fma_f64 v[101:102], -v[101:102], v[107:108], v[105:106]
	v_div_fmas_f64 v[101:102], v[101:102], v[103:104], v[107:108]
	v_div_fixup_f64 v[101:102], v[101:102], v[99:100], v[97:98]
	v_fma_f64 v[97:98], v[97:98], v[101:102], v[99:100]
	v_div_scale_f64 v[99:100], s[6:7], v[97:98], v[97:98], 1.0
	v_div_scale_f64 v[107:108], vcc, 1.0, v[97:98], 1.0
	v_rcp_f64_e32 v[103:104], v[99:100]
	v_fma_f64 v[105:106], -v[99:100], v[103:104], 1.0
	v_fma_f64 v[103:104], v[103:104], v[105:106], v[103:104]
	v_fma_f64 v[105:106], -v[99:100], v[103:104], 1.0
	v_fma_f64 v[103:104], v[103:104], v[105:106], v[103:104]
	v_mul_f64 v[105:106], v[107:108], v[103:104]
	v_fma_f64 v[99:100], -v[99:100], v[105:106], v[107:108]
	v_div_fmas_f64 v[99:100], v[99:100], v[103:104], v[105:106]
	v_div_fixup_f64 v[103:104], v[99:100], v[97:98], 1.0
                                        ; implicit-def: $vgpr97_vgpr98
	v_mul_f64 v[101:102], v[101:102], v[103:104]
	v_xor_b32_e32 v104, 0x80000000, v104
.LBB73_203:
	s_andn2_saveexec_b64 s[2:3], s[2:3]
	s_cbranch_execz .LBB73_205
; %bb.204:
	v_div_scale_f64 v[101:102], s[6:7], v[97:98], v[97:98], v[99:100]
	v_rcp_f64_e32 v[103:104], v[101:102]
	v_fma_f64 v[105:106], -v[101:102], v[103:104], 1.0
	v_fma_f64 v[103:104], v[103:104], v[105:106], v[103:104]
	v_div_scale_f64 v[105:106], vcc, v[99:100], v[97:98], v[99:100]
	v_fma_f64 v[107:108], -v[101:102], v[103:104], 1.0
	v_fma_f64 v[103:104], v[103:104], v[107:108], v[103:104]
	v_mul_f64 v[107:108], v[105:106], v[103:104]
	v_fma_f64 v[101:102], -v[101:102], v[107:108], v[105:106]
	v_div_fmas_f64 v[101:102], v[101:102], v[103:104], v[107:108]
	v_div_fixup_f64 v[103:104], v[101:102], v[97:98], v[99:100]
	v_fma_f64 v[97:98], v[99:100], v[103:104], v[97:98]
	v_div_scale_f64 v[99:100], s[6:7], v[97:98], v[97:98], 1.0
	v_div_scale_f64 v[107:108], vcc, 1.0, v[97:98], 1.0
	v_rcp_f64_e32 v[101:102], v[99:100]
	v_fma_f64 v[105:106], -v[99:100], v[101:102], 1.0
	v_fma_f64 v[101:102], v[101:102], v[105:106], v[101:102]
	v_fma_f64 v[105:106], -v[99:100], v[101:102], 1.0
	v_fma_f64 v[101:102], v[101:102], v[105:106], v[101:102]
	v_mul_f64 v[105:106], v[107:108], v[101:102]
	v_fma_f64 v[99:100], -v[99:100], v[105:106], v[107:108]
	v_div_fmas_f64 v[99:100], v[99:100], v[101:102], v[105:106]
	v_div_fixup_f64 v[101:102], v[99:100], v[97:98], 1.0
	v_mul_f64 v[103:104], v[103:104], -v[101:102]
.LBB73_205:
	s_or_b64 exec, exec, s[2:3]
	ds_write2_b64 v127, v[101:102], v[103:104] offset1:1
.LBB73_206:
	s_or_b64 exec, exec, s[4:5]
	s_waitcnt lgkmcnt(0)
	s_barrier
	ds_read2_b64 v[113:116], v127 offset1:1
	v_cmp_lt_u32_e32 vcc, 22, v0
	s_and_saveexec_b64 s[2:3], vcc
	s_cbranch_execz .LBB73_208
; %bb.207:
	s_waitcnt lgkmcnt(0)
	v_mov_b32_e32 v73, v113
	v_mov_b32_e32 v74, v114
	v_mul_f64 v[97:98], v[73:74], v[55:56]
	v_mov_b32_e32 v75, v115
	v_mov_b32_e32 v76, v116
	v_mul_f64 v[55:56], v[75:76], v[55:56]
	ds_read2_b64 v[99:102], v125 offset0:46 offset1:47
	v_fma_f64 v[97:98], v[75:76], v[53:54], v[97:98]
	v_fma_f64 v[53:54], v[73:74], v[53:54], -v[55:56]
	s_waitcnt lgkmcnt(0)
	v_mul_f64 v[55:56], v[101:102], v[97:98]
	v_fma_f64 v[55:56], v[99:100], v[53:54], -v[55:56]
	v_mul_f64 v[99:100], v[99:100], v[97:98]
	v_add_f64 v[49:50], v[49:50], -v[55:56]
	v_fma_f64 v[99:100], v[101:102], v[53:54], v[99:100]
	v_add_f64 v[51:52], v[51:52], -v[99:100]
	ds_read2_b64 v[99:102], v125 offset0:48 offset1:49
	s_waitcnt lgkmcnt(0)
	v_mul_f64 v[55:56], v[101:102], v[97:98]
	v_fma_f64 v[55:56], v[99:100], v[53:54], -v[55:56]
	v_mul_f64 v[99:100], v[99:100], v[97:98]
	v_add_f64 v[45:46], v[45:46], -v[55:56]
	v_fma_f64 v[99:100], v[101:102], v[53:54], v[99:100]
	v_add_f64 v[47:48], v[47:48], -v[99:100]
	ds_read2_b64 v[99:102], v125 offset0:50 offset1:51
	;; [unrolled: 8-line block ×13, first 2 shown]
	s_waitcnt lgkmcnt(0)
	v_mul_f64 v[55:56], v[101:102], v[97:98]
	v_fma_f64 v[55:56], v[99:100], v[53:54], -v[55:56]
	v_mul_f64 v[99:100], v[99:100], v[97:98]
	v_add_f64 v[77:78], v[77:78], -v[55:56]
	v_fma_f64 v[99:100], v[101:102], v[53:54], v[99:100]
	v_mov_b32_e32 v55, v97
	v_mov_b32_e32 v56, v98
	v_add_f64 v[79:80], v[79:80], -v[99:100]
.LBB73_208:
	s_or_b64 exec, exec, s[2:3]
	v_cmp_eq_u32_e32 vcc, 23, v0
	s_waitcnt lgkmcnt(0)
	s_barrier
	s_and_saveexec_b64 s[4:5], vcc
	s_cbranch_execz .LBB73_215
; %bb.209:
	ds_write2_b64 v127, v[49:50], v[51:52] offset1:1
	ds_write2_b64 v125, v[45:46], v[47:48] offset0:48 offset1:49
	ds_write2_b64 v125, v[41:42], v[43:44] offset0:50 offset1:51
	;; [unrolled: 1-line block ×13, first 2 shown]
	ds_read2_b64 v[97:100], v127 offset1:1
	s_waitcnt lgkmcnt(0)
	v_cmp_neq_f64_e32 vcc, 0, v[97:98]
	v_cmp_neq_f64_e64 s[2:3], 0, v[99:100]
	s_or_b64 s[2:3], vcc, s[2:3]
	s_and_b64 exec, exec, s[2:3]
	s_cbranch_execz .LBB73_215
; %bb.210:
	v_cmp_ngt_f64_e64 s[2:3], |v[97:98]|, |v[99:100]|
                                        ; implicit-def: $vgpr101_vgpr102
	s_and_saveexec_b64 s[6:7], s[2:3]
	s_xor_b64 s[2:3], exec, s[6:7]
                                        ; implicit-def: $vgpr103_vgpr104
	s_cbranch_execz .LBB73_212
; %bb.211:
	v_div_scale_f64 v[101:102], s[6:7], v[99:100], v[99:100], v[97:98]
	v_rcp_f64_e32 v[103:104], v[101:102]
	v_fma_f64 v[105:106], -v[101:102], v[103:104], 1.0
	v_fma_f64 v[103:104], v[103:104], v[105:106], v[103:104]
	v_div_scale_f64 v[105:106], vcc, v[97:98], v[99:100], v[97:98]
	v_fma_f64 v[107:108], -v[101:102], v[103:104], 1.0
	v_fma_f64 v[103:104], v[103:104], v[107:108], v[103:104]
	v_mul_f64 v[107:108], v[105:106], v[103:104]
	v_fma_f64 v[101:102], -v[101:102], v[107:108], v[105:106]
	v_div_fmas_f64 v[101:102], v[101:102], v[103:104], v[107:108]
	v_div_fixup_f64 v[101:102], v[101:102], v[99:100], v[97:98]
	v_fma_f64 v[97:98], v[97:98], v[101:102], v[99:100]
	v_div_scale_f64 v[99:100], s[6:7], v[97:98], v[97:98], 1.0
	v_div_scale_f64 v[107:108], vcc, 1.0, v[97:98], 1.0
	v_rcp_f64_e32 v[103:104], v[99:100]
	v_fma_f64 v[105:106], -v[99:100], v[103:104], 1.0
	v_fma_f64 v[103:104], v[103:104], v[105:106], v[103:104]
	v_fma_f64 v[105:106], -v[99:100], v[103:104], 1.0
	v_fma_f64 v[103:104], v[103:104], v[105:106], v[103:104]
	v_mul_f64 v[105:106], v[107:108], v[103:104]
	v_fma_f64 v[99:100], -v[99:100], v[105:106], v[107:108]
	v_div_fmas_f64 v[99:100], v[99:100], v[103:104], v[105:106]
	v_div_fixup_f64 v[103:104], v[99:100], v[97:98], 1.0
                                        ; implicit-def: $vgpr97_vgpr98
	v_mul_f64 v[101:102], v[101:102], v[103:104]
	v_xor_b32_e32 v104, 0x80000000, v104
.LBB73_212:
	s_andn2_saveexec_b64 s[2:3], s[2:3]
	s_cbranch_execz .LBB73_214
; %bb.213:
	v_div_scale_f64 v[101:102], s[6:7], v[97:98], v[97:98], v[99:100]
	v_rcp_f64_e32 v[103:104], v[101:102]
	v_fma_f64 v[105:106], -v[101:102], v[103:104], 1.0
	v_fma_f64 v[103:104], v[103:104], v[105:106], v[103:104]
	v_div_scale_f64 v[105:106], vcc, v[99:100], v[97:98], v[99:100]
	v_fma_f64 v[107:108], -v[101:102], v[103:104], 1.0
	v_fma_f64 v[103:104], v[103:104], v[107:108], v[103:104]
	v_mul_f64 v[107:108], v[105:106], v[103:104]
	v_fma_f64 v[101:102], -v[101:102], v[107:108], v[105:106]
	v_div_fmas_f64 v[101:102], v[101:102], v[103:104], v[107:108]
	v_div_fixup_f64 v[103:104], v[101:102], v[97:98], v[99:100]
	v_fma_f64 v[97:98], v[99:100], v[103:104], v[97:98]
	v_div_scale_f64 v[99:100], s[6:7], v[97:98], v[97:98], 1.0
	v_div_scale_f64 v[107:108], vcc, 1.0, v[97:98], 1.0
	v_rcp_f64_e32 v[101:102], v[99:100]
	v_fma_f64 v[105:106], -v[99:100], v[101:102], 1.0
	v_fma_f64 v[101:102], v[101:102], v[105:106], v[101:102]
	v_fma_f64 v[105:106], -v[99:100], v[101:102], 1.0
	v_fma_f64 v[101:102], v[101:102], v[105:106], v[101:102]
	v_mul_f64 v[105:106], v[107:108], v[101:102]
	v_fma_f64 v[99:100], -v[99:100], v[105:106], v[107:108]
	v_div_fmas_f64 v[99:100], v[99:100], v[101:102], v[105:106]
	v_div_fixup_f64 v[101:102], v[99:100], v[97:98], 1.0
	v_mul_f64 v[103:104], v[103:104], -v[101:102]
.LBB73_214:
	s_or_b64 exec, exec, s[2:3]
	ds_write2_b64 v127, v[101:102], v[103:104] offset1:1
.LBB73_215:
	s_or_b64 exec, exec, s[4:5]
	s_waitcnt lgkmcnt(0)
	s_barrier
	ds_read2_b64 v[85:88], v127 offset1:1
	v_cmp_lt_u32_e32 vcc, 23, v0
	s_and_saveexec_b64 s[2:3], vcc
	s_cbranch_execz .LBB73_217
; %bb.216:
	s_waitcnt lgkmcnt(0)
	v_mov_b32_e32 v73, v85
	v_mov_b32_e32 v74, v86
	v_mul_f64 v[97:98], v[73:74], v[51:52]
	v_mov_b32_e32 v75, v87
	v_mov_b32_e32 v76, v88
	v_mul_f64 v[51:52], v[75:76], v[51:52]
	ds_read2_b64 v[99:102], v125 offset0:48 offset1:49
	v_fma_f64 v[97:98], v[75:76], v[49:50], v[97:98]
	v_fma_f64 v[49:50], v[73:74], v[49:50], -v[51:52]
	s_waitcnt lgkmcnt(0)
	v_mul_f64 v[51:52], v[101:102], v[97:98]
	v_fma_f64 v[51:52], v[99:100], v[49:50], -v[51:52]
	v_mul_f64 v[99:100], v[99:100], v[97:98]
	v_add_f64 v[45:46], v[45:46], -v[51:52]
	v_fma_f64 v[99:100], v[101:102], v[49:50], v[99:100]
	v_add_f64 v[47:48], v[47:48], -v[99:100]
	ds_read2_b64 v[99:102], v125 offset0:50 offset1:51
	s_waitcnt lgkmcnt(0)
	v_mul_f64 v[51:52], v[101:102], v[97:98]
	v_fma_f64 v[51:52], v[99:100], v[49:50], -v[51:52]
	v_mul_f64 v[99:100], v[99:100], v[97:98]
	v_add_f64 v[41:42], v[41:42], -v[51:52]
	v_fma_f64 v[99:100], v[101:102], v[49:50], v[99:100]
	v_add_f64 v[43:44], v[43:44], -v[99:100]
	ds_read2_b64 v[99:102], v125 offset0:52 offset1:53
	s_waitcnt lgkmcnt(0)
	v_mul_f64 v[51:52], v[101:102], v[97:98]
	v_fma_f64 v[51:52], v[99:100], v[49:50], -v[51:52]
	v_mul_f64 v[99:100], v[99:100], v[97:98]
	v_add_f64 v[37:38], v[37:38], -v[51:52]
	v_fma_f64 v[99:100], v[101:102], v[49:50], v[99:100]
	v_add_f64 v[39:40], v[39:40], -v[99:100]
	ds_read2_b64 v[99:102], v125 offset0:54 offset1:55
	s_waitcnt lgkmcnt(0)
	v_mul_f64 v[51:52], v[101:102], v[97:98]
	v_fma_f64 v[51:52], v[99:100], v[49:50], -v[51:52]
	v_mul_f64 v[99:100], v[99:100], v[97:98]
	v_add_f64 v[33:34], v[33:34], -v[51:52]
	v_fma_f64 v[99:100], v[101:102], v[49:50], v[99:100]
	v_add_f64 v[35:36], v[35:36], -v[99:100]
	ds_read2_b64 v[99:102], v125 offset0:56 offset1:57
	s_waitcnt lgkmcnt(0)
	v_mul_f64 v[51:52], v[101:102], v[97:98]
	v_fma_f64 v[51:52], v[99:100], v[49:50], -v[51:52]
	v_mul_f64 v[99:100], v[99:100], v[97:98]
	v_add_f64 v[29:30], v[29:30], -v[51:52]
	v_fma_f64 v[99:100], v[101:102], v[49:50], v[99:100]
	v_add_f64 v[31:32], v[31:32], -v[99:100]
	ds_read2_b64 v[99:102], v125 offset0:58 offset1:59
	s_waitcnt lgkmcnt(0)
	v_mul_f64 v[51:52], v[101:102], v[97:98]
	v_fma_f64 v[51:52], v[99:100], v[49:50], -v[51:52]
	v_mul_f64 v[99:100], v[99:100], v[97:98]
	v_add_f64 v[25:26], v[25:26], -v[51:52]
	v_fma_f64 v[99:100], v[101:102], v[49:50], v[99:100]
	v_add_f64 v[27:28], v[27:28], -v[99:100]
	ds_read2_b64 v[99:102], v125 offset0:60 offset1:61
	s_waitcnt lgkmcnt(0)
	v_mul_f64 v[51:52], v[101:102], v[97:98]
	v_fma_f64 v[51:52], v[99:100], v[49:50], -v[51:52]
	v_mul_f64 v[99:100], v[99:100], v[97:98]
	v_add_f64 v[21:22], v[21:22], -v[51:52]
	v_fma_f64 v[99:100], v[101:102], v[49:50], v[99:100]
	v_add_f64 v[23:24], v[23:24], -v[99:100]
	ds_read2_b64 v[99:102], v125 offset0:62 offset1:63
	s_waitcnt lgkmcnt(0)
	v_mul_f64 v[51:52], v[101:102], v[97:98]
	v_fma_f64 v[51:52], v[99:100], v[49:50], -v[51:52]
	v_mul_f64 v[99:100], v[99:100], v[97:98]
	v_add_f64 v[17:18], v[17:18], -v[51:52]
	v_fma_f64 v[99:100], v[101:102], v[49:50], v[99:100]
	v_add_f64 v[19:20], v[19:20], -v[99:100]
	ds_read2_b64 v[99:102], v125 offset0:64 offset1:65
	s_waitcnt lgkmcnt(0)
	v_mul_f64 v[51:52], v[101:102], v[97:98]
	v_fma_f64 v[51:52], v[99:100], v[49:50], -v[51:52]
	v_mul_f64 v[99:100], v[99:100], v[97:98]
	v_add_f64 v[13:14], v[13:14], -v[51:52]
	v_fma_f64 v[99:100], v[101:102], v[49:50], v[99:100]
	v_add_f64 v[15:16], v[15:16], -v[99:100]
	ds_read2_b64 v[99:102], v125 offset0:66 offset1:67
	s_waitcnt lgkmcnt(0)
	v_mul_f64 v[51:52], v[101:102], v[97:98]
	v_fma_f64 v[51:52], v[99:100], v[49:50], -v[51:52]
	v_mul_f64 v[99:100], v[99:100], v[97:98]
	v_add_f64 v[9:10], v[9:10], -v[51:52]
	v_fma_f64 v[99:100], v[101:102], v[49:50], v[99:100]
	v_add_f64 v[11:12], v[11:12], -v[99:100]
	ds_read2_b64 v[99:102], v125 offset0:68 offset1:69
	s_waitcnt lgkmcnt(0)
	v_mul_f64 v[51:52], v[101:102], v[97:98]
	v_fma_f64 v[51:52], v[99:100], v[49:50], -v[51:52]
	v_mul_f64 v[99:100], v[99:100], v[97:98]
	v_add_f64 v[5:6], v[5:6], -v[51:52]
	v_fma_f64 v[99:100], v[101:102], v[49:50], v[99:100]
	v_add_f64 v[7:8], v[7:8], -v[99:100]
	ds_read2_b64 v[99:102], v125 offset0:70 offset1:71
	s_waitcnt lgkmcnt(0)
	v_mul_f64 v[51:52], v[101:102], v[97:98]
	v_fma_f64 v[51:52], v[99:100], v[49:50], -v[51:52]
	v_mul_f64 v[99:100], v[99:100], v[97:98]
	v_add_f64 v[1:2], v[1:2], -v[51:52]
	v_fma_f64 v[99:100], v[101:102], v[49:50], v[99:100]
	v_add_f64 v[3:4], v[3:4], -v[99:100]
	ds_read2_b64 v[99:102], v125 offset0:72 offset1:73
	s_waitcnt lgkmcnt(0)
	v_mul_f64 v[51:52], v[101:102], v[97:98]
	v_fma_f64 v[51:52], v[99:100], v[49:50], -v[51:52]
	v_mul_f64 v[99:100], v[99:100], v[97:98]
	v_add_f64 v[77:78], v[77:78], -v[51:52]
	v_fma_f64 v[99:100], v[101:102], v[49:50], v[99:100]
	v_mov_b32_e32 v51, v97
	v_mov_b32_e32 v52, v98
	v_add_f64 v[79:80], v[79:80], -v[99:100]
.LBB73_217:
	s_or_b64 exec, exec, s[2:3]
	v_cmp_eq_u32_e32 vcc, 24, v0
	s_waitcnt lgkmcnt(0)
	s_barrier
	s_and_saveexec_b64 s[4:5], vcc
	s_cbranch_execz .LBB73_224
; %bb.218:
	ds_write2_b64 v127, v[45:46], v[47:48] offset1:1
	ds_write2_b64 v125, v[41:42], v[43:44] offset0:50 offset1:51
	ds_write2_b64 v125, v[37:38], v[39:40] offset0:52 offset1:53
	;; [unrolled: 1-line block ×12, first 2 shown]
	ds_read2_b64 v[97:100], v127 offset1:1
	s_waitcnt lgkmcnt(0)
	v_cmp_neq_f64_e32 vcc, 0, v[97:98]
	v_cmp_neq_f64_e64 s[2:3], 0, v[99:100]
	s_or_b64 s[2:3], vcc, s[2:3]
	s_and_b64 exec, exec, s[2:3]
	s_cbranch_execz .LBB73_224
; %bb.219:
	v_cmp_ngt_f64_e64 s[2:3], |v[97:98]|, |v[99:100]|
                                        ; implicit-def: $vgpr101_vgpr102
	s_and_saveexec_b64 s[6:7], s[2:3]
	s_xor_b64 s[2:3], exec, s[6:7]
                                        ; implicit-def: $vgpr103_vgpr104
	s_cbranch_execz .LBB73_221
; %bb.220:
	v_div_scale_f64 v[101:102], s[6:7], v[99:100], v[99:100], v[97:98]
	v_rcp_f64_e32 v[103:104], v[101:102]
	v_fma_f64 v[105:106], -v[101:102], v[103:104], 1.0
	v_fma_f64 v[103:104], v[103:104], v[105:106], v[103:104]
	v_div_scale_f64 v[105:106], vcc, v[97:98], v[99:100], v[97:98]
	v_fma_f64 v[107:108], -v[101:102], v[103:104], 1.0
	v_fma_f64 v[103:104], v[103:104], v[107:108], v[103:104]
	v_mul_f64 v[107:108], v[105:106], v[103:104]
	v_fma_f64 v[101:102], -v[101:102], v[107:108], v[105:106]
	v_div_fmas_f64 v[101:102], v[101:102], v[103:104], v[107:108]
	v_div_fixup_f64 v[101:102], v[101:102], v[99:100], v[97:98]
	v_fma_f64 v[97:98], v[97:98], v[101:102], v[99:100]
	v_div_scale_f64 v[99:100], s[6:7], v[97:98], v[97:98], 1.0
	v_div_scale_f64 v[107:108], vcc, 1.0, v[97:98], 1.0
	v_rcp_f64_e32 v[103:104], v[99:100]
	v_fma_f64 v[105:106], -v[99:100], v[103:104], 1.0
	v_fma_f64 v[103:104], v[103:104], v[105:106], v[103:104]
	v_fma_f64 v[105:106], -v[99:100], v[103:104], 1.0
	v_fma_f64 v[103:104], v[103:104], v[105:106], v[103:104]
	v_mul_f64 v[105:106], v[107:108], v[103:104]
	v_fma_f64 v[99:100], -v[99:100], v[105:106], v[107:108]
	v_div_fmas_f64 v[99:100], v[99:100], v[103:104], v[105:106]
	v_div_fixup_f64 v[103:104], v[99:100], v[97:98], 1.0
                                        ; implicit-def: $vgpr97_vgpr98
	v_mul_f64 v[101:102], v[101:102], v[103:104]
	v_xor_b32_e32 v104, 0x80000000, v104
.LBB73_221:
	s_andn2_saveexec_b64 s[2:3], s[2:3]
	s_cbranch_execz .LBB73_223
; %bb.222:
	v_div_scale_f64 v[101:102], s[6:7], v[97:98], v[97:98], v[99:100]
	v_rcp_f64_e32 v[103:104], v[101:102]
	v_fma_f64 v[105:106], -v[101:102], v[103:104], 1.0
	v_fma_f64 v[103:104], v[103:104], v[105:106], v[103:104]
	v_div_scale_f64 v[105:106], vcc, v[99:100], v[97:98], v[99:100]
	v_fma_f64 v[107:108], -v[101:102], v[103:104], 1.0
	v_fma_f64 v[103:104], v[103:104], v[107:108], v[103:104]
	v_mul_f64 v[107:108], v[105:106], v[103:104]
	v_fma_f64 v[101:102], -v[101:102], v[107:108], v[105:106]
	v_div_fmas_f64 v[101:102], v[101:102], v[103:104], v[107:108]
	v_div_fixup_f64 v[103:104], v[101:102], v[97:98], v[99:100]
	v_fma_f64 v[97:98], v[99:100], v[103:104], v[97:98]
	v_div_scale_f64 v[99:100], s[6:7], v[97:98], v[97:98], 1.0
	v_div_scale_f64 v[107:108], vcc, 1.0, v[97:98], 1.0
	v_rcp_f64_e32 v[101:102], v[99:100]
	v_fma_f64 v[105:106], -v[99:100], v[101:102], 1.0
	v_fma_f64 v[101:102], v[101:102], v[105:106], v[101:102]
	v_fma_f64 v[105:106], -v[99:100], v[101:102], 1.0
	v_fma_f64 v[101:102], v[101:102], v[105:106], v[101:102]
	v_mul_f64 v[105:106], v[107:108], v[101:102]
	v_fma_f64 v[99:100], -v[99:100], v[105:106], v[107:108]
	v_div_fmas_f64 v[99:100], v[99:100], v[101:102], v[105:106]
	v_div_fixup_f64 v[101:102], v[99:100], v[97:98], 1.0
	v_mul_f64 v[103:104], v[103:104], -v[101:102]
.LBB73_223:
	s_or_b64 exec, exec, s[2:3]
	ds_write2_b64 v127, v[101:102], v[103:104] offset1:1
.LBB73_224:
	s_or_b64 exec, exec, s[4:5]
	s_waitcnt lgkmcnt(0)
	s_barrier
	ds_read2_b64 v[73:76], v127 offset1:1
	v_cmp_lt_u32_e32 vcc, 24, v0
	s_waitcnt lgkmcnt(0)
	buffer_store_dword v73, off, s[20:23], 0 offset:856 ; 4-byte Folded Spill
	s_nop 0
	buffer_store_dword v74, off, s[20:23], 0 offset:860 ; 4-byte Folded Spill
	buffer_store_dword v75, off, s[20:23], 0 offset:864 ; 4-byte Folded Spill
	;; [unrolled: 1-line block ×3, first 2 shown]
	s_and_saveexec_b64 s[2:3], vcc
	s_cbranch_execz .LBB73_226
; %bb.225:
	buffer_load_dword v73, off, s[20:23], 0 offset:856 ; 4-byte Folded Reload
	buffer_load_dword v74, off, s[20:23], 0 offset:860 ; 4-byte Folded Reload
	;; [unrolled: 1-line block ×4, first 2 shown]
	ds_read2_b64 v[99:102], v125 offset0:50 offset1:51
	s_waitcnt vmcnt(2)
	v_mul_f64 v[97:98], v[73:74], v[47:48]
	s_waitcnt vmcnt(0)
	v_mul_f64 v[47:48], v[75:76], v[47:48]
	v_fma_f64 v[97:98], v[75:76], v[45:46], v[97:98]
	v_fma_f64 v[45:46], v[73:74], v[45:46], -v[47:48]
	s_waitcnt lgkmcnt(0)
	v_mul_f64 v[47:48], v[101:102], v[97:98]
	v_fma_f64 v[47:48], v[99:100], v[45:46], -v[47:48]
	v_mul_f64 v[99:100], v[99:100], v[97:98]
	v_add_f64 v[41:42], v[41:42], -v[47:48]
	v_fma_f64 v[99:100], v[101:102], v[45:46], v[99:100]
	v_add_f64 v[43:44], v[43:44], -v[99:100]
	ds_read2_b64 v[99:102], v125 offset0:52 offset1:53
	s_waitcnt lgkmcnt(0)
	v_mul_f64 v[47:48], v[101:102], v[97:98]
	v_fma_f64 v[47:48], v[99:100], v[45:46], -v[47:48]
	v_mul_f64 v[99:100], v[99:100], v[97:98]
	v_add_f64 v[37:38], v[37:38], -v[47:48]
	v_fma_f64 v[99:100], v[101:102], v[45:46], v[99:100]
	v_add_f64 v[39:40], v[39:40], -v[99:100]
	ds_read2_b64 v[99:102], v125 offset0:54 offset1:55
	;; [unrolled: 8-line block ×11, first 2 shown]
	s_waitcnt lgkmcnt(0)
	v_mul_f64 v[47:48], v[101:102], v[97:98]
	v_fma_f64 v[47:48], v[99:100], v[45:46], -v[47:48]
	v_mul_f64 v[99:100], v[99:100], v[97:98]
	v_add_f64 v[77:78], v[77:78], -v[47:48]
	v_fma_f64 v[99:100], v[101:102], v[45:46], v[99:100]
	v_mov_b32_e32 v47, v97
	v_mov_b32_e32 v48, v98
	v_add_f64 v[79:80], v[79:80], -v[99:100]
.LBB73_226:
	s_or_b64 exec, exec, s[2:3]
	v_cmp_eq_u32_e32 vcc, 25, v0
	s_waitcnt vmcnt(0)
	s_barrier
	s_and_saveexec_b64 s[4:5], vcc
	s_cbranch_execz .LBB73_233
; %bb.227:
	ds_write2_b64 v127, v[41:42], v[43:44] offset1:1
	ds_write2_b64 v125, v[37:38], v[39:40] offset0:52 offset1:53
	ds_write2_b64 v125, v[33:34], v[35:36] offset0:54 offset1:55
	;; [unrolled: 1-line block ×11, first 2 shown]
	ds_read2_b64 v[97:100], v127 offset1:1
	s_waitcnt lgkmcnt(0)
	v_cmp_neq_f64_e32 vcc, 0, v[97:98]
	v_cmp_neq_f64_e64 s[2:3], 0, v[99:100]
	s_or_b64 s[2:3], vcc, s[2:3]
	s_and_b64 exec, exec, s[2:3]
	s_cbranch_execz .LBB73_233
; %bb.228:
	v_cmp_ngt_f64_e64 s[2:3], |v[97:98]|, |v[99:100]|
                                        ; implicit-def: $vgpr101_vgpr102
	s_and_saveexec_b64 s[6:7], s[2:3]
	s_xor_b64 s[2:3], exec, s[6:7]
                                        ; implicit-def: $vgpr103_vgpr104
	s_cbranch_execz .LBB73_230
; %bb.229:
	v_div_scale_f64 v[101:102], s[6:7], v[99:100], v[99:100], v[97:98]
	v_rcp_f64_e32 v[103:104], v[101:102]
	v_fma_f64 v[105:106], -v[101:102], v[103:104], 1.0
	v_fma_f64 v[103:104], v[103:104], v[105:106], v[103:104]
	v_div_scale_f64 v[105:106], vcc, v[97:98], v[99:100], v[97:98]
	v_fma_f64 v[107:108], -v[101:102], v[103:104], 1.0
	v_fma_f64 v[103:104], v[103:104], v[107:108], v[103:104]
	v_mul_f64 v[107:108], v[105:106], v[103:104]
	v_fma_f64 v[101:102], -v[101:102], v[107:108], v[105:106]
	v_div_fmas_f64 v[101:102], v[101:102], v[103:104], v[107:108]
	v_div_fixup_f64 v[101:102], v[101:102], v[99:100], v[97:98]
	v_fma_f64 v[97:98], v[97:98], v[101:102], v[99:100]
	v_div_scale_f64 v[99:100], s[6:7], v[97:98], v[97:98], 1.0
	v_div_scale_f64 v[107:108], vcc, 1.0, v[97:98], 1.0
	v_rcp_f64_e32 v[103:104], v[99:100]
	v_fma_f64 v[105:106], -v[99:100], v[103:104], 1.0
	v_fma_f64 v[103:104], v[103:104], v[105:106], v[103:104]
	v_fma_f64 v[105:106], -v[99:100], v[103:104], 1.0
	v_fma_f64 v[103:104], v[103:104], v[105:106], v[103:104]
	v_mul_f64 v[105:106], v[107:108], v[103:104]
	v_fma_f64 v[99:100], -v[99:100], v[105:106], v[107:108]
	v_div_fmas_f64 v[99:100], v[99:100], v[103:104], v[105:106]
	v_div_fixup_f64 v[103:104], v[99:100], v[97:98], 1.0
                                        ; implicit-def: $vgpr97_vgpr98
	v_mul_f64 v[101:102], v[101:102], v[103:104]
	v_xor_b32_e32 v104, 0x80000000, v104
.LBB73_230:
	s_andn2_saveexec_b64 s[2:3], s[2:3]
	s_cbranch_execz .LBB73_232
; %bb.231:
	v_div_scale_f64 v[101:102], s[6:7], v[97:98], v[97:98], v[99:100]
	v_rcp_f64_e32 v[103:104], v[101:102]
	v_fma_f64 v[105:106], -v[101:102], v[103:104], 1.0
	v_fma_f64 v[103:104], v[103:104], v[105:106], v[103:104]
	v_div_scale_f64 v[105:106], vcc, v[99:100], v[97:98], v[99:100]
	v_fma_f64 v[107:108], -v[101:102], v[103:104], 1.0
	v_fma_f64 v[103:104], v[103:104], v[107:108], v[103:104]
	v_mul_f64 v[107:108], v[105:106], v[103:104]
	v_fma_f64 v[101:102], -v[101:102], v[107:108], v[105:106]
	v_div_fmas_f64 v[101:102], v[101:102], v[103:104], v[107:108]
	v_div_fixup_f64 v[103:104], v[101:102], v[97:98], v[99:100]
	v_fma_f64 v[97:98], v[99:100], v[103:104], v[97:98]
	v_div_scale_f64 v[99:100], s[6:7], v[97:98], v[97:98], 1.0
	v_div_scale_f64 v[107:108], vcc, 1.0, v[97:98], 1.0
	v_rcp_f64_e32 v[101:102], v[99:100]
	v_fma_f64 v[105:106], -v[99:100], v[101:102], 1.0
	v_fma_f64 v[101:102], v[101:102], v[105:106], v[101:102]
	v_fma_f64 v[105:106], -v[99:100], v[101:102], 1.0
	v_fma_f64 v[101:102], v[101:102], v[105:106], v[101:102]
	v_mul_f64 v[105:106], v[107:108], v[101:102]
	v_fma_f64 v[99:100], -v[99:100], v[105:106], v[107:108]
	v_div_fmas_f64 v[99:100], v[99:100], v[101:102], v[105:106]
	v_div_fixup_f64 v[101:102], v[99:100], v[97:98], 1.0
	v_mul_f64 v[103:104], v[103:104], -v[101:102]
.LBB73_232:
	s_or_b64 exec, exec, s[2:3]
	ds_write2_b64 v127, v[101:102], v[103:104] offset1:1
.LBB73_233:
	s_or_b64 exec, exec, s[4:5]
	s_waitcnt lgkmcnt(0)
	s_barrier
	ds_read2_b64 v[73:76], v127 offset1:1
	v_cmp_lt_u32_e32 vcc, 25, v0
	s_waitcnt lgkmcnt(0)
	buffer_store_dword v73, off, s[20:23], 0 offset:872 ; 4-byte Folded Spill
	s_nop 0
	buffer_store_dword v74, off, s[20:23], 0 offset:876 ; 4-byte Folded Spill
	buffer_store_dword v75, off, s[20:23], 0 offset:880 ; 4-byte Folded Spill
	;; [unrolled: 1-line block ×3, first 2 shown]
	s_and_saveexec_b64 s[2:3], vcc
	s_cbranch_execz .LBB73_235
; %bb.234:
	buffer_load_dword v73, off, s[20:23], 0 offset:872 ; 4-byte Folded Reload
	buffer_load_dword v74, off, s[20:23], 0 offset:876 ; 4-byte Folded Reload
	;; [unrolled: 1-line block ×4, first 2 shown]
	ds_read2_b64 v[99:102], v125 offset0:52 offset1:53
	s_waitcnt vmcnt(2)
	v_mul_f64 v[97:98], v[73:74], v[43:44]
	s_waitcnt vmcnt(0)
	v_mul_f64 v[43:44], v[75:76], v[43:44]
	v_fma_f64 v[97:98], v[75:76], v[41:42], v[97:98]
	v_fma_f64 v[41:42], v[73:74], v[41:42], -v[43:44]
	s_waitcnt lgkmcnt(0)
	v_mul_f64 v[43:44], v[101:102], v[97:98]
	v_fma_f64 v[43:44], v[99:100], v[41:42], -v[43:44]
	v_mul_f64 v[99:100], v[99:100], v[97:98]
	v_add_f64 v[37:38], v[37:38], -v[43:44]
	v_fma_f64 v[99:100], v[101:102], v[41:42], v[99:100]
	v_add_f64 v[39:40], v[39:40], -v[99:100]
	ds_read2_b64 v[99:102], v125 offset0:54 offset1:55
	s_waitcnt lgkmcnt(0)
	v_mul_f64 v[43:44], v[101:102], v[97:98]
	v_fma_f64 v[43:44], v[99:100], v[41:42], -v[43:44]
	v_mul_f64 v[99:100], v[99:100], v[97:98]
	v_add_f64 v[33:34], v[33:34], -v[43:44]
	v_fma_f64 v[99:100], v[101:102], v[41:42], v[99:100]
	v_add_f64 v[35:36], v[35:36], -v[99:100]
	ds_read2_b64 v[99:102], v125 offset0:56 offset1:57
	;; [unrolled: 8-line block ×10, first 2 shown]
	s_waitcnt lgkmcnt(0)
	v_mul_f64 v[43:44], v[101:102], v[97:98]
	v_fma_f64 v[43:44], v[99:100], v[41:42], -v[43:44]
	v_mul_f64 v[99:100], v[99:100], v[97:98]
	v_add_f64 v[77:78], v[77:78], -v[43:44]
	v_fma_f64 v[99:100], v[101:102], v[41:42], v[99:100]
	v_mov_b32_e32 v43, v97
	v_mov_b32_e32 v44, v98
	v_add_f64 v[79:80], v[79:80], -v[99:100]
.LBB73_235:
	s_or_b64 exec, exec, s[2:3]
	v_cmp_eq_u32_e32 vcc, 26, v0
	s_waitcnt vmcnt(0)
	s_barrier
	s_and_saveexec_b64 s[4:5], vcc
	s_cbranch_execz .LBB73_242
; %bb.236:
	ds_write2_b64 v127, v[37:38], v[39:40] offset1:1
	ds_write2_b64 v125, v[33:34], v[35:36] offset0:54 offset1:55
	ds_write2_b64 v125, v[29:30], v[31:32] offset0:56 offset1:57
	;; [unrolled: 1-line block ×10, first 2 shown]
	ds_read2_b64 v[97:100], v127 offset1:1
	s_waitcnt lgkmcnt(0)
	v_cmp_neq_f64_e32 vcc, 0, v[97:98]
	v_cmp_neq_f64_e64 s[2:3], 0, v[99:100]
	s_or_b64 s[2:3], vcc, s[2:3]
	s_and_b64 exec, exec, s[2:3]
	s_cbranch_execz .LBB73_242
; %bb.237:
	v_cmp_ngt_f64_e64 s[2:3], |v[97:98]|, |v[99:100]|
                                        ; implicit-def: $vgpr101_vgpr102
	s_and_saveexec_b64 s[6:7], s[2:3]
	s_xor_b64 s[2:3], exec, s[6:7]
                                        ; implicit-def: $vgpr103_vgpr104
	s_cbranch_execz .LBB73_239
; %bb.238:
	v_div_scale_f64 v[101:102], s[6:7], v[99:100], v[99:100], v[97:98]
	v_rcp_f64_e32 v[103:104], v[101:102]
	v_fma_f64 v[105:106], -v[101:102], v[103:104], 1.0
	v_fma_f64 v[103:104], v[103:104], v[105:106], v[103:104]
	v_div_scale_f64 v[105:106], vcc, v[97:98], v[99:100], v[97:98]
	v_fma_f64 v[107:108], -v[101:102], v[103:104], 1.0
	v_fma_f64 v[103:104], v[103:104], v[107:108], v[103:104]
	v_mul_f64 v[107:108], v[105:106], v[103:104]
	v_fma_f64 v[101:102], -v[101:102], v[107:108], v[105:106]
	v_div_fmas_f64 v[101:102], v[101:102], v[103:104], v[107:108]
	v_div_fixup_f64 v[101:102], v[101:102], v[99:100], v[97:98]
	v_fma_f64 v[97:98], v[97:98], v[101:102], v[99:100]
	v_div_scale_f64 v[99:100], s[6:7], v[97:98], v[97:98], 1.0
	v_div_scale_f64 v[107:108], vcc, 1.0, v[97:98], 1.0
	v_rcp_f64_e32 v[103:104], v[99:100]
	v_fma_f64 v[105:106], -v[99:100], v[103:104], 1.0
	v_fma_f64 v[103:104], v[103:104], v[105:106], v[103:104]
	v_fma_f64 v[105:106], -v[99:100], v[103:104], 1.0
	v_fma_f64 v[103:104], v[103:104], v[105:106], v[103:104]
	v_mul_f64 v[105:106], v[107:108], v[103:104]
	v_fma_f64 v[99:100], -v[99:100], v[105:106], v[107:108]
	v_div_fmas_f64 v[99:100], v[99:100], v[103:104], v[105:106]
	v_div_fixup_f64 v[103:104], v[99:100], v[97:98], 1.0
                                        ; implicit-def: $vgpr97_vgpr98
	v_mul_f64 v[101:102], v[101:102], v[103:104]
	v_xor_b32_e32 v104, 0x80000000, v104
.LBB73_239:
	s_andn2_saveexec_b64 s[2:3], s[2:3]
	s_cbranch_execz .LBB73_241
; %bb.240:
	v_div_scale_f64 v[101:102], s[6:7], v[97:98], v[97:98], v[99:100]
	v_rcp_f64_e32 v[103:104], v[101:102]
	v_fma_f64 v[105:106], -v[101:102], v[103:104], 1.0
	v_fma_f64 v[103:104], v[103:104], v[105:106], v[103:104]
	v_div_scale_f64 v[105:106], vcc, v[99:100], v[97:98], v[99:100]
	v_fma_f64 v[107:108], -v[101:102], v[103:104], 1.0
	v_fma_f64 v[103:104], v[103:104], v[107:108], v[103:104]
	v_mul_f64 v[107:108], v[105:106], v[103:104]
	v_fma_f64 v[101:102], -v[101:102], v[107:108], v[105:106]
	v_div_fmas_f64 v[101:102], v[101:102], v[103:104], v[107:108]
	v_div_fixup_f64 v[103:104], v[101:102], v[97:98], v[99:100]
	v_fma_f64 v[97:98], v[99:100], v[103:104], v[97:98]
	v_div_scale_f64 v[99:100], s[6:7], v[97:98], v[97:98], 1.0
	v_div_scale_f64 v[107:108], vcc, 1.0, v[97:98], 1.0
	v_rcp_f64_e32 v[101:102], v[99:100]
	v_fma_f64 v[105:106], -v[99:100], v[101:102], 1.0
	v_fma_f64 v[101:102], v[101:102], v[105:106], v[101:102]
	v_fma_f64 v[105:106], -v[99:100], v[101:102], 1.0
	v_fma_f64 v[101:102], v[101:102], v[105:106], v[101:102]
	v_mul_f64 v[105:106], v[107:108], v[101:102]
	v_fma_f64 v[99:100], -v[99:100], v[105:106], v[107:108]
	v_div_fmas_f64 v[99:100], v[99:100], v[101:102], v[105:106]
	v_div_fixup_f64 v[101:102], v[99:100], v[97:98], 1.0
	v_mul_f64 v[103:104], v[103:104], -v[101:102]
.LBB73_241:
	s_or_b64 exec, exec, s[2:3]
	ds_write2_b64 v127, v[101:102], v[103:104] offset1:1
.LBB73_242:
	s_or_b64 exec, exec, s[4:5]
	s_waitcnt lgkmcnt(0)
	s_barrier
	ds_read2_b64 v[73:76], v127 offset1:1
	v_cmp_lt_u32_e32 vcc, 26, v0
	s_waitcnt lgkmcnt(0)
	buffer_store_dword v73, off, s[20:23], 0 offset:888 ; 4-byte Folded Spill
	s_nop 0
	buffer_store_dword v74, off, s[20:23], 0 offset:892 ; 4-byte Folded Spill
	buffer_store_dword v75, off, s[20:23], 0 offset:896 ; 4-byte Folded Spill
	;; [unrolled: 1-line block ×3, first 2 shown]
	s_and_saveexec_b64 s[2:3], vcc
	s_cbranch_execz .LBB73_244
; %bb.243:
	buffer_load_dword v73, off, s[20:23], 0 offset:888 ; 4-byte Folded Reload
	buffer_load_dword v74, off, s[20:23], 0 offset:892 ; 4-byte Folded Reload
	;; [unrolled: 1-line block ×4, first 2 shown]
	ds_read2_b64 v[99:102], v125 offset0:54 offset1:55
	s_waitcnt vmcnt(2)
	v_mul_f64 v[97:98], v[73:74], v[39:40]
	s_waitcnt vmcnt(0)
	v_mul_f64 v[39:40], v[75:76], v[39:40]
	v_fma_f64 v[97:98], v[75:76], v[37:38], v[97:98]
	v_fma_f64 v[37:38], v[73:74], v[37:38], -v[39:40]
	s_waitcnt lgkmcnt(0)
	v_mul_f64 v[39:40], v[101:102], v[97:98]
	v_fma_f64 v[39:40], v[99:100], v[37:38], -v[39:40]
	v_mul_f64 v[99:100], v[99:100], v[97:98]
	v_add_f64 v[33:34], v[33:34], -v[39:40]
	v_fma_f64 v[99:100], v[101:102], v[37:38], v[99:100]
	v_add_f64 v[35:36], v[35:36], -v[99:100]
	ds_read2_b64 v[99:102], v125 offset0:56 offset1:57
	s_waitcnt lgkmcnt(0)
	v_mul_f64 v[39:40], v[101:102], v[97:98]
	v_fma_f64 v[39:40], v[99:100], v[37:38], -v[39:40]
	v_mul_f64 v[99:100], v[99:100], v[97:98]
	v_add_f64 v[29:30], v[29:30], -v[39:40]
	v_fma_f64 v[99:100], v[101:102], v[37:38], v[99:100]
	v_add_f64 v[31:32], v[31:32], -v[99:100]
	ds_read2_b64 v[99:102], v125 offset0:58 offset1:59
	;; [unrolled: 8-line block ×9, first 2 shown]
	s_waitcnt lgkmcnt(0)
	v_mul_f64 v[39:40], v[101:102], v[97:98]
	v_fma_f64 v[39:40], v[99:100], v[37:38], -v[39:40]
	v_mul_f64 v[99:100], v[99:100], v[97:98]
	v_add_f64 v[77:78], v[77:78], -v[39:40]
	v_fma_f64 v[99:100], v[101:102], v[37:38], v[99:100]
	v_mov_b32_e32 v39, v97
	v_mov_b32_e32 v40, v98
	v_add_f64 v[79:80], v[79:80], -v[99:100]
.LBB73_244:
	s_or_b64 exec, exec, s[2:3]
	v_cmp_eq_u32_e32 vcc, 27, v0
	s_waitcnt vmcnt(0)
	s_barrier
	s_and_saveexec_b64 s[4:5], vcc
	s_cbranch_execz .LBB73_251
; %bb.245:
	ds_write2_b64 v127, v[33:34], v[35:36] offset1:1
	ds_write2_b64 v125, v[29:30], v[31:32] offset0:56 offset1:57
	ds_write2_b64 v125, v[25:26], v[27:28] offset0:58 offset1:59
	;; [unrolled: 1-line block ×9, first 2 shown]
	ds_read2_b64 v[97:100], v127 offset1:1
	s_waitcnt lgkmcnt(0)
	v_cmp_neq_f64_e32 vcc, 0, v[97:98]
	v_cmp_neq_f64_e64 s[2:3], 0, v[99:100]
	s_or_b64 s[2:3], vcc, s[2:3]
	s_and_b64 exec, exec, s[2:3]
	s_cbranch_execz .LBB73_251
; %bb.246:
	v_cmp_ngt_f64_e64 s[2:3], |v[97:98]|, |v[99:100]|
                                        ; implicit-def: $vgpr101_vgpr102
	s_and_saveexec_b64 s[6:7], s[2:3]
	s_xor_b64 s[2:3], exec, s[6:7]
                                        ; implicit-def: $vgpr103_vgpr104
	s_cbranch_execz .LBB73_248
; %bb.247:
	v_div_scale_f64 v[101:102], s[6:7], v[99:100], v[99:100], v[97:98]
	v_rcp_f64_e32 v[103:104], v[101:102]
	v_fma_f64 v[105:106], -v[101:102], v[103:104], 1.0
	v_fma_f64 v[103:104], v[103:104], v[105:106], v[103:104]
	v_div_scale_f64 v[105:106], vcc, v[97:98], v[99:100], v[97:98]
	v_fma_f64 v[107:108], -v[101:102], v[103:104], 1.0
	v_fma_f64 v[103:104], v[103:104], v[107:108], v[103:104]
	v_mul_f64 v[107:108], v[105:106], v[103:104]
	v_fma_f64 v[101:102], -v[101:102], v[107:108], v[105:106]
	v_div_fmas_f64 v[101:102], v[101:102], v[103:104], v[107:108]
	v_div_fixup_f64 v[101:102], v[101:102], v[99:100], v[97:98]
	v_fma_f64 v[97:98], v[97:98], v[101:102], v[99:100]
	v_div_scale_f64 v[99:100], s[6:7], v[97:98], v[97:98], 1.0
	v_div_scale_f64 v[107:108], vcc, 1.0, v[97:98], 1.0
	v_rcp_f64_e32 v[103:104], v[99:100]
	v_fma_f64 v[105:106], -v[99:100], v[103:104], 1.0
	v_fma_f64 v[103:104], v[103:104], v[105:106], v[103:104]
	v_fma_f64 v[105:106], -v[99:100], v[103:104], 1.0
	v_fma_f64 v[103:104], v[103:104], v[105:106], v[103:104]
	v_mul_f64 v[105:106], v[107:108], v[103:104]
	v_fma_f64 v[99:100], -v[99:100], v[105:106], v[107:108]
	v_div_fmas_f64 v[99:100], v[99:100], v[103:104], v[105:106]
	v_div_fixup_f64 v[103:104], v[99:100], v[97:98], 1.0
                                        ; implicit-def: $vgpr97_vgpr98
	v_mul_f64 v[101:102], v[101:102], v[103:104]
	v_xor_b32_e32 v104, 0x80000000, v104
.LBB73_248:
	s_andn2_saveexec_b64 s[2:3], s[2:3]
	s_cbranch_execz .LBB73_250
; %bb.249:
	v_div_scale_f64 v[101:102], s[6:7], v[97:98], v[97:98], v[99:100]
	v_rcp_f64_e32 v[103:104], v[101:102]
	v_fma_f64 v[105:106], -v[101:102], v[103:104], 1.0
	v_fma_f64 v[103:104], v[103:104], v[105:106], v[103:104]
	v_div_scale_f64 v[105:106], vcc, v[99:100], v[97:98], v[99:100]
	v_fma_f64 v[107:108], -v[101:102], v[103:104], 1.0
	v_fma_f64 v[103:104], v[103:104], v[107:108], v[103:104]
	v_mul_f64 v[107:108], v[105:106], v[103:104]
	v_fma_f64 v[101:102], -v[101:102], v[107:108], v[105:106]
	v_div_fmas_f64 v[101:102], v[101:102], v[103:104], v[107:108]
	v_div_fixup_f64 v[103:104], v[101:102], v[97:98], v[99:100]
	v_fma_f64 v[97:98], v[99:100], v[103:104], v[97:98]
	v_div_scale_f64 v[99:100], s[6:7], v[97:98], v[97:98], 1.0
	v_div_scale_f64 v[107:108], vcc, 1.0, v[97:98], 1.0
	v_rcp_f64_e32 v[101:102], v[99:100]
	v_fma_f64 v[105:106], -v[99:100], v[101:102], 1.0
	v_fma_f64 v[101:102], v[101:102], v[105:106], v[101:102]
	v_fma_f64 v[105:106], -v[99:100], v[101:102], 1.0
	v_fma_f64 v[101:102], v[101:102], v[105:106], v[101:102]
	v_mul_f64 v[105:106], v[107:108], v[101:102]
	v_fma_f64 v[99:100], -v[99:100], v[105:106], v[107:108]
	v_div_fmas_f64 v[99:100], v[99:100], v[101:102], v[105:106]
	v_div_fixup_f64 v[101:102], v[99:100], v[97:98], 1.0
	v_mul_f64 v[103:104], v[103:104], -v[101:102]
.LBB73_250:
	s_or_b64 exec, exec, s[2:3]
	ds_write2_b64 v127, v[101:102], v[103:104] offset1:1
.LBB73_251:
	s_or_b64 exec, exec, s[4:5]
	s_waitcnt lgkmcnt(0)
	s_barrier
	ds_read2_b64 v[73:76], v127 offset1:1
	v_cmp_lt_u32_e32 vcc, 27, v0
	s_waitcnt lgkmcnt(0)
	buffer_store_dword v73, off, s[20:23], 0 offset:904 ; 4-byte Folded Spill
	s_nop 0
	buffer_store_dword v74, off, s[20:23], 0 offset:908 ; 4-byte Folded Spill
	buffer_store_dword v75, off, s[20:23], 0 offset:912 ; 4-byte Folded Spill
	;; [unrolled: 1-line block ×3, first 2 shown]
	s_and_saveexec_b64 s[2:3], vcc
	s_cbranch_execz .LBB73_253
; %bb.252:
	buffer_load_dword v73, off, s[20:23], 0 offset:904 ; 4-byte Folded Reload
	buffer_load_dword v74, off, s[20:23], 0 offset:908 ; 4-byte Folded Reload
	;; [unrolled: 1-line block ×4, first 2 shown]
	ds_read2_b64 v[99:102], v125 offset0:56 offset1:57
	s_waitcnt vmcnt(2)
	v_mul_f64 v[97:98], v[73:74], v[35:36]
	s_waitcnt vmcnt(0)
	v_mul_f64 v[35:36], v[75:76], v[35:36]
	v_fma_f64 v[97:98], v[75:76], v[33:34], v[97:98]
	v_fma_f64 v[33:34], v[73:74], v[33:34], -v[35:36]
	s_waitcnt lgkmcnt(0)
	v_mul_f64 v[35:36], v[101:102], v[97:98]
	v_fma_f64 v[35:36], v[99:100], v[33:34], -v[35:36]
	v_mul_f64 v[99:100], v[99:100], v[97:98]
	v_add_f64 v[29:30], v[29:30], -v[35:36]
	v_fma_f64 v[99:100], v[101:102], v[33:34], v[99:100]
	v_add_f64 v[31:32], v[31:32], -v[99:100]
	ds_read2_b64 v[99:102], v125 offset0:58 offset1:59
	s_waitcnt lgkmcnt(0)
	v_mul_f64 v[35:36], v[101:102], v[97:98]
	v_fma_f64 v[35:36], v[99:100], v[33:34], -v[35:36]
	v_mul_f64 v[99:100], v[99:100], v[97:98]
	v_add_f64 v[25:26], v[25:26], -v[35:36]
	v_fma_f64 v[99:100], v[101:102], v[33:34], v[99:100]
	v_add_f64 v[27:28], v[27:28], -v[99:100]
	ds_read2_b64 v[99:102], v125 offset0:60 offset1:61
	;; [unrolled: 8-line block ×8, first 2 shown]
	s_waitcnt lgkmcnt(0)
	v_mul_f64 v[35:36], v[101:102], v[97:98]
	v_fma_f64 v[35:36], v[99:100], v[33:34], -v[35:36]
	v_mul_f64 v[99:100], v[99:100], v[97:98]
	v_add_f64 v[77:78], v[77:78], -v[35:36]
	v_fma_f64 v[99:100], v[101:102], v[33:34], v[99:100]
	v_mov_b32_e32 v35, v97
	v_mov_b32_e32 v36, v98
	v_add_f64 v[79:80], v[79:80], -v[99:100]
.LBB73_253:
	s_or_b64 exec, exec, s[2:3]
	v_cmp_eq_u32_e32 vcc, 28, v0
	s_waitcnt vmcnt(0)
	s_barrier
	s_and_saveexec_b64 s[4:5], vcc
	s_cbranch_execz .LBB73_260
; %bb.254:
	ds_write2_b64 v127, v[29:30], v[31:32] offset1:1
	ds_write2_b64 v125, v[25:26], v[27:28] offset0:58 offset1:59
	ds_write2_b64 v125, v[21:22], v[23:24] offset0:60 offset1:61
	;; [unrolled: 1-line block ×8, first 2 shown]
	ds_read2_b64 v[97:100], v127 offset1:1
	s_waitcnt lgkmcnt(0)
	v_cmp_neq_f64_e32 vcc, 0, v[97:98]
	v_cmp_neq_f64_e64 s[2:3], 0, v[99:100]
	s_or_b64 s[2:3], vcc, s[2:3]
	s_and_b64 exec, exec, s[2:3]
	s_cbranch_execz .LBB73_260
; %bb.255:
	v_cmp_ngt_f64_e64 s[2:3], |v[97:98]|, |v[99:100]|
                                        ; implicit-def: $vgpr101_vgpr102
	s_and_saveexec_b64 s[6:7], s[2:3]
	s_xor_b64 s[2:3], exec, s[6:7]
                                        ; implicit-def: $vgpr103_vgpr104
	s_cbranch_execz .LBB73_257
; %bb.256:
	v_div_scale_f64 v[101:102], s[6:7], v[99:100], v[99:100], v[97:98]
	v_rcp_f64_e32 v[103:104], v[101:102]
	v_fma_f64 v[105:106], -v[101:102], v[103:104], 1.0
	v_fma_f64 v[103:104], v[103:104], v[105:106], v[103:104]
	v_div_scale_f64 v[105:106], vcc, v[97:98], v[99:100], v[97:98]
	v_fma_f64 v[107:108], -v[101:102], v[103:104], 1.0
	v_fma_f64 v[103:104], v[103:104], v[107:108], v[103:104]
	v_mul_f64 v[107:108], v[105:106], v[103:104]
	v_fma_f64 v[101:102], -v[101:102], v[107:108], v[105:106]
	v_div_fmas_f64 v[101:102], v[101:102], v[103:104], v[107:108]
	v_div_fixup_f64 v[101:102], v[101:102], v[99:100], v[97:98]
	v_fma_f64 v[97:98], v[97:98], v[101:102], v[99:100]
	v_div_scale_f64 v[99:100], s[6:7], v[97:98], v[97:98], 1.0
	v_div_scale_f64 v[107:108], vcc, 1.0, v[97:98], 1.0
	v_rcp_f64_e32 v[103:104], v[99:100]
	v_fma_f64 v[105:106], -v[99:100], v[103:104], 1.0
	v_fma_f64 v[103:104], v[103:104], v[105:106], v[103:104]
	v_fma_f64 v[105:106], -v[99:100], v[103:104], 1.0
	v_fma_f64 v[103:104], v[103:104], v[105:106], v[103:104]
	v_mul_f64 v[105:106], v[107:108], v[103:104]
	v_fma_f64 v[99:100], -v[99:100], v[105:106], v[107:108]
	v_div_fmas_f64 v[99:100], v[99:100], v[103:104], v[105:106]
	v_div_fixup_f64 v[103:104], v[99:100], v[97:98], 1.0
                                        ; implicit-def: $vgpr97_vgpr98
	v_mul_f64 v[101:102], v[101:102], v[103:104]
	v_xor_b32_e32 v104, 0x80000000, v104
.LBB73_257:
	s_andn2_saveexec_b64 s[2:3], s[2:3]
	s_cbranch_execz .LBB73_259
; %bb.258:
	v_div_scale_f64 v[101:102], s[6:7], v[97:98], v[97:98], v[99:100]
	v_rcp_f64_e32 v[103:104], v[101:102]
	v_fma_f64 v[105:106], -v[101:102], v[103:104], 1.0
	v_fma_f64 v[103:104], v[103:104], v[105:106], v[103:104]
	v_div_scale_f64 v[105:106], vcc, v[99:100], v[97:98], v[99:100]
	v_fma_f64 v[107:108], -v[101:102], v[103:104], 1.0
	v_fma_f64 v[103:104], v[103:104], v[107:108], v[103:104]
	v_mul_f64 v[107:108], v[105:106], v[103:104]
	v_fma_f64 v[101:102], -v[101:102], v[107:108], v[105:106]
	v_div_fmas_f64 v[101:102], v[101:102], v[103:104], v[107:108]
	v_div_fixup_f64 v[103:104], v[101:102], v[97:98], v[99:100]
	v_fma_f64 v[97:98], v[99:100], v[103:104], v[97:98]
	v_div_scale_f64 v[99:100], s[6:7], v[97:98], v[97:98], 1.0
	v_div_scale_f64 v[107:108], vcc, 1.0, v[97:98], 1.0
	v_rcp_f64_e32 v[101:102], v[99:100]
	v_fma_f64 v[105:106], -v[99:100], v[101:102], 1.0
	v_fma_f64 v[101:102], v[101:102], v[105:106], v[101:102]
	v_fma_f64 v[105:106], -v[99:100], v[101:102], 1.0
	v_fma_f64 v[101:102], v[101:102], v[105:106], v[101:102]
	v_mul_f64 v[105:106], v[107:108], v[101:102]
	v_fma_f64 v[99:100], -v[99:100], v[105:106], v[107:108]
	v_div_fmas_f64 v[99:100], v[99:100], v[101:102], v[105:106]
	v_div_fixup_f64 v[101:102], v[99:100], v[97:98], 1.0
	v_mul_f64 v[103:104], v[103:104], -v[101:102]
.LBB73_259:
	s_or_b64 exec, exec, s[2:3]
	ds_write2_b64 v127, v[101:102], v[103:104] offset1:1
.LBB73_260:
	s_or_b64 exec, exec, s[4:5]
	s_waitcnt lgkmcnt(0)
	s_barrier
	ds_read2_b64 v[73:76], v127 offset1:1
	v_cmp_lt_u32_e32 vcc, 28, v0
	s_waitcnt lgkmcnt(0)
	buffer_store_dword v73, off, s[20:23], 0 offset:920 ; 4-byte Folded Spill
	s_nop 0
	buffer_store_dword v74, off, s[20:23], 0 offset:924 ; 4-byte Folded Spill
	buffer_store_dword v75, off, s[20:23], 0 offset:928 ; 4-byte Folded Spill
	;; [unrolled: 1-line block ×3, first 2 shown]
	s_and_saveexec_b64 s[2:3], vcc
	s_cbranch_execz .LBB73_262
; %bb.261:
	buffer_load_dword v73, off, s[20:23], 0 offset:920 ; 4-byte Folded Reload
	buffer_load_dword v74, off, s[20:23], 0 offset:924 ; 4-byte Folded Reload
	;; [unrolled: 1-line block ×4, first 2 shown]
	ds_read2_b64 v[99:102], v125 offset0:58 offset1:59
	s_waitcnt vmcnt(2)
	v_mul_f64 v[97:98], v[73:74], v[31:32]
	s_waitcnt vmcnt(0)
	v_mul_f64 v[31:32], v[75:76], v[31:32]
	v_fma_f64 v[97:98], v[75:76], v[29:30], v[97:98]
	v_fma_f64 v[29:30], v[73:74], v[29:30], -v[31:32]
	s_waitcnt lgkmcnt(0)
	v_mul_f64 v[31:32], v[101:102], v[97:98]
	v_fma_f64 v[31:32], v[99:100], v[29:30], -v[31:32]
	v_mul_f64 v[99:100], v[99:100], v[97:98]
	v_add_f64 v[25:26], v[25:26], -v[31:32]
	v_fma_f64 v[99:100], v[101:102], v[29:30], v[99:100]
	v_add_f64 v[27:28], v[27:28], -v[99:100]
	ds_read2_b64 v[99:102], v125 offset0:60 offset1:61
	s_waitcnt lgkmcnt(0)
	v_mul_f64 v[31:32], v[101:102], v[97:98]
	v_fma_f64 v[31:32], v[99:100], v[29:30], -v[31:32]
	v_mul_f64 v[99:100], v[99:100], v[97:98]
	v_add_f64 v[21:22], v[21:22], -v[31:32]
	v_fma_f64 v[99:100], v[101:102], v[29:30], v[99:100]
	v_add_f64 v[23:24], v[23:24], -v[99:100]
	ds_read2_b64 v[99:102], v125 offset0:62 offset1:63
	;; [unrolled: 8-line block ×7, first 2 shown]
	s_waitcnt lgkmcnt(0)
	v_mul_f64 v[31:32], v[101:102], v[97:98]
	v_fma_f64 v[31:32], v[99:100], v[29:30], -v[31:32]
	v_mul_f64 v[99:100], v[99:100], v[97:98]
	v_add_f64 v[77:78], v[77:78], -v[31:32]
	v_fma_f64 v[99:100], v[101:102], v[29:30], v[99:100]
	v_mov_b32_e32 v31, v97
	v_mov_b32_e32 v32, v98
	v_add_f64 v[79:80], v[79:80], -v[99:100]
.LBB73_262:
	s_or_b64 exec, exec, s[2:3]
	v_cmp_eq_u32_e32 vcc, 29, v0
	s_waitcnt vmcnt(0)
	s_barrier
	s_and_saveexec_b64 s[4:5], vcc
	s_cbranch_execz .LBB73_269
; %bb.263:
	ds_write2_b64 v127, v[25:26], v[27:28] offset1:1
	ds_write2_b64 v125, v[21:22], v[23:24] offset0:60 offset1:61
	ds_write2_b64 v125, v[17:18], v[19:20] offset0:62 offset1:63
	;; [unrolled: 1-line block ×7, first 2 shown]
	ds_read2_b64 v[97:100], v127 offset1:1
	s_waitcnt lgkmcnt(0)
	v_cmp_neq_f64_e32 vcc, 0, v[97:98]
	v_cmp_neq_f64_e64 s[2:3], 0, v[99:100]
	s_or_b64 s[2:3], vcc, s[2:3]
	s_and_b64 exec, exec, s[2:3]
	s_cbranch_execz .LBB73_269
; %bb.264:
	v_cmp_ngt_f64_e64 s[2:3], |v[97:98]|, |v[99:100]|
                                        ; implicit-def: $vgpr101_vgpr102
	s_and_saveexec_b64 s[6:7], s[2:3]
	s_xor_b64 s[2:3], exec, s[6:7]
                                        ; implicit-def: $vgpr103_vgpr104
	s_cbranch_execz .LBB73_266
; %bb.265:
	v_div_scale_f64 v[101:102], s[6:7], v[99:100], v[99:100], v[97:98]
	v_rcp_f64_e32 v[103:104], v[101:102]
	v_fma_f64 v[105:106], -v[101:102], v[103:104], 1.0
	v_fma_f64 v[103:104], v[103:104], v[105:106], v[103:104]
	v_div_scale_f64 v[105:106], vcc, v[97:98], v[99:100], v[97:98]
	v_fma_f64 v[107:108], -v[101:102], v[103:104], 1.0
	v_fma_f64 v[103:104], v[103:104], v[107:108], v[103:104]
	v_mul_f64 v[107:108], v[105:106], v[103:104]
	v_fma_f64 v[101:102], -v[101:102], v[107:108], v[105:106]
	v_div_fmas_f64 v[101:102], v[101:102], v[103:104], v[107:108]
	v_div_fixup_f64 v[101:102], v[101:102], v[99:100], v[97:98]
	v_fma_f64 v[97:98], v[97:98], v[101:102], v[99:100]
	v_div_scale_f64 v[99:100], s[6:7], v[97:98], v[97:98], 1.0
	v_div_scale_f64 v[107:108], vcc, 1.0, v[97:98], 1.0
	v_rcp_f64_e32 v[103:104], v[99:100]
	v_fma_f64 v[105:106], -v[99:100], v[103:104], 1.0
	v_fma_f64 v[103:104], v[103:104], v[105:106], v[103:104]
	v_fma_f64 v[105:106], -v[99:100], v[103:104], 1.0
	v_fma_f64 v[103:104], v[103:104], v[105:106], v[103:104]
	v_mul_f64 v[105:106], v[107:108], v[103:104]
	v_fma_f64 v[99:100], -v[99:100], v[105:106], v[107:108]
	v_div_fmas_f64 v[99:100], v[99:100], v[103:104], v[105:106]
	v_div_fixup_f64 v[103:104], v[99:100], v[97:98], 1.0
                                        ; implicit-def: $vgpr97_vgpr98
	v_mul_f64 v[101:102], v[101:102], v[103:104]
	v_xor_b32_e32 v104, 0x80000000, v104
.LBB73_266:
	s_andn2_saveexec_b64 s[2:3], s[2:3]
	s_cbranch_execz .LBB73_268
; %bb.267:
	v_div_scale_f64 v[101:102], s[6:7], v[97:98], v[97:98], v[99:100]
	v_rcp_f64_e32 v[103:104], v[101:102]
	v_fma_f64 v[105:106], -v[101:102], v[103:104], 1.0
	v_fma_f64 v[103:104], v[103:104], v[105:106], v[103:104]
	v_div_scale_f64 v[105:106], vcc, v[99:100], v[97:98], v[99:100]
	v_fma_f64 v[107:108], -v[101:102], v[103:104], 1.0
	v_fma_f64 v[103:104], v[103:104], v[107:108], v[103:104]
	v_mul_f64 v[107:108], v[105:106], v[103:104]
	v_fma_f64 v[101:102], -v[101:102], v[107:108], v[105:106]
	v_div_fmas_f64 v[101:102], v[101:102], v[103:104], v[107:108]
	v_div_fixup_f64 v[103:104], v[101:102], v[97:98], v[99:100]
	v_fma_f64 v[97:98], v[99:100], v[103:104], v[97:98]
	v_div_scale_f64 v[99:100], s[6:7], v[97:98], v[97:98], 1.0
	v_div_scale_f64 v[107:108], vcc, 1.0, v[97:98], 1.0
	v_rcp_f64_e32 v[101:102], v[99:100]
	v_fma_f64 v[105:106], -v[99:100], v[101:102], 1.0
	v_fma_f64 v[101:102], v[101:102], v[105:106], v[101:102]
	v_fma_f64 v[105:106], -v[99:100], v[101:102], 1.0
	v_fma_f64 v[101:102], v[101:102], v[105:106], v[101:102]
	v_mul_f64 v[105:106], v[107:108], v[101:102]
	v_fma_f64 v[99:100], -v[99:100], v[105:106], v[107:108]
	v_div_fmas_f64 v[99:100], v[99:100], v[101:102], v[105:106]
	v_div_fixup_f64 v[101:102], v[99:100], v[97:98], 1.0
	v_mul_f64 v[103:104], v[103:104], -v[101:102]
.LBB73_268:
	s_or_b64 exec, exec, s[2:3]
	ds_write2_b64 v127, v[101:102], v[103:104] offset1:1
.LBB73_269:
	s_or_b64 exec, exec, s[4:5]
	s_waitcnt lgkmcnt(0)
	s_barrier
	ds_read2_b64 v[73:76], v127 offset1:1
	v_cmp_lt_u32_e32 vcc, 29, v0
	s_waitcnt lgkmcnt(0)
	buffer_store_dword v73, off, s[20:23], 0 offset:936 ; 4-byte Folded Spill
	s_nop 0
	buffer_store_dword v74, off, s[20:23], 0 offset:940 ; 4-byte Folded Spill
	buffer_store_dword v75, off, s[20:23], 0 offset:944 ; 4-byte Folded Spill
	;; [unrolled: 1-line block ×3, first 2 shown]
	s_and_saveexec_b64 s[2:3], vcc
	s_cbranch_execz .LBB73_271
; %bb.270:
	buffer_load_dword v73, off, s[20:23], 0 offset:936 ; 4-byte Folded Reload
	buffer_load_dword v74, off, s[20:23], 0 offset:940 ; 4-byte Folded Reload
	;; [unrolled: 1-line block ×4, first 2 shown]
	ds_read2_b64 v[99:102], v125 offset0:60 offset1:61
	s_waitcnt vmcnt(2)
	v_mul_f64 v[97:98], v[73:74], v[27:28]
	s_waitcnt vmcnt(0)
	v_mul_f64 v[27:28], v[75:76], v[27:28]
	v_fma_f64 v[97:98], v[75:76], v[25:26], v[97:98]
	v_fma_f64 v[25:26], v[73:74], v[25:26], -v[27:28]
	s_waitcnt lgkmcnt(0)
	v_mul_f64 v[27:28], v[101:102], v[97:98]
	v_fma_f64 v[27:28], v[99:100], v[25:26], -v[27:28]
	v_mul_f64 v[99:100], v[99:100], v[97:98]
	v_add_f64 v[21:22], v[21:22], -v[27:28]
	v_fma_f64 v[99:100], v[101:102], v[25:26], v[99:100]
	v_add_f64 v[23:24], v[23:24], -v[99:100]
	ds_read2_b64 v[99:102], v125 offset0:62 offset1:63
	s_waitcnt lgkmcnt(0)
	v_mul_f64 v[27:28], v[101:102], v[97:98]
	v_fma_f64 v[27:28], v[99:100], v[25:26], -v[27:28]
	v_mul_f64 v[99:100], v[99:100], v[97:98]
	v_add_f64 v[17:18], v[17:18], -v[27:28]
	v_fma_f64 v[99:100], v[101:102], v[25:26], v[99:100]
	v_add_f64 v[19:20], v[19:20], -v[99:100]
	ds_read2_b64 v[99:102], v125 offset0:64 offset1:65
	;; [unrolled: 8-line block ×6, first 2 shown]
	s_waitcnt lgkmcnt(0)
	v_mul_f64 v[27:28], v[101:102], v[97:98]
	v_fma_f64 v[27:28], v[99:100], v[25:26], -v[27:28]
	v_mul_f64 v[99:100], v[99:100], v[97:98]
	v_add_f64 v[77:78], v[77:78], -v[27:28]
	v_fma_f64 v[99:100], v[101:102], v[25:26], v[99:100]
	v_mov_b32_e32 v27, v97
	v_mov_b32_e32 v28, v98
	v_add_f64 v[79:80], v[79:80], -v[99:100]
.LBB73_271:
	s_or_b64 exec, exec, s[2:3]
	v_cmp_eq_u32_e32 vcc, 30, v0
	s_waitcnt vmcnt(0)
	s_barrier
	s_and_saveexec_b64 s[4:5], vcc
	s_cbranch_execz .LBB73_278
; %bb.272:
	ds_write2_b64 v127, v[21:22], v[23:24] offset1:1
	ds_write2_b64 v125, v[17:18], v[19:20] offset0:62 offset1:63
	ds_write2_b64 v125, v[13:14], v[15:16] offset0:64 offset1:65
	ds_write2_b64 v125, v[9:10], v[11:12] offset0:66 offset1:67
	ds_write2_b64 v125, v[5:6], v[7:8] offset0:68 offset1:69
	ds_write2_b64 v125, v[1:2], v[3:4] offset0:70 offset1:71
	ds_write2_b64 v125, v[77:78], v[79:80] offset0:72 offset1:73
	ds_read2_b64 v[97:100], v127 offset1:1
	s_waitcnt lgkmcnt(0)
	v_cmp_neq_f64_e32 vcc, 0, v[97:98]
	v_cmp_neq_f64_e64 s[2:3], 0, v[99:100]
	s_or_b64 s[2:3], vcc, s[2:3]
	s_and_b64 exec, exec, s[2:3]
	s_cbranch_execz .LBB73_278
; %bb.273:
	v_cmp_ngt_f64_e64 s[2:3], |v[97:98]|, |v[99:100]|
                                        ; implicit-def: $vgpr101_vgpr102
	s_and_saveexec_b64 s[6:7], s[2:3]
	s_xor_b64 s[2:3], exec, s[6:7]
                                        ; implicit-def: $vgpr103_vgpr104
	s_cbranch_execz .LBB73_275
; %bb.274:
	v_div_scale_f64 v[101:102], s[6:7], v[99:100], v[99:100], v[97:98]
	v_rcp_f64_e32 v[103:104], v[101:102]
	v_fma_f64 v[105:106], -v[101:102], v[103:104], 1.0
	v_fma_f64 v[103:104], v[103:104], v[105:106], v[103:104]
	v_div_scale_f64 v[105:106], vcc, v[97:98], v[99:100], v[97:98]
	v_fma_f64 v[107:108], -v[101:102], v[103:104], 1.0
	v_fma_f64 v[103:104], v[103:104], v[107:108], v[103:104]
	v_mul_f64 v[107:108], v[105:106], v[103:104]
	v_fma_f64 v[101:102], -v[101:102], v[107:108], v[105:106]
	v_div_fmas_f64 v[101:102], v[101:102], v[103:104], v[107:108]
	v_div_fixup_f64 v[101:102], v[101:102], v[99:100], v[97:98]
	v_fma_f64 v[97:98], v[97:98], v[101:102], v[99:100]
	v_div_scale_f64 v[99:100], s[6:7], v[97:98], v[97:98], 1.0
	v_div_scale_f64 v[107:108], vcc, 1.0, v[97:98], 1.0
	v_rcp_f64_e32 v[103:104], v[99:100]
	v_fma_f64 v[105:106], -v[99:100], v[103:104], 1.0
	v_fma_f64 v[103:104], v[103:104], v[105:106], v[103:104]
	v_fma_f64 v[105:106], -v[99:100], v[103:104], 1.0
	v_fma_f64 v[103:104], v[103:104], v[105:106], v[103:104]
	v_mul_f64 v[105:106], v[107:108], v[103:104]
	v_fma_f64 v[99:100], -v[99:100], v[105:106], v[107:108]
	v_div_fmas_f64 v[99:100], v[99:100], v[103:104], v[105:106]
	v_div_fixup_f64 v[103:104], v[99:100], v[97:98], 1.0
                                        ; implicit-def: $vgpr97_vgpr98
	v_mul_f64 v[101:102], v[101:102], v[103:104]
	v_xor_b32_e32 v104, 0x80000000, v104
.LBB73_275:
	s_andn2_saveexec_b64 s[2:3], s[2:3]
	s_cbranch_execz .LBB73_277
; %bb.276:
	v_div_scale_f64 v[101:102], s[6:7], v[97:98], v[97:98], v[99:100]
	v_rcp_f64_e32 v[103:104], v[101:102]
	v_fma_f64 v[105:106], -v[101:102], v[103:104], 1.0
	v_fma_f64 v[103:104], v[103:104], v[105:106], v[103:104]
	v_div_scale_f64 v[105:106], vcc, v[99:100], v[97:98], v[99:100]
	v_fma_f64 v[107:108], -v[101:102], v[103:104], 1.0
	v_fma_f64 v[103:104], v[103:104], v[107:108], v[103:104]
	v_mul_f64 v[107:108], v[105:106], v[103:104]
	v_fma_f64 v[101:102], -v[101:102], v[107:108], v[105:106]
	v_div_fmas_f64 v[101:102], v[101:102], v[103:104], v[107:108]
	v_div_fixup_f64 v[103:104], v[101:102], v[97:98], v[99:100]
	v_fma_f64 v[97:98], v[99:100], v[103:104], v[97:98]
	v_div_scale_f64 v[99:100], s[6:7], v[97:98], v[97:98], 1.0
	v_div_scale_f64 v[107:108], vcc, 1.0, v[97:98], 1.0
	v_rcp_f64_e32 v[101:102], v[99:100]
	v_fma_f64 v[105:106], -v[99:100], v[101:102], 1.0
	v_fma_f64 v[101:102], v[101:102], v[105:106], v[101:102]
	v_fma_f64 v[105:106], -v[99:100], v[101:102], 1.0
	v_fma_f64 v[101:102], v[101:102], v[105:106], v[101:102]
	v_mul_f64 v[105:106], v[107:108], v[101:102]
	v_fma_f64 v[99:100], -v[99:100], v[105:106], v[107:108]
	v_div_fmas_f64 v[99:100], v[99:100], v[101:102], v[105:106]
	v_div_fixup_f64 v[101:102], v[99:100], v[97:98], 1.0
	v_mul_f64 v[103:104], v[103:104], -v[101:102]
.LBB73_277:
	s_or_b64 exec, exec, s[2:3]
	ds_write2_b64 v127, v[101:102], v[103:104] offset1:1
.LBB73_278:
	s_or_b64 exec, exec, s[4:5]
	s_waitcnt lgkmcnt(0)
	s_barrier
	ds_read2_b64 v[73:76], v127 offset1:1
	v_cmp_lt_u32_e32 vcc, 30, v0
	s_waitcnt lgkmcnt(0)
	buffer_store_dword v73, off, s[20:23], 0 offset:952 ; 4-byte Folded Spill
	s_nop 0
	buffer_store_dword v74, off, s[20:23], 0 offset:956 ; 4-byte Folded Spill
	buffer_store_dword v75, off, s[20:23], 0 offset:960 ; 4-byte Folded Spill
	;; [unrolled: 1-line block ×3, first 2 shown]
	s_and_saveexec_b64 s[2:3], vcc
	s_cbranch_execz .LBB73_280
; %bb.279:
	buffer_load_dword v73, off, s[20:23], 0 offset:952 ; 4-byte Folded Reload
	buffer_load_dword v74, off, s[20:23], 0 offset:956 ; 4-byte Folded Reload
	;; [unrolled: 1-line block ×4, first 2 shown]
	ds_read2_b64 v[99:102], v125 offset0:62 offset1:63
	s_waitcnt vmcnt(2)
	v_mul_f64 v[97:98], v[73:74], v[23:24]
	s_waitcnt vmcnt(0)
	v_mul_f64 v[23:24], v[75:76], v[23:24]
	v_fma_f64 v[97:98], v[75:76], v[21:22], v[97:98]
	v_fma_f64 v[21:22], v[73:74], v[21:22], -v[23:24]
	s_waitcnt lgkmcnt(0)
	v_mul_f64 v[23:24], v[101:102], v[97:98]
	v_fma_f64 v[23:24], v[99:100], v[21:22], -v[23:24]
	v_mul_f64 v[99:100], v[99:100], v[97:98]
	v_add_f64 v[17:18], v[17:18], -v[23:24]
	v_fma_f64 v[99:100], v[101:102], v[21:22], v[99:100]
	v_add_f64 v[19:20], v[19:20], -v[99:100]
	ds_read2_b64 v[99:102], v125 offset0:64 offset1:65
	s_waitcnt lgkmcnt(0)
	v_mul_f64 v[23:24], v[101:102], v[97:98]
	v_fma_f64 v[23:24], v[99:100], v[21:22], -v[23:24]
	v_mul_f64 v[99:100], v[99:100], v[97:98]
	v_add_f64 v[13:14], v[13:14], -v[23:24]
	v_fma_f64 v[99:100], v[101:102], v[21:22], v[99:100]
	v_add_f64 v[15:16], v[15:16], -v[99:100]
	ds_read2_b64 v[99:102], v125 offset0:66 offset1:67
	;; [unrolled: 8-line block ×5, first 2 shown]
	s_waitcnt lgkmcnt(0)
	v_mul_f64 v[23:24], v[101:102], v[97:98]
	v_fma_f64 v[23:24], v[99:100], v[21:22], -v[23:24]
	v_mul_f64 v[99:100], v[99:100], v[97:98]
	v_add_f64 v[77:78], v[77:78], -v[23:24]
	v_fma_f64 v[99:100], v[101:102], v[21:22], v[99:100]
	v_mov_b32_e32 v23, v97
	v_mov_b32_e32 v24, v98
	v_add_f64 v[79:80], v[79:80], -v[99:100]
.LBB73_280:
	s_or_b64 exec, exec, s[2:3]
	v_cmp_eq_u32_e32 vcc, 31, v0
	s_waitcnt vmcnt(0)
	s_barrier
	s_and_saveexec_b64 s[4:5], vcc
	s_cbranch_execz .LBB73_287
; %bb.281:
	ds_write2_b64 v127, v[17:18], v[19:20] offset1:1
	ds_write2_b64 v125, v[13:14], v[15:16] offset0:64 offset1:65
	ds_write2_b64 v125, v[9:10], v[11:12] offset0:66 offset1:67
	;; [unrolled: 1-line block ×5, first 2 shown]
	ds_read2_b64 v[97:100], v127 offset1:1
	s_waitcnt lgkmcnt(0)
	v_cmp_neq_f64_e32 vcc, 0, v[97:98]
	v_cmp_neq_f64_e64 s[2:3], 0, v[99:100]
	s_or_b64 s[2:3], vcc, s[2:3]
	s_and_b64 exec, exec, s[2:3]
	s_cbranch_execz .LBB73_287
; %bb.282:
	v_cmp_ngt_f64_e64 s[2:3], |v[97:98]|, |v[99:100]|
                                        ; implicit-def: $vgpr101_vgpr102
	s_and_saveexec_b64 s[6:7], s[2:3]
	s_xor_b64 s[2:3], exec, s[6:7]
                                        ; implicit-def: $vgpr103_vgpr104
	s_cbranch_execz .LBB73_284
; %bb.283:
	v_div_scale_f64 v[101:102], s[6:7], v[99:100], v[99:100], v[97:98]
	v_rcp_f64_e32 v[103:104], v[101:102]
	v_fma_f64 v[105:106], -v[101:102], v[103:104], 1.0
	v_fma_f64 v[103:104], v[103:104], v[105:106], v[103:104]
	v_div_scale_f64 v[105:106], vcc, v[97:98], v[99:100], v[97:98]
	v_fma_f64 v[107:108], -v[101:102], v[103:104], 1.0
	v_fma_f64 v[103:104], v[103:104], v[107:108], v[103:104]
	v_mul_f64 v[107:108], v[105:106], v[103:104]
	v_fma_f64 v[101:102], -v[101:102], v[107:108], v[105:106]
	v_div_fmas_f64 v[101:102], v[101:102], v[103:104], v[107:108]
	v_div_fixup_f64 v[101:102], v[101:102], v[99:100], v[97:98]
	v_fma_f64 v[97:98], v[97:98], v[101:102], v[99:100]
	v_div_scale_f64 v[99:100], s[6:7], v[97:98], v[97:98], 1.0
	v_div_scale_f64 v[107:108], vcc, 1.0, v[97:98], 1.0
	v_rcp_f64_e32 v[103:104], v[99:100]
	v_fma_f64 v[105:106], -v[99:100], v[103:104], 1.0
	v_fma_f64 v[103:104], v[103:104], v[105:106], v[103:104]
	v_fma_f64 v[105:106], -v[99:100], v[103:104], 1.0
	v_fma_f64 v[103:104], v[103:104], v[105:106], v[103:104]
	v_mul_f64 v[105:106], v[107:108], v[103:104]
	v_fma_f64 v[99:100], -v[99:100], v[105:106], v[107:108]
	v_div_fmas_f64 v[99:100], v[99:100], v[103:104], v[105:106]
	v_div_fixup_f64 v[103:104], v[99:100], v[97:98], 1.0
                                        ; implicit-def: $vgpr97_vgpr98
	v_mul_f64 v[101:102], v[101:102], v[103:104]
	v_xor_b32_e32 v104, 0x80000000, v104
.LBB73_284:
	s_andn2_saveexec_b64 s[2:3], s[2:3]
	s_cbranch_execz .LBB73_286
; %bb.285:
	v_div_scale_f64 v[101:102], s[6:7], v[97:98], v[97:98], v[99:100]
	v_rcp_f64_e32 v[103:104], v[101:102]
	v_fma_f64 v[105:106], -v[101:102], v[103:104], 1.0
	v_fma_f64 v[103:104], v[103:104], v[105:106], v[103:104]
	v_div_scale_f64 v[105:106], vcc, v[99:100], v[97:98], v[99:100]
	v_fma_f64 v[107:108], -v[101:102], v[103:104], 1.0
	v_fma_f64 v[103:104], v[103:104], v[107:108], v[103:104]
	v_mul_f64 v[107:108], v[105:106], v[103:104]
	v_fma_f64 v[101:102], -v[101:102], v[107:108], v[105:106]
	v_div_fmas_f64 v[101:102], v[101:102], v[103:104], v[107:108]
	v_div_fixup_f64 v[103:104], v[101:102], v[97:98], v[99:100]
	v_fma_f64 v[97:98], v[99:100], v[103:104], v[97:98]
	v_div_scale_f64 v[99:100], s[6:7], v[97:98], v[97:98], 1.0
	v_div_scale_f64 v[107:108], vcc, 1.0, v[97:98], 1.0
	v_rcp_f64_e32 v[101:102], v[99:100]
	v_fma_f64 v[105:106], -v[99:100], v[101:102], 1.0
	v_fma_f64 v[101:102], v[101:102], v[105:106], v[101:102]
	v_fma_f64 v[105:106], -v[99:100], v[101:102], 1.0
	v_fma_f64 v[101:102], v[101:102], v[105:106], v[101:102]
	v_mul_f64 v[105:106], v[107:108], v[101:102]
	v_fma_f64 v[99:100], -v[99:100], v[105:106], v[107:108]
	v_div_fmas_f64 v[99:100], v[99:100], v[101:102], v[105:106]
	v_div_fixup_f64 v[101:102], v[99:100], v[97:98], 1.0
	v_mul_f64 v[103:104], v[103:104], -v[101:102]
.LBB73_286:
	s_or_b64 exec, exec, s[2:3]
	ds_write2_b64 v127, v[101:102], v[103:104] offset1:1
.LBB73_287:
	s_or_b64 exec, exec, s[4:5]
	s_waitcnt lgkmcnt(0)
	s_barrier
	ds_read2_b64 v[73:76], v127 offset1:1
	v_cmp_lt_u32_e32 vcc, 31, v0
	s_waitcnt lgkmcnt(0)
	buffer_store_dword v73, off, s[20:23], 0 offset:968 ; 4-byte Folded Spill
	s_nop 0
	buffer_store_dword v74, off, s[20:23], 0 offset:972 ; 4-byte Folded Spill
	buffer_store_dword v75, off, s[20:23], 0 offset:976 ; 4-byte Folded Spill
	;; [unrolled: 1-line block ×3, first 2 shown]
	s_and_saveexec_b64 s[2:3], vcc
	s_cbranch_execz .LBB73_289
; %bb.288:
	buffer_load_dword v73, off, s[20:23], 0 offset:968 ; 4-byte Folded Reload
	buffer_load_dword v74, off, s[20:23], 0 offset:972 ; 4-byte Folded Reload
	;; [unrolled: 1-line block ×4, first 2 shown]
	s_waitcnt vmcnt(2)
	v_mul_f64 v[97:98], v[73:74], v[19:20]
	s_waitcnt vmcnt(0)
	v_mul_f64 v[19:20], v[75:76], v[19:20]
	v_fma_f64 v[101:102], v[75:76], v[17:18], v[97:98]
	ds_read2_b64 v[97:100], v125 offset0:64 offset1:65
	v_fma_f64 v[17:18], v[73:74], v[17:18], -v[19:20]
	s_waitcnt lgkmcnt(0)
	v_mul_f64 v[19:20], v[99:100], v[101:102]
	v_fma_f64 v[19:20], v[97:98], v[17:18], -v[19:20]
	v_mul_f64 v[97:98], v[97:98], v[101:102]
	v_add_f64 v[13:14], v[13:14], -v[19:20]
	v_fma_f64 v[97:98], v[99:100], v[17:18], v[97:98]
	v_add_f64 v[15:16], v[15:16], -v[97:98]
	ds_read2_b64 v[97:100], v125 offset0:66 offset1:67
	s_waitcnt lgkmcnt(0)
	v_mul_f64 v[19:20], v[99:100], v[101:102]
	v_fma_f64 v[19:20], v[97:98], v[17:18], -v[19:20]
	v_mul_f64 v[97:98], v[97:98], v[101:102]
	v_add_f64 v[9:10], v[9:10], -v[19:20]
	v_fma_f64 v[97:98], v[99:100], v[17:18], v[97:98]
	v_add_f64 v[11:12], v[11:12], -v[97:98]
	ds_read2_b64 v[97:100], v125 offset0:68 offset1:69
	;; [unrolled: 8-line block ×4, first 2 shown]
	s_waitcnt lgkmcnt(0)
	v_mul_f64 v[19:20], v[99:100], v[101:102]
	v_fma_f64 v[19:20], v[97:98], v[17:18], -v[19:20]
	v_mul_f64 v[97:98], v[97:98], v[101:102]
	v_add_f64 v[77:78], v[77:78], -v[19:20]
	v_fma_f64 v[97:98], v[99:100], v[17:18], v[97:98]
	v_mov_b32_e32 v19, v101
	v_mov_b32_e32 v20, v102
	v_add_f64 v[79:80], v[79:80], -v[97:98]
.LBB73_289:
	s_or_b64 exec, exec, s[2:3]
	v_cmp_eq_u32_e32 vcc, 32, v0
	s_waitcnt vmcnt(0)
	s_barrier
	s_and_saveexec_b64 s[4:5], vcc
	s_cbranch_execz .LBB73_296
; %bb.290:
	ds_write2_b64 v127, v[13:14], v[15:16] offset1:1
	ds_write2_b64 v125, v[9:10], v[11:12] offset0:66 offset1:67
	ds_write2_b64 v125, v[5:6], v[7:8] offset0:68 offset1:69
	;; [unrolled: 1-line block ×4, first 2 shown]
	ds_read2_b64 v[97:100], v127 offset1:1
	s_waitcnt lgkmcnt(0)
	v_cmp_neq_f64_e32 vcc, 0, v[97:98]
	v_cmp_neq_f64_e64 s[2:3], 0, v[99:100]
	s_or_b64 s[2:3], vcc, s[2:3]
	s_and_b64 exec, exec, s[2:3]
	s_cbranch_execz .LBB73_296
; %bb.291:
	v_cmp_ngt_f64_e64 s[2:3], |v[97:98]|, |v[99:100]|
                                        ; implicit-def: $vgpr101_vgpr102
	s_and_saveexec_b64 s[6:7], s[2:3]
	s_xor_b64 s[2:3], exec, s[6:7]
                                        ; implicit-def: $vgpr103_vgpr104
	s_cbranch_execz .LBB73_293
; %bb.292:
	v_div_scale_f64 v[101:102], s[6:7], v[99:100], v[99:100], v[97:98]
	v_rcp_f64_e32 v[103:104], v[101:102]
	v_fma_f64 v[105:106], -v[101:102], v[103:104], 1.0
	v_fma_f64 v[103:104], v[103:104], v[105:106], v[103:104]
	v_div_scale_f64 v[105:106], vcc, v[97:98], v[99:100], v[97:98]
	v_fma_f64 v[107:108], -v[101:102], v[103:104], 1.0
	v_fma_f64 v[103:104], v[103:104], v[107:108], v[103:104]
	v_mul_f64 v[107:108], v[105:106], v[103:104]
	v_fma_f64 v[101:102], -v[101:102], v[107:108], v[105:106]
	v_div_fmas_f64 v[101:102], v[101:102], v[103:104], v[107:108]
	v_div_fixup_f64 v[101:102], v[101:102], v[99:100], v[97:98]
	v_fma_f64 v[97:98], v[97:98], v[101:102], v[99:100]
	v_div_scale_f64 v[99:100], s[6:7], v[97:98], v[97:98], 1.0
	v_div_scale_f64 v[107:108], vcc, 1.0, v[97:98], 1.0
	v_rcp_f64_e32 v[103:104], v[99:100]
	v_fma_f64 v[105:106], -v[99:100], v[103:104], 1.0
	v_fma_f64 v[103:104], v[103:104], v[105:106], v[103:104]
	v_fma_f64 v[105:106], -v[99:100], v[103:104], 1.0
	v_fma_f64 v[103:104], v[103:104], v[105:106], v[103:104]
	v_mul_f64 v[105:106], v[107:108], v[103:104]
	v_fma_f64 v[99:100], -v[99:100], v[105:106], v[107:108]
	v_div_fmas_f64 v[99:100], v[99:100], v[103:104], v[105:106]
	v_div_fixup_f64 v[103:104], v[99:100], v[97:98], 1.0
                                        ; implicit-def: $vgpr97_vgpr98
	v_mul_f64 v[101:102], v[101:102], v[103:104]
	v_xor_b32_e32 v104, 0x80000000, v104
.LBB73_293:
	s_andn2_saveexec_b64 s[2:3], s[2:3]
	s_cbranch_execz .LBB73_295
; %bb.294:
	v_div_scale_f64 v[101:102], s[6:7], v[97:98], v[97:98], v[99:100]
	v_rcp_f64_e32 v[103:104], v[101:102]
	v_fma_f64 v[105:106], -v[101:102], v[103:104], 1.0
	v_fma_f64 v[103:104], v[103:104], v[105:106], v[103:104]
	v_div_scale_f64 v[105:106], vcc, v[99:100], v[97:98], v[99:100]
	v_fma_f64 v[107:108], -v[101:102], v[103:104], 1.0
	v_fma_f64 v[103:104], v[103:104], v[107:108], v[103:104]
	v_mul_f64 v[107:108], v[105:106], v[103:104]
	v_fma_f64 v[101:102], -v[101:102], v[107:108], v[105:106]
	v_div_fmas_f64 v[101:102], v[101:102], v[103:104], v[107:108]
	v_div_fixup_f64 v[103:104], v[101:102], v[97:98], v[99:100]
	v_fma_f64 v[97:98], v[99:100], v[103:104], v[97:98]
	v_div_scale_f64 v[99:100], s[6:7], v[97:98], v[97:98], 1.0
	v_div_scale_f64 v[107:108], vcc, 1.0, v[97:98], 1.0
	v_rcp_f64_e32 v[101:102], v[99:100]
	v_fma_f64 v[105:106], -v[99:100], v[101:102], 1.0
	v_fma_f64 v[101:102], v[101:102], v[105:106], v[101:102]
	v_fma_f64 v[105:106], -v[99:100], v[101:102], 1.0
	v_fma_f64 v[101:102], v[101:102], v[105:106], v[101:102]
	v_mul_f64 v[105:106], v[107:108], v[101:102]
	v_fma_f64 v[99:100], -v[99:100], v[105:106], v[107:108]
	v_div_fmas_f64 v[99:100], v[99:100], v[101:102], v[105:106]
	v_div_fixup_f64 v[101:102], v[99:100], v[97:98], 1.0
	v_mul_f64 v[103:104], v[103:104], -v[101:102]
.LBB73_295:
	s_or_b64 exec, exec, s[2:3]
	ds_write2_b64 v127, v[101:102], v[103:104] offset1:1
.LBB73_296:
	s_or_b64 exec, exec, s[4:5]
	s_waitcnt lgkmcnt(0)
	s_barrier
	ds_read2_b64 v[73:76], v127 offset1:1
	v_cmp_lt_u32_e32 vcc, 32, v0
	s_waitcnt lgkmcnt(0)
	buffer_store_dword v73, off, s[20:23], 0 offset:984 ; 4-byte Folded Spill
	s_nop 0
	buffer_store_dword v74, off, s[20:23], 0 offset:988 ; 4-byte Folded Spill
	buffer_store_dword v75, off, s[20:23], 0 offset:992 ; 4-byte Folded Spill
	;; [unrolled: 1-line block ×3, first 2 shown]
	s_and_saveexec_b64 s[2:3], vcc
	s_cbranch_execz .LBB73_298
; %bb.297:
	buffer_load_dword v73, off, s[20:23], 0 offset:984 ; 4-byte Folded Reload
	buffer_load_dword v74, off, s[20:23], 0 offset:988 ; 4-byte Folded Reload
	;; [unrolled: 1-line block ×4, first 2 shown]
	s_waitcnt vmcnt(2)
	v_mul_f64 v[97:98], v[73:74], v[15:16]
	s_waitcnt vmcnt(0)
	v_mul_f64 v[15:16], v[75:76], v[15:16]
	v_fma_f64 v[101:102], v[75:76], v[13:14], v[97:98]
	ds_read2_b64 v[97:100], v125 offset0:66 offset1:67
	v_fma_f64 v[13:14], v[73:74], v[13:14], -v[15:16]
	s_waitcnt lgkmcnt(0)
	v_mul_f64 v[15:16], v[99:100], v[101:102]
	v_fma_f64 v[15:16], v[97:98], v[13:14], -v[15:16]
	v_mul_f64 v[97:98], v[97:98], v[101:102]
	v_add_f64 v[9:10], v[9:10], -v[15:16]
	v_fma_f64 v[97:98], v[99:100], v[13:14], v[97:98]
	v_add_f64 v[11:12], v[11:12], -v[97:98]
	ds_read2_b64 v[97:100], v125 offset0:68 offset1:69
	s_waitcnt lgkmcnt(0)
	v_mul_f64 v[15:16], v[99:100], v[101:102]
	v_fma_f64 v[15:16], v[97:98], v[13:14], -v[15:16]
	v_mul_f64 v[97:98], v[97:98], v[101:102]
	v_add_f64 v[5:6], v[5:6], -v[15:16]
	v_fma_f64 v[97:98], v[99:100], v[13:14], v[97:98]
	v_add_f64 v[7:8], v[7:8], -v[97:98]
	ds_read2_b64 v[97:100], v125 offset0:70 offset1:71
	;; [unrolled: 8-line block ×3, first 2 shown]
	s_waitcnt lgkmcnt(0)
	v_mul_f64 v[15:16], v[99:100], v[101:102]
	v_fma_f64 v[15:16], v[97:98], v[13:14], -v[15:16]
	v_mul_f64 v[97:98], v[97:98], v[101:102]
	v_add_f64 v[77:78], v[77:78], -v[15:16]
	v_fma_f64 v[97:98], v[99:100], v[13:14], v[97:98]
	v_mov_b32_e32 v15, v101
	v_mov_b32_e32 v16, v102
	v_add_f64 v[79:80], v[79:80], -v[97:98]
.LBB73_298:
	s_or_b64 exec, exec, s[2:3]
	v_cmp_eq_u32_e32 vcc, 33, v0
	s_waitcnt vmcnt(0)
	s_barrier
	s_and_saveexec_b64 s[4:5], vcc
	s_cbranch_execz .LBB73_305
; %bb.299:
	ds_write2_b64 v127, v[9:10], v[11:12] offset1:1
	ds_write2_b64 v125, v[5:6], v[7:8] offset0:68 offset1:69
	ds_write2_b64 v125, v[1:2], v[3:4] offset0:70 offset1:71
	;; [unrolled: 1-line block ×3, first 2 shown]
	ds_read2_b64 v[97:100], v127 offset1:1
	s_waitcnt lgkmcnt(0)
	v_cmp_neq_f64_e32 vcc, 0, v[97:98]
	v_cmp_neq_f64_e64 s[2:3], 0, v[99:100]
	s_or_b64 s[2:3], vcc, s[2:3]
	s_and_b64 exec, exec, s[2:3]
	s_cbranch_execz .LBB73_305
; %bb.300:
	v_cmp_ngt_f64_e64 s[2:3], |v[97:98]|, |v[99:100]|
                                        ; implicit-def: $vgpr101_vgpr102
	s_and_saveexec_b64 s[6:7], s[2:3]
	s_xor_b64 s[2:3], exec, s[6:7]
                                        ; implicit-def: $vgpr103_vgpr104
	s_cbranch_execz .LBB73_302
; %bb.301:
	v_div_scale_f64 v[101:102], s[6:7], v[99:100], v[99:100], v[97:98]
	v_rcp_f64_e32 v[103:104], v[101:102]
	v_fma_f64 v[105:106], -v[101:102], v[103:104], 1.0
	v_fma_f64 v[103:104], v[103:104], v[105:106], v[103:104]
	v_div_scale_f64 v[105:106], vcc, v[97:98], v[99:100], v[97:98]
	v_fma_f64 v[107:108], -v[101:102], v[103:104], 1.0
	v_fma_f64 v[103:104], v[103:104], v[107:108], v[103:104]
	v_mul_f64 v[107:108], v[105:106], v[103:104]
	v_fma_f64 v[101:102], -v[101:102], v[107:108], v[105:106]
	v_div_fmas_f64 v[101:102], v[101:102], v[103:104], v[107:108]
	v_div_fixup_f64 v[101:102], v[101:102], v[99:100], v[97:98]
	v_fma_f64 v[97:98], v[97:98], v[101:102], v[99:100]
	v_div_scale_f64 v[99:100], s[6:7], v[97:98], v[97:98], 1.0
	v_div_scale_f64 v[107:108], vcc, 1.0, v[97:98], 1.0
	v_rcp_f64_e32 v[103:104], v[99:100]
	v_fma_f64 v[105:106], -v[99:100], v[103:104], 1.0
	v_fma_f64 v[103:104], v[103:104], v[105:106], v[103:104]
	v_fma_f64 v[105:106], -v[99:100], v[103:104], 1.0
	v_fma_f64 v[103:104], v[103:104], v[105:106], v[103:104]
	v_mul_f64 v[105:106], v[107:108], v[103:104]
	v_fma_f64 v[99:100], -v[99:100], v[105:106], v[107:108]
	v_div_fmas_f64 v[99:100], v[99:100], v[103:104], v[105:106]
	v_div_fixup_f64 v[103:104], v[99:100], v[97:98], 1.0
                                        ; implicit-def: $vgpr97_vgpr98
	v_mul_f64 v[101:102], v[101:102], v[103:104]
	v_xor_b32_e32 v104, 0x80000000, v104
.LBB73_302:
	s_andn2_saveexec_b64 s[2:3], s[2:3]
	s_cbranch_execz .LBB73_304
; %bb.303:
	v_div_scale_f64 v[101:102], s[6:7], v[97:98], v[97:98], v[99:100]
	v_rcp_f64_e32 v[103:104], v[101:102]
	v_fma_f64 v[105:106], -v[101:102], v[103:104], 1.0
	v_fma_f64 v[103:104], v[103:104], v[105:106], v[103:104]
	v_div_scale_f64 v[105:106], vcc, v[99:100], v[97:98], v[99:100]
	v_fma_f64 v[107:108], -v[101:102], v[103:104], 1.0
	v_fma_f64 v[103:104], v[103:104], v[107:108], v[103:104]
	v_mul_f64 v[107:108], v[105:106], v[103:104]
	v_fma_f64 v[101:102], -v[101:102], v[107:108], v[105:106]
	v_div_fmas_f64 v[101:102], v[101:102], v[103:104], v[107:108]
	v_div_fixup_f64 v[103:104], v[101:102], v[97:98], v[99:100]
	v_fma_f64 v[97:98], v[99:100], v[103:104], v[97:98]
	v_div_scale_f64 v[99:100], s[6:7], v[97:98], v[97:98], 1.0
	v_div_scale_f64 v[107:108], vcc, 1.0, v[97:98], 1.0
	v_rcp_f64_e32 v[101:102], v[99:100]
	v_fma_f64 v[105:106], -v[99:100], v[101:102], 1.0
	v_fma_f64 v[101:102], v[101:102], v[105:106], v[101:102]
	v_fma_f64 v[105:106], -v[99:100], v[101:102], 1.0
	v_fma_f64 v[101:102], v[101:102], v[105:106], v[101:102]
	v_mul_f64 v[105:106], v[107:108], v[101:102]
	v_fma_f64 v[99:100], -v[99:100], v[105:106], v[107:108]
	v_div_fmas_f64 v[99:100], v[99:100], v[101:102], v[105:106]
	v_div_fixup_f64 v[101:102], v[99:100], v[97:98], 1.0
	v_mul_f64 v[103:104], v[103:104], -v[101:102]
.LBB73_304:
	s_or_b64 exec, exec, s[2:3]
	ds_write2_b64 v127, v[101:102], v[103:104] offset1:1
.LBB73_305:
	s_or_b64 exec, exec, s[4:5]
	s_waitcnt lgkmcnt(0)
	s_barrier
	ds_read2_b64 v[73:76], v127 offset1:1
	v_cmp_lt_u32_e32 vcc, 33, v0
	s_waitcnt lgkmcnt(0)
	buffer_store_dword v73, off, s[20:23], 0 offset:1000 ; 4-byte Folded Spill
	s_nop 0
	buffer_store_dword v74, off, s[20:23], 0 offset:1004 ; 4-byte Folded Spill
	buffer_store_dword v75, off, s[20:23], 0 offset:1008 ; 4-byte Folded Spill
	;; [unrolled: 1-line block ×3, first 2 shown]
	s_and_saveexec_b64 s[2:3], vcc
	s_cbranch_execz .LBB73_307
; %bb.306:
	buffer_load_dword v73, off, s[20:23], 0 offset:1000 ; 4-byte Folded Reload
	buffer_load_dword v74, off, s[20:23], 0 offset:1004 ; 4-byte Folded Reload
	;; [unrolled: 1-line block ×4, first 2 shown]
	s_waitcnt vmcnt(2)
	v_mul_f64 v[97:98], v[73:74], v[11:12]
	s_waitcnt vmcnt(0)
	v_mul_f64 v[11:12], v[75:76], v[11:12]
	v_fma_f64 v[101:102], v[75:76], v[9:10], v[97:98]
	ds_read2_b64 v[97:100], v125 offset0:68 offset1:69
	v_fma_f64 v[9:10], v[73:74], v[9:10], -v[11:12]
	s_waitcnt lgkmcnt(0)
	v_mul_f64 v[11:12], v[99:100], v[101:102]
	v_fma_f64 v[11:12], v[97:98], v[9:10], -v[11:12]
	v_mul_f64 v[97:98], v[97:98], v[101:102]
	v_add_f64 v[5:6], v[5:6], -v[11:12]
	v_fma_f64 v[97:98], v[99:100], v[9:10], v[97:98]
	v_add_f64 v[7:8], v[7:8], -v[97:98]
	ds_read2_b64 v[97:100], v125 offset0:70 offset1:71
	s_waitcnt lgkmcnt(0)
	v_mul_f64 v[11:12], v[99:100], v[101:102]
	v_fma_f64 v[11:12], v[97:98], v[9:10], -v[11:12]
	v_mul_f64 v[97:98], v[97:98], v[101:102]
	v_add_f64 v[1:2], v[1:2], -v[11:12]
	v_fma_f64 v[97:98], v[99:100], v[9:10], v[97:98]
	v_add_f64 v[3:4], v[3:4], -v[97:98]
	ds_read2_b64 v[97:100], v125 offset0:72 offset1:73
	s_waitcnt lgkmcnt(0)
	v_mul_f64 v[11:12], v[99:100], v[101:102]
	v_fma_f64 v[11:12], v[97:98], v[9:10], -v[11:12]
	v_mul_f64 v[97:98], v[97:98], v[101:102]
	v_add_f64 v[77:78], v[77:78], -v[11:12]
	v_fma_f64 v[97:98], v[99:100], v[9:10], v[97:98]
	v_mov_b32_e32 v11, v101
	v_mov_b32_e32 v12, v102
	v_add_f64 v[79:80], v[79:80], -v[97:98]
.LBB73_307:
	s_or_b64 exec, exec, s[2:3]
	v_cmp_eq_u32_e32 vcc, 34, v0
	s_waitcnt vmcnt(0)
	s_barrier
	s_and_saveexec_b64 s[4:5], vcc
	s_cbranch_execz .LBB73_314
; %bb.308:
	ds_write2_b64 v127, v[5:6], v[7:8] offset1:1
	ds_write2_b64 v125, v[1:2], v[3:4] offset0:70 offset1:71
	ds_write2_b64 v125, v[77:78], v[79:80] offset0:72 offset1:73
	ds_read2_b64 v[97:100], v127 offset1:1
	s_waitcnt lgkmcnt(0)
	v_cmp_neq_f64_e32 vcc, 0, v[97:98]
	v_cmp_neq_f64_e64 s[2:3], 0, v[99:100]
	s_or_b64 s[2:3], vcc, s[2:3]
	s_and_b64 exec, exec, s[2:3]
	s_cbranch_execz .LBB73_314
; %bb.309:
	v_cmp_ngt_f64_e64 s[2:3], |v[97:98]|, |v[99:100]|
                                        ; implicit-def: $vgpr101_vgpr102
	s_and_saveexec_b64 s[6:7], s[2:3]
	s_xor_b64 s[2:3], exec, s[6:7]
                                        ; implicit-def: $vgpr103_vgpr104
	s_cbranch_execz .LBB73_311
; %bb.310:
	v_div_scale_f64 v[101:102], s[6:7], v[99:100], v[99:100], v[97:98]
	v_rcp_f64_e32 v[103:104], v[101:102]
	v_fma_f64 v[105:106], -v[101:102], v[103:104], 1.0
	v_fma_f64 v[103:104], v[103:104], v[105:106], v[103:104]
	v_div_scale_f64 v[105:106], vcc, v[97:98], v[99:100], v[97:98]
	v_fma_f64 v[107:108], -v[101:102], v[103:104], 1.0
	v_fma_f64 v[103:104], v[103:104], v[107:108], v[103:104]
	v_mul_f64 v[107:108], v[105:106], v[103:104]
	v_fma_f64 v[101:102], -v[101:102], v[107:108], v[105:106]
	v_div_fmas_f64 v[101:102], v[101:102], v[103:104], v[107:108]
	v_div_fixup_f64 v[101:102], v[101:102], v[99:100], v[97:98]
	v_fma_f64 v[97:98], v[97:98], v[101:102], v[99:100]
	v_div_scale_f64 v[99:100], s[6:7], v[97:98], v[97:98], 1.0
	v_div_scale_f64 v[107:108], vcc, 1.0, v[97:98], 1.0
	v_rcp_f64_e32 v[103:104], v[99:100]
	v_fma_f64 v[105:106], -v[99:100], v[103:104], 1.0
	v_fma_f64 v[103:104], v[103:104], v[105:106], v[103:104]
	v_fma_f64 v[105:106], -v[99:100], v[103:104], 1.0
	v_fma_f64 v[103:104], v[103:104], v[105:106], v[103:104]
	v_mul_f64 v[105:106], v[107:108], v[103:104]
	v_fma_f64 v[99:100], -v[99:100], v[105:106], v[107:108]
	v_div_fmas_f64 v[99:100], v[99:100], v[103:104], v[105:106]
	v_div_fixup_f64 v[103:104], v[99:100], v[97:98], 1.0
                                        ; implicit-def: $vgpr97_vgpr98
	v_mul_f64 v[101:102], v[101:102], v[103:104]
	v_xor_b32_e32 v104, 0x80000000, v104
.LBB73_311:
	s_andn2_saveexec_b64 s[2:3], s[2:3]
	s_cbranch_execz .LBB73_313
; %bb.312:
	v_div_scale_f64 v[101:102], s[6:7], v[97:98], v[97:98], v[99:100]
	v_rcp_f64_e32 v[103:104], v[101:102]
	v_fma_f64 v[105:106], -v[101:102], v[103:104], 1.0
	v_fma_f64 v[103:104], v[103:104], v[105:106], v[103:104]
	v_div_scale_f64 v[105:106], vcc, v[99:100], v[97:98], v[99:100]
	v_fma_f64 v[107:108], -v[101:102], v[103:104], 1.0
	v_fma_f64 v[103:104], v[103:104], v[107:108], v[103:104]
	v_mul_f64 v[107:108], v[105:106], v[103:104]
	v_fma_f64 v[101:102], -v[101:102], v[107:108], v[105:106]
	v_div_fmas_f64 v[101:102], v[101:102], v[103:104], v[107:108]
	v_div_fixup_f64 v[103:104], v[101:102], v[97:98], v[99:100]
	v_fma_f64 v[97:98], v[99:100], v[103:104], v[97:98]
	v_div_scale_f64 v[99:100], s[6:7], v[97:98], v[97:98], 1.0
	v_div_scale_f64 v[107:108], vcc, 1.0, v[97:98], 1.0
	v_rcp_f64_e32 v[101:102], v[99:100]
	v_fma_f64 v[105:106], -v[99:100], v[101:102], 1.0
	v_fma_f64 v[101:102], v[101:102], v[105:106], v[101:102]
	v_fma_f64 v[105:106], -v[99:100], v[101:102], 1.0
	v_fma_f64 v[101:102], v[101:102], v[105:106], v[101:102]
	v_mul_f64 v[105:106], v[107:108], v[101:102]
	v_fma_f64 v[99:100], -v[99:100], v[105:106], v[107:108]
	v_div_fmas_f64 v[99:100], v[99:100], v[101:102], v[105:106]
	v_div_fixup_f64 v[101:102], v[99:100], v[97:98], 1.0
	v_mul_f64 v[103:104], v[103:104], -v[101:102]
.LBB73_313:
	s_or_b64 exec, exec, s[2:3]
	ds_write2_b64 v127, v[101:102], v[103:104] offset1:1
.LBB73_314:
	s_or_b64 exec, exec, s[4:5]
	s_waitcnt lgkmcnt(0)
	s_barrier
	ds_read2_b64 v[101:104], v127 offset1:1
	v_cmp_lt_u32_e32 vcc, 34, v0
	s_and_saveexec_b64 s[2:3], vcc
	s_cbranch_execz .LBB73_316
; %bb.315:
	s_waitcnt lgkmcnt(0)
	v_mul_f64 v[97:98], v[101:102], v[7:8]
	v_mul_f64 v[7:8], v[103:104], v[7:8]
	v_fma_f64 v[105:106], v[103:104], v[5:6], v[97:98]
	ds_read2_b64 v[97:100], v125 offset0:70 offset1:71
	v_fma_f64 v[5:6], v[101:102], v[5:6], -v[7:8]
	s_waitcnt lgkmcnt(0)
	v_mul_f64 v[7:8], v[99:100], v[105:106]
	v_fma_f64 v[7:8], v[97:98], v[5:6], -v[7:8]
	v_mul_f64 v[97:98], v[97:98], v[105:106]
	v_add_f64 v[1:2], v[1:2], -v[7:8]
	v_fma_f64 v[97:98], v[99:100], v[5:6], v[97:98]
	v_add_f64 v[3:4], v[3:4], -v[97:98]
	ds_read2_b64 v[97:100], v125 offset0:72 offset1:73
	s_waitcnt lgkmcnt(0)
	v_mul_f64 v[7:8], v[99:100], v[105:106]
	v_fma_f64 v[7:8], v[97:98], v[5:6], -v[7:8]
	v_mul_f64 v[97:98], v[97:98], v[105:106]
	v_add_f64 v[77:78], v[77:78], -v[7:8]
	v_fma_f64 v[97:98], v[99:100], v[5:6], v[97:98]
	v_mov_b32_e32 v7, v105
	v_mov_b32_e32 v8, v106
	v_add_f64 v[79:80], v[79:80], -v[97:98]
.LBB73_316:
	s_or_b64 exec, exec, s[2:3]
	v_cmp_eq_u32_e32 vcc, 35, v0
	s_waitcnt lgkmcnt(0)
	s_barrier
	s_and_saveexec_b64 s[4:5], vcc
	s_cbranch_execz .LBB73_323
; %bb.317:
	ds_write2_b64 v127, v[1:2], v[3:4] offset1:1
	ds_write2_b64 v125, v[77:78], v[79:80] offset0:72 offset1:73
	ds_read2_b64 v[97:100], v127 offset1:1
	s_waitcnt lgkmcnt(0)
	v_cmp_neq_f64_e32 vcc, 0, v[97:98]
	v_cmp_neq_f64_e64 s[2:3], 0, v[99:100]
	s_or_b64 s[2:3], vcc, s[2:3]
	s_and_b64 exec, exec, s[2:3]
	s_cbranch_execz .LBB73_323
; %bb.318:
	v_cmp_ngt_f64_e64 s[2:3], |v[97:98]|, |v[99:100]|
                                        ; implicit-def: $vgpr105_vgpr106
	s_and_saveexec_b64 s[6:7], s[2:3]
	s_xor_b64 s[2:3], exec, s[6:7]
                                        ; implicit-def: $vgpr107_vgpr108
	s_cbranch_execz .LBB73_320
; %bb.319:
	v_div_scale_f64 v[105:106], s[6:7], v[99:100], v[99:100], v[97:98]
	v_mov_b32_e32 v73, v77
	v_mov_b32_e32 v74, v78
	;; [unrolled: 1-line block ×8, first 2 shown]
	v_div_scale_f64 v[95:96], vcc, v[97:98], v[99:100], v[97:98]
	v_rcp_f64_e32 v[107:108], v[105:106]
	v_fma_f64 v[93:94], -v[105:106], v[107:108], 1.0
	v_fma_f64 v[93:94], v[107:108], v[93:94], v[107:108]
	v_fma_f64 v[107:108], -v[105:106], v[93:94], 1.0
	v_fma_f64 v[93:94], v[93:94], v[107:108], v[93:94]
	v_mul_f64 v[107:108], v[95:96], v[93:94]
	v_fma_f64 v[95:96], -v[105:106], v[107:108], v[95:96]
	v_div_fmas_f64 v[93:94], v[95:96], v[93:94], v[107:108]
	v_div_fixup_f64 v[93:94], v[93:94], v[99:100], v[97:98]
	v_fma_f64 v[95:96], v[97:98], v[93:94], v[99:100]
	v_div_scale_f64 v[97:98], s[6:7], v[95:96], v[95:96], 1.0
	v_div_scale_f64 v[107:108], vcc, 1.0, v[95:96], 1.0
	v_rcp_f64_e32 v[99:100], v[97:98]
	v_fma_f64 v[105:106], -v[97:98], v[99:100], 1.0
	v_fma_f64 v[99:100], v[99:100], v[105:106], v[99:100]
	v_fma_f64 v[105:106], -v[97:98], v[99:100], 1.0
	v_fma_f64 v[99:100], v[99:100], v[105:106], v[99:100]
	v_mul_f64 v[105:106], v[107:108], v[99:100]
	v_fma_f64 v[97:98], -v[97:98], v[105:106], v[107:108]
	v_div_fmas_f64 v[97:98], v[97:98], v[99:100], v[105:106]
	v_div_fixup_f64 v[107:108], v[97:98], v[95:96], 1.0
                                        ; implicit-def: $vgpr97_vgpr98
	v_mul_f64 v[105:106], v[93:94], v[107:108]
	v_mov_b32_e32 v96, v80
	v_mov_b32_e32 v95, v79
	;; [unrolled: 1-line block ×8, first 2 shown]
	v_xor_b32_e32 v108, 0x80000000, v108
.LBB73_320:
	s_andn2_saveexec_b64 s[2:3], s[2:3]
	s_cbranch_execz .LBB73_322
; %bb.321:
	v_mov_b32_e32 v73, v81
	v_mov_b32_e32 v74, v82
	;; [unrolled: 1-line block ×8, first 2 shown]
	v_div_scale_f64 v[93:94], s[6:7], v[97:98], v[97:98], v[99:100]
	v_rcp_f64_e32 v[95:96], v[93:94]
	v_fma_f64 v[105:106], -v[93:94], v[95:96], 1.0
	v_fma_f64 v[95:96], v[95:96], v[105:106], v[95:96]
	v_div_scale_f64 v[105:106], vcc, v[99:100], v[97:98], v[99:100]
	v_fma_f64 v[107:108], -v[93:94], v[95:96], 1.0
	v_fma_f64 v[95:96], v[95:96], v[107:108], v[95:96]
	v_mul_f64 v[107:108], v[105:106], v[95:96]
	v_fma_f64 v[93:94], -v[93:94], v[107:108], v[105:106]
	v_div_fmas_f64 v[93:94], v[93:94], v[95:96], v[107:108]
	v_div_fixup_f64 v[93:94], v[93:94], v[97:98], v[99:100]
	v_fma_f64 v[95:96], v[99:100], v[93:94], v[97:98]
	v_div_scale_f64 v[97:98], s[6:7], v[95:96], v[95:96], 1.0
	v_div_scale_f64 v[107:108], vcc, 1.0, v[95:96], 1.0
	v_rcp_f64_e32 v[99:100], v[97:98]
	v_fma_f64 v[105:106], -v[97:98], v[99:100], 1.0
	v_fma_f64 v[99:100], v[99:100], v[105:106], v[99:100]
	v_fma_f64 v[105:106], -v[97:98], v[99:100], 1.0
	v_fma_f64 v[99:100], v[99:100], v[105:106], v[99:100]
	v_mul_f64 v[105:106], v[107:108], v[99:100]
	v_fma_f64 v[97:98], -v[97:98], v[105:106], v[107:108]
	v_div_fmas_f64 v[97:98], v[97:98], v[99:100], v[105:106]
	v_div_fixup_f64 v[105:106], v[97:98], v[95:96], 1.0
	v_mul_f64 v[107:108], v[93:94], -v[105:106]
	v_mov_b32_e32 v96, v84
	v_mov_b32_e32 v95, v83
	;; [unrolled: 1-line block ×8, first 2 shown]
.LBB73_322:
	s_or_b64 exec, exec, s[2:3]
	ds_write2_b64 v127, v[105:106], v[107:108] offset1:1
.LBB73_323:
	s_or_b64 exec, exec, s[4:5]
	s_waitcnt lgkmcnt(0)
	s_barrier
	ds_read2_b64 v[97:100], v127 offset1:1
	v_cmp_lt_u32_e32 vcc, 35, v0
	s_and_saveexec_b64 s[2:3], vcc
	s_cbranch_execz .LBB73_325
; %bb.324:
	v_mov_b32_e32 v73, v81
	v_mov_b32_e32 v74, v82
	;; [unrolled: 1-line block ×8, first 2 shown]
	s_waitcnt lgkmcnt(0)
	v_mul_f64 v[93:94], v[97:98], v[3:4]
	v_mul_f64 v[3:4], v[99:100], v[3:4]
	ds_read2_b64 v[105:108], v125 offset0:72 offset1:73
	v_fma_f64 v[93:94], v[99:100], v[1:2], v[93:94]
	v_fma_f64 v[1:2], v[97:98], v[1:2], -v[3:4]
	s_waitcnt lgkmcnt(0)
	v_mul_f64 v[3:4], v[107:108], v[93:94]
	v_mul_f64 v[95:96], v[105:106], v[93:94]
	v_fma_f64 v[3:4], v[105:106], v[1:2], -v[3:4]
	v_fma_f64 v[95:96], v[107:108], v[1:2], v[95:96]
	v_add_f64 v[77:78], v[77:78], -v[3:4]
	v_add_f64 v[79:80], v[79:80], -v[95:96]
	v_mov_b32_e32 v3, v93
	v_mov_b32_e32 v4, v94
	;; [unrolled: 1-line block ×10, first 2 shown]
.LBB73_325:
	s_or_b64 exec, exec, s[2:3]
	v_cmp_eq_u32_e32 vcc, 36, v0
	s_waitcnt lgkmcnt(0)
	s_barrier
	s_and_saveexec_b64 s[4:5], vcc
	s_cbranch_execz .LBB73_332
; %bb.326:
	v_cmp_neq_f64_e32 vcc, 0, v[77:78]
	v_cmp_neq_f64_e64 s[2:3], 0, v[79:80]
	ds_write2_b64 v127, v[77:78], v[79:80] offset1:1
	s_or_b64 s[2:3], vcc, s[2:3]
	s_and_b64 exec, exec, s[2:3]
	s_cbranch_execz .LBB73_332
; %bb.327:
	v_cmp_ngt_f64_e64 s[2:3], |v[77:78]|, |v[79:80]|
                                        ; implicit-def: $vgpr105_vgpr106
	s_and_saveexec_b64 s[6:7], s[2:3]
	s_xor_b64 s[2:3], exec, s[6:7]
                                        ; implicit-def: $vgpr107_vgpr108
	s_cbranch_execz .LBB73_329
; %bb.328:
	v_mov_b32_e32 v73, v101
	v_mov_b32_e32 v74, v102
	;; [unrolled: 1-line block ×96, first 2 shown]
	v_div_scale_f64 v[93:94], s[6:7], v[71:72], v[71:72], v[69:70]
	v_rcp_f64_e32 v[95:96], v[93:94]
	v_fma_f64 v[105:106], -v[93:94], v[95:96], 1.0
	v_fma_f64 v[95:96], v[95:96], v[105:106], v[95:96]
	v_div_scale_f64 v[105:106], vcc, v[69:70], v[71:72], v[69:70]
	v_fma_f64 v[107:108], -v[93:94], v[95:96], 1.0
	v_fma_f64 v[95:96], v[95:96], v[107:108], v[95:96]
	v_mul_f64 v[107:108], v[105:106], v[95:96]
	v_fma_f64 v[93:94], -v[93:94], v[107:108], v[105:106]
	v_div_fmas_f64 v[93:94], v[93:94], v[95:96], v[107:108]
	v_div_fixup_f64 v[93:94], v[93:94], v[71:72], v[69:70]
	v_fma_f64 v[95:96], v[69:70], v[93:94], v[71:72]
	v_div_scale_f64 v[105:106], s[6:7], v[95:96], v[95:96], 1.0
	v_div_scale_f64 v[89:90], vcc, 1.0, v[95:96], 1.0
	v_rcp_f64_e32 v[107:108], v[105:106]
	v_fma_f64 v[125:126], -v[105:106], v[107:108], 1.0
	v_fma_f64 v[107:108], v[107:108], v[125:126], v[107:108]
	v_fma_f64 v[125:126], -v[105:106], v[107:108], 1.0
	v_fma_f64 v[91:92], v[107:108], v[125:126], v[107:108]
	v_mul_f64 v[107:108], v[89:90], v[91:92]
	v_fma_f64 v[89:90], -v[105:106], v[107:108], v[89:90]
	v_div_fmas_f64 v[89:90], v[89:90], v[91:92], v[107:108]
	v_div_fixup_f64 v[107:108], v[89:90], v[95:96], 1.0
	buffer_load_dword v89, off, s[20:23], 0 offset:192 ; 4-byte Folded Reload
	buffer_load_dword v90, off, s[20:23], 0 offset:196 ; 4-byte Folded Reload
	;; [unrolled: 1-line block ×4, first 2 shown]
	v_mul_f64 v[105:106], v[93:94], v[107:108]
	v_mov_b32_e32 v96, v80
	v_mov_b32_e32 v95, v79
	v_mov_b32_e32 v94, v78
	v_mov_b32_e32 v93, v77
	v_mov_b32_e32 v80, v72
	v_mov_b32_e32 v79, v71
	v_mov_b32_e32 v78, v70
	v_mov_b32_e32 v77, v69
	v_mov_b32_e32 v72, v68
	v_mov_b32_e32 v71, v67
	v_mov_b32_e32 v70, v66
	v_mov_b32_e32 v69, v65
	v_mov_b32_e32 v68, v64
	v_mov_b32_e32 v67, v63
	v_mov_b32_e32 v66, v62
	v_mov_b32_e32 v65, v61
	v_mov_b32_e32 v64, v60
	v_mov_b32_e32 v63, v59
	v_mov_b32_e32 v62, v58
	v_mov_b32_e32 v61, v57
	v_mov_b32_e32 v60, v56
	v_mov_b32_e32 v59, v55
	v_mov_b32_e32 v58, v54
	v_mov_b32_e32 v57, v53
	v_mov_b32_e32 v56, v52
	v_mov_b32_e32 v55, v51
	v_mov_b32_e32 v54, v50
	v_mov_b32_e32 v53, v49
	v_mov_b32_e32 v52, v48
	v_mov_b32_e32 v51, v47
	v_mov_b32_e32 v50, v46
	v_mov_b32_e32 v49, v45
	v_mov_b32_e32 v48, v44
	v_mov_b32_e32 v47, v43
	v_mov_b32_e32 v46, v42
	v_mov_b32_e32 v45, v41
	v_mov_b32_e32 v41, v109
	v_mov_b32_e32 v42, v110
	v_mov_b32_e32 v43, v111
	v_mov_b32_e32 v44, v112
	v_mov_b32_e32 v112, v40
	v_mov_b32_e32 v111, v39
	v_mov_b32_e32 v110, v38
	v_mov_b32_e32 v109, v37
	v_mov_b32_e32 v40, v36
	v_mov_b32_e32 v39, v35
	v_mov_b32_e32 v38, v34
	v_mov_b32_e32 v37, v33
	v_mov_b32_e32 v36, v32
	v_mov_b32_e32 v35, v31
	v_mov_b32_e32 v34, v30
	v_mov_b32_e32 v33, v29
	v_mov_b32_e32 v32, v28
	v_mov_b32_e32 v31, v27
	v_mov_b32_e32 v30, v26
	v_mov_b32_e32 v29, v25
	v_mov_b32_e32 v28, v24
	v_mov_b32_e32 v27, v23
	v_mov_b32_e32 v26, v22
	v_mov_b32_e32 v25, v21
	v_mov_b32_e32 v24, v20
	v_mov_b32_e32 v23, v19
	v_mov_b32_e32 v22, v18
	v_mov_b32_e32 v21, v17
	v_mov_b32_e32 v20, v16
	v_mov_b32_e32 v19, v15
	v_mov_b32_e32 v18, v14
	v_mov_b32_e32 v17, v13
	v_mov_b32_e32 v16, v12
	v_mov_b32_e32 v15, v11
	v_mov_b32_e32 v14, v10
	v_mov_b32_e32 v13, v9
	v_mov_b32_e32 v12, v8
	v_mov_b32_e32 v11, v7
	v_mov_b32_e32 v10, v6
	v_mov_b32_e32 v9, v5
	v_mov_b32_e32 v8, v4
	v_mov_b32_e32 v7, v3
	v_mov_b32_e32 v6, v2
	v_mov_b32_e32 v5, v1
	v_mov_b32_e32 v1, v117
	v_mov_b32_e32 v2, v118
	v_mov_b32_e32 v3, v119
	v_mov_b32_e32 v4, v120
	v_mov_b32_e32 v117, v121
	v_mov_b32_e32 v118, v122
	v_mov_b32_e32 v119, v123
	v_mov_b32_e32 v120, v124
	v_mov_b32_e32 v124, v104
	v_mov_b32_e32 v123, v103
	v_mov_b32_e32 v122, v102
	v_mov_b32_e32 v121, v101
	v_mov_b32_e32 v104, v76
	v_mov_b32_e32 v103, v75
	v_mov_b32_e32 v102, v74
	v_mov_b32_e32 v101, v73
	v_xor_b32_e32 v108, 0x80000000, v108
.LBB73_329:
	s_andn2_saveexec_b64 s[2:3], s[2:3]
	s_cbranch_execz .LBB73_331
; %bb.330:
	s_waitcnt vmcnt(2)
	v_div_scale_f64 v[89:90], s[6:7], v[77:78], v[77:78], v[79:80]
	v_mov_b32_e32 v73, v77
	v_mov_b32_e32 v74, v78
	;; [unrolled: 1-line block ×8, first 2 shown]
	s_waitcnt vmcnt(0)
	v_rcp_f64_e32 v[91:92], v[89:90]
	v_fma_f64 v[93:94], -v[89:90], v[91:92], 1.0
	v_fma_f64 v[91:92], v[91:92], v[93:94], v[91:92]
	v_div_scale_f64 v[93:94], vcc, v[75:76], v[73:74], v[75:76]
	v_fma_f64 v[95:96], -v[89:90], v[91:92], 1.0
	v_fma_f64 v[91:92], v[91:92], v[95:96], v[91:92]
	v_mul_f64 v[95:96], v[93:94], v[91:92]
	v_fma_f64 v[89:90], -v[89:90], v[95:96], v[93:94]
	v_div_fmas_f64 v[89:90], v[89:90], v[91:92], v[95:96]
	v_div_fixup_f64 v[89:90], v[89:90], v[73:74], v[75:76]
	v_fma_f64 v[91:92], v[75:76], v[89:90], v[73:74]
	v_div_scale_f64 v[93:94], s[6:7], v[91:92], v[91:92], 1.0
	v_div_scale_f64 v[107:108], vcc, 1.0, v[91:92], 1.0
	v_rcp_f64_e32 v[95:96], v[93:94]
	v_fma_f64 v[105:106], -v[93:94], v[95:96], 1.0
	v_fma_f64 v[95:96], v[95:96], v[105:106], v[95:96]
	v_fma_f64 v[105:106], -v[93:94], v[95:96], 1.0
	v_fma_f64 v[95:96], v[95:96], v[105:106], v[95:96]
	v_mul_f64 v[105:106], v[107:108], v[95:96]
	v_fma_f64 v[93:94], -v[93:94], v[105:106], v[107:108]
	v_div_fmas_f64 v[93:94], v[93:94], v[95:96], v[105:106]
	v_div_fixup_f64 v[105:106], v[93:94], v[91:92], 1.0
	v_mov_b32_e32 v96, v80
	v_mov_b32_e32 v95, v79
	;; [unrolled: 1-line block ×7, first 2 shown]
	v_mul_f64 v[107:108], v[89:90], -v[105:106]
	buffer_load_dword v89, off, s[20:23], 0 offset:192 ; 4-byte Folded Reload
	buffer_load_dword v90, off, s[20:23], 0 offset:196 ; 4-byte Folded Reload
	;; [unrolled: 1-line block ×4, first 2 shown]
	v_mov_b32_e32 v77, v73
.LBB73_331:
	s_or_b64 exec, exec, s[2:3]
	ds_write2_b64 v127, v[105:106], v[107:108] offset1:1
.LBB73_332:
	s_or_b64 exec, exec, s[4:5]
	s_waitcnt vmcnt(0) lgkmcnt(0)
	s_barrier
	ds_read2_b64 v[105:108], v127 offset1:1
	s_waitcnt lgkmcnt(0)
	s_barrier
	s_and_saveexec_b64 s[2:3], s[0:1]
	s_cbranch_execz .LBB73_335
; %bb.333:
	buffer_load_dword v73, off, s[20:23], 0 offset:536 ; 4-byte Folded Reload
	buffer_load_dword v74, off, s[20:23], 0 offset:540 ; 4-byte Folded Reload
	;; [unrolled: 1-line block ×4, first 2 shown]
	s_waitcnt vmcnt(2)
	v_cmp_eq_f64_e32 vcc, 0, v[73:74]
	s_waitcnt vmcnt(0)
	v_cmp_eq_f64_e64 s[0:1], 0, v[75:76]
	buffer_load_dword v73, off, s[20:23], 0 offset:552 ; 4-byte Folded Reload
	buffer_load_dword v74, off, s[20:23], 0 offset:556 ; 4-byte Folded Reload
	;; [unrolled: 1-line block ×4, first 2 shown]
	s_and_b64 s[4:5], vcc, s[0:1]
	v_cndmask_b32_e64 v89, 0, 1, s[4:5]
	s_waitcnt vmcnt(2)
	v_cmp_neq_f64_e32 vcc, 0, v[73:74]
	s_waitcnt vmcnt(0)
	v_cmp_neq_f64_e64 s[0:1], 0, v[75:76]
	buffer_load_dword v73, off, s[20:23], 0 offset:568 ; 4-byte Folded Reload
	buffer_load_dword v74, off, s[20:23], 0 offset:572 ; 4-byte Folded Reload
	;; [unrolled: 1-line block ×4, first 2 shown]
	s_or_b64 s[0:1], vcc, s[0:1]
	s_or_b64 vcc, s[0:1], s[4:5]
	v_cndmask_b32_e32 v89, 2, v89, vcc
	s_waitcnt vmcnt(2)
	v_cmp_eq_f64_e32 vcc, 0, v[73:74]
	s_waitcnt vmcnt(0)
	v_cmp_eq_f64_e64 s[0:1], 0, v[75:76]
	buffer_load_dword v73, off, s[20:23], 0 offset:584 ; 4-byte Folded Reload
	buffer_load_dword v74, off, s[20:23], 0 offset:588 ; 4-byte Folded Reload
	buffer_load_dword v75, off, s[20:23], 0 offset:592 ; 4-byte Folded Reload
	buffer_load_dword v76, off, s[20:23], 0 offset:596 ; 4-byte Folded Reload
	s_and_b64 s[0:1], vcc, s[0:1]
	v_cmp_eq_u32_e32 vcc, 0, v89
	s_and_b64 s[0:1], s[0:1], vcc
	v_cndmask_b32_e64 v89, v89, 3, s[0:1]
	s_waitcnt vmcnt(2)
	v_cmp_eq_f64_e32 vcc, 0, v[73:74]
	s_waitcnt vmcnt(0)
	v_cmp_eq_f64_e64 s[0:1], 0, v[75:76]
	buffer_load_dword v73, off, s[20:23], 0 offset:600 ; 4-byte Folded Reload
	buffer_load_dword v74, off, s[20:23], 0 offset:604 ; 4-byte Folded Reload
	buffer_load_dword v75, off, s[20:23], 0 offset:608 ; 4-byte Folded Reload
	buffer_load_dword v76, off, s[20:23], 0 offset:612 ; 4-byte Folded Reload
	s_and_b64 s[0:1], vcc, s[0:1]
	v_cmp_eq_u32_e32 vcc, 0, v89
	s_and_b64 s[0:1], s[0:1], vcc
	v_cndmask_b32_e64 v89, v89, 4, s[0:1]
	;; [unrolled: 12-line block ×14, first 2 shown]
	v_cmp_eq_f64_e32 vcc, 0, v[81:82]
	v_cmp_eq_f64_e64 s[0:1], 0, v[83:84]
	s_and_b64 s[0:1], vcc, s[0:1]
	v_cmp_eq_u32_e32 vcc, 0, v89
	s_and_b64 s[0:1], s[0:1], vcc
	v_cndmask_b32_e64 v89, v89, 17, s[0:1]
	s_waitcnt vmcnt(2)
	v_cmp_eq_f64_e32 vcc, 0, v[73:74]
	s_waitcnt vmcnt(0)
	v_cmp_eq_f64_e64 s[0:1], 0, v[75:76]
	buffer_load_dword v73, off, s[20:23], 0 offset:32 ; 4-byte Folded Reload
	buffer_load_dword v74, off, s[20:23], 0 offset:36 ; 4-byte Folded Reload
	buffer_load_dword v75, off, s[20:23], 0 offset:40 ; 4-byte Folded Reload
	buffer_load_dword v76, off, s[20:23], 0 offset:44 ; 4-byte Folded Reload
	s_and_b64 s[0:1], vcc, s[0:1]
	v_cmp_eq_u32_e32 vcc, 0, v89
	s_and_b64 s[0:1], s[0:1], vcc
	v_cndmask_b32_e64 v89, v89, 18, s[0:1]
	s_waitcnt vmcnt(2)
	v_cmp_eq_f64_e32 vcc, 0, v[73:74]
	s_waitcnt vmcnt(0)
	v_cmp_eq_f64_e64 s[0:1], 0, v[75:76]
	buffer_load_dword v73, off, s[20:23], 0 offset:776 ; 4-byte Folded Reload
	buffer_load_dword v74, off, s[20:23], 0 offset:780 ; 4-byte Folded Reload
	buffer_load_dword v75, off, s[20:23], 0 offset:784 ; 4-byte Folded Reload
	buffer_load_dword v76, off, s[20:23], 0 offset:788 ; 4-byte Folded Reload
	;; [unrolled: 12-line block ×5, first 2 shown]
	s_and_b64 s[0:1], vcc, s[0:1]
	v_cmp_eq_u32_e32 vcc, 0, v89
	s_and_b64 s[0:1], s[0:1], vcc
	v_cndmask_b32_e64 v89, v89, 22, s[0:1]
	v_cmp_eq_f64_e32 vcc, 0, v[113:114]
	v_cmp_eq_f64_e64 s[0:1], 0, v[115:116]
	s_and_b64 s[0:1], vcc, s[0:1]
	v_cmp_eq_u32_e32 vcc, 0, v89
	s_and_b64 s[0:1], s[0:1], vcc
	v_cndmask_b32_e64 v89, v89, 23, s[0:1]
	v_cmp_eq_f64_e32 vcc, 0, v[85:86]
	v_cmp_eq_f64_e64 s[0:1], 0, v[87:88]
	s_and_b64 s[0:1], vcc, s[0:1]
	v_cmp_eq_u32_e32 vcc, 0, v89
	s_and_b64 s[0:1], s[0:1], vcc
	v_cndmask_b32_e64 v89, v89, 24, s[0:1]
	s_waitcnt vmcnt(2)
	v_cmp_eq_f64_e32 vcc, 0, v[73:74]
	s_waitcnt vmcnt(0)
	v_cmp_eq_f64_e64 s[0:1], 0, v[75:76]
	buffer_load_dword v73, off, s[20:23], 0 offset:872 ; 4-byte Folded Reload
	buffer_load_dword v74, off, s[20:23], 0 offset:876 ; 4-byte Folded Reload
	buffer_load_dword v75, off, s[20:23], 0 offset:880 ; 4-byte Folded Reload
	buffer_load_dword v76, off, s[20:23], 0 offset:884 ; 4-byte Folded Reload
	s_and_b64 s[0:1], vcc, s[0:1]
	v_cmp_eq_u32_e32 vcc, 0, v89
	s_and_b64 s[0:1], s[0:1], vcc
	v_cndmask_b32_e64 v89, v89, 25, s[0:1]
	s_waitcnt vmcnt(2)
	v_cmp_eq_f64_e32 vcc, 0, v[73:74]
	s_waitcnt vmcnt(0)
	v_cmp_eq_f64_e64 s[0:1], 0, v[75:76]
	buffer_load_dword v73, off, s[20:23], 0 offset:888 ; 4-byte Folded Reload
	buffer_load_dword v74, off, s[20:23], 0 offset:892 ; 4-byte Folded Reload
	buffer_load_dword v75, off, s[20:23], 0 offset:896 ; 4-byte Folded Reload
	buffer_load_dword v76, off, s[20:23], 0 offset:900 ; 4-byte Folded Reload
	;; [unrolled: 12-line block ×9, first 2 shown]
	buffer_load_dword v81, off, s[20:23], 0 offset:1016 ; 4-byte Folded Reload
	buffer_load_dword v82, off, s[20:23], 0 offset:1020 ; 4-byte Folded Reload
	s_and_b64 s[0:1], vcc, s[0:1]
	v_cmp_eq_u32_e32 vcc, 0, v89
	s_and_b64 s[0:1], s[0:1], vcc
	v_cndmask_b32_e64 v89, v89, 33, s[0:1]
	s_waitcnt vmcnt(4)
	v_cmp_eq_f64_e32 vcc, 0, v[73:74]
	s_waitcnt vmcnt(2)
	v_cmp_eq_f64_e64 s[0:1], 0, v[75:76]
	s_and_b64 s[0:1], vcc, s[0:1]
	v_cmp_eq_u32_e32 vcc, 0, v89
	s_and_b64 s[0:1], s[0:1], vcc
	v_cndmask_b32_e64 v89, v89, 34, s[0:1]
	v_cmp_eq_f64_e32 vcc, 0, v[101:102]
	v_cmp_eq_f64_e64 s[0:1], 0, v[103:104]
	s_and_b64 s[0:1], vcc, s[0:1]
	v_cmp_eq_u32_e32 vcc, 0, v89
	s_and_b64 s[0:1], s[0:1], vcc
	v_cndmask_b32_e64 v89, v89, 35, s[0:1]
	v_cmp_eq_f64_e32 vcc, 0, v[97:98]
	;; [unrolled: 6-line block ×3, first 2 shown]
	v_cmp_eq_f64_e64 s[0:1], 0, v[107:108]
	s_and_b64 s[0:1], vcc, s[0:1]
	v_cmp_eq_u32_e32 vcc, 0, v89
	s_and_b64 s[0:1], s[0:1], vcc
	v_cndmask_b32_e64 v99, v89, 37, s[0:1]
	s_waitcnt vmcnt(0)
	v_lshlrev_b64 v[89:90], 2, v[81:82]
	v_cmp_ne_u32_e64 s[0:1], 0, v99
	v_add_co_u32_e32 v97, vcc, s10, v89
	v_mov_b32_e32 v89, s11
	v_addc_co_u32_e32 v98, vcc, v89, v90, vcc
	global_load_dword v89, v[97:98], off
	s_waitcnt vmcnt(0)
	v_cmp_eq_u32_e32 vcc, 0, v89
	buffer_load_dword v89, off, s[20:23], 0 offset:192 ; 4-byte Folded Reload
	buffer_load_dword v90, off, s[20:23], 0 offset:196 ; 4-byte Folded Reload
	;; [unrolled: 1-line block ×4, first 2 shown]
	s_and_b64 s[0:1], vcc, s[0:1]
	s_and_b64 exec, exec, s[0:1]
	s_cbranch_execz .LBB73_335
; %bb.334:
	s_waitcnt vmcnt(3)
	v_add_u32_e32 v89, s13, v99
	global_store_dword v[97:98], v89, off
	buffer_load_dword v89, off, s[20:23], 0 offset:192 ; 4-byte Folded Reload
	s_nop 0
	buffer_load_dword v90, off, s[20:23], 0 offset:196 ; 4-byte Folded Reload
	buffer_load_dword v91, off, s[20:23], 0 offset:200 ; 4-byte Folded Reload
	;; [unrolled: 1-line block ×3, first 2 shown]
.LBB73_335:
	s_or_b64 exec, exec, s[2:3]
	buffer_load_dword v73, off, s[20:23], 0 offset:520 ; 4-byte Folded Reload
	buffer_load_dword v74, off, s[20:23], 0 offset:524 ; 4-byte Folded Reload
	;; [unrolled: 1-line block ×6, first 2 shown]
	v_cmp_lt_u32_e32 vcc, 36, v0
	s_waitcnt vmcnt(0)
	global_store_dwordx4 v[73:74], v[81:84], off
	buffer_load_dword v73, off, s[20:23], 0 offset:528 ; 4-byte Folded Reload
	s_nop 0
	buffer_load_dword v74, off, s[20:23], 0 offset:532 ; 4-byte Folded Reload
	buffer_load_dword v81, off, s[20:23], 0 offset:160 ; 4-byte Folded Reload
	;; [unrolled: 1-line block ×5, first 2 shown]
	s_waitcnt vmcnt(0)
	global_store_dwordx4 v[73:74], v[81:84], off
	buffer_load_dword v81, off, s[20:23], 0 offset:496 ; 4-byte Folded Reload
	s_nop 0
	buffer_load_dword v82, off, s[20:23], 0 offset:500 ; 4-byte Folded Reload
	buffer_load_dword v73, off, s[20:23], 0 offset:144 ; 4-byte Folded Reload
	;; [unrolled: 1-line block ×5, first 2 shown]
	s_waitcnt vmcnt(0)
	global_store_dwordx4 v[81:82], v[73:76], off
	buffer_load_dword v87, off, s[20:23], 0 offset:208 ; 4-byte Folded Reload
	buffer_load_dword v88, off, s[20:23], 0 offset:212 ; 4-byte Folded Reload
	s_nop 0
	buffer_load_dword v73, off, s[20:23], 0 offset:128 ; 4-byte Folded Reload
	buffer_load_dword v74, off, s[20:23], 0 offset:132 ; 4-byte Folded Reload
	buffer_load_dword v75, off, s[20:23], 0 offset:136 ; 4-byte Folded Reload
	buffer_load_dword v76, off, s[20:23], 0 offset:140 ; 4-byte Folded Reload
	s_waitcnt vmcnt(0)
	global_store_dwordx4 v[87:88], v[73:76], off
	buffer_load_dword v81, off, s[20:23], 0 offset:472 ; 4-byte Folded Reload
	buffer_load_dword v82, off, s[20:23], 0 offset:476 ; 4-byte Folded Reload
	s_nop 0
	buffer_load_dword v73, off, s[20:23], 0 offset:112 ; 4-byte Folded Reload
	buffer_load_dword v74, off, s[20:23], 0 offset:116 ; 4-byte Folded Reload
	buffer_load_dword v75, off, s[20:23], 0 offset:120 ; 4-byte Folded Reload
	buffer_load_dword v76, off, s[20:23], 0 offset:124 ; 4-byte Folded Reload
	;; [unrolled: 9-line block ×3, first 2 shown]
	s_waitcnt vmcnt(0)
	global_store_dwordx4 v[85:86], v[73:76], off
	buffer_load_dword v85, off, s[20:23], 0 offset:224 ; 4-byte Folded Reload
	s_nop 0
	buffer_load_dword v86, off, s[20:23], 0 offset:228 ; 4-byte Folded Reload
	buffer_load_dword v73, off, s[20:23], 0 offset:80 ; 4-byte Folded Reload
	;; [unrolled: 1-line block ×5, first 2 shown]
	s_waitcnt vmcnt(0)
	global_store_dwordx4 v[85:86], v[73:76], off
	buffer_load_dword v85, off, s[20:23], 0 offset:232 ; 4-byte Folded Reload
	s_nop 0
	buffer_load_dword v86, off, s[20:23], 0 offset:236 ; 4-byte Folded Reload
	s_waitcnt vmcnt(0)
	global_store_dwordx4 v[85:86], v[89:92], off
	buffer_load_dword v85, off, s[20:23], 0 offset:240 ; 4-byte Folded Reload
	s_nop 0
	buffer_load_dword v86, off, s[20:23], 0 offset:244 ; 4-byte Folded Reload
	buffer_load_dword v81, off, s[20:23], 0 offset:504 ; 4-byte Folded Reload
	;; [unrolled: 1-line block ×5, first 2 shown]
	v_mul_f64 v[89:90], v[105:106], v[79:80]
	v_mul_f64 v[91:92], v[107:108], v[79:80]
	v_fma_f64 v[89:90], v[107:108], v[77:78], v[89:90]
	v_fma_f64 v[91:92], v[105:106], v[77:78], -v[91:92]
	v_cndmask_b32_e32 v100, v80, v90, vcc
	v_cndmask_b32_e32 v99, v79, v89, vcc
	;; [unrolled: 1-line block ×4, first 2 shown]
	s_waitcnt vmcnt(0)
	global_store_dwordx4 v[85:86], v[81:84], off
	buffer_load_dword v85, off, s[20:23], 0 offset:248 ; 4-byte Folded Reload
	s_nop 0
	buffer_load_dword v86, off, s[20:23], 0 offset:252 ; 4-byte Folded Reload
	buffer_load_dword v73, off, s[20:23], 0 offset:64 ; 4-byte Folded Reload
	;; [unrolled: 1-line block ×5, first 2 shown]
	s_waitcnt vmcnt(0)
	global_store_dwordx4 v[85:86], v[73:76], off
	buffer_load_dword v85, off, s[20:23], 0 offset:256 ; 4-byte Folded Reload
	s_nop 0
	buffer_load_dword v86, off, s[20:23], 0 offset:260 ; 4-byte Folded Reload
	buffer_load_dword v81, off, s[20:23], 0 offset:480 ; 4-byte Folded Reload
	buffer_load_dword v82, off, s[20:23], 0 offset:484 ; 4-byte Folded Reload
	buffer_load_dword v83, off, s[20:23], 0 offset:488 ; 4-byte Folded Reload
	buffer_load_dword v84, off, s[20:23], 0 offset:492 ; 4-byte Folded Reload
	s_waitcnt vmcnt(0)
	global_store_dwordx4 v[85:86], v[81:84], off
	buffer_load_dword v85, off, s[20:23], 0 offset:264 ; 4-byte Folded Reload
	s_nop 0
	buffer_load_dword v86, off, s[20:23], 0 offset:268 ; 4-byte Folded Reload
	s_waitcnt vmcnt(0)
	global_store_dwordx4 v[85:86], v[121:124], off
	buffer_load_dword v85, off, s[20:23], 0 offset:272 ; 4-byte Folded Reload
	s_nop 0
	buffer_load_dword v86, off, s[20:23], 0 offset:276 ; 4-byte Folded Reload
	;; [unrolled: 5-line block ×4, first 2 shown]
	buffer_load_dword v81, off, s[20:23], 0 offset:48 ; 4-byte Folded Reload
	buffer_load_dword v82, off, s[20:23], 0 offset:52 ; 4-byte Folded Reload
	;; [unrolled: 1-line block ×4, first 2 shown]
	s_waitcnt vmcnt(0)
	global_store_dwordx4 v[85:86], v[81:84], off
	buffer_load_dword v85, off, s[20:23], 0 offset:296 ; 4-byte Folded Reload
	s_nop 0
	buffer_load_dword v86, off, s[20:23], 0 offset:300 ; 4-byte Folded Reload
	s_waitcnt vmcnt(0)
	global_store_dwordx4 v[85:86], v[93:96], off
	buffer_load_dword v81, off, s[20:23], 0 offset:304 ; 4-byte Folded Reload
	buffer_load_dword v82, off, s[20:23], 0 offset:308 ; 4-byte Folded Reload
	;; [unrolled: 1-line block ×6, first 2 shown]
	s_waitcnt vmcnt(0)
	global_store_dwordx4 v[81:82], v[77:80], off
	buffer_load_dword v77, off, s[20:23], 0 offset:312 ; 4-byte Folded Reload
	s_nop 0
	buffer_load_dword v78, off, s[20:23], 0 offset:316 ; 4-byte Folded Reload
	buffer_load_dword v73, off, s[20:23], 0 ; 4-byte Folded Reload
	buffer_load_dword v74, off, s[20:23], 0 offset:4 ; 4-byte Folded Reload
	buffer_load_dword v75, off, s[20:23], 0 offset:8 ; 4-byte Folded Reload
	;; [unrolled: 1-line block ×3, first 2 shown]
	s_waitcnt vmcnt(0)
	global_store_dwordx4 v[77:78], v[73:76], off
	buffer_load_dword v73, off, s[20:23], 0 offset:320 ; 4-byte Folded Reload
	s_nop 0
	buffer_load_dword v74, off, s[20:23], 0 offset:324 ; 4-byte Folded Reload
	s_waitcnt vmcnt(0)
	global_store_dwordx4 v[73:74], v[69:72], off
	buffer_load_dword v69, off, s[20:23], 0 offset:328 ; 4-byte Folded Reload
	s_nop 0
	buffer_load_dword v70, off, s[20:23], 0 offset:332 ; 4-byte Folded Reload
	;; [unrolled: 5-line block ×19, first 2 shown]
	s_waitcnt vmcnt(0)
	global_store_dwordx4 v[0:1], v[97:100], off
.LBB73_336:
	s_endpgm
	.section	.rodata,"a",@progbits
	.p2align	6, 0x0
	.amdhsa_kernel _ZN9rocsolver6v33100L23getf2_npvt_small_kernelILi37E19rocblas_complex_numIdEiiPS3_EEvT1_T3_lS5_lPT2_S5_S5_
		.amdhsa_group_segment_fixed_size 0
		.amdhsa_private_segment_fixed_size 1028
		.amdhsa_kernarg_size 312
		.amdhsa_user_sgpr_count 6
		.amdhsa_user_sgpr_private_segment_buffer 1
		.amdhsa_user_sgpr_dispatch_ptr 0
		.amdhsa_user_sgpr_queue_ptr 0
		.amdhsa_user_sgpr_kernarg_segment_ptr 1
		.amdhsa_user_sgpr_dispatch_id 0
		.amdhsa_user_sgpr_flat_scratch_init 0
		.amdhsa_user_sgpr_private_segment_size 0
		.amdhsa_uses_dynamic_stack 0
		.amdhsa_system_sgpr_private_segment_wavefront_offset 1
		.amdhsa_system_sgpr_workgroup_id_x 1
		.amdhsa_system_sgpr_workgroup_id_y 1
		.amdhsa_system_sgpr_workgroup_id_z 0
		.amdhsa_system_sgpr_workgroup_info 0
		.amdhsa_system_vgpr_workitem_id 1
		.amdhsa_next_free_vgpr 128
		.amdhsa_next_free_sgpr 24
		.amdhsa_reserve_vcc 1
		.amdhsa_reserve_flat_scratch 0
		.amdhsa_float_round_mode_32 0
		.amdhsa_float_round_mode_16_64 0
		.amdhsa_float_denorm_mode_32 3
		.amdhsa_float_denorm_mode_16_64 3
		.amdhsa_dx10_clamp 1
		.amdhsa_ieee_mode 1
		.amdhsa_fp16_overflow 0
		.amdhsa_exception_fp_ieee_invalid_op 0
		.amdhsa_exception_fp_denorm_src 0
		.amdhsa_exception_fp_ieee_div_zero 0
		.amdhsa_exception_fp_ieee_overflow 0
		.amdhsa_exception_fp_ieee_underflow 0
		.amdhsa_exception_fp_ieee_inexact 0
		.amdhsa_exception_int_div_zero 0
	.end_amdhsa_kernel
	.section	.text._ZN9rocsolver6v33100L23getf2_npvt_small_kernelILi37E19rocblas_complex_numIdEiiPS3_EEvT1_T3_lS5_lPT2_S5_S5_,"axG",@progbits,_ZN9rocsolver6v33100L23getf2_npvt_small_kernelILi37E19rocblas_complex_numIdEiiPS3_EEvT1_T3_lS5_lPT2_S5_S5_,comdat
.Lfunc_end73:
	.size	_ZN9rocsolver6v33100L23getf2_npvt_small_kernelILi37E19rocblas_complex_numIdEiiPS3_EEvT1_T3_lS5_lPT2_S5_S5_, .Lfunc_end73-_ZN9rocsolver6v33100L23getf2_npvt_small_kernelILi37E19rocblas_complex_numIdEiiPS3_EEvT1_T3_lS5_lPT2_S5_S5_
                                        ; -- End function
	.set _ZN9rocsolver6v33100L23getf2_npvt_small_kernelILi37E19rocblas_complex_numIdEiiPS3_EEvT1_T3_lS5_lPT2_S5_S5_.num_vgpr, 128
	.set _ZN9rocsolver6v33100L23getf2_npvt_small_kernelILi37E19rocblas_complex_numIdEiiPS3_EEvT1_T3_lS5_lPT2_S5_S5_.num_agpr, 0
	.set _ZN9rocsolver6v33100L23getf2_npvt_small_kernelILi37E19rocblas_complex_numIdEiiPS3_EEvT1_T3_lS5_lPT2_S5_S5_.numbered_sgpr, 24
	.set _ZN9rocsolver6v33100L23getf2_npvt_small_kernelILi37E19rocblas_complex_numIdEiiPS3_EEvT1_T3_lS5_lPT2_S5_S5_.num_named_barrier, 0
	.set _ZN9rocsolver6v33100L23getf2_npvt_small_kernelILi37E19rocblas_complex_numIdEiiPS3_EEvT1_T3_lS5_lPT2_S5_S5_.private_seg_size, 1028
	.set _ZN9rocsolver6v33100L23getf2_npvt_small_kernelILi37E19rocblas_complex_numIdEiiPS3_EEvT1_T3_lS5_lPT2_S5_S5_.uses_vcc, 1
	.set _ZN9rocsolver6v33100L23getf2_npvt_small_kernelILi37E19rocblas_complex_numIdEiiPS3_EEvT1_T3_lS5_lPT2_S5_S5_.uses_flat_scratch, 0
	.set _ZN9rocsolver6v33100L23getf2_npvt_small_kernelILi37E19rocblas_complex_numIdEiiPS3_EEvT1_T3_lS5_lPT2_S5_S5_.has_dyn_sized_stack, 0
	.set _ZN9rocsolver6v33100L23getf2_npvt_small_kernelILi37E19rocblas_complex_numIdEiiPS3_EEvT1_T3_lS5_lPT2_S5_S5_.has_recursion, 0
	.set _ZN9rocsolver6v33100L23getf2_npvt_small_kernelILi37E19rocblas_complex_numIdEiiPS3_EEvT1_T3_lS5_lPT2_S5_S5_.has_indirect_call, 0
	.section	.AMDGPU.csdata,"",@progbits
; Kernel info:
; codeLenInByte = 88404
; TotalNumSgprs: 28
; NumVgprs: 128
; ScratchSize: 1028
; MemoryBound: 1
; FloatMode: 240
; IeeeMode: 1
; LDSByteSize: 0 bytes/workgroup (compile time only)
; SGPRBlocks: 3
; VGPRBlocks: 31
; NumSGPRsForWavesPerEU: 28
; NumVGPRsForWavesPerEU: 128
; Occupancy: 2
; WaveLimiterHint : 0
; COMPUTE_PGM_RSRC2:SCRATCH_EN: 1
; COMPUTE_PGM_RSRC2:USER_SGPR: 6
; COMPUTE_PGM_RSRC2:TRAP_HANDLER: 0
; COMPUTE_PGM_RSRC2:TGID_X_EN: 1
; COMPUTE_PGM_RSRC2:TGID_Y_EN: 1
; COMPUTE_PGM_RSRC2:TGID_Z_EN: 0
; COMPUTE_PGM_RSRC2:TIDIG_COMP_CNT: 1
	.section	.text._ZN9rocsolver6v33100L18getf2_small_kernelILi38E19rocblas_complex_numIdEiiPS3_EEvT1_T3_lS5_lPS5_llPT2_S5_S5_S7_l,"axG",@progbits,_ZN9rocsolver6v33100L18getf2_small_kernelILi38E19rocblas_complex_numIdEiiPS3_EEvT1_T3_lS5_lPS5_llPT2_S5_S5_S7_l,comdat
	.globl	_ZN9rocsolver6v33100L18getf2_small_kernelILi38E19rocblas_complex_numIdEiiPS3_EEvT1_T3_lS5_lPS5_llPT2_S5_S5_S7_l ; -- Begin function _ZN9rocsolver6v33100L18getf2_small_kernelILi38E19rocblas_complex_numIdEiiPS3_EEvT1_T3_lS5_lPS5_llPT2_S5_S5_S7_l
	.p2align	8
	.type	_ZN9rocsolver6v33100L18getf2_small_kernelILi38E19rocblas_complex_numIdEiiPS3_EEvT1_T3_lS5_lPS5_llPT2_S5_S5_S7_l,@function
_ZN9rocsolver6v33100L18getf2_small_kernelILi38E19rocblas_complex_numIdEiiPS3_EEvT1_T3_lS5_lPS5_llPT2_S5_S5_S7_l: ; @_ZN9rocsolver6v33100L18getf2_small_kernelILi38E19rocblas_complex_numIdEiiPS3_EEvT1_T3_lS5_lPS5_llPT2_S5_S5_S7_l
; %bb.0:
	s_mov_b64 s[26:27], s[2:3]
	s_mov_b64 s[24:25], s[0:1]
	s_load_dword s0, s[4:5], 0x6c
	s_load_dwordx2 s[16:17], s[4:5], 0x48
	s_add_u32 s24, s24, s8
	s_addc_u32 s25, s25, 0
	s_waitcnt lgkmcnt(0)
	s_lshr_b32 s0, s0, 16
	s_mul_i32 s7, s7, s0
	v_add_u32_e32 v6, s7, v1
	v_cmp_gt_i32_e32 vcc, s16, v6
	s_and_saveexec_b64 s[0:1], vcc
	s_cbranch_execz .LBB74_799
; %bb.1:
	s_load_dwordx4 s[0:3], s[4:5], 0x50
	v_mov_b32_e32 v2, 0
	v_ashrrev_i32_e32 v7, 31, v6
	v_mov_b32_e32 v3, 0
	s_waitcnt lgkmcnt(0)
	s_cmp_eq_u64 s[0:1], 0
	s_cselect_b64 s[6:7], -1, 0
	s_and_b64 vcc, exec, s[6:7]
	s_cbranch_vccnz .LBB74_3
; %bb.2:
	v_mul_lo_u32 v4, s3, v6
	v_mul_lo_u32 v5, s2, v7
	v_mad_u64_u32 v[2:3], s[2:3], s2, v6, 0
	v_add3_u32 v3, v3, v5, v4
	v_lshlrev_b64 v[2:3], 2, v[2:3]
	v_mov_b32_e32 v4, s1
	v_add_co_u32_e32 v2, vcc, s0, v2
	v_addc_co_u32_e32 v3, vcc, v4, v3, vcc
.LBB74_3:
	buffer_store_dword v2, off, s[24:27], 0 offset:192 ; 4-byte Folded Spill
	s_nop 0
	buffer_store_dword v3, off, s[24:27], 0 offset:196 ; 4-byte Folded Spill
	s_load_dwordx8 s[8:15], s[4:5], 0x20
	s_load_dwordx4 s[20:23], s[4:5], 0x8
	s_load_dword s2, s[4:5], 0x18
	v_lshlrev_b32_e32 v52, 4, v0
	s_waitcnt lgkmcnt(0)
	v_mul_lo_u32 v4, s9, v6
	v_mul_lo_u32 v5, s8, v7
	buffer_store_dword v6, off, s[24:27], 0 offset:216 ; 4-byte Folded Spill
	s_nop 0
	buffer_store_dword v7, off, s[24:27], 0 offset:220 ; 4-byte Folded Spill
	s_add_i32 s16, s2, s2
	s_ashr_i32 s3, s2, 31
	v_mad_u64_u32 v[2:3], s[0:1], s8, v6, 0
	v_mov_b32_e32 v6, s21
	s_lshl_b64 s[0:1], s[22:23], 4
	v_add3_u32 v3, v3, v5, v4
	v_lshlrev_b64 v[2:3], 4, v[2:3]
	v_mov_b32_e32 v4, s1
	v_add_co_u32_e32 v2, vcc, s20, v2
	v_addc_co_u32_e32 v3, vcc, v6, v3, vcc
	v_add_co_u32_e32 v127, vcc, s0, v2
	v_addc_co_u32_e32 v97, vcc, v3, v4, vcc
	v_add_u32_e32 v4, s16, v0
	v_ashrrev_i32_e32 v5, 31, v4
	v_lshlrev_b64 v[2:3], 4, v[4:5]
	v_add_u32_e32 v6, s2, v4
	v_ashrrev_i32_e32 v7, 31, v6
	v_add_co_u32_e32 v2, vcc, v127, v2
	v_lshlrev_b64 v[4:5], 4, v[6:7]
	v_add_u32_e32 v8, s2, v6
	v_addc_co_u32_e32 v3, vcc, v97, v3, vcc
	v_ashrrev_i32_e32 v9, 31, v8
	v_add_co_u32_e32 v4, vcc, v127, v4
	v_lshlrev_b64 v[6:7], 4, v[8:9]
	v_add_u32_e32 v10, s2, v8
	v_addc_co_u32_e32 v5, vcc, v97, v5, vcc
	;; [unrolled: 5-line block ×22, first 2 shown]
	v_ashrrev_i32_e32 v49, 31, v48
	v_add_co_u32_e32 v46, vcc, v127, v46
	v_lshlrev_b64 v[49:50], 4, v[48:49]
	v_addc_co_u32_e32 v47, vcc, v97, v47, vcc
	v_add_u32_e32 v48, s2, v48
	v_add_co_u32_e32 v109, vcc, v127, v49
	v_ashrrev_i32_e32 v49, 31, v48
	v_addc_co_u32_e32 v110, vcc, v97, v50, vcc
	v_lshlrev_b64 v[49:50], 4, v[48:49]
	v_add_u32_e32 v48, s2, v48
	v_add_co_u32_e32 v111, vcc, v127, v49
	v_ashrrev_i32_e32 v49, 31, v48
	v_addc_co_u32_e32 v112, vcc, v97, v50, vcc
	v_lshlrev_b64 v[49:50], 4, v[48:49]
	;; [unrolled: 5-line block ×10, first 2 shown]
	v_add_u32_e32 v48, s2, v48
	v_add_co_u32_e32 v107, vcc, v127, v49
	v_ashrrev_i32_e32 v49, 31, v48
	s_lshl_b64 s[8:9], s[2:3], 4
	s_load_dword s3, s[4:5], 0x0
	v_addc_co_u32_e32 v108, vcc, v97, v50, vcc
	v_lshlrev_b64 v[49:50], 4, v[48:49]
	v_add_u32_e32 v48, s2, v48
	v_add_co_u32_e32 v101, vcc, v127, v49
	v_ashrrev_i32_e32 v49, 31, v48
	v_lshlrev_b64 v[48:49], 4, v[48:49]
	v_addc_co_u32_e32 v102, vcc, v97, v50, vcc
	s_waitcnt lgkmcnt(0)
	s_max_i32 s0, s3, 38
	v_add_co_u32_e32 v103, vcc, v127, v48
	v_mul_lo_u32 v99, s0, v1
	v_addc_co_u32_e32 v104, vcc, v97, v49, vcc
	v_add_co_u32_e32 v50, vcc, v127, v52
	v_addc_co_u32_e32 v51, vcc, 0, v97, vcc
	v_mov_b32_e32 v49, s9
	v_add_co_u32_e32 v48, vcc, s8, v50
	v_lshl_add_u32 v98, v99, 4, 0
	v_addc_co_u32_e32 v49, vcc, v51, v49, vcc
	v_add_u32_e32 v1, v98, v52
	global_load_dwordx4 v[50:53], v[50:51], off
	s_nop 0
	global_load_dwordx4 v[54:57], v[48:49], off
	s_waitcnt vmcnt(0)
	buffer_store_dword v54, off, s[24:27], 0 offset:176 ; 4-byte Folded Spill
	s_nop 0
	buffer_store_dword v55, off, s[24:27], 0 offset:180 ; 4-byte Folded Spill
	buffer_store_dword v56, off, s[24:27], 0 offset:184 ; 4-byte Folded Spill
	buffer_store_dword v57, off, s[24:27], 0 offset:188 ; 4-byte Folded Spill
	buffer_store_dword v50, off, s[24:27], 0 offset:200 ; 4-byte Folded Spill
	s_nop 0
	buffer_store_dword v51, off, s[24:27], 0 offset:204 ; 4-byte Folded Spill
	buffer_store_dword v52, off, s[24:27], 0 offset:208 ; 4-byte Folded Spill
	;; [unrolled: 1-line block ×3, first 2 shown]
	s_load_dwordx2 s[4:5], s[4:5], 0x40
	s_cmp_lt_i32 s3, 2
	ds_write2_b64 v1, v[50:51], v[52:53] offset1:1
	global_load_dwordx4 v[48:51], v[2:3], off
	s_waitcnt vmcnt(0)
	buffer_store_dword v48, off, s[24:27], 0 offset:160 ; 4-byte Folded Spill
	s_nop 0
	buffer_store_dword v49, off, s[24:27], 0 offset:164 ; 4-byte Folded Spill
	buffer_store_dword v50, off, s[24:27], 0 offset:168 ; 4-byte Folded Spill
	buffer_store_dword v51, off, s[24:27], 0 offset:172 ; 4-byte Folded Spill
	global_load_dwordx4 v[1:4], v[4:5], off
	s_waitcnt vmcnt(0)
	buffer_store_dword v1, off, s[24:27], 0 offset:144 ; 4-byte Folded Spill
	s_nop 0
	buffer_store_dword v2, off, s[24:27], 0 offset:148 ; 4-byte Folded Spill
	buffer_store_dword v3, off, s[24:27], 0 offset:152 ; 4-byte Folded Spill
	buffer_store_dword v4, off, s[24:27], 0 offset:156 ; 4-byte Folded Spill
	;; [unrolled: 7-line block ×10, first 2 shown]
	global_load_dwordx4 v[1:4], v[22:23], off
	s_waitcnt vmcnt(0)
	buffer_store_dword v1, off, s[24:27], 0 ; 4-byte Folded Spill
	s_nop 0
	buffer_store_dword v2, off, s[24:27], 0 offset:4 ; 4-byte Folded Spill
	buffer_store_dword v3, off, s[24:27], 0 offset:8 ; 4-byte Folded Spill
	;; [unrolled: 1-line block ×3, first 2 shown]
	global_load_dwordx4 v[93:96], v[24:25], off
	global_load_dwordx4 v[89:92], v[26:27], off
	global_load_dwordx4 v[85:88], v[28:29], off
	global_load_dwordx4 v[81:84], v[30:31], off
	global_load_dwordx4 v[77:80], v[32:33], off
	global_load_dwordx4 v[73:76], v[34:35], off
	global_load_dwordx4 v[69:72], v[36:37], off
	global_load_dwordx4 v[65:68], v[38:39], off
	global_load_dwordx4 v[61:64], v[40:41], off
	global_load_dwordx4 v[57:60], v[42:43], off
	global_load_dwordx4 v[53:56], v[44:45], off
	global_load_dwordx4 v[49:52], v[46:47], off
	s_nop 0
	global_load_dwordx4 v[45:48], v[109:110], off
	global_load_dwordx4 v[41:44], v[111:112], off
	;; [unrolled: 1-line block ×13, first 2 shown]
	s_waitcnt vmcnt(0) lgkmcnt(0)
	s_barrier
	ds_read2_b64 v[121:124], v98 offset1:1
	v_lshlrev_b32_e32 v103, 4, v99
	v_mov_b32_e32 v101, 0
	s_cbranch_scc1 .LBB74_6
; %bb.4:
	v_add3_u32 v99, v103, 0, 16
	s_mov_b32 s0, 1
	v_mov_b32_e32 v101, 0
.LBB74_5:                               ; =>This Inner Loop Header: Depth=1
	s_waitcnt lgkmcnt(0)
	v_cmp_gt_f64_e32 vcc, 0, v[121:122]
	v_xor_b32_e32 v100, 0x80000000, v122
	ds_read2_b64 v[104:107], v99 offset1:1
	v_mov_b32_e32 v113, v121
	v_mov_b32_e32 v115, v123
	v_add_u32_e32 v99, 16, v99
	s_waitcnt lgkmcnt(0)
	v_mov_b32_e32 v117, v106
	v_cndmask_b32_e32 v114, v122, v100, vcc
	v_cmp_gt_f64_e32 vcc, 0, v[123:124]
	v_xor_b32_e32 v100, 0x80000000, v124
	v_cndmask_b32_e32 v116, v124, v100, vcc
	v_cmp_gt_f64_e32 vcc, 0, v[104:105]
	v_xor_b32_e32 v100, 0x80000000, v105
	v_add_f64 v[113:114], v[113:114], v[115:116]
	v_mov_b32_e32 v115, v104
	v_cndmask_b32_e32 v116, v105, v100, vcc
	v_cmp_gt_f64_e32 vcc, 0, v[106:107]
	v_xor_b32_e32 v100, 0x80000000, v107
	v_cndmask_b32_e32 v118, v107, v100, vcc
	v_add_f64 v[115:116], v[115:116], v[117:118]
	v_mov_b32_e32 v100, s0
	s_add_i32 s0, s0, 1
	s_cmp_eq_u32 s3, s0
	v_cmp_lt_f64_e32 vcc, v[113:114], v[115:116]
	v_cndmask_b32_e32 v122, v122, v105, vcc
	v_cndmask_b32_e32 v121, v121, v104, vcc
	;; [unrolled: 1-line block ×5, first 2 shown]
	s_cbranch_scc0 .LBB74_5
.LBB74_6:
	buffer_load_dword v119, off, s[24:27], 0 offset:192 ; 4-byte Folded Reload
	buffer_load_dword v120, off, s[24:27], 0 offset:196 ; 4-byte Folded Reload
	s_waitcnt lgkmcnt(0)
	v_cmp_neq_f64_e32 vcc, 0, v[121:122]
	v_cmp_neq_f64_e64 s[0:1], 0, v[123:124]
	v_mov_b32_e32 v99, 1
	v_mov_b32_e32 v104, 1
	s_or_b64 s[18:19], vcc, s[0:1]
	s_and_saveexec_b64 s[0:1], s[18:19]
	s_cbranch_execz .LBB74_12
; %bb.7:
	v_cmp_ngt_f64_e64 s[18:19], |v[121:122]|, |v[123:124]|
	s_and_saveexec_b64 s[20:21], s[18:19]
	s_xor_b64 s[18:19], exec, s[20:21]
	s_cbranch_execz .LBB74_9
; %bb.8:
	v_div_scale_f64 v[99:100], s[20:21], v[123:124], v[123:124], v[121:122]
	v_rcp_f64_e32 v[104:105], v[99:100]
	v_fma_f64 v[106:107], -v[99:100], v[104:105], 1.0
	v_fma_f64 v[104:105], v[104:105], v[106:107], v[104:105]
	v_div_scale_f64 v[106:107], vcc, v[121:122], v[123:124], v[121:122]
	v_fma_f64 v[113:114], -v[99:100], v[104:105], 1.0
	v_fma_f64 v[104:105], v[104:105], v[113:114], v[104:105]
	v_mul_f64 v[113:114], v[106:107], v[104:105]
	v_fma_f64 v[99:100], -v[99:100], v[113:114], v[106:107]
	v_div_fmas_f64 v[99:100], v[99:100], v[104:105], v[113:114]
	v_div_fixup_f64 v[99:100], v[99:100], v[123:124], v[121:122]
	v_fma_f64 v[104:105], v[121:122], v[99:100], v[123:124]
	v_div_scale_f64 v[106:107], s[20:21], v[104:105], v[104:105], 1.0
	v_div_scale_f64 v[117:118], vcc, 1.0, v[104:105], 1.0
	v_rcp_f64_e32 v[113:114], v[106:107]
	v_fma_f64 v[115:116], -v[106:107], v[113:114], 1.0
	v_fma_f64 v[113:114], v[113:114], v[115:116], v[113:114]
	v_fma_f64 v[115:116], -v[106:107], v[113:114], 1.0
	v_fma_f64 v[113:114], v[113:114], v[115:116], v[113:114]
	v_mul_f64 v[115:116], v[117:118], v[113:114]
	v_fma_f64 v[106:107], -v[106:107], v[115:116], v[117:118]
	v_div_fmas_f64 v[106:107], v[106:107], v[113:114], v[115:116]
	v_div_fixup_f64 v[123:124], v[106:107], v[104:105], 1.0
	v_mul_f64 v[121:122], v[99:100], v[123:124]
	v_xor_b32_e32 v124, 0x80000000, v124
.LBB74_9:
	s_andn2_saveexec_b64 s[18:19], s[18:19]
	s_cbranch_execz .LBB74_11
; %bb.10:
	v_div_scale_f64 v[99:100], s[20:21], v[121:122], v[121:122], v[123:124]
	v_rcp_f64_e32 v[104:105], v[99:100]
	v_fma_f64 v[106:107], -v[99:100], v[104:105], 1.0
	v_fma_f64 v[104:105], v[104:105], v[106:107], v[104:105]
	v_div_scale_f64 v[106:107], vcc, v[123:124], v[121:122], v[123:124]
	v_fma_f64 v[113:114], -v[99:100], v[104:105], 1.0
	v_fma_f64 v[104:105], v[104:105], v[113:114], v[104:105]
	v_mul_f64 v[113:114], v[106:107], v[104:105]
	v_fma_f64 v[99:100], -v[99:100], v[113:114], v[106:107]
	v_div_fmas_f64 v[99:100], v[99:100], v[104:105], v[113:114]
	v_div_fixup_f64 v[99:100], v[99:100], v[121:122], v[123:124]
	v_fma_f64 v[104:105], v[123:124], v[99:100], v[121:122]
	v_div_scale_f64 v[106:107], s[20:21], v[104:105], v[104:105], 1.0
	v_div_scale_f64 v[117:118], vcc, 1.0, v[104:105], 1.0
	v_rcp_f64_e32 v[113:114], v[106:107]
	v_fma_f64 v[115:116], -v[106:107], v[113:114], 1.0
	v_fma_f64 v[113:114], v[113:114], v[115:116], v[113:114]
	v_fma_f64 v[115:116], -v[106:107], v[113:114], 1.0
	v_fma_f64 v[113:114], v[113:114], v[115:116], v[113:114]
	v_mul_f64 v[115:116], v[117:118], v[113:114]
	v_fma_f64 v[106:107], -v[106:107], v[115:116], v[117:118]
	v_div_fmas_f64 v[106:107], v[106:107], v[113:114], v[115:116]
	v_div_fixup_f64 v[121:122], v[106:107], v[104:105], 1.0
	v_mul_f64 v[123:124], v[99:100], -v[121:122]
.LBB74_11:
	s_or_b64 exec, exec, s[18:19]
	v_mov_b32_e32 v104, 0
	v_mov_b32_e32 v99, 2
.LBB74_12:
	s_or_b64 exec, exec, s[0:1]
	v_cmp_ne_u32_e32 vcc, v0, v101
	s_and_saveexec_b64 s[0:1], vcc
	s_xor_b64 s[0:1], exec, s[0:1]
	s_cbranch_execz .LBB74_18
; %bb.13:
	v_cmp_eq_u32_e32 vcc, 0, v0
	s_and_saveexec_b64 s[18:19], vcc
	s_cbranch_execz .LBB74_17
; %bb.14:
	v_cmp_ne_u32_e32 vcc, 0, v101
	s_xor_b64 s[20:21], s[6:7], -1
	s_and_b64 s[22:23], s[20:21], vcc
	s_and_saveexec_b64 s[20:21], s[22:23]
	s_cbranch_execz .LBB74_16
; %bb.15:
	v_ashrrev_i32_e32 v102, 31, v101
	v_lshlrev_b64 v[105:106], 2, v[101:102]
	s_waitcnt vmcnt(1)
	v_add_co_u32_e32 v105, vcc, v119, v105
	s_waitcnt vmcnt(0)
	v_addc_co_u32_e32 v106, vcc, v120, v106, vcc
	global_load_dword v0, v[105:106], off
	global_load_dword v100, v[119:120], off
	s_waitcnt vmcnt(1)
	global_store_dword v[119:120], v0, off
	s_waitcnt vmcnt(1)
	global_store_dword v[105:106], v100, off
.LBB74_16:
	s_or_b64 exec, exec, s[20:21]
	v_mov_b32_e32 v0, v101
.LBB74_17:
	s_or_b64 exec, exec, s[18:19]
.LBB74_18:
	s_or_saveexec_b64 s[0:1], s[0:1]
	v_mov_b32_e32 v100, v0
	s_xor_b64 exec, exec, s[0:1]
	s_cbranch_execz .LBB74_20
; %bb.19:
	buffer_load_dword v105, off, s[24:27], 0 offset:176 ; 4-byte Folded Reload
	buffer_load_dword v106, off, s[24:27], 0 offset:180 ; 4-byte Folded Reload
	;; [unrolled: 1-line block ×4, first 2 shown]
	v_mov_b32_e32 v100, 0
	s_waitcnt vmcnt(0)
	ds_write2_b64 v98, v[105:106], v[107:108] offset0:2 offset1:3
	buffer_load_dword v105, off, s[24:27], 0 offset:160 ; 4-byte Folded Reload
	buffer_load_dword v106, off, s[24:27], 0 offset:164 ; 4-byte Folded Reload
	buffer_load_dword v107, off, s[24:27], 0 offset:168 ; 4-byte Folded Reload
	buffer_load_dword v108, off, s[24:27], 0 offset:172 ; 4-byte Folded Reload
	s_waitcnt vmcnt(0)
	ds_write2_b64 v98, v[105:106], v[107:108] offset0:4 offset1:5
	buffer_load_dword v105, off, s[24:27], 0 offset:144 ; 4-byte Folded Reload
	buffer_load_dword v106, off, s[24:27], 0 offset:148 ; 4-byte Folded Reload
	buffer_load_dword v107, off, s[24:27], 0 offset:152 ; 4-byte Folded Reload
	buffer_load_dword v108, off, s[24:27], 0 offset:156 ; 4-byte Folded Reload
	;; [unrolled: 6-line block ×10, first 2 shown]
	s_waitcnt vmcnt(0)
	ds_write2_b64 v98, v[105:106], v[107:108] offset0:22 offset1:23
	buffer_load_dword v105, off, s[24:27], 0 ; 4-byte Folded Reload
	buffer_load_dword v106, off, s[24:27], 0 offset:4 ; 4-byte Folded Reload
	buffer_load_dword v107, off, s[24:27], 0 offset:8 ; 4-byte Folded Reload
	;; [unrolled: 1-line block ×3, first 2 shown]
	s_waitcnt vmcnt(0)
	ds_write2_b64 v98, v[105:106], v[107:108] offset0:24 offset1:25
	ds_write2_b64 v98, v[93:94], v[95:96] offset0:26 offset1:27
	;; [unrolled: 1-line block ×26, first 2 shown]
.LBB74_20:
	s_or_b64 exec, exec, s[0:1]
	v_cmp_lt_i32_e32 vcc, 0, v100
	s_waitcnt vmcnt(0) lgkmcnt(0)
	s_barrier
	s_and_saveexec_b64 s[0:1], vcc
	s_cbranch_execz .LBB74_22
; %bb.21:
	buffer_load_dword v115, off, s[24:27], 0 offset:200 ; 4-byte Folded Reload
	buffer_load_dword v116, off, s[24:27], 0 offset:204 ; 4-byte Folded Reload
	;; [unrolled: 1-line block ×4, first 2 shown]
	ds_read2_b64 v[105:108], v98 offset0:2 offset1:3
	s_waitcnt vmcnt(0)
	v_mul_f64 v[101:102], v[123:124], v[117:118]
	v_fma_f64 v[125:126], v[121:122], v[115:116], -v[101:102]
	v_mul_f64 v[101:102], v[121:122], v[117:118]
	v_fma_f64 v[117:118], v[123:124], v[115:116], v[101:102]
	buffer_load_dword v113, off, s[24:27], 0 offset:176 ; 4-byte Folded Reload
	buffer_load_dword v114, off, s[24:27], 0 offset:180 ; 4-byte Folded Reload
	buffer_load_dword v115, off, s[24:27], 0 offset:184 ; 4-byte Folded Reload
	buffer_load_dword v116, off, s[24:27], 0 offset:188 ; 4-byte Folded Reload
	s_waitcnt lgkmcnt(0)
	v_mul_f64 v[101:102], v[107:108], v[117:118]
	v_fma_f64 v[101:102], v[105:106], v[125:126], -v[101:102]
	v_mul_f64 v[105:106], v[105:106], v[117:118]
	v_fma_f64 v[105:106], v[107:108], v[125:126], v[105:106]
	s_waitcnt vmcnt(2)
	v_add_f64 v[113:114], v[113:114], -v[101:102]
	s_waitcnt vmcnt(0)
	v_add_f64 v[115:116], v[115:116], -v[105:106]
	buffer_store_dword v113, off, s[24:27], 0 offset:176 ; 4-byte Folded Spill
	s_nop 0
	buffer_store_dword v114, off, s[24:27], 0 offset:180 ; 4-byte Folded Spill
	buffer_store_dword v115, off, s[24:27], 0 offset:184 ; 4-byte Folded Spill
	buffer_store_dword v116, off, s[24:27], 0 offset:188 ; 4-byte Folded Spill
	ds_read2_b64 v[105:108], v98 offset0:4 offset1:5
	buffer_load_dword v113, off, s[24:27], 0 offset:160 ; 4-byte Folded Reload
	buffer_load_dword v114, off, s[24:27], 0 offset:164 ; 4-byte Folded Reload
	buffer_load_dword v115, off, s[24:27], 0 offset:168 ; 4-byte Folded Reload
	buffer_load_dword v116, off, s[24:27], 0 offset:172 ; 4-byte Folded Reload
	s_waitcnt lgkmcnt(0)
	v_mul_f64 v[101:102], v[107:108], v[117:118]
	v_fma_f64 v[101:102], v[105:106], v[125:126], -v[101:102]
	v_mul_f64 v[105:106], v[105:106], v[117:118]
	v_fma_f64 v[105:106], v[107:108], v[125:126], v[105:106]
	s_waitcnt vmcnt(2)
	v_add_f64 v[113:114], v[113:114], -v[101:102]
	s_waitcnt vmcnt(0)
	v_add_f64 v[115:116], v[115:116], -v[105:106]
	buffer_store_dword v113, off, s[24:27], 0 offset:160 ; 4-byte Folded Spill
	s_nop 0
	buffer_store_dword v114, off, s[24:27], 0 offset:164 ; 4-byte Folded Spill
	buffer_store_dword v115, off, s[24:27], 0 offset:168 ; 4-byte Folded Spill
	buffer_store_dword v116, off, s[24:27], 0 offset:172 ; 4-byte Folded Spill
	ds_read2_b64 v[105:108], v98 offset0:6 offset1:7
	;; [unrolled: 19-line block ×11, first 2 shown]
	buffer_load_dword v113, off, s[24:27], 0 ; 4-byte Folded Reload
	buffer_load_dword v114, off, s[24:27], 0 offset:4 ; 4-byte Folded Reload
	buffer_load_dword v115, off, s[24:27], 0 offset:8 ; 4-byte Folded Reload
	;; [unrolled: 1-line block ×3, first 2 shown]
	s_waitcnt lgkmcnt(0)
	v_mul_f64 v[101:102], v[107:108], v[117:118]
	v_fma_f64 v[101:102], v[105:106], v[125:126], -v[101:102]
	v_mul_f64 v[105:106], v[105:106], v[117:118]
	v_fma_f64 v[105:106], v[107:108], v[125:126], v[105:106]
	s_waitcnt vmcnt(2)
	v_add_f64 v[113:114], v[113:114], -v[101:102]
	s_waitcnt vmcnt(0)
	v_add_f64 v[115:116], v[115:116], -v[105:106]
	buffer_store_dword v113, off, s[24:27], 0 ; 4-byte Folded Spill
	s_nop 0
	buffer_store_dword v114, off, s[24:27], 0 offset:4 ; 4-byte Folded Spill
	buffer_store_dword v115, off, s[24:27], 0 offset:8 ; 4-byte Folded Spill
	;; [unrolled: 1-line block ×3, first 2 shown]
	ds_read2_b64 v[105:108], v98 offset0:26 offset1:27
	v_mov_b32_e32 v115, v125
	v_mov_b32_e32 v116, v126
	s_waitcnt lgkmcnt(0)
	v_mul_f64 v[101:102], v[107:108], v[117:118]
	v_fma_f64 v[101:102], v[105:106], v[125:126], -v[101:102]
	v_mul_f64 v[105:106], v[105:106], v[117:118]
	v_add_f64 v[93:94], v[93:94], -v[101:102]
	v_fma_f64 v[105:106], v[107:108], v[125:126], v[105:106]
	v_add_f64 v[95:96], v[95:96], -v[105:106]
	ds_read2_b64 v[105:108], v98 offset0:28 offset1:29
	s_waitcnt lgkmcnt(0)
	v_mul_f64 v[101:102], v[107:108], v[117:118]
	v_fma_f64 v[101:102], v[105:106], v[125:126], -v[101:102]
	v_mul_f64 v[105:106], v[105:106], v[117:118]
	v_add_f64 v[89:90], v[89:90], -v[101:102]
	v_fma_f64 v[105:106], v[107:108], v[125:126], v[105:106]
	v_add_f64 v[91:92], v[91:92], -v[105:106]
	ds_read2_b64 v[105:108], v98 offset0:30 offset1:31
	;; [unrolled: 8-line block ×24, first 2 shown]
	s_waitcnt lgkmcnt(0)
	v_mul_f64 v[101:102], v[107:108], v[117:118]
	v_fma_f64 v[101:102], v[105:106], v[125:126], -v[101:102]
	v_mul_f64 v[105:106], v[105:106], v[117:118]
	buffer_store_dword v115, off, s[24:27], 0 offset:200 ; 4-byte Folded Spill
	s_nop 0
	buffer_store_dword v116, off, s[24:27], 0 offset:204 ; 4-byte Folded Spill
	buffer_store_dword v117, off, s[24:27], 0 offset:208 ; 4-byte Folded Spill
	;; [unrolled: 1-line block ×3, first 2 shown]
	v_add_f64 v[109:110], v[109:110], -v[101:102]
	v_fma_f64 v[105:106], v[107:108], v[125:126], v[105:106]
	v_add_f64 v[111:112], v[111:112], -v[105:106]
.LBB74_22:
	s_or_b64 exec, exec, s[0:1]
	s_waitcnt vmcnt(0)
	s_barrier
	buffer_load_dword v105, off, s[24:27], 0 offset:176 ; 4-byte Folded Reload
	buffer_load_dword v106, off, s[24:27], 0 offset:180 ; 4-byte Folded Reload
	;; [unrolled: 1-line block ×4, first 2 shown]
	v_lshl_add_u32 v101, v100, 4, v98
	s_cmp_lt_i32 s3, 3
	s_waitcnt vmcnt(0)
	ds_write2_b64 v101, v[105:106], v[107:108] offset1:1
	s_waitcnt lgkmcnt(0)
	s_barrier
	ds_read2_b64 v[121:124], v98 offset0:2 offset1:3
	v_mov_b32_e32 v101, 1
	s_cbranch_scc1 .LBB74_25
; %bb.23:
	v_add3_u32 v102, v103, 0, 32
	s_mov_b32 s0, 2
	v_mov_b32_e32 v101, 1
.LBB74_24:                              ; =>This Inner Loop Header: Depth=1
	s_waitcnt lgkmcnt(0)
	v_cmp_gt_f64_e32 vcc, 0, v[121:122]
	v_xor_b32_e32 v113, 0x80000000, v122
	ds_read2_b64 v[105:108], v102 offset1:1
	v_xor_b32_e32 v115, 0x80000000, v124
	v_add_u32_e32 v102, 16, v102
	s_waitcnt lgkmcnt(0)
	v_xor_b32_e32 v117, 0x80000000, v108
	v_cndmask_b32_e32 v114, v122, v113, vcc
	v_cmp_gt_f64_e32 vcc, 0, v[123:124]
	v_mov_b32_e32 v113, v121
	v_cndmask_b32_e32 v116, v124, v115, vcc
	v_cmp_gt_f64_e32 vcc, 0, v[105:106]
	v_mov_b32_e32 v115, v123
	v_add_f64 v[113:114], v[113:114], v[115:116]
	v_xor_b32_e32 v115, 0x80000000, v106
	v_cndmask_b32_e32 v116, v106, v115, vcc
	v_cmp_gt_f64_e32 vcc, 0, v[107:108]
	v_mov_b32_e32 v115, v105
	v_cndmask_b32_e32 v118, v108, v117, vcc
	v_mov_b32_e32 v117, v107
	v_add_f64 v[115:116], v[115:116], v[117:118]
	v_cmp_lt_f64_e32 vcc, v[113:114], v[115:116]
	v_cndmask_b32_e32 v121, v121, v105, vcc
	v_mov_b32_e32 v105, s0
	s_add_i32 s0, s0, 1
	v_cndmask_b32_e32 v122, v122, v106, vcc
	v_cndmask_b32_e32 v124, v124, v108, vcc
	;; [unrolled: 1-line block ×4, first 2 shown]
	s_cmp_lg_u32 s3, s0
	s_cbranch_scc1 .LBB74_24
.LBB74_25:
	s_waitcnt lgkmcnt(0)
	v_cmp_neq_f64_e32 vcc, 0, v[121:122]
	v_cmp_neq_f64_e64 s[0:1], 0, v[123:124]
	s_or_b64 s[18:19], vcc, s[0:1]
	s_and_saveexec_b64 s[0:1], s[18:19]
	s_cbranch_execz .LBB74_31
; %bb.26:
	v_cmp_ngt_f64_e64 s[18:19], |v[121:122]|, |v[123:124]|
	s_and_saveexec_b64 s[20:21], s[18:19]
	s_xor_b64 s[18:19], exec, s[20:21]
	s_cbranch_execz .LBB74_28
; %bb.27:
	v_div_scale_f64 v[105:106], s[20:21], v[123:124], v[123:124], v[121:122]
	v_rcp_f64_e32 v[107:108], v[105:106]
	v_fma_f64 v[113:114], -v[105:106], v[107:108], 1.0
	v_fma_f64 v[107:108], v[107:108], v[113:114], v[107:108]
	v_div_scale_f64 v[113:114], vcc, v[121:122], v[123:124], v[121:122]
	v_fma_f64 v[115:116], -v[105:106], v[107:108], 1.0
	v_fma_f64 v[107:108], v[107:108], v[115:116], v[107:108]
	v_mul_f64 v[115:116], v[113:114], v[107:108]
	v_fma_f64 v[105:106], -v[105:106], v[115:116], v[113:114]
	v_div_fmas_f64 v[105:106], v[105:106], v[107:108], v[115:116]
	v_div_fixup_f64 v[105:106], v[105:106], v[123:124], v[121:122]
	v_fma_f64 v[107:108], v[121:122], v[105:106], v[123:124]
	v_div_scale_f64 v[113:114], s[20:21], v[107:108], v[107:108], 1.0
	v_div_scale_f64 v[119:120], vcc, 1.0, v[107:108], 1.0
	v_rcp_f64_e32 v[115:116], v[113:114]
	v_fma_f64 v[117:118], -v[113:114], v[115:116], 1.0
	v_fma_f64 v[115:116], v[115:116], v[117:118], v[115:116]
	v_fma_f64 v[117:118], -v[113:114], v[115:116], 1.0
	v_fma_f64 v[115:116], v[115:116], v[117:118], v[115:116]
	v_mul_f64 v[117:118], v[119:120], v[115:116]
	v_fma_f64 v[113:114], -v[113:114], v[117:118], v[119:120]
	buffer_load_dword v119, off, s[24:27], 0 offset:192 ; 4-byte Folded Reload
	buffer_load_dword v120, off, s[24:27], 0 offset:196 ; 4-byte Folded Reload
	v_div_fmas_f64 v[113:114], v[113:114], v[115:116], v[117:118]
	v_div_fixup_f64 v[123:124], v[113:114], v[107:108], 1.0
	v_mul_f64 v[121:122], v[105:106], v[123:124]
	v_xor_b32_e32 v124, 0x80000000, v124
.LBB74_28:
	s_andn2_saveexec_b64 s[18:19], s[18:19]
	s_cbranch_execz .LBB74_30
; %bb.29:
	v_div_scale_f64 v[105:106], s[20:21], v[121:122], v[121:122], v[123:124]
	v_rcp_f64_e32 v[107:108], v[105:106]
	v_fma_f64 v[113:114], -v[105:106], v[107:108], 1.0
	v_fma_f64 v[107:108], v[107:108], v[113:114], v[107:108]
	v_div_scale_f64 v[113:114], vcc, v[123:124], v[121:122], v[123:124]
	v_fma_f64 v[115:116], -v[105:106], v[107:108], 1.0
	v_fma_f64 v[107:108], v[107:108], v[115:116], v[107:108]
	v_mul_f64 v[115:116], v[113:114], v[107:108]
	v_fma_f64 v[105:106], -v[105:106], v[115:116], v[113:114]
	v_div_fmas_f64 v[105:106], v[105:106], v[107:108], v[115:116]
	v_div_fixup_f64 v[105:106], v[105:106], v[121:122], v[123:124]
	v_fma_f64 v[107:108], v[123:124], v[105:106], v[121:122]
	v_div_scale_f64 v[113:114], s[20:21], v[107:108], v[107:108], 1.0
	s_waitcnt vmcnt(0)
	v_div_scale_f64 v[119:120], vcc, 1.0, v[107:108], 1.0
	v_rcp_f64_e32 v[115:116], v[113:114]
	v_fma_f64 v[117:118], -v[113:114], v[115:116], 1.0
	v_fma_f64 v[115:116], v[115:116], v[117:118], v[115:116]
	v_fma_f64 v[117:118], -v[113:114], v[115:116], 1.0
	v_fma_f64 v[115:116], v[115:116], v[117:118], v[115:116]
	v_mul_f64 v[117:118], v[119:120], v[115:116]
	v_fma_f64 v[113:114], -v[113:114], v[117:118], v[119:120]
	buffer_load_dword v119, off, s[24:27], 0 offset:192 ; 4-byte Folded Reload
	buffer_load_dword v120, off, s[24:27], 0 offset:196 ; 4-byte Folded Reload
	v_div_fmas_f64 v[113:114], v[113:114], v[115:116], v[117:118]
	v_div_fixup_f64 v[121:122], v[113:114], v[107:108], 1.0
	v_mul_f64 v[123:124], v[105:106], -v[121:122]
.LBB74_30:
	s_or_b64 exec, exec, s[18:19]
	v_mov_b32_e32 v99, v104
.LBB74_31:
	s_or_b64 exec, exec, s[0:1]
	v_cmp_ne_u32_e32 vcc, v100, v101
	s_and_saveexec_b64 s[0:1], vcc
	s_xor_b64 s[0:1], exec, s[0:1]
	s_cbranch_execz .LBB74_37
; %bb.32:
	v_cmp_eq_u32_e32 vcc, 1, v100
	s_and_saveexec_b64 s[18:19], vcc
	s_cbranch_execz .LBB74_36
; %bb.33:
	v_cmp_ne_u32_e32 vcc, 1, v101
	s_xor_b64 s[20:21], s[6:7], -1
	s_and_b64 s[22:23], s[20:21], vcc
	s_and_saveexec_b64 s[20:21], s[22:23]
	s_cbranch_execz .LBB74_35
; %bb.34:
	v_ashrrev_i32_e32 v102, 31, v101
	v_lshlrev_b64 v[104:105], 2, v[101:102]
	s_waitcnt vmcnt(1)
	v_add_co_u32_e32 v104, vcc, v119, v104
	s_waitcnt vmcnt(0)
	v_addc_co_u32_e32 v105, vcc, v120, v105, vcc
	global_load_dword v0, v[104:105], off
	global_load_dword v100, v[119:120], off offset:4
	s_waitcnt vmcnt(1)
	global_store_dword v[119:120], v0, off offset:4
	s_waitcnt vmcnt(1)
	global_store_dword v[104:105], v100, off
.LBB74_35:
	s_or_b64 exec, exec, s[20:21]
	v_mov_b32_e32 v100, v101
	v_mov_b32_e32 v0, v101
.LBB74_36:
	s_or_b64 exec, exec, s[18:19]
.LBB74_37:
	s_andn2_saveexec_b64 s[0:1], s[0:1]
	s_cbranch_execz .LBB74_39
; %bb.38:
	buffer_load_dword v104, off, s[24:27], 0 offset:160 ; 4-byte Folded Reload
	buffer_load_dword v105, off, s[24:27], 0 offset:164 ; 4-byte Folded Reload
	;; [unrolled: 1-line block ×4, first 2 shown]
	v_mov_b32_e32 v100, 1
	s_waitcnt vmcnt(0)
	ds_write2_b64 v98, v[104:105], v[106:107] offset0:4 offset1:5
	buffer_load_dword v104, off, s[24:27], 0 offset:144 ; 4-byte Folded Reload
	buffer_load_dword v105, off, s[24:27], 0 offset:148 ; 4-byte Folded Reload
	buffer_load_dword v106, off, s[24:27], 0 offset:152 ; 4-byte Folded Reload
	buffer_load_dword v107, off, s[24:27], 0 offset:156 ; 4-byte Folded Reload
	s_waitcnt vmcnt(0)
	ds_write2_b64 v98, v[104:105], v[106:107] offset0:6 offset1:7
	buffer_load_dword v104, off, s[24:27], 0 offset:128 ; 4-byte Folded Reload
	buffer_load_dword v105, off, s[24:27], 0 offset:132 ; 4-byte Folded Reload
	buffer_load_dword v106, off, s[24:27], 0 offset:136 ; 4-byte Folded Reload
	buffer_load_dword v107, off, s[24:27], 0 offset:140 ; 4-byte Folded Reload
	;; [unrolled: 6-line block ×9, first 2 shown]
	s_waitcnt vmcnt(0)
	ds_write2_b64 v98, v[104:105], v[106:107] offset0:22 offset1:23
	buffer_load_dword v104, off, s[24:27], 0 ; 4-byte Folded Reload
	buffer_load_dword v105, off, s[24:27], 0 offset:4 ; 4-byte Folded Reload
	buffer_load_dword v106, off, s[24:27], 0 offset:8 ; 4-byte Folded Reload
	;; [unrolled: 1-line block ×3, first 2 shown]
	s_waitcnt vmcnt(0)
	ds_write2_b64 v98, v[104:105], v[106:107] offset0:24 offset1:25
	ds_write2_b64 v98, v[93:94], v[95:96] offset0:26 offset1:27
	;; [unrolled: 1-line block ×26, first 2 shown]
.LBB74_39:
	s_or_b64 exec, exec, s[0:1]
	v_cmp_lt_i32_e32 vcc, 1, v100
	s_waitcnt vmcnt(0) lgkmcnt(0)
	s_barrier
	s_and_saveexec_b64 s[0:1], vcc
	s_cbranch_execz .LBB74_41
; %bb.40:
	buffer_load_dword v115, off, s[24:27], 0 offset:176 ; 4-byte Folded Reload
	buffer_load_dword v116, off, s[24:27], 0 offset:180 ; 4-byte Folded Reload
	;; [unrolled: 1-line block ×4, first 2 shown]
	ds_read2_b64 v[104:107], v98 offset0:4 offset1:5
	s_waitcnt vmcnt(0)
	v_mul_f64 v[101:102], v[123:124], v[117:118]
	v_fma_f64 v[125:126], v[121:122], v[115:116], -v[101:102]
	v_mul_f64 v[101:102], v[121:122], v[117:118]
	v_fma_f64 v[117:118], v[123:124], v[115:116], v[101:102]
	buffer_load_dword v113, off, s[24:27], 0 offset:160 ; 4-byte Folded Reload
	buffer_load_dword v114, off, s[24:27], 0 offset:164 ; 4-byte Folded Reload
	buffer_load_dword v115, off, s[24:27], 0 offset:168 ; 4-byte Folded Reload
	buffer_load_dword v116, off, s[24:27], 0 offset:172 ; 4-byte Folded Reload
	s_waitcnt lgkmcnt(0)
	v_mul_f64 v[101:102], v[106:107], v[117:118]
	v_fma_f64 v[101:102], v[104:105], v[125:126], -v[101:102]
	v_mul_f64 v[104:105], v[104:105], v[117:118]
	v_fma_f64 v[104:105], v[106:107], v[125:126], v[104:105]
	s_waitcnt vmcnt(2)
	v_add_f64 v[113:114], v[113:114], -v[101:102]
	s_waitcnt vmcnt(0)
	v_add_f64 v[115:116], v[115:116], -v[104:105]
	buffer_store_dword v113, off, s[24:27], 0 offset:160 ; 4-byte Folded Spill
	s_nop 0
	buffer_store_dword v114, off, s[24:27], 0 offset:164 ; 4-byte Folded Spill
	buffer_store_dword v115, off, s[24:27], 0 offset:168 ; 4-byte Folded Spill
	buffer_store_dword v116, off, s[24:27], 0 offset:172 ; 4-byte Folded Spill
	ds_read2_b64 v[104:107], v98 offset0:6 offset1:7
	buffer_load_dword v113, off, s[24:27], 0 offset:144 ; 4-byte Folded Reload
	buffer_load_dword v114, off, s[24:27], 0 offset:148 ; 4-byte Folded Reload
	buffer_load_dword v115, off, s[24:27], 0 offset:152 ; 4-byte Folded Reload
	buffer_load_dword v116, off, s[24:27], 0 offset:156 ; 4-byte Folded Reload
	s_waitcnt lgkmcnt(0)
	v_mul_f64 v[101:102], v[106:107], v[117:118]
	v_fma_f64 v[101:102], v[104:105], v[125:126], -v[101:102]
	v_mul_f64 v[104:105], v[104:105], v[117:118]
	v_fma_f64 v[104:105], v[106:107], v[125:126], v[104:105]
	s_waitcnt vmcnt(2)
	v_add_f64 v[113:114], v[113:114], -v[101:102]
	s_waitcnt vmcnt(0)
	v_add_f64 v[115:116], v[115:116], -v[104:105]
	buffer_store_dword v113, off, s[24:27], 0 offset:144 ; 4-byte Folded Spill
	s_nop 0
	buffer_store_dword v114, off, s[24:27], 0 offset:148 ; 4-byte Folded Spill
	buffer_store_dword v115, off, s[24:27], 0 offset:152 ; 4-byte Folded Spill
	buffer_store_dword v116, off, s[24:27], 0 offset:156 ; 4-byte Folded Spill
	ds_read2_b64 v[104:107], v98 offset0:8 offset1:9
	buffer_load_dword v113, off, s[24:27], 0 offset:128 ; 4-byte Folded Reload
	buffer_load_dword v114, off, s[24:27], 0 offset:132 ; 4-byte Folded Reload
	buffer_load_dword v115, off, s[24:27], 0 offset:136 ; 4-byte Folded Reload
	buffer_load_dword v116, off, s[24:27], 0 offset:140 ; 4-byte Folded Reload
	s_waitcnt lgkmcnt(0)
	v_mul_f64 v[101:102], v[106:107], v[117:118]
	v_fma_f64 v[101:102], v[104:105], v[125:126], -v[101:102]
	v_mul_f64 v[104:105], v[104:105], v[117:118]
	v_fma_f64 v[104:105], v[106:107], v[125:126], v[104:105]
	s_waitcnt vmcnt(2)
	v_add_f64 v[113:114], v[113:114], -v[101:102]
	s_waitcnt vmcnt(0)
	v_add_f64 v[115:116], v[115:116], -v[104:105]
	buffer_store_dword v113, off, s[24:27], 0 offset:128 ; 4-byte Folded Spill
	s_nop 0
	buffer_store_dword v114, off, s[24:27], 0 offset:132 ; 4-byte Folded Spill
	buffer_store_dword v115, off, s[24:27], 0 offset:136 ; 4-byte Folded Spill
	buffer_store_dword v116, off, s[24:27], 0 offset:140 ; 4-byte Folded Spill
	ds_read2_b64 v[104:107], v98 offset0:10 offset1:11
	buffer_load_dword v113, off, s[24:27], 0 offset:112 ; 4-byte Folded Reload
	buffer_load_dword v114, off, s[24:27], 0 offset:116 ; 4-byte Folded Reload
	buffer_load_dword v115, off, s[24:27], 0 offset:120 ; 4-byte Folded Reload
	buffer_load_dword v116, off, s[24:27], 0 offset:124 ; 4-byte Folded Reload
	s_waitcnt lgkmcnt(0)
	v_mul_f64 v[101:102], v[106:107], v[117:118]
	v_fma_f64 v[101:102], v[104:105], v[125:126], -v[101:102]
	v_mul_f64 v[104:105], v[104:105], v[117:118]
	v_fma_f64 v[104:105], v[106:107], v[125:126], v[104:105]
	s_waitcnt vmcnt(2)
	v_add_f64 v[113:114], v[113:114], -v[101:102]
	s_waitcnt vmcnt(0)
	v_add_f64 v[115:116], v[115:116], -v[104:105]
	buffer_store_dword v113, off, s[24:27], 0 offset:112 ; 4-byte Folded Spill
	s_nop 0
	buffer_store_dword v114, off, s[24:27], 0 offset:116 ; 4-byte Folded Spill
	buffer_store_dword v115, off, s[24:27], 0 offset:120 ; 4-byte Folded Spill
	buffer_store_dword v116, off, s[24:27], 0 offset:124 ; 4-byte Folded Spill
	ds_read2_b64 v[104:107], v98 offset0:12 offset1:13
	buffer_load_dword v113, off, s[24:27], 0 offset:96 ; 4-byte Folded Reload
	buffer_load_dword v114, off, s[24:27], 0 offset:100 ; 4-byte Folded Reload
	buffer_load_dword v115, off, s[24:27], 0 offset:104 ; 4-byte Folded Reload
	buffer_load_dword v116, off, s[24:27], 0 offset:108 ; 4-byte Folded Reload
	s_waitcnt lgkmcnt(0)
	v_mul_f64 v[101:102], v[106:107], v[117:118]
	v_fma_f64 v[101:102], v[104:105], v[125:126], -v[101:102]
	v_mul_f64 v[104:105], v[104:105], v[117:118]
	v_fma_f64 v[104:105], v[106:107], v[125:126], v[104:105]
	s_waitcnt vmcnt(2)
	v_add_f64 v[113:114], v[113:114], -v[101:102]
	s_waitcnt vmcnt(0)
	v_add_f64 v[115:116], v[115:116], -v[104:105]
	buffer_store_dword v113, off, s[24:27], 0 offset:96 ; 4-byte Folded Spill
	s_nop 0
	buffer_store_dword v114, off, s[24:27], 0 offset:100 ; 4-byte Folded Spill
	buffer_store_dword v115, off, s[24:27], 0 offset:104 ; 4-byte Folded Spill
	buffer_store_dword v116, off, s[24:27], 0 offset:108 ; 4-byte Folded Spill
	ds_read2_b64 v[104:107], v98 offset0:14 offset1:15
	buffer_load_dword v113, off, s[24:27], 0 offset:80 ; 4-byte Folded Reload
	buffer_load_dword v114, off, s[24:27], 0 offset:84 ; 4-byte Folded Reload
	buffer_load_dword v115, off, s[24:27], 0 offset:88 ; 4-byte Folded Reload
	buffer_load_dword v116, off, s[24:27], 0 offset:92 ; 4-byte Folded Reload
	s_waitcnt lgkmcnt(0)
	v_mul_f64 v[101:102], v[106:107], v[117:118]
	v_fma_f64 v[101:102], v[104:105], v[125:126], -v[101:102]
	v_mul_f64 v[104:105], v[104:105], v[117:118]
	v_fma_f64 v[104:105], v[106:107], v[125:126], v[104:105]
	s_waitcnt vmcnt(2)
	v_add_f64 v[113:114], v[113:114], -v[101:102]
	s_waitcnt vmcnt(0)
	v_add_f64 v[115:116], v[115:116], -v[104:105]
	buffer_store_dword v113, off, s[24:27], 0 offset:80 ; 4-byte Folded Spill
	s_nop 0
	buffer_store_dword v114, off, s[24:27], 0 offset:84 ; 4-byte Folded Spill
	buffer_store_dword v115, off, s[24:27], 0 offset:88 ; 4-byte Folded Spill
	buffer_store_dword v116, off, s[24:27], 0 offset:92 ; 4-byte Folded Spill
	ds_read2_b64 v[104:107], v98 offset0:16 offset1:17
	buffer_load_dword v113, off, s[24:27], 0 offset:64 ; 4-byte Folded Reload
	buffer_load_dword v114, off, s[24:27], 0 offset:68 ; 4-byte Folded Reload
	buffer_load_dword v115, off, s[24:27], 0 offset:72 ; 4-byte Folded Reload
	buffer_load_dword v116, off, s[24:27], 0 offset:76 ; 4-byte Folded Reload
	s_waitcnt lgkmcnt(0)
	v_mul_f64 v[101:102], v[106:107], v[117:118]
	v_fma_f64 v[101:102], v[104:105], v[125:126], -v[101:102]
	v_mul_f64 v[104:105], v[104:105], v[117:118]
	v_fma_f64 v[104:105], v[106:107], v[125:126], v[104:105]
	s_waitcnt vmcnt(2)
	v_add_f64 v[113:114], v[113:114], -v[101:102]
	s_waitcnt vmcnt(0)
	v_add_f64 v[115:116], v[115:116], -v[104:105]
	buffer_store_dword v113, off, s[24:27], 0 offset:64 ; 4-byte Folded Spill
	s_nop 0
	buffer_store_dword v114, off, s[24:27], 0 offset:68 ; 4-byte Folded Spill
	buffer_store_dword v115, off, s[24:27], 0 offset:72 ; 4-byte Folded Spill
	buffer_store_dword v116, off, s[24:27], 0 offset:76 ; 4-byte Folded Spill
	ds_read2_b64 v[104:107], v98 offset0:18 offset1:19
	buffer_load_dword v113, off, s[24:27], 0 offset:48 ; 4-byte Folded Reload
	buffer_load_dword v114, off, s[24:27], 0 offset:52 ; 4-byte Folded Reload
	buffer_load_dword v115, off, s[24:27], 0 offset:56 ; 4-byte Folded Reload
	buffer_load_dword v116, off, s[24:27], 0 offset:60 ; 4-byte Folded Reload
	s_waitcnt lgkmcnt(0)
	v_mul_f64 v[101:102], v[106:107], v[117:118]
	v_fma_f64 v[101:102], v[104:105], v[125:126], -v[101:102]
	v_mul_f64 v[104:105], v[104:105], v[117:118]
	v_fma_f64 v[104:105], v[106:107], v[125:126], v[104:105]
	s_waitcnt vmcnt(2)
	v_add_f64 v[113:114], v[113:114], -v[101:102]
	s_waitcnt vmcnt(0)
	v_add_f64 v[115:116], v[115:116], -v[104:105]
	buffer_store_dword v113, off, s[24:27], 0 offset:48 ; 4-byte Folded Spill
	s_nop 0
	buffer_store_dword v114, off, s[24:27], 0 offset:52 ; 4-byte Folded Spill
	buffer_store_dword v115, off, s[24:27], 0 offset:56 ; 4-byte Folded Spill
	buffer_store_dword v116, off, s[24:27], 0 offset:60 ; 4-byte Folded Spill
	ds_read2_b64 v[104:107], v98 offset0:20 offset1:21
	buffer_load_dword v113, off, s[24:27], 0 offset:32 ; 4-byte Folded Reload
	buffer_load_dword v114, off, s[24:27], 0 offset:36 ; 4-byte Folded Reload
	buffer_load_dword v115, off, s[24:27], 0 offset:40 ; 4-byte Folded Reload
	buffer_load_dword v116, off, s[24:27], 0 offset:44 ; 4-byte Folded Reload
	s_waitcnt lgkmcnt(0)
	v_mul_f64 v[101:102], v[106:107], v[117:118]
	v_fma_f64 v[101:102], v[104:105], v[125:126], -v[101:102]
	v_mul_f64 v[104:105], v[104:105], v[117:118]
	v_fma_f64 v[104:105], v[106:107], v[125:126], v[104:105]
	s_waitcnt vmcnt(2)
	v_add_f64 v[113:114], v[113:114], -v[101:102]
	s_waitcnt vmcnt(0)
	v_add_f64 v[115:116], v[115:116], -v[104:105]
	buffer_store_dword v113, off, s[24:27], 0 offset:32 ; 4-byte Folded Spill
	s_nop 0
	buffer_store_dword v114, off, s[24:27], 0 offset:36 ; 4-byte Folded Spill
	buffer_store_dword v115, off, s[24:27], 0 offset:40 ; 4-byte Folded Spill
	buffer_store_dword v116, off, s[24:27], 0 offset:44 ; 4-byte Folded Spill
	ds_read2_b64 v[104:107], v98 offset0:22 offset1:23
	buffer_load_dword v113, off, s[24:27], 0 offset:16 ; 4-byte Folded Reload
	buffer_load_dword v114, off, s[24:27], 0 offset:20 ; 4-byte Folded Reload
	buffer_load_dword v115, off, s[24:27], 0 offset:24 ; 4-byte Folded Reload
	buffer_load_dword v116, off, s[24:27], 0 offset:28 ; 4-byte Folded Reload
	s_waitcnt lgkmcnt(0)
	v_mul_f64 v[101:102], v[106:107], v[117:118]
	v_fma_f64 v[101:102], v[104:105], v[125:126], -v[101:102]
	v_mul_f64 v[104:105], v[104:105], v[117:118]
	v_fma_f64 v[104:105], v[106:107], v[125:126], v[104:105]
	s_waitcnt vmcnt(2)
	v_add_f64 v[113:114], v[113:114], -v[101:102]
	s_waitcnt vmcnt(0)
	v_add_f64 v[115:116], v[115:116], -v[104:105]
	buffer_store_dword v113, off, s[24:27], 0 offset:16 ; 4-byte Folded Spill
	s_nop 0
	buffer_store_dword v114, off, s[24:27], 0 offset:20 ; 4-byte Folded Spill
	buffer_store_dword v115, off, s[24:27], 0 offset:24 ; 4-byte Folded Spill
	buffer_store_dword v116, off, s[24:27], 0 offset:28 ; 4-byte Folded Spill
	ds_read2_b64 v[104:107], v98 offset0:24 offset1:25
	buffer_load_dword v113, off, s[24:27], 0 ; 4-byte Folded Reload
	buffer_load_dword v114, off, s[24:27], 0 offset:4 ; 4-byte Folded Reload
	buffer_load_dword v115, off, s[24:27], 0 offset:8 ; 4-byte Folded Reload
	;; [unrolled: 1-line block ×3, first 2 shown]
	s_waitcnt lgkmcnt(0)
	v_mul_f64 v[101:102], v[106:107], v[117:118]
	v_fma_f64 v[101:102], v[104:105], v[125:126], -v[101:102]
	v_mul_f64 v[104:105], v[104:105], v[117:118]
	v_fma_f64 v[104:105], v[106:107], v[125:126], v[104:105]
	s_waitcnt vmcnt(2)
	v_add_f64 v[113:114], v[113:114], -v[101:102]
	s_waitcnt vmcnt(0)
	v_add_f64 v[115:116], v[115:116], -v[104:105]
	buffer_store_dword v113, off, s[24:27], 0 ; 4-byte Folded Spill
	s_nop 0
	buffer_store_dword v114, off, s[24:27], 0 offset:4 ; 4-byte Folded Spill
	buffer_store_dword v115, off, s[24:27], 0 offset:8 ; 4-byte Folded Spill
	;; [unrolled: 1-line block ×3, first 2 shown]
	ds_read2_b64 v[104:107], v98 offset0:26 offset1:27
	v_mov_b32_e32 v115, v125
	v_mov_b32_e32 v116, v126
	s_waitcnt lgkmcnt(0)
	v_mul_f64 v[101:102], v[106:107], v[117:118]
	v_fma_f64 v[101:102], v[104:105], v[125:126], -v[101:102]
	v_mul_f64 v[104:105], v[104:105], v[117:118]
	v_add_f64 v[93:94], v[93:94], -v[101:102]
	v_fma_f64 v[104:105], v[106:107], v[125:126], v[104:105]
	v_add_f64 v[95:96], v[95:96], -v[104:105]
	ds_read2_b64 v[104:107], v98 offset0:28 offset1:29
	s_waitcnt lgkmcnt(0)
	v_mul_f64 v[101:102], v[106:107], v[117:118]
	v_fma_f64 v[101:102], v[104:105], v[125:126], -v[101:102]
	v_mul_f64 v[104:105], v[104:105], v[117:118]
	v_add_f64 v[89:90], v[89:90], -v[101:102]
	v_fma_f64 v[104:105], v[106:107], v[125:126], v[104:105]
	v_add_f64 v[91:92], v[91:92], -v[104:105]
	ds_read2_b64 v[104:107], v98 offset0:30 offset1:31
	;; [unrolled: 8-line block ×24, first 2 shown]
	s_waitcnt lgkmcnt(0)
	v_mul_f64 v[101:102], v[106:107], v[117:118]
	v_fma_f64 v[101:102], v[104:105], v[125:126], -v[101:102]
	v_mul_f64 v[104:105], v[104:105], v[117:118]
	buffer_store_dword v115, off, s[24:27], 0 offset:176 ; 4-byte Folded Spill
	s_nop 0
	buffer_store_dword v116, off, s[24:27], 0 offset:180 ; 4-byte Folded Spill
	buffer_store_dword v117, off, s[24:27], 0 offset:184 ; 4-byte Folded Spill
	;; [unrolled: 1-line block ×3, first 2 shown]
	v_add_f64 v[109:110], v[109:110], -v[101:102]
	v_fma_f64 v[104:105], v[106:107], v[125:126], v[104:105]
	v_add_f64 v[111:112], v[111:112], -v[104:105]
.LBB74_41:
	s_or_b64 exec, exec, s[0:1]
	s_waitcnt vmcnt(0)
	s_barrier
	buffer_load_dword v104, off, s[24:27], 0 offset:160 ; 4-byte Folded Reload
	buffer_load_dword v105, off, s[24:27], 0 offset:164 ; 4-byte Folded Reload
	;; [unrolled: 1-line block ×4, first 2 shown]
	v_lshl_add_u32 v101, v100, 4, v98
	s_cmp_lt_i32 s3, 4
	s_waitcnt vmcnt(0)
	ds_write2_b64 v101, v[104:105], v[106:107] offset1:1
	s_waitcnt lgkmcnt(0)
	s_barrier
	ds_read2_b64 v[121:124], v98 offset0:4 offset1:5
	v_mov_b32_e32 v101, 2
	s_cbranch_scc1 .LBB74_44
; %bb.42:
	v_add3_u32 v102, v103, 0, 48
	s_mov_b32 s0, 3
	v_mov_b32_e32 v101, 2
.LBB74_43:                              ; =>This Inner Loop Header: Depth=1
	s_waitcnt lgkmcnt(0)
	v_cmp_gt_f64_e32 vcc, 0, v[121:122]
	v_xor_b32_e32 v108, 0x80000000, v122
	ds_read2_b64 v[104:107], v102 offset1:1
	v_mov_b32_e32 v113, v121
	v_mov_b32_e32 v115, v123
	v_add_u32_e32 v102, 16, v102
	s_waitcnt lgkmcnt(0)
	v_mov_b32_e32 v117, v106
	v_cndmask_b32_e32 v114, v122, v108, vcc
	v_cmp_gt_f64_e32 vcc, 0, v[123:124]
	v_xor_b32_e32 v108, 0x80000000, v124
	v_cndmask_b32_e32 v116, v124, v108, vcc
	v_cmp_gt_f64_e32 vcc, 0, v[104:105]
	v_xor_b32_e32 v108, 0x80000000, v105
	v_add_f64 v[113:114], v[113:114], v[115:116]
	v_mov_b32_e32 v115, v104
	v_cndmask_b32_e32 v116, v105, v108, vcc
	v_cmp_gt_f64_e32 vcc, 0, v[106:107]
	v_xor_b32_e32 v108, 0x80000000, v107
	v_cndmask_b32_e32 v118, v107, v108, vcc
	v_add_f64 v[115:116], v[115:116], v[117:118]
	v_cmp_lt_f64_e32 vcc, v[113:114], v[115:116]
	v_cndmask_b32_e32 v121, v121, v104, vcc
	v_mov_b32_e32 v104, s0
	s_add_i32 s0, s0, 1
	v_cndmask_b32_e32 v122, v122, v105, vcc
	v_cndmask_b32_e32 v124, v124, v107, vcc
	v_cndmask_b32_e32 v123, v123, v106, vcc
	v_cndmask_b32_e32 v101, v101, v104, vcc
	s_cmp_lg_u32 s3, s0
	s_cbranch_scc1 .LBB74_43
.LBB74_44:
	s_waitcnt lgkmcnt(0)
	v_cmp_eq_f64_e32 vcc, 0, v[121:122]
	v_cmp_eq_f64_e64 s[0:1], 0, v[123:124]
	s_and_b64 s[0:1], vcc, s[0:1]
	s_and_saveexec_b64 s[18:19], s[0:1]
	s_xor_b64 s[0:1], exec, s[18:19]
; %bb.45:
	v_cmp_ne_u32_e32 vcc, 0, v99
	v_cndmask_b32_e32 v99, 3, v99, vcc
; %bb.46:
	s_andn2_saveexec_b64 s[0:1], s[0:1]
	s_cbranch_execz .LBB74_52
; %bb.47:
	v_cmp_ngt_f64_e64 s[18:19], |v[121:122]|, |v[123:124]|
	s_and_saveexec_b64 s[20:21], s[18:19]
	s_xor_b64 s[18:19], exec, s[20:21]
	s_cbranch_execz .LBB74_49
; %bb.48:
	v_div_scale_f64 v[104:105], s[20:21], v[123:124], v[123:124], v[121:122]
	v_rcp_f64_e32 v[106:107], v[104:105]
	v_fma_f64 v[113:114], -v[104:105], v[106:107], 1.0
	v_fma_f64 v[106:107], v[106:107], v[113:114], v[106:107]
	v_div_scale_f64 v[113:114], vcc, v[121:122], v[123:124], v[121:122]
	v_fma_f64 v[115:116], -v[104:105], v[106:107], 1.0
	v_fma_f64 v[106:107], v[106:107], v[115:116], v[106:107]
	v_mul_f64 v[115:116], v[113:114], v[106:107]
	v_fma_f64 v[104:105], -v[104:105], v[115:116], v[113:114]
	v_div_fmas_f64 v[104:105], v[104:105], v[106:107], v[115:116]
	v_div_fixup_f64 v[104:105], v[104:105], v[123:124], v[121:122]
	v_fma_f64 v[106:107], v[121:122], v[104:105], v[123:124]
	v_div_scale_f64 v[113:114], s[20:21], v[106:107], v[106:107], 1.0
	v_div_scale_f64 v[119:120], vcc, 1.0, v[106:107], 1.0
	v_rcp_f64_e32 v[115:116], v[113:114]
	v_fma_f64 v[117:118], -v[113:114], v[115:116], 1.0
	v_fma_f64 v[115:116], v[115:116], v[117:118], v[115:116]
	v_fma_f64 v[117:118], -v[113:114], v[115:116], 1.0
	v_fma_f64 v[115:116], v[115:116], v[117:118], v[115:116]
	v_mul_f64 v[117:118], v[119:120], v[115:116]
	v_fma_f64 v[113:114], -v[113:114], v[117:118], v[119:120]
	buffer_load_dword v119, off, s[24:27], 0 offset:192 ; 4-byte Folded Reload
	buffer_load_dword v120, off, s[24:27], 0 offset:196 ; 4-byte Folded Reload
	v_div_fmas_f64 v[113:114], v[113:114], v[115:116], v[117:118]
	v_div_fixup_f64 v[123:124], v[113:114], v[106:107], 1.0
	v_mul_f64 v[121:122], v[104:105], v[123:124]
	v_xor_b32_e32 v124, 0x80000000, v124
.LBB74_49:
	s_andn2_saveexec_b64 s[18:19], s[18:19]
	s_cbranch_execz .LBB74_51
; %bb.50:
	v_div_scale_f64 v[104:105], s[20:21], v[121:122], v[121:122], v[123:124]
	v_rcp_f64_e32 v[106:107], v[104:105]
	v_fma_f64 v[113:114], -v[104:105], v[106:107], 1.0
	v_fma_f64 v[106:107], v[106:107], v[113:114], v[106:107]
	v_div_scale_f64 v[113:114], vcc, v[123:124], v[121:122], v[123:124]
	v_fma_f64 v[115:116], -v[104:105], v[106:107], 1.0
	v_fma_f64 v[106:107], v[106:107], v[115:116], v[106:107]
	v_mul_f64 v[115:116], v[113:114], v[106:107]
	v_fma_f64 v[104:105], -v[104:105], v[115:116], v[113:114]
	v_div_fmas_f64 v[104:105], v[104:105], v[106:107], v[115:116]
	v_div_fixup_f64 v[104:105], v[104:105], v[121:122], v[123:124]
	v_fma_f64 v[106:107], v[123:124], v[104:105], v[121:122]
	v_div_scale_f64 v[113:114], s[20:21], v[106:107], v[106:107], 1.0
	s_waitcnt vmcnt(0)
	v_div_scale_f64 v[119:120], vcc, 1.0, v[106:107], 1.0
	v_rcp_f64_e32 v[115:116], v[113:114]
	v_fma_f64 v[117:118], -v[113:114], v[115:116], 1.0
	v_fma_f64 v[115:116], v[115:116], v[117:118], v[115:116]
	v_fma_f64 v[117:118], -v[113:114], v[115:116], 1.0
	v_fma_f64 v[115:116], v[115:116], v[117:118], v[115:116]
	v_mul_f64 v[117:118], v[119:120], v[115:116]
	v_fma_f64 v[113:114], -v[113:114], v[117:118], v[119:120]
	buffer_load_dword v119, off, s[24:27], 0 offset:192 ; 4-byte Folded Reload
	buffer_load_dword v120, off, s[24:27], 0 offset:196 ; 4-byte Folded Reload
	v_div_fmas_f64 v[113:114], v[113:114], v[115:116], v[117:118]
	v_div_fixup_f64 v[121:122], v[113:114], v[106:107], 1.0
	v_mul_f64 v[123:124], v[104:105], -v[121:122]
.LBB74_51:
	s_or_b64 exec, exec, s[18:19]
.LBB74_52:
	s_or_b64 exec, exec, s[0:1]
	v_cmp_ne_u32_e32 vcc, v100, v101
	s_and_saveexec_b64 s[0:1], vcc
	s_xor_b64 s[0:1], exec, s[0:1]
	s_cbranch_execz .LBB74_58
; %bb.53:
	v_cmp_eq_u32_e32 vcc, 2, v100
	s_and_saveexec_b64 s[18:19], vcc
	s_cbranch_execz .LBB74_57
; %bb.54:
	v_cmp_ne_u32_e32 vcc, 2, v101
	s_xor_b64 s[20:21], s[6:7], -1
	s_and_b64 s[22:23], s[20:21], vcc
	s_and_saveexec_b64 s[20:21], s[22:23]
	s_cbranch_execz .LBB74_56
; %bb.55:
	v_ashrrev_i32_e32 v102, 31, v101
	v_lshlrev_b64 v[104:105], 2, v[101:102]
	s_waitcnt vmcnt(1)
	v_add_co_u32_e32 v104, vcc, v119, v104
	s_waitcnt vmcnt(0)
	v_addc_co_u32_e32 v105, vcc, v120, v105, vcc
	global_load_dword v0, v[104:105], off
	global_load_dword v100, v[119:120], off offset:8
	s_waitcnt vmcnt(1)
	global_store_dword v[119:120], v0, off offset:8
	s_waitcnt vmcnt(1)
	global_store_dword v[104:105], v100, off
.LBB74_56:
	s_or_b64 exec, exec, s[20:21]
	v_mov_b32_e32 v100, v101
	v_mov_b32_e32 v0, v101
.LBB74_57:
	s_or_b64 exec, exec, s[18:19]
.LBB74_58:
	s_andn2_saveexec_b64 s[0:1], s[0:1]
	s_cbranch_execz .LBB74_60
; %bb.59:
	buffer_load_dword v104, off, s[24:27], 0 offset:144 ; 4-byte Folded Reload
	buffer_load_dword v105, off, s[24:27], 0 offset:148 ; 4-byte Folded Reload
	;; [unrolled: 1-line block ×4, first 2 shown]
	v_mov_b32_e32 v100, 2
	s_waitcnt vmcnt(0)
	ds_write2_b64 v98, v[104:105], v[106:107] offset0:6 offset1:7
	buffer_load_dword v104, off, s[24:27], 0 offset:128 ; 4-byte Folded Reload
	buffer_load_dword v105, off, s[24:27], 0 offset:132 ; 4-byte Folded Reload
	buffer_load_dword v106, off, s[24:27], 0 offset:136 ; 4-byte Folded Reload
	buffer_load_dword v107, off, s[24:27], 0 offset:140 ; 4-byte Folded Reload
	s_waitcnt vmcnt(0)
	ds_write2_b64 v98, v[104:105], v[106:107] offset0:8 offset1:9
	buffer_load_dword v104, off, s[24:27], 0 offset:112 ; 4-byte Folded Reload
	buffer_load_dword v105, off, s[24:27], 0 offset:116 ; 4-byte Folded Reload
	buffer_load_dword v106, off, s[24:27], 0 offset:120 ; 4-byte Folded Reload
	buffer_load_dword v107, off, s[24:27], 0 offset:124 ; 4-byte Folded Reload
	s_waitcnt vmcnt(0)
	ds_write2_b64 v98, v[104:105], v[106:107] offset0:10 offset1:11
	buffer_load_dword v104, off, s[24:27], 0 offset:96 ; 4-byte Folded Reload
	buffer_load_dword v105, off, s[24:27], 0 offset:100 ; 4-byte Folded Reload
	buffer_load_dword v106, off, s[24:27], 0 offset:104 ; 4-byte Folded Reload
	buffer_load_dword v107, off, s[24:27], 0 offset:108 ; 4-byte Folded Reload
	s_waitcnt vmcnt(0)
	ds_write2_b64 v98, v[104:105], v[106:107] offset0:12 offset1:13
	buffer_load_dword v104, off, s[24:27], 0 offset:80 ; 4-byte Folded Reload
	buffer_load_dword v105, off, s[24:27], 0 offset:84 ; 4-byte Folded Reload
	buffer_load_dword v106, off, s[24:27], 0 offset:88 ; 4-byte Folded Reload
	buffer_load_dword v107, off, s[24:27], 0 offset:92 ; 4-byte Folded Reload
	s_waitcnt vmcnt(0)
	ds_write2_b64 v98, v[104:105], v[106:107] offset0:14 offset1:15
	buffer_load_dword v104, off, s[24:27], 0 offset:64 ; 4-byte Folded Reload
	buffer_load_dword v105, off, s[24:27], 0 offset:68 ; 4-byte Folded Reload
	buffer_load_dword v106, off, s[24:27], 0 offset:72 ; 4-byte Folded Reload
	buffer_load_dword v107, off, s[24:27], 0 offset:76 ; 4-byte Folded Reload
	s_waitcnt vmcnt(0)
	ds_write2_b64 v98, v[104:105], v[106:107] offset0:16 offset1:17
	buffer_load_dword v104, off, s[24:27], 0 offset:48 ; 4-byte Folded Reload
	buffer_load_dword v105, off, s[24:27], 0 offset:52 ; 4-byte Folded Reload
	buffer_load_dword v106, off, s[24:27], 0 offset:56 ; 4-byte Folded Reload
	buffer_load_dword v107, off, s[24:27], 0 offset:60 ; 4-byte Folded Reload
	s_waitcnt vmcnt(0)
	ds_write2_b64 v98, v[104:105], v[106:107] offset0:18 offset1:19
	buffer_load_dword v104, off, s[24:27], 0 offset:32 ; 4-byte Folded Reload
	buffer_load_dword v105, off, s[24:27], 0 offset:36 ; 4-byte Folded Reload
	buffer_load_dword v106, off, s[24:27], 0 offset:40 ; 4-byte Folded Reload
	buffer_load_dword v107, off, s[24:27], 0 offset:44 ; 4-byte Folded Reload
	s_waitcnt vmcnt(0)
	ds_write2_b64 v98, v[104:105], v[106:107] offset0:20 offset1:21
	buffer_load_dword v104, off, s[24:27], 0 offset:16 ; 4-byte Folded Reload
	buffer_load_dword v105, off, s[24:27], 0 offset:20 ; 4-byte Folded Reload
	buffer_load_dword v106, off, s[24:27], 0 offset:24 ; 4-byte Folded Reload
	buffer_load_dword v107, off, s[24:27], 0 offset:28 ; 4-byte Folded Reload
	s_waitcnt vmcnt(0)
	ds_write2_b64 v98, v[104:105], v[106:107] offset0:22 offset1:23
	buffer_load_dword v104, off, s[24:27], 0 ; 4-byte Folded Reload
	buffer_load_dword v105, off, s[24:27], 0 offset:4 ; 4-byte Folded Reload
	buffer_load_dword v106, off, s[24:27], 0 offset:8 ; 4-byte Folded Reload
	;; [unrolled: 1-line block ×3, first 2 shown]
	s_waitcnt vmcnt(0)
	ds_write2_b64 v98, v[104:105], v[106:107] offset0:24 offset1:25
	ds_write2_b64 v98, v[93:94], v[95:96] offset0:26 offset1:27
	ds_write2_b64 v98, v[89:90], v[91:92] offset0:28 offset1:29
	ds_write2_b64 v98, v[85:86], v[87:88] offset0:30 offset1:31
	ds_write2_b64 v98, v[81:82], v[83:84] offset0:32 offset1:33
	ds_write2_b64 v98, v[77:78], v[79:80] offset0:34 offset1:35
	ds_write2_b64 v98, v[73:74], v[75:76] offset0:36 offset1:37
	ds_write2_b64 v98, v[69:70], v[71:72] offset0:38 offset1:39
	ds_write2_b64 v98, v[65:66], v[67:68] offset0:40 offset1:41
	ds_write2_b64 v98, v[61:62], v[63:64] offset0:42 offset1:43
	ds_write2_b64 v98, v[57:58], v[59:60] offset0:44 offset1:45
	ds_write2_b64 v98, v[53:54], v[55:56] offset0:46 offset1:47
	ds_write2_b64 v98, v[49:50], v[51:52] offset0:48 offset1:49
	ds_write2_b64 v98, v[45:46], v[47:48] offset0:50 offset1:51
	ds_write2_b64 v98, v[41:42], v[43:44] offset0:52 offset1:53
	ds_write2_b64 v98, v[37:38], v[39:40] offset0:54 offset1:55
	ds_write2_b64 v98, v[33:34], v[35:36] offset0:56 offset1:57
	ds_write2_b64 v98, v[29:30], v[31:32] offset0:58 offset1:59
	ds_write2_b64 v98, v[25:26], v[27:28] offset0:60 offset1:61
	ds_write2_b64 v98, v[21:22], v[23:24] offset0:62 offset1:63
	ds_write2_b64 v98, v[17:18], v[19:20] offset0:64 offset1:65
	ds_write2_b64 v98, v[13:14], v[15:16] offset0:66 offset1:67
	ds_write2_b64 v98, v[9:10], v[11:12] offset0:68 offset1:69
	ds_write2_b64 v98, v[5:6], v[7:8] offset0:70 offset1:71
	ds_write2_b64 v98, v[1:2], v[3:4] offset0:72 offset1:73
	ds_write2_b64 v98, v[109:110], v[111:112] offset0:74 offset1:75
.LBB74_60:
	s_or_b64 exec, exec, s[0:1]
	v_cmp_lt_i32_e32 vcc, 2, v100
	s_waitcnt vmcnt(0) lgkmcnt(0)
	s_barrier
	s_and_saveexec_b64 s[0:1], vcc
	s_cbranch_execz .LBB74_62
; %bb.61:
	buffer_load_dword v115, off, s[24:27], 0 offset:160 ; 4-byte Folded Reload
	buffer_load_dword v116, off, s[24:27], 0 offset:164 ; 4-byte Folded Reload
	;; [unrolled: 1-line block ×4, first 2 shown]
	ds_read2_b64 v[104:107], v98 offset0:6 offset1:7
	s_waitcnt vmcnt(0)
	v_mul_f64 v[101:102], v[123:124], v[117:118]
	v_fma_f64 v[125:126], v[121:122], v[115:116], -v[101:102]
	v_mul_f64 v[101:102], v[121:122], v[117:118]
	v_fma_f64 v[117:118], v[123:124], v[115:116], v[101:102]
	buffer_load_dword v113, off, s[24:27], 0 offset:144 ; 4-byte Folded Reload
	buffer_load_dword v114, off, s[24:27], 0 offset:148 ; 4-byte Folded Reload
	buffer_load_dword v115, off, s[24:27], 0 offset:152 ; 4-byte Folded Reload
	buffer_load_dword v116, off, s[24:27], 0 offset:156 ; 4-byte Folded Reload
	s_waitcnt lgkmcnt(0)
	v_mul_f64 v[101:102], v[106:107], v[117:118]
	v_fma_f64 v[101:102], v[104:105], v[125:126], -v[101:102]
	v_mul_f64 v[104:105], v[104:105], v[117:118]
	v_fma_f64 v[104:105], v[106:107], v[125:126], v[104:105]
	s_waitcnt vmcnt(2)
	v_add_f64 v[113:114], v[113:114], -v[101:102]
	s_waitcnt vmcnt(0)
	v_add_f64 v[115:116], v[115:116], -v[104:105]
	buffer_store_dword v113, off, s[24:27], 0 offset:144 ; 4-byte Folded Spill
	s_nop 0
	buffer_store_dword v114, off, s[24:27], 0 offset:148 ; 4-byte Folded Spill
	buffer_store_dword v115, off, s[24:27], 0 offset:152 ; 4-byte Folded Spill
	buffer_store_dword v116, off, s[24:27], 0 offset:156 ; 4-byte Folded Spill
	ds_read2_b64 v[104:107], v98 offset0:8 offset1:9
	buffer_load_dword v113, off, s[24:27], 0 offset:128 ; 4-byte Folded Reload
	buffer_load_dword v114, off, s[24:27], 0 offset:132 ; 4-byte Folded Reload
	buffer_load_dword v115, off, s[24:27], 0 offset:136 ; 4-byte Folded Reload
	buffer_load_dword v116, off, s[24:27], 0 offset:140 ; 4-byte Folded Reload
	s_waitcnt lgkmcnt(0)
	v_mul_f64 v[101:102], v[106:107], v[117:118]
	v_fma_f64 v[101:102], v[104:105], v[125:126], -v[101:102]
	v_mul_f64 v[104:105], v[104:105], v[117:118]
	v_fma_f64 v[104:105], v[106:107], v[125:126], v[104:105]
	s_waitcnt vmcnt(2)
	v_add_f64 v[113:114], v[113:114], -v[101:102]
	s_waitcnt vmcnt(0)
	v_add_f64 v[115:116], v[115:116], -v[104:105]
	buffer_store_dword v113, off, s[24:27], 0 offset:128 ; 4-byte Folded Spill
	s_nop 0
	buffer_store_dword v114, off, s[24:27], 0 offset:132 ; 4-byte Folded Spill
	buffer_store_dword v115, off, s[24:27], 0 offset:136 ; 4-byte Folded Spill
	buffer_store_dword v116, off, s[24:27], 0 offset:140 ; 4-byte Folded Spill
	ds_read2_b64 v[104:107], v98 offset0:10 offset1:11
	;; [unrolled: 19-line block ×9, first 2 shown]
	buffer_load_dword v113, off, s[24:27], 0 ; 4-byte Folded Reload
	buffer_load_dword v114, off, s[24:27], 0 offset:4 ; 4-byte Folded Reload
	buffer_load_dword v115, off, s[24:27], 0 offset:8 ; 4-byte Folded Reload
	;; [unrolled: 1-line block ×3, first 2 shown]
	s_waitcnt lgkmcnt(0)
	v_mul_f64 v[101:102], v[106:107], v[117:118]
	v_fma_f64 v[101:102], v[104:105], v[125:126], -v[101:102]
	v_mul_f64 v[104:105], v[104:105], v[117:118]
	v_fma_f64 v[104:105], v[106:107], v[125:126], v[104:105]
	s_waitcnt vmcnt(2)
	v_add_f64 v[113:114], v[113:114], -v[101:102]
	s_waitcnt vmcnt(0)
	v_add_f64 v[115:116], v[115:116], -v[104:105]
	buffer_store_dword v113, off, s[24:27], 0 ; 4-byte Folded Spill
	s_nop 0
	buffer_store_dword v114, off, s[24:27], 0 offset:4 ; 4-byte Folded Spill
	buffer_store_dword v115, off, s[24:27], 0 offset:8 ; 4-byte Folded Spill
	;; [unrolled: 1-line block ×3, first 2 shown]
	ds_read2_b64 v[104:107], v98 offset0:26 offset1:27
	v_mov_b32_e32 v115, v125
	v_mov_b32_e32 v116, v126
	s_waitcnt lgkmcnt(0)
	v_mul_f64 v[101:102], v[106:107], v[117:118]
	v_fma_f64 v[101:102], v[104:105], v[125:126], -v[101:102]
	v_mul_f64 v[104:105], v[104:105], v[117:118]
	v_add_f64 v[93:94], v[93:94], -v[101:102]
	v_fma_f64 v[104:105], v[106:107], v[125:126], v[104:105]
	v_add_f64 v[95:96], v[95:96], -v[104:105]
	ds_read2_b64 v[104:107], v98 offset0:28 offset1:29
	s_waitcnt lgkmcnt(0)
	v_mul_f64 v[101:102], v[106:107], v[117:118]
	v_fma_f64 v[101:102], v[104:105], v[125:126], -v[101:102]
	v_mul_f64 v[104:105], v[104:105], v[117:118]
	v_add_f64 v[89:90], v[89:90], -v[101:102]
	v_fma_f64 v[104:105], v[106:107], v[125:126], v[104:105]
	v_add_f64 v[91:92], v[91:92], -v[104:105]
	ds_read2_b64 v[104:107], v98 offset0:30 offset1:31
	;; [unrolled: 8-line block ×24, first 2 shown]
	s_waitcnt lgkmcnt(0)
	v_mul_f64 v[101:102], v[106:107], v[117:118]
	v_fma_f64 v[101:102], v[104:105], v[125:126], -v[101:102]
	v_mul_f64 v[104:105], v[104:105], v[117:118]
	buffer_store_dword v115, off, s[24:27], 0 offset:160 ; 4-byte Folded Spill
	s_nop 0
	buffer_store_dword v116, off, s[24:27], 0 offset:164 ; 4-byte Folded Spill
	buffer_store_dword v117, off, s[24:27], 0 offset:168 ; 4-byte Folded Spill
	;; [unrolled: 1-line block ×3, first 2 shown]
	v_add_f64 v[109:110], v[109:110], -v[101:102]
	v_fma_f64 v[104:105], v[106:107], v[125:126], v[104:105]
	v_add_f64 v[111:112], v[111:112], -v[104:105]
.LBB74_62:
	s_or_b64 exec, exec, s[0:1]
	s_waitcnt vmcnt(0)
	s_barrier
	buffer_load_dword v104, off, s[24:27], 0 offset:144 ; 4-byte Folded Reload
	buffer_load_dword v105, off, s[24:27], 0 offset:148 ; 4-byte Folded Reload
	;; [unrolled: 1-line block ×4, first 2 shown]
	v_lshl_add_u32 v101, v100, 4, v98
	s_mov_b32 s0, 4
	s_cmp_lt_i32 s3, 5
	s_waitcnt vmcnt(0)
	ds_write2_b64 v101, v[104:105], v[106:107] offset1:1
	s_waitcnt lgkmcnt(0)
	s_barrier
	ds_read2_b64 v[121:124], v98 offset0:6 offset1:7
	v_mov_b32_e32 v101, 3
	s_cbranch_scc1 .LBB74_65
; %bb.63:
	v_add3_u32 v102, v103, 0, 64
	v_mov_b32_e32 v101, 3
.LBB74_64:                              ; =>This Inner Loop Header: Depth=1
	s_waitcnt lgkmcnt(0)
	v_cmp_gt_f64_e32 vcc, 0, v[121:122]
	v_xor_b32_e32 v107, 0x80000000, v122
	ds_read2_b64 v[103:106], v102 offset1:1
	v_xor_b32_e32 v113, 0x80000000, v124
	v_add_u32_e32 v102, 16, v102
	s_waitcnt lgkmcnt(0)
	v_xor_b32_e32 v115, 0x80000000, v106
	v_cndmask_b32_e32 v108, v122, v107, vcc
	v_cmp_gt_f64_e32 vcc, 0, v[123:124]
	v_mov_b32_e32 v107, v121
	v_cndmask_b32_e32 v114, v124, v113, vcc
	v_cmp_gt_f64_e32 vcc, 0, v[103:104]
	v_mov_b32_e32 v113, v123
	v_add_f64 v[107:108], v[107:108], v[113:114]
	v_xor_b32_e32 v113, 0x80000000, v104
	v_cndmask_b32_e32 v114, v104, v113, vcc
	v_cmp_gt_f64_e32 vcc, 0, v[105:106]
	v_mov_b32_e32 v113, v103
	v_cndmask_b32_e32 v116, v106, v115, vcc
	v_mov_b32_e32 v115, v105
	v_add_f64 v[113:114], v[113:114], v[115:116]
	v_cmp_lt_f64_e32 vcc, v[107:108], v[113:114]
	v_cndmask_b32_e32 v121, v121, v103, vcc
	v_mov_b32_e32 v103, s0
	s_add_i32 s0, s0, 1
	v_cndmask_b32_e32 v122, v122, v104, vcc
	v_cndmask_b32_e32 v124, v124, v106, vcc
	v_cndmask_b32_e32 v123, v123, v105, vcc
	v_cndmask_b32_e32 v101, v101, v103, vcc
	s_cmp_lg_u32 s3, s0
	s_cbranch_scc1 .LBB74_64
.LBB74_65:
	s_waitcnt lgkmcnt(0)
	v_cmp_eq_f64_e32 vcc, 0, v[121:122]
	v_cmp_eq_f64_e64 s[0:1], 0, v[123:124]
	s_and_b64 s[0:1], vcc, s[0:1]
	s_and_saveexec_b64 s[18:19], s[0:1]
	s_xor_b64 s[0:1], exec, s[18:19]
; %bb.66:
	v_cmp_ne_u32_e32 vcc, 0, v99
	v_cndmask_b32_e32 v99, 4, v99, vcc
; %bb.67:
	s_andn2_saveexec_b64 s[0:1], s[0:1]
	s_cbranch_execz .LBB74_73
; %bb.68:
	v_cmp_ngt_f64_e64 s[18:19], |v[121:122]|, |v[123:124]|
	s_and_saveexec_b64 s[20:21], s[18:19]
	s_xor_b64 s[18:19], exec, s[20:21]
	s_cbranch_execz .LBB74_70
; %bb.69:
	v_div_scale_f64 v[102:103], s[20:21], v[123:124], v[123:124], v[121:122]
	v_rcp_f64_e32 v[104:105], v[102:103]
	v_fma_f64 v[106:107], -v[102:103], v[104:105], 1.0
	v_fma_f64 v[104:105], v[104:105], v[106:107], v[104:105]
	v_div_scale_f64 v[106:107], vcc, v[121:122], v[123:124], v[121:122]
	v_fma_f64 v[113:114], -v[102:103], v[104:105], 1.0
	v_fma_f64 v[104:105], v[104:105], v[113:114], v[104:105]
	v_mul_f64 v[113:114], v[106:107], v[104:105]
	v_fma_f64 v[102:103], -v[102:103], v[113:114], v[106:107]
	v_div_fmas_f64 v[102:103], v[102:103], v[104:105], v[113:114]
	v_div_fixup_f64 v[102:103], v[102:103], v[123:124], v[121:122]
	v_fma_f64 v[104:105], v[121:122], v[102:103], v[123:124]
	v_div_scale_f64 v[106:107], s[20:21], v[104:105], v[104:105], 1.0
	v_div_scale_f64 v[117:118], vcc, 1.0, v[104:105], 1.0
	v_rcp_f64_e32 v[113:114], v[106:107]
	v_fma_f64 v[115:116], -v[106:107], v[113:114], 1.0
	v_fma_f64 v[113:114], v[113:114], v[115:116], v[113:114]
	v_fma_f64 v[115:116], -v[106:107], v[113:114], 1.0
	v_fma_f64 v[113:114], v[113:114], v[115:116], v[113:114]
	v_mul_f64 v[115:116], v[117:118], v[113:114]
	v_fma_f64 v[106:107], -v[106:107], v[115:116], v[117:118]
	v_div_fmas_f64 v[106:107], v[106:107], v[113:114], v[115:116]
	v_div_fixup_f64 v[123:124], v[106:107], v[104:105], 1.0
	v_mul_f64 v[121:122], v[102:103], v[123:124]
	v_xor_b32_e32 v124, 0x80000000, v124
.LBB74_70:
	s_andn2_saveexec_b64 s[18:19], s[18:19]
	s_cbranch_execz .LBB74_72
; %bb.71:
	v_div_scale_f64 v[102:103], s[20:21], v[121:122], v[121:122], v[123:124]
	v_rcp_f64_e32 v[104:105], v[102:103]
	v_fma_f64 v[106:107], -v[102:103], v[104:105], 1.0
	v_fma_f64 v[104:105], v[104:105], v[106:107], v[104:105]
	v_div_scale_f64 v[106:107], vcc, v[123:124], v[121:122], v[123:124]
	v_fma_f64 v[113:114], -v[102:103], v[104:105], 1.0
	v_fma_f64 v[104:105], v[104:105], v[113:114], v[104:105]
	v_mul_f64 v[113:114], v[106:107], v[104:105]
	v_fma_f64 v[102:103], -v[102:103], v[113:114], v[106:107]
	v_div_fmas_f64 v[102:103], v[102:103], v[104:105], v[113:114]
	v_div_fixup_f64 v[102:103], v[102:103], v[121:122], v[123:124]
	v_fma_f64 v[104:105], v[123:124], v[102:103], v[121:122]
	v_div_scale_f64 v[106:107], s[20:21], v[104:105], v[104:105], 1.0
	v_div_scale_f64 v[117:118], vcc, 1.0, v[104:105], 1.0
	v_rcp_f64_e32 v[113:114], v[106:107]
	v_fma_f64 v[115:116], -v[106:107], v[113:114], 1.0
	v_fma_f64 v[113:114], v[113:114], v[115:116], v[113:114]
	v_fma_f64 v[115:116], -v[106:107], v[113:114], 1.0
	v_fma_f64 v[113:114], v[113:114], v[115:116], v[113:114]
	v_mul_f64 v[115:116], v[117:118], v[113:114]
	v_fma_f64 v[106:107], -v[106:107], v[115:116], v[117:118]
	v_div_fmas_f64 v[106:107], v[106:107], v[113:114], v[115:116]
	v_div_fixup_f64 v[121:122], v[106:107], v[104:105], 1.0
	v_mul_f64 v[123:124], v[102:103], -v[121:122]
.LBB74_72:
	s_or_b64 exec, exec, s[18:19]
.LBB74_73:
	s_or_b64 exec, exec, s[0:1]
	v_cmp_ne_u32_e32 vcc, v100, v101
	s_and_saveexec_b64 s[0:1], vcc
	s_xor_b64 s[0:1], exec, s[0:1]
	s_cbranch_execz .LBB74_79
; %bb.74:
	v_cmp_eq_u32_e32 vcc, 3, v100
	s_and_saveexec_b64 s[18:19], vcc
	s_cbranch_execz .LBB74_78
; %bb.75:
	v_cmp_ne_u32_e32 vcc, 3, v101
	s_xor_b64 s[20:21], s[6:7], -1
	s_and_b64 s[22:23], s[20:21], vcc
	s_and_saveexec_b64 s[20:21], s[22:23]
	s_cbranch_execz .LBB74_77
; %bb.76:
	v_ashrrev_i32_e32 v102, 31, v101
	v_lshlrev_b64 v[102:103], 2, v[101:102]
	v_add_co_u32_e32 v102, vcc, v119, v102
	v_addc_co_u32_e32 v103, vcc, v120, v103, vcc
	global_load_dword v0, v[102:103], off
	global_load_dword v100, v[119:120], off offset:12
	s_waitcnt vmcnt(1)
	global_store_dword v[119:120], v0, off offset:12
	s_waitcnt vmcnt(1)
	global_store_dword v[102:103], v100, off
.LBB74_77:
	s_or_b64 exec, exec, s[20:21]
	v_mov_b32_e32 v100, v101
	v_mov_b32_e32 v0, v101
.LBB74_78:
	s_or_b64 exec, exec, s[18:19]
.LBB74_79:
	s_andn2_saveexec_b64 s[0:1], s[0:1]
	s_cbranch_execz .LBB74_81
; %bb.80:
	buffer_load_dword v100, off, s[24:27], 0 offset:128 ; 4-byte Folded Reload
	buffer_load_dword v101, off, s[24:27], 0 offset:132 ; 4-byte Folded Reload
	buffer_load_dword v102, off, s[24:27], 0 offset:136 ; 4-byte Folded Reload
	buffer_load_dword v103, off, s[24:27], 0 offset:140 ; 4-byte Folded Reload
	s_waitcnt vmcnt(0)
	ds_write2_b64 v98, v[100:101], v[102:103] offset0:8 offset1:9
	buffer_load_dword v100, off, s[24:27], 0 offset:112 ; 4-byte Folded Reload
	buffer_load_dword v101, off, s[24:27], 0 offset:116 ; 4-byte Folded Reload
	buffer_load_dword v102, off, s[24:27], 0 offset:120 ; 4-byte Folded Reload
	buffer_load_dword v103, off, s[24:27], 0 offset:124 ; 4-byte Folded Reload
	s_waitcnt vmcnt(0)
	ds_write2_b64 v98, v[100:101], v[102:103] offset0:10 offset1:11
	;; [unrolled: 6-line block ×8, first 2 shown]
	buffer_load_dword v100, off, s[24:27], 0 ; 4-byte Folded Reload
	buffer_load_dword v101, off, s[24:27], 0 offset:4 ; 4-byte Folded Reload
	buffer_load_dword v102, off, s[24:27], 0 offset:8 ; 4-byte Folded Reload
	;; [unrolled: 1-line block ×3, first 2 shown]
	s_waitcnt vmcnt(0)
	ds_write2_b64 v98, v[100:101], v[102:103] offset0:24 offset1:25
	ds_write2_b64 v98, v[93:94], v[95:96] offset0:26 offset1:27
	;; [unrolled: 1-line block ×26, first 2 shown]
	v_mov_b32_e32 v100, 3
.LBB74_81:
	s_or_b64 exec, exec, s[0:1]
	v_cmp_lt_i32_e32 vcc, 3, v100
	s_waitcnt vmcnt(0) lgkmcnt(0)
	s_barrier
	s_and_saveexec_b64 s[0:1], vcc
	s_cbranch_execz .LBB74_83
; %bb.82:
	buffer_load_dword v105, off, s[24:27], 0 offset:144 ; 4-byte Folded Reload
	buffer_load_dword v106, off, s[24:27], 0 offset:148 ; 4-byte Folded Reload
	;; [unrolled: 1-line block ×4, first 2 shown]
	s_waitcnt vmcnt(0)
	v_mul_f64 v[101:102], v[123:124], v[107:108]
	v_fma_f64 v[125:126], v[121:122], v[105:106], -v[101:102]
	v_mul_f64 v[101:102], v[121:122], v[107:108]
	v_fma_f64 v[107:108], v[123:124], v[105:106], v[101:102]
	ds_read2_b64 v[101:104], v98 offset0:8 offset1:9
	buffer_load_dword v113, off, s[24:27], 0 offset:128 ; 4-byte Folded Reload
	buffer_load_dword v114, off, s[24:27], 0 offset:132 ; 4-byte Folded Reload
	buffer_load_dword v115, off, s[24:27], 0 offset:136 ; 4-byte Folded Reload
	buffer_load_dword v116, off, s[24:27], 0 offset:140 ; 4-byte Folded Reload
	s_waitcnt lgkmcnt(0)
	v_mul_f64 v[105:106], v[103:104], v[107:108]
	v_fma_f64 v[105:106], v[101:102], v[125:126], -v[105:106]
	v_mul_f64 v[101:102], v[101:102], v[107:108]
	v_fma_f64 v[101:102], v[103:104], v[125:126], v[101:102]
	s_waitcnt vmcnt(2)
	v_add_f64 v[113:114], v[113:114], -v[105:106]
	s_waitcnt vmcnt(0)
	v_add_f64 v[115:116], v[115:116], -v[101:102]
	buffer_store_dword v113, off, s[24:27], 0 offset:128 ; 4-byte Folded Spill
	s_nop 0
	buffer_store_dword v114, off, s[24:27], 0 offset:132 ; 4-byte Folded Spill
	buffer_store_dword v115, off, s[24:27], 0 offset:136 ; 4-byte Folded Spill
	buffer_store_dword v116, off, s[24:27], 0 offset:140 ; 4-byte Folded Spill
	ds_read2_b64 v[101:104], v98 offset0:10 offset1:11
	buffer_load_dword v113, off, s[24:27], 0 offset:112 ; 4-byte Folded Reload
	buffer_load_dword v114, off, s[24:27], 0 offset:116 ; 4-byte Folded Reload
	buffer_load_dword v115, off, s[24:27], 0 offset:120 ; 4-byte Folded Reload
	buffer_load_dword v116, off, s[24:27], 0 offset:124 ; 4-byte Folded Reload
	s_waitcnt lgkmcnt(0)
	v_mul_f64 v[105:106], v[103:104], v[107:108]
	v_fma_f64 v[105:106], v[101:102], v[125:126], -v[105:106]
	v_mul_f64 v[101:102], v[101:102], v[107:108]
	v_fma_f64 v[101:102], v[103:104], v[125:126], v[101:102]
	s_waitcnt vmcnt(2)
	v_add_f64 v[113:114], v[113:114], -v[105:106]
	s_waitcnt vmcnt(0)
	v_add_f64 v[115:116], v[115:116], -v[101:102]
	buffer_store_dword v113, off, s[24:27], 0 offset:112 ; 4-byte Folded Spill
	s_nop 0
	buffer_store_dword v114, off, s[24:27], 0 offset:116 ; 4-byte Folded Spill
	buffer_store_dword v115, off, s[24:27], 0 offset:120 ; 4-byte Folded Spill
	buffer_store_dword v116, off, s[24:27], 0 offset:124 ; 4-byte Folded Spill
	;; [unrolled: 19-line block ×8, first 2 shown]
	ds_read2_b64 v[101:104], v98 offset0:24 offset1:25
	buffer_load_dword v113, off, s[24:27], 0 ; 4-byte Folded Reload
	buffer_load_dword v114, off, s[24:27], 0 offset:4 ; 4-byte Folded Reload
	buffer_load_dword v115, off, s[24:27], 0 offset:8 ; 4-byte Folded Reload
	;; [unrolled: 1-line block ×3, first 2 shown]
	s_waitcnt lgkmcnt(0)
	v_mul_f64 v[105:106], v[103:104], v[107:108]
	v_fma_f64 v[105:106], v[101:102], v[125:126], -v[105:106]
	v_mul_f64 v[101:102], v[101:102], v[107:108]
	v_fma_f64 v[101:102], v[103:104], v[125:126], v[101:102]
	s_waitcnt vmcnt(2)
	v_add_f64 v[113:114], v[113:114], -v[105:106]
	s_waitcnt vmcnt(0)
	v_add_f64 v[115:116], v[115:116], -v[101:102]
	buffer_store_dword v113, off, s[24:27], 0 ; 4-byte Folded Spill
	s_nop 0
	buffer_store_dword v114, off, s[24:27], 0 offset:4 ; 4-byte Folded Spill
	buffer_store_dword v115, off, s[24:27], 0 offset:8 ; 4-byte Folded Spill
	;; [unrolled: 1-line block ×3, first 2 shown]
	ds_read2_b64 v[101:104], v98 offset0:26 offset1:27
	s_waitcnt lgkmcnt(0)
	v_mul_f64 v[105:106], v[103:104], v[107:108]
	v_fma_f64 v[105:106], v[101:102], v[125:126], -v[105:106]
	v_mul_f64 v[101:102], v[101:102], v[107:108]
	v_add_f64 v[93:94], v[93:94], -v[105:106]
	v_fma_f64 v[101:102], v[103:104], v[125:126], v[101:102]
	v_add_f64 v[95:96], v[95:96], -v[101:102]
	ds_read2_b64 v[101:104], v98 offset0:28 offset1:29
	s_waitcnt lgkmcnt(0)
	v_mul_f64 v[105:106], v[103:104], v[107:108]
	v_fma_f64 v[105:106], v[101:102], v[125:126], -v[105:106]
	v_mul_f64 v[101:102], v[101:102], v[107:108]
	v_add_f64 v[89:90], v[89:90], -v[105:106]
	v_fma_f64 v[101:102], v[103:104], v[125:126], v[101:102]
	v_add_f64 v[91:92], v[91:92], -v[101:102]
	ds_read2_b64 v[101:104], v98 offset0:30 offset1:31
	s_waitcnt lgkmcnt(0)
	v_mul_f64 v[105:106], v[103:104], v[107:108]
	v_fma_f64 v[105:106], v[101:102], v[125:126], -v[105:106]
	v_mul_f64 v[101:102], v[101:102], v[107:108]
	v_add_f64 v[85:86], v[85:86], -v[105:106]
	v_fma_f64 v[101:102], v[103:104], v[125:126], v[101:102]
	v_add_f64 v[87:88], v[87:88], -v[101:102]
	ds_read2_b64 v[101:104], v98 offset0:32 offset1:33
	s_waitcnt lgkmcnt(0)
	v_mul_f64 v[105:106], v[103:104], v[107:108]
	v_fma_f64 v[105:106], v[101:102], v[125:126], -v[105:106]
	v_mul_f64 v[101:102], v[101:102], v[107:108]
	v_add_f64 v[81:82], v[81:82], -v[105:106]
	v_fma_f64 v[101:102], v[103:104], v[125:126], v[101:102]
	v_add_f64 v[83:84], v[83:84], -v[101:102]
	ds_read2_b64 v[101:104], v98 offset0:34 offset1:35
	s_waitcnt lgkmcnt(0)
	v_mul_f64 v[105:106], v[103:104], v[107:108]
	v_fma_f64 v[105:106], v[101:102], v[125:126], -v[105:106]
	v_mul_f64 v[101:102], v[101:102], v[107:108]
	v_add_f64 v[77:78], v[77:78], -v[105:106]
	v_fma_f64 v[101:102], v[103:104], v[125:126], v[101:102]
	v_add_f64 v[79:80], v[79:80], -v[101:102]
	ds_read2_b64 v[101:104], v98 offset0:36 offset1:37
	s_waitcnt lgkmcnt(0)
	v_mul_f64 v[105:106], v[103:104], v[107:108]
	v_fma_f64 v[105:106], v[101:102], v[125:126], -v[105:106]
	v_mul_f64 v[101:102], v[101:102], v[107:108]
	v_add_f64 v[73:74], v[73:74], -v[105:106]
	v_fma_f64 v[101:102], v[103:104], v[125:126], v[101:102]
	v_add_f64 v[75:76], v[75:76], -v[101:102]
	ds_read2_b64 v[101:104], v98 offset0:38 offset1:39
	s_waitcnt lgkmcnt(0)
	v_mul_f64 v[105:106], v[103:104], v[107:108]
	v_fma_f64 v[105:106], v[101:102], v[125:126], -v[105:106]
	v_mul_f64 v[101:102], v[101:102], v[107:108]
	v_add_f64 v[69:70], v[69:70], -v[105:106]
	v_fma_f64 v[101:102], v[103:104], v[125:126], v[101:102]
	v_add_f64 v[71:72], v[71:72], -v[101:102]
	ds_read2_b64 v[101:104], v98 offset0:40 offset1:41
	s_waitcnt lgkmcnt(0)
	v_mul_f64 v[105:106], v[103:104], v[107:108]
	v_fma_f64 v[105:106], v[101:102], v[125:126], -v[105:106]
	v_mul_f64 v[101:102], v[101:102], v[107:108]
	v_add_f64 v[65:66], v[65:66], -v[105:106]
	v_fma_f64 v[101:102], v[103:104], v[125:126], v[101:102]
	v_add_f64 v[67:68], v[67:68], -v[101:102]
	ds_read2_b64 v[101:104], v98 offset0:42 offset1:43
	s_waitcnt lgkmcnt(0)
	v_mul_f64 v[105:106], v[103:104], v[107:108]
	v_fma_f64 v[105:106], v[101:102], v[125:126], -v[105:106]
	v_mul_f64 v[101:102], v[101:102], v[107:108]
	v_add_f64 v[61:62], v[61:62], -v[105:106]
	v_fma_f64 v[101:102], v[103:104], v[125:126], v[101:102]
	v_add_f64 v[63:64], v[63:64], -v[101:102]
	ds_read2_b64 v[101:104], v98 offset0:44 offset1:45
	s_waitcnt lgkmcnt(0)
	v_mul_f64 v[105:106], v[103:104], v[107:108]
	v_fma_f64 v[105:106], v[101:102], v[125:126], -v[105:106]
	v_mul_f64 v[101:102], v[101:102], v[107:108]
	v_add_f64 v[57:58], v[57:58], -v[105:106]
	v_fma_f64 v[101:102], v[103:104], v[125:126], v[101:102]
	v_add_f64 v[59:60], v[59:60], -v[101:102]
	ds_read2_b64 v[101:104], v98 offset0:46 offset1:47
	s_waitcnt lgkmcnt(0)
	v_mul_f64 v[105:106], v[103:104], v[107:108]
	v_fma_f64 v[105:106], v[101:102], v[125:126], -v[105:106]
	v_mul_f64 v[101:102], v[101:102], v[107:108]
	v_add_f64 v[53:54], v[53:54], -v[105:106]
	v_fma_f64 v[101:102], v[103:104], v[125:126], v[101:102]
	v_add_f64 v[55:56], v[55:56], -v[101:102]
	ds_read2_b64 v[101:104], v98 offset0:48 offset1:49
	s_waitcnt lgkmcnt(0)
	v_mul_f64 v[105:106], v[103:104], v[107:108]
	v_fma_f64 v[105:106], v[101:102], v[125:126], -v[105:106]
	v_mul_f64 v[101:102], v[101:102], v[107:108]
	v_add_f64 v[49:50], v[49:50], -v[105:106]
	v_fma_f64 v[101:102], v[103:104], v[125:126], v[101:102]
	v_add_f64 v[51:52], v[51:52], -v[101:102]
	ds_read2_b64 v[101:104], v98 offset0:50 offset1:51
	s_waitcnt lgkmcnt(0)
	v_mul_f64 v[105:106], v[103:104], v[107:108]
	v_fma_f64 v[105:106], v[101:102], v[125:126], -v[105:106]
	v_mul_f64 v[101:102], v[101:102], v[107:108]
	v_add_f64 v[45:46], v[45:46], -v[105:106]
	v_fma_f64 v[101:102], v[103:104], v[125:126], v[101:102]
	v_add_f64 v[47:48], v[47:48], -v[101:102]
	ds_read2_b64 v[101:104], v98 offset0:52 offset1:53
	s_waitcnt lgkmcnt(0)
	v_mul_f64 v[105:106], v[103:104], v[107:108]
	v_fma_f64 v[105:106], v[101:102], v[125:126], -v[105:106]
	v_mul_f64 v[101:102], v[101:102], v[107:108]
	v_add_f64 v[41:42], v[41:42], -v[105:106]
	v_fma_f64 v[101:102], v[103:104], v[125:126], v[101:102]
	v_add_f64 v[43:44], v[43:44], -v[101:102]
	ds_read2_b64 v[101:104], v98 offset0:54 offset1:55
	s_waitcnt lgkmcnt(0)
	v_mul_f64 v[105:106], v[103:104], v[107:108]
	v_fma_f64 v[105:106], v[101:102], v[125:126], -v[105:106]
	v_mul_f64 v[101:102], v[101:102], v[107:108]
	v_add_f64 v[37:38], v[37:38], -v[105:106]
	v_fma_f64 v[101:102], v[103:104], v[125:126], v[101:102]
	v_add_f64 v[39:40], v[39:40], -v[101:102]
	ds_read2_b64 v[101:104], v98 offset0:56 offset1:57
	s_waitcnt lgkmcnt(0)
	v_mul_f64 v[105:106], v[103:104], v[107:108]
	v_fma_f64 v[105:106], v[101:102], v[125:126], -v[105:106]
	v_mul_f64 v[101:102], v[101:102], v[107:108]
	v_add_f64 v[33:34], v[33:34], -v[105:106]
	v_fma_f64 v[101:102], v[103:104], v[125:126], v[101:102]
	v_add_f64 v[35:36], v[35:36], -v[101:102]
	ds_read2_b64 v[101:104], v98 offset0:58 offset1:59
	s_waitcnt lgkmcnt(0)
	v_mul_f64 v[105:106], v[103:104], v[107:108]
	v_fma_f64 v[105:106], v[101:102], v[125:126], -v[105:106]
	v_mul_f64 v[101:102], v[101:102], v[107:108]
	v_add_f64 v[29:30], v[29:30], -v[105:106]
	v_fma_f64 v[101:102], v[103:104], v[125:126], v[101:102]
	v_add_f64 v[31:32], v[31:32], -v[101:102]
	ds_read2_b64 v[101:104], v98 offset0:60 offset1:61
	s_waitcnt lgkmcnt(0)
	v_mul_f64 v[105:106], v[103:104], v[107:108]
	v_fma_f64 v[105:106], v[101:102], v[125:126], -v[105:106]
	v_mul_f64 v[101:102], v[101:102], v[107:108]
	v_add_f64 v[25:26], v[25:26], -v[105:106]
	v_fma_f64 v[101:102], v[103:104], v[125:126], v[101:102]
	v_add_f64 v[27:28], v[27:28], -v[101:102]
	ds_read2_b64 v[101:104], v98 offset0:62 offset1:63
	s_waitcnt lgkmcnt(0)
	v_mul_f64 v[105:106], v[103:104], v[107:108]
	v_fma_f64 v[105:106], v[101:102], v[125:126], -v[105:106]
	v_mul_f64 v[101:102], v[101:102], v[107:108]
	v_add_f64 v[21:22], v[21:22], -v[105:106]
	v_fma_f64 v[101:102], v[103:104], v[125:126], v[101:102]
	v_add_f64 v[23:24], v[23:24], -v[101:102]
	ds_read2_b64 v[101:104], v98 offset0:64 offset1:65
	s_waitcnt lgkmcnt(0)
	v_mul_f64 v[105:106], v[103:104], v[107:108]
	v_fma_f64 v[105:106], v[101:102], v[125:126], -v[105:106]
	v_mul_f64 v[101:102], v[101:102], v[107:108]
	v_add_f64 v[17:18], v[17:18], -v[105:106]
	v_fma_f64 v[101:102], v[103:104], v[125:126], v[101:102]
	v_add_f64 v[19:20], v[19:20], -v[101:102]
	ds_read2_b64 v[101:104], v98 offset0:66 offset1:67
	s_waitcnt lgkmcnt(0)
	v_mul_f64 v[105:106], v[103:104], v[107:108]
	v_fma_f64 v[105:106], v[101:102], v[125:126], -v[105:106]
	v_mul_f64 v[101:102], v[101:102], v[107:108]
	v_add_f64 v[13:14], v[13:14], -v[105:106]
	v_fma_f64 v[101:102], v[103:104], v[125:126], v[101:102]
	v_add_f64 v[15:16], v[15:16], -v[101:102]
	ds_read2_b64 v[101:104], v98 offset0:68 offset1:69
	s_waitcnt lgkmcnt(0)
	v_mul_f64 v[105:106], v[103:104], v[107:108]
	v_fma_f64 v[105:106], v[101:102], v[125:126], -v[105:106]
	v_mul_f64 v[101:102], v[101:102], v[107:108]
	v_add_f64 v[9:10], v[9:10], -v[105:106]
	v_fma_f64 v[101:102], v[103:104], v[125:126], v[101:102]
	v_add_f64 v[11:12], v[11:12], -v[101:102]
	ds_read2_b64 v[101:104], v98 offset0:70 offset1:71
	s_waitcnt lgkmcnt(0)
	v_mul_f64 v[105:106], v[103:104], v[107:108]
	v_fma_f64 v[105:106], v[101:102], v[125:126], -v[105:106]
	v_mul_f64 v[101:102], v[101:102], v[107:108]
	v_add_f64 v[5:6], v[5:6], -v[105:106]
	v_fma_f64 v[101:102], v[103:104], v[125:126], v[101:102]
	v_add_f64 v[7:8], v[7:8], -v[101:102]
	ds_read2_b64 v[101:104], v98 offset0:72 offset1:73
	s_waitcnt lgkmcnt(0)
	v_mul_f64 v[105:106], v[103:104], v[107:108]
	v_fma_f64 v[105:106], v[101:102], v[125:126], -v[105:106]
	v_mul_f64 v[101:102], v[101:102], v[107:108]
	v_add_f64 v[1:2], v[1:2], -v[105:106]
	v_fma_f64 v[101:102], v[103:104], v[125:126], v[101:102]
	v_add_f64 v[3:4], v[3:4], -v[101:102]
	ds_read2_b64 v[101:104], v98 offset0:74 offset1:75
	s_waitcnt lgkmcnt(0)
	v_mul_f64 v[105:106], v[103:104], v[107:108]
	v_fma_f64 v[105:106], v[101:102], v[125:126], -v[105:106]
	v_mul_f64 v[101:102], v[101:102], v[107:108]
	v_add_f64 v[109:110], v[109:110], -v[105:106]
	v_fma_f64 v[101:102], v[103:104], v[125:126], v[101:102]
	v_mov_b32_e32 v105, v125
	v_mov_b32_e32 v106, v126
	buffer_store_dword v105, off, s[24:27], 0 offset:144 ; 4-byte Folded Spill
	s_nop 0
	buffer_store_dword v106, off, s[24:27], 0 offset:148 ; 4-byte Folded Spill
	buffer_store_dword v107, off, s[24:27], 0 offset:152 ; 4-byte Folded Spill
	;; [unrolled: 1-line block ×3, first 2 shown]
	v_add_f64 v[111:112], v[111:112], -v[101:102]
.LBB74_83:
	s_or_b64 exec, exec, s[0:1]
	s_waitcnt vmcnt(0)
	s_barrier
	buffer_load_dword v102, off, s[24:27], 0 offset:128 ; 4-byte Folded Reload
	buffer_load_dword v103, off, s[24:27], 0 offset:132 ; 4-byte Folded Reload
	;; [unrolled: 1-line block ×4, first 2 shown]
	v_lshl_add_u32 v101, v100, 4, v98
	s_cmp_lt_i32 s3, 6
	s_waitcnt vmcnt(0)
	ds_write2_b64 v101, v[102:103], v[104:105] offset1:1
	s_waitcnt lgkmcnt(0)
	s_barrier
	ds_read2_b64 v[121:124], v98 offset0:8 offset1:9
	v_mov_b32_e32 v101, 4
	s_cbranch_scc1 .LBB74_86
; %bb.84:
	v_mov_b32_e32 v101, 4
	v_add_u32_e32 v102, 0x50, v98
	s_mov_b32 s0, 5
.LBB74_85:                              ; =>This Inner Loop Header: Depth=1
	s_waitcnt lgkmcnt(0)
	v_cmp_gt_f64_e32 vcc, 0, v[121:122]
	v_xor_b32_e32 v107, 0x80000000, v122
	ds_read2_b64 v[103:106], v102 offset1:1
	v_xor_b32_e32 v113, 0x80000000, v124
	v_add_u32_e32 v102, 16, v102
	s_waitcnt lgkmcnt(0)
	v_xor_b32_e32 v115, 0x80000000, v106
	v_cndmask_b32_e32 v108, v122, v107, vcc
	v_cmp_gt_f64_e32 vcc, 0, v[123:124]
	v_mov_b32_e32 v107, v121
	v_cndmask_b32_e32 v114, v124, v113, vcc
	v_cmp_gt_f64_e32 vcc, 0, v[103:104]
	v_mov_b32_e32 v113, v123
	v_add_f64 v[107:108], v[107:108], v[113:114]
	v_xor_b32_e32 v113, 0x80000000, v104
	v_cndmask_b32_e32 v114, v104, v113, vcc
	v_cmp_gt_f64_e32 vcc, 0, v[105:106]
	v_mov_b32_e32 v113, v103
	v_cndmask_b32_e32 v116, v106, v115, vcc
	v_mov_b32_e32 v115, v105
	v_add_f64 v[113:114], v[113:114], v[115:116]
	v_cmp_lt_f64_e32 vcc, v[107:108], v[113:114]
	v_cndmask_b32_e32 v121, v121, v103, vcc
	v_mov_b32_e32 v103, s0
	s_add_i32 s0, s0, 1
	v_cndmask_b32_e32 v122, v122, v104, vcc
	v_cndmask_b32_e32 v124, v124, v106, vcc
	v_cndmask_b32_e32 v123, v123, v105, vcc
	v_cndmask_b32_e32 v101, v101, v103, vcc
	s_cmp_lg_u32 s3, s0
	s_cbranch_scc1 .LBB74_85
.LBB74_86:
	s_waitcnt lgkmcnt(0)
	v_cmp_eq_f64_e32 vcc, 0, v[121:122]
	v_cmp_eq_f64_e64 s[0:1], 0, v[123:124]
	s_and_b64 s[0:1], vcc, s[0:1]
	s_and_saveexec_b64 s[18:19], s[0:1]
	s_xor_b64 s[0:1], exec, s[18:19]
; %bb.87:
	v_cmp_ne_u32_e32 vcc, 0, v99
	v_cndmask_b32_e32 v99, 5, v99, vcc
; %bb.88:
	s_andn2_saveexec_b64 s[0:1], s[0:1]
	s_cbranch_execz .LBB74_94
; %bb.89:
	v_cmp_ngt_f64_e64 s[18:19], |v[121:122]|, |v[123:124]|
	s_and_saveexec_b64 s[20:21], s[18:19]
	s_xor_b64 s[18:19], exec, s[20:21]
	s_cbranch_execz .LBB74_91
; %bb.90:
	v_div_scale_f64 v[102:103], s[20:21], v[123:124], v[123:124], v[121:122]
	v_rcp_f64_e32 v[104:105], v[102:103]
	v_fma_f64 v[106:107], -v[102:103], v[104:105], 1.0
	v_fma_f64 v[104:105], v[104:105], v[106:107], v[104:105]
	v_div_scale_f64 v[106:107], vcc, v[121:122], v[123:124], v[121:122]
	v_fma_f64 v[113:114], -v[102:103], v[104:105], 1.0
	v_fma_f64 v[104:105], v[104:105], v[113:114], v[104:105]
	v_mul_f64 v[113:114], v[106:107], v[104:105]
	v_fma_f64 v[102:103], -v[102:103], v[113:114], v[106:107]
	v_div_fmas_f64 v[102:103], v[102:103], v[104:105], v[113:114]
	v_div_fixup_f64 v[102:103], v[102:103], v[123:124], v[121:122]
	v_fma_f64 v[104:105], v[121:122], v[102:103], v[123:124]
	v_div_scale_f64 v[106:107], s[20:21], v[104:105], v[104:105], 1.0
	v_div_scale_f64 v[117:118], vcc, 1.0, v[104:105], 1.0
	v_rcp_f64_e32 v[113:114], v[106:107]
	v_fma_f64 v[115:116], -v[106:107], v[113:114], 1.0
	v_fma_f64 v[113:114], v[113:114], v[115:116], v[113:114]
	v_fma_f64 v[115:116], -v[106:107], v[113:114], 1.0
	v_fma_f64 v[113:114], v[113:114], v[115:116], v[113:114]
	v_mul_f64 v[115:116], v[117:118], v[113:114]
	v_fma_f64 v[106:107], -v[106:107], v[115:116], v[117:118]
	v_div_fmas_f64 v[106:107], v[106:107], v[113:114], v[115:116]
	v_div_fixup_f64 v[123:124], v[106:107], v[104:105], 1.0
	v_mul_f64 v[121:122], v[102:103], v[123:124]
	v_xor_b32_e32 v124, 0x80000000, v124
.LBB74_91:
	s_andn2_saveexec_b64 s[18:19], s[18:19]
	s_cbranch_execz .LBB74_93
; %bb.92:
	v_div_scale_f64 v[102:103], s[20:21], v[121:122], v[121:122], v[123:124]
	v_rcp_f64_e32 v[104:105], v[102:103]
	v_fma_f64 v[106:107], -v[102:103], v[104:105], 1.0
	v_fma_f64 v[104:105], v[104:105], v[106:107], v[104:105]
	v_div_scale_f64 v[106:107], vcc, v[123:124], v[121:122], v[123:124]
	v_fma_f64 v[113:114], -v[102:103], v[104:105], 1.0
	v_fma_f64 v[104:105], v[104:105], v[113:114], v[104:105]
	v_mul_f64 v[113:114], v[106:107], v[104:105]
	v_fma_f64 v[102:103], -v[102:103], v[113:114], v[106:107]
	v_div_fmas_f64 v[102:103], v[102:103], v[104:105], v[113:114]
	v_div_fixup_f64 v[102:103], v[102:103], v[121:122], v[123:124]
	v_fma_f64 v[104:105], v[123:124], v[102:103], v[121:122]
	v_div_scale_f64 v[106:107], s[20:21], v[104:105], v[104:105], 1.0
	v_div_scale_f64 v[117:118], vcc, 1.0, v[104:105], 1.0
	v_rcp_f64_e32 v[113:114], v[106:107]
	v_fma_f64 v[115:116], -v[106:107], v[113:114], 1.0
	v_fma_f64 v[113:114], v[113:114], v[115:116], v[113:114]
	v_fma_f64 v[115:116], -v[106:107], v[113:114], 1.0
	v_fma_f64 v[113:114], v[113:114], v[115:116], v[113:114]
	v_mul_f64 v[115:116], v[117:118], v[113:114]
	v_fma_f64 v[106:107], -v[106:107], v[115:116], v[117:118]
	v_div_fmas_f64 v[106:107], v[106:107], v[113:114], v[115:116]
	v_div_fixup_f64 v[121:122], v[106:107], v[104:105], 1.0
	v_mul_f64 v[123:124], v[102:103], -v[121:122]
.LBB74_93:
	s_or_b64 exec, exec, s[18:19]
.LBB74_94:
	s_or_b64 exec, exec, s[0:1]
	v_cmp_ne_u32_e32 vcc, v100, v101
	s_and_saveexec_b64 s[0:1], vcc
	s_xor_b64 s[0:1], exec, s[0:1]
	s_cbranch_execz .LBB74_100
; %bb.95:
	v_cmp_eq_u32_e32 vcc, 4, v100
	s_and_saveexec_b64 s[18:19], vcc
	s_cbranch_execz .LBB74_99
; %bb.96:
	v_cmp_ne_u32_e32 vcc, 4, v101
	s_xor_b64 s[20:21], s[6:7], -1
	s_and_b64 s[22:23], s[20:21], vcc
	s_and_saveexec_b64 s[20:21], s[22:23]
	s_cbranch_execz .LBB74_98
; %bb.97:
	v_ashrrev_i32_e32 v102, 31, v101
	v_lshlrev_b64 v[102:103], 2, v[101:102]
	v_add_co_u32_e32 v102, vcc, v119, v102
	v_addc_co_u32_e32 v103, vcc, v120, v103, vcc
	global_load_dword v0, v[102:103], off
	global_load_dword v100, v[119:120], off offset:16
	s_waitcnt vmcnt(1)
	global_store_dword v[119:120], v0, off offset:16
	s_waitcnt vmcnt(1)
	global_store_dword v[102:103], v100, off
.LBB74_98:
	s_or_b64 exec, exec, s[20:21]
	v_mov_b32_e32 v100, v101
	v_mov_b32_e32 v0, v101
.LBB74_99:
	s_or_b64 exec, exec, s[18:19]
.LBB74_100:
	s_andn2_saveexec_b64 s[0:1], s[0:1]
	s_cbranch_execz .LBB74_102
; %bb.101:
	buffer_load_dword v100, off, s[24:27], 0 offset:112 ; 4-byte Folded Reload
	buffer_load_dword v101, off, s[24:27], 0 offset:116 ; 4-byte Folded Reload
	buffer_load_dword v102, off, s[24:27], 0 offset:120 ; 4-byte Folded Reload
	buffer_load_dword v103, off, s[24:27], 0 offset:124 ; 4-byte Folded Reload
	s_waitcnt vmcnt(0)
	ds_write2_b64 v98, v[100:101], v[102:103] offset0:10 offset1:11
	buffer_load_dword v100, off, s[24:27], 0 offset:96 ; 4-byte Folded Reload
	buffer_load_dword v101, off, s[24:27], 0 offset:100 ; 4-byte Folded Reload
	buffer_load_dword v102, off, s[24:27], 0 offset:104 ; 4-byte Folded Reload
	buffer_load_dword v103, off, s[24:27], 0 offset:108 ; 4-byte Folded Reload
	s_waitcnt vmcnt(0)
	ds_write2_b64 v98, v[100:101], v[102:103] offset0:12 offset1:13
	;; [unrolled: 6-line block ×7, first 2 shown]
	buffer_load_dword v100, off, s[24:27], 0 ; 4-byte Folded Reload
	buffer_load_dword v101, off, s[24:27], 0 offset:4 ; 4-byte Folded Reload
	buffer_load_dword v102, off, s[24:27], 0 offset:8 ; 4-byte Folded Reload
	;; [unrolled: 1-line block ×3, first 2 shown]
	s_waitcnt vmcnt(0)
	ds_write2_b64 v98, v[100:101], v[102:103] offset0:24 offset1:25
	ds_write2_b64 v98, v[93:94], v[95:96] offset0:26 offset1:27
	;; [unrolled: 1-line block ×26, first 2 shown]
	v_mov_b32_e32 v100, 4
.LBB74_102:
	s_or_b64 exec, exec, s[0:1]
	v_cmp_lt_i32_e32 vcc, 4, v100
	s_waitcnt vmcnt(0) lgkmcnt(0)
	s_barrier
	s_and_saveexec_b64 s[0:1], vcc
	s_cbranch_execz .LBB74_104
; %bb.103:
	buffer_load_dword v105, off, s[24:27], 0 offset:128 ; 4-byte Folded Reload
	buffer_load_dword v106, off, s[24:27], 0 offset:132 ; 4-byte Folded Reload
	;; [unrolled: 1-line block ×4, first 2 shown]
	s_waitcnt vmcnt(0)
	v_mul_f64 v[101:102], v[123:124], v[107:108]
	v_fma_f64 v[125:126], v[121:122], v[105:106], -v[101:102]
	v_mul_f64 v[101:102], v[121:122], v[107:108]
	v_fma_f64 v[107:108], v[123:124], v[105:106], v[101:102]
	ds_read2_b64 v[101:104], v98 offset0:10 offset1:11
	buffer_load_dword v113, off, s[24:27], 0 offset:112 ; 4-byte Folded Reload
	buffer_load_dword v114, off, s[24:27], 0 offset:116 ; 4-byte Folded Reload
	buffer_load_dword v115, off, s[24:27], 0 offset:120 ; 4-byte Folded Reload
	buffer_load_dword v116, off, s[24:27], 0 offset:124 ; 4-byte Folded Reload
	s_waitcnt lgkmcnt(0)
	v_mul_f64 v[105:106], v[103:104], v[107:108]
	v_fma_f64 v[105:106], v[101:102], v[125:126], -v[105:106]
	v_mul_f64 v[101:102], v[101:102], v[107:108]
	v_fma_f64 v[101:102], v[103:104], v[125:126], v[101:102]
	s_waitcnt vmcnt(2)
	v_add_f64 v[113:114], v[113:114], -v[105:106]
	s_waitcnt vmcnt(0)
	v_add_f64 v[115:116], v[115:116], -v[101:102]
	buffer_store_dword v113, off, s[24:27], 0 offset:112 ; 4-byte Folded Spill
	s_nop 0
	buffer_store_dword v114, off, s[24:27], 0 offset:116 ; 4-byte Folded Spill
	buffer_store_dword v115, off, s[24:27], 0 offset:120 ; 4-byte Folded Spill
	buffer_store_dword v116, off, s[24:27], 0 offset:124 ; 4-byte Folded Spill
	ds_read2_b64 v[101:104], v98 offset0:12 offset1:13
	buffer_load_dword v113, off, s[24:27], 0 offset:96 ; 4-byte Folded Reload
	buffer_load_dword v114, off, s[24:27], 0 offset:100 ; 4-byte Folded Reload
	buffer_load_dword v115, off, s[24:27], 0 offset:104 ; 4-byte Folded Reload
	buffer_load_dword v116, off, s[24:27], 0 offset:108 ; 4-byte Folded Reload
	s_waitcnt lgkmcnt(0)
	v_mul_f64 v[105:106], v[103:104], v[107:108]
	v_fma_f64 v[105:106], v[101:102], v[125:126], -v[105:106]
	v_mul_f64 v[101:102], v[101:102], v[107:108]
	v_fma_f64 v[101:102], v[103:104], v[125:126], v[101:102]
	s_waitcnt vmcnt(2)
	v_add_f64 v[113:114], v[113:114], -v[105:106]
	s_waitcnt vmcnt(0)
	v_add_f64 v[115:116], v[115:116], -v[101:102]
	buffer_store_dword v113, off, s[24:27], 0 offset:96 ; 4-byte Folded Spill
	s_nop 0
	buffer_store_dword v114, off, s[24:27], 0 offset:100 ; 4-byte Folded Spill
	buffer_store_dword v115, off, s[24:27], 0 offset:104 ; 4-byte Folded Spill
	buffer_store_dword v116, off, s[24:27], 0 offset:108 ; 4-byte Folded Spill
	;; [unrolled: 19-line block ×7, first 2 shown]
	ds_read2_b64 v[101:104], v98 offset0:24 offset1:25
	buffer_load_dword v113, off, s[24:27], 0 ; 4-byte Folded Reload
	buffer_load_dword v114, off, s[24:27], 0 offset:4 ; 4-byte Folded Reload
	buffer_load_dword v115, off, s[24:27], 0 offset:8 ; 4-byte Folded Reload
	;; [unrolled: 1-line block ×3, first 2 shown]
	s_waitcnt lgkmcnt(0)
	v_mul_f64 v[105:106], v[103:104], v[107:108]
	v_fma_f64 v[105:106], v[101:102], v[125:126], -v[105:106]
	v_mul_f64 v[101:102], v[101:102], v[107:108]
	v_fma_f64 v[101:102], v[103:104], v[125:126], v[101:102]
	s_waitcnt vmcnt(2)
	v_add_f64 v[113:114], v[113:114], -v[105:106]
	s_waitcnt vmcnt(0)
	v_add_f64 v[115:116], v[115:116], -v[101:102]
	buffer_store_dword v113, off, s[24:27], 0 ; 4-byte Folded Spill
	s_nop 0
	buffer_store_dword v114, off, s[24:27], 0 offset:4 ; 4-byte Folded Spill
	buffer_store_dword v115, off, s[24:27], 0 offset:8 ; 4-byte Folded Spill
	;; [unrolled: 1-line block ×3, first 2 shown]
	ds_read2_b64 v[101:104], v98 offset0:26 offset1:27
	s_waitcnt lgkmcnt(0)
	v_mul_f64 v[105:106], v[103:104], v[107:108]
	v_fma_f64 v[105:106], v[101:102], v[125:126], -v[105:106]
	v_mul_f64 v[101:102], v[101:102], v[107:108]
	v_add_f64 v[93:94], v[93:94], -v[105:106]
	v_fma_f64 v[101:102], v[103:104], v[125:126], v[101:102]
	v_add_f64 v[95:96], v[95:96], -v[101:102]
	ds_read2_b64 v[101:104], v98 offset0:28 offset1:29
	s_waitcnt lgkmcnt(0)
	v_mul_f64 v[105:106], v[103:104], v[107:108]
	v_fma_f64 v[105:106], v[101:102], v[125:126], -v[105:106]
	v_mul_f64 v[101:102], v[101:102], v[107:108]
	v_add_f64 v[89:90], v[89:90], -v[105:106]
	v_fma_f64 v[101:102], v[103:104], v[125:126], v[101:102]
	v_add_f64 v[91:92], v[91:92], -v[101:102]
	;; [unrolled: 8-line block ×24, first 2 shown]
	ds_read2_b64 v[101:104], v98 offset0:74 offset1:75
	s_waitcnt lgkmcnt(0)
	v_mul_f64 v[105:106], v[103:104], v[107:108]
	v_fma_f64 v[105:106], v[101:102], v[125:126], -v[105:106]
	v_mul_f64 v[101:102], v[101:102], v[107:108]
	v_add_f64 v[109:110], v[109:110], -v[105:106]
	v_fma_f64 v[101:102], v[103:104], v[125:126], v[101:102]
	v_mov_b32_e32 v105, v125
	v_mov_b32_e32 v106, v126
	buffer_store_dword v105, off, s[24:27], 0 offset:128 ; 4-byte Folded Spill
	s_nop 0
	buffer_store_dword v106, off, s[24:27], 0 offset:132 ; 4-byte Folded Spill
	buffer_store_dword v107, off, s[24:27], 0 offset:136 ; 4-byte Folded Spill
	;; [unrolled: 1-line block ×3, first 2 shown]
	v_add_f64 v[111:112], v[111:112], -v[101:102]
.LBB74_104:
	s_or_b64 exec, exec, s[0:1]
	s_waitcnt vmcnt(0)
	s_barrier
	buffer_load_dword v102, off, s[24:27], 0 offset:112 ; 4-byte Folded Reload
	buffer_load_dword v103, off, s[24:27], 0 offset:116 ; 4-byte Folded Reload
	;; [unrolled: 1-line block ×4, first 2 shown]
	v_lshl_add_u32 v101, v100, 4, v98
	s_cmp_lt_i32 s3, 7
	s_waitcnt vmcnt(0)
	ds_write2_b64 v101, v[102:103], v[104:105] offset1:1
	s_waitcnt lgkmcnt(0)
	s_barrier
	ds_read2_b64 v[121:124], v98 offset0:10 offset1:11
	v_mov_b32_e32 v101, 5
	s_cbranch_scc1 .LBB74_107
; %bb.105:
	v_add_u32_e32 v102, 0x60, v98
	s_mov_b32 s0, 6
	v_mov_b32_e32 v101, 5
.LBB74_106:                             ; =>This Inner Loop Header: Depth=1
	s_waitcnt lgkmcnt(0)
	v_cmp_gt_f64_e32 vcc, 0, v[121:122]
	v_xor_b32_e32 v107, 0x80000000, v122
	ds_read2_b64 v[103:106], v102 offset1:1
	v_xor_b32_e32 v113, 0x80000000, v124
	v_add_u32_e32 v102, 16, v102
	s_waitcnt lgkmcnt(0)
	v_xor_b32_e32 v115, 0x80000000, v106
	v_cndmask_b32_e32 v108, v122, v107, vcc
	v_cmp_gt_f64_e32 vcc, 0, v[123:124]
	v_mov_b32_e32 v107, v121
	v_cndmask_b32_e32 v114, v124, v113, vcc
	v_cmp_gt_f64_e32 vcc, 0, v[103:104]
	v_mov_b32_e32 v113, v123
	v_add_f64 v[107:108], v[107:108], v[113:114]
	v_xor_b32_e32 v113, 0x80000000, v104
	v_cndmask_b32_e32 v114, v104, v113, vcc
	v_cmp_gt_f64_e32 vcc, 0, v[105:106]
	v_mov_b32_e32 v113, v103
	v_cndmask_b32_e32 v116, v106, v115, vcc
	v_mov_b32_e32 v115, v105
	v_add_f64 v[113:114], v[113:114], v[115:116]
	v_cmp_lt_f64_e32 vcc, v[107:108], v[113:114]
	v_cndmask_b32_e32 v121, v121, v103, vcc
	v_mov_b32_e32 v103, s0
	s_add_i32 s0, s0, 1
	v_cndmask_b32_e32 v122, v122, v104, vcc
	v_cndmask_b32_e32 v124, v124, v106, vcc
	v_cndmask_b32_e32 v123, v123, v105, vcc
	v_cndmask_b32_e32 v101, v101, v103, vcc
	s_cmp_lg_u32 s3, s0
	s_cbranch_scc1 .LBB74_106
.LBB74_107:
	s_waitcnt lgkmcnt(0)
	v_cmp_eq_f64_e32 vcc, 0, v[121:122]
	v_cmp_eq_f64_e64 s[0:1], 0, v[123:124]
	s_and_b64 s[0:1], vcc, s[0:1]
	s_and_saveexec_b64 s[18:19], s[0:1]
	s_xor_b64 s[0:1], exec, s[18:19]
; %bb.108:
	v_cmp_ne_u32_e32 vcc, 0, v99
	v_cndmask_b32_e32 v99, 6, v99, vcc
; %bb.109:
	s_andn2_saveexec_b64 s[0:1], s[0:1]
	s_cbranch_execz .LBB74_115
; %bb.110:
	v_cmp_ngt_f64_e64 s[18:19], |v[121:122]|, |v[123:124]|
	s_and_saveexec_b64 s[20:21], s[18:19]
	s_xor_b64 s[18:19], exec, s[20:21]
	s_cbranch_execz .LBB74_112
; %bb.111:
	v_div_scale_f64 v[102:103], s[20:21], v[123:124], v[123:124], v[121:122]
	v_rcp_f64_e32 v[104:105], v[102:103]
	v_fma_f64 v[106:107], -v[102:103], v[104:105], 1.0
	v_fma_f64 v[104:105], v[104:105], v[106:107], v[104:105]
	v_div_scale_f64 v[106:107], vcc, v[121:122], v[123:124], v[121:122]
	v_fma_f64 v[113:114], -v[102:103], v[104:105], 1.0
	v_fma_f64 v[104:105], v[104:105], v[113:114], v[104:105]
	v_mul_f64 v[113:114], v[106:107], v[104:105]
	v_fma_f64 v[102:103], -v[102:103], v[113:114], v[106:107]
	v_div_fmas_f64 v[102:103], v[102:103], v[104:105], v[113:114]
	v_div_fixup_f64 v[102:103], v[102:103], v[123:124], v[121:122]
	v_fma_f64 v[104:105], v[121:122], v[102:103], v[123:124]
	v_div_scale_f64 v[106:107], s[20:21], v[104:105], v[104:105], 1.0
	v_div_scale_f64 v[117:118], vcc, 1.0, v[104:105], 1.0
	v_rcp_f64_e32 v[113:114], v[106:107]
	v_fma_f64 v[115:116], -v[106:107], v[113:114], 1.0
	v_fma_f64 v[113:114], v[113:114], v[115:116], v[113:114]
	v_fma_f64 v[115:116], -v[106:107], v[113:114], 1.0
	v_fma_f64 v[113:114], v[113:114], v[115:116], v[113:114]
	v_mul_f64 v[115:116], v[117:118], v[113:114]
	v_fma_f64 v[106:107], -v[106:107], v[115:116], v[117:118]
	v_div_fmas_f64 v[106:107], v[106:107], v[113:114], v[115:116]
	v_div_fixup_f64 v[123:124], v[106:107], v[104:105], 1.0
	v_mul_f64 v[121:122], v[102:103], v[123:124]
	v_xor_b32_e32 v124, 0x80000000, v124
.LBB74_112:
	s_andn2_saveexec_b64 s[18:19], s[18:19]
	s_cbranch_execz .LBB74_114
; %bb.113:
	v_div_scale_f64 v[102:103], s[20:21], v[121:122], v[121:122], v[123:124]
	v_rcp_f64_e32 v[104:105], v[102:103]
	v_fma_f64 v[106:107], -v[102:103], v[104:105], 1.0
	v_fma_f64 v[104:105], v[104:105], v[106:107], v[104:105]
	v_div_scale_f64 v[106:107], vcc, v[123:124], v[121:122], v[123:124]
	v_fma_f64 v[113:114], -v[102:103], v[104:105], 1.0
	v_fma_f64 v[104:105], v[104:105], v[113:114], v[104:105]
	v_mul_f64 v[113:114], v[106:107], v[104:105]
	v_fma_f64 v[102:103], -v[102:103], v[113:114], v[106:107]
	v_div_fmas_f64 v[102:103], v[102:103], v[104:105], v[113:114]
	v_div_fixup_f64 v[102:103], v[102:103], v[121:122], v[123:124]
	v_fma_f64 v[104:105], v[123:124], v[102:103], v[121:122]
	v_div_scale_f64 v[106:107], s[20:21], v[104:105], v[104:105], 1.0
	v_div_scale_f64 v[117:118], vcc, 1.0, v[104:105], 1.0
	v_rcp_f64_e32 v[113:114], v[106:107]
	v_fma_f64 v[115:116], -v[106:107], v[113:114], 1.0
	v_fma_f64 v[113:114], v[113:114], v[115:116], v[113:114]
	v_fma_f64 v[115:116], -v[106:107], v[113:114], 1.0
	v_fma_f64 v[113:114], v[113:114], v[115:116], v[113:114]
	v_mul_f64 v[115:116], v[117:118], v[113:114]
	v_fma_f64 v[106:107], -v[106:107], v[115:116], v[117:118]
	v_div_fmas_f64 v[106:107], v[106:107], v[113:114], v[115:116]
	v_div_fixup_f64 v[121:122], v[106:107], v[104:105], 1.0
	v_mul_f64 v[123:124], v[102:103], -v[121:122]
.LBB74_114:
	s_or_b64 exec, exec, s[18:19]
.LBB74_115:
	s_or_b64 exec, exec, s[0:1]
	v_cmp_ne_u32_e32 vcc, v100, v101
	s_and_saveexec_b64 s[0:1], vcc
	s_xor_b64 s[0:1], exec, s[0:1]
	s_cbranch_execz .LBB74_121
; %bb.116:
	v_cmp_eq_u32_e32 vcc, 5, v100
	s_and_saveexec_b64 s[18:19], vcc
	s_cbranch_execz .LBB74_120
; %bb.117:
	v_cmp_ne_u32_e32 vcc, 5, v101
	s_xor_b64 s[20:21], s[6:7], -1
	s_and_b64 s[22:23], s[20:21], vcc
	s_and_saveexec_b64 s[20:21], s[22:23]
	s_cbranch_execz .LBB74_119
; %bb.118:
	v_ashrrev_i32_e32 v102, 31, v101
	v_lshlrev_b64 v[102:103], 2, v[101:102]
	v_add_co_u32_e32 v102, vcc, v119, v102
	v_addc_co_u32_e32 v103, vcc, v120, v103, vcc
	global_load_dword v0, v[102:103], off
	global_load_dword v100, v[119:120], off offset:20
	s_waitcnt vmcnt(1)
	global_store_dword v[119:120], v0, off offset:20
	s_waitcnt vmcnt(1)
	global_store_dword v[102:103], v100, off
.LBB74_119:
	s_or_b64 exec, exec, s[20:21]
	v_mov_b32_e32 v100, v101
	v_mov_b32_e32 v0, v101
.LBB74_120:
	s_or_b64 exec, exec, s[18:19]
.LBB74_121:
	s_andn2_saveexec_b64 s[0:1], s[0:1]
	s_cbranch_execz .LBB74_123
; %bb.122:
	buffer_load_dword v100, off, s[24:27], 0 offset:96 ; 4-byte Folded Reload
	buffer_load_dword v101, off, s[24:27], 0 offset:100 ; 4-byte Folded Reload
	buffer_load_dword v102, off, s[24:27], 0 offset:104 ; 4-byte Folded Reload
	buffer_load_dword v103, off, s[24:27], 0 offset:108 ; 4-byte Folded Reload
	s_waitcnt vmcnt(0)
	ds_write2_b64 v98, v[100:101], v[102:103] offset0:12 offset1:13
	buffer_load_dword v100, off, s[24:27], 0 offset:80 ; 4-byte Folded Reload
	buffer_load_dword v101, off, s[24:27], 0 offset:84 ; 4-byte Folded Reload
	buffer_load_dword v102, off, s[24:27], 0 offset:88 ; 4-byte Folded Reload
	buffer_load_dword v103, off, s[24:27], 0 offset:92 ; 4-byte Folded Reload
	s_waitcnt vmcnt(0)
	ds_write2_b64 v98, v[100:101], v[102:103] offset0:14 offset1:15
	;; [unrolled: 6-line block ×6, first 2 shown]
	buffer_load_dword v100, off, s[24:27], 0 ; 4-byte Folded Reload
	buffer_load_dword v101, off, s[24:27], 0 offset:4 ; 4-byte Folded Reload
	buffer_load_dword v102, off, s[24:27], 0 offset:8 ; 4-byte Folded Reload
	;; [unrolled: 1-line block ×3, first 2 shown]
	s_waitcnt vmcnt(0)
	ds_write2_b64 v98, v[100:101], v[102:103] offset0:24 offset1:25
	ds_write2_b64 v98, v[93:94], v[95:96] offset0:26 offset1:27
	;; [unrolled: 1-line block ×26, first 2 shown]
	v_mov_b32_e32 v100, 5
.LBB74_123:
	s_or_b64 exec, exec, s[0:1]
	v_cmp_lt_i32_e32 vcc, 5, v100
	s_waitcnt vmcnt(0) lgkmcnt(0)
	s_barrier
	s_and_saveexec_b64 s[0:1], vcc
	s_cbranch_execz .LBB74_125
; %bb.124:
	buffer_load_dword v105, off, s[24:27], 0 offset:112 ; 4-byte Folded Reload
	buffer_load_dword v106, off, s[24:27], 0 offset:116 ; 4-byte Folded Reload
	;; [unrolled: 1-line block ×4, first 2 shown]
	s_waitcnt vmcnt(0)
	v_mul_f64 v[101:102], v[123:124], v[107:108]
	v_fma_f64 v[125:126], v[121:122], v[105:106], -v[101:102]
	v_mul_f64 v[101:102], v[121:122], v[107:108]
	v_fma_f64 v[107:108], v[123:124], v[105:106], v[101:102]
	ds_read2_b64 v[101:104], v98 offset0:12 offset1:13
	buffer_load_dword v113, off, s[24:27], 0 offset:96 ; 4-byte Folded Reload
	buffer_load_dword v114, off, s[24:27], 0 offset:100 ; 4-byte Folded Reload
	buffer_load_dword v115, off, s[24:27], 0 offset:104 ; 4-byte Folded Reload
	buffer_load_dword v116, off, s[24:27], 0 offset:108 ; 4-byte Folded Reload
	s_waitcnt lgkmcnt(0)
	v_mul_f64 v[105:106], v[103:104], v[107:108]
	v_fma_f64 v[105:106], v[101:102], v[125:126], -v[105:106]
	v_mul_f64 v[101:102], v[101:102], v[107:108]
	v_fma_f64 v[101:102], v[103:104], v[125:126], v[101:102]
	s_waitcnt vmcnt(2)
	v_add_f64 v[113:114], v[113:114], -v[105:106]
	s_waitcnt vmcnt(0)
	v_add_f64 v[115:116], v[115:116], -v[101:102]
	buffer_store_dword v113, off, s[24:27], 0 offset:96 ; 4-byte Folded Spill
	s_nop 0
	buffer_store_dword v114, off, s[24:27], 0 offset:100 ; 4-byte Folded Spill
	buffer_store_dword v115, off, s[24:27], 0 offset:104 ; 4-byte Folded Spill
	buffer_store_dword v116, off, s[24:27], 0 offset:108 ; 4-byte Folded Spill
	ds_read2_b64 v[101:104], v98 offset0:14 offset1:15
	buffer_load_dword v113, off, s[24:27], 0 offset:80 ; 4-byte Folded Reload
	buffer_load_dword v114, off, s[24:27], 0 offset:84 ; 4-byte Folded Reload
	buffer_load_dword v115, off, s[24:27], 0 offset:88 ; 4-byte Folded Reload
	buffer_load_dword v116, off, s[24:27], 0 offset:92 ; 4-byte Folded Reload
	s_waitcnt lgkmcnt(0)
	v_mul_f64 v[105:106], v[103:104], v[107:108]
	v_fma_f64 v[105:106], v[101:102], v[125:126], -v[105:106]
	v_mul_f64 v[101:102], v[101:102], v[107:108]
	v_fma_f64 v[101:102], v[103:104], v[125:126], v[101:102]
	s_waitcnt vmcnt(2)
	v_add_f64 v[113:114], v[113:114], -v[105:106]
	s_waitcnt vmcnt(0)
	v_add_f64 v[115:116], v[115:116], -v[101:102]
	buffer_store_dword v113, off, s[24:27], 0 offset:80 ; 4-byte Folded Spill
	s_nop 0
	buffer_store_dword v114, off, s[24:27], 0 offset:84 ; 4-byte Folded Spill
	buffer_store_dword v115, off, s[24:27], 0 offset:88 ; 4-byte Folded Spill
	buffer_store_dword v116, off, s[24:27], 0 offset:92 ; 4-byte Folded Spill
	;; [unrolled: 19-line block ×6, first 2 shown]
	ds_read2_b64 v[101:104], v98 offset0:24 offset1:25
	buffer_load_dword v113, off, s[24:27], 0 ; 4-byte Folded Reload
	buffer_load_dword v114, off, s[24:27], 0 offset:4 ; 4-byte Folded Reload
	buffer_load_dword v115, off, s[24:27], 0 offset:8 ; 4-byte Folded Reload
	buffer_load_dword v116, off, s[24:27], 0 offset:12 ; 4-byte Folded Reload
	s_waitcnt lgkmcnt(0)
	v_mul_f64 v[105:106], v[103:104], v[107:108]
	v_fma_f64 v[105:106], v[101:102], v[125:126], -v[105:106]
	v_mul_f64 v[101:102], v[101:102], v[107:108]
	v_fma_f64 v[101:102], v[103:104], v[125:126], v[101:102]
	s_waitcnt vmcnt(2)
	v_add_f64 v[113:114], v[113:114], -v[105:106]
	s_waitcnt vmcnt(0)
	v_add_f64 v[115:116], v[115:116], -v[101:102]
	buffer_store_dword v113, off, s[24:27], 0 ; 4-byte Folded Spill
	s_nop 0
	buffer_store_dword v114, off, s[24:27], 0 offset:4 ; 4-byte Folded Spill
	buffer_store_dword v115, off, s[24:27], 0 offset:8 ; 4-byte Folded Spill
	;; [unrolled: 1-line block ×3, first 2 shown]
	ds_read2_b64 v[101:104], v98 offset0:26 offset1:27
	s_waitcnt lgkmcnt(0)
	v_mul_f64 v[105:106], v[103:104], v[107:108]
	v_fma_f64 v[105:106], v[101:102], v[125:126], -v[105:106]
	v_mul_f64 v[101:102], v[101:102], v[107:108]
	v_add_f64 v[93:94], v[93:94], -v[105:106]
	v_fma_f64 v[101:102], v[103:104], v[125:126], v[101:102]
	v_add_f64 v[95:96], v[95:96], -v[101:102]
	ds_read2_b64 v[101:104], v98 offset0:28 offset1:29
	s_waitcnt lgkmcnt(0)
	v_mul_f64 v[105:106], v[103:104], v[107:108]
	v_fma_f64 v[105:106], v[101:102], v[125:126], -v[105:106]
	v_mul_f64 v[101:102], v[101:102], v[107:108]
	v_add_f64 v[89:90], v[89:90], -v[105:106]
	v_fma_f64 v[101:102], v[103:104], v[125:126], v[101:102]
	v_add_f64 v[91:92], v[91:92], -v[101:102]
	;; [unrolled: 8-line block ×24, first 2 shown]
	ds_read2_b64 v[101:104], v98 offset0:74 offset1:75
	s_waitcnt lgkmcnt(0)
	v_mul_f64 v[105:106], v[103:104], v[107:108]
	v_fma_f64 v[105:106], v[101:102], v[125:126], -v[105:106]
	v_mul_f64 v[101:102], v[101:102], v[107:108]
	v_add_f64 v[109:110], v[109:110], -v[105:106]
	v_fma_f64 v[101:102], v[103:104], v[125:126], v[101:102]
	v_mov_b32_e32 v105, v125
	v_mov_b32_e32 v106, v126
	buffer_store_dword v105, off, s[24:27], 0 offset:112 ; 4-byte Folded Spill
	s_nop 0
	buffer_store_dword v106, off, s[24:27], 0 offset:116 ; 4-byte Folded Spill
	buffer_store_dword v107, off, s[24:27], 0 offset:120 ; 4-byte Folded Spill
	;; [unrolled: 1-line block ×3, first 2 shown]
	v_add_f64 v[111:112], v[111:112], -v[101:102]
.LBB74_125:
	s_or_b64 exec, exec, s[0:1]
	s_waitcnt vmcnt(0)
	s_barrier
	buffer_load_dword v102, off, s[24:27], 0 offset:96 ; 4-byte Folded Reload
	buffer_load_dword v103, off, s[24:27], 0 offset:100 ; 4-byte Folded Reload
	;; [unrolled: 1-line block ×4, first 2 shown]
	v_lshl_add_u32 v101, v100, 4, v98
	s_cmp_lt_i32 s3, 8
	s_waitcnt vmcnt(0)
	ds_write2_b64 v101, v[102:103], v[104:105] offset1:1
	s_waitcnt lgkmcnt(0)
	s_barrier
	ds_read2_b64 v[121:124], v98 offset0:12 offset1:13
	v_mov_b32_e32 v101, 6
	s_cbranch_scc1 .LBB74_128
; %bb.126:
	v_add_u32_e32 v102, 0x70, v98
	s_mov_b32 s0, 7
	v_mov_b32_e32 v101, 6
.LBB74_127:                             ; =>This Inner Loop Header: Depth=1
	s_waitcnt lgkmcnt(0)
	v_cmp_gt_f64_e32 vcc, 0, v[121:122]
	v_xor_b32_e32 v107, 0x80000000, v122
	ds_read2_b64 v[103:106], v102 offset1:1
	v_xor_b32_e32 v113, 0x80000000, v124
	v_add_u32_e32 v102, 16, v102
	s_waitcnt lgkmcnt(0)
	v_xor_b32_e32 v115, 0x80000000, v106
	v_cndmask_b32_e32 v108, v122, v107, vcc
	v_cmp_gt_f64_e32 vcc, 0, v[123:124]
	v_mov_b32_e32 v107, v121
	v_cndmask_b32_e32 v114, v124, v113, vcc
	v_cmp_gt_f64_e32 vcc, 0, v[103:104]
	v_mov_b32_e32 v113, v123
	v_add_f64 v[107:108], v[107:108], v[113:114]
	v_xor_b32_e32 v113, 0x80000000, v104
	v_cndmask_b32_e32 v114, v104, v113, vcc
	v_cmp_gt_f64_e32 vcc, 0, v[105:106]
	v_mov_b32_e32 v113, v103
	v_cndmask_b32_e32 v116, v106, v115, vcc
	v_mov_b32_e32 v115, v105
	v_add_f64 v[113:114], v[113:114], v[115:116]
	v_cmp_lt_f64_e32 vcc, v[107:108], v[113:114]
	v_cndmask_b32_e32 v121, v121, v103, vcc
	v_mov_b32_e32 v103, s0
	s_add_i32 s0, s0, 1
	v_cndmask_b32_e32 v122, v122, v104, vcc
	v_cndmask_b32_e32 v124, v124, v106, vcc
	;; [unrolled: 1-line block ×4, first 2 shown]
	s_cmp_lg_u32 s3, s0
	s_cbranch_scc1 .LBB74_127
.LBB74_128:
	s_waitcnt lgkmcnt(0)
	v_cmp_eq_f64_e32 vcc, 0, v[121:122]
	v_cmp_eq_f64_e64 s[0:1], 0, v[123:124]
	s_and_b64 s[0:1], vcc, s[0:1]
	s_and_saveexec_b64 s[18:19], s[0:1]
	s_xor_b64 s[0:1], exec, s[18:19]
; %bb.129:
	v_cmp_ne_u32_e32 vcc, 0, v99
	v_cndmask_b32_e32 v99, 7, v99, vcc
; %bb.130:
	s_andn2_saveexec_b64 s[0:1], s[0:1]
	s_cbranch_execz .LBB74_136
; %bb.131:
	v_cmp_ngt_f64_e64 s[18:19], |v[121:122]|, |v[123:124]|
	s_and_saveexec_b64 s[20:21], s[18:19]
	s_xor_b64 s[18:19], exec, s[20:21]
	s_cbranch_execz .LBB74_133
; %bb.132:
	v_div_scale_f64 v[102:103], s[20:21], v[123:124], v[123:124], v[121:122]
	v_rcp_f64_e32 v[104:105], v[102:103]
	v_fma_f64 v[106:107], -v[102:103], v[104:105], 1.0
	v_fma_f64 v[104:105], v[104:105], v[106:107], v[104:105]
	v_div_scale_f64 v[106:107], vcc, v[121:122], v[123:124], v[121:122]
	v_fma_f64 v[113:114], -v[102:103], v[104:105], 1.0
	v_fma_f64 v[104:105], v[104:105], v[113:114], v[104:105]
	v_mul_f64 v[113:114], v[106:107], v[104:105]
	v_fma_f64 v[102:103], -v[102:103], v[113:114], v[106:107]
	v_div_fmas_f64 v[102:103], v[102:103], v[104:105], v[113:114]
	v_div_fixup_f64 v[102:103], v[102:103], v[123:124], v[121:122]
	v_fma_f64 v[104:105], v[121:122], v[102:103], v[123:124]
	v_div_scale_f64 v[106:107], s[20:21], v[104:105], v[104:105], 1.0
	v_div_scale_f64 v[117:118], vcc, 1.0, v[104:105], 1.0
	v_rcp_f64_e32 v[113:114], v[106:107]
	v_fma_f64 v[115:116], -v[106:107], v[113:114], 1.0
	v_fma_f64 v[113:114], v[113:114], v[115:116], v[113:114]
	v_fma_f64 v[115:116], -v[106:107], v[113:114], 1.0
	v_fma_f64 v[113:114], v[113:114], v[115:116], v[113:114]
	v_mul_f64 v[115:116], v[117:118], v[113:114]
	v_fma_f64 v[106:107], -v[106:107], v[115:116], v[117:118]
	v_div_fmas_f64 v[106:107], v[106:107], v[113:114], v[115:116]
	v_div_fixup_f64 v[123:124], v[106:107], v[104:105], 1.0
	v_mul_f64 v[121:122], v[102:103], v[123:124]
	v_xor_b32_e32 v124, 0x80000000, v124
.LBB74_133:
	s_andn2_saveexec_b64 s[18:19], s[18:19]
	s_cbranch_execz .LBB74_135
; %bb.134:
	v_div_scale_f64 v[102:103], s[20:21], v[121:122], v[121:122], v[123:124]
	v_rcp_f64_e32 v[104:105], v[102:103]
	v_fma_f64 v[106:107], -v[102:103], v[104:105], 1.0
	v_fma_f64 v[104:105], v[104:105], v[106:107], v[104:105]
	v_div_scale_f64 v[106:107], vcc, v[123:124], v[121:122], v[123:124]
	v_fma_f64 v[113:114], -v[102:103], v[104:105], 1.0
	v_fma_f64 v[104:105], v[104:105], v[113:114], v[104:105]
	v_mul_f64 v[113:114], v[106:107], v[104:105]
	v_fma_f64 v[102:103], -v[102:103], v[113:114], v[106:107]
	v_div_fmas_f64 v[102:103], v[102:103], v[104:105], v[113:114]
	v_div_fixup_f64 v[102:103], v[102:103], v[121:122], v[123:124]
	v_fma_f64 v[104:105], v[123:124], v[102:103], v[121:122]
	v_div_scale_f64 v[106:107], s[20:21], v[104:105], v[104:105], 1.0
	v_div_scale_f64 v[117:118], vcc, 1.0, v[104:105], 1.0
	v_rcp_f64_e32 v[113:114], v[106:107]
	v_fma_f64 v[115:116], -v[106:107], v[113:114], 1.0
	v_fma_f64 v[113:114], v[113:114], v[115:116], v[113:114]
	v_fma_f64 v[115:116], -v[106:107], v[113:114], 1.0
	v_fma_f64 v[113:114], v[113:114], v[115:116], v[113:114]
	v_mul_f64 v[115:116], v[117:118], v[113:114]
	v_fma_f64 v[106:107], -v[106:107], v[115:116], v[117:118]
	v_div_fmas_f64 v[106:107], v[106:107], v[113:114], v[115:116]
	v_div_fixup_f64 v[121:122], v[106:107], v[104:105], 1.0
	v_mul_f64 v[123:124], v[102:103], -v[121:122]
.LBB74_135:
	s_or_b64 exec, exec, s[18:19]
.LBB74_136:
	s_or_b64 exec, exec, s[0:1]
	v_cmp_ne_u32_e32 vcc, v100, v101
	s_and_saveexec_b64 s[0:1], vcc
	s_xor_b64 s[0:1], exec, s[0:1]
	s_cbranch_execz .LBB74_142
; %bb.137:
	v_cmp_eq_u32_e32 vcc, 6, v100
	s_and_saveexec_b64 s[18:19], vcc
	s_cbranch_execz .LBB74_141
; %bb.138:
	v_cmp_ne_u32_e32 vcc, 6, v101
	s_xor_b64 s[20:21], s[6:7], -1
	s_and_b64 s[22:23], s[20:21], vcc
	s_and_saveexec_b64 s[20:21], s[22:23]
	s_cbranch_execz .LBB74_140
; %bb.139:
	v_ashrrev_i32_e32 v102, 31, v101
	v_lshlrev_b64 v[102:103], 2, v[101:102]
	v_add_co_u32_e32 v102, vcc, v119, v102
	v_addc_co_u32_e32 v103, vcc, v120, v103, vcc
	global_load_dword v0, v[102:103], off
	global_load_dword v100, v[119:120], off offset:24
	s_waitcnt vmcnt(1)
	global_store_dword v[119:120], v0, off offset:24
	s_waitcnt vmcnt(1)
	global_store_dword v[102:103], v100, off
.LBB74_140:
	s_or_b64 exec, exec, s[20:21]
	v_mov_b32_e32 v100, v101
	v_mov_b32_e32 v0, v101
.LBB74_141:
	s_or_b64 exec, exec, s[18:19]
.LBB74_142:
	s_andn2_saveexec_b64 s[0:1], s[0:1]
	s_cbranch_execz .LBB74_144
; %bb.143:
	buffer_load_dword v100, off, s[24:27], 0 offset:80 ; 4-byte Folded Reload
	buffer_load_dword v101, off, s[24:27], 0 offset:84 ; 4-byte Folded Reload
	buffer_load_dword v102, off, s[24:27], 0 offset:88 ; 4-byte Folded Reload
	buffer_load_dword v103, off, s[24:27], 0 offset:92 ; 4-byte Folded Reload
	s_waitcnt vmcnt(0)
	ds_write2_b64 v98, v[100:101], v[102:103] offset0:14 offset1:15
	buffer_load_dword v100, off, s[24:27], 0 offset:64 ; 4-byte Folded Reload
	buffer_load_dword v101, off, s[24:27], 0 offset:68 ; 4-byte Folded Reload
	buffer_load_dword v102, off, s[24:27], 0 offset:72 ; 4-byte Folded Reload
	buffer_load_dword v103, off, s[24:27], 0 offset:76 ; 4-byte Folded Reload
	s_waitcnt vmcnt(0)
	ds_write2_b64 v98, v[100:101], v[102:103] offset0:16 offset1:17
	;; [unrolled: 6-line block ×5, first 2 shown]
	buffer_load_dword v100, off, s[24:27], 0 ; 4-byte Folded Reload
	buffer_load_dword v101, off, s[24:27], 0 offset:4 ; 4-byte Folded Reload
	buffer_load_dword v102, off, s[24:27], 0 offset:8 ; 4-byte Folded Reload
	buffer_load_dword v103, off, s[24:27], 0 offset:12 ; 4-byte Folded Reload
	s_waitcnt vmcnt(0)
	ds_write2_b64 v98, v[100:101], v[102:103] offset0:24 offset1:25
	ds_write2_b64 v98, v[93:94], v[95:96] offset0:26 offset1:27
	;; [unrolled: 1-line block ×26, first 2 shown]
	v_mov_b32_e32 v100, 6
.LBB74_144:
	s_or_b64 exec, exec, s[0:1]
	v_cmp_lt_i32_e32 vcc, 6, v100
	s_waitcnt vmcnt(0) lgkmcnt(0)
	s_barrier
	s_and_saveexec_b64 s[0:1], vcc
	s_cbranch_execz .LBB74_146
; %bb.145:
	buffer_load_dword v105, off, s[24:27], 0 offset:96 ; 4-byte Folded Reload
	buffer_load_dword v106, off, s[24:27], 0 offset:100 ; 4-byte Folded Reload
	buffer_load_dword v107, off, s[24:27], 0 offset:104 ; 4-byte Folded Reload
	buffer_load_dword v108, off, s[24:27], 0 offset:108 ; 4-byte Folded Reload
	s_waitcnt vmcnt(0)
	v_mul_f64 v[101:102], v[123:124], v[107:108]
	v_fma_f64 v[125:126], v[121:122], v[105:106], -v[101:102]
	v_mul_f64 v[101:102], v[121:122], v[107:108]
	v_fma_f64 v[107:108], v[123:124], v[105:106], v[101:102]
	ds_read2_b64 v[101:104], v98 offset0:14 offset1:15
	buffer_load_dword v113, off, s[24:27], 0 offset:80 ; 4-byte Folded Reload
	buffer_load_dword v114, off, s[24:27], 0 offset:84 ; 4-byte Folded Reload
	buffer_load_dword v115, off, s[24:27], 0 offset:88 ; 4-byte Folded Reload
	buffer_load_dword v116, off, s[24:27], 0 offset:92 ; 4-byte Folded Reload
	s_waitcnt lgkmcnt(0)
	v_mul_f64 v[105:106], v[103:104], v[107:108]
	v_fma_f64 v[105:106], v[101:102], v[125:126], -v[105:106]
	v_mul_f64 v[101:102], v[101:102], v[107:108]
	v_fma_f64 v[101:102], v[103:104], v[125:126], v[101:102]
	s_waitcnt vmcnt(2)
	v_add_f64 v[113:114], v[113:114], -v[105:106]
	s_waitcnt vmcnt(0)
	v_add_f64 v[115:116], v[115:116], -v[101:102]
	buffer_store_dword v113, off, s[24:27], 0 offset:80 ; 4-byte Folded Spill
	s_nop 0
	buffer_store_dword v114, off, s[24:27], 0 offset:84 ; 4-byte Folded Spill
	buffer_store_dword v115, off, s[24:27], 0 offset:88 ; 4-byte Folded Spill
	buffer_store_dword v116, off, s[24:27], 0 offset:92 ; 4-byte Folded Spill
	ds_read2_b64 v[101:104], v98 offset0:16 offset1:17
	buffer_load_dword v113, off, s[24:27], 0 offset:64 ; 4-byte Folded Reload
	buffer_load_dword v114, off, s[24:27], 0 offset:68 ; 4-byte Folded Reload
	buffer_load_dword v115, off, s[24:27], 0 offset:72 ; 4-byte Folded Reload
	buffer_load_dword v116, off, s[24:27], 0 offset:76 ; 4-byte Folded Reload
	s_waitcnt lgkmcnt(0)
	v_mul_f64 v[105:106], v[103:104], v[107:108]
	v_fma_f64 v[105:106], v[101:102], v[125:126], -v[105:106]
	v_mul_f64 v[101:102], v[101:102], v[107:108]
	v_fma_f64 v[101:102], v[103:104], v[125:126], v[101:102]
	s_waitcnt vmcnt(2)
	v_add_f64 v[113:114], v[113:114], -v[105:106]
	s_waitcnt vmcnt(0)
	v_add_f64 v[115:116], v[115:116], -v[101:102]
	buffer_store_dword v113, off, s[24:27], 0 offset:64 ; 4-byte Folded Spill
	s_nop 0
	buffer_store_dword v114, off, s[24:27], 0 offset:68 ; 4-byte Folded Spill
	buffer_store_dword v115, off, s[24:27], 0 offset:72 ; 4-byte Folded Spill
	buffer_store_dword v116, off, s[24:27], 0 offset:76 ; 4-byte Folded Spill
	;; [unrolled: 19-line block ×5, first 2 shown]
	ds_read2_b64 v[101:104], v98 offset0:24 offset1:25
	buffer_load_dword v113, off, s[24:27], 0 ; 4-byte Folded Reload
	buffer_load_dword v114, off, s[24:27], 0 offset:4 ; 4-byte Folded Reload
	buffer_load_dword v115, off, s[24:27], 0 offset:8 ; 4-byte Folded Reload
	;; [unrolled: 1-line block ×3, first 2 shown]
	s_waitcnt lgkmcnt(0)
	v_mul_f64 v[105:106], v[103:104], v[107:108]
	v_fma_f64 v[105:106], v[101:102], v[125:126], -v[105:106]
	v_mul_f64 v[101:102], v[101:102], v[107:108]
	v_fma_f64 v[101:102], v[103:104], v[125:126], v[101:102]
	s_waitcnt vmcnt(2)
	v_add_f64 v[113:114], v[113:114], -v[105:106]
	s_waitcnt vmcnt(0)
	v_add_f64 v[115:116], v[115:116], -v[101:102]
	buffer_store_dword v113, off, s[24:27], 0 ; 4-byte Folded Spill
	s_nop 0
	buffer_store_dword v114, off, s[24:27], 0 offset:4 ; 4-byte Folded Spill
	buffer_store_dword v115, off, s[24:27], 0 offset:8 ; 4-byte Folded Spill
	;; [unrolled: 1-line block ×3, first 2 shown]
	ds_read2_b64 v[101:104], v98 offset0:26 offset1:27
	s_waitcnt lgkmcnt(0)
	v_mul_f64 v[105:106], v[103:104], v[107:108]
	v_fma_f64 v[105:106], v[101:102], v[125:126], -v[105:106]
	v_mul_f64 v[101:102], v[101:102], v[107:108]
	v_add_f64 v[93:94], v[93:94], -v[105:106]
	v_fma_f64 v[101:102], v[103:104], v[125:126], v[101:102]
	v_add_f64 v[95:96], v[95:96], -v[101:102]
	ds_read2_b64 v[101:104], v98 offset0:28 offset1:29
	s_waitcnt lgkmcnt(0)
	v_mul_f64 v[105:106], v[103:104], v[107:108]
	v_fma_f64 v[105:106], v[101:102], v[125:126], -v[105:106]
	v_mul_f64 v[101:102], v[101:102], v[107:108]
	v_add_f64 v[89:90], v[89:90], -v[105:106]
	v_fma_f64 v[101:102], v[103:104], v[125:126], v[101:102]
	v_add_f64 v[91:92], v[91:92], -v[101:102]
	;; [unrolled: 8-line block ×24, first 2 shown]
	ds_read2_b64 v[101:104], v98 offset0:74 offset1:75
	s_waitcnt lgkmcnt(0)
	v_mul_f64 v[105:106], v[103:104], v[107:108]
	v_fma_f64 v[105:106], v[101:102], v[125:126], -v[105:106]
	v_mul_f64 v[101:102], v[101:102], v[107:108]
	v_add_f64 v[109:110], v[109:110], -v[105:106]
	v_fma_f64 v[101:102], v[103:104], v[125:126], v[101:102]
	v_mov_b32_e32 v105, v125
	v_mov_b32_e32 v106, v126
	buffer_store_dword v105, off, s[24:27], 0 offset:96 ; 4-byte Folded Spill
	s_nop 0
	buffer_store_dword v106, off, s[24:27], 0 offset:100 ; 4-byte Folded Spill
	buffer_store_dword v107, off, s[24:27], 0 offset:104 ; 4-byte Folded Spill
	;; [unrolled: 1-line block ×3, first 2 shown]
	v_add_f64 v[111:112], v[111:112], -v[101:102]
.LBB74_146:
	s_or_b64 exec, exec, s[0:1]
	s_waitcnt vmcnt(0)
	s_barrier
	buffer_load_dword v102, off, s[24:27], 0 offset:80 ; 4-byte Folded Reload
	buffer_load_dword v103, off, s[24:27], 0 offset:84 ; 4-byte Folded Reload
	;; [unrolled: 1-line block ×4, first 2 shown]
	v_lshl_add_u32 v101, v100, 4, v98
	s_cmp_lt_i32 s3, 9
	s_waitcnt vmcnt(0)
	ds_write2_b64 v101, v[102:103], v[104:105] offset1:1
	s_waitcnt lgkmcnt(0)
	s_barrier
	ds_read2_b64 v[121:124], v98 offset0:14 offset1:15
	v_mov_b32_e32 v101, 7
	s_cbranch_scc1 .LBB74_149
; %bb.147:
	v_add_u32_e32 v102, 0x80, v98
	s_mov_b32 s0, 8
	v_mov_b32_e32 v101, 7
.LBB74_148:                             ; =>This Inner Loop Header: Depth=1
	s_waitcnt lgkmcnt(0)
	v_cmp_gt_f64_e32 vcc, 0, v[121:122]
	v_xor_b32_e32 v107, 0x80000000, v122
	ds_read2_b64 v[103:106], v102 offset1:1
	v_xor_b32_e32 v113, 0x80000000, v124
	v_add_u32_e32 v102, 16, v102
	s_waitcnt lgkmcnt(0)
	v_xor_b32_e32 v115, 0x80000000, v106
	v_cndmask_b32_e32 v108, v122, v107, vcc
	v_cmp_gt_f64_e32 vcc, 0, v[123:124]
	v_mov_b32_e32 v107, v121
	v_cndmask_b32_e32 v114, v124, v113, vcc
	v_cmp_gt_f64_e32 vcc, 0, v[103:104]
	v_mov_b32_e32 v113, v123
	v_add_f64 v[107:108], v[107:108], v[113:114]
	v_xor_b32_e32 v113, 0x80000000, v104
	v_cndmask_b32_e32 v114, v104, v113, vcc
	v_cmp_gt_f64_e32 vcc, 0, v[105:106]
	v_mov_b32_e32 v113, v103
	v_cndmask_b32_e32 v116, v106, v115, vcc
	v_mov_b32_e32 v115, v105
	v_add_f64 v[113:114], v[113:114], v[115:116]
	v_cmp_lt_f64_e32 vcc, v[107:108], v[113:114]
	v_cndmask_b32_e32 v121, v121, v103, vcc
	v_mov_b32_e32 v103, s0
	s_add_i32 s0, s0, 1
	v_cndmask_b32_e32 v122, v122, v104, vcc
	v_cndmask_b32_e32 v124, v124, v106, vcc
	;; [unrolled: 1-line block ×4, first 2 shown]
	s_cmp_lg_u32 s3, s0
	s_cbranch_scc1 .LBB74_148
.LBB74_149:
	s_waitcnt lgkmcnt(0)
	v_cmp_eq_f64_e32 vcc, 0, v[121:122]
	v_cmp_eq_f64_e64 s[0:1], 0, v[123:124]
	s_and_b64 s[0:1], vcc, s[0:1]
	s_and_saveexec_b64 s[18:19], s[0:1]
	s_xor_b64 s[0:1], exec, s[18:19]
; %bb.150:
	v_cmp_ne_u32_e32 vcc, 0, v99
	v_cndmask_b32_e32 v99, 8, v99, vcc
; %bb.151:
	s_andn2_saveexec_b64 s[0:1], s[0:1]
	s_cbranch_execz .LBB74_157
; %bb.152:
	v_cmp_ngt_f64_e64 s[18:19], |v[121:122]|, |v[123:124]|
	s_and_saveexec_b64 s[20:21], s[18:19]
	s_xor_b64 s[18:19], exec, s[20:21]
	s_cbranch_execz .LBB74_154
; %bb.153:
	v_div_scale_f64 v[102:103], s[20:21], v[123:124], v[123:124], v[121:122]
	v_rcp_f64_e32 v[104:105], v[102:103]
	v_fma_f64 v[106:107], -v[102:103], v[104:105], 1.0
	v_fma_f64 v[104:105], v[104:105], v[106:107], v[104:105]
	v_div_scale_f64 v[106:107], vcc, v[121:122], v[123:124], v[121:122]
	v_fma_f64 v[113:114], -v[102:103], v[104:105], 1.0
	v_fma_f64 v[104:105], v[104:105], v[113:114], v[104:105]
	v_mul_f64 v[113:114], v[106:107], v[104:105]
	v_fma_f64 v[102:103], -v[102:103], v[113:114], v[106:107]
	v_div_fmas_f64 v[102:103], v[102:103], v[104:105], v[113:114]
	v_div_fixup_f64 v[102:103], v[102:103], v[123:124], v[121:122]
	v_fma_f64 v[104:105], v[121:122], v[102:103], v[123:124]
	v_div_scale_f64 v[106:107], s[20:21], v[104:105], v[104:105], 1.0
	v_div_scale_f64 v[117:118], vcc, 1.0, v[104:105], 1.0
	v_rcp_f64_e32 v[113:114], v[106:107]
	v_fma_f64 v[115:116], -v[106:107], v[113:114], 1.0
	v_fma_f64 v[113:114], v[113:114], v[115:116], v[113:114]
	v_fma_f64 v[115:116], -v[106:107], v[113:114], 1.0
	v_fma_f64 v[113:114], v[113:114], v[115:116], v[113:114]
	v_mul_f64 v[115:116], v[117:118], v[113:114]
	v_fma_f64 v[106:107], -v[106:107], v[115:116], v[117:118]
	v_div_fmas_f64 v[106:107], v[106:107], v[113:114], v[115:116]
	v_div_fixup_f64 v[123:124], v[106:107], v[104:105], 1.0
	v_mul_f64 v[121:122], v[102:103], v[123:124]
	v_xor_b32_e32 v124, 0x80000000, v124
.LBB74_154:
	s_andn2_saveexec_b64 s[18:19], s[18:19]
	s_cbranch_execz .LBB74_156
; %bb.155:
	v_div_scale_f64 v[102:103], s[20:21], v[121:122], v[121:122], v[123:124]
	v_rcp_f64_e32 v[104:105], v[102:103]
	v_fma_f64 v[106:107], -v[102:103], v[104:105], 1.0
	v_fma_f64 v[104:105], v[104:105], v[106:107], v[104:105]
	v_div_scale_f64 v[106:107], vcc, v[123:124], v[121:122], v[123:124]
	v_fma_f64 v[113:114], -v[102:103], v[104:105], 1.0
	v_fma_f64 v[104:105], v[104:105], v[113:114], v[104:105]
	v_mul_f64 v[113:114], v[106:107], v[104:105]
	v_fma_f64 v[102:103], -v[102:103], v[113:114], v[106:107]
	v_div_fmas_f64 v[102:103], v[102:103], v[104:105], v[113:114]
	v_div_fixup_f64 v[102:103], v[102:103], v[121:122], v[123:124]
	v_fma_f64 v[104:105], v[123:124], v[102:103], v[121:122]
	v_div_scale_f64 v[106:107], s[20:21], v[104:105], v[104:105], 1.0
	v_div_scale_f64 v[117:118], vcc, 1.0, v[104:105], 1.0
	v_rcp_f64_e32 v[113:114], v[106:107]
	v_fma_f64 v[115:116], -v[106:107], v[113:114], 1.0
	v_fma_f64 v[113:114], v[113:114], v[115:116], v[113:114]
	v_fma_f64 v[115:116], -v[106:107], v[113:114], 1.0
	v_fma_f64 v[113:114], v[113:114], v[115:116], v[113:114]
	v_mul_f64 v[115:116], v[117:118], v[113:114]
	v_fma_f64 v[106:107], -v[106:107], v[115:116], v[117:118]
	v_div_fmas_f64 v[106:107], v[106:107], v[113:114], v[115:116]
	v_div_fixup_f64 v[121:122], v[106:107], v[104:105], 1.0
	v_mul_f64 v[123:124], v[102:103], -v[121:122]
.LBB74_156:
	s_or_b64 exec, exec, s[18:19]
.LBB74_157:
	s_or_b64 exec, exec, s[0:1]
	v_cmp_ne_u32_e32 vcc, v100, v101
	s_and_saveexec_b64 s[0:1], vcc
	s_xor_b64 s[0:1], exec, s[0:1]
	s_cbranch_execz .LBB74_163
; %bb.158:
	v_cmp_eq_u32_e32 vcc, 7, v100
	s_and_saveexec_b64 s[18:19], vcc
	s_cbranch_execz .LBB74_162
; %bb.159:
	v_cmp_ne_u32_e32 vcc, 7, v101
	s_xor_b64 s[20:21], s[6:7], -1
	s_and_b64 s[22:23], s[20:21], vcc
	s_and_saveexec_b64 s[20:21], s[22:23]
	s_cbranch_execz .LBB74_161
; %bb.160:
	v_ashrrev_i32_e32 v102, 31, v101
	v_lshlrev_b64 v[102:103], 2, v[101:102]
	v_add_co_u32_e32 v102, vcc, v119, v102
	v_addc_co_u32_e32 v103, vcc, v120, v103, vcc
	global_load_dword v0, v[102:103], off
	global_load_dword v100, v[119:120], off offset:28
	s_waitcnt vmcnt(1)
	global_store_dword v[119:120], v0, off offset:28
	s_waitcnt vmcnt(1)
	global_store_dword v[102:103], v100, off
.LBB74_161:
	s_or_b64 exec, exec, s[20:21]
	v_mov_b32_e32 v100, v101
	v_mov_b32_e32 v0, v101
.LBB74_162:
	s_or_b64 exec, exec, s[18:19]
.LBB74_163:
	s_andn2_saveexec_b64 s[0:1], s[0:1]
	s_cbranch_execz .LBB74_165
; %bb.164:
	buffer_load_dword v100, off, s[24:27], 0 offset:64 ; 4-byte Folded Reload
	buffer_load_dword v101, off, s[24:27], 0 offset:68 ; 4-byte Folded Reload
	buffer_load_dword v102, off, s[24:27], 0 offset:72 ; 4-byte Folded Reload
	buffer_load_dword v103, off, s[24:27], 0 offset:76 ; 4-byte Folded Reload
	s_waitcnt vmcnt(0)
	ds_write2_b64 v98, v[100:101], v[102:103] offset0:16 offset1:17
	buffer_load_dword v100, off, s[24:27], 0 offset:48 ; 4-byte Folded Reload
	buffer_load_dword v101, off, s[24:27], 0 offset:52 ; 4-byte Folded Reload
	buffer_load_dword v102, off, s[24:27], 0 offset:56 ; 4-byte Folded Reload
	buffer_load_dword v103, off, s[24:27], 0 offset:60 ; 4-byte Folded Reload
	s_waitcnt vmcnt(0)
	ds_write2_b64 v98, v[100:101], v[102:103] offset0:18 offset1:19
	;; [unrolled: 6-line block ×4, first 2 shown]
	buffer_load_dword v100, off, s[24:27], 0 ; 4-byte Folded Reload
	buffer_load_dword v101, off, s[24:27], 0 offset:4 ; 4-byte Folded Reload
	buffer_load_dword v102, off, s[24:27], 0 offset:8 ; 4-byte Folded Reload
	;; [unrolled: 1-line block ×3, first 2 shown]
	s_waitcnt vmcnt(0)
	ds_write2_b64 v98, v[100:101], v[102:103] offset0:24 offset1:25
	ds_write2_b64 v98, v[93:94], v[95:96] offset0:26 offset1:27
	;; [unrolled: 1-line block ×26, first 2 shown]
	v_mov_b32_e32 v100, 7
.LBB74_165:
	s_or_b64 exec, exec, s[0:1]
	v_cmp_lt_i32_e32 vcc, 7, v100
	s_waitcnt vmcnt(0) lgkmcnt(0)
	s_barrier
	s_and_saveexec_b64 s[0:1], vcc
	s_cbranch_execz .LBB74_167
; %bb.166:
	buffer_load_dword v105, off, s[24:27], 0 offset:80 ; 4-byte Folded Reload
	buffer_load_dword v106, off, s[24:27], 0 offset:84 ; 4-byte Folded Reload
	buffer_load_dword v107, off, s[24:27], 0 offset:88 ; 4-byte Folded Reload
	buffer_load_dword v108, off, s[24:27], 0 offset:92 ; 4-byte Folded Reload
	s_waitcnt vmcnt(0)
	v_mul_f64 v[101:102], v[123:124], v[107:108]
	v_fma_f64 v[125:126], v[121:122], v[105:106], -v[101:102]
	v_mul_f64 v[101:102], v[121:122], v[107:108]
	v_fma_f64 v[107:108], v[123:124], v[105:106], v[101:102]
	ds_read2_b64 v[101:104], v98 offset0:16 offset1:17
	buffer_load_dword v113, off, s[24:27], 0 offset:64 ; 4-byte Folded Reload
	buffer_load_dword v114, off, s[24:27], 0 offset:68 ; 4-byte Folded Reload
	buffer_load_dword v115, off, s[24:27], 0 offset:72 ; 4-byte Folded Reload
	buffer_load_dword v116, off, s[24:27], 0 offset:76 ; 4-byte Folded Reload
	s_waitcnt lgkmcnt(0)
	v_mul_f64 v[105:106], v[103:104], v[107:108]
	v_fma_f64 v[105:106], v[101:102], v[125:126], -v[105:106]
	v_mul_f64 v[101:102], v[101:102], v[107:108]
	v_fma_f64 v[101:102], v[103:104], v[125:126], v[101:102]
	s_waitcnt vmcnt(2)
	v_add_f64 v[113:114], v[113:114], -v[105:106]
	s_waitcnt vmcnt(0)
	v_add_f64 v[115:116], v[115:116], -v[101:102]
	buffer_store_dword v113, off, s[24:27], 0 offset:64 ; 4-byte Folded Spill
	s_nop 0
	buffer_store_dword v114, off, s[24:27], 0 offset:68 ; 4-byte Folded Spill
	buffer_store_dword v115, off, s[24:27], 0 offset:72 ; 4-byte Folded Spill
	buffer_store_dword v116, off, s[24:27], 0 offset:76 ; 4-byte Folded Spill
	ds_read2_b64 v[101:104], v98 offset0:18 offset1:19
	buffer_load_dword v113, off, s[24:27], 0 offset:48 ; 4-byte Folded Reload
	buffer_load_dword v114, off, s[24:27], 0 offset:52 ; 4-byte Folded Reload
	buffer_load_dword v115, off, s[24:27], 0 offset:56 ; 4-byte Folded Reload
	buffer_load_dword v116, off, s[24:27], 0 offset:60 ; 4-byte Folded Reload
	s_waitcnt lgkmcnt(0)
	v_mul_f64 v[105:106], v[103:104], v[107:108]
	v_fma_f64 v[105:106], v[101:102], v[125:126], -v[105:106]
	v_mul_f64 v[101:102], v[101:102], v[107:108]
	v_fma_f64 v[101:102], v[103:104], v[125:126], v[101:102]
	s_waitcnt vmcnt(2)
	v_add_f64 v[113:114], v[113:114], -v[105:106]
	s_waitcnt vmcnt(0)
	v_add_f64 v[115:116], v[115:116], -v[101:102]
	buffer_store_dword v113, off, s[24:27], 0 offset:48 ; 4-byte Folded Spill
	s_nop 0
	buffer_store_dword v114, off, s[24:27], 0 offset:52 ; 4-byte Folded Spill
	buffer_store_dword v115, off, s[24:27], 0 offset:56 ; 4-byte Folded Spill
	buffer_store_dword v116, off, s[24:27], 0 offset:60 ; 4-byte Folded Spill
	ds_read2_b64 v[101:104], v98 offset0:20 offset1:21
	buffer_load_dword v113, off, s[24:27], 0 offset:32 ; 4-byte Folded Reload
	buffer_load_dword v114, off, s[24:27], 0 offset:36 ; 4-byte Folded Reload
	buffer_load_dword v115, off, s[24:27], 0 offset:40 ; 4-byte Folded Reload
	buffer_load_dword v116, off, s[24:27], 0 offset:44 ; 4-byte Folded Reload
	s_waitcnt lgkmcnt(0)
	v_mul_f64 v[105:106], v[103:104], v[107:108]
	v_fma_f64 v[105:106], v[101:102], v[125:126], -v[105:106]
	v_mul_f64 v[101:102], v[101:102], v[107:108]
	v_fma_f64 v[101:102], v[103:104], v[125:126], v[101:102]
	s_waitcnt vmcnt(2)
	v_add_f64 v[113:114], v[113:114], -v[105:106]
	s_waitcnt vmcnt(0)
	v_add_f64 v[115:116], v[115:116], -v[101:102]
	buffer_store_dword v113, off, s[24:27], 0 offset:32 ; 4-byte Folded Spill
	s_nop 0
	buffer_store_dword v114, off, s[24:27], 0 offset:36 ; 4-byte Folded Spill
	buffer_store_dword v115, off, s[24:27], 0 offset:40 ; 4-byte Folded Spill
	buffer_store_dword v116, off, s[24:27], 0 offset:44 ; 4-byte Folded Spill
	ds_read2_b64 v[101:104], v98 offset0:22 offset1:23
	buffer_load_dword v113, off, s[24:27], 0 offset:16 ; 4-byte Folded Reload
	buffer_load_dword v114, off, s[24:27], 0 offset:20 ; 4-byte Folded Reload
	buffer_load_dword v115, off, s[24:27], 0 offset:24 ; 4-byte Folded Reload
	buffer_load_dword v116, off, s[24:27], 0 offset:28 ; 4-byte Folded Reload
	s_waitcnt lgkmcnt(0)
	v_mul_f64 v[105:106], v[103:104], v[107:108]
	v_fma_f64 v[105:106], v[101:102], v[125:126], -v[105:106]
	v_mul_f64 v[101:102], v[101:102], v[107:108]
	v_fma_f64 v[101:102], v[103:104], v[125:126], v[101:102]
	s_waitcnt vmcnt(2)
	v_add_f64 v[113:114], v[113:114], -v[105:106]
	s_waitcnt vmcnt(0)
	v_add_f64 v[115:116], v[115:116], -v[101:102]
	buffer_store_dword v113, off, s[24:27], 0 offset:16 ; 4-byte Folded Spill
	s_nop 0
	buffer_store_dword v114, off, s[24:27], 0 offset:20 ; 4-byte Folded Spill
	buffer_store_dword v115, off, s[24:27], 0 offset:24 ; 4-byte Folded Spill
	buffer_store_dword v116, off, s[24:27], 0 offset:28 ; 4-byte Folded Spill
	ds_read2_b64 v[101:104], v98 offset0:24 offset1:25
	buffer_load_dword v113, off, s[24:27], 0 ; 4-byte Folded Reload
	buffer_load_dword v114, off, s[24:27], 0 offset:4 ; 4-byte Folded Reload
	buffer_load_dword v115, off, s[24:27], 0 offset:8 ; 4-byte Folded Reload
	;; [unrolled: 1-line block ×3, first 2 shown]
	s_waitcnt lgkmcnt(0)
	v_mul_f64 v[105:106], v[103:104], v[107:108]
	v_fma_f64 v[105:106], v[101:102], v[125:126], -v[105:106]
	v_mul_f64 v[101:102], v[101:102], v[107:108]
	v_fma_f64 v[101:102], v[103:104], v[125:126], v[101:102]
	s_waitcnt vmcnt(2)
	v_add_f64 v[113:114], v[113:114], -v[105:106]
	s_waitcnt vmcnt(0)
	v_add_f64 v[115:116], v[115:116], -v[101:102]
	buffer_store_dword v113, off, s[24:27], 0 ; 4-byte Folded Spill
	s_nop 0
	buffer_store_dword v114, off, s[24:27], 0 offset:4 ; 4-byte Folded Spill
	buffer_store_dword v115, off, s[24:27], 0 offset:8 ; 4-byte Folded Spill
	;; [unrolled: 1-line block ×3, first 2 shown]
	ds_read2_b64 v[101:104], v98 offset0:26 offset1:27
	s_waitcnt lgkmcnt(0)
	v_mul_f64 v[105:106], v[103:104], v[107:108]
	v_fma_f64 v[105:106], v[101:102], v[125:126], -v[105:106]
	v_mul_f64 v[101:102], v[101:102], v[107:108]
	v_add_f64 v[93:94], v[93:94], -v[105:106]
	v_fma_f64 v[101:102], v[103:104], v[125:126], v[101:102]
	v_add_f64 v[95:96], v[95:96], -v[101:102]
	ds_read2_b64 v[101:104], v98 offset0:28 offset1:29
	s_waitcnt lgkmcnt(0)
	v_mul_f64 v[105:106], v[103:104], v[107:108]
	v_fma_f64 v[105:106], v[101:102], v[125:126], -v[105:106]
	v_mul_f64 v[101:102], v[101:102], v[107:108]
	v_add_f64 v[89:90], v[89:90], -v[105:106]
	v_fma_f64 v[101:102], v[103:104], v[125:126], v[101:102]
	v_add_f64 v[91:92], v[91:92], -v[101:102]
	;; [unrolled: 8-line block ×24, first 2 shown]
	ds_read2_b64 v[101:104], v98 offset0:74 offset1:75
	s_waitcnt lgkmcnt(0)
	v_mul_f64 v[105:106], v[103:104], v[107:108]
	v_fma_f64 v[105:106], v[101:102], v[125:126], -v[105:106]
	v_mul_f64 v[101:102], v[101:102], v[107:108]
	v_add_f64 v[109:110], v[109:110], -v[105:106]
	v_fma_f64 v[101:102], v[103:104], v[125:126], v[101:102]
	v_mov_b32_e32 v105, v125
	v_mov_b32_e32 v106, v126
	buffer_store_dword v105, off, s[24:27], 0 offset:80 ; 4-byte Folded Spill
	s_nop 0
	buffer_store_dword v106, off, s[24:27], 0 offset:84 ; 4-byte Folded Spill
	buffer_store_dword v107, off, s[24:27], 0 offset:88 ; 4-byte Folded Spill
	;; [unrolled: 1-line block ×3, first 2 shown]
	v_add_f64 v[111:112], v[111:112], -v[101:102]
.LBB74_167:
	s_or_b64 exec, exec, s[0:1]
	s_waitcnt vmcnt(0)
	s_barrier
	buffer_load_dword v102, off, s[24:27], 0 offset:64 ; 4-byte Folded Reload
	buffer_load_dword v103, off, s[24:27], 0 offset:68 ; 4-byte Folded Reload
	;; [unrolled: 1-line block ×4, first 2 shown]
	v_lshl_add_u32 v101, v100, 4, v98
	s_cmp_lt_i32 s3, 10
	s_waitcnt vmcnt(0)
	ds_write2_b64 v101, v[102:103], v[104:105] offset1:1
	s_waitcnt lgkmcnt(0)
	s_barrier
	ds_read2_b64 v[121:124], v98 offset0:16 offset1:17
	v_mov_b32_e32 v101, 8
	s_cbranch_scc1 .LBB74_170
; %bb.168:
	v_add_u32_e32 v102, 0x90, v98
	s_mov_b32 s0, 9
	v_mov_b32_e32 v101, 8
.LBB74_169:                             ; =>This Inner Loop Header: Depth=1
	s_waitcnt lgkmcnt(0)
	v_cmp_gt_f64_e32 vcc, 0, v[121:122]
	v_xor_b32_e32 v107, 0x80000000, v122
	ds_read2_b64 v[103:106], v102 offset1:1
	v_xor_b32_e32 v113, 0x80000000, v124
	v_add_u32_e32 v102, 16, v102
	s_waitcnt lgkmcnt(0)
	v_xor_b32_e32 v115, 0x80000000, v106
	v_cndmask_b32_e32 v108, v122, v107, vcc
	v_cmp_gt_f64_e32 vcc, 0, v[123:124]
	v_mov_b32_e32 v107, v121
	v_cndmask_b32_e32 v114, v124, v113, vcc
	v_cmp_gt_f64_e32 vcc, 0, v[103:104]
	v_mov_b32_e32 v113, v123
	v_add_f64 v[107:108], v[107:108], v[113:114]
	v_xor_b32_e32 v113, 0x80000000, v104
	v_cndmask_b32_e32 v114, v104, v113, vcc
	v_cmp_gt_f64_e32 vcc, 0, v[105:106]
	v_mov_b32_e32 v113, v103
	v_cndmask_b32_e32 v116, v106, v115, vcc
	v_mov_b32_e32 v115, v105
	v_add_f64 v[113:114], v[113:114], v[115:116]
	v_cmp_lt_f64_e32 vcc, v[107:108], v[113:114]
	v_cndmask_b32_e32 v121, v121, v103, vcc
	v_mov_b32_e32 v103, s0
	s_add_i32 s0, s0, 1
	v_cndmask_b32_e32 v122, v122, v104, vcc
	v_cndmask_b32_e32 v124, v124, v106, vcc
	v_cndmask_b32_e32 v123, v123, v105, vcc
	v_cndmask_b32_e32 v101, v101, v103, vcc
	s_cmp_lg_u32 s3, s0
	s_cbranch_scc1 .LBB74_169
.LBB74_170:
	s_waitcnt lgkmcnt(0)
	v_cmp_eq_f64_e32 vcc, 0, v[121:122]
	v_cmp_eq_f64_e64 s[0:1], 0, v[123:124]
	s_and_b64 s[0:1], vcc, s[0:1]
	s_and_saveexec_b64 s[18:19], s[0:1]
	s_xor_b64 s[0:1], exec, s[18:19]
; %bb.171:
	v_cmp_ne_u32_e32 vcc, 0, v99
	v_cndmask_b32_e32 v99, 9, v99, vcc
; %bb.172:
	s_andn2_saveexec_b64 s[0:1], s[0:1]
	s_cbranch_execz .LBB74_178
; %bb.173:
	v_cmp_ngt_f64_e64 s[18:19], |v[121:122]|, |v[123:124]|
	s_and_saveexec_b64 s[20:21], s[18:19]
	s_xor_b64 s[18:19], exec, s[20:21]
	s_cbranch_execz .LBB74_175
; %bb.174:
	v_div_scale_f64 v[102:103], s[20:21], v[123:124], v[123:124], v[121:122]
	v_rcp_f64_e32 v[104:105], v[102:103]
	v_fma_f64 v[106:107], -v[102:103], v[104:105], 1.0
	v_fma_f64 v[104:105], v[104:105], v[106:107], v[104:105]
	v_div_scale_f64 v[106:107], vcc, v[121:122], v[123:124], v[121:122]
	v_fma_f64 v[113:114], -v[102:103], v[104:105], 1.0
	v_fma_f64 v[104:105], v[104:105], v[113:114], v[104:105]
	v_mul_f64 v[113:114], v[106:107], v[104:105]
	v_fma_f64 v[102:103], -v[102:103], v[113:114], v[106:107]
	v_div_fmas_f64 v[102:103], v[102:103], v[104:105], v[113:114]
	v_div_fixup_f64 v[102:103], v[102:103], v[123:124], v[121:122]
	v_fma_f64 v[104:105], v[121:122], v[102:103], v[123:124]
	v_div_scale_f64 v[106:107], s[20:21], v[104:105], v[104:105], 1.0
	v_div_scale_f64 v[117:118], vcc, 1.0, v[104:105], 1.0
	v_rcp_f64_e32 v[113:114], v[106:107]
	v_fma_f64 v[115:116], -v[106:107], v[113:114], 1.0
	v_fma_f64 v[113:114], v[113:114], v[115:116], v[113:114]
	v_fma_f64 v[115:116], -v[106:107], v[113:114], 1.0
	v_fma_f64 v[113:114], v[113:114], v[115:116], v[113:114]
	v_mul_f64 v[115:116], v[117:118], v[113:114]
	v_fma_f64 v[106:107], -v[106:107], v[115:116], v[117:118]
	v_div_fmas_f64 v[106:107], v[106:107], v[113:114], v[115:116]
	v_div_fixup_f64 v[123:124], v[106:107], v[104:105], 1.0
	v_mul_f64 v[121:122], v[102:103], v[123:124]
	v_xor_b32_e32 v124, 0x80000000, v124
.LBB74_175:
	s_andn2_saveexec_b64 s[18:19], s[18:19]
	s_cbranch_execz .LBB74_177
; %bb.176:
	v_div_scale_f64 v[102:103], s[20:21], v[121:122], v[121:122], v[123:124]
	v_rcp_f64_e32 v[104:105], v[102:103]
	v_fma_f64 v[106:107], -v[102:103], v[104:105], 1.0
	v_fma_f64 v[104:105], v[104:105], v[106:107], v[104:105]
	v_div_scale_f64 v[106:107], vcc, v[123:124], v[121:122], v[123:124]
	v_fma_f64 v[113:114], -v[102:103], v[104:105], 1.0
	v_fma_f64 v[104:105], v[104:105], v[113:114], v[104:105]
	v_mul_f64 v[113:114], v[106:107], v[104:105]
	v_fma_f64 v[102:103], -v[102:103], v[113:114], v[106:107]
	v_div_fmas_f64 v[102:103], v[102:103], v[104:105], v[113:114]
	v_div_fixup_f64 v[102:103], v[102:103], v[121:122], v[123:124]
	v_fma_f64 v[104:105], v[123:124], v[102:103], v[121:122]
	v_div_scale_f64 v[106:107], s[20:21], v[104:105], v[104:105], 1.0
	v_div_scale_f64 v[117:118], vcc, 1.0, v[104:105], 1.0
	v_rcp_f64_e32 v[113:114], v[106:107]
	v_fma_f64 v[115:116], -v[106:107], v[113:114], 1.0
	v_fma_f64 v[113:114], v[113:114], v[115:116], v[113:114]
	v_fma_f64 v[115:116], -v[106:107], v[113:114], 1.0
	v_fma_f64 v[113:114], v[113:114], v[115:116], v[113:114]
	v_mul_f64 v[115:116], v[117:118], v[113:114]
	v_fma_f64 v[106:107], -v[106:107], v[115:116], v[117:118]
	v_div_fmas_f64 v[106:107], v[106:107], v[113:114], v[115:116]
	v_div_fixup_f64 v[121:122], v[106:107], v[104:105], 1.0
	v_mul_f64 v[123:124], v[102:103], -v[121:122]
.LBB74_177:
	s_or_b64 exec, exec, s[18:19]
.LBB74_178:
	s_or_b64 exec, exec, s[0:1]
	v_cmp_ne_u32_e32 vcc, v100, v101
	s_and_saveexec_b64 s[0:1], vcc
	s_xor_b64 s[0:1], exec, s[0:1]
	s_cbranch_execz .LBB74_184
; %bb.179:
	v_cmp_eq_u32_e32 vcc, 8, v100
	s_and_saveexec_b64 s[18:19], vcc
	s_cbranch_execz .LBB74_183
; %bb.180:
	v_cmp_ne_u32_e32 vcc, 8, v101
	s_xor_b64 s[20:21], s[6:7], -1
	s_and_b64 s[22:23], s[20:21], vcc
	s_and_saveexec_b64 s[20:21], s[22:23]
	s_cbranch_execz .LBB74_182
; %bb.181:
	v_ashrrev_i32_e32 v102, 31, v101
	v_lshlrev_b64 v[102:103], 2, v[101:102]
	v_add_co_u32_e32 v102, vcc, v119, v102
	v_addc_co_u32_e32 v103, vcc, v120, v103, vcc
	global_load_dword v0, v[102:103], off
	global_load_dword v100, v[119:120], off offset:32
	s_waitcnt vmcnt(1)
	global_store_dword v[119:120], v0, off offset:32
	s_waitcnt vmcnt(1)
	global_store_dword v[102:103], v100, off
.LBB74_182:
	s_or_b64 exec, exec, s[20:21]
	v_mov_b32_e32 v100, v101
	v_mov_b32_e32 v0, v101
.LBB74_183:
	s_or_b64 exec, exec, s[18:19]
.LBB74_184:
	s_andn2_saveexec_b64 s[0:1], s[0:1]
	s_cbranch_execz .LBB74_186
; %bb.185:
	buffer_load_dword v100, off, s[24:27], 0 offset:48 ; 4-byte Folded Reload
	buffer_load_dword v101, off, s[24:27], 0 offset:52 ; 4-byte Folded Reload
	buffer_load_dword v102, off, s[24:27], 0 offset:56 ; 4-byte Folded Reload
	buffer_load_dword v103, off, s[24:27], 0 offset:60 ; 4-byte Folded Reload
	s_waitcnt vmcnt(0)
	ds_write2_b64 v98, v[100:101], v[102:103] offset0:18 offset1:19
	buffer_load_dword v100, off, s[24:27], 0 offset:32 ; 4-byte Folded Reload
	buffer_load_dword v101, off, s[24:27], 0 offset:36 ; 4-byte Folded Reload
	buffer_load_dword v102, off, s[24:27], 0 offset:40 ; 4-byte Folded Reload
	buffer_load_dword v103, off, s[24:27], 0 offset:44 ; 4-byte Folded Reload
	s_waitcnt vmcnt(0)
	ds_write2_b64 v98, v[100:101], v[102:103] offset0:20 offset1:21
	;; [unrolled: 6-line block ×3, first 2 shown]
	buffer_load_dword v100, off, s[24:27], 0 ; 4-byte Folded Reload
	buffer_load_dword v101, off, s[24:27], 0 offset:4 ; 4-byte Folded Reload
	buffer_load_dword v102, off, s[24:27], 0 offset:8 ; 4-byte Folded Reload
	;; [unrolled: 1-line block ×3, first 2 shown]
	s_waitcnt vmcnt(0)
	ds_write2_b64 v98, v[100:101], v[102:103] offset0:24 offset1:25
	ds_write2_b64 v98, v[93:94], v[95:96] offset0:26 offset1:27
	;; [unrolled: 1-line block ×26, first 2 shown]
	v_mov_b32_e32 v100, 8
.LBB74_186:
	s_or_b64 exec, exec, s[0:1]
	v_cmp_lt_i32_e32 vcc, 8, v100
	s_waitcnt vmcnt(0) lgkmcnt(0)
	s_barrier
	s_and_saveexec_b64 s[0:1], vcc
	s_cbranch_execz .LBB74_188
; %bb.187:
	buffer_load_dword v105, off, s[24:27], 0 offset:64 ; 4-byte Folded Reload
	buffer_load_dword v106, off, s[24:27], 0 offset:68 ; 4-byte Folded Reload
	;; [unrolled: 1-line block ×4, first 2 shown]
	s_waitcnt vmcnt(0)
	v_mul_f64 v[101:102], v[123:124], v[107:108]
	v_fma_f64 v[125:126], v[121:122], v[105:106], -v[101:102]
	v_mul_f64 v[101:102], v[121:122], v[107:108]
	v_fma_f64 v[107:108], v[123:124], v[105:106], v[101:102]
	ds_read2_b64 v[101:104], v98 offset0:18 offset1:19
	buffer_load_dword v113, off, s[24:27], 0 offset:48 ; 4-byte Folded Reload
	buffer_load_dword v114, off, s[24:27], 0 offset:52 ; 4-byte Folded Reload
	buffer_load_dword v115, off, s[24:27], 0 offset:56 ; 4-byte Folded Reload
	buffer_load_dword v116, off, s[24:27], 0 offset:60 ; 4-byte Folded Reload
	s_waitcnt lgkmcnt(0)
	v_mul_f64 v[105:106], v[103:104], v[107:108]
	v_fma_f64 v[105:106], v[101:102], v[125:126], -v[105:106]
	v_mul_f64 v[101:102], v[101:102], v[107:108]
	v_fma_f64 v[101:102], v[103:104], v[125:126], v[101:102]
	s_waitcnt vmcnt(2)
	v_add_f64 v[113:114], v[113:114], -v[105:106]
	s_waitcnt vmcnt(0)
	v_add_f64 v[115:116], v[115:116], -v[101:102]
	buffer_store_dword v113, off, s[24:27], 0 offset:48 ; 4-byte Folded Spill
	s_nop 0
	buffer_store_dword v114, off, s[24:27], 0 offset:52 ; 4-byte Folded Spill
	buffer_store_dword v115, off, s[24:27], 0 offset:56 ; 4-byte Folded Spill
	buffer_store_dword v116, off, s[24:27], 0 offset:60 ; 4-byte Folded Spill
	ds_read2_b64 v[101:104], v98 offset0:20 offset1:21
	buffer_load_dword v113, off, s[24:27], 0 offset:32 ; 4-byte Folded Reload
	buffer_load_dword v114, off, s[24:27], 0 offset:36 ; 4-byte Folded Reload
	buffer_load_dword v115, off, s[24:27], 0 offset:40 ; 4-byte Folded Reload
	buffer_load_dword v116, off, s[24:27], 0 offset:44 ; 4-byte Folded Reload
	s_waitcnt lgkmcnt(0)
	v_mul_f64 v[105:106], v[103:104], v[107:108]
	v_fma_f64 v[105:106], v[101:102], v[125:126], -v[105:106]
	v_mul_f64 v[101:102], v[101:102], v[107:108]
	v_fma_f64 v[101:102], v[103:104], v[125:126], v[101:102]
	s_waitcnt vmcnt(2)
	v_add_f64 v[113:114], v[113:114], -v[105:106]
	s_waitcnt vmcnt(0)
	v_add_f64 v[115:116], v[115:116], -v[101:102]
	buffer_store_dword v113, off, s[24:27], 0 offset:32 ; 4-byte Folded Spill
	s_nop 0
	buffer_store_dword v114, off, s[24:27], 0 offset:36 ; 4-byte Folded Spill
	buffer_store_dword v115, off, s[24:27], 0 offset:40 ; 4-byte Folded Spill
	buffer_store_dword v116, off, s[24:27], 0 offset:44 ; 4-byte Folded Spill
	;; [unrolled: 19-line block ×3, first 2 shown]
	ds_read2_b64 v[101:104], v98 offset0:24 offset1:25
	buffer_load_dword v113, off, s[24:27], 0 ; 4-byte Folded Reload
	buffer_load_dword v114, off, s[24:27], 0 offset:4 ; 4-byte Folded Reload
	buffer_load_dword v115, off, s[24:27], 0 offset:8 ; 4-byte Folded Reload
	;; [unrolled: 1-line block ×3, first 2 shown]
	s_waitcnt lgkmcnt(0)
	v_mul_f64 v[105:106], v[103:104], v[107:108]
	v_fma_f64 v[105:106], v[101:102], v[125:126], -v[105:106]
	v_mul_f64 v[101:102], v[101:102], v[107:108]
	v_fma_f64 v[101:102], v[103:104], v[125:126], v[101:102]
	s_waitcnt vmcnt(2)
	v_add_f64 v[113:114], v[113:114], -v[105:106]
	s_waitcnt vmcnt(0)
	v_add_f64 v[115:116], v[115:116], -v[101:102]
	buffer_store_dword v113, off, s[24:27], 0 ; 4-byte Folded Spill
	s_nop 0
	buffer_store_dword v114, off, s[24:27], 0 offset:4 ; 4-byte Folded Spill
	buffer_store_dword v115, off, s[24:27], 0 offset:8 ; 4-byte Folded Spill
	;; [unrolled: 1-line block ×3, first 2 shown]
	ds_read2_b64 v[101:104], v98 offset0:26 offset1:27
	s_waitcnt lgkmcnt(0)
	v_mul_f64 v[105:106], v[103:104], v[107:108]
	v_fma_f64 v[105:106], v[101:102], v[125:126], -v[105:106]
	v_mul_f64 v[101:102], v[101:102], v[107:108]
	v_add_f64 v[93:94], v[93:94], -v[105:106]
	v_fma_f64 v[101:102], v[103:104], v[125:126], v[101:102]
	v_add_f64 v[95:96], v[95:96], -v[101:102]
	ds_read2_b64 v[101:104], v98 offset0:28 offset1:29
	s_waitcnt lgkmcnt(0)
	v_mul_f64 v[105:106], v[103:104], v[107:108]
	v_fma_f64 v[105:106], v[101:102], v[125:126], -v[105:106]
	v_mul_f64 v[101:102], v[101:102], v[107:108]
	v_add_f64 v[89:90], v[89:90], -v[105:106]
	v_fma_f64 v[101:102], v[103:104], v[125:126], v[101:102]
	v_add_f64 v[91:92], v[91:92], -v[101:102]
	;; [unrolled: 8-line block ×24, first 2 shown]
	ds_read2_b64 v[101:104], v98 offset0:74 offset1:75
	s_waitcnt lgkmcnt(0)
	v_mul_f64 v[105:106], v[103:104], v[107:108]
	v_fma_f64 v[105:106], v[101:102], v[125:126], -v[105:106]
	v_mul_f64 v[101:102], v[101:102], v[107:108]
	v_add_f64 v[109:110], v[109:110], -v[105:106]
	v_fma_f64 v[101:102], v[103:104], v[125:126], v[101:102]
	v_mov_b32_e32 v105, v125
	v_mov_b32_e32 v106, v126
	buffer_store_dword v105, off, s[24:27], 0 offset:64 ; 4-byte Folded Spill
	s_nop 0
	buffer_store_dword v106, off, s[24:27], 0 offset:68 ; 4-byte Folded Spill
	buffer_store_dword v107, off, s[24:27], 0 offset:72 ; 4-byte Folded Spill
	;; [unrolled: 1-line block ×3, first 2 shown]
	v_add_f64 v[111:112], v[111:112], -v[101:102]
.LBB74_188:
	s_or_b64 exec, exec, s[0:1]
	s_waitcnt vmcnt(0)
	s_barrier
	buffer_load_dword v102, off, s[24:27], 0 offset:48 ; 4-byte Folded Reload
	buffer_load_dword v103, off, s[24:27], 0 offset:52 ; 4-byte Folded Reload
	;; [unrolled: 1-line block ×4, first 2 shown]
	v_lshl_add_u32 v101, v100, 4, v98
	s_cmp_lt_i32 s3, 11
	s_waitcnt vmcnt(0)
	ds_write2_b64 v101, v[102:103], v[104:105] offset1:1
	s_waitcnt lgkmcnt(0)
	s_barrier
	ds_read2_b64 v[121:124], v98 offset0:18 offset1:19
	v_mov_b32_e32 v101, 9
	s_cbranch_scc1 .LBB74_191
; %bb.189:
	v_add_u32_e32 v102, 0xa0, v98
	s_mov_b32 s0, 10
	v_mov_b32_e32 v101, 9
.LBB74_190:                             ; =>This Inner Loop Header: Depth=1
	s_waitcnt lgkmcnt(0)
	v_cmp_gt_f64_e32 vcc, 0, v[121:122]
	v_xor_b32_e32 v107, 0x80000000, v122
	ds_read2_b64 v[103:106], v102 offset1:1
	v_xor_b32_e32 v113, 0x80000000, v124
	v_add_u32_e32 v102, 16, v102
	s_waitcnt lgkmcnt(0)
	v_xor_b32_e32 v115, 0x80000000, v106
	v_cndmask_b32_e32 v108, v122, v107, vcc
	v_cmp_gt_f64_e32 vcc, 0, v[123:124]
	v_mov_b32_e32 v107, v121
	v_cndmask_b32_e32 v114, v124, v113, vcc
	v_cmp_gt_f64_e32 vcc, 0, v[103:104]
	v_mov_b32_e32 v113, v123
	v_add_f64 v[107:108], v[107:108], v[113:114]
	v_xor_b32_e32 v113, 0x80000000, v104
	v_cndmask_b32_e32 v114, v104, v113, vcc
	v_cmp_gt_f64_e32 vcc, 0, v[105:106]
	v_mov_b32_e32 v113, v103
	v_cndmask_b32_e32 v116, v106, v115, vcc
	v_mov_b32_e32 v115, v105
	v_add_f64 v[113:114], v[113:114], v[115:116]
	v_cmp_lt_f64_e32 vcc, v[107:108], v[113:114]
	v_cndmask_b32_e32 v121, v121, v103, vcc
	v_mov_b32_e32 v103, s0
	s_add_i32 s0, s0, 1
	v_cndmask_b32_e32 v122, v122, v104, vcc
	v_cndmask_b32_e32 v124, v124, v106, vcc
	;; [unrolled: 1-line block ×4, first 2 shown]
	s_cmp_lg_u32 s3, s0
	s_cbranch_scc1 .LBB74_190
.LBB74_191:
	s_waitcnt lgkmcnt(0)
	v_cmp_eq_f64_e32 vcc, 0, v[121:122]
	v_cmp_eq_f64_e64 s[0:1], 0, v[123:124]
	s_and_b64 s[0:1], vcc, s[0:1]
	s_and_saveexec_b64 s[18:19], s[0:1]
	s_xor_b64 s[0:1], exec, s[18:19]
; %bb.192:
	v_cmp_ne_u32_e32 vcc, 0, v99
	v_cndmask_b32_e32 v99, 10, v99, vcc
; %bb.193:
	s_andn2_saveexec_b64 s[0:1], s[0:1]
	s_cbranch_execz .LBB74_199
; %bb.194:
	v_cmp_ngt_f64_e64 s[18:19], |v[121:122]|, |v[123:124]|
	s_and_saveexec_b64 s[20:21], s[18:19]
	s_xor_b64 s[18:19], exec, s[20:21]
	s_cbranch_execz .LBB74_196
; %bb.195:
	v_div_scale_f64 v[102:103], s[20:21], v[123:124], v[123:124], v[121:122]
	v_rcp_f64_e32 v[104:105], v[102:103]
	v_fma_f64 v[106:107], -v[102:103], v[104:105], 1.0
	v_fma_f64 v[104:105], v[104:105], v[106:107], v[104:105]
	v_div_scale_f64 v[106:107], vcc, v[121:122], v[123:124], v[121:122]
	v_fma_f64 v[113:114], -v[102:103], v[104:105], 1.0
	v_fma_f64 v[104:105], v[104:105], v[113:114], v[104:105]
	v_mul_f64 v[113:114], v[106:107], v[104:105]
	v_fma_f64 v[102:103], -v[102:103], v[113:114], v[106:107]
	v_div_fmas_f64 v[102:103], v[102:103], v[104:105], v[113:114]
	v_div_fixup_f64 v[102:103], v[102:103], v[123:124], v[121:122]
	v_fma_f64 v[104:105], v[121:122], v[102:103], v[123:124]
	v_div_scale_f64 v[106:107], s[20:21], v[104:105], v[104:105], 1.0
	v_div_scale_f64 v[117:118], vcc, 1.0, v[104:105], 1.0
	v_rcp_f64_e32 v[113:114], v[106:107]
	v_fma_f64 v[115:116], -v[106:107], v[113:114], 1.0
	v_fma_f64 v[113:114], v[113:114], v[115:116], v[113:114]
	v_fma_f64 v[115:116], -v[106:107], v[113:114], 1.0
	v_fma_f64 v[113:114], v[113:114], v[115:116], v[113:114]
	v_mul_f64 v[115:116], v[117:118], v[113:114]
	v_fma_f64 v[106:107], -v[106:107], v[115:116], v[117:118]
	v_div_fmas_f64 v[106:107], v[106:107], v[113:114], v[115:116]
	v_div_fixup_f64 v[123:124], v[106:107], v[104:105], 1.0
	v_mul_f64 v[121:122], v[102:103], v[123:124]
	v_xor_b32_e32 v124, 0x80000000, v124
.LBB74_196:
	s_andn2_saveexec_b64 s[18:19], s[18:19]
	s_cbranch_execz .LBB74_198
; %bb.197:
	v_div_scale_f64 v[102:103], s[20:21], v[121:122], v[121:122], v[123:124]
	v_rcp_f64_e32 v[104:105], v[102:103]
	v_fma_f64 v[106:107], -v[102:103], v[104:105], 1.0
	v_fma_f64 v[104:105], v[104:105], v[106:107], v[104:105]
	v_div_scale_f64 v[106:107], vcc, v[123:124], v[121:122], v[123:124]
	v_fma_f64 v[113:114], -v[102:103], v[104:105], 1.0
	v_fma_f64 v[104:105], v[104:105], v[113:114], v[104:105]
	v_mul_f64 v[113:114], v[106:107], v[104:105]
	v_fma_f64 v[102:103], -v[102:103], v[113:114], v[106:107]
	v_div_fmas_f64 v[102:103], v[102:103], v[104:105], v[113:114]
	v_div_fixup_f64 v[102:103], v[102:103], v[121:122], v[123:124]
	v_fma_f64 v[104:105], v[123:124], v[102:103], v[121:122]
	v_div_scale_f64 v[106:107], s[20:21], v[104:105], v[104:105], 1.0
	v_div_scale_f64 v[117:118], vcc, 1.0, v[104:105], 1.0
	v_rcp_f64_e32 v[113:114], v[106:107]
	v_fma_f64 v[115:116], -v[106:107], v[113:114], 1.0
	v_fma_f64 v[113:114], v[113:114], v[115:116], v[113:114]
	v_fma_f64 v[115:116], -v[106:107], v[113:114], 1.0
	v_fma_f64 v[113:114], v[113:114], v[115:116], v[113:114]
	v_mul_f64 v[115:116], v[117:118], v[113:114]
	v_fma_f64 v[106:107], -v[106:107], v[115:116], v[117:118]
	v_div_fmas_f64 v[106:107], v[106:107], v[113:114], v[115:116]
	v_div_fixup_f64 v[121:122], v[106:107], v[104:105], 1.0
	v_mul_f64 v[123:124], v[102:103], -v[121:122]
.LBB74_198:
	s_or_b64 exec, exec, s[18:19]
.LBB74_199:
	s_or_b64 exec, exec, s[0:1]
	v_cmp_ne_u32_e32 vcc, v100, v101
	s_and_saveexec_b64 s[0:1], vcc
	s_xor_b64 s[0:1], exec, s[0:1]
	s_cbranch_execz .LBB74_205
; %bb.200:
	v_cmp_eq_u32_e32 vcc, 9, v100
	s_and_saveexec_b64 s[18:19], vcc
	s_cbranch_execz .LBB74_204
; %bb.201:
	v_cmp_ne_u32_e32 vcc, 9, v101
	s_xor_b64 s[20:21], s[6:7], -1
	s_and_b64 s[22:23], s[20:21], vcc
	s_and_saveexec_b64 s[20:21], s[22:23]
	s_cbranch_execz .LBB74_203
; %bb.202:
	v_ashrrev_i32_e32 v102, 31, v101
	v_lshlrev_b64 v[102:103], 2, v[101:102]
	v_add_co_u32_e32 v102, vcc, v119, v102
	v_addc_co_u32_e32 v103, vcc, v120, v103, vcc
	global_load_dword v0, v[102:103], off
	global_load_dword v100, v[119:120], off offset:36
	s_waitcnt vmcnt(1)
	global_store_dword v[119:120], v0, off offset:36
	s_waitcnt vmcnt(1)
	global_store_dword v[102:103], v100, off
.LBB74_203:
	s_or_b64 exec, exec, s[20:21]
	v_mov_b32_e32 v100, v101
	v_mov_b32_e32 v0, v101
.LBB74_204:
	s_or_b64 exec, exec, s[18:19]
.LBB74_205:
	s_andn2_saveexec_b64 s[0:1], s[0:1]
	s_cbranch_execz .LBB74_207
; %bb.206:
	buffer_load_dword v100, off, s[24:27], 0 offset:32 ; 4-byte Folded Reload
	buffer_load_dword v101, off, s[24:27], 0 offset:36 ; 4-byte Folded Reload
	;; [unrolled: 1-line block ×4, first 2 shown]
	s_waitcnt vmcnt(0)
	ds_write2_b64 v98, v[100:101], v[102:103] offset0:20 offset1:21
	buffer_load_dword v100, off, s[24:27], 0 offset:16 ; 4-byte Folded Reload
	buffer_load_dword v101, off, s[24:27], 0 offset:20 ; 4-byte Folded Reload
	;; [unrolled: 1-line block ×4, first 2 shown]
	s_waitcnt vmcnt(0)
	ds_write2_b64 v98, v[100:101], v[102:103] offset0:22 offset1:23
	buffer_load_dword v100, off, s[24:27], 0 ; 4-byte Folded Reload
	buffer_load_dword v101, off, s[24:27], 0 offset:4 ; 4-byte Folded Reload
	buffer_load_dword v102, off, s[24:27], 0 offset:8 ; 4-byte Folded Reload
	;; [unrolled: 1-line block ×3, first 2 shown]
	s_waitcnt vmcnt(0)
	ds_write2_b64 v98, v[100:101], v[102:103] offset0:24 offset1:25
	ds_write2_b64 v98, v[93:94], v[95:96] offset0:26 offset1:27
	;; [unrolled: 1-line block ×26, first 2 shown]
	v_mov_b32_e32 v100, 9
.LBB74_207:
	s_or_b64 exec, exec, s[0:1]
	v_cmp_lt_i32_e32 vcc, 9, v100
	s_waitcnt vmcnt(0) lgkmcnt(0)
	s_barrier
	s_and_saveexec_b64 s[0:1], vcc
	s_cbranch_execz .LBB74_209
; %bb.208:
	buffer_load_dword v105, off, s[24:27], 0 offset:48 ; 4-byte Folded Reload
	buffer_load_dword v106, off, s[24:27], 0 offset:52 ; 4-byte Folded Reload
	;; [unrolled: 1-line block ×4, first 2 shown]
	s_waitcnt vmcnt(0)
	v_mul_f64 v[101:102], v[123:124], v[107:108]
	v_fma_f64 v[125:126], v[121:122], v[105:106], -v[101:102]
	v_mul_f64 v[101:102], v[121:122], v[107:108]
	v_fma_f64 v[107:108], v[123:124], v[105:106], v[101:102]
	ds_read2_b64 v[101:104], v98 offset0:20 offset1:21
	buffer_load_dword v113, off, s[24:27], 0 offset:32 ; 4-byte Folded Reload
	buffer_load_dword v114, off, s[24:27], 0 offset:36 ; 4-byte Folded Reload
	buffer_load_dword v115, off, s[24:27], 0 offset:40 ; 4-byte Folded Reload
	buffer_load_dword v116, off, s[24:27], 0 offset:44 ; 4-byte Folded Reload
	s_waitcnt lgkmcnt(0)
	v_mul_f64 v[105:106], v[103:104], v[107:108]
	v_fma_f64 v[105:106], v[101:102], v[125:126], -v[105:106]
	v_mul_f64 v[101:102], v[101:102], v[107:108]
	v_fma_f64 v[101:102], v[103:104], v[125:126], v[101:102]
	s_waitcnt vmcnt(2)
	v_add_f64 v[113:114], v[113:114], -v[105:106]
	s_waitcnt vmcnt(0)
	v_add_f64 v[115:116], v[115:116], -v[101:102]
	buffer_store_dword v113, off, s[24:27], 0 offset:32 ; 4-byte Folded Spill
	s_nop 0
	buffer_store_dword v114, off, s[24:27], 0 offset:36 ; 4-byte Folded Spill
	buffer_store_dword v115, off, s[24:27], 0 offset:40 ; 4-byte Folded Spill
	;; [unrolled: 1-line block ×3, first 2 shown]
	ds_read2_b64 v[101:104], v98 offset0:22 offset1:23
	buffer_load_dword v113, off, s[24:27], 0 offset:16 ; 4-byte Folded Reload
	buffer_load_dword v114, off, s[24:27], 0 offset:20 ; 4-byte Folded Reload
	;; [unrolled: 1-line block ×4, first 2 shown]
	s_waitcnt lgkmcnt(0)
	v_mul_f64 v[105:106], v[103:104], v[107:108]
	v_fma_f64 v[105:106], v[101:102], v[125:126], -v[105:106]
	v_mul_f64 v[101:102], v[101:102], v[107:108]
	v_fma_f64 v[101:102], v[103:104], v[125:126], v[101:102]
	s_waitcnt vmcnt(2)
	v_add_f64 v[113:114], v[113:114], -v[105:106]
	s_waitcnt vmcnt(0)
	v_add_f64 v[115:116], v[115:116], -v[101:102]
	buffer_store_dword v113, off, s[24:27], 0 offset:16 ; 4-byte Folded Spill
	s_nop 0
	buffer_store_dword v114, off, s[24:27], 0 offset:20 ; 4-byte Folded Spill
	buffer_store_dword v115, off, s[24:27], 0 offset:24 ; 4-byte Folded Spill
	;; [unrolled: 1-line block ×3, first 2 shown]
	ds_read2_b64 v[101:104], v98 offset0:24 offset1:25
	buffer_load_dword v113, off, s[24:27], 0 ; 4-byte Folded Reload
	buffer_load_dword v114, off, s[24:27], 0 offset:4 ; 4-byte Folded Reload
	buffer_load_dword v115, off, s[24:27], 0 offset:8 ; 4-byte Folded Reload
	;; [unrolled: 1-line block ×3, first 2 shown]
	s_waitcnt lgkmcnt(0)
	v_mul_f64 v[105:106], v[103:104], v[107:108]
	v_fma_f64 v[105:106], v[101:102], v[125:126], -v[105:106]
	v_mul_f64 v[101:102], v[101:102], v[107:108]
	v_fma_f64 v[101:102], v[103:104], v[125:126], v[101:102]
	s_waitcnt vmcnt(2)
	v_add_f64 v[113:114], v[113:114], -v[105:106]
	s_waitcnt vmcnt(0)
	v_add_f64 v[115:116], v[115:116], -v[101:102]
	buffer_store_dword v113, off, s[24:27], 0 ; 4-byte Folded Spill
	s_nop 0
	buffer_store_dword v114, off, s[24:27], 0 offset:4 ; 4-byte Folded Spill
	buffer_store_dword v115, off, s[24:27], 0 offset:8 ; 4-byte Folded Spill
	;; [unrolled: 1-line block ×3, first 2 shown]
	ds_read2_b64 v[101:104], v98 offset0:26 offset1:27
	s_waitcnt lgkmcnt(0)
	v_mul_f64 v[105:106], v[103:104], v[107:108]
	v_fma_f64 v[105:106], v[101:102], v[125:126], -v[105:106]
	v_mul_f64 v[101:102], v[101:102], v[107:108]
	v_add_f64 v[93:94], v[93:94], -v[105:106]
	v_fma_f64 v[101:102], v[103:104], v[125:126], v[101:102]
	v_add_f64 v[95:96], v[95:96], -v[101:102]
	ds_read2_b64 v[101:104], v98 offset0:28 offset1:29
	s_waitcnt lgkmcnt(0)
	v_mul_f64 v[105:106], v[103:104], v[107:108]
	v_fma_f64 v[105:106], v[101:102], v[125:126], -v[105:106]
	v_mul_f64 v[101:102], v[101:102], v[107:108]
	v_add_f64 v[89:90], v[89:90], -v[105:106]
	v_fma_f64 v[101:102], v[103:104], v[125:126], v[101:102]
	v_add_f64 v[91:92], v[91:92], -v[101:102]
	;; [unrolled: 8-line block ×24, first 2 shown]
	ds_read2_b64 v[101:104], v98 offset0:74 offset1:75
	s_waitcnt lgkmcnt(0)
	v_mul_f64 v[105:106], v[103:104], v[107:108]
	v_fma_f64 v[105:106], v[101:102], v[125:126], -v[105:106]
	v_mul_f64 v[101:102], v[101:102], v[107:108]
	v_add_f64 v[109:110], v[109:110], -v[105:106]
	v_fma_f64 v[101:102], v[103:104], v[125:126], v[101:102]
	v_mov_b32_e32 v105, v125
	v_mov_b32_e32 v106, v126
	buffer_store_dword v105, off, s[24:27], 0 offset:48 ; 4-byte Folded Spill
	s_nop 0
	buffer_store_dword v106, off, s[24:27], 0 offset:52 ; 4-byte Folded Spill
	buffer_store_dword v107, off, s[24:27], 0 offset:56 ; 4-byte Folded Spill
	;; [unrolled: 1-line block ×3, first 2 shown]
	v_add_f64 v[111:112], v[111:112], -v[101:102]
.LBB74_209:
	s_or_b64 exec, exec, s[0:1]
	s_waitcnt vmcnt(0)
	s_barrier
	buffer_load_dword v102, off, s[24:27], 0 offset:32 ; 4-byte Folded Reload
	buffer_load_dword v103, off, s[24:27], 0 offset:36 ; 4-byte Folded Reload
	;; [unrolled: 1-line block ×4, first 2 shown]
	v_lshl_add_u32 v101, v100, 4, v98
	s_cmp_lt_i32 s3, 12
	s_waitcnt vmcnt(0)
	ds_write2_b64 v101, v[102:103], v[104:105] offset1:1
	s_waitcnt lgkmcnt(0)
	s_barrier
	ds_read2_b64 v[121:124], v98 offset0:20 offset1:21
	v_mov_b32_e32 v101, 10
	s_cbranch_scc1 .LBB74_212
; %bb.210:
	v_add_u32_e32 v102, 0xb0, v98
	s_mov_b32 s0, 11
	v_mov_b32_e32 v101, 10
.LBB74_211:                             ; =>This Inner Loop Header: Depth=1
	s_waitcnt lgkmcnt(0)
	v_cmp_gt_f64_e32 vcc, 0, v[121:122]
	v_xor_b32_e32 v107, 0x80000000, v122
	ds_read2_b64 v[103:106], v102 offset1:1
	v_xor_b32_e32 v113, 0x80000000, v124
	v_add_u32_e32 v102, 16, v102
	s_waitcnt lgkmcnt(0)
	v_xor_b32_e32 v115, 0x80000000, v106
	v_cndmask_b32_e32 v108, v122, v107, vcc
	v_cmp_gt_f64_e32 vcc, 0, v[123:124]
	v_mov_b32_e32 v107, v121
	v_cndmask_b32_e32 v114, v124, v113, vcc
	v_cmp_gt_f64_e32 vcc, 0, v[103:104]
	v_mov_b32_e32 v113, v123
	v_add_f64 v[107:108], v[107:108], v[113:114]
	v_xor_b32_e32 v113, 0x80000000, v104
	v_cndmask_b32_e32 v114, v104, v113, vcc
	v_cmp_gt_f64_e32 vcc, 0, v[105:106]
	v_mov_b32_e32 v113, v103
	v_cndmask_b32_e32 v116, v106, v115, vcc
	v_mov_b32_e32 v115, v105
	v_add_f64 v[113:114], v[113:114], v[115:116]
	v_cmp_lt_f64_e32 vcc, v[107:108], v[113:114]
	v_cndmask_b32_e32 v121, v121, v103, vcc
	v_mov_b32_e32 v103, s0
	s_add_i32 s0, s0, 1
	v_cndmask_b32_e32 v122, v122, v104, vcc
	v_cndmask_b32_e32 v124, v124, v106, vcc
	;; [unrolled: 1-line block ×4, first 2 shown]
	s_cmp_lg_u32 s3, s0
	s_cbranch_scc1 .LBB74_211
.LBB74_212:
	s_waitcnt lgkmcnt(0)
	v_cmp_eq_f64_e32 vcc, 0, v[121:122]
	v_cmp_eq_f64_e64 s[0:1], 0, v[123:124]
	s_and_b64 s[0:1], vcc, s[0:1]
	s_and_saveexec_b64 s[18:19], s[0:1]
	s_xor_b64 s[0:1], exec, s[18:19]
; %bb.213:
	v_cmp_ne_u32_e32 vcc, 0, v99
	v_cndmask_b32_e32 v99, 11, v99, vcc
; %bb.214:
	s_andn2_saveexec_b64 s[0:1], s[0:1]
	s_cbranch_execz .LBB74_220
; %bb.215:
	v_cmp_ngt_f64_e64 s[18:19], |v[121:122]|, |v[123:124]|
	s_and_saveexec_b64 s[20:21], s[18:19]
	s_xor_b64 s[18:19], exec, s[20:21]
	s_cbranch_execz .LBB74_217
; %bb.216:
	v_div_scale_f64 v[102:103], s[20:21], v[123:124], v[123:124], v[121:122]
	v_rcp_f64_e32 v[104:105], v[102:103]
	v_fma_f64 v[106:107], -v[102:103], v[104:105], 1.0
	v_fma_f64 v[104:105], v[104:105], v[106:107], v[104:105]
	v_div_scale_f64 v[106:107], vcc, v[121:122], v[123:124], v[121:122]
	v_fma_f64 v[113:114], -v[102:103], v[104:105], 1.0
	v_fma_f64 v[104:105], v[104:105], v[113:114], v[104:105]
	v_mul_f64 v[113:114], v[106:107], v[104:105]
	v_fma_f64 v[102:103], -v[102:103], v[113:114], v[106:107]
	v_div_fmas_f64 v[102:103], v[102:103], v[104:105], v[113:114]
	v_div_fixup_f64 v[102:103], v[102:103], v[123:124], v[121:122]
	v_fma_f64 v[104:105], v[121:122], v[102:103], v[123:124]
	v_div_scale_f64 v[106:107], s[20:21], v[104:105], v[104:105], 1.0
	v_div_scale_f64 v[117:118], vcc, 1.0, v[104:105], 1.0
	v_rcp_f64_e32 v[113:114], v[106:107]
	v_fma_f64 v[115:116], -v[106:107], v[113:114], 1.0
	v_fma_f64 v[113:114], v[113:114], v[115:116], v[113:114]
	v_fma_f64 v[115:116], -v[106:107], v[113:114], 1.0
	v_fma_f64 v[113:114], v[113:114], v[115:116], v[113:114]
	v_mul_f64 v[115:116], v[117:118], v[113:114]
	v_fma_f64 v[106:107], -v[106:107], v[115:116], v[117:118]
	v_div_fmas_f64 v[106:107], v[106:107], v[113:114], v[115:116]
	v_div_fixup_f64 v[123:124], v[106:107], v[104:105], 1.0
	v_mul_f64 v[121:122], v[102:103], v[123:124]
	v_xor_b32_e32 v124, 0x80000000, v124
.LBB74_217:
	s_andn2_saveexec_b64 s[18:19], s[18:19]
	s_cbranch_execz .LBB74_219
; %bb.218:
	v_div_scale_f64 v[102:103], s[20:21], v[121:122], v[121:122], v[123:124]
	v_rcp_f64_e32 v[104:105], v[102:103]
	v_fma_f64 v[106:107], -v[102:103], v[104:105], 1.0
	v_fma_f64 v[104:105], v[104:105], v[106:107], v[104:105]
	v_div_scale_f64 v[106:107], vcc, v[123:124], v[121:122], v[123:124]
	v_fma_f64 v[113:114], -v[102:103], v[104:105], 1.0
	v_fma_f64 v[104:105], v[104:105], v[113:114], v[104:105]
	v_mul_f64 v[113:114], v[106:107], v[104:105]
	v_fma_f64 v[102:103], -v[102:103], v[113:114], v[106:107]
	v_div_fmas_f64 v[102:103], v[102:103], v[104:105], v[113:114]
	v_div_fixup_f64 v[102:103], v[102:103], v[121:122], v[123:124]
	v_fma_f64 v[104:105], v[123:124], v[102:103], v[121:122]
	v_div_scale_f64 v[106:107], s[20:21], v[104:105], v[104:105], 1.0
	v_div_scale_f64 v[117:118], vcc, 1.0, v[104:105], 1.0
	v_rcp_f64_e32 v[113:114], v[106:107]
	v_fma_f64 v[115:116], -v[106:107], v[113:114], 1.0
	v_fma_f64 v[113:114], v[113:114], v[115:116], v[113:114]
	v_fma_f64 v[115:116], -v[106:107], v[113:114], 1.0
	v_fma_f64 v[113:114], v[113:114], v[115:116], v[113:114]
	v_mul_f64 v[115:116], v[117:118], v[113:114]
	v_fma_f64 v[106:107], -v[106:107], v[115:116], v[117:118]
	v_div_fmas_f64 v[106:107], v[106:107], v[113:114], v[115:116]
	v_div_fixup_f64 v[121:122], v[106:107], v[104:105], 1.0
	v_mul_f64 v[123:124], v[102:103], -v[121:122]
.LBB74_219:
	s_or_b64 exec, exec, s[18:19]
.LBB74_220:
	s_or_b64 exec, exec, s[0:1]
	v_cmp_ne_u32_e32 vcc, v100, v101
	s_and_saveexec_b64 s[0:1], vcc
	s_xor_b64 s[0:1], exec, s[0:1]
	s_cbranch_execz .LBB74_226
; %bb.221:
	v_cmp_eq_u32_e32 vcc, 10, v100
	s_and_saveexec_b64 s[18:19], vcc
	s_cbranch_execz .LBB74_225
; %bb.222:
	v_cmp_ne_u32_e32 vcc, 10, v101
	s_xor_b64 s[20:21], s[6:7], -1
	s_and_b64 s[22:23], s[20:21], vcc
	s_and_saveexec_b64 s[20:21], s[22:23]
	s_cbranch_execz .LBB74_224
; %bb.223:
	v_ashrrev_i32_e32 v102, 31, v101
	v_lshlrev_b64 v[102:103], 2, v[101:102]
	v_add_co_u32_e32 v102, vcc, v119, v102
	v_addc_co_u32_e32 v103, vcc, v120, v103, vcc
	global_load_dword v0, v[102:103], off
	global_load_dword v100, v[119:120], off offset:40
	s_waitcnt vmcnt(1)
	global_store_dword v[119:120], v0, off offset:40
	s_waitcnt vmcnt(1)
	global_store_dword v[102:103], v100, off
.LBB74_224:
	s_or_b64 exec, exec, s[20:21]
	v_mov_b32_e32 v100, v101
	v_mov_b32_e32 v0, v101
.LBB74_225:
	s_or_b64 exec, exec, s[18:19]
.LBB74_226:
	s_andn2_saveexec_b64 s[0:1], s[0:1]
	s_cbranch_execz .LBB74_228
; %bb.227:
	buffer_load_dword v100, off, s[24:27], 0 offset:16 ; 4-byte Folded Reload
	buffer_load_dword v101, off, s[24:27], 0 offset:20 ; 4-byte Folded Reload
	;; [unrolled: 1-line block ×4, first 2 shown]
	s_waitcnt vmcnt(0)
	ds_write2_b64 v98, v[100:101], v[102:103] offset0:22 offset1:23
	buffer_load_dword v100, off, s[24:27], 0 ; 4-byte Folded Reload
	buffer_load_dword v101, off, s[24:27], 0 offset:4 ; 4-byte Folded Reload
	buffer_load_dword v102, off, s[24:27], 0 offset:8 ; 4-byte Folded Reload
	;; [unrolled: 1-line block ×3, first 2 shown]
	s_waitcnt vmcnt(0)
	ds_write2_b64 v98, v[100:101], v[102:103] offset0:24 offset1:25
	ds_write2_b64 v98, v[93:94], v[95:96] offset0:26 offset1:27
	;; [unrolled: 1-line block ×26, first 2 shown]
	v_mov_b32_e32 v100, 10
.LBB74_228:
	s_or_b64 exec, exec, s[0:1]
	v_cmp_lt_i32_e32 vcc, 10, v100
	s_waitcnt vmcnt(0) lgkmcnt(0)
	s_barrier
	s_and_saveexec_b64 s[0:1], vcc
	s_cbranch_execz .LBB74_230
; %bb.229:
	buffer_load_dword v105, off, s[24:27], 0 offset:32 ; 4-byte Folded Reload
	buffer_load_dword v106, off, s[24:27], 0 offset:36 ; 4-byte Folded Reload
	buffer_load_dword v107, off, s[24:27], 0 offset:40 ; 4-byte Folded Reload
	buffer_load_dword v108, off, s[24:27], 0 offset:44 ; 4-byte Folded Reload
	s_waitcnt vmcnt(0)
	v_mul_f64 v[101:102], v[123:124], v[107:108]
	v_fma_f64 v[125:126], v[121:122], v[105:106], -v[101:102]
	v_mul_f64 v[101:102], v[121:122], v[107:108]
	v_fma_f64 v[107:108], v[123:124], v[105:106], v[101:102]
	ds_read2_b64 v[101:104], v98 offset0:22 offset1:23
	buffer_load_dword v113, off, s[24:27], 0 offset:16 ; 4-byte Folded Reload
	buffer_load_dword v114, off, s[24:27], 0 offset:20 ; 4-byte Folded Reload
	;; [unrolled: 1-line block ×4, first 2 shown]
	s_waitcnt lgkmcnt(0)
	v_mul_f64 v[105:106], v[103:104], v[107:108]
	v_fma_f64 v[105:106], v[101:102], v[125:126], -v[105:106]
	v_mul_f64 v[101:102], v[101:102], v[107:108]
	v_fma_f64 v[101:102], v[103:104], v[125:126], v[101:102]
	s_waitcnt vmcnt(2)
	v_add_f64 v[113:114], v[113:114], -v[105:106]
	s_waitcnt vmcnt(0)
	v_add_f64 v[115:116], v[115:116], -v[101:102]
	buffer_store_dword v113, off, s[24:27], 0 offset:16 ; 4-byte Folded Spill
	s_nop 0
	buffer_store_dword v114, off, s[24:27], 0 offset:20 ; 4-byte Folded Spill
	buffer_store_dword v115, off, s[24:27], 0 offset:24 ; 4-byte Folded Spill
	;; [unrolled: 1-line block ×3, first 2 shown]
	ds_read2_b64 v[101:104], v98 offset0:24 offset1:25
	buffer_load_dword v113, off, s[24:27], 0 ; 4-byte Folded Reload
	buffer_load_dword v114, off, s[24:27], 0 offset:4 ; 4-byte Folded Reload
	buffer_load_dword v115, off, s[24:27], 0 offset:8 ; 4-byte Folded Reload
	;; [unrolled: 1-line block ×3, first 2 shown]
	s_waitcnt lgkmcnt(0)
	v_mul_f64 v[105:106], v[103:104], v[107:108]
	v_fma_f64 v[105:106], v[101:102], v[125:126], -v[105:106]
	v_mul_f64 v[101:102], v[101:102], v[107:108]
	v_fma_f64 v[101:102], v[103:104], v[125:126], v[101:102]
	s_waitcnt vmcnt(2)
	v_add_f64 v[113:114], v[113:114], -v[105:106]
	s_waitcnt vmcnt(0)
	v_add_f64 v[115:116], v[115:116], -v[101:102]
	buffer_store_dword v113, off, s[24:27], 0 ; 4-byte Folded Spill
	s_nop 0
	buffer_store_dword v114, off, s[24:27], 0 offset:4 ; 4-byte Folded Spill
	buffer_store_dword v115, off, s[24:27], 0 offset:8 ; 4-byte Folded Spill
	;; [unrolled: 1-line block ×3, first 2 shown]
	ds_read2_b64 v[101:104], v98 offset0:26 offset1:27
	s_waitcnt lgkmcnt(0)
	v_mul_f64 v[105:106], v[103:104], v[107:108]
	v_fma_f64 v[105:106], v[101:102], v[125:126], -v[105:106]
	v_mul_f64 v[101:102], v[101:102], v[107:108]
	v_add_f64 v[93:94], v[93:94], -v[105:106]
	v_fma_f64 v[101:102], v[103:104], v[125:126], v[101:102]
	v_add_f64 v[95:96], v[95:96], -v[101:102]
	ds_read2_b64 v[101:104], v98 offset0:28 offset1:29
	s_waitcnt lgkmcnt(0)
	v_mul_f64 v[105:106], v[103:104], v[107:108]
	v_fma_f64 v[105:106], v[101:102], v[125:126], -v[105:106]
	v_mul_f64 v[101:102], v[101:102], v[107:108]
	v_add_f64 v[89:90], v[89:90], -v[105:106]
	v_fma_f64 v[101:102], v[103:104], v[125:126], v[101:102]
	v_add_f64 v[91:92], v[91:92], -v[101:102]
	;; [unrolled: 8-line block ×24, first 2 shown]
	ds_read2_b64 v[101:104], v98 offset0:74 offset1:75
	s_waitcnt lgkmcnt(0)
	v_mul_f64 v[105:106], v[103:104], v[107:108]
	v_fma_f64 v[105:106], v[101:102], v[125:126], -v[105:106]
	v_mul_f64 v[101:102], v[101:102], v[107:108]
	v_add_f64 v[109:110], v[109:110], -v[105:106]
	v_fma_f64 v[101:102], v[103:104], v[125:126], v[101:102]
	v_mov_b32_e32 v105, v125
	v_mov_b32_e32 v106, v126
	buffer_store_dword v105, off, s[24:27], 0 offset:32 ; 4-byte Folded Spill
	s_nop 0
	buffer_store_dword v106, off, s[24:27], 0 offset:36 ; 4-byte Folded Spill
	buffer_store_dword v107, off, s[24:27], 0 offset:40 ; 4-byte Folded Spill
	;; [unrolled: 1-line block ×3, first 2 shown]
	v_add_f64 v[111:112], v[111:112], -v[101:102]
.LBB74_230:
	s_or_b64 exec, exec, s[0:1]
	s_waitcnt vmcnt(0)
	s_barrier
	buffer_load_dword v102, off, s[24:27], 0 offset:16 ; 4-byte Folded Reload
	buffer_load_dword v103, off, s[24:27], 0 offset:20 ; 4-byte Folded Reload
	;; [unrolled: 1-line block ×4, first 2 shown]
	v_lshl_add_u32 v101, v100, 4, v98
	s_cmp_lt_i32 s3, 13
	s_waitcnt vmcnt(0)
	ds_write2_b64 v101, v[102:103], v[104:105] offset1:1
	s_waitcnt lgkmcnt(0)
	s_barrier
	ds_read2_b64 v[121:124], v98 offset0:22 offset1:23
	v_mov_b32_e32 v101, 11
	s_cbranch_scc1 .LBB74_233
; %bb.231:
	v_add_u32_e32 v102, 0xc0, v98
	s_mov_b32 s0, 12
	v_mov_b32_e32 v101, 11
.LBB74_232:                             ; =>This Inner Loop Header: Depth=1
	s_waitcnt lgkmcnt(0)
	v_cmp_gt_f64_e32 vcc, 0, v[121:122]
	v_xor_b32_e32 v107, 0x80000000, v122
	ds_read2_b64 v[103:106], v102 offset1:1
	v_xor_b32_e32 v113, 0x80000000, v124
	v_add_u32_e32 v102, 16, v102
	s_waitcnt lgkmcnt(0)
	v_xor_b32_e32 v115, 0x80000000, v106
	v_cndmask_b32_e32 v108, v122, v107, vcc
	v_cmp_gt_f64_e32 vcc, 0, v[123:124]
	v_mov_b32_e32 v107, v121
	v_cndmask_b32_e32 v114, v124, v113, vcc
	v_cmp_gt_f64_e32 vcc, 0, v[103:104]
	v_mov_b32_e32 v113, v123
	v_add_f64 v[107:108], v[107:108], v[113:114]
	v_xor_b32_e32 v113, 0x80000000, v104
	v_cndmask_b32_e32 v114, v104, v113, vcc
	v_cmp_gt_f64_e32 vcc, 0, v[105:106]
	v_mov_b32_e32 v113, v103
	v_cndmask_b32_e32 v116, v106, v115, vcc
	v_mov_b32_e32 v115, v105
	v_add_f64 v[113:114], v[113:114], v[115:116]
	v_cmp_lt_f64_e32 vcc, v[107:108], v[113:114]
	v_cndmask_b32_e32 v121, v121, v103, vcc
	v_mov_b32_e32 v103, s0
	s_add_i32 s0, s0, 1
	v_cndmask_b32_e32 v122, v122, v104, vcc
	v_cndmask_b32_e32 v124, v124, v106, vcc
	;; [unrolled: 1-line block ×4, first 2 shown]
	s_cmp_lg_u32 s3, s0
	s_cbranch_scc1 .LBB74_232
.LBB74_233:
	s_waitcnt lgkmcnt(0)
	v_cmp_eq_f64_e32 vcc, 0, v[121:122]
	v_cmp_eq_f64_e64 s[0:1], 0, v[123:124]
	s_and_b64 s[0:1], vcc, s[0:1]
	s_and_saveexec_b64 s[18:19], s[0:1]
	s_xor_b64 s[0:1], exec, s[18:19]
; %bb.234:
	v_cmp_ne_u32_e32 vcc, 0, v99
	v_cndmask_b32_e32 v99, 12, v99, vcc
; %bb.235:
	s_andn2_saveexec_b64 s[0:1], s[0:1]
	s_cbranch_execz .LBB74_241
; %bb.236:
	v_cmp_ngt_f64_e64 s[18:19], |v[121:122]|, |v[123:124]|
	s_and_saveexec_b64 s[20:21], s[18:19]
	s_xor_b64 s[18:19], exec, s[20:21]
	s_cbranch_execz .LBB74_238
; %bb.237:
	v_div_scale_f64 v[102:103], s[20:21], v[123:124], v[123:124], v[121:122]
	v_rcp_f64_e32 v[104:105], v[102:103]
	v_fma_f64 v[106:107], -v[102:103], v[104:105], 1.0
	v_fma_f64 v[104:105], v[104:105], v[106:107], v[104:105]
	v_div_scale_f64 v[106:107], vcc, v[121:122], v[123:124], v[121:122]
	v_fma_f64 v[113:114], -v[102:103], v[104:105], 1.0
	v_fma_f64 v[104:105], v[104:105], v[113:114], v[104:105]
	v_mul_f64 v[113:114], v[106:107], v[104:105]
	v_fma_f64 v[102:103], -v[102:103], v[113:114], v[106:107]
	v_div_fmas_f64 v[102:103], v[102:103], v[104:105], v[113:114]
	v_div_fixup_f64 v[102:103], v[102:103], v[123:124], v[121:122]
	v_fma_f64 v[104:105], v[121:122], v[102:103], v[123:124]
	v_div_scale_f64 v[106:107], s[20:21], v[104:105], v[104:105], 1.0
	v_div_scale_f64 v[117:118], vcc, 1.0, v[104:105], 1.0
	v_rcp_f64_e32 v[113:114], v[106:107]
	v_fma_f64 v[115:116], -v[106:107], v[113:114], 1.0
	v_fma_f64 v[113:114], v[113:114], v[115:116], v[113:114]
	v_fma_f64 v[115:116], -v[106:107], v[113:114], 1.0
	v_fma_f64 v[113:114], v[113:114], v[115:116], v[113:114]
	v_mul_f64 v[115:116], v[117:118], v[113:114]
	v_fma_f64 v[106:107], -v[106:107], v[115:116], v[117:118]
	v_div_fmas_f64 v[106:107], v[106:107], v[113:114], v[115:116]
	v_div_fixup_f64 v[123:124], v[106:107], v[104:105], 1.0
	v_mul_f64 v[121:122], v[102:103], v[123:124]
	v_xor_b32_e32 v124, 0x80000000, v124
.LBB74_238:
	s_andn2_saveexec_b64 s[18:19], s[18:19]
	s_cbranch_execz .LBB74_240
; %bb.239:
	v_div_scale_f64 v[102:103], s[20:21], v[121:122], v[121:122], v[123:124]
	v_rcp_f64_e32 v[104:105], v[102:103]
	v_fma_f64 v[106:107], -v[102:103], v[104:105], 1.0
	v_fma_f64 v[104:105], v[104:105], v[106:107], v[104:105]
	v_div_scale_f64 v[106:107], vcc, v[123:124], v[121:122], v[123:124]
	v_fma_f64 v[113:114], -v[102:103], v[104:105], 1.0
	v_fma_f64 v[104:105], v[104:105], v[113:114], v[104:105]
	v_mul_f64 v[113:114], v[106:107], v[104:105]
	v_fma_f64 v[102:103], -v[102:103], v[113:114], v[106:107]
	v_div_fmas_f64 v[102:103], v[102:103], v[104:105], v[113:114]
	v_div_fixup_f64 v[102:103], v[102:103], v[121:122], v[123:124]
	v_fma_f64 v[104:105], v[123:124], v[102:103], v[121:122]
	v_div_scale_f64 v[106:107], s[20:21], v[104:105], v[104:105], 1.0
	v_div_scale_f64 v[117:118], vcc, 1.0, v[104:105], 1.0
	v_rcp_f64_e32 v[113:114], v[106:107]
	v_fma_f64 v[115:116], -v[106:107], v[113:114], 1.0
	v_fma_f64 v[113:114], v[113:114], v[115:116], v[113:114]
	v_fma_f64 v[115:116], -v[106:107], v[113:114], 1.0
	v_fma_f64 v[113:114], v[113:114], v[115:116], v[113:114]
	v_mul_f64 v[115:116], v[117:118], v[113:114]
	v_fma_f64 v[106:107], -v[106:107], v[115:116], v[117:118]
	v_div_fmas_f64 v[106:107], v[106:107], v[113:114], v[115:116]
	v_div_fixup_f64 v[121:122], v[106:107], v[104:105], 1.0
	v_mul_f64 v[123:124], v[102:103], -v[121:122]
.LBB74_240:
	s_or_b64 exec, exec, s[18:19]
.LBB74_241:
	s_or_b64 exec, exec, s[0:1]
	v_cmp_ne_u32_e32 vcc, v100, v101
	s_and_saveexec_b64 s[0:1], vcc
	s_xor_b64 s[0:1], exec, s[0:1]
	s_cbranch_execz .LBB74_247
; %bb.242:
	v_cmp_eq_u32_e32 vcc, 11, v100
	s_and_saveexec_b64 s[18:19], vcc
	s_cbranch_execz .LBB74_246
; %bb.243:
	v_cmp_ne_u32_e32 vcc, 11, v101
	s_xor_b64 s[20:21], s[6:7], -1
	s_and_b64 s[22:23], s[20:21], vcc
	s_and_saveexec_b64 s[20:21], s[22:23]
	s_cbranch_execz .LBB74_245
; %bb.244:
	v_ashrrev_i32_e32 v102, 31, v101
	v_lshlrev_b64 v[102:103], 2, v[101:102]
	v_add_co_u32_e32 v102, vcc, v119, v102
	v_addc_co_u32_e32 v103, vcc, v120, v103, vcc
	global_load_dword v0, v[102:103], off
	global_load_dword v100, v[119:120], off offset:44
	s_waitcnt vmcnt(1)
	global_store_dword v[119:120], v0, off offset:44
	s_waitcnt vmcnt(1)
	global_store_dword v[102:103], v100, off
.LBB74_245:
	s_or_b64 exec, exec, s[20:21]
	v_mov_b32_e32 v100, v101
	v_mov_b32_e32 v0, v101
.LBB74_246:
	s_or_b64 exec, exec, s[18:19]
.LBB74_247:
	s_andn2_saveexec_b64 s[0:1], s[0:1]
	s_cbranch_execz .LBB74_249
; %bb.248:
	buffer_load_dword v100, off, s[24:27], 0 ; 4-byte Folded Reload
	buffer_load_dword v101, off, s[24:27], 0 offset:4 ; 4-byte Folded Reload
	buffer_load_dword v102, off, s[24:27], 0 offset:8 ; 4-byte Folded Reload
	buffer_load_dword v103, off, s[24:27], 0 offset:12 ; 4-byte Folded Reload
	s_waitcnt vmcnt(0)
	ds_write2_b64 v98, v[100:101], v[102:103] offset0:24 offset1:25
	ds_write2_b64 v98, v[93:94], v[95:96] offset0:26 offset1:27
	;; [unrolled: 1-line block ×26, first 2 shown]
	v_mov_b32_e32 v100, 11
.LBB74_249:
	s_or_b64 exec, exec, s[0:1]
	v_cmp_lt_i32_e32 vcc, 11, v100
	s_waitcnt vmcnt(0) lgkmcnt(0)
	s_barrier
	s_and_saveexec_b64 s[0:1], vcc
	s_cbranch_execz .LBB74_251
; %bb.250:
	buffer_load_dword v105, off, s[24:27], 0 offset:16 ; 4-byte Folded Reload
	buffer_load_dword v106, off, s[24:27], 0 offset:20 ; 4-byte Folded Reload
	buffer_load_dword v107, off, s[24:27], 0 offset:24 ; 4-byte Folded Reload
	buffer_load_dword v108, off, s[24:27], 0 offset:28 ; 4-byte Folded Reload
	s_waitcnt vmcnt(0)
	v_mul_f64 v[101:102], v[123:124], v[107:108]
	v_fma_f64 v[125:126], v[121:122], v[105:106], -v[101:102]
	v_mul_f64 v[101:102], v[121:122], v[107:108]
	v_fma_f64 v[107:108], v[123:124], v[105:106], v[101:102]
	ds_read2_b64 v[101:104], v98 offset0:24 offset1:25
	buffer_load_dword v113, off, s[24:27], 0 ; 4-byte Folded Reload
	buffer_load_dword v114, off, s[24:27], 0 offset:4 ; 4-byte Folded Reload
	buffer_load_dword v115, off, s[24:27], 0 offset:8 ; 4-byte Folded Reload
	;; [unrolled: 1-line block ×3, first 2 shown]
	s_waitcnt lgkmcnt(0)
	v_mul_f64 v[105:106], v[103:104], v[107:108]
	v_fma_f64 v[105:106], v[101:102], v[125:126], -v[105:106]
	v_mul_f64 v[101:102], v[101:102], v[107:108]
	v_fma_f64 v[101:102], v[103:104], v[125:126], v[101:102]
	s_waitcnt vmcnt(2)
	v_add_f64 v[113:114], v[113:114], -v[105:106]
	s_waitcnt vmcnt(0)
	v_add_f64 v[115:116], v[115:116], -v[101:102]
	buffer_store_dword v113, off, s[24:27], 0 ; 4-byte Folded Spill
	s_nop 0
	buffer_store_dword v114, off, s[24:27], 0 offset:4 ; 4-byte Folded Spill
	buffer_store_dword v115, off, s[24:27], 0 offset:8 ; 4-byte Folded Spill
	;; [unrolled: 1-line block ×3, first 2 shown]
	ds_read2_b64 v[101:104], v98 offset0:26 offset1:27
	s_waitcnt lgkmcnt(0)
	v_mul_f64 v[105:106], v[103:104], v[107:108]
	v_fma_f64 v[105:106], v[101:102], v[125:126], -v[105:106]
	v_mul_f64 v[101:102], v[101:102], v[107:108]
	v_add_f64 v[93:94], v[93:94], -v[105:106]
	v_fma_f64 v[101:102], v[103:104], v[125:126], v[101:102]
	v_add_f64 v[95:96], v[95:96], -v[101:102]
	ds_read2_b64 v[101:104], v98 offset0:28 offset1:29
	s_waitcnt lgkmcnt(0)
	v_mul_f64 v[105:106], v[103:104], v[107:108]
	v_fma_f64 v[105:106], v[101:102], v[125:126], -v[105:106]
	v_mul_f64 v[101:102], v[101:102], v[107:108]
	v_add_f64 v[89:90], v[89:90], -v[105:106]
	v_fma_f64 v[101:102], v[103:104], v[125:126], v[101:102]
	v_add_f64 v[91:92], v[91:92], -v[101:102]
	;; [unrolled: 8-line block ×24, first 2 shown]
	ds_read2_b64 v[101:104], v98 offset0:74 offset1:75
	s_waitcnt lgkmcnt(0)
	v_mul_f64 v[105:106], v[103:104], v[107:108]
	v_fma_f64 v[105:106], v[101:102], v[125:126], -v[105:106]
	v_mul_f64 v[101:102], v[101:102], v[107:108]
	v_add_f64 v[109:110], v[109:110], -v[105:106]
	v_fma_f64 v[101:102], v[103:104], v[125:126], v[101:102]
	v_mov_b32_e32 v105, v125
	v_mov_b32_e32 v106, v126
	buffer_store_dword v105, off, s[24:27], 0 offset:16 ; 4-byte Folded Spill
	s_nop 0
	buffer_store_dword v106, off, s[24:27], 0 offset:20 ; 4-byte Folded Spill
	buffer_store_dword v107, off, s[24:27], 0 offset:24 ; 4-byte Folded Spill
	;; [unrolled: 1-line block ×3, first 2 shown]
	v_add_f64 v[111:112], v[111:112], -v[101:102]
.LBB74_251:
	s_or_b64 exec, exec, s[0:1]
	s_waitcnt vmcnt(0)
	s_barrier
	buffer_load_dword v102, off, s[24:27], 0 ; 4-byte Folded Reload
	buffer_load_dword v103, off, s[24:27], 0 offset:4 ; 4-byte Folded Reload
	buffer_load_dword v104, off, s[24:27], 0 offset:8 ; 4-byte Folded Reload
	;; [unrolled: 1-line block ×3, first 2 shown]
	v_lshl_add_u32 v101, v100, 4, v98
	s_cmp_lt_i32 s3, 14
	s_waitcnt vmcnt(0)
	ds_write2_b64 v101, v[102:103], v[104:105] offset1:1
	s_waitcnt lgkmcnt(0)
	s_barrier
	ds_read2_b64 v[121:124], v98 offset0:24 offset1:25
	v_mov_b32_e32 v101, 12
	s_cbranch_scc1 .LBB74_254
; %bb.252:
	v_add_u32_e32 v102, 0xd0, v98
	s_mov_b32 s0, 13
	v_mov_b32_e32 v101, 12
.LBB74_253:                             ; =>This Inner Loop Header: Depth=1
	s_waitcnt lgkmcnt(0)
	v_cmp_gt_f64_e32 vcc, 0, v[121:122]
	v_xor_b32_e32 v107, 0x80000000, v122
	ds_read2_b64 v[103:106], v102 offset1:1
	v_xor_b32_e32 v113, 0x80000000, v124
	v_add_u32_e32 v102, 16, v102
	s_waitcnt lgkmcnt(0)
	v_xor_b32_e32 v115, 0x80000000, v106
	v_cndmask_b32_e32 v108, v122, v107, vcc
	v_cmp_gt_f64_e32 vcc, 0, v[123:124]
	v_mov_b32_e32 v107, v121
	v_cndmask_b32_e32 v114, v124, v113, vcc
	v_cmp_gt_f64_e32 vcc, 0, v[103:104]
	v_mov_b32_e32 v113, v123
	v_add_f64 v[107:108], v[107:108], v[113:114]
	v_xor_b32_e32 v113, 0x80000000, v104
	v_cndmask_b32_e32 v114, v104, v113, vcc
	v_cmp_gt_f64_e32 vcc, 0, v[105:106]
	v_mov_b32_e32 v113, v103
	v_cndmask_b32_e32 v116, v106, v115, vcc
	v_mov_b32_e32 v115, v105
	v_add_f64 v[113:114], v[113:114], v[115:116]
	v_cmp_lt_f64_e32 vcc, v[107:108], v[113:114]
	v_cndmask_b32_e32 v121, v121, v103, vcc
	v_mov_b32_e32 v103, s0
	s_add_i32 s0, s0, 1
	v_cndmask_b32_e32 v122, v122, v104, vcc
	v_cndmask_b32_e32 v124, v124, v106, vcc
	;; [unrolled: 1-line block ×4, first 2 shown]
	s_cmp_lg_u32 s3, s0
	s_cbranch_scc1 .LBB74_253
.LBB74_254:
	s_waitcnt lgkmcnt(0)
	v_cmp_eq_f64_e32 vcc, 0, v[121:122]
	v_cmp_eq_f64_e64 s[0:1], 0, v[123:124]
	s_and_b64 s[0:1], vcc, s[0:1]
	s_and_saveexec_b64 s[18:19], s[0:1]
	s_xor_b64 s[0:1], exec, s[18:19]
; %bb.255:
	v_cmp_ne_u32_e32 vcc, 0, v99
	v_cndmask_b32_e32 v99, 13, v99, vcc
; %bb.256:
	s_andn2_saveexec_b64 s[0:1], s[0:1]
	s_cbranch_execz .LBB74_262
; %bb.257:
	v_cmp_ngt_f64_e64 s[18:19], |v[121:122]|, |v[123:124]|
	s_and_saveexec_b64 s[20:21], s[18:19]
	s_xor_b64 s[18:19], exec, s[20:21]
	s_cbranch_execz .LBB74_259
; %bb.258:
	v_div_scale_f64 v[102:103], s[20:21], v[123:124], v[123:124], v[121:122]
	v_rcp_f64_e32 v[104:105], v[102:103]
	v_fma_f64 v[106:107], -v[102:103], v[104:105], 1.0
	v_fma_f64 v[104:105], v[104:105], v[106:107], v[104:105]
	v_div_scale_f64 v[106:107], vcc, v[121:122], v[123:124], v[121:122]
	v_fma_f64 v[113:114], -v[102:103], v[104:105], 1.0
	v_fma_f64 v[104:105], v[104:105], v[113:114], v[104:105]
	v_mul_f64 v[113:114], v[106:107], v[104:105]
	v_fma_f64 v[102:103], -v[102:103], v[113:114], v[106:107]
	v_div_fmas_f64 v[102:103], v[102:103], v[104:105], v[113:114]
	v_div_fixup_f64 v[102:103], v[102:103], v[123:124], v[121:122]
	v_fma_f64 v[104:105], v[121:122], v[102:103], v[123:124]
	v_div_scale_f64 v[106:107], s[20:21], v[104:105], v[104:105], 1.0
	v_div_scale_f64 v[117:118], vcc, 1.0, v[104:105], 1.0
	v_rcp_f64_e32 v[113:114], v[106:107]
	v_fma_f64 v[115:116], -v[106:107], v[113:114], 1.0
	v_fma_f64 v[113:114], v[113:114], v[115:116], v[113:114]
	v_fma_f64 v[115:116], -v[106:107], v[113:114], 1.0
	v_fma_f64 v[113:114], v[113:114], v[115:116], v[113:114]
	v_mul_f64 v[115:116], v[117:118], v[113:114]
	v_fma_f64 v[106:107], -v[106:107], v[115:116], v[117:118]
	v_div_fmas_f64 v[106:107], v[106:107], v[113:114], v[115:116]
	v_div_fixup_f64 v[123:124], v[106:107], v[104:105], 1.0
	v_mul_f64 v[121:122], v[102:103], v[123:124]
	v_xor_b32_e32 v124, 0x80000000, v124
.LBB74_259:
	s_andn2_saveexec_b64 s[18:19], s[18:19]
	s_cbranch_execz .LBB74_261
; %bb.260:
	v_div_scale_f64 v[102:103], s[20:21], v[121:122], v[121:122], v[123:124]
	v_rcp_f64_e32 v[104:105], v[102:103]
	v_fma_f64 v[106:107], -v[102:103], v[104:105], 1.0
	v_fma_f64 v[104:105], v[104:105], v[106:107], v[104:105]
	v_div_scale_f64 v[106:107], vcc, v[123:124], v[121:122], v[123:124]
	v_fma_f64 v[113:114], -v[102:103], v[104:105], 1.0
	v_fma_f64 v[104:105], v[104:105], v[113:114], v[104:105]
	v_mul_f64 v[113:114], v[106:107], v[104:105]
	v_fma_f64 v[102:103], -v[102:103], v[113:114], v[106:107]
	v_div_fmas_f64 v[102:103], v[102:103], v[104:105], v[113:114]
	v_div_fixup_f64 v[102:103], v[102:103], v[121:122], v[123:124]
	v_fma_f64 v[104:105], v[123:124], v[102:103], v[121:122]
	v_div_scale_f64 v[106:107], s[20:21], v[104:105], v[104:105], 1.0
	v_div_scale_f64 v[117:118], vcc, 1.0, v[104:105], 1.0
	v_rcp_f64_e32 v[113:114], v[106:107]
	v_fma_f64 v[115:116], -v[106:107], v[113:114], 1.0
	v_fma_f64 v[113:114], v[113:114], v[115:116], v[113:114]
	v_fma_f64 v[115:116], -v[106:107], v[113:114], 1.0
	v_fma_f64 v[113:114], v[113:114], v[115:116], v[113:114]
	v_mul_f64 v[115:116], v[117:118], v[113:114]
	v_fma_f64 v[106:107], -v[106:107], v[115:116], v[117:118]
	v_div_fmas_f64 v[106:107], v[106:107], v[113:114], v[115:116]
	v_div_fixup_f64 v[121:122], v[106:107], v[104:105], 1.0
	v_mul_f64 v[123:124], v[102:103], -v[121:122]
.LBB74_261:
	s_or_b64 exec, exec, s[18:19]
.LBB74_262:
	s_or_b64 exec, exec, s[0:1]
	v_cmp_ne_u32_e32 vcc, v100, v101
	s_and_saveexec_b64 s[0:1], vcc
	s_xor_b64 s[0:1], exec, s[0:1]
	s_cbranch_execz .LBB74_268
; %bb.263:
	v_cmp_eq_u32_e32 vcc, 12, v100
	s_and_saveexec_b64 s[18:19], vcc
	s_cbranch_execz .LBB74_267
; %bb.264:
	v_cmp_ne_u32_e32 vcc, 12, v101
	s_xor_b64 s[20:21], s[6:7], -1
	s_and_b64 s[22:23], s[20:21], vcc
	s_and_saveexec_b64 s[20:21], s[22:23]
	s_cbranch_execz .LBB74_266
; %bb.265:
	v_ashrrev_i32_e32 v102, 31, v101
	v_lshlrev_b64 v[102:103], 2, v[101:102]
	v_add_co_u32_e32 v102, vcc, v119, v102
	v_addc_co_u32_e32 v103, vcc, v120, v103, vcc
	global_load_dword v0, v[102:103], off
	global_load_dword v100, v[119:120], off offset:48
	s_waitcnt vmcnt(1)
	global_store_dword v[119:120], v0, off offset:48
	s_waitcnt vmcnt(1)
	global_store_dword v[102:103], v100, off
.LBB74_266:
	s_or_b64 exec, exec, s[20:21]
	v_mov_b32_e32 v100, v101
	v_mov_b32_e32 v0, v101
.LBB74_267:
	s_or_b64 exec, exec, s[18:19]
.LBB74_268:
	s_andn2_saveexec_b64 s[0:1], s[0:1]
	s_cbranch_execz .LBB74_270
; %bb.269:
	v_mov_b32_e32 v100, 12
	ds_write2_b64 v98, v[93:94], v[95:96] offset0:26 offset1:27
	ds_write2_b64 v98, v[89:90], v[91:92] offset0:28 offset1:29
	;; [unrolled: 1-line block ×25, first 2 shown]
.LBB74_270:
	s_or_b64 exec, exec, s[0:1]
	v_cmp_lt_i32_e32 vcc, 12, v100
	s_waitcnt vmcnt(0) lgkmcnt(0)
	s_barrier
	s_and_saveexec_b64 s[0:1], vcc
	s_cbranch_execz .LBB74_272
; %bb.271:
	buffer_load_dword v105, off, s[24:27], 0 ; 4-byte Folded Reload
	buffer_load_dword v106, off, s[24:27], 0 offset:4 ; 4-byte Folded Reload
	buffer_load_dword v107, off, s[24:27], 0 offset:8 ; 4-byte Folded Reload
	;; [unrolled: 1-line block ×3, first 2 shown]
	s_waitcnt vmcnt(0)
	v_mul_f64 v[101:102], v[123:124], v[107:108]
	v_fma_f64 v[125:126], v[121:122], v[105:106], -v[101:102]
	v_mul_f64 v[101:102], v[121:122], v[107:108]
	v_fma_f64 v[107:108], v[123:124], v[105:106], v[101:102]
	ds_read2_b64 v[101:104], v98 offset0:26 offset1:27
	s_waitcnt lgkmcnt(0)
	v_mul_f64 v[105:106], v[103:104], v[107:108]
	v_fma_f64 v[105:106], v[101:102], v[125:126], -v[105:106]
	v_mul_f64 v[101:102], v[101:102], v[107:108]
	v_add_f64 v[93:94], v[93:94], -v[105:106]
	v_fma_f64 v[101:102], v[103:104], v[125:126], v[101:102]
	v_add_f64 v[95:96], v[95:96], -v[101:102]
	ds_read2_b64 v[101:104], v98 offset0:28 offset1:29
	s_waitcnt lgkmcnt(0)
	v_mul_f64 v[105:106], v[103:104], v[107:108]
	v_fma_f64 v[105:106], v[101:102], v[125:126], -v[105:106]
	v_mul_f64 v[101:102], v[101:102], v[107:108]
	v_add_f64 v[89:90], v[89:90], -v[105:106]
	v_fma_f64 v[101:102], v[103:104], v[125:126], v[101:102]
	v_add_f64 v[91:92], v[91:92], -v[101:102]
	;; [unrolled: 8-line block ×24, first 2 shown]
	ds_read2_b64 v[101:104], v98 offset0:74 offset1:75
	s_waitcnt lgkmcnt(0)
	v_mul_f64 v[105:106], v[103:104], v[107:108]
	v_fma_f64 v[105:106], v[101:102], v[125:126], -v[105:106]
	v_mul_f64 v[101:102], v[101:102], v[107:108]
	v_add_f64 v[109:110], v[109:110], -v[105:106]
	v_fma_f64 v[101:102], v[103:104], v[125:126], v[101:102]
	v_mov_b32_e32 v105, v125
	v_mov_b32_e32 v106, v126
	buffer_store_dword v105, off, s[24:27], 0 ; 4-byte Folded Spill
	s_nop 0
	buffer_store_dword v106, off, s[24:27], 0 offset:4 ; 4-byte Folded Spill
	buffer_store_dword v107, off, s[24:27], 0 offset:8 ; 4-byte Folded Spill
	;; [unrolled: 1-line block ×3, first 2 shown]
	v_add_f64 v[111:112], v[111:112], -v[101:102]
.LBB74_272:
	s_or_b64 exec, exec, s[0:1]
	v_lshl_add_u32 v101, v100, 4, v98
	s_waitcnt vmcnt(0)
	s_barrier
	ds_write2_b64 v101, v[93:94], v[95:96] offset1:1
	s_waitcnt lgkmcnt(0)
	s_barrier
	ds_read2_b64 v[121:124], v98 offset0:26 offset1:27
	s_cmp_lt_i32 s3, 15
	v_mov_b32_e32 v101, 13
	s_cbranch_scc1 .LBB74_275
; %bb.273:
	v_add_u32_e32 v102, 0xe0, v98
	s_mov_b32 s0, 14
	v_mov_b32_e32 v101, 13
.LBB74_274:                             ; =>This Inner Loop Header: Depth=1
	s_waitcnt lgkmcnt(0)
	v_cmp_gt_f64_e32 vcc, 0, v[121:122]
	v_xor_b32_e32 v107, 0x80000000, v122
	ds_read2_b64 v[103:106], v102 offset1:1
	v_xor_b32_e32 v113, 0x80000000, v124
	v_add_u32_e32 v102, 16, v102
	s_waitcnt lgkmcnt(0)
	v_xor_b32_e32 v115, 0x80000000, v106
	v_cndmask_b32_e32 v108, v122, v107, vcc
	v_cmp_gt_f64_e32 vcc, 0, v[123:124]
	v_mov_b32_e32 v107, v121
	v_cndmask_b32_e32 v114, v124, v113, vcc
	v_cmp_gt_f64_e32 vcc, 0, v[103:104]
	v_mov_b32_e32 v113, v123
	v_add_f64 v[107:108], v[107:108], v[113:114]
	v_xor_b32_e32 v113, 0x80000000, v104
	v_cndmask_b32_e32 v114, v104, v113, vcc
	v_cmp_gt_f64_e32 vcc, 0, v[105:106]
	v_mov_b32_e32 v113, v103
	v_cndmask_b32_e32 v116, v106, v115, vcc
	v_mov_b32_e32 v115, v105
	v_add_f64 v[113:114], v[113:114], v[115:116]
	v_cmp_lt_f64_e32 vcc, v[107:108], v[113:114]
	v_cndmask_b32_e32 v121, v121, v103, vcc
	v_mov_b32_e32 v103, s0
	s_add_i32 s0, s0, 1
	v_cndmask_b32_e32 v122, v122, v104, vcc
	v_cndmask_b32_e32 v124, v124, v106, vcc
	;; [unrolled: 1-line block ×4, first 2 shown]
	s_cmp_lg_u32 s3, s0
	s_cbranch_scc1 .LBB74_274
.LBB74_275:
	s_waitcnt lgkmcnt(0)
	v_cmp_eq_f64_e32 vcc, 0, v[121:122]
	v_cmp_eq_f64_e64 s[0:1], 0, v[123:124]
	s_and_b64 s[0:1], vcc, s[0:1]
	s_and_saveexec_b64 s[18:19], s[0:1]
	s_xor_b64 s[0:1], exec, s[18:19]
; %bb.276:
	v_cmp_ne_u32_e32 vcc, 0, v99
	v_cndmask_b32_e32 v99, 14, v99, vcc
; %bb.277:
	s_andn2_saveexec_b64 s[0:1], s[0:1]
	s_cbranch_execz .LBB74_283
; %bb.278:
	v_cmp_ngt_f64_e64 s[18:19], |v[121:122]|, |v[123:124]|
	s_and_saveexec_b64 s[20:21], s[18:19]
	s_xor_b64 s[18:19], exec, s[20:21]
	s_cbranch_execz .LBB74_280
; %bb.279:
	v_div_scale_f64 v[102:103], s[20:21], v[123:124], v[123:124], v[121:122]
	v_rcp_f64_e32 v[104:105], v[102:103]
	v_fma_f64 v[106:107], -v[102:103], v[104:105], 1.0
	v_fma_f64 v[104:105], v[104:105], v[106:107], v[104:105]
	v_div_scale_f64 v[106:107], vcc, v[121:122], v[123:124], v[121:122]
	v_fma_f64 v[113:114], -v[102:103], v[104:105], 1.0
	v_fma_f64 v[104:105], v[104:105], v[113:114], v[104:105]
	v_mul_f64 v[113:114], v[106:107], v[104:105]
	v_fma_f64 v[102:103], -v[102:103], v[113:114], v[106:107]
	v_div_fmas_f64 v[102:103], v[102:103], v[104:105], v[113:114]
	v_div_fixup_f64 v[102:103], v[102:103], v[123:124], v[121:122]
	v_fma_f64 v[104:105], v[121:122], v[102:103], v[123:124]
	v_div_scale_f64 v[106:107], s[20:21], v[104:105], v[104:105], 1.0
	v_div_scale_f64 v[117:118], vcc, 1.0, v[104:105], 1.0
	v_rcp_f64_e32 v[113:114], v[106:107]
	v_fma_f64 v[115:116], -v[106:107], v[113:114], 1.0
	v_fma_f64 v[113:114], v[113:114], v[115:116], v[113:114]
	v_fma_f64 v[115:116], -v[106:107], v[113:114], 1.0
	v_fma_f64 v[113:114], v[113:114], v[115:116], v[113:114]
	v_mul_f64 v[115:116], v[117:118], v[113:114]
	v_fma_f64 v[106:107], -v[106:107], v[115:116], v[117:118]
	v_div_fmas_f64 v[106:107], v[106:107], v[113:114], v[115:116]
	v_div_fixup_f64 v[123:124], v[106:107], v[104:105], 1.0
	v_mul_f64 v[121:122], v[102:103], v[123:124]
	v_xor_b32_e32 v124, 0x80000000, v124
.LBB74_280:
	s_andn2_saveexec_b64 s[18:19], s[18:19]
	s_cbranch_execz .LBB74_282
; %bb.281:
	v_div_scale_f64 v[102:103], s[20:21], v[121:122], v[121:122], v[123:124]
	v_rcp_f64_e32 v[104:105], v[102:103]
	v_fma_f64 v[106:107], -v[102:103], v[104:105], 1.0
	v_fma_f64 v[104:105], v[104:105], v[106:107], v[104:105]
	v_div_scale_f64 v[106:107], vcc, v[123:124], v[121:122], v[123:124]
	v_fma_f64 v[113:114], -v[102:103], v[104:105], 1.0
	v_fma_f64 v[104:105], v[104:105], v[113:114], v[104:105]
	v_mul_f64 v[113:114], v[106:107], v[104:105]
	v_fma_f64 v[102:103], -v[102:103], v[113:114], v[106:107]
	v_div_fmas_f64 v[102:103], v[102:103], v[104:105], v[113:114]
	v_div_fixup_f64 v[102:103], v[102:103], v[121:122], v[123:124]
	v_fma_f64 v[104:105], v[123:124], v[102:103], v[121:122]
	v_div_scale_f64 v[106:107], s[20:21], v[104:105], v[104:105], 1.0
	v_div_scale_f64 v[117:118], vcc, 1.0, v[104:105], 1.0
	v_rcp_f64_e32 v[113:114], v[106:107]
	v_fma_f64 v[115:116], -v[106:107], v[113:114], 1.0
	v_fma_f64 v[113:114], v[113:114], v[115:116], v[113:114]
	v_fma_f64 v[115:116], -v[106:107], v[113:114], 1.0
	v_fma_f64 v[113:114], v[113:114], v[115:116], v[113:114]
	v_mul_f64 v[115:116], v[117:118], v[113:114]
	v_fma_f64 v[106:107], -v[106:107], v[115:116], v[117:118]
	v_div_fmas_f64 v[106:107], v[106:107], v[113:114], v[115:116]
	v_div_fixup_f64 v[121:122], v[106:107], v[104:105], 1.0
	v_mul_f64 v[123:124], v[102:103], -v[121:122]
.LBB74_282:
	s_or_b64 exec, exec, s[18:19]
.LBB74_283:
	s_or_b64 exec, exec, s[0:1]
	v_cmp_ne_u32_e32 vcc, v100, v101
	s_and_saveexec_b64 s[0:1], vcc
	s_xor_b64 s[0:1], exec, s[0:1]
	s_cbranch_execz .LBB74_289
; %bb.284:
	v_cmp_eq_u32_e32 vcc, 13, v100
	s_and_saveexec_b64 s[18:19], vcc
	s_cbranch_execz .LBB74_288
; %bb.285:
	v_cmp_ne_u32_e32 vcc, 13, v101
	s_xor_b64 s[20:21], s[6:7], -1
	s_and_b64 s[22:23], s[20:21], vcc
	s_and_saveexec_b64 s[20:21], s[22:23]
	s_cbranch_execz .LBB74_287
; %bb.286:
	v_ashrrev_i32_e32 v102, 31, v101
	v_lshlrev_b64 v[102:103], 2, v[101:102]
	v_add_co_u32_e32 v102, vcc, v119, v102
	v_addc_co_u32_e32 v103, vcc, v120, v103, vcc
	global_load_dword v0, v[102:103], off
	global_load_dword v100, v[119:120], off offset:52
	s_waitcnt vmcnt(1)
	global_store_dword v[119:120], v0, off offset:52
	s_waitcnt vmcnt(1)
	global_store_dword v[102:103], v100, off
.LBB74_287:
	s_or_b64 exec, exec, s[20:21]
	v_mov_b32_e32 v100, v101
	v_mov_b32_e32 v0, v101
.LBB74_288:
	s_or_b64 exec, exec, s[18:19]
.LBB74_289:
	s_andn2_saveexec_b64 s[0:1], s[0:1]
	s_cbranch_execz .LBB74_291
; %bb.290:
	v_mov_b32_e32 v100, 13
	ds_write2_b64 v98, v[89:90], v[91:92] offset0:28 offset1:29
	ds_write2_b64 v98, v[85:86], v[87:88] offset0:30 offset1:31
	;; [unrolled: 1-line block ×24, first 2 shown]
.LBB74_291:
	s_or_b64 exec, exec, s[0:1]
	v_cmp_lt_i32_e32 vcc, 13, v100
	s_waitcnt vmcnt(0) lgkmcnt(0)
	s_barrier
	s_and_saveexec_b64 s[0:1], vcc
	s_cbranch_execz .LBB74_293
; %bb.292:
	v_mul_f64 v[101:102], v[123:124], v[95:96]
	v_mul_f64 v[95:96], v[121:122], v[95:96]
	v_fma_f64 v[125:126], v[121:122], v[93:94], -v[101:102]
	v_fma_f64 v[95:96], v[123:124], v[93:94], v[95:96]
	ds_read2_b64 v[101:104], v98 offset0:28 offset1:29
	s_waitcnt lgkmcnt(0)
	v_mul_f64 v[93:94], v[103:104], v[95:96]
	v_fma_f64 v[93:94], v[101:102], v[125:126], -v[93:94]
	v_mul_f64 v[101:102], v[101:102], v[95:96]
	v_add_f64 v[89:90], v[89:90], -v[93:94]
	v_fma_f64 v[101:102], v[103:104], v[125:126], v[101:102]
	v_add_f64 v[91:92], v[91:92], -v[101:102]
	ds_read2_b64 v[101:104], v98 offset0:30 offset1:31
	s_waitcnt lgkmcnt(0)
	v_mul_f64 v[93:94], v[103:104], v[95:96]
	v_fma_f64 v[93:94], v[101:102], v[125:126], -v[93:94]
	v_mul_f64 v[101:102], v[101:102], v[95:96]
	v_add_f64 v[85:86], v[85:86], -v[93:94]
	v_fma_f64 v[101:102], v[103:104], v[125:126], v[101:102]
	v_add_f64 v[87:88], v[87:88], -v[101:102]
	;; [unrolled: 8-line block ×23, first 2 shown]
	ds_read2_b64 v[101:104], v98 offset0:74 offset1:75
	s_waitcnt lgkmcnt(0)
	v_mul_f64 v[93:94], v[103:104], v[95:96]
	v_fma_f64 v[93:94], v[101:102], v[125:126], -v[93:94]
	v_mul_f64 v[101:102], v[101:102], v[95:96]
	v_add_f64 v[109:110], v[109:110], -v[93:94]
	v_fma_f64 v[101:102], v[103:104], v[125:126], v[101:102]
	v_mov_b32_e32 v93, v125
	v_mov_b32_e32 v94, v126
	v_add_f64 v[111:112], v[111:112], -v[101:102]
.LBB74_293:
	s_or_b64 exec, exec, s[0:1]
	v_lshl_add_u32 v101, v100, 4, v98
	s_barrier
	ds_write2_b64 v101, v[89:90], v[91:92] offset1:1
	s_waitcnt lgkmcnt(0)
	s_barrier
	ds_read2_b64 v[121:124], v98 offset0:28 offset1:29
	s_cmp_lt_i32 s3, 16
	v_mov_b32_e32 v101, 14
	s_cbranch_scc1 .LBB74_296
; %bb.294:
	v_add_u32_e32 v102, 0xf0, v98
	s_mov_b32 s0, 15
	v_mov_b32_e32 v101, 14
.LBB74_295:                             ; =>This Inner Loop Header: Depth=1
	s_waitcnt lgkmcnt(0)
	v_cmp_gt_f64_e32 vcc, 0, v[121:122]
	v_xor_b32_e32 v107, 0x80000000, v122
	ds_read2_b64 v[103:106], v102 offset1:1
	v_xor_b32_e32 v113, 0x80000000, v124
	v_add_u32_e32 v102, 16, v102
	s_waitcnt lgkmcnt(0)
	v_xor_b32_e32 v115, 0x80000000, v106
	v_cndmask_b32_e32 v108, v122, v107, vcc
	v_cmp_gt_f64_e32 vcc, 0, v[123:124]
	v_mov_b32_e32 v107, v121
	v_cndmask_b32_e32 v114, v124, v113, vcc
	v_cmp_gt_f64_e32 vcc, 0, v[103:104]
	v_mov_b32_e32 v113, v123
	v_add_f64 v[107:108], v[107:108], v[113:114]
	v_xor_b32_e32 v113, 0x80000000, v104
	v_cndmask_b32_e32 v114, v104, v113, vcc
	v_cmp_gt_f64_e32 vcc, 0, v[105:106]
	v_mov_b32_e32 v113, v103
	v_cndmask_b32_e32 v116, v106, v115, vcc
	v_mov_b32_e32 v115, v105
	v_add_f64 v[113:114], v[113:114], v[115:116]
	v_cmp_lt_f64_e32 vcc, v[107:108], v[113:114]
	v_cndmask_b32_e32 v121, v121, v103, vcc
	v_mov_b32_e32 v103, s0
	s_add_i32 s0, s0, 1
	v_cndmask_b32_e32 v122, v122, v104, vcc
	v_cndmask_b32_e32 v124, v124, v106, vcc
	;; [unrolled: 1-line block ×4, first 2 shown]
	s_cmp_lg_u32 s3, s0
	s_cbranch_scc1 .LBB74_295
.LBB74_296:
	s_waitcnt lgkmcnt(0)
	v_cmp_eq_f64_e32 vcc, 0, v[121:122]
	v_cmp_eq_f64_e64 s[0:1], 0, v[123:124]
	s_and_b64 s[0:1], vcc, s[0:1]
	s_and_saveexec_b64 s[18:19], s[0:1]
	s_xor_b64 s[0:1], exec, s[18:19]
; %bb.297:
	v_cmp_ne_u32_e32 vcc, 0, v99
	v_cndmask_b32_e32 v99, 15, v99, vcc
; %bb.298:
	s_andn2_saveexec_b64 s[0:1], s[0:1]
	s_cbranch_execz .LBB74_304
; %bb.299:
	v_cmp_ngt_f64_e64 s[18:19], |v[121:122]|, |v[123:124]|
	s_and_saveexec_b64 s[20:21], s[18:19]
	s_xor_b64 s[18:19], exec, s[20:21]
	s_cbranch_execz .LBB74_301
; %bb.300:
	v_div_scale_f64 v[102:103], s[20:21], v[123:124], v[123:124], v[121:122]
	v_rcp_f64_e32 v[104:105], v[102:103]
	v_fma_f64 v[106:107], -v[102:103], v[104:105], 1.0
	v_fma_f64 v[104:105], v[104:105], v[106:107], v[104:105]
	v_div_scale_f64 v[106:107], vcc, v[121:122], v[123:124], v[121:122]
	v_fma_f64 v[113:114], -v[102:103], v[104:105], 1.0
	v_fma_f64 v[104:105], v[104:105], v[113:114], v[104:105]
	v_mul_f64 v[113:114], v[106:107], v[104:105]
	v_fma_f64 v[102:103], -v[102:103], v[113:114], v[106:107]
	v_div_fmas_f64 v[102:103], v[102:103], v[104:105], v[113:114]
	v_div_fixup_f64 v[102:103], v[102:103], v[123:124], v[121:122]
	v_fma_f64 v[104:105], v[121:122], v[102:103], v[123:124]
	v_div_scale_f64 v[106:107], s[20:21], v[104:105], v[104:105], 1.0
	v_div_scale_f64 v[117:118], vcc, 1.0, v[104:105], 1.0
	v_rcp_f64_e32 v[113:114], v[106:107]
	v_fma_f64 v[115:116], -v[106:107], v[113:114], 1.0
	v_fma_f64 v[113:114], v[113:114], v[115:116], v[113:114]
	v_fma_f64 v[115:116], -v[106:107], v[113:114], 1.0
	v_fma_f64 v[113:114], v[113:114], v[115:116], v[113:114]
	v_mul_f64 v[115:116], v[117:118], v[113:114]
	v_fma_f64 v[106:107], -v[106:107], v[115:116], v[117:118]
	v_div_fmas_f64 v[106:107], v[106:107], v[113:114], v[115:116]
	v_div_fixup_f64 v[123:124], v[106:107], v[104:105], 1.0
	v_mul_f64 v[121:122], v[102:103], v[123:124]
	v_xor_b32_e32 v124, 0x80000000, v124
.LBB74_301:
	s_andn2_saveexec_b64 s[18:19], s[18:19]
	s_cbranch_execz .LBB74_303
; %bb.302:
	v_div_scale_f64 v[102:103], s[20:21], v[121:122], v[121:122], v[123:124]
	v_rcp_f64_e32 v[104:105], v[102:103]
	v_fma_f64 v[106:107], -v[102:103], v[104:105], 1.0
	v_fma_f64 v[104:105], v[104:105], v[106:107], v[104:105]
	v_div_scale_f64 v[106:107], vcc, v[123:124], v[121:122], v[123:124]
	v_fma_f64 v[113:114], -v[102:103], v[104:105], 1.0
	v_fma_f64 v[104:105], v[104:105], v[113:114], v[104:105]
	v_mul_f64 v[113:114], v[106:107], v[104:105]
	v_fma_f64 v[102:103], -v[102:103], v[113:114], v[106:107]
	v_div_fmas_f64 v[102:103], v[102:103], v[104:105], v[113:114]
	v_div_fixup_f64 v[102:103], v[102:103], v[121:122], v[123:124]
	v_fma_f64 v[104:105], v[123:124], v[102:103], v[121:122]
	v_div_scale_f64 v[106:107], s[20:21], v[104:105], v[104:105], 1.0
	v_div_scale_f64 v[117:118], vcc, 1.0, v[104:105], 1.0
	v_rcp_f64_e32 v[113:114], v[106:107]
	v_fma_f64 v[115:116], -v[106:107], v[113:114], 1.0
	v_fma_f64 v[113:114], v[113:114], v[115:116], v[113:114]
	v_fma_f64 v[115:116], -v[106:107], v[113:114], 1.0
	v_fma_f64 v[113:114], v[113:114], v[115:116], v[113:114]
	v_mul_f64 v[115:116], v[117:118], v[113:114]
	v_fma_f64 v[106:107], -v[106:107], v[115:116], v[117:118]
	v_div_fmas_f64 v[106:107], v[106:107], v[113:114], v[115:116]
	v_div_fixup_f64 v[121:122], v[106:107], v[104:105], 1.0
	v_mul_f64 v[123:124], v[102:103], -v[121:122]
.LBB74_303:
	s_or_b64 exec, exec, s[18:19]
.LBB74_304:
	s_or_b64 exec, exec, s[0:1]
	v_cmp_ne_u32_e32 vcc, v100, v101
	s_and_saveexec_b64 s[0:1], vcc
	s_xor_b64 s[0:1], exec, s[0:1]
	s_cbranch_execz .LBB74_310
; %bb.305:
	v_cmp_eq_u32_e32 vcc, 14, v100
	s_and_saveexec_b64 s[18:19], vcc
	s_cbranch_execz .LBB74_309
; %bb.306:
	v_cmp_ne_u32_e32 vcc, 14, v101
	s_xor_b64 s[20:21], s[6:7], -1
	s_and_b64 s[22:23], s[20:21], vcc
	s_and_saveexec_b64 s[20:21], s[22:23]
	s_cbranch_execz .LBB74_308
; %bb.307:
	v_ashrrev_i32_e32 v102, 31, v101
	v_lshlrev_b64 v[102:103], 2, v[101:102]
	v_add_co_u32_e32 v102, vcc, v119, v102
	v_addc_co_u32_e32 v103, vcc, v120, v103, vcc
	global_load_dword v0, v[102:103], off
	global_load_dword v100, v[119:120], off offset:56
	s_waitcnt vmcnt(1)
	global_store_dword v[119:120], v0, off offset:56
	s_waitcnt vmcnt(1)
	global_store_dword v[102:103], v100, off
.LBB74_308:
	s_or_b64 exec, exec, s[20:21]
	v_mov_b32_e32 v100, v101
	v_mov_b32_e32 v0, v101
.LBB74_309:
	s_or_b64 exec, exec, s[18:19]
.LBB74_310:
	s_andn2_saveexec_b64 s[0:1], s[0:1]
	s_cbranch_execz .LBB74_312
; %bb.311:
	v_mov_b32_e32 v100, 14
	ds_write2_b64 v98, v[85:86], v[87:88] offset0:30 offset1:31
	ds_write2_b64 v98, v[81:82], v[83:84] offset0:32 offset1:33
	;; [unrolled: 1-line block ×23, first 2 shown]
.LBB74_312:
	s_or_b64 exec, exec, s[0:1]
	v_cmp_lt_i32_e32 vcc, 14, v100
	s_waitcnt vmcnt(0) lgkmcnt(0)
	s_barrier
	s_and_saveexec_b64 s[0:1], vcc
	s_cbranch_execz .LBB74_314
; %bb.313:
	v_mul_f64 v[101:102], v[123:124], v[91:92]
	v_mul_f64 v[91:92], v[121:122], v[91:92]
	v_fma_f64 v[125:126], v[121:122], v[89:90], -v[101:102]
	v_fma_f64 v[91:92], v[123:124], v[89:90], v[91:92]
	ds_read2_b64 v[101:104], v98 offset0:30 offset1:31
	s_waitcnt lgkmcnt(0)
	v_mul_f64 v[89:90], v[103:104], v[91:92]
	v_fma_f64 v[89:90], v[101:102], v[125:126], -v[89:90]
	v_mul_f64 v[101:102], v[101:102], v[91:92]
	v_add_f64 v[85:86], v[85:86], -v[89:90]
	v_fma_f64 v[101:102], v[103:104], v[125:126], v[101:102]
	v_add_f64 v[87:88], v[87:88], -v[101:102]
	ds_read2_b64 v[101:104], v98 offset0:32 offset1:33
	s_waitcnt lgkmcnt(0)
	v_mul_f64 v[89:90], v[103:104], v[91:92]
	v_fma_f64 v[89:90], v[101:102], v[125:126], -v[89:90]
	v_mul_f64 v[101:102], v[101:102], v[91:92]
	v_add_f64 v[81:82], v[81:82], -v[89:90]
	v_fma_f64 v[101:102], v[103:104], v[125:126], v[101:102]
	v_add_f64 v[83:84], v[83:84], -v[101:102]
	ds_read2_b64 v[101:104], v98 offset0:34 offset1:35
	s_waitcnt lgkmcnt(0)
	v_mul_f64 v[89:90], v[103:104], v[91:92]
	v_fma_f64 v[89:90], v[101:102], v[125:126], -v[89:90]
	v_mul_f64 v[101:102], v[101:102], v[91:92]
	v_add_f64 v[77:78], v[77:78], -v[89:90]
	v_fma_f64 v[101:102], v[103:104], v[125:126], v[101:102]
	v_add_f64 v[79:80], v[79:80], -v[101:102]
	ds_read2_b64 v[101:104], v98 offset0:36 offset1:37
	s_waitcnt lgkmcnt(0)
	v_mul_f64 v[89:90], v[103:104], v[91:92]
	v_fma_f64 v[89:90], v[101:102], v[125:126], -v[89:90]
	v_mul_f64 v[101:102], v[101:102], v[91:92]
	v_add_f64 v[73:74], v[73:74], -v[89:90]
	v_fma_f64 v[101:102], v[103:104], v[125:126], v[101:102]
	v_add_f64 v[75:76], v[75:76], -v[101:102]
	ds_read2_b64 v[101:104], v98 offset0:38 offset1:39
	s_waitcnt lgkmcnt(0)
	v_mul_f64 v[89:90], v[103:104], v[91:92]
	v_fma_f64 v[89:90], v[101:102], v[125:126], -v[89:90]
	v_mul_f64 v[101:102], v[101:102], v[91:92]
	v_add_f64 v[69:70], v[69:70], -v[89:90]
	v_fma_f64 v[101:102], v[103:104], v[125:126], v[101:102]
	v_add_f64 v[71:72], v[71:72], -v[101:102]
	ds_read2_b64 v[101:104], v98 offset0:40 offset1:41
	s_waitcnt lgkmcnt(0)
	v_mul_f64 v[89:90], v[103:104], v[91:92]
	v_fma_f64 v[89:90], v[101:102], v[125:126], -v[89:90]
	v_mul_f64 v[101:102], v[101:102], v[91:92]
	v_add_f64 v[65:66], v[65:66], -v[89:90]
	v_fma_f64 v[101:102], v[103:104], v[125:126], v[101:102]
	v_add_f64 v[67:68], v[67:68], -v[101:102]
	ds_read2_b64 v[101:104], v98 offset0:42 offset1:43
	s_waitcnt lgkmcnt(0)
	v_mul_f64 v[89:90], v[103:104], v[91:92]
	v_fma_f64 v[89:90], v[101:102], v[125:126], -v[89:90]
	v_mul_f64 v[101:102], v[101:102], v[91:92]
	v_add_f64 v[61:62], v[61:62], -v[89:90]
	v_fma_f64 v[101:102], v[103:104], v[125:126], v[101:102]
	v_add_f64 v[63:64], v[63:64], -v[101:102]
	ds_read2_b64 v[101:104], v98 offset0:44 offset1:45
	s_waitcnt lgkmcnt(0)
	v_mul_f64 v[89:90], v[103:104], v[91:92]
	v_fma_f64 v[89:90], v[101:102], v[125:126], -v[89:90]
	v_mul_f64 v[101:102], v[101:102], v[91:92]
	v_add_f64 v[57:58], v[57:58], -v[89:90]
	v_fma_f64 v[101:102], v[103:104], v[125:126], v[101:102]
	v_add_f64 v[59:60], v[59:60], -v[101:102]
	ds_read2_b64 v[101:104], v98 offset0:46 offset1:47
	s_waitcnt lgkmcnt(0)
	v_mul_f64 v[89:90], v[103:104], v[91:92]
	v_fma_f64 v[89:90], v[101:102], v[125:126], -v[89:90]
	v_mul_f64 v[101:102], v[101:102], v[91:92]
	v_add_f64 v[53:54], v[53:54], -v[89:90]
	v_fma_f64 v[101:102], v[103:104], v[125:126], v[101:102]
	v_add_f64 v[55:56], v[55:56], -v[101:102]
	ds_read2_b64 v[101:104], v98 offset0:48 offset1:49
	s_waitcnt lgkmcnt(0)
	v_mul_f64 v[89:90], v[103:104], v[91:92]
	v_fma_f64 v[89:90], v[101:102], v[125:126], -v[89:90]
	v_mul_f64 v[101:102], v[101:102], v[91:92]
	v_add_f64 v[49:50], v[49:50], -v[89:90]
	v_fma_f64 v[101:102], v[103:104], v[125:126], v[101:102]
	v_add_f64 v[51:52], v[51:52], -v[101:102]
	ds_read2_b64 v[101:104], v98 offset0:50 offset1:51
	s_waitcnt lgkmcnt(0)
	v_mul_f64 v[89:90], v[103:104], v[91:92]
	v_fma_f64 v[89:90], v[101:102], v[125:126], -v[89:90]
	v_mul_f64 v[101:102], v[101:102], v[91:92]
	v_add_f64 v[45:46], v[45:46], -v[89:90]
	v_fma_f64 v[101:102], v[103:104], v[125:126], v[101:102]
	v_add_f64 v[47:48], v[47:48], -v[101:102]
	ds_read2_b64 v[101:104], v98 offset0:52 offset1:53
	s_waitcnt lgkmcnt(0)
	v_mul_f64 v[89:90], v[103:104], v[91:92]
	v_fma_f64 v[89:90], v[101:102], v[125:126], -v[89:90]
	v_mul_f64 v[101:102], v[101:102], v[91:92]
	v_add_f64 v[41:42], v[41:42], -v[89:90]
	v_fma_f64 v[101:102], v[103:104], v[125:126], v[101:102]
	v_add_f64 v[43:44], v[43:44], -v[101:102]
	ds_read2_b64 v[101:104], v98 offset0:54 offset1:55
	s_waitcnt lgkmcnt(0)
	v_mul_f64 v[89:90], v[103:104], v[91:92]
	v_fma_f64 v[89:90], v[101:102], v[125:126], -v[89:90]
	v_mul_f64 v[101:102], v[101:102], v[91:92]
	v_add_f64 v[37:38], v[37:38], -v[89:90]
	v_fma_f64 v[101:102], v[103:104], v[125:126], v[101:102]
	v_add_f64 v[39:40], v[39:40], -v[101:102]
	ds_read2_b64 v[101:104], v98 offset0:56 offset1:57
	s_waitcnt lgkmcnt(0)
	v_mul_f64 v[89:90], v[103:104], v[91:92]
	v_fma_f64 v[89:90], v[101:102], v[125:126], -v[89:90]
	v_mul_f64 v[101:102], v[101:102], v[91:92]
	v_add_f64 v[33:34], v[33:34], -v[89:90]
	v_fma_f64 v[101:102], v[103:104], v[125:126], v[101:102]
	v_add_f64 v[35:36], v[35:36], -v[101:102]
	ds_read2_b64 v[101:104], v98 offset0:58 offset1:59
	s_waitcnt lgkmcnt(0)
	v_mul_f64 v[89:90], v[103:104], v[91:92]
	v_fma_f64 v[89:90], v[101:102], v[125:126], -v[89:90]
	v_mul_f64 v[101:102], v[101:102], v[91:92]
	v_add_f64 v[29:30], v[29:30], -v[89:90]
	v_fma_f64 v[101:102], v[103:104], v[125:126], v[101:102]
	v_add_f64 v[31:32], v[31:32], -v[101:102]
	ds_read2_b64 v[101:104], v98 offset0:60 offset1:61
	s_waitcnt lgkmcnt(0)
	v_mul_f64 v[89:90], v[103:104], v[91:92]
	v_fma_f64 v[89:90], v[101:102], v[125:126], -v[89:90]
	v_mul_f64 v[101:102], v[101:102], v[91:92]
	v_add_f64 v[25:26], v[25:26], -v[89:90]
	v_fma_f64 v[101:102], v[103:104], v[125:126], v[101:102]
	v_add_f64 v[27:28], v[27:28], -v[101:102]
	ds_read2_b64 v[101:104], v98 offset0:62 offset1:63
	s_waitcnt lgkmcnt(0)
	v_mul_f64 v[89:90], v[103:104], v[91:92]
	v_fma_f64 v[89:90], v[101:102], v[125:126], -v[89:90]
	v_mul_f64 v[101:102], v[101:102], v[91:92]
	v_add_f64 v[21:22], v[21:22], -v[89:90]
	v_fma_f64 v[101:102], v[103:104], v[125:126], v[101:102]
	v_add_f64 v[23:24], v[23:24], -v[101:102]
	ds_read2_b64 v[101:104], v98 offset0:64 offset1:65
	s_waitcnt lgkmcnt(0)
	v_mul_f64 v[89:90], v[103:104], v[91:92]
	v_fma_f64 v[89:90], v[101:102], v[125:126], -v[89:90]
	v_mul_f64 v[101:102], v[101:102], v[91:92]
	v_add_f64 v[17:18], v[17:18], -v[89:90]
	v_fma_f64 v[101:102], v[103:104], v[125:126], v[101:102]
	v_add_f64 v[19:20], v[19:20], -v[101:102]
	ds_read2_b64 v[101:104], v98 offset0:66 offset1:67
	s_waitcnt lgkmcnt(0)
	v_mul_f64 v[89:90], v[103:104], v[91:92]
	v_fma_f64 v[89:90], v[101:102], v[125:126], -v[89:90]
	v_mul_f64 v[101:102], v[101:102], v[91:92]
	v_add_f64 v[13:14], v[13:14], -v[89:90]
	v_fma_f64 v[101:102], v[103:104], v[125:126], v[101:102]
	v_add_f64 v[15:16], v[15:16], -v[101:102]
	ds_read2_b64 v[101:104], v98 offset0:68 offset1:69
	s_waitcnt lgkmcnt(0)
	v_mul_f64 v[89:90], v[103:104], v[91:92]
	v_fma_f64 v[89:90], v[101:102], v[125:126], -v[89:90]
	v_mul_f64 v[101:102], v[101:102], v[91:92]
	v_add_f64 v[9:10], v[9:10], -v[89:90]
	v_fma_f64 v[101:102], v[103:104], v[125:126], v[101:102]
	v_add_f64 v[11:12], v[11:12], -v[101:102]
	ds_read2_b64 v[101:104], v98 offset0:70 offset1:71
	s_waitcnt lgkmcnt(0)
	v_mul_f64 v[89:90], v[103:104], v[91:92]
	v_fma_f64 v[89:90], v[101:102], v[125:126], -v[89:90]
	v_mul_f64 v[101:102], v[101:102], v[91:92]
	v_add_f64 v[5:6], v[5:6], -v[89:90]
	v_fma_f64 v[101:102], v[103:104], v[125:126], v[101:102]
	v_add_f64 v[7:8], v[7:8], -v[101:102]
	ds_read2_b64 v[101:104], v98 offset0:72 offset1:73
	s_waitcnt lgkmcnt(0)
	v_mul_f64 v[89:90], v[103:104], v[91:92]
	v_fma_f64 v[89:90], v[101:102], v[125:126], -v[89:90]
	v_mul_f64 v[101:102], v[101:102], v[91:92]
	v_add_f64 v[1:2], v[1:2], -v[89:90]
	v_fma_f64 v[101:102], v[103:104], v[125:126], v[101:102]
	v_add_f64 v[3:4], v[3:4], -v[101:102]
	ds_read2_b64 v[101:104], v98 offset0:74 offset1:75
	s_waitcnt lgkmcnt(0)
	v_mul_f64 v[89:90], v[103:104], v[91:92]
	v_fma_f64 v[89:90], v[101:102], v[125:126], -v[89:90]
	v_mul_f64 v[101:102], v[101:102], v[91:92]
	v_add_f64 v[109:110], v[109:110], -v[89:90]
	v_fma_f64 v[101:102], v[103:104], v[125:126], v[101:102]
	v_mov_b32_e32 v89, v125
	v_mov_b32_e32 v90, v126
	v_add_f64 v[111:112], v[111:112], -v[101:102]
.LBB74_314:
	s_or_b64 exec, exec, s[0:1]
	v_lshl_add_u32 v101, v100, 4, v98
	s_barrier
	ds_write2_b64 v101, v[85:86], v[87:88] offset1:1
	s_waitcnt lgkmcnt(0)
	s_barrier
	ds_read2_b64 v[121:124], v98 offset0:30 offset1:31
	s_cmp_lt_i32 s3, 17
	v_mov_b32_e32 v101, 15
	s_cbranch_scc1 .LBB74_317
; %bb.315:
	v_add_u32_e32 v102, 0x100, v98
	s_mov_b32 s0, 16
	v_mov_b32_e32 v101, 15
.LBB74_316:                             ; =>This Inner Loop Header: Depth=1
	s_waitcnt lgkmcnt(0)
	v_cmp_gt_f64_e32 vcc, 0, v[121:122]
	v_xor_b32_e32 v107, 0x80000000, v122
	ds_read2_b64 v[103:106], v102 offset1:1
	v_xor_b32_e32 v113, 0x80000000, v124
	v_add_u32_e32 v102, 16, v102
	s_waitcnt lgkmcnt(0)
	v_xor_b32_e32 v115, 0x80000000, v106
	v_cndmask_b32_e32 v108, v122, v107, vcc
	v_cmp_gt_f64_e32 vcc, 0, v[123:124]
	v_mov_b32_e32 v107, v121
	v_cndmask_b32_e32 v114, v124, v113, vcc
	v_cmp_gt_f64_e32 vcc, 0, v[103:104]
	v_mov_b32_e32 v113, v123
	v_add_f64 v[107:108], v[107:108], v[113:114]
	v_xor_b32_e32 v113, 0x80000000, v104
	v_cndmask_b32_e32 v114, v104, v113, vcc
	v_cmp_gt_f64_e32 vcc, 0, v[105:106]
	v_mov_b32_e32 v113, v103
	v_cndmask_b32_e32 v116, v106, v115, vcc
	v_mov_b32_e32 v115, v105
	v_add_f64 v[113:114], v[113:114], v[115:116]
	v_cmp_lt_f64_e32 vcc, v[107:108], v[113:114]
	v_cndmask_b32_e32 v121, v121, v103, vcc
	v_mov_b32_e32 v103, s0
	s_add_i32 s0, s0, 1
	v_cndmask_b32_e32 v122, v122, v104, vcc
	v_cndmask_b32_e32 v124, v124, v106, vcc
	;; [unrolled: 1-line block ×4, first 2 shown]
	s_cmp_lg_u32 s3, s0
	s_cbranch_scc1 .LBB74_316
.LBB74_317:
	s_waitcnt lgkmcnt(0)
	v_cmp_eq_f64_e32 vcc, 0, v[121:122]
	v_cmp_eq_f64_e64 s[0:1], 0, v[123:124]
	s_and_b64 s[0:1], vcc, s[0:1]
	s_and_saveexec_b64 s[18:19], s[0:1]
	s_xor_b64 s[0:1], exec, s[18:19]
; %bb.318:
	v_cmp_ne_u32_e32 vcc, 0, v99
	v_cndmask_b32_e32 v99, 16, v99, vcc
; %bb.319:
	s_andn2_saveexec_b64 s[0:1], s[0:1]
	s_cbranch_execz .LBB74_325
; %bb.320:
	v_cmp_ngt_f64_e64 s[18:19], |v[121:122]|, |v[123:124]|
	s_and_saveexec_b64 s[20:21], s[18:19]
	s_xor_b64 s[18:19], exec, s[20:21]
	s_cbranch_execz .LBB74_322
; %bb.321:
	v_div_scale_f64 v[102:103], s[20:21], v[123:124], v[123:124], v[121:122]
	v_rcp_f64_e32 v[104:105], v[102:103]
	v_fma_f64 v[106:107], -v[102:103], v[104:105], 1.0
	v_fma_f64 v[104:105], v[104:105], v[106:107], v[104:105]
	v_div_scale_f64 v[106:107], vcc, v[121:122], v[123:124], v[121:122]
	v_fma_f64 v[113:114], -v[102:103], v[104:105], 1.0
	v_fma_f64 v[104:105], v[104:105], v[113:114], v[104:105]
	v_mul_f64 v[113:114], v[106:107], v[104:105]
	v_fma_f64 v[102:103], -v[102:103], v[113:114], v[106:107]
	v_div_fmas_f64 v[102:103], v[102:103], v[104:105], v[113:114]
	v_div_fixup_f64 v[102:103], v[102:103], v[123:124], v[121:122]
	v_fma_f64 v[104:105], v[121:122], v[102:103], v[123:124]
	v_div_scale_f64 v[106:107], s[20:21], v[104:105], v[104:105], 1.0
	v_div_scale_f64 v[117:118], vcc, 1.0, v[104:105], 1.0
	v_rcp_f64_e32 v[113:114], v[106:107]
	v_fma_f64 v[115:116], -v[106:107], v[113:114], 1.0
	v_fma_f64 v[113:114], v[113:114], v[115:116], v[113:114]
	v_fma_f64 v[115:116], -v[106:107], v[113:114], 1.0
	v_fma_f64 v[113:114], v[113:114], v[115:116], v[113:114]
	v_mul_f64 v[115:116], v[117:118], v[113:114]
	v_fma_f64 v[106:107], -v[106:107], v[115:116], v[117:118]
	v_div_fmas_f64 v[106:107], v[106:107], v[113:114], v[115:116]
	v_div_fixup_f64 v[123:124], v[106:107], v[104:105], 1.0
	v_mul_f64 v[121:122], v[102:103], v[123:124]
	v_xor_b32_e32 v124, 0x80000000, v124
.LBB74_322:
	s_andn2_saveexec_b64 s[18:19], s[18:19]
	s_cbranch_execz .LBB74_324
; %bb.323:
	v_div_scale_f64 v[102:103], s[20:21], v[121:122], v[121:122], v[123:124]
	v_rcp_f64_e32 v[104:105], v[102:103]
	v_fma_f64 v[106:107], -v[102:103], v[104:105], 1.0
	v_fma_f64 v[104:105], v[104:105], v[106:107], v[104:105]
	v_div_scale_f64 v[106:107], vcc, v[123:124], v[121:122], v[123:124]
	v_fma_f64 v[113:114], -v[102:103], v[104:105], 1.0
	v_fma_f64 v[104:105], v[104:105], v[113:114], v[104:105]
	v_mul_f64 v[113:114], v[106:107], v[104:105]
	v_fma_f64 v[102:103], -v[102:103], v[113:114], v[106:107]
	v_div_fmas_f64 v[102:103], v[102:103], v[104:105], v[113:114]
	v_div_fixup_f64 v[102:103], v[102:103], v[121:122], v[123:124]
	v_fma_f64 v[104:105], v[123:124], v[102:103], v[121:122]
	v_div_scale_f64 v[106:107], s[20:21], v[104:105], v[104:105], 1.0
	v_div_scale_f64 v[117:118], vcc, 1.0, v[104:105], 1.0
	v_rcp_f64_e32 v[113:114], v[106:107]
	v_fma_f64 v[115:116], -v[106:107], v[113:114], 1.0
	v_fma_f64 v[113:114], v[113:114], v[115:116], v[113:114]
	v_fma_f64 v[115:116], -v[106:107], v[113:114], 1.0
	v_fma_f64 v[113:114], v[113:114], v[115:116], v[113:114]
	v_mul_f64 v[115:116], v[117:118], v[113:114]
	v_fma_f64 v[106:107], -v[106:107], v[115:116], v[117:118]
	v_div_fmas_f64 v[106:107], v[106:107], v[113:114], v[115:116]
	v_div_fixup_f64 v[121:122], v[106:107], v[104:105], 1.0
	v_mul_f64 v[123:124], v[102:103], -v[121:122]
.LBB74_324:
	s_or_b64 exec, exec, s[18:19]
.LBB74_325:
	s_or_b64 exec, exec, s[0:1]
	v_cmp_ne_u32_e32 vcc, v100, v101
	s_and_saveexec_b64 s[0:1], vcc
	s_xor_b64 s[0:1], exec, s[0:1]
	s_cbranch_execz .LBB74_331
; %bb.326:
	v_cmp_eq_u32_e32 vcc, 15, v100
	s_and_saveexec_b64 s[18:19], vcc
	s_cbranch_execz .LBB74_330
; %bb.327:
	v_cmp_ne_u32_e32 vcc, 15, v101
	s_xor_b64 s[20:21], s[6:7], -1
	s_and_b64 s[22:23], s[20:21], vcc
	s_and_saveexec_b64 s[20:21], s[22:23]
	s_cbranch_execz .LBB74_329
; %bb.328:
	v_ashrrev_i32_e32 v102, 31, v101
	v_lshlrev_b64 v[102:103], 2, v[101:102]
	v_add_co_u32_e32 v102, vcc, v119, v102
	v_addc_co_u32_e32 v103, vcc, v120, v103, vcc
	global_load_dword v0, v[102:103], off
	global_load_dword v100, v[119:120], off offset:60
	s_waitcnt vmcnt(1)
	global_store_dword v[119:120], v0, off offset:60
	s_waitcnt vmcnt(1)
	global_store_dword v[102:103], v100, off
.LBB74_329:
	s_or_b64 exec, exec, s[20:21]
	v_mov_b32_e32 v100, v101
	v_mov_b32_e32 v0, v101
.LBB74_330:
	s_or_b64 exec, exec, s[18:19]
.LBB74_331:
	s_andn2_saveexec_b64 s[0:1], s[0:1]
	s_cbranch_execz .LBB74_333
; %bb.332:
	v_mov_b32_e32 v100, 15
	ds_write2_b64 v98, v[81:82], v[83:84] offset0:32 offset1:33
	ds_write2_b64 v98, v[77:78], v[79:80] offset0:34 offset1:35
	;; [unrolled: 1-line block ×22, first 2 shown]
.LBB74_333:
	s_or_b64 exec, exec, s[0:1]
	v_cmp_lt_i32_e32 vcc, 15, v100
	s_waitcnt vmcnt(0) lgkmcnt(0)
	s_barrier
	s_and_saveexec_b64 s[0:1], vcc
	s_cbranch_execz .LBB74_335
; %bb.334:
	v_mul_f64 v[101:102], v[123:124], v[87:88]
	v_mul_f64 v[87:88], v[121:122], v[87:88]
	v_fma_f64 v[125:126], v[121:122], v[85:86], -v[101:102]
	v_fma_f64 v[87:88], v[123:124], v[85:86], v[87:88]
	ds_read2_b64 v[101:104], v98 offset0:32 offset1:33
	s_waitcnt lgkmcnt(0)
	v_mul_f64 v[85:86], v[103:104], v[87:88]
	v_fma_f64 v[85:86], v[101:102], v[125:126], -v[85:86]
	v_mul_f64 v[101:102], v[101:102], v[87:88]
	v_add_f64 v[81:82], v[81:82], -v[85:86]
	v_fma_f64 v[101:102], v[103:104], v[125:126], v[101:102]
	v_add_f64 v[83:84], v[83:84], -v[101:102]
	ds_read2_b64 v[101:104], v98 offset0:34 offset1:35
	s_waitcnt lgkmcnt(0)
	v_mul_f64 v[85:86], v[103:104], v[87:88]
	v_fma_f64 v[85:86], v[101:102], v[125:126], -v[85:86]
	v_mul_f64 v[101:102], v[101:102], v[87:88]
	v_add_f64 v[77:78], v[77:78], -v[85:86]
	v_fma_f64 v[101:102], v[103:104], v[125:126], v[101:102]
	v_add_f64 v[79:80], v[79:80], -v[101:102]
	ds_read2_b64 v[101:104], v98 offset0:36 offset1:37
	s_waitcnt lgkmcnt(0)
	v_mul_f64 v[85:86], v[103:104], v[87:88]
	v_fma_f64 v[85:86], v[101:102], v[125:126], -v[85:86]
	v_mul_f64 v[101:102], v[101:102], v[87:88]
	v_add_f64 v[73:74], v[73:74], -v[85:86]
	v_fma_f64 v[101:102], v[103:104], v[125:126], v[101:102]
	v_add_f64 v[75:76], v[75:76], -v[101:102]
	ds_read2_b64 v[101:104], v98 offset0:38 offset1:39
	s_waitcnt lgkmcnt(0)
	v_mul_f64 v[85:86], v[103:104], v[87:88]
	v_fma_f64 v[85:86], v[101:102], v[125:126], -v[85:86]
	v_mul_f64 v[101:102], v[101:102], v[87:88]
	v_add_f64 v[69:70], v[69:70], -v[85:86]
	v_fma_f64 v[101:102], v[103:104], v[125:126], v[101:102]
	v_add_f64 v[71:72], v[71:72], -v[101:102]
	ds_read2_b64 v[101:104], v98 offset0:40 offset1:41
	s_waitcnt lgkmcnt(0)
	v_mul_f64 v[85:86], v[103:104], v[87:88]
	v_fma_f64 v[85:86], v[101:102], v[125:126], -v[85:86]
	v_mul_f64 v[101:102], v[101:102], v[87:88]
	v_add_f64 v[65:66], v[65:66], -v[85:86]
	v_fma_f64 v[101:102], v[103:104], v[125:126], v[101:102]
	v_add_f64 v[67:68], v[67:68], -v[101:102]
	ds_read2_b64 v[101:104], v98 offset0:42 offset1:43
	s_waitcnt lgkmcnt(0)
	v_mul_f64 v[85:86], v[103:104], v[87:88]
	v_fma_f64 v[85:86], v[101:102], v[125:126], -v[85:86]
	v_mul_f64 v[101:102], v[101:102], v[87:88]
	v_add_f64 v[61:62], v[61:62], -v[85:86]
	v_fma_f64 v[101:102], v[103:104], v[125:126], v[101:102]
	v_add_f64 v[63:64], v[63:64], -v[101:102]
	ds_read2_b64 v[101:104], v98 offset0:44 offset1:45
	s_waitcnt lgkmcnt(0)
	v_mul_f64 v[85:86], v[103:104], v[87:88]
	v_fma_f64 v[85:86], v[101:102], v[125:126], -v[85:86]
	v_mul_f64 v[101:102], v[101:102], v[87:88]
	v_add_f64 v[57:58], v[57:58], -v[85:86]
	v_fma_f64 v[101:102], v[103:104], v[125:126], v[101:102]
	v_add_f64 v[59:60], v[59:60], -v[101:102]
	ds_read2_b64 v[101:104], v98 offset0:46 offset1:47
	s_waitcnt lgkmcnt(0)
	v_mul_f64 v[85:86], v[103:104], v[87:88]
	v_fma_f64 v[85:86], v[101:102], v[125:126], -v[85:86]
	v_mul_f64 v[101:102], v[101:102], v[87:88]
	v_add_f64 v[53:54], v[53:54], -v[85:86]
	v_fma_f64 v[101:102], v[103:104], v[125:126], v[101:102]
	v_add_f64 v[55:56], v[55:56], -v[101:102]
	ds_read2_b64 v[101:104], v98 offset0:48 offset1:49
	s_waitcnt lgkmcnt(0)
	v_mul_f64 v[85:86], v[103:104], v[87:88]
	v_fma_f64 v[85:86], v[101:102], v[125:126], -v[85:86]
	v_mul_f64 v[101:102], v[101:102], v[87:88]
	v_add_f64 v[49:50], v[49:50], -v[85:86]
	v_fma_f64 v[101:102], v[103:104], v[125:126], v[101:102]
	v_add_f64 v[51:52], v[51:52], -v[101:102]
	ds_read2_b64 v[101:104], v98 offset0:50 offset1:51
	s_waitcnt lgkmcnt(0)
	v_mul_f64 v[85:86], v[103:104], v[87:88]
	v_fma_f64 v[85:86], v[101:102], v[125:126], -v[85:86]
	v_mul_f64 v[101:102], v[101:102], v[87:88]
	v_add_f64 v[45:46], v[45:46], -v[85:86]
	v_fma_f64 v[101:102], v[103:104], v[125:126], v[101:102]
	v_add_f64 v[47:48], v[47:48], -v[101:102]
	ds_read2_b64 v[101:104], v98 offset0:52 offset1:53
	s_waitcnt lgkmcnt(0)
	v_mul_f64 v[85:86], v[103:104], v[87:88]
	v_fma_f64 v[85:86], v[101:102], v[125:126], -v[85:86]
	v_mul_f64 v[101:102], v[101:102], v[87:88]
	v_add_f64 v[41:42], v[41:42], -v[85:86]
	v_fma_f64 v[101:102], v[103:104], v[125:126], v[101:102]
	v_add_f64 v[43:44], v[43:44], -v[101:102]
	ds_read2_b64 v[101:104], v98 offset0:54 offset1:55
	s_waitcnt lgkmcnt(0)
	v_mul_f64 v[85:86], v[103:104], v[87:88]
	v_fma_f64 v[85:86], v[101:102], v[125:126], -v[85:86]
	v_mul_f64 v[101:102], v[101:102], v[87:88]
	v_add_f64 v[37:38], v[37:38], -v[85:86]
	v_fma_f64 v[101:102], v[103:104], v[125:126], v[101:102]
	v_add_f64 v[39:40], v[39:40], -v[101:102]
	ds_read2_b64 v[101:104], v98 offset0:56 offset1:57
	s_waitcnt lgkmcnt(0)
	v_mul_f64 v[85:86], v[103:104], v[87:88]
	v_fma_f64 v[85:86], v[101:102], v[125:126], -v[85:86]
	v_mul_f64 v[101:102], v[101:102], v[87:88]
	v_add_f64 v[33:34], v[33:34], -v[85:86]
	v_fma_f64 v[101:102], v[103:104], v[125:126], v[101:102]
	v_add_f64 v[35:36], v[35:36], -v[101:102]
	ds_read2_b64 v[101:104], v98 offset0:58 offset1:59
	s_waitcnt lgkmcnt(0)
	v_mul_f64 v[85:86], v[103:104], v[87:88]
	v_fma_f64 v[85:86], v[101:102], v[125:126], -v[85:86]
	v_mul_f64 v[101:102], v[101:102], v[87:88]
	v_add_f64 v[29:30], v[29:30], -v[85:86]
	v_fma_f64 v[101:102], v[103:104], v[125:126], v[101:102]
	v_add_f64 v[31:32], v[31:32], -v[101:102]
	ds_read2_b64 v[101:104], v98 offset0:60 offset1:61
	s_waitcnt lgkmcnt(0)
	v_mul_f64 v[85:86], v[103:104], v[87:88]
	v_fma_f64 v[85:86], v[101:102], v[125:126], -v[85:86]
	v_mul_f64 v[101:102], v[101:102], v[87:88]
	v_add_f64 v[25:26], v[25:26], -v[85:86]
	v_fma_f64 v[101:102], v[103:104], v[125:126], v[101:102]
	v_add_f64 v[27:28], v[27:28], -v[101:102]
	ds_read2_b64 v[101:104], v98 offset0:62 offset1:63
	s_waitcnt lgkmcnt(0)
	v_mul_f64 v[85:86], v[103:104], v[87:88]
	v_fma_f64 v[85:86], v[101:102], v[125:126], -v[85:86]
	v_mul_f64 v[101:102], v[101:102], v[87:88]
	v_add_f64 v[21:22], v[21:22], -v[85:86]
	v_fma_f64 v[101:102], v[103:104], v[125:126], v[101:102]
	v_add_f64 v[23:24], v[23:24], -v[101:102]
	ds_read2_b64 v[101:104], v98 offset0:64 offset1:65
	s_waitcnt lgkmcnt(0)
	v_mul_f64 v[85:86], v[103:104], v[87:88]
	v_fma_f64 v[85:86], v[101:102], v[125:126], -v[85:86]
	v_mul_f64 v[101:102], v[101:102], v[87:88]
	v_add_f64 v[17:18], v[17:18], -v[85:86]
	v_fma_f64 v[101:102], v[103:104], v[125:126], v[101:102]
	v_add_f64 v[19:20], v[19:20], -v[101:102]
	ds_read2_b64 v[101:104], v98 offset0:66 offset1:67
	s_waitcnt lgkmcnt(0)
	v_mul_f64 v[85:86], v[103:104], v[87:88]
	v_fma_f64 v[85:86], v[101:102], v[125:126], -v[85:86]
	v_mul_f64 v[101:102], v[101:102], v[87:88]
	v_add_f64 v[13:14], v[13:14], -v[85:86]
	v_fma_f64 v[101:102], v[103:104], v[125:126], v[101:102]
	v_add_f64 v[15:16], v[15:16], -v[101:102]
	ds_read2_b64 v[101:104], v98 offset0:68 offset1:69
	s_waitcnt lgkmcnt(0)
	v_mul_f64 v[85:86], v[103:104], v[87:88]
	v_fma_f64 v[85:86], v[101:102], v[125:126], -v[85:86]
	v_mul_f64 v[101:102], v[101:102], v[87:88]
	v_add_f64 v[9:10], v[9:10], -v[85:86]
	v_fma_f64 v[101:102], v[103:104], v[125:126], v[101:102]
	v_add_f64 v[11:12], v[11:12], -v[101:102]
	ds_read2_b64 v[101:104], v98 offset0:70 offset1:71
	s_waitcnt lgkmcnt(0)
	v_mul_f64 v[85:86], v[103:104], v[87:88]
	v_fma_f64 v[85:86], v[101:102], v[125:126], -v[85:86]
	v_mul_f64 v[101:102], v[101:102], v[87:88]
	v_add_f64 v[5:6], v[5:6], -v[85:86]
	v_fma_f64 v[101:102], v[103:104], v[125:126], v[101:102]
	v_add_f64 v[7:8], v[7:8], -v[101:102]
	ds_read2_b64 v[101:104], v98 offset0:72 offset1:73
	s_waitcnt lgkmcnt(0)
	v_mul_f64 v[85:86], v[103:104], v[87:88]
	v_fma_f64 v[85:86], v[101:102], v[125:126], -v[85:86]
	v_mul_f64 v[101:102], v[101:102], v[87:88]
	v_add_f64 v[1:2], v[1:2], -v[85:86]
	v_fma_f64 v[101:102], v[103:104], v[125:126], v[101:102]
	v_add_f64 v[3:4], v[3:4], -v[101:102]
	ds_read2_b64 v[101:104], v98 offset0:74 offset1:75
	s_waitcnt lgkmcnt(0)
	v_mul_f64 v[85:86], v[103:104], v[87:88]
	v_fma_f64 v[85:86], v[101:102], v[125:126], -v[85:86]
	v_mul_f64 v[101:102], v[101:102], v[87:88]
	v_add_f64 v[109:110], v[109:110], -v[85:86]
	v_fma_f64 v[101:102], v[103:104], v[125:126], v[101:102]
	v_mov_b32_e32 v85, v125
	v_mov_b32_e32 v86, v126
	v_add_f64 v[111:112], v[111:112], -v[101:102]
.LBB74_335:
	s_or_b64 exec, exec, s[0:1]
	v_lshl_add_u32 v101, v100, 4, v98
	s_barrier
	ds_write2_b64 v101, v[81:82], v[83:84] offset1:1
	s_waitcnt lgkmcnt(0)
	s_barrier
	ds_read2_b64 v[121:124], v98 offset0:32 offset1:33
	s_cmp_lt_i32 s3, 18
	v_mov_b32_e32 v101, 16
	s_cbranch_scc1 .LBB74_338
; %bb.336:
	v_add_u32_e32 v102, 0x110, v98
	s_mov_b32 s0, 17
	v_mov_b32_e32 v101, 16
.LBB74_337:                             ; =>This Inner Loop Header: Depth=1
	s_waitcnt lgkmcnt(0)
	v_cmp_gt_f64_e32 vcc, 0, v[121:122]
	v_xor_b32_e32 v107, 0x80000000, v122
	ds_read2_b64 v[103:106], v102 offset1:1
	v_xor_b32_e32 v113, 0x80000000, v124
	v_add_u32_e32 v102, 16, v102
	s_waitcnt lgkmcnt(0)
	v_xor_b32_e32 v115, 0x80000000, v106
	v_cndmask_b32_e32 v108, v122, v107, vcc
	v_cmp_gt_f64_e32 vcc, 0, v[123:124]
	v_mov_b32_e32 v107, v121
	v_cndmask_b32_e32 v114, v124, v113, vcc
	v_cmp_gt_f64_e32 vcc, 0, v[103:104]
	v_mov_b32_e32 v113, v123
	v_add_f64 v[107:108], v[107:108], v[113:114]
	v_xor_b32_e32 v113, 0x80000000, v104
	v_cndmask_b32_e32 v114, v104, v113, vcc
	v_cmp_gt_f64_e32 vcc, 0, v[105:106]
	v_mov_b32_e32 v113, v103
	v_cndmask_b32_e32 v116, v106, v115, vcc
	v_mov_b32_e32 v115, v105
	v_add_f64 v[113:114], v[113:114], v[115:116]
	v_cmp_lt_f64_e32 vcc, v[107:108], v[113:114]
	v_cndmask_b32_e32 v121, v121, v103, vcc
	v_mov_b32_e32 v103, s0
	s_add_i32 s0, s0, 1
	v_cndmask_b32_e32 v122, v122, v104, vcc
	v_cndmask_b32_e32 v124, v124, v106, vcc
	;; [unrolled: 1-line block ×4, first 2 shown]
	s_cmp_lg_u32 s3, s0
	s_cbranch_scc1 .LBB74_337
.LBB74_338:
	s_waitcnt lgkmcnt(0)
	v_cmp_eq_f64_e32 vcc, 0, v[121:122]
	v_cmp_eq_f64_e64 s[0:1], 0, v[123:124]
	s_and_b64 s[0:1], vcc, s[0:1]
	s_and_saveexec_b64 s[18:19], s[0:1]
	s_xor_b64 s[0:1], exec, s[18:19]
; %bb.339:
	v_cmp_ne_u32_e32 vcc, 0, v99
	v_cndmask_b32_e32 v99, 17, v99, vcc
; %bb.340:
	s_andn2_saveexec_b64 s[0:1], s[0:1]
	s_cbranch_execz .LBB74_346
; %bb.341:
	v_cmp_ngt_f64_e64 s[18:19], |v[121:122]|, |v[123:124]|
	s_and_saveexec_b64 s[20:21], s[18:19]
	s_xor_b64 s[18:19], exec, s[20:21]
	s_cbranch_execz .LBB74_343
; %bb.342:
	v_div_scale_f64 v[102:103], s[20:21], v[123:124], v[123:124], v[121:122]
	v_rcp_f64_e32 v[104:105], v[102:103]
	v_fma_f64 v[106:107], -v[102:103], v[104:105], 1.0
	v_fma_f64 v[104:105], v[104:105], v[106:107], v[104:105]
	v_div_scale_f64 v[106:107], vcc, v[121:122], v[123:124], v[121:122]
	v_fma_f64 v[113:114], -v[102:103], v[104:105], 1.0
	v_fma_f64 v[104:105], v[104:105], v[113:114], v[104:105]
	v_mul_f64 v[113:114], v[106:107], v[104:105]
	v_fma_f64 v[102:103], -v[102:103], v[113:114], v[106:107]
	v_div_fmas_f64 v[102:103], v[102:103], v[104:105], v[113:114]
	v_div_fixup_f64 v[102:103], v[102:103], v[123:124], v[121:122]
	v_fma_f64 v[104:105], v[121:122], v[102:103], v[123:124]
	v_div_scale_f64 v[106:107], s[20:21], v[104:105], v[104:105], 1.0
	v_div_scale_f64 v[117:118], vcc, 1.0, v[104:105], 1.0
	v_rcp_f64_e32 v[113:114], v[106:107]
	v_fma_f64 v[115:116], -v[106:107], v[113:114], 1.0
	v_fma_f64 v[113:114], v[113:114], v[115:116], v[113:114]
	v_fma_f64 v[115:116], -v[106:107], v[113:114], 1.0
	v_fma_f64 v[113:114], v[113:114], v[115:116], v[113:114]
	v_mul_f64 v[115:116], v[117:118], v[113:114]
	v_fma_f64 v[106:107], -v[106:107], v[115:116], v[117:118]
	v_div_fmas_f64 v[106:107], v[106:107], v[113:114], v[115:116]
	v_div_fixup_f64 v[123:124], v[106:107], v[104:105], 1.0
	v_mul_f64 v[121:122], v[102:103], v[123:124]
	v_xor_b32_e32 v124, 0x80000000, v124
.LBB74_343:
	s_andn2_saveexec_b64 s[18:19], s[18:19]
	s_cbranch_execz .LBB74_345
; %bb.344:
	v_div_scale_f64 v[102:103], s[20:21], v[121:122], v[121:122], v[123:124]
	v_rcp_f64_e32 v[104:105], v[102:103]
	v_fma_f64 v[106:107], -v[102:103], v[104:105], 1.0
	v_fma_f64 v[104:105], v[104:105], v[106:107], v[104:105]
	v_div_scale_f64 v[106:107], vcc, v[123:124], v[121:122], v[123:124]
	v_fma_f64 v[113:114], -v[102:103], v[104:105], 1.0
	v_fma_f64 v[104:105], v[104:105], v[113:114], v[104:105]
	v_mul_f64 v[113:114], v[106:107], v[104:105]
	v_fma_f64 v[102:103], -v[102:103], v[113:114], v[106:107]
	v_div_fmas_f64 v[102:103], v[102:103], v[104:105], v[113:114]
	v_div_fixup_f64 v[102:103], v[102:103], v[121:122], v[123:124]
	v_fma_f64 v[104:105], v[123:124], v[102:103], v[121:122]
	v_div_scale_f64 v[106:107], s[20:21], v[104:105], v[104:105], 1.0
	v_div_scale_f64 v[117:118], vcc, 1.0, v[104:105], 1.0
	v_rcp_f64_e32 v[113:114], v[106:107]
	v_fma_f64 v[115:116], -v[106:107], v[113:114], 1.0
	v_fma_f64 v[113:114], v[113:114], v[115:116], v[113:114]
	v_fma_f64 v[115:116], -v[106:107], v[113:114], 1.0
	v_fma_f64 v[113:114], v[113:114], v[115:116], v[113:114]
	v_mul_f64 v[115:116], v[117:118], v[113:114]
	v_fma_f64 v[106:107], -v[106:107], v[115:116], v[117:118]
	v_div_fmas_f64 v[106:107], v[106:107], v[113:114], v[115:116]
	v_div_fixup_f64 v[121:122], v[106:107], v[104:105], 1.0
	v_mul_f64 v[123:124], v[102:103], -v[121:122]
.LBB74_345:
	s_or_b64 exec, exec, s[18:19]
.LBB74_346:
	s_or_b64 exec, exec, s[0:1]
	v_cmp_ne_u32_e32 vcc, v100, v101
	s_and_saveexec_b64 s[0:1], vcc
	s_xor_b64 s[0:1], exec, s[0:1]
	s_cbranch_execz .LBB74_352
; %bb.347:
	v_cmp_eq_u32_e32 vcc, 16, v100
	s_and_saveexec_b64 s[18:19], vcc
	s_cbranch_execz .LBB74_351
; %bb.348:
	v_cmp_ne_u32_e32 vcc, 16, v101
	s_xor_b64 s[20:21], s[6:7], -1
	s_and_b64 s[22:23], s[20:21], vcc
	s_and_saveexec_b64 s[20:21], s[22:23]
	s_cbranch_execz .LBB74_350
; %bb.349:
	v_ashrrev_i32_e32 v102, 31, v101
	v_lshlrev_b64 v[102:103], 2, v[101:102]
	v_add_co_u32_e32 v102, vcc, v119, v102
	v_addc_co_u32_e32 v103, vcc, v120, v103, vcc
	global_load_dword v0, v[102:103], off
	global_load_dword v100, v[119:120], off offset:64
	s_waitcnt vmcnt(1)
	global_store_dword v[119:120], v0, off offset:64
	s_waitcnt vmcnt(1)
	global_store_dword v[102:103], v100, off
.LBB74_350:
	s_or_b64 exec, exec, s[20:21]
	v_mov_b32_e32 v100, v101
	v_mov_b32_e32 v0, v101
.LBB74_351:
	s_or_b64 exec, exec, s[18:19]
.LBB74_352:
	s_andn2_saveexec_b64 s[0:1], s[0:1]
	s_cbranch_execz .LBB74_354
; %bb.353:
	v_mov_b32_e32 v100, 16
	ds_write2_b64 v98, v[77:78], v[79:80] offset0:34 offset1:35
	ds_write2_b64 v98, v[73:74], v[75:76] offset0:36 offset1:37
	;; [unrolled: 1-line block ×21, first 2 shown]
.LBB74_354:
	s_or_b64 exec, exec, s[0:1]
	v_cmp_lt_i32_e32 vcc, 16, v100
	s_waitcnt vmcnt(0) lgkmcnt(0)
	s_barrier
	s_and_saveexec_b64 s[0:1], vcc
	s_cbranch_execz .LBB74_356
; %bb.355:
	v_mul_f64 v[101:102], v[123:124], v[83:84]
	v_mul_f64 v[83:84], v[121:122], v[83:84]
	v_fma_f64 v[125:126], v[121:122], v[81:82], -v[101:102]
	v_fma_f64 v[83:84], v[123:124], v[81:82], v[83:84]
	ds_read2_b64 v[101:104], v98 offset0:34 offset1:35
	s_waitcnt lgkmcnt(0)
	v_mul_f64 v[81:82], v[103:104], v[83:84]
	v_fma_f64 v[81:82], v[101:102], v[125:126], -v[81:82]
	v_mul_f64 v[101:102], v[101:102], v[83:84]
	v_add_f64 v[77:78], v[77:78], -v[81:82]
	v_fma_f64 v[101:102], v[103:104], v[125:126], v[101:102]
	v_add_f64 v[79:80], v[79:80], -v[101:102]
	ds_read2_b64 v[101:104], v98 offset0:36 offset1:37
	s_waitcnt lgkmcnt(0)
	v_mul_f64 v[81:82], v[103:104], v[83:84]
	v_fma_f64 v[81:82], v[101:102], v[125:126], -v[81:82]
	v_mul_f64 v[101:102], v[101:102], v[83:84]
	v_add_f64 v[73:74], v[73:74], -v[81:82]
	v_fma_f64 v[101:102], v[103:104], v[125:126], v[101:102]
	v_add_f64 v[75:76], v[75:76], -v[101:102]
	;; [unrolled: 8-line block ×20, first 2 shown]
	ds_read2_b64 v[101:104], v98 offset0:74 offset1:75
	s_waitcnt lgkmcnt(0)
	v_mul_f64 v[81:82], v[103:104], v[83:84]
	v_fma_f64 v[81:82], v[101:102], v[125:126], -v[81:82]
	v_mul_f64 v[101:102], v[101:102], v[83:84]
	v_add_f64 v[109:110], v[109:110], -v[81:82]
	v_fma_f64 v[101:102], v[103:104], v[125:126], v[101:102]
	v_mov_b32_e32 v81, v125
	v_mov_b32_e32 v82, v126
	v_add_f64 v[111:112], v[111:112], -v[101:102]
.LBB74_356:
	s_or_b64 exec, exec, s[0:1]
	v_lshl_add_u32 v101, v100, 4, v98
	s_barrier
	ds_write2_b64 v101, v[77:78], v[79:80] offset1:1
	s_waitcnt lgkmcnt(0)
	s_barrier
	ds_read2_b64 v[121:124], v98 offset0:34 offset1:35
	s_cmp_lt_i32 s3, 19
	v_mov_b32_e32 v101, 17
	s_cbranch_scc1 .LBB74_359
; %bb.357:
	v_add_u32_e32 v102, 0x120, v98
	s_mov_b32 s0, 18
	v_mov_b32_e32 v101, 17
.LBB74_358:                             ; =>This Inner Loop Header: Depth=1
	s_waitcnt lgkmcnt(0)
	v_cmp_gt_f64_e32 vcc, 0, v[121:122]
	v_xor_b32_e32 v107, 0x80000000, v122
	ds_read2_b64 v[103:106], v102 offset1:1
	v_xor_b32_e32 v113, 0x80000000, v124
	v_add_u32_e32 v102, 16, v102
	s_waitcnt lgkmcnt(0)
	v_xor_b32_e32 v115, 0x80000000, v106
	v_cndmask_b32_e32 v108, v122, v107, vcc
	v_cmp_gt_f64_e32 vcc, 0, v[123:124]
	v_mov_b32_e32 v107, v121
	v_cndmask_b32_e32 v114, v124, v113, vcc
	v_cmp_gt_f64_e32 vcc, 0, v[103:104]
	v_mov_b32_e32 v113, v123
	v_add_f64 v[107:108], v[107:108], v[113:114]
	v_xor_b32_e32 v113, 0x80000000, v104
	v_cndmask_b32_e32 v114, v104, v113, vcc
	v_cmp_gt_f64_e32 vcc, 0, v[105:106]
	v_mov_b32_e32 v113, v103
	v_cndmask_b32_e32 v116, v106, v115, vcc
	v_mov_b32_e32 v115, v105
	v_add_f64 v[113:114], v[113:114], v[115:116]
	v_cmp_lt_f64_e32 vcc, v[107:108], v[113:114]
	v_cndmask_b32_e32 v121, v121, v103, vcc
	v_mov_b32_e32 v103, s0
	s_add_i32 s0, s0, 1
	v_cndmask_b32_e32 v122, v122, v104, vcc
	v_cndmask_b32_e32 v124, v124, v106, vcc
	;; [unrolled: 1-line block ×4, first 2 shown]
	s_cmp_lg_u32 s3, s0
	s_cbranch_scc1 .LBB74_358
.LBB74_359:
	s_waitcnt lgkmcnt(0)
	v_cmp_eq_f64_e32 vcc, 0, v[121:122]
	v_cmp_eq_f64_e64 s[0:1], 0, v[123:124]
	s_and_b64 s[0:1], vcc, s[0:1]
	s_and_saveexec_b64 s[18:19], s[0:1]
	s_xor_b64 s[0:1], exec, s[18:19]
; %bb.360:
	v_cmp_ne_u32_e32 vcc, 0, v99
	v_cndmask_b32_e32 v99, 18, v99, vcc
; %bb.361:
	s_andn2_saveexec_b64 s[0:1], s[0:1]
	s_cbranch_execz .LBB74_367
; %bb.362:
	v_cmp_ngt_f64_e64 s[18:19], |v[121:122]|, |v[123:124]|
	s_and_saveexec_b64 s[20:21], s[18:19]
	s_xor_b64 s[18:19], exec, s[20:21]
	s_cbranch_execz .LBB74_364
; %bb.363:
	v_div_scale_f64 v[102:103], s[20:21], v[123:124], v[123:124], v[121:122]
	v_rcp_f64_e32 v[104:105], v[102:103]
	v_fma_f64 v[106:107], -v[102:103], v[104:105], 1.0
	v_fma_f64 v[104:105], v[104:105], v[106:107], v[104:105]
	v_div_scale_f64 v[106:107], vcc, v[121:122], v[123:124], v[121:122]
	v_fma_f64 v[113:114], -v[102:103], v[104:105], 1.0
	v_fma_f64 v[104:105], v[104:105], v[113:114], v[104:105]
	v_mul_f64 v[113:114], v[106:107], v[104:105]
	v_fma_f64 v[102:103], -v[102:103], v[113:114], v[106:107]
	v_div_fmas_f64 v[102:103], v[102:103], v[104:105], v[113:114]
	v_div_fixup_f64 v[102:103], v[102:103], v[123:124], v[121:122]
	v_fma_f64 v[104:105], v[121:122], v[102:103], v[123:124]
	v_div_scale_f64 v[106:107], s[20:21], v[104:105], v[104:105], 1.0
	v_div_scale_f64 v[117:118], vcc, 1.0, v[104:105], 1.0
	v_rcp_f64_e32 v[113:114], v[106:107]
	v_fma_f64 v[115:116], -v[106:107], v[113:114], 1.0
	v_fma_f64 v[113:114], v[113:114], v[115:116], v[113:114]
	v_fma_f64 v[115:116], -v[106:107], v[113:114], 1.0
	v_fma_f64 v[113:114], v[113:114], v[115:116], v[113:114]
	v_mul_f64 v[115:116], v[117:118], v[113:114]
	v_fma_f64 v[106:107], -v[106:107], v[115:116], v[117:118]
	v_div_fmas_f64 v[106:107], v[106:107], v[113:114], v[115:116]
	v_div_fixup_f64 v[123:124], v[106:107], v[104:105], 1.0
	v_mul_f64 v[121:122], v[102:103], v[123:124]
	v_xor_b32_e32 v124, 0x80000000, v124
.LBB74_364:
	s_andn2_saveexec_b64 s[18:19], s[18:19]
	s_cbranch_execz .LBB74_366
; %bb.365:
	v_div_scale_f64 v[102:103], s[20:21], v[121:122], v[121:122], v[123:124]
	v_rcp_f64_e32 v[104:105], v[102:103]
	v_fma_f64 v[106:107], -v[102:103], v[104:105], 1.0
	v_fma_f64 v[104:105], v[104:105], v[106:107], v[104:105]
	v_div_scale_f64 v[106:107], vcc, v[123:124], v[121:122], v[123:124]
	v_fma_f64 v[113:114], -v[102:103], v[104:105], 1.0
	v_fma_f64 v[104:105], v[104:105], v[113:114], v[104:105]
	v_mul_f64 v[113:114], v[106:107], v[104:105]
	v_fma_f64 v[102:103], -v[102:103], v[113:114], v[106:107]
	v_div_fmas_f64 v[102:103], v[102:103], v[104:105], v[113:114]
	v_div_fixup_f64 v[102:103], v[102:103], v[121:122], v[123:124]
	v_fma_f64 v[104:105], v[123:124], v[102:103], v[121:122]
	v_div_scale_f64 v[106:107], s[20:21], v[104:105], v[104:105], 1.0
	v_div_scale_f64 v[117:118], vcc, 1.0, v[104:105], 1.0
	v_rcp_f64_e32 v[113:114], v[106:107]
	v_fma_f64 v[115:116], -v[106:107], v[113:114], 1.0
	v_fma_f64 v[113:114], v[113:114], v[115:116], v[113:114]
	v_fma_f64 v[115:116], -v[106:107], v[113:114], 1.0
	v_fma_f64 v[113:114], v[113:114], v[115:116], v[113:114]
	v_mul_f64 v[115:116], v[117:118], v[113:114]
	v_fma_f64 v[106:107], -v[106:107], v[115:116], v[117:118]
	v_div_fmas_f64 v[106:107], v[106:107], v[113:114], v[115:116]
	v_div_fixup_f64 v[121:122], v[106:107], v[104:105], 1.0
	v_mul_f64 v[123:124], v[102:103], -v[121:122]
.LBB74_366:
	s_or_b64 exec, exec, s[18:19]
.LBB74_367:
	s_or_b64 exec, exec, s[0:1]
	v_cmp_ne_u32_e32 vcc, v100, v101
	s_and_saveexec_b64 s[0:1], vcc
	s_xor_b64 s[0:1], exec, s[0:1]
	s_cbranch_execz .LBB74_373
; %bb.368:
	v_cmp_eq_u32_e32 vcc, 17, v100
	s_and_saveexec_b64 s[18:19], vcc
	s_cbranch_execz .LBB74_372
; %bb.369:
	v_cmp_ne_u32_e32 vcc, 17, v101
	s_xor_b64 s[20:21], s[6:7], -1
	s_and_b64 s[22:23], s[20:21], vcc
	s_and_saveexec_b64 s[20:21], s[22:23]
	s_cbranch_execz .LBB74_371
; %bb.370:
	v_ashrrev_i32_e32 v102, 31, v101
	v_lshlrev_b64 v[102:103], 2, v[101:102]
	v_add_co_u32_e32 v102, vcc, v119, v102
	v_addc_co_u32_e32 v103, vcc, v120, v103, vcc
	global_load_dword v0, v[102:103], off
	global_load_dword v100, v[119:120], off offset:68
	s_waitcnt vmcnt(1)
	global_store_dword v[119:120], v0, off offset:68
	s_waitcnt vmcnt(1)
	global_store_dword v[102:103], v100, off
.LBB74_371:
	s_or_b64 exec, exec, s[20:21]
	v_mov_b32_e32 v100, v101
	v_mov_b32_e32 v0, v101
.LBB74_372:
	s_or_b64 exec, exec, s[18:19]
.LBB74_373:
	s_andn2_saveexec_b64 s[0:1], s[0:1]
	s_cbranch_execz .LBB74_375
; %bb.374:
	v_mov_b32_e32 v100, 17
	ds_write2_b64 v98, v[73:74], v[75:76] offset0:36 offset1:37
	ds_write2_b64 v98, v[69:70], v[71:72] offset0:38 offset1:39
	;; [unrolled: 1-line block ×20, first 2 shown]
.LBB74_375:
	s_or_b64 exec, exec, s[0:1]
	v_cmp_lt_i32_e32 vcc, 17, v100
	s_waitcnt vmcnt(0) lgkmcnt(0)
	s_barrier
	s_and_saveexec_b64 s[0:1], vcc
	s_cbranch_execz .LBB74_377
; %bb.376:
	v_mul_f64 v[101:102], v[123:124], v[79:80]
	v_mul_f64 v[79:80], v[121:122], v[79:80]
	v_fma_f64 v[125:126], v[121:122], v[77:78], -v[101:102]
	v_fma_f64 v[79:80], v[123:124], v[77:78], v[79:80]
	ds_read2_b64 v[101:104], v98 offset0:36 offset1:37
	s_waitcnt lgkmcnt(0)
	v_mul_f64 v[77:78], v[103:104], v[79:80]
	v_fma_f64 v[77:78], v[101:102], v[125:126], -v[77:78]
	v_mul_f64 v[101:102], v[101:102], v[79:80]
	v_add_f64 v[73:74], v[73:74], -v[77:78]
	v_fma_f64 v[101:102], v[103:104], v[125:126], v[101:102]
	v_add_f64 v[75:76], v[75:76], -v[101:102]
	ds_read2_b64 v[101:104], v98 offset0:38 offset1:39
	s_waitcnt lgkmcnt(0)
	v_mul_f64 v[77:78], v[103:104], v[79:80]
	v_fma_f64 v[77:78], v[101:102], v[125:126], -v[77:78]
	v_mul_f64 v[101:102], v[101:102], v[79:80]
	v_add_f64 v[69:70], v[69:70], -v[77:78]
	v_fma_f64 v[101:102], v[103:104], v[125:126], v[101:102]
	v_add_f64 v[71:72], v[71:72], -v[101:102]
	;; [unrolled: 8-line block ×19, first 2 shown]
	ds_read2_b64 v[101:104], v98 offset0:74 offset1:75
	s_waitcnt lgkmcnt(0)
	v_mul_f64 v[77:78], v[103:104], v[79:80]
	v_fma_f64 v[77:78], v[101:102], v[125:126], -v[77:78]
	v_mul_f64 v[101:102], v[101:102], v[79:80]
	v_add_f64 v[109:110], v[109:110], -v[77:78]
	v_fma_f64 v[101:102], v[103:104], v[125:126], v[101:102]
	v_mov_b32_e32 v77, v125
	v_mov_b32_e32 v78, v126
	v_add_f64 v[111:112], v[111:112], -v[101:102]
.LBB74_377:
	s_or_b64 exec, exec, s[0:1]
	v_lshl_add_u32 v101, v100, 4, v98
	s_barrier
	ds_write2_b64 v101, v[73:74], v[75:76] offset1:1
	s_waitcnt lgkmcnt(0)
	s_barrier
	ds_read2_b64 v[121:124], v98 offset0:36 offset1:37
	s_cmp_lt_i32 s3, 20
	v_mov_b32_e32 v101, 18
	s_cbranch_scc1 .LBB74_380
; %bb.378:
	v_add_u32_e32 v102, 0x130, v98
	s_mov_b32 s0, 19
	v_mov_b32_e32 v101, 18
.LBB74_379:                             ; =>This Inner Loop Header: Depth=1
	s_waitcnt lgkmcnt(0)
	v_cmp_gt_f64_e32 vcc, 0, v[121:122]
	v_xor_b32_e32 v107, 0x80000000, v122
	ds_read2_b64 v[103:106], v102 offset1:1
	v_xor_b32_e32 v113, 0x80000000, v124
	v_add_u32_e32 v102, 16, v102
	s_waitcnt lgkmcnt(0)
	v_xor_b32_e32 v115, 0x80000000, v106
	v_cndmask_b32_e32 v108, v122, v107, vcc
	v_cmp_gt_f64_e32 vcc, 0, v[123:124]
	v_mov_b32_e32 v107, v121
	v_cndmask_b32_e32 v114, v124, v113, vcc
	v_cmp_gt_f64_e32 vcc, 0, v[103:104]
	v_mov_b32_e32 v113, v123
	v_add_f64 v[107:108], v[107:108], v[113:114]
	v_xor_b32_e32 v113, 0x80000000, v104
	v_cndmask_b32_e32 v114, v104, v113, vcc
	v_cmp_gt_f64_e32 vcc, 0, v[105:106]
	v_mov_b32_e32 v113, v103
	v_cndmask_b32_e32 v116, v106, v115, vcc
	v_mov_b32_e32 v115, v105
	v_add_f64 v[113:114], v[113:114], v[115:116]
	v_cmp_lt_f64_e32 vcc, v[107:108], v[113:114]
	v_cndmask_b32_e32 v121, v121, v103, vcc
	v_mov_b32_e32 v103, s0
	s_add_i32 s0, s0, 1
	v_cndmask_b32_e32 v122, v122, v104, vcc
	v_cndmask_b32_e32 v124, v124, v106, vcc
	;; [unrolled: 1-line block ×4, first 2 shown]
	s_cmp_lg_u32 s3, s0
	s_cbranch_scc1 .LBB74_379
.LBB74_380:
	s_waitcnt lgkmcnt(0)
	v_cmp_eq_f64_e32 vcc, 0, v[121:122]
	v_cmp_eq_f64_e64 s[0:1], 0, v[123:124]
	s_and_b64 s[0:1], vcc, s[0:1]
	s_and_saveexec_b64 s[18:19], s[0:1]
	s_xor_b64 s[0:1], exec, s[18:19]
; %bb.381:
	v_cmp_ne_u32_e32 vcc, 0, v99
	v_cndmask_b32_e32 v99, 19, v99, vcc
; %bb.382:
	s_andn2_saveexec_b64 s[0:1], s[0:1]
	s_cbranch_execz .LBB74_388
; %bb.383:
	v_cmp_ngt_f64_e64 s[18:19], |v[121:122]|, |v[123:124]|
	s_and_saveexec_b64 s[20:21], s[18:19]
	s_xor_b64 s[18:19], exec, s[20:21]
	s_cbranch_execz .LBB74_385
; %bb.384:
	v_div_scale_f64 v[102:103], s[20:21], v[123:124], v[123:124], v[121:122]
	v_rcp_f64_e32 v[104:105], v[102:103]
	v_fma_f64 v[106:107], -v[102:103], v[104:105], 1.0
	v_fma_f64 v[104:105], v[104:105], v[106:107], v[104:105]
	v_div_scale_f64 v[106:107], vcc, v[121:122], v[123:124], v[121:122]
	v_fma_f64 v[113:114], -v[102:103], v[104:105], 1.0
	v_fma_f64 v[104:105], v[104:105], v[113:114], v[104:105]
	v_mul_f64 v[113:114], v[106:107], v[104:105]
	v_fma_f64 v[102:103], -v[102:103], v[113:114], v[106:107]
	v_div_fmas_f64 v[102:103], v[102:103], v[104:105], v[113:114]
	v_div_fixup_f64 v[102:103], v[102:103], v[123:124], v[121:122]
	v_fma_f64 v[104:105], v[121:122], v[102:103], v[123:124]
	v_div_scale_f64 v[106:107], s[20:21], v[104:105], v[104:105], 1.0
	v_div_scale_f64 v[117:118], vcc, 1.0, v[104:105], 1.0
	v_rcp_f64_e32 v[113:114], v[106:107]
	v_fma_f64 v[115:116], -v[106:107], v[113:114], 1.0
	v_fma_f64 v[113:114], v[113:114], v[115:116], v[113:114]
	v_fma_f64 v[115:116], -v[106:107], v[113:114], 1.0
	v_fma_f64 v[113:114], v[113:114], v[115:116], v[113:114]
	v_mul_f64 v[115:116], v[117:118], v[113:114]
	v_fma_f64 v[106:107], -v[106:107], v[115:116], v[117:118]
	v_div_fmas_f64 v[106:107], v[106:107], v[113:114], v[115:116]
	v_div_fixup_f64 v[123:124], v[106:107], v[104:105], 1.0
	v_mul_f64 v[121:122], v[102:103], v[123:124]
	v_xor_b32_e32 v124, 0x80000000, v124
.LBB74_385:
	s_andn2_saveexec_b64 s[18:19], s[18:19]
	s_cbranch_execz .LBB74_387
; %bb.386:
	v_div_scale_f64 v[102:103], s[20:21], v[121:122], v[121:122], v[123:124]
	v_rcp_f64_e32 v[104:105], v[102:103]
	v_fma_f64 v[106:107], -v[102:103], v[104:105], 1.0
	v_fma_f64 v[104:105], v[104:105], v[106:107], v[104:105]
	v_div_scale_f64 v[106:107], vcc, v[123:124], v[121:122], v[123:124]
	v_fma_f64 v[113:114], -v[102:103], v[104:105], 1.0
	v_fma_f64 v[104:105], v[104:105], v[113:114], v[104:105]
	v_mul_f64 v[113:114], v[106:107], v[104:105]
	v_fma_f64 v[102:103], -v[102:103], v[113:114], v[106:107]
	v_div_fmas_f64 v[102:103], v[102:103], v[104:105], v[113:114]
	v_div_fixup_f64 v[102:103], v[102:103], v[121:122], v[123:124]
	v_fma_f64 v[104:105], v[123:124], v[102:103], v[121:122]
	v_div_scale_f64 v[106:107], s[20:21], v[104:105], v[104:105], 1.0
	v_div_scale_f64 v[117:118], vcc, 1.0, v[104:105], 1.0
	v_rcp_f64_e32 v[113:114], v[106:107]
	v_fma_f64 v[115:116], -v[106:107], v[113:114], 1.0
	v_fma_f64 v[113:114], v[113:114], v[115:116], v[113:114]
	v_fma_f64 v[115:116], -v[106:107], v[113:114], 1.0
	v_fma_f64 v[113:114], v[113:114], v[115:116], v[113:114]
	v_mul_f64 v[115:116], v[117:118], v[113:114]
	v_fma_f64 v[106:107], -v[106:107], v[115:116], v[117:118]
	v_div_fmas_f64 v[106:107], v[106:107], v[113:114], v[115:116]
	v_div_fixup_f64 v[121:122], v[106:107], v[104:105], 1.0
	v_mul_f64 v[123:124], v[102:103], -v[121:122]
.LBB74_387:
	s_or_b64 exec, exec, s[18:19]
.LBB74_388:
	s_or_b64 exec, exec, s[0:1]
	v_cmp_ne_u32_e32 vcc, v100, v101
	s_and_saveexec_b64 s[0:1], vcc
	s_xor_b64 s[0:1], exec, s[0:1]
	s_cbranch_execz .LBB74_394
; %bb.389:
	v_cmp_eq_u32_e32 vcc, 18, v100
	s_and_saveexec_b64 s[18:19], vcc
	s_cbranch_execz .LBB74_393
; %bb.390:
	v_cmp_ne_u32_e32 vcc, 18, v101
	s_xor_b64 s[20:21], s[6:7], -1
	s_and_b64 s[22:23], s[20:21], vcc
	s_and_saveexec_b64 s[20:21], s[22:23]
	s_cbranch_execz .LBB74_392
; %bb.391:
	v_ashrrev_i32_e32 v102, 31, v101
	v_lshlrev_b64 v[102:103], 2, v[101:102]
	v_add_co_u32_e32 v102, vcc, v119, v102
	v_addc_co_u32_e32 v103, vcc, v120, v103, vcc
	global_load_dword v0, v[102:103], off
	global_load_dword v100, v[119:120], off offset:72
	s_waitcnt vmcnt(1)
	global_store_dword v[119:120], v0, off offset:72
	s_waitcnt vmcnt(1)
	global_store_dword v[102:103], v100, off
.LBB74_392:
	s_or_b64 exec, exec, s[20:21]
	v_mov_b32_e32 v100, v101
	v_mov_b32_e32 v0, v101
.LBB74_393:
	s_or_b64 exec, exec, s[18:19]
.LBB74_394:
	s_andn2_saveexec_b64 s[0:1], s[0:1]
	s_cbranch_execz .LBB74_396
; %bb.395:
	v_mov_b32_e32 v100, 18
	ds_write2_b64 v98, v[69:70], v[71:72] offset0:38 offset1:39
	ds_write2_b64 v98, v[65:66], v[67:68] offset0:40 offset1:41
	ds_write2_b64 v98, v[61:62], v[63:64] offset0:42 offset1:43
	ds_write2_b64 v98, v[57:58], v[59:60] offset0:44 offset1:45
	ds_write2_b64 v98, v[53:54], v[55:56] offset0:46 offset1:47
	ds_write2_b64 v98, v[49:50], v[51:52] offset0:48 offset1:49
	ds_write2_b64 v98, v[45:46], v[47:48] offset0:50 offset1:51
	ds_write2_b64 v98, v[41:42], v[43:44] offset0:52 offset1:53
	ds_write2_b64 v98, v[37:38], v[39:40] offset0:54 offset1:55
	ds_write2_b64 v98, v[33:34], v[35:36] offset0:56 offset1:57
	ds_write2_b64 v98, v[29:30], v[31:32] offset0:58 offset1:59
	ds_write2_b64 v98, v[25:26], v[27:28] offset0:60 offset1:61
	ds_write2_b64 v98, v[21:22], v[23:24] offset0:62 offset1:63
	ds_write2_b64 v98, v[17:18], v[19:20] offset0:64 offset1:65
	ds_write2_b64 v98, v[13:14], v[15:16] offset0:66 offset1:67
	ds_write2_b64 v98, v[9:10], v[11:12] offset0:68 offset1:69
	ds_write2_b64 v98, v[5:6], v[7:8] offset0:70 offset1:71
	ds_write2_b64 v98, v[1:2], v[3:4] offset0:72 offset1:73
	ds_write2_b64 v98, v[109:110], v[111:112] offset0:74 offset1:75
.LBB74_396:
	s_or_b64 exec, exec, s[0:1]
	v_cmp_lt_i32_e32 vcc, 18, v100
	s_waitcnt vmcnt(0) lgkmcnt(0)
	s_barrier
	s_and_saveexec_b64 s[0:1], vcc
	s_cbranch_execz .LBB74_398
; %bb.397:
	v_mul_f64 v[101:102], v[123:124], v[75:76]
	v_mul_f64 v[75:76], v[121:122], v[75:76]
	v_fma_f64 v[125:126], v[121:122], v[73:74], -v[101:102]
	v_fma_f64 v[75:76], v[123:124], v[73:74], v[75:76]
	ds_read2_b64 v[101:104], v98 offset0:38 offset1:39
	s_waitcnt lgkmcnt(0)
	v_mul_f64 v[73:74], v[103:104], v[75:76]
	v_fma_f64 v[73:74], v[101:102], v[125:126], -v[73:74]
	v_mul_f64 v[101:102], v[101:102], v[75:76]
	v_add_f64 v[69:70], v[69:70], -v[73:74]
	v_fma_f64 v[101:102], v[103:104], v[125:126], v[101:102]
	v_add_f64 v[71:72], v[71:72], -v[101:102]
	ds_read2_b64 v[101:104], v98 offset0:40 offset1:41
	s_waitcnt lgkmcnt(0)
	v_mul_f64 v[73:74], v[103:104], v[75:76]
	v_fma_f64 v[73:74], v[101:102], v[125:126], -v[73:74]
	v_mul_f64 v[101:102], v[101:102], v[75:76]
	v_add_f64 v[65:66], v[65:66], -v[73:74]
	v_fma_f64 v[101:102], v[103:104], v[125:126], v[101:102]
	v_add_f64 v[67:68], v[67:68], -v[101:102]
	;; [unrolled: 8-line block ×18, first 2 shown]
	ds_read2_b64 v[101:104], v98 offset0:74 offset1:75
	s_waitcnt lgkmcnt(0)
	v_mul_f64 v[73:74], v[103:104], v[75:76]
	v_fma_f64 v[73:74], v[101:102], v[125:126], -v[73:74]
	v_mul_f64 v[101:102], v[101:102], v[75:76]
	v_add_f64 v[109:110], v[109:110], -v[73:74]
	v_fma_f64 v[101:102], v[103:104], v[125:126], v[101:102]
	v_mov_b32_e32 v73, v125
	v_mov_b32_e32 v74, v126
	v_add_f64 v[111:112], v[111:112], -v[101:102]
.LBB74_398:
	s_or_b64 exec, exec, s[0:1]
	v_lshl_add_u32 v101, v100, 4, v98
	s_barrier
	ds_write2_b64 v101, v[69:70], v[71:72] offset1:1
	s_waitcnt lgkmcnt(0)
	s_barrier
	ds_read2_b64 v[121:124], v98 offset0:38 offset1:39
	s_cmp_lt_i32 s3, 21
	v_mov_b32_e32 v101, 19
	s_cbranch_scc1 .LBB74_401
; %bb.399:
	v_add_u32_e32 v102, 0x140, v98
	s_mov_b32 s0, 20
	v_mov_b32_e32 v101, 19
.LBB74_400:                             ; =>This Inner Loop Header: Depth=1
	s_waitcnt lgkmcnt(0)
	v_cmp_gt_f64_e32 vcc, 0, v[121:122]
	v_xor_b32_e32 v107, 0x80000000, v122
	ds_read2_b64 v[103:106], v102 offset1:1
	v_xor_b32_e32 v113, 0x80000000, v124
	v_add_u32_e32 v102, 16, v102
	s_waitcnt lgkmcnt(0)
	v_xor_b32_e32 v115, 0x80000000, v106
	v_cndmask_b32_e32 v108, v122, v107, vcc
	v_cmp_gt_f64_e32 vcc, 0, v[123:124]
	v_mov_b32_e32 v107, v121
	v_cndmask_b32_e32 v114, v124, v113, vcc
	v_cmp_gt_f64_e32 vcc, 0, v[103:104]
	v_mov_b32_e32 v113, v123
	v_add_f64 v[107:108], v[107:108], v[113:114]
	v_xor_b32_e32 v113, 0x80000000, v104
	v_cndmask_b32_e32 v114, v104, v113, vcc
	v_cmp_gt_f64_e32 vcc, 0, v[105:106]
	v_mov_b32_e32 v113, v103
	v_cndmask_b32_e32 v116, v106, v115, vcc
	v_mov_b32_e32 v115, v105
	v_add_f64 v[113:114], v[113:114], v[115:116]
	v_cmp_lt_f64_e32 vcc, v[107:108], v[113:114]
	v_cndmask_b32_e32 v121, v121, v103, vcc
	v_mov_b32_e32 v103, s0
	s_add_i32 s0, s0, 1
	v_cndmask_b32_e32 v122, v122, v104, vcc
	v_cndmask_b32_e32 v124, v124, v106, vcc
	;; [unrolled: 1-line block ×4, first 2 shown]
	s_cmp_lg_u32 s3, s0
	s_cbranch_scc1 .LBB74_400
.LBB74_401:
	s_waitcnt lgkmcnt(0)
	v_cmp_eq_f64_e32 vcc, 0, v[121:122]
	v_cmp_eq_f64_e64 s[0:1], 0, v[123:124]
	s_and_b64 s[0:1], vcc, s[0:1]
	s_and_saveexec_b64 s[18:19], s[0:1]
	s_xor_b64 s[0:1], exec, s[18:19]
; %bb.402:
	v_cmp_ne_u32_e32 vcc, 0, v99
	v_cndmask_b32_e32 v99, 20, v99, vcc
; %bb.403:
	s_andn2_saveexec_b64 s[0:1], s[0:1]
	s_cbranch_execz .LBB74_409
; %bb.404:
	v_cmp_ngt_f64_e64 s[18:19], |v[121:122]|, |v[123:124]|
	s_and_saveexec_b64 s[20:21], s[18:19]
	s_xor_b64 s[18:19], exec, s[20:21]
	s_cbranch_execz .LBB74_406
; %bb.405:
	v_div_scale_f64 v[102:103], s[20:21], v[123:124], v[123:124], v[121:122]
	v_rcp_f64_e32 v[104:105], v[102:103]
	v_fma_f64 v[106:107], -v[102:103], v[104:105], 1.0
	v_fma_f64 v[104:105], v[104:105], v[106:107], v[104:105]
	v_div_scale_f64 v[106:107], vcc, v[121:122], v[123:124], v[121:122]
	v_fma_f64 v[113:114], -v[102:103], v[104:105], 1.0
	v_fma_f64 v[104:105], v[104:105], v[113:114], v[104:105]
	v_mul_f64 v[113:114], v[106:107], v[104:105]
	v_fma_f64 v[102:103], -v[102:103], v[113:114], v[106:107]
	v_div_fmas_f64 v[102:103], v[102:103], v[104:105], v[113:114]
	v_div_fixup_f64 v[102:103], v[102:103], v[123:124], v[121:122]
	v_fma_f64 v[104:105], v[121:122], v[102:103], v[123:124]
	v_div_scale_f64 v[106:107], s[20:21], v[104:105], v[104:105], 1.0
	v_div_scale_f64 v[117:118], vcc, 1.0, v[104:105], 1.0
	v_rcp_f64_e32 v[113:114], v[106:107]
	v_fma_f64 v[115:116], -v[106:107], v[113:114], 1.0
	v_fma_f64 v[113:114], v[113:114], v[115:116], v[113:114]
	v_fma_f64 v[115:116], -v[106:107], v[113:114], 1.0
	v_fma_f64 v[113:114], v[113:114], v[115:116], v[113:114]
	v_mul_f64 v[115:116], v[117:118], v[113:114]
	v_fma_f64 v[106:107], -v[106:107], v[115:116], v[117:118]
	v_div_fmas_f64 v[106:107], v[106:107], v[113:114], v[115:116]
	v_div_fixup_f64 v[123:124], v[106:107], v[104:105], 1.0
	v_mul_f64 v[121:122], v[102:103], v[123:124]
	v_xor_b32_e32 v124, 0x80000000, v124
.LBB74_406:
	s_andn2_saveexec_b64 s[18:19], s[18:19]
	s_cbranch_execz .LBB74_408
; %bb.407:
	v_div_scale_f64 v[102:103], s[20:21], v[121:122], v[121:122], v[123:124]
	v_rcp_f64_e32 v[104:105], v[102:103]
	v_fma_f64 v[106:107], -v[102:103], v[104:105], 1.0
	v_fma_f64 v[104:105], v[104:105], v[106:107], v[104:105]
	v_div_scale_f64 v[106:107], vcc, v[123:124], v[121:122], v[123:124]
	v_fma_f64 v[113:114], -v[102:103], v[104:105], 1.0
	v_fma_f64 v[104:105], v[104:105], v[113:114], v[104:105]
	v_mul_f64 v[113:114], v[106:107], v[104:105]
	v_fma_f64 v[102:103], -v[102:103], v[113:114], v[106:107]
	v_div_fmas_f64 v[102:103], v[102:103], v[104:105], v[113:114]
	v_div_fixup_f64 v[102:103], v[102:103], v[121:122], v[123:124]
	v_fma_f64 v[104:105], v[123:124], v[102:103], v[121:122]
	v_div_scale_f64 v[106:107], s[20:21], v[104:105], v[104:105], 1.0
	v_div_scale_f64 v[117:118], vcc, 1.0, v[104:105], 1.0
	v_rcp_f64_e32 v[113:114], v[106:107]
	v_fma_f64 v[115:116], -v[106:107], v[113:114], 1.0
	v_fma_f64 v[113:114], v[113:114], v[115:116], v[113:114]
	v_fma_f64 v[115:116], -v[106:107], v[113:114], 1.0
	v_fma_f64 v[113:114], v[113:114], v[115:116], v[113:114]
	v_mul_f64 v[115:116], v[117:118], v[113:114]
	v_fma_f64 v[106:107], -v[106:107], v[115:116], v[117:118]
	v_div_fmas_f64 v[106:107], v[106:107], v[113:114], v[115:116]
	v_div_fixup_f64 v[121:122], v[106:107], v[104:105], 1.0
	v_mul_f64 v[123:124], v[102:103], -v[121:122]
.LBB74_408:
	s_or_b64 exec, exec, s[18:19]
.LBB74_409:
	s_or_b64 exec, exec, s[0:1]
	v_cmp_ne_u32_e32 vcc, v100, v101
	s_and_saveexec_b64 s[0:1], vcc
	s_xor_b64 s[0:1], exec, s[0:1]
	s_cbranch_execz .LBB74_415
; %bb.410:
	v_cmp_eq_u32_e32 vcc, 19, v100
	s_and_saveexec_b64 s[18:19], vcc
	s_cbranch_execz .LBB74_414
; %bb.411:
	v_cmp_ne_u32_e32 vcc, 19, v101
	s_xor_b64 s[20:21], s[6:7], -1
	s_and_b64 s[22:23], s[20:21], vcc
	s_and_saveexec_b64 s[20:21], s[22:23]
	s_cbranch_execz .LBB74_413
; %bb.412:
	v_ashrrev_i32_e32 v102, 31, v101
	v_lshlrev_b64 v[102:103], 2, v[101:102]
	v_add_co_u32_e32 v102, vcc, v119, v102
	v_addc_co_u32_e32 v103, vcc, v120, v103, vcc
	global_load_dword v0, v[102:103], off
	global_load_dword v100, v[119:120], off offset:76
	s_waitcnt vmcnt(1)
	global_store_dword v[119:120], v0, off offset:76
	s_waitcnt vmcnt(1)
	global_store_dword v[102:103], v100, off
.LBB74_413:
	s_or_b64 exec, exec, s[20:21]
	v_mov_b32_e32 v100, v101
	v_mov_b32_e32 v0, v101
.LBB74_414:
	s_or_b64 exec, exec, s[18:19]
.LBB74_415:
	s_andn2_saveexec_b64 s[0:1], s[0:1]
	s_cbranch_execz .LBB74_417
; %bb.416:
	v_mov_b32_e32 v100, 19
	ds_write2_b64 v98, v[65:66], v[67:68] offset0:40 offset1:41
	ds_write2_b64 v98, v[61:62], v[63:64] offset0:42 offset1:43
	;; [unrolled: 1-line block ×18, first 2 shown]
.LBB74_417:
	s_or_b64 exec, exec, s[0:1]
	v_cmp_lt_i32_e32 vcc, 19, v100
	s_waitcnt vmcnt(0) lgkmcnt(0)
	s_barrier
	s_and_saveexec_b64 s[0:1], vcc
	s_cbranch_execz .LBB74_419
; %bb.418:
	v_mul_f64 v[101:102], v[123:124], v[71:72]
	v_mul_f64 v[71:72], v[121:122], v[71:72]
	v_fma_f64 v[125:126], v[121:122], v[69:70], -v[101:102]
	v_fma_f64 v[71:72], v[123:124], v[69:70], v[71:72]
	ds_read2_b64 v[101:104], v98 offset0:40 offset1:41
	s_waitcnt lgkmcnt(0)
	v_mul_f64 v[69:70], v[103:104], v[71:72]
	v_fma_f64 v[69:70], v[101:102], v[125:126], -v[69:70]
	v_mul_f64 v[101:102], v[101:102], v[71:72]
	v_add_f64 v[65:66], v[65:66], -v[69:70]
	v_fma_f64 v[101:102], v[103:104], v[125:126], v[101:102]
	v_add_f64 v[67:68], v[67:68], -v[101:102]
	ds_read2_b64 v[101:104], v98 offset0:42 offset1:43
	s_waitcnt lgkmcnt(0)
	v_mul_f64 v[69:70], v[103:104], v[71:72]
	v_fma_f64 v[69:70], v[101:102], v[125:126], -v[69:70]
	v_mul_f64 v[101:102], v[101:102], v[71:72]
	v_add_f64 v[61:62], v[61:62], -v[69:70]
	v_fma_f64 v[101:102], v[103:104], v[125:126], v[101:102]
	v_add_f64 v[63:64], v[63:64], -v[101:102]
	;; [unrolled: 8-line block ×17, first 2 shown]
	ds_read2_b64 v[101:104], v98 offset0:74 offset1:75
	s_waitcnt lgkmcnt(0)
	v_mul_f64 v[69:70], v[103:104], v[71:72]
	v_fma_f64 v[69:70], v[101:102], v[125:126], -v[69:70]
	v_mul_f64 v[101:102], v[101:102], v[71:72]
	v_add_f64 v[109:110], v[109:110], -v[69:70]
	v_fma_f64 v[101:102], v[103:104], v[125:126], v[101:102]
	v_mov_b32_e32 v69, v125
	v_mov_b32_e32 v70, v126
	v_add_f64 v[111:112], v[111:112], -v[101:102]
.LBB74_419:
	s_or_b64 exec, exec, s[0:1]
	v_lshl_add_u32 v101, v100, 4, v98
	s_barrier
	ds_write2_b64 v101, v[65:66], v[67:68] offset1:1
	s_waitcnt lgkmcnt(0)
	s_barrier
	ds_read2_b64 v[121:124], v98 offset0:40 offset1:41
	s_cmp_lt_i32 s3, 22
	v_mov_b32_e32 v101, 20
	s_cbranch_scc1 .LBB74_422
; %bb.420:
	v_add_u32_e32 v102, 0x150, v98
	s_mov_b32 s0, 21
	v_mov_b32_e32 v101, 20
.LBB74_421:                             ; =>This Inner Loop Header: Depth=1
	s_waitcnt lgkmcnt(0)
	v_cmp_gt_f64_e32 vcc, 0, v[121:122]
	v_xor_b32_e32 v107, 0x80000000, v122
	ds_read2_b64 v[103:106], v102 offset1:1
	v_xor_b32_e32 v113, 0x80000000, v124
	v_add_u32_e32 v102, 16, v102
	s_waitcnt lgkmcnt(0)
	v_xor_b32_e32 v115, 0x80000000, v106
	v_cndmask_b32_e32 v108, v122, v107, vcc
	v_cmp_gt_f64_e32 vcc, 0, v[123:124]
	v_mov_b32_e32 v107, v121
	v_cndmask_b32_e32 v114, v124, v113, vcc
	v_cmp_gt_f64_e32 vcc, 0, v[103:104]
	v_mov_b32_e32 v113, v123
	v_add_f64 v[107:108], v[107:108], v[113:114]
	v_xor_b32_e32 v113, 0x80000000, v104
	v_cndmask_b32_e32 v114, v104, v113, vcc
	v_cmp_gt_f64_e32 vcc, 0, v[105:106]
	v_mov_b32_e32 v113, v103
	v_cndmask_b32_e32 v116, v106, v115, vcc
	v_mov_b32_e32 v115, v105
	v_add_f64 v[113:114], v[113:114], v[115:116]
	v_cmp_lt_f64_e32 vcc, v[107:108], v[113:114]
	v_cndmask_b32_e32 v121, v121, v103, vcc
	v_mov_b32_e32 v103, s0
	s_add_i32 s0, s0, 1
	v_cndmask_b32_e32 v122, v122, v104, vcc
	v_cndmask_b32_e32 v124, v124, v106, vcc
	;; [unrolled: 1-line block ×4, first 2 shown]
	s_cmp_lg_u32 s3, s0
	s_cbranch_scc1 .LBB74_421
.LBB74_422:
	s_waitcnt lgkmcnt(0)
	v_cmp_eq_f64_e32 vcc, 0, v[121:122]
	v_cmp_eq_f64_e64 s[0:1], 0, v[123:124]
	s_and_b64 s[0:1], vcc, s[0:1]
	s_and_saveexec_b64 s[18:19], s[0:1]
	s_xor_b64 s[0:1], exec, s[18:19]
; %bb.423:
	v_cmp_ne_u32_e32 vcc, 0, v99
	v_cndmask_b32_e32 v99, 21, v99, vcc
; %bb.424:
	s_andn2_saveexec_b64 s[0:1], s[0:1]
	s_cbranch_execz .LBB74_430
; %bb.425:
	v_cmp_ngt_f64_e64 s[18:19], |v[121:122]|, |v[123:124]|
	s_and_saveexec_b64 s[20:21], s[18:19]
	s_xor_b64 s[18:19], exec, s[20:21]
	s_cbranch_execz .LBB74_427
; %bb.426:
	v_div_scale_f64 v[102:103], s[20:21], v[123:124], v[123:124], v[121:122]
	v_rcp_f64_e32 v[104:105], v[102:103]
	v_fma_f64 v[106:107], -v[102:103], v[104:105], 1.0
	v_fma_f64 v[104:105], v[104:105], v[106:107], v[104:105]
	v_div_scale_f64 v[106:107], vcc, v[121:122], v[123:124], v[121:122]
	v_fma_f64 v[113:114], -v[102:103], v[104:105], 1.0
	v_fma_f64 v[104:105], v[104:105], v[113:114], v[104:105]
	v_mul_f64 v[113:114], v[106:107], v[104:105]
	v_fma_f64 v[102:103], -v[102:103], v[113:114], v[106:107]
	v_div_fmas_f64 v[102:103], v[102:103], v[104:105], v[113:114]
	v_div_fixup_f64 v[102:103], v[102:103], v[123:124], v[121:122]
	v_fma_f64 v[104:105], v[121:122], v[102:103], v[123:124]
	v_div_scale_f64 v[106:107], s[20:21], v[104:105], v[104:105], 1.0
	v_div_scale_f64 v[117:118], vcc, 1.0, v[104:105], 1.0
	v_rcp_f64_e32 v[113:114], v[106:107]
	v_fma_f64 v[115:116], -v[106:107], v[113:114], 1.0
	v_fma_f64 v[113:114], v[113:114], v[115:116], v[113:114]
	v_fma_f64 v[115:116], -v[106:107], v[113:114], 1.0
	v_fma_f64 v[113:114], v[113:114], v[115:116], v[113:114]
	v_mul_f64 v[115:116], v[117:118], v[113:114]
	v_fma_f64 v[106:107], -v[106:107], v[115:116], v[117:118]
	v_div_fmas_f64 v[106:107], v[106:107], v[113:114], v[115:116]
	v_div_fixup_f64 v[123:124], v[106:107], v[104:105], 1.0
	v_mul_f64 v[121:122], v[102:103], v[123:124]
	v_xor_b32_e32 v124, 0x80000000, v124
.LBB74_427:
	s_andn2_saveexec_b64 s[18:19], s[18:19]
	s_cbranch_execz .LBB74_429
; %bb.428:
	v_div_scale_f64 v[102:103], s[20:21], v[121:122], v[121:122], v[123:124]
	v_rcp_f64_e32 v[104:105], v[102:103]
	v_fma_f64 v[106:107], -v[102:103], v[104:105], 1.0
	v_fma_f64 v[104:105], v[104:105], v[106:107], v[104:105]
	v_div_scale_f64 v[106:107], vcc, v[123:124], v[121:122], v[123:124]
	v_fma_f64 v[113:114], -v[102:103], v[104:105], 1.0
	v_fma_f64 v[104:105], v[104:105], v[113:114], v[104:105]
	v_mul_f64 v[113:114], v[106:107], v[104:105]
	v_fma_f64 v[102:103], -v[102:103], v[113:114], v[106:107]
	v_div_fmas_f64 v[102:103], v[102:103], v[104:105], v[113:114]
	v_div_fixup_f64 v[102:103], v[102:103], v[121:122], v[123:124]
	v_fma_f64 v[104:105], v[123:124], v[102:103], v[121:122]
	v_div_scale_f64 v[106:107], s[20:21], v[104:105], v[104:105], 1.0
	v_div_scale_f64 v[117:118], vcc, 1.0, v[104:105], 1.0
	v_rcp_f64_e32 v[113:114], v[106:107]
	v_fma_f64 v[115:116], -v[106:107], v[113:114], 1.0
	v_fma_f64 v[113:114], v[113:114], v[115:116], v[113:114]
	v_fma_f64 v[115:116], -v[106:107], v[113:114], 1.0
	v_fma_f64 v[113:114], v[113:114], v[115:116], v[113:114]
	v_mul_f64 v[115:116], v[117:118], v[113:114]
	v_fma_f64 v[106:107], -v[106:107], v[115:116], v[117:118]
	v_div_fmas_f64 v[106:107], v[106:107], v[113:114], v[115:116]
	v_div_fixup_f64 v[121:122], v[106:107], v[104:105], 1.0
	v_mul_f64 v[123:124], v[102:103], -v[121:122]
.LBB74_429:
	s_or_b64 exec, exec, s[18:19]
.LBB74_430:
	s_or_b64 exec, exec, s[0:1]
	v_cmp_ne_u32_e32 vcc, v100, v101
	s_and_saveexec_b64 s[0:1], vcc
	s_xor_b64 s[0:1], exec, s[0:1]
	s_cbranch_execz .LBB74_436
; %bb.431:
	v_cmp_eq_u32_e32 vcc, 20, v100
	s_and_saveexec_b64 s[18:19], vcc
	s_cbranch_execz .LBB74_435
; %bb.432:
	v_cmp_ne_u32_e32 vcc, 20, v101
	s_xor_b64 s[20:21], s[6:7], -1
	s_and_b64 s[22:23], s[20:21], vcc
	s_and_saveexec_b64 s[20:21], s[22:23]
	s_cbranch_execz .LBB74_434
; %bb.433:
	v_ashrrev_i32_e32 v102, 31, v101
	v_lshlrev_b64 v[102:103], 2, v[101:102]
	v_add_co_u32_e32 v102, vcc, v119, v102
	v_addc_co_u32_e32 v103, vcc, v120, v103, vcc
	global_load_dword v0, v[102:103], off
	global_load_dword v100, v[119:120], off offset:80
	s_waitcnt vmcnt(1)
	global_store_dword v[119:120], v0, off offset:80
	s_waitcnt vmcnt(1)
	global_store_dword v[102:103], v100, off
.LBB74_434:
	s_or_b64 exec, exec, s[20:21]
	v_mov_b32_e32 v100, v101
	v_mov_b32_e32 v0, v101
.LBB74_435:
	s_or_b64 exec, exec, s[18:19]
.LBB74_436:
	s_andn2_saveexec_b64 s[0:1], s[0:1]
	s_cbranch_execz .LBB74_438
; %bb.437:
	v_mov_b32_e32 v100, 20
	ds_write2_b64 v98, v[61:62], v[63:64] offset0:42 offset1:43
	ds_write2_b64 v98, v[57:58], v[59:60] offset0:44 offset1:45
	ds_write2_b64 v98, v[53:54], v[55:56] offset0:46 offset1:47
	ds_write2_b64 v98, v[49:50], v[51:52] offset0:48 offset1:49
	ds_write2_b64 v98, v[45:46], v[47:48] offset0:50 offset1:51
	ds_write2_b64 v98, v[41:42], v[43:44] offset0:52 offset1:53
	ds_write2_b64 v98, v[37:38], v[39:40] offset0:54 offset1:55
	ds_write2_b64 v98, v[33:34], v[35:36] offset0:56 offset1:57
	ds_write2_b64 v98, v[29:30], v[31:32] offset0:58 offset1:59
	ds_write2_b64 v98, v[25:26], v[27:28] offset0:60 offset1:61
	ds_write2_b64 v98, v[21:22], v[23:24] offset0:62 offset1:63
	ds_write2_b64 v98, v[17:18], v[19:20] offset0:64 offset1:65
	ds_write2_b64 v98, v[13:14], v[15:16] offset0:66 offset1:67
	ds_write2_b64 v98, v[9:10], v[11:12] offset0:68 offset1:69
	ds_write2_b64 v98, v[5:6], v[7:8] offset0:70 offset1:71
	ds_write2_b64 v98, v[1:2], v[3:4] offset0:72 offset1:73
	ds_write2_b64 v98, v[109:110], v[111:112] offset0:74 offset1:75
.LBB74_438:
	s_or_b64 exec, exec, s[0:1]
	v_cmp_lt_i32_e32 vcc, 20, v100
	s_waitcnt vmcnt(0) lgkmcnt(0)
	s_barrier
	s_and_saveexec_b64 s[0:1], vcc
	s_cbranch_execz .LBB74_440
; %bb.439:
	v_mul_f64 v[101:102], v[123:124], v[67:68]
	v_mul_f64 v[67:68], v[121:122], v[67:68]
	v_fma_f64 v[113:114], v[121:122], v[65:66], -v[101:102]
	v_fma_f64 v[67:68], v[123:124], v[65:66], v[67:68]
	ds_read2_b64 v[101:104], v98 offset0:42 offset1:43
	s_waitcnt lgkmcnt(0)
	v_mul_f64 v[65:66], v[103:104], v[67:68]
	v_fma_f64 v[65:66], v[101:102], v[113:114], -v[65:66]
	v_mul_f64 v[101:102], v[101:102], v[67:68]
	v_add_f64 v[61:62], v[61:62], -v[65:66]
	v_fma_f64 v[101:102], v[103:104], v[113:114], v[101:102]
	v_add_f64 v[63:64], v[63:64], -v[101:102]
	ds_read2_b64 v[101:104], v98 offset0:44 offset1:45
	s_waitcnt lgkmcnt(0)
	v_mul_f64 v[65:66], v[103:104], v[67:68]
	v_fma_f64 v[65:66], v[101:102], v[113:114], -v[65:66]
	v_mul_f64 v[101:102], v[101:102], v[67:68]
	v_add_f64 v[57:58], v[57:58], -v[65:66]
	v_fma_f64 v[101:102], v[103:104], v[113:114], v[101:102]
	v_add_f64 v[59:60], v[59:60], -v[101:102]
	;; [unrolled: 8-line block ×16, first 2 shown]
	ds_read2_b64 v[101:104], v98 offset0:74 offset1:75
	s_waitcnt lgkmcnt(0)
	v_mul_f64 v[65:66], v[103:104], v[67:68]
	v_fma_f64 v[65:66], v[101:102], v[113:114], -v[65:66]
	v_mul_f64 v[101:102], v[101:102], v[67:68]
	v_add_f64 v[109:110], v[109:110], -v[65:66]
	v_fma_f64 v[101:102], v[103:104], v[113:114], v[101:102]
	v_mov_b32_e32 v65, v113
	v_mov_b32_e32 v66, v114
	v_add_f64 v[111:112], v[111:112], -v[101:102]
.LBB74_440:
	s_or_b64 exec, exec, s[0:1]
	v_lshl_add_u32 v101, v100, 4, v98
	s_barrier
	ds_write2_b64 v101, v[61:62], v[63:64] offset1:1
	s_waitcnt lgkmcnt(0)
	s_barrier
	ds_read2_b64 v[121:124], v98 offset0:42 offset1:43
	s_cmp_lt_i32 s3, 23
	v_mov_b32_e32 v101, 21
	s_cbranch_scc1 .LBB74_443
; %bb.441:
	v_add_u32_e32 v102, 0x160, v98
	s_mov_b32 s0, 22
	v_mov_b32_e32 v101, 21
.LBB74_442:                             ; =>This Inner Loop Header: Depth=1
	s_waitcnt lgkmcnt(0)
	v_cmp_gt_f64_e32 vcc, 0, v[121:122]
	v_xor_b32_e32 v107, 0x80000000, v122
	ds_read2_b64 v[103:106], v102 offset1:1
	v_xor_b32_e32 v113, 0x80000000, v124
	v_add_u32_e32 v102, 16, v102
	s_waitcnt lgkmcnt(0)
	v_xor_b32_e32 v115, 0x80000000, v106
	v_cndmask_b32_e32 v108, v122, v107, vcc
	v_cmp_gt_f64_e32 vcc, 0, v[123:124]
	v_mov_b32_e32 v107, v121
	v_cndmask_b32_e32 v114, v124, v113, vcc
	v_cmp_gt_f64_e32 vcc, 0, v[103:104]
	v_mov_b32_e32 v113, v123
	v_add_f64 v[107:108], v[107:108], v[113:114]
	v_xor_b32_e32 v113, 0x80000000, v104
	v_cndmask_b32_e32 v114, v104, v113, vcc
	v_cmp_gt_f64_e32 vcc, 0, v[105:106]
	v_mov_b32_e32 v113, v103
	v_cndmask_b32_e32 v116, v106, v115, vcc
	v_mov_b32_e32 v115, v105
	v_add_f64 v[113:114], v[113:114], v[115:116]
	v_cmp_lt_f64_e32 vcc, v[107:108], v[113:114]
	v_cndmask_b32_e32 v121, v121, v103, vcc
	v_mov_b32_e32 v103, s0
	s_add_i32 s0, s0, 1
	v_cndmask_b32_e32 v122, v122, v104, vcc
	v_cndmask_b32_e32 v124, v124, v106, vcc
	;; [unrolled: 1-line block ×4, first 2 shown]
	s_cmp_lg_u32 s3, s0
	s_cbranch_scc1 .LBB74_442
.LBB74_443:
	s_waitcnt lgkmcnt(0)
	v_cmp_eq_f64_e32 vcc, 0, v[121:122]
	v_cmp_eq_f64_e64 s[0:1], 0, v[123:124]
	s_and_b64 s[0:1], vcc, s[0:1]
	s_and_saveexec_b64 s[18:19], s[0:1]
	s_xor_b64 s[0:1], exec, s[18:19]
; %bb.444:
	v_cmp_ne_u32_e32 vcc, 0, v99
	v_cndmask_b32_e32 v99, 22, v99, vcc
; %bb.445:
	s_andn2_saveexec_b64 s[0:1], s[0:1]
	s_cbranch_execz .LBB74_451
; %bb.446:
	v_cmp_ngt_f64_e64 s[18:19], |v[121:122]|, |v[123:124]|
	s_and_saveexec_b64 s[20:21], s[18:19]
	s_xor_b64 s[18:19], exec, s[20:21]
	s_cbranch_execz .LBB74_448
; %bb.447:
	v_div_scale_f64 v[102:103], s[20:21], v[123:124], v[123:124], v[121:122]
	v_rcp_f64_e32 v[104:105], v[102:103]
	v_fma_f64 v[106:107], -v[102:103], v[104:105], 1.0
	v_fma_f64 v[104:105], v[104:105], v[106:107], v[104:105]
	v_div_scale_f64 v[106:107], vcc, v[121:122], v[123:124], v[121:122]
	v_fma_f64 v[113:114], -v[102:103], v[104:105], 1.0
	v_fma_f64 v[104:105], v[104:105], v[113:114], v[104:105]
	v_mul_f64 v[113:114], v[106:107], v[104:105]
	v_fma_f64 v[102:103], -v[102:103], v[113:114], v[106:107]
	v_div_fmas_f64 v[102:103], v[102:103], v[104:105], v[113:114]
	v_div_fixup_f64 v[102:103], v[102:103], v[123:124], v[121:122]
	v_fma_f64 v[104:105], v[121:122], v[102:103], v[123:124]
	v_div_scale_f64 v[106:107], s[20:21], v[104:105], v[104:105], 1.0
	v_div_scale_f64 v[117:118], vcc, 1.0, v[104:105], 1.0
	v_rcp_f64_e32 v[113:114], v[106:107]
	v_fma_f64 v[115:116], -v[106:107], v[113:114], 1.0
	v_fma_f64 v[113:114], v[113:114], v[115:116], v[113:114]
	v_fma_f64 v[115:116], -v[106:107], v[113:114], 1.0
	v_fma_f64 v[113:114], v[113:114], v[115:116], v[113:114]
	v_mul_f64 v[115:116], v[117:118], v[113:114]
	v_fma_f64 v[106:107], -v[106:107], v[115:116], v[117:118]
	v_div_fmas_f64 v[106:107], v[106:107], v[113:114], v[115:116]
	v_div_fixup_f64 v[123:124], v[106:107], v[104:105], 1.0
	v_mul_f64 v[121:122], v[102:103], v[123:124]
	v_xor_b32_e32 v124, 0x80000000, v124
.LBB74_448:
	s_andn2_saveexec_b64 s[18:19], s[18:19]
	s_cbranch_execz .LBB74_450
; %bb.449:
	v_div_scale_f64 v[102:103], s[20:21], v[121:122], v[121:122], v[123:124]
	v_rcp_f64_e32 v[104:105], v[102:103]
	v_fma_f64 v[106:107], -v[102:103], v[104:105], 1.0
	v_fma_f64 v[104:105], v[104:105], v[106:107], v[104:105]
	v_div_scale_f64 v[106:107], vcc, v[123:124], v[121:122], v[123:124]
	v_fma_f64 v[113:114], -v[102:103], v[104:105], 1.0
	v_fma_f64 v[104:105], v[104:105], v[113:114], v[104:105]
	v_mul_f64 v[113:114], v[106:107], v[104:105]
	v_fma_f64 v[102:103], -v[102:103], v[113:114], v[106:107]
	v_div_fmas_f64 v[102:103], v[102:103], v[104:105], v[113:114]
	v_div_fixup_f64 v[102:103], v[102:103], v[121:122], v[123:124]
	v_fma_f64 v[104:105], v[123:124], v[102:103], v[121:122]
	v_div_scale_f64 v[106:107], s[20:21], v[104:105], v[104:105], 1.0
	v_div_scale_f64 v[117:118], vcc, 1.0, v[104:105], 1.0
	v_rcp_f64_e32 v[113:114], v[106:107]
	v_fma_f64 v[115:116], -v[106:107], v[113:114], 1.0
	v_fma_f64 v[113:114], v[113:114], v[115:116], v[113:114]
	v_fma_f64 v[115:116], -v[106:107], v[113:114], 1.0
	v_fma_f64 v[113:114], v[113:114], v[115:116], v[113:114]
	v_mul_f64 v[115:116], v[117:118], v[113:114]
	v_fma_f64 v[106:107], -v[106:107], v[115:116], v[117:118]
	v_div_fmas_f64 v[106:107], v[106:107], v[113:114], v[115:116]
	v_div_fixup_f64 v[121:122], v[106:107], v[104:105], 1.0
	v_mul_f64 v[123:124], v[102:103], -v[121:122]
.LBB74_450:
	s_or_b64 exec, exec, s[18:19]
.LBB74_451:
	s_or_b64 exec, exec, s[0:1]
	v_cmp_ne_u32_e32 vcc, v100, v101
	s_and_saveexec_b64 s[0:1], vcc
	s_xor_b64 s[0:1], exec, s[0:1]
	s_cbranch_execz .LBB74_457
; %bb.452:
	v_cmp_eq_u32_e32 vcc, 21, v100
	s_and_saveexec_b64 s[18:19], vcc
	s_cbranch_execz .LBB74_456
; %bb.453:
	v_cmp_ne_u32_e32 vcc, 21, v101
	s_xor_b64 s[20:21], s[6:7], -1
	s_and_b64 s[22:23], s[20:21], vcc
	s_and_saveexec_b64 s[20:21], s[22:23]
	s_cbranch_execz .LBB74_455
; %bb.454:
	v_ashrrev_i32_e32 v102, 31, v101
	v_lshlrev_b64 v[102:103], 2, v[101:102]
	v_add_co_u32_e32 v102, vcc, v119, v102
	v_addc_co_u32_e32 v103, vcc, v120, v103, vcc
	global_load_dword v0, v[102:103], off
	global_load_dword v100, v[119:120], off offset:84
	s_waitcnt vmcnt(1)
	global_store_dword v[119:120], v0, off offset:84
	s_waitcnt vmcnt(1)
	global_store_dword v[102:103], v100, off
.LBB74_455:
	s_or_b64 exec, exec, s[20:21]
	v_mov_b32_e32 v100, v101
	v_mov_b32_e32 v0, v101
.LBB74_456:
	s_or_b64 exec, exec, s[18:19]
.LBB74_457:
	s_andn2_saveexec_b64 s[0:1], s[0:1]
	s_cbranch_execz .LBB74_459
; %bb.458:
	v_mov_b32_e32 v100, 21
	ds_write2_b64 v98, v[57:58], v[59:60] offset0:44 offset1:45
	ds_write2_b64 v98, v[53:54], v[55:56] offset0:46 offset1:47
	;; [unrolled: 1-line block ×16, first 2 shown]
.LBB74_459:
	s_or_b64 exec, exec, s[0:1]
	v_cmp_lt_i32_e32 vcc, 21, v100
	s_waitcnt vmcnt(0) lgkmcnt(0)
	s_barrier
	s_and_saveexec_b64 s[0:1], vcc
	s_cbranch_execz .LBB74_461
; %bb.460:
	v_mul_f64 v[101:102], v[121:122], v[63:64]
	v_mul_f64 v[63:64], v[123:124], v[63:64]
	ds_read2_b64 v[103:106], v98 offset0:44 offset1:45
	v_fma_f64 v[101:102], v[123:124], v[61:62], v[101:102]
	v_fma_f64 v[61:62], v[121:122], v[61:62], -v[63:64]
	s_waitcnt lgkmcnt(0)
	v_mul_f64 v[63:64], v[105:106], v[101:102]
	v_fma_f64 v[63:64], v[103:104], v[61:62], -v[63:64]
	v_mul_f64 v[103:104], v[103:104], v[101:102]
	v_add_f64 v[57:58], v[57:58], -v[63:64]
	v_fma_f64 v[103:104], v[105:106], v[61:62], v[103:104]
	v_add_f64 v[59:60], v[59:60], -v[103:104]
	ds_read2_b64 v[103:106], v98 offset0:46 offset1:47
	s_waitcnt lgkmcnt(0)
	v_mul_f64 v[63:64], v[105:106], v[101:102]
	v_fma_f64 v[63:64], v[103:104], v[61:62], -v[63:64]
	v_mul_f64 v[103:104], v[103:104], v[101:102]
	v_add_f64 v[53:54], v[53:54], -v[63:64]
	v_fma_f64 v[103:104], v[105:106], v[61:62], v[103:104]
	v_add_f64 v[55:56], v[55:56], -v[103:104]
	ds_read2_b64 v[103:106], v98 offset0:48 offset1:49
	;; [unrolled: 8-line block ×15, first 2 shown]
	s_waitcnt lgkmcnt(0)
	v_mul_f64 v[63:64], v[105:106], v[101:102]
	v_fma_f64 v[63:64], v[103:104], v[61:62], -v[63:64]
	v_mul_f64 v[103:104], v[103:104], v[101:102]
	v_add_f64 v[109:110], v[109:110], -v[63:64]
	v_fma_f64 v[103:104], v[105:106], v[61:62], v[103:104]
	v_mov_b32_e32 v63, v101
	v_mov_b32_e32 v64, v102
	v_add_f64 v[111:112], v[111:112], -v[103:104]
.LBB74_461:
	s_or_b64 exec, exec, s[0:1]
	v_lshl_add_u32 v101, v100, 4, v98
	s_barrier
	ds_write2_b64 v101, v[57:58], v[59:60] offset1:1
	s_waitcnt lgkmcnt(0)
	s_barrier
	ds_read2_b64 v[121:124], v98 offset0:44 offset1:45
	s_cmp_lt_i32 s3, 24
	v_mov_b32_e32 v101, 22
	s_cbranch_scc1 .LBB74_464
; %bb.462:
	v_add_u32_e32 v102, 0x170, v98
	s_mov_b32 s0, 23
	v_mov_b32_e32 v101, 22
.LBB74_463:                             ; =>This Inner Loop Header: Depth=1
	s_waitcnt lgkmcnt(0)
	v_cmp_gt_f64_e32 vcc, 0, v[121:122]
	v_xor_b32_e32 v107, 0x80000000, v122
	ds_read2_b64 v[103:106], v102 offset1:1
	v_xor_b32_e32 v113, 0x80000000, v124
	v_add_u32_e32 v102, 16, v102
	s_waitcnt lgkmcnt(0)
	v_xor_b32_e32 v115, 0x80000000, v106
	v_cndmask_b32_e32 v108, v122, v107, vcc
	v_cmp_gt_f64_e32 vcc, 0, v[123:124]
	v_mov_b32_e32 v107, v121
	v_cndmask_b32_e32 v114, v124, v113, vcc
	v_cmp_gt_f64_e32 vcc, 0, v[103:104]
	v_mov_b32_e32 v113, v123
	v_add_f64 v[107:108], v[107:108], v[113:114]
	v_xor_b32_e32 v113, 0x80000000, v104
	v_cndmask_b32_e32 v114, v104, v113, vcc
	v_cmp_gt_f64_e32 vcc, 0, v[105:106]
	v_mov_b32_e32 v113, v103
	v_cndmask_b32_e32 v116, v106, v115, vcc
	v_mov_b32_e32 v115, v105
	v_add_f64 v[113:114], v[113:114], v[115:116]
	v_cmp_lt_f64_e32 vcc, v[107:108], v[113:114]
	v_cndmask_b32_e32 v121, v121, v103, vcc
	v_mov_b32_e32 v103, s0
	s_add_i32 s0, s0, 1
	v_cndmask_b32_e32 v122, v122, v104, vcc
	v_cndmask_b32_e32 v124, v124, v106, vcc
	;; [unrolled: 1-line block ×4, first 2 shown]
	s_cmp_lg_u32 s3, s0
	s_cbranch_scc1 .LBB74_463
.LBB74_464:
	s_waitcnt lgkmcnt(0)
	v_cmp_eq_f64_e32 vcc, 0, v[121:122]
	v_cmp_eq_f64_e64 s[0:1], 0, v[123:124]
	s_and_b64 s[0:1], vcc, s[0:1]
	s_and_saveexec_b64 s[18:19], s[0:1]
	s_xor_b64 s[0:1], exec, s[18:19]
; %bb.465:
	v_cmp_ne_u32_e32 vcc, 0, v99
	v_cndmask_b32_e32 v99, 23, v99, vcc
; %bb.466:
	s_andn2_saveexec_b64 s[0:1], s[0:1]
	s_cbranch_execz .LBB74_472
; %bb.467:
	v_cmp_ngt_f64_e64 s[18:19], |v[121:122]|, |v[123:124]|
	s_and_saveexec_b64 s[20:21], s[18:19]
	s_xor_b64 s[18:19], exec, s[20:21]
	s_cbranch_execz .LBB74_469
; %bb.468:
	v_div_scale_f64 v[102:103], s[20:21], v[123:124], v[123:124], v[121:122]
	v_rcp_f64_e32 v[104:105], v[102:103]
	v_fma_f64 v[106:107], -v[102:103], v[104:105], 1.0
	v_fma_f64 v[104:105], v[104:105], v[106:107], v[104:105]
	v_div_scale_f64 v[106:107], vcc, v[121:122], v[123:124], v[121:122]
	v_fma_f64 v[113:114], -v[102:103], v[104:105], 1.0
	v_fma_f64 v[104:105], v[104:105], v[113:114], v[104:105]
	v_mul_f64 v[113:114], v[106:107], v[104:105]
	v_fma_f64 v[102:103], -v[102:103], v[113:114], v[106:107]
	v_div_fmas_f64 v[102:103], v[102:103], v[104:105], v[113:114]
	v_div_fixup_f64 v[102:103], v[102:103], v[123:124], v[121:122]
	v_fma_f64 v[104:105], v[121:122], v[102:103], v[123:124]
	v_div_scale_f64 v[106:107], s[20:21], v[104:105], v[104:105], 1.0
	v_div_scale_f64 v[117:118], vcc, 1.0, v[104:105], 1.0
	v_rcp_f64_e32 v[113:114], v[106:107]
	v_fma_f64 v[115:116], -v[106:107], v[113:114], 1.0
	v_fma_f64 v[113:114], v[113:114], v[115:116], v[113:114]
	v_fma_f64 v[115:116], -v[106:107], v[113:114], 1.0
	v_fma_f64 v[113:114], v[113:114], v[115:116], v[113:114]
	v_mul_f64 v[115:116], v[117:118], v[113:114]
	v_fma_f64 v[106:107], -v[106:107], v[115:116], v[117:118]
	v_div_fmas_f64 v[106:107], v[106:107], v[113:114], v[115:116]
	v_div_fixup_f64 v[123:124], v[106:107], v[104:105], 1.0
	v_mul_f64 v[121:122], v[102:103], v[123:124]
	v_xor_b32_e32 v124, 0x80000000, v124
.LBB74_469:
	s_andn2_saveexec_b64 s[18:19], s[18:19]
	s_cbranch_execz .LBB74_471
; %bb.470:
	v_div_scale_f64 v[102:103], s[20:21], v[121:122], v[121:122], v[123:124]
	v_rcp_f64_e32 v[104:105], v[102:103]
	v_fma_f64 v[106:107], -v[102:103], v[104:105], 1.0
	v_fma_f64 v[104:105], v[104:105], v[106:107], v[104:105]
	v_div_scale_f64 v[106:107], vcc, v[123:124], v[121:122], v[123:124]
	v_fma_f64 v[113:114], -v[102:103], v[104:105], 1.0
	v_fma_f64 v[104:105], v[104:105], v[113:114], v[104:105]
	v_mul_f64 v[113:114], v[106:107], v[104:105]
	v_fma_f64 v[102:103], -v[102:103], v[113:114], v[106:107]
	v_div_fmas_f64 v[102:103], v[102:103], v[104:105], v[113:114]
	v_div_fixup_f64 v[102:103], v[102:103], v[121:122], v[123:124]
	v_fma_f64 v[104:105], v[123:124], v[102:103], v[121:122]
	v_div_scale_f64 v[106:107], s[20:21], v[104:105], v[104:105], 1.0
	v_div_scale_f64 v[117:118], vcc, 1.0, v[104:105], 1.0
	v_rcp_f64_e32 v[113:114], v[106:107]
	v_fma_f64 v[115:116], -v[106:107], v[113:114], 1.0
	v_fma_f64 v[113:114], v[113:114], v[115:116], v[113:114]
	v_fma_f64 v[115:116], -v[106:107], v[113:114], 1.0
	v_fma_f64 v[113:114], v[113:114], v[115:116], v[113:114]
	v_mul_f64 v[115:116], v[117:118], v[113:114]
	v_fma_f64 v[106:107], -v[106:107], v[115:116], v[117:118]
	v_div_fmas_f64 v[106:107], v[106:107], v[113:114], v[115:116]
	v_div_fixup_f64 v[121:122], v[106:107], v[104:105], 1.0
	v_mul_f64 v[123:124], v[102:103], -v[121:122]
.LBB74_471:
	s_or_b64 exec, exec, s[18:19]
.LBB74_472:
	s_or_b64 exec, exec, s[0:1]
	v_cmp_ne_u32_e32 vcc, v100, v101
	s_and_saveexec_b64 s[0:1], vcc
	s_xor_b64 s[0:1], exec, s[0:1]
	s_cbranch_execz .LBB74_478
; %bb.473:
	v_cmp_eq_u32_e32 vcc, 22, v100
	s_and_saveexec_b64 s[18:19], vcc
	s_cbranch_execz .LBB74_477
; %bb.474:
	v_cmp_ne_u32_e32 vcc, 22, v101
	s_xor_b64 s[20:21], s[6:7], -1
	s_and_b64 s[22:23], s[20:21], vcc
	s_and_saveexec_b64 s[20:21], s[22:23]
	s_cbranch_execz .LBB74_476
; %bb.475:
	v_ashrrev_i32_e32 v102, 31, v101
	v_lshlrev_b64 v[102:103], 2, v[101:102]
	v_add_co_u32_e32 v102, vcc, v119, v102
	v_addc_co_u32_e32 v103, vcc, v120, v103, vcc
	global_load_dword v0, v[102:103], off
	global_load_dword v100, v[119:120], off offset:88
	s_waitcnt vmcnt(1)
	global_store_dword v[119:120], v0, off offset:88
	s_waitcnt vmcnt(1)
	global_store_dword v[102:103], v100, off
.LBB74_476:
	s_or_b64 exec, exec, s[20:21]
	v_mov_b32_e32 v100, v101
	v_mov_b32_e32 v0, v101
.LBB74_477:
	s_or_b64 exec, exec, s[18:19]
.LBB74_478:
	s_andn2_saveexec_b64 s[0:1], s[0:1]
	s_cbranch_execz .LBB74_480
; %bb.479:
	v_mov_b32_e32 v100, 22
	ds_write2_b64 v98, v[53:54], v[55:56] offset0:46 offset1:47
	ds_write2_b64 v98, v[49:50], v[51:52] offset0:48 offset1:49
	;; [unrolled: 1-line block ×15, first 2 shown]
.LBB74_480:
	s_or_b64 exec, exec, s[0:1]
	v_cmp_lt_i32_e32 vcc, 22, v100
	s_waitcnt vmcnt(0) lgkmcnt(0)
	s_barrier
	s_and_saveexec_b64 s[0:1], vcc
	s_cbranch_execz .LBB74_482
; %bb.481:
	v_mul_f64 v[101:102], v[121:122], v[59:60]
	v_mul_f64 v[59:60], v[123:124], v[59:60]
	ds_read2_b64 v[103:106], v98 offset0:46 offset1:47
	v_fma_f64 v[101:102], v[123:124], v[57:58], v[101:102]
	v_fma_f64 v[57:58], v[121:122], v[57:58], -v[59:60]
	s_waitcnt lgkmcnt(0)
	v_mul_f64 v[59:60], v[105:106], v[101:102]
	v_fma_f64 v[59:60], v[103:104], v[57:58], -v[59:60]
	v_mul_f64 v[103:104], v[103:104], v[101:102]
	v_add_f64 v[53:54], v[53:54], -v[59:60]
	v_fma_f64 v[103:104], v[105:106], v[57:58], v[103:104]
	v_add_f64 v[55:56], v[55:56], -v[103:104]
	ds_read2_b64 v[103:106], v98 offset0:48 offset1:49
	s_waitcnt lgkmcnt(0)
	v_mul_f64 v[59:60], v[105:106], v[101:102]
	v_fma_f64 v[59:60], v[103:104], v[57:58], -v[59:60]
	v_mul_f64 v[103:104], v[103:104], v[101:102]
	v_add_f64 v[49:50], v[49:50], -v[59:60]
	v_fma_f64 v[103:104], v[105:106], v[57:58], v[103:104]
	v_add_f64 v[51:52], v[51:52], -v[103:104]
	ds_read2_b64 v[103:106], v98 offset0:50 offset1:51
	;; [unrolled: 8-line block ×14, first 2 shown]
	s_waitcnt lgkmcnt(0)
	v_mul_f64 v[59:60], v[105:106], v[101:102]
	v_fma_f64 v[59:60], v[103:104], v[57:58], -v[59:60]
	v_mul_f64 v[103:104], v[103:104], v[101:102]
	v_add_f64 v[109:110], v[109:110], -v[59:60]
	v_fma_f64 v[103:104], v[105:106], v[57:58], v[103:104]
	v_mov_b32_e32 v59, v101
	v_mov_b32_e32 v60, v102
	v_add_f64 v[111:112], v[111:112], -v[103:104]
.LBB74_482:
	s_or_b64 exec, exec, s[0:1]
	v_lshl_add_u32 v101, v100, 4, v98
	s_barrier
	ds_write2_b64 v101, v[53:54], v[55:56] offset1:1
	s_waitcnt lgkmcnt(0)
	s_barrier
	ds_read2_b64 v[121:124], v98 offset0:46 offset1:47
	s_cmp_lt_i32 s3, 25
	v_mov_b32_e32 v101, 23
	s_cbranch_scc1 .LBB74_485
; %bb.483:
	v_add_u32_e32 v102, 0x180, v98
	s_mov_b32 s0, 24
	v_mov_b32_e32 v101, 23
.LBB74_484:                             ; =>This Inner Loop Header: Depth=1
	s_waitcnt lgkmcnt(0)
	v_cmp_gt_f64_e32 vcc, 0, v[121:122]
	v_xor_b32_e32 v107, 0x80000000, v122
	ds_read2_b64 v[103:106], v102 offset1:1
	v_xor_b32_e32 v113, 0x80000000, v124
	v_add_u32_e32 v102, 16, v102
	s_waitcnt lgkmcnt(0)
	v_xor_b32_e32 v115, 0x80000000, v106
	v_cndmask_b32_e32 v108, v122, v107, vcc
	v_cmp_gt_f64_e32 vcc, 0, v[123:124]
	v_mov_b32_e32 v107, v121
	v_cndmask_b32_e32 v114, v124, v113, vcc
	v_cmp_gt_f64_e32 vcc, 0, v[103:104]
	v_mov_b32_e32 v113, v123
	v_add_f64 v[107:108], v[107:108], v[113:114]
	v_xor_b32_e32 v113, 0x80000000, v104
	v_cndmask_b32_e32 v114, v104, v113, vcc
	v_cmp_gt_f64_e32 vcc, 0, v[105:106]
	v_mov_b32_e32 v113, v103
	v_cndmask_b32_e32 v116, v106, v115, vcc
	v_mov_b32_e32 v115, v105
	v_add_f64 v[113:114], v[113:114], v[115:116]
	v_cmp_lt_f64_e32 vcc, v[107:108], v[113:114]
	v_cndmask_b32_e32 v121, v121, v103, vcc
	v_mov_b32_e32 v103, s0
	s_add_i32 s0, s0, 1
	v_cndmask_b32_e32 v122, v122, v104, vcc
	v_cndmask_b32_e32 v124, v124, v106, vcc
	v_cndmask_b32_e32 v123, v123, v105, vcc
	v_cndmask_b32_e32 v101, v101, v103, vcc
	s_cmp_lg_u32 s3, s0
	s_cbranch_scc1 .LBB74_484
.LBB74_485:
	s_waitcnt lgkmcnt(0)
	v_cmp_eq_f64_e32 vcc, 0, v[121:122]
	v_cmp_eq_f64_e64 s[0:1], 0, v[123:124]
	s_and_b64 s[0:1], vcc, s[0:1]
	s_and_saveexec_b64 s[18:19], s[0:1]
	s_xor_b64 s[0:1], exec, s[18:19]
; %bb.486:
	v_cmp_ne_u32_e32 vcc, 0, v99
	v_cndmask_b32_e32 v99, 24, v99, vcc
; %bb.487:
	s_andn2_saveexec_b64 s[0:1], s[0:1]
	s_cbranch_execz .LBB74_493
; %bb.488:
	v_cmp_ngt_f64_e64 s[18:19], |v[121:122]|, |v[123:124]|
	s_and_saveexec_b64 s[20:21], s[18:19]
	s_xor_b64 s[18:19], exec, s[20:21]
	s_cbranch_execz .LBB74_490
; %bb.489:
	v_div_scale_f64 v[102:103], s[20:21], v[123:124], v[123:124], v[121:122]
	v_rcp_f64_e32 v[104:105], v[102:103]
	v_fma_f64 v[106:107], -v[102:103], v[104:105], 1.0
	v_fma_f64 v[104:105], v[104:105], v[106:107], v[104:105]
	v_div_scale_f64 v[106:107], vcc, v[121:122], v[123:124], v[121:122]
	v_fma_f64 v[113:114], -v[102:103], v[104:105], 1.0
	v_fma_f64 v[104:105], v[104:105], v[113:114], v[104:105]
	v_mul_f64 v[113:114], v[106:107], v[104:105]
	v_fma_f64 v[102:103], -v[102:103], v[113:114], v[106:107]
	v_div_fmas_f64 v[102:103], v[102:103], v[104:105], v[113:114]
	v_div_fixup_f64 v[102:103], v[102:103], v[123:124], v[121:122]
	v_fma_f64 v[104:105], v[121:122], v[102:103], v[123:124]
	v_div_scale_f64 v[106:107], s[20:21], v[104:105], v[104:105], 1.0
	v_div_scale_f64 v[117:118], vcc, 1.0, v[104:105], 1.0
	v_rcp_f64_e32 v[113:114], v[106:107]
	v_fma_f64 v[115:116], -v[106:107], v[113:114], 1.0
	v_fma_f64 v[113:114], v[113:114], v[115:116], v[113:114]
	v_fma_f64 v[115:116], -v[106:107], v[113:114], 1.0
	v_fma_f64 v[113:114], v[113:114], v[115:116], v[113:114]
	v_mul_f64 v[115:116], v[117:118], v[113:114]
	v_fma_f64 v[106:107], -v[106:107], v[115:116], v[117:118]
	v_div_fmas_f64 v[106:107], v[106:107], v[113:114], v[115:116]
	v_div_fixup_f64 v[123:124], v[106:107], v[104:105], 1.0
	v_mul_f64 v[121:122], v[102:103], v[123:124]
	v_xor_b32_e32 v124, 0x80000000, v124
.LBB74_490:
	s_andn2_saveexec_b64 s[18:19], s[18:19]
	s_cbranch_execz .LBB74_492
; %bb.491:
	v_div_scale_f64 v[102:103], s[20:21], v[121:122], v[121:122], v[123:124]
	v_rcp_f64_e32 v[104:105], v[102:103]
	v_fma_f64 v[106:107], -v[102:103], v[104:105], 1.0
	v_fma_f64 v[104:105], v[104:105], v[106:107], v[104:105]
	v_div_scale_f64 v[106:107], vcc, v[123:124], v[121:122], v[123:124]
	v_fma_f64 v[113:114], -v[102:103], v[104:105], 1.0
	v_fma_f64 v[104:105], v[104:105], v[113:114], v[104:105]
	v_mul_f64 v[113:114], v[106:107], v[104:105]
	v_fma_f64 v[102:103], -v[102:103], v[113:114], v[106:107]
	v_div_fmas_f64 v[102:103], v[102:103], v[104:105], v[113:114]
	v_div_fixup_f64 v[102:103], v[102:103], v[121:122], v[123:124]
	v_fma_f64 v[104:105], v[123:124], v[102:103], v[121:122]
	v_div_scale_f64 v[106:107], s[20:21], v[104:105], v[104:105], 1.0
	v_div_scale_f64 v[117:118], vcc, 1.0, v[104:105], 1.0
	v_rcp_f64_e32 v[113:114], v[106:107]
	v_fma_f64 v[115:116], -v[106:107], v[113:114], 1.0
	v_fma_f64 v[113:114], v[113:114], v[115:116], v[113:114]
	v_fma_f64 v[115:116], -v[106:107], v[113:114], 1.0
	v_fma_f64 v[113:114], v[113:114], v[115:116], v[113:114]
	v_mul_f64 v[115:116], v[117:118], v[113:114]
	v_fma_f64 v[106:107], -v[106:107], v[115:116], v[117:118]
	v_div_fmas_f64 v[106:107], v[106:107], v[113:114], v[115:116]
	v_div_fixup_f64 v[121:122], v[106:107], v[104:105], 1.0
	v_mul_f64 v[123:124], v[102:103], -v[121:122]
.LBB74_492:
	s_or_b64 exec, exec, s[18:19]
.LBB74_493:
	s_or_b64 exec, exec, s[0:1]
	v_cmp_ne_u32_e32 vcc, v100, v101
	s_and_saveexec_b64 s[0:1], vcc
	s_xor_b64 s[0:1], exec, s[0:1]
	s_cbranch_execz .LBB74_499
; %bb.494:
	v_cmp_eq_u32_e32 vcc, 23, v100
	s_and_saveexec_b64 s[18:19], vcc
	s_cbranch_execz .LBB74_498
; %bb.495:
	v_cmp_ne_u32_e32 vcc, 23, v101
	s_xor_b64 s[20:21], s[6:7], -1
	s_and_b64 s[22:23], s[20:21], vcc
	s_and_saveexec_b64 s[20:21], s[22:23]
	s_cbranch_execz .LBB74_497
; %bb.496:
	v_ashrrev_i32_e32 v102, 31, v101
	v_lshlrev_b64 v[102:103], 2, v[101:102]
	v_add_co_u32_e32 v102, vcc, v119, v102
	v_addc_co_u32_e32 v103, vcc, v120, v103, vcc
	global_load_dword v0, v[102:103], off
	global_load_dword v100, v[119:120], off offset:92
	s_waitcnt vmcnt(1)
	global_store_dword v[119:120], v0, off offset:92
	s_waitcnt vmcnt(1)
	global_store_dword v[102:103], v100, off
.LBB74_497:
	s_or_b64 exec, exec, s[20:21]
	v_mov_b32_e32 v100, v101
	v_mov_b32_e32 v0, v101
.LBB74_498:
	s_or_b64 exec, exec, s[18:19]
.LBB74_499:
	s_andn2_saveexec_b64 s[0:1], s[0:1]
	s_cbranch_execz .LBB74_501
; %bb.500:
	v_mov_b32_e32 v100, 23
	ds_write2_b64 v98, v[49:50], v[51:52] offset0:48 offset1:49
	ds_write2_b64 v98, v[45:46], v[47:48] offset0:50 offset1:51
	;; [unrolled: 1-line block ×14, first 2 shown]
.LBB74_501:
	s_or_b64 exec, exec, s[0:1]
	v_cmp_lt_i32_e32 vcc, 23, v100
	s_waitcnt vmcnt(0) lgkmcnt(0)
	s_barrier
	s_and_saveexec_b64 s[0:1], vcc
	s_cbranch_execz .LBB74_503
; %bb.502:
	v_mul_f64 v[101:102], v[121:122], v[55:56]
	v_mul_f64 v[55:56], v[123:124], v[55:56]
	ds_read2_b64 v[103:106], v98 offset0:48 offset1:49
	v_fma_f64 v[101:102], v[123:124], v[53:54], v[101:102]
	v_fma_f64 v[53:54], v[121:122], v[53:54], -v[55:56]
	s_waitcnt lgkmcnt(0)
	v_mul_f64 v[55:56], v[105:106], v[101:102]
	v_fma_f64 v[55:56], v[103:104], v[53:54], -v[55:56]
	v_mul_f64 v[103:104], v[103:104], v[101:102]
	v_add_f64 v[49:50], v[49:50], -v[55:56]
	v_fma_f64 v[103:104], v[105:106], v[53:54], v[103:104]
	v_add_f64 v[51:52], v[51:52], -v[103:104]
	ds_read2_b64 v[103:106], v98 offset0:50 offset1:51
	s_waitcnt lgkmcnt(0)
	v_mul_f64 v[55:56], v[105:106], v[101:102]
	v_fma_f64 v[55:56], v[103:104], v[53:54], -v[55:56]
	v_mul_f64 v[103:104], v[103:104], v[101:102]
	v_add_f64 v[45:46], v[45:46], -v[55:56]
	v_fma_f64 v[103:104], v[105:106], v[53:54], v[103:104]
	v_add_f64 v[47:48], v[47:48], -v[103:104]
	ds_read2_b64 v[103:106], v98 offset0:52 offset1:53
	;; [unrolled: 8-line block ×13, first 2 shown]
	s_waitcnt lgkmcnt(0)
	v_mul_f64 v[55:56], v[105:106], v[101:102]
	v_fma_f64 v[55:56], v[103:104], v[53:54], -v[55:56]
	v_mul_f64 v[103:104], v[103:104], v[101:102]
	v_add_f64 v[109:110], v[109:110], -v[55:56]
	v_fma_f64 v[103:104], v[105:106], v[53:54], v[103:104]
	v_mov_b32_e32 v55, v101
	v_mov_b32_e32 v56, v102
	v_add_f64 v[111:112], v[111:112], -v[103:104]
.LBB74_503:
	s_or_b64 exec, exec, s[0:1]
	v_lshl_add_u32 v101, v100, 4, v98
	s_barrier
	ds_write2_b64 v101, v[49:50], v[51:52] offset1:1
	s_waitcnt lgkmcnt(0)
	s_barrier
	ds_read2_b64 v[121:124], v98 offset0:48 offset1:49
	s_cmp_lt_i32 s3, 26
	v_mov_b32_e32 v101, 24
	s_cbranch_scc1 .LBB74_506
; %bb.504:
	v_add_u32_e32 v102, 0x190, v98
	s_mov_b32 s0, 25
	v_mov_b32_e32 v101, 24
.LBB74_505:                             ; =>This Inner Loop Header: Depth=1
	s_waitcnt lgkmcnt(0)
	v_cmp_gt_f64_e32 vcc, 0, v[121:122]
	v_xor_b32_e32 v107, 0x80000000, v122
	ds_read2_b64 v[103:106], v102 offset1:1
	v_xor_b32_e32 v113, 0x80000000, v124
	v_add_u32_e32 v102, 16, v102
	s_waitcnt lgkmcnt(0)
	v_xor_b32_e32 v115, 0x80000000, v106
	v_cndmask_b32_e32 v108, v122, v107, vcc
	v_cmp_gt_f64_e32 vcc, 0, v[123:124]
	v_mov_b32_e32 v107, v121
	v_cndmask_b32_e32 v114, v124, v113, vcc
	v_cmp_gt_f64_e32 vcc, 0, v[103:104]
	v_mov_b32_e32 v113, v123
	v_add_f64 v[107:108], v[107:108], v[113:114]
	v_xor_b32_e32 v113, 0x80000000, v104
	v_cndmask_b32_e32 v114, v104, v113, vcc
	v_cmp_gt_f64_e32 vcc, 0, v[105:106]
	v_mov_b32_e32 v113, v103
	v_cndmask_b32_e32 v116, v106, v115, vcc
	v_mov_b32_e32 v115, v105
	v_add_f64 v[113:114], v[113:114], v[115:116]
	v_cmp_lt_f64_e32 vcc, v[107:108], v[113:114]
	v_cndmask_b32_e32 v121, v121, v103, vcc
	v_mov_b32_e32 v103, s0
	s_add_i32 s0, s0, 1
	v_cndmask_b32_e32 v122, v122, v104, vcc
	v_cndmask_b32_e32 v124, v124, v106, vcc
	;; [unrolled: 1-line block ×4, first 2 shown]
	s_cmp_lg_u32 s3, s0
	s_cbranch_scc1 .LBB74_505
.LBB74_506:
	s_waitcnt lgkmcnt(0)
	v_cmp_eq_f64_e32 vcc, 0, v[121:122]
	v_cmp_eq_f64_e64 s[0:1], 0, v[123:124]
	s_and_b64 s[0:1], vcc, s[0:1]
	s_and_saveexec_b64 s[18:19], s[0:1]
	s_xor_b64 s[0:1], exec, s[18:19]
; %bb.507:
	v_cmp_ne_u32_e32 vcc, 0, v99
	v_cndmask_b32_e32 v99, 25, v99, vcc
; %bb.508:
	s_andn2_saveexec_b64 s[0:1], s[0:1]
	s_cbranch_execz .LBB74_514
; %bb.509:
	v_cmp_ngt_f64_e64 s[18:19], |v[121:122]|, |v[123:124]|
	s_and_saveexec_b64 s[20:21], s[18:19]
	s_xor_b64 s[18:19], exec, s[20:21]
	s_cbranch_execz .LBB74_511
; %bb.510:
	v_div_scale_f64 v[102:103], s[20:21], v[123:124], v[123:124], v[121:122]
	v_rcp_f64_e32 v[104:105], v[102:103]
	v_fma_f64 v[106:107], -v[102:103], v[104:105], 1.0
	v_fma_f64 v[104:105], v[104:105], v[106:107], v[104:105]
	v_div_scale_f64 v[106:107], vcc, v[121:122], v[123:124], v[121:122]
	v_fma_f64 v[113:114], -v[102:103], v[104:105], 1.0
	v_fma_f64 v[104:105], v[104:105], v[113:114], v[104:105]
	v_mul_f64 v[113:114], v[106:107], v[104:105]
	v_fma_f64 v[102:103], -v[102:103], v[113:114], v[106:107]
	v_div_fmas_f64 v[102:103], v[102:103], v[104:105], v[113:114]
	v_div_fixup_f64 v[102:103], v[102:103], v[123:124], v[121:122]
	v_fma_f64 v[104:105], v[121:122], v[102:103], v[123:124]
	v_div_scale_f64 v[106:107], s[20:21], v[104:105], v[104:105], 1.0
	v_div_scale_f64 v[117:118], vcc, 1.0, v[104:105], 1.0
	v_rcp_f64_e32 v[113:114], v[106:107]
	v_fma_f64 v[115:116], -v[106:107], v[113:114], 1.0
	v_fma_f64 v[113:114], v[113:114], v[115:116], v[113:114]
	v_fma_f64 v[115:116], -v[106:107], v[113:114], 1.0
	v_fma_f64 v[113:114], v[113:114], v[115:116], v[113:114]
	v_mul_f64 v[115:116], v[117:118], v[113:114]
	v_fma_f64 v[106:107], -v[106:107], v[115:116], v[117:118]
	v_div_fmas_f64 v[106:107], v[106:107], v[113:114], v[115:116]
	v_div_fixup_f64 v[123:124], v[106:107], v[104:105], 1.0
	v_mul_f64 v[121:122], v[102:103], v[123:124]
	v_xor_b32_e32 v124, 0x80000000, v124
.LBB74_511:
	s_andn2_saveexec_b64 s[18:19], s[18:19]
	s_cbranch_execz .LBB74_513
; %bb.512:
	v_div_scale_f64 v[102:103], s[20:21], v[121:122], v[121:122], v[123:124]
	v_rcp_f64_e32 v[104:105], v[102:103]
	v_fma_f64 v[106:107], -v[102:103], v[104:105], 1.0
	v_fma_f64 v[104:105], v[104:105], v[106:107], v[104:105]
	v_div_scale_f64 v[106:107], vcc, v[123:124], v[121:122], v[123:124]
	v_fma_f64 v[113:114], -v[102:103], v[104:105], 1.0
	v_fma_f64 v[104:105], v[104:105], v[113:114], v[104:105]
	v_mul_f64 v[113:114], v[106:107], v[104:105]
	v_fma_f64 v[102:103], -v[102:103], v[113:114], v[106:107]
	v_div_fmas_f64 v[102:103], v[102:103], v[104:105], v[113:114]
	v_div_fixup_f64 v[102:103], v[102:103], v[121:122], v[123:124]
	v_fma_f64 v[104:105], v[123:124], v[102:103], v[121:122]
	v_div_scale_f64 v[106:107], s[20:21], v[104:105], v[104:105], 1.0
	v_div_scale_f64 v[117:118], vcc, 1.0, v[104:105], 1.0
	v_rcp_f64_e32 v[113:114], v[106:107]
	v_fma_f64 v[115:116], -v[106:107], v[113:114], 1.0
	v_fma_f64 v[113:114], v[113:114], v[115:116], v[113:114]
	v_fma_f64 v[115:116], -v[106:107], v[113:114], 1.0
	v_fma_f64 v[113:114], v[113:114], v[115:116], v[113:114]
	v_mul_f64 v[115:116], v[117:118], v[113:114]
	v_fma_f64 v[106:107], -v[106:107], v[115:116], v[117:118]
	v_div_fmas_f64 v[106:107], v[106:107], v[113:114], v[115:116]
	v_div_fixup_f64 v[121:122], v[106:107], v[104:105], 1.0
	v_mul_f64 v[123:124], v[102:103], -v[121:122]
.LBB74_513:
	s_or_b64 exec, exec, s[18:19]
.LBB74_514:
	s_or_b64 exec, exec, s[0:1]
	v_cmp_ne_u32_e32 vcc, v100, v101
	s_and_saveexec_b64 s[0:1], vcc
	s_xor_b64 s[0:1], exec, s[0:1]
	s_cbranch_execz .LBB74_520
; %bb.515:
	v_cmp_eq_u32_e32 vcc, 24, v100
	s_and_saveexec_b64 s[18:19], vcc
	s_cbranch_execz .LBB74_519
; %bb.516:
	v_cmp_ne_u32_e32 vcc, 24, v101
	s_xor_b64 s[20:21], s[6:7], -1
	s_and_b64 s[22:23], s[20:21], vcc
	s_and_saveexec_b64 s[20:21], s[22:23]
	s_cbranch_execz .LBB74_518
; %bb.517:
	v_ashrrev_i32_e32 v102, 31, v101
	v_lshlrev_b64 v[102:103], 2, v[101:102]
	v_add_co_u32_e32 v102, vcc, v119, v102
	v_addc_co_u32_e32 v103, vcc, v120, v103, vcc
	global_load_dword v0, v[102:103], off
	global_load_dword v100, v[119:120], off offset:96
	s_waitcnt vmcnt(1)
	global_store_dword v[119:120], v0, off offset:96
	s_waitcnt vmcnt(1)
	global_store_dword v[102:103], v100, off
.LBB74_518:
	s_or_b64 exec, exec, s[20:21]
	v_mov_b32_e32 v100, v101
	v_mov_b32_e32 v0, v101
.LBB74_519:
	s_or_b64 exec, exec, s[18:19]
.LBB74_520:
	s_andn2_saveexec_b64 s[0:1], s[0:1]
	s_cbranch_execz .LBB74_522
; %bb.521:
	v_mov_b32_e32 v100, 24
	ds_write2_b64 v98, v[45:46], v[47:48] offset0:50 offset1:51
	ds_write2_b64 v98, v[41:42], v[43:44] offset0:52 offset1:53
	;; [unrolled: 1-line block ×13, first 2 shown]
.LBB74_522:
	s_or_b64 exec, exec, s[0:1]
	v_cmp_lt_i32_e32 vcc, 24, v100
	s_waitcnt vmcnt(0) lgkmcnt(0)
	s_barrier
	s_and_saveexec_b64 s[0:1], vcc
	s_cbranch_execz .LBB74_524
; %bb.523:
	v_mul_f64 v[101:102], v[121:122], v[51:52]
	v_mul_f64 v[51:52], v[123:124], v[51:52]
	ds_read2_b64 v[103:106], v98 offset0:50 offset1:51
	v_fma_f64 v[101:102], v[123:124], v[49:50], v[101:102]
	v_fma_f64 v[49:50], v[121:122], v[49:50], -v[51:52]
	s_waitcnt lgkmcnt(0)
	v_mul_f64 v[51:52], v[105:106], v[101:102]
	v_fma_f64 v[51:52], v[103:104], v[49:50], -v[51:52]
	v_mul_f64 v[103:104], v[103:104], v[101:102]
	v_add_f64 v[45:46], v[45:46], -v[51:52]
	v_fma_f64 v[103:104], v[105:106], v[49:50], v[103:104]
	v_add_f64 v[47:48], v[47:48], -v[103:104]
	ds_read2_b64 v[103:106], v98 offset0:52 offset1:53
	s_waitcnt lgkmcnt(0)
	v_mul_f64 v[51:52], v[105:106], v[101:102]
	v_fma_f64 v[51:52], v[103:104], v[49:50], -v[51:52]
	v_mul_f64 v[103:104], v[103:104], v[101:102]
	v_add_f64 v[41:42], v[41:42], -v[51:52]
	v_fma_f64 v[103:104], v[105:106], v[49:50], v[103:104]
	v_add_f64 v[43:44], v[43:44], -v[103:104]
	ds_read2_b64 v[103:106], v98 offset0:54 offset1:55
	;; [unrolled: 8-line block ×12, first 2 shown]
	s_waitcnt lgkmcnt(0)
	v_mul_f64 v[51:52], v[105:106], v[101:102]
	v_fma_f64 v[51:52], v[103:104], v[49:50], -v[51:52]
	v_mul_f64 v[103:104], v[103:104], v[101:102]
	v_add_f64 v[109:110], v[109:110], -v[51:52]
	v_fma_f64 v[103:104], v[105:106], v[49:50], v[103:104]
	v_mov_b32_e32 v51, v101
	v_mov_b32_e32 v52, v102
	v_add_f64 v[111:112], v[111:112], -v[103:104]
.LBB74_524:
	s_or_b64 exec, exec, s[0:1]
	v_lshl_add_u32 v101, v100, 4, v98
	s_barrier
	ds_write2_b64 v101, v[45:46], v[47:48] offset1:1
	s_waitcnt lgkmcnt(0)
	s_barrier
	ds_read2_b64 v[121:124], v98 offset0:50 offset1:51
	s_cmp_lt_i32 s3, 27
	v_mov_b32_e32 v101, 25
	s_cbranch_scc1 .LBB74_527
; %bb.525:
	v_add_u32_e32 v102, 0x1a0, v98
	s_mov_b32 s0, 26
	v_mov_b32_e32 v101, 25
.LBB74_526:                             ; =>This Inner Loop Header: Depth=1
	s_waitcnt lgkmcnt(0)
	v_cmp_gt_f64_e32 vcc, 0, v[121:122]
	v_xor_b32_e32 v107, 0x80000000, v122
	ds_read2_b64 v[103:106], v102 offset1:1
	v_xor_b32_e32 v113, 0x80000000, v124
	v_add_u32_e32 v102, 16, v102
	s_waitcnt lgkmcnt(0)
	v_xor_b32_e32 v115, 0x80000000, v106
	v_cndmask_b32_e32 v108, v122, v107, vcc
	v_cmp_gt_f64_e32 vcc, 0, v[123:124]
	v_mov_b32_e32 v107, v121
	v_cndmask_b32_e32 v114, v124, v113, vcc
	v_cmp_gt_f64_e32 vcc, 0, v[103:104]
	v_mov_b32_e32 v113, v123
	v_add_f64 v[107:108], v[107:108], v[113:114]
	v_xor_b32_e32 v113, 0x80000000, v104
	v_cndmask_b32_e32 v114, v104, v113, vcc
	v_cmp_gt_f64_e32 vcc, 0, v[105:106]
	v_mov_b32_e32 v113, v103
	v_cndmask_b32_e32 v116, v106, v115, vcc
	v_mov_b32_e32 v115, v105
	v_add_f64 v[113:114], v[113:114], v[115:116]
	v_cmp_lt_f64_e32 vcc, v[107:108], v[113:114]
	v_cndmask_b32_e32 v121, v121, v103, vcc
	v_mov_b32_e32 v103, s0
	s_add_i32 s0, s0, 1
	v_cndmask_b32_e32 v122, v122, v104, vcc
	v_cndmask_b32_e32 v124, v124, v106, vcc
	;; [unrolled: 1-line block ×4, first 2 shown]
	s_cmp_lg_u32 s3, s0
	s_cbranch_scc1 .LBB74_526
.LBB74_527:
	s_waitcnt lgkmcnt(0)
	v_cmp_eq_f64_e32 vcc, 0, v[121:122]
	v_cmp_eq_f64_e64 s[0:1], 0, v[123:124]
	s_and_b64 s[0:1], vcc, s[0:1]
	s_and_saveexec_b64 s[18:19], s[0:1]
	s_xor_b64 s[0:1], exec, s[18:19]
; %bb.528:
	v_cmp_ne_u32_e32 vcc, 0, v99
	v_cndmask_b32_e32 v99, 26, v99, vcc
; %bb.529:
	s_andn2_saveexec_b64 s[0:1], s[0:1]
	s_cbranch_execz .LBB74_535
; %bb.530:
	v_cmp_ngt_f64_e64 s[18:19], |v[121:122]|, |v[123:124]|
	s_and_saveexec_b64 s[20:21], s[18:19]
	s_xor_b64 s[18:19], exec, s[20:21]
	s_cbranch_execz .LBB74_532
; %bb.531:
	v_div_scale_f64 v[102:103], s[20:21], v[123:124], v[123:124], v[121:122]
	v_rcp_f64_e32 v[104:105], v[102:103]
	v_fma_f64 v[106:107], -v[102:103], v[104:105], 1.0
	v_fma_f64 v[104:105], v[104:105], v[106:107], v[104:105]
	v_div_scale_f64 v[106:107], vcc, v[121:122], v[123:124], v[121:122]
	v_fma_f64 v[113:114], -v[102:103], v[104:105], 1.0
	v_fma_f64 v[104:105], v[104:105], v[113:114], v[104:105]
	v_mul_f64 v[113:114], v[106:107], v[104:105]
	v_fma_f64 v[102:103], -v[102:103], v[113:114], v[106:107]
	v_div_fmas_f64 v[102:103], v[102:103], v[104:105], v[113:114]
	v_div_fixup_f64 v[102:103], v[102:103], v[123:124], v[121:122]
	v_fma_f64 v[104:105], v[121:122], v[102:103], v[123:124]
	v_div_scale_f64 v[106:107], s[20:21], v[104:105], v[104:105], 1.0
	v_div_scale_f64 v[117:118], vcc, 1.0, v[104:105], 1.0
	v_rcp_f64_e32 v[113:114], v[106:107]
	v_fma_f64 v[115:116], -v[106:107], v[113:114], 1.0
	v_fma_f64 v[113:114], v[113:114], v[115:116], v[113:114]
	v_fma_f64 v[115:116], -v[106:107], v[113:114], 1.0
	v_fma_f64 v[113:114], v[113:114], v[115:116], v[113:114]
	v_mul_f64 v[115:116], v[117:118], v[113:114]
	v_fma_f64 v[106:107], -v[106:107], v[115:116], v[117:118]
	v_div_fmas_f64 v[106:107], v[106:107], v[113:114], v[115:116]
	v_div_fixup_f64 v[123:124], v[106:107], v[104:105], 1.0
	v_mul_f64 v[121:122], v[102:103], v[123:124]
	v_xor_b32_e32 v124, 0x80000000, v124
.LBB74_532:
	s_andn2_saveexec_b64 s[18:19], s[18:19]
	s_cbranch_execz .LBB74_534
; %bb.533:
	v_div_scale_f64 v[102:103], s[20:21], v[121:122], v[121:122], v[123:124]
	v_rcp_f64_e32 v[104:105], v[102:103]
	v_fma_f64 v[106:107], -v[102:103], v[104:105], 1.0
	v_fma_f64 v[104:105], v[104:105], v[106:107], v[104:105]
	v_div_scale_f64 v[106:107], vcc, v[123:124], v[121:122], v[123:124]
	v_fma_f64 v[113:114], -v[102:103], v[104:105], 1.0
	v_fma_f64 v[104:105], v[104:105], v[113:114], v[104:105]
	v_mul_f64 v[113:114], v[106:107], v[104:105]
	v_fma_f64 v[102:103], -v[102:103], v[113:114], v[106:107]
	v_div_fmas_f64 v[102:103], v[102:103], v[104:105], v[113:114]
	v_div_fixup_f64 v[102:103], v[102:103], v[121:122], v[123:124]
	v_fma_f64 v[104:105], v[123:124], v[102:103], v[121:122]
	v_div_scale_f64 v[106:107], s[20:21], v[104:105], v[104:105], 1.0
	v_div_scale_f64 v[117:118], vcc, 1.0, v[104:105], 1.0
	v_rcp_f64_e32 v[113:114], v[106:107]
	v_fma_f64 v[115:116], -v[106:107], v[113:114], 1.0
	v_fma_f64 v[113:114], v[113:114], v[115:116], v[113:114]
	v_fma_f64 v[115:116], -v[106:107], v[113:114], 1.0
	v_fma_f64 v[113:114], v[113:114], v[115:116], v[113:114]
	v_mul_f64 v[115:116], v[117:118], v[113:114]
	v_fma_f64 v[106:107], -v[106:107], v[115:116], v[117:118]
	v_div_fmas_f64 v[106:107], v[106:107], v[113:114], v[115:116]
	v_div_fixup_f64 v[121:122], v[106:107], v[104:105], 1.0
	v_mul_f64 v[123:124], v[102:103], -v[121:122]
.LBB74_534:
	s_or_b64 exec, exec, s[18:19]
.LBB74_535:
	s_or_b64 exec, exec, s[0:1]
	v_cmp_ne_u32_e32 vcc, v100, v101
	s_and_saveexec_b64 s[0:1], vcc
	s_xor_b64 s[0:1], exec, s[0:1]
	s_cbranch_execz .LBB74_541
; %bb.536:
	v_cmp_eq_u32_e32 vcc, 25, v100
	s_and_saveexec_b64 s[18:19], vcc
	s_cbranch_execz .LBB74_540
; %bb.537:
	v_cmp_ne_u32_e32 vcc, 25, v101
	s_xor_b64 s[20:21], s[6:7], -1
	s_and_b64 s[22:23], s[20:21], vcc
	s_and_saveexec_b64 s[20:21], s[22:23]
	s_cbranch_execz .LBB74_539
; %bb.538:
	v_ashrrev_i32_e32 v102, 31, v101
	v_lshlrev_b64 v[102:103], 2, v[101:102]
	v_add_co_u32_e32 v102, vcc, v119, v102
	v_addc_co_u32_e32 v103, vcc, v120, v103, vcc
	global_load_dword v0, v[102:103], off
	global_load_dword v100, v[119:120], off offset:100
	s_waitcnt vmcnt(1)
	global_store_dword v[119:120], v0, off offset:100
	s_waitcnt vmcnt(1)
	global_store_dword v[102:103], v100, off
.LBB74_539:
	s_or_b64 exec, exec, s[20:21]
	v_mov_b32_e32 v100, v101
	v_mov_b32_e32 v0, v101
.LBB74_540:
	s_or_b64 exec, exec, s[18:19]
.LBB74_541:
	s_andn2_saveexec_b64 s[0:1], s[0:1]
	s_cbranch_execz .LBB74_543
; %bb.542:
	v_mov_b32_e32 v100, 25
	ds_write2_b64 v98, v[41:42], v[43:44] offset0:52 offset1:53
	ds_write2_b64 v98, v[37:38], v[39:40] offset0:54 offset1:55
	;; [unrolled: 1-line block ×12, first 2 shown]
.LBB74_543:
	s_or_b64 exec, exec, s[0:1]
	v_cmp_lt_i32_e32 vcc, 25, v100
	s_waitcnt vmcnt(0) lgkmcnt(0)
	s_barrier
	s_and_saveexec_b64 s[0:1], vcc
	s_cbranch_execz .LBB74_545
; %bb.544:
	v_mul_f64 v[101:102], v[121:122], v[47:48]
	v_mul_f64 v[47:48], v[123:124], v[47:48]
	ds_read2_b64 v[103:106], v98 offset0:52 offset1:53
	v_fma_f64 v[101:102], v[123:124], v[45:46], v[101:102]
	v_fma_f64 v[45:46], v[121:122], v[45:46], -v[47:48]
	s_waitcnt lgkmcnt(0)
	v_mul_f64 v[47:48], v[105:106], v[101:102]
	v_fma_f64 v[47:48], v[103:104], v[45:46], -v[47:48]
	v_mul_f64 v[103:104], v[103:104], v[101:102]
	v_add_f64 v[41:42], v[41:42], -v[47:48]
	v_fma_f64 v[103:104], v[105:106], v[45:46], v[103:104]
	v_add_f64 v[43:44], v[43:44], -v[103:104]
	ds_read2_b64 v[103:106], v98 offset0:54 offset1:55
	s_waitcnt lgkmcnt(0)
	v_mul_f64 v[47:48], v[105:106], v[101:102]
	v_fma_f64 v[47:48], v[103:104], v[45:46], -v[47:48]
	v_mul_f64 v[103:104], v[103:104], v[101:102]
	v_add_f64 v[37:38], v[37:38], -v[47:48]
	v_fma_f64 v[103:104], v[105:106], v[45:46], v[103:104]
	v_add_f64 v[39:40], v[39:40], -v[103:104]
	ds_read2_b64 v[103:106], v98 offset0:56 offset1:57
	;; [unrolled: 8-line block ×11, first 2 shown]
	s_waitcnt lgkmcnt(0)
	v_mul_f64 v[47:48], v[105:106], v[101:102]
	v_fma_f64 v[47:48], v[103:104], v[45:46], -v[47:48]
	v_mul_f64 v[103:104], v[103:104], v[101:102]
	v_add_f64 v[109:110], v[109:110], -v[47:48]
	v_fma_f64 v[103:104], v[105:106], v[45:46], v[103:104]
	v_mov_b32_e32 v47, v101
	v_mov_b32_e32 v48, v102
	v_add_f64 v[111:112], v[111:112], -v[103:104]
.LBB74_545:
	s_or_b64 exec, exec, s[0:1]
	v_lshl_add_u32 v101, v100, 4, v98
	s_barrier
	ds_write2_b64 v101, v[41:42], v[43:44] offset1:1
	s_waitcnt lgkmcnt(0)
	s_barrier
	ds_read2_b64 v[121:124], v98 offset0:52 offset1:53
	s_cmp_lt_i32 s3, 28
	v_mov_b32_e32 v101, 26
	s_cbranch_scc1 .LBB74_548
; %bb.546:
	v_add_u32_e32 v102, 0x1b0, v98
	s_mov_b32 s0, 27
	v_mov_b32_e32 v101, 26
.LBB74_547:                             ; =>This Inner Loop Header: Depth=1
	s_waitcnt lgkmcnt(0)
	v_cmp_gt_f64_e32 vcc, 0, v[121:122]
	v_xor_b32_e32 v107, 0x80000000, v122
	ds_read2_b64 v[103:106], v102 offset1:1
	v_xor_b32_e32 v113, 0x80000000, v124
	v_add_u32_e32 v102, 16, v102
	s_waitcnt lgkmcnt(0)
	v_xor_b32_e32 v115, 0x80000000, v106
	v_cndmask_b32_e32 v108, v122, v107, vcc
	v_cmp_gt_f64_e32 vcc, 0, v[123:124]
	v_mov_b32_e32 v107, v121
	v_cndmask_b32_e32 v114, v124, v113, vcc
	v_cmp_gt_f64_e32 vcc, 0, v[103:104]
	v_mov_b32_e32 v113, v123
	v_add_f64 v[107:108], v[107:108], v[113:114]
	v_xor_b32_e32 v113, 0x80000000, v104
	v_cndmask_b32_e32 v114, v104, v113, vcc
	v_cmp_gt_f64_e32 vcc, 0, v[105:106]
	v_mov_b32_e32 v113, v103
	v_cndmask_b32_e32 v116, v106, v115, vcc
	v_mov_b32_e32 v115, v105
	v_add_f64 v[113:114], v[113:114], v[115:116]
	v_cmp_lt_f64_e32 vcc, v[107:108], v[113:114]
	v_cndmask_b32_e32 v121, v121, v103, vcc
	v_mov_b32_e32 v103, s0
	s_add_i32 s0, s0, 1
	v_cndmask_b32_e32 v122, v122, v104, vcc
	v_cndmask_b32_e32 v124, v124, v106, vcc
	;; [unrolled: 1-line block ×4, first 2 shown]
	s_cmp_lg_u32 s3, s0
	s_cbranch_scc1 .LBB74_547
.LBB74_548:
	s_waitcnt lgkmcnt(0)
	v_cmp_eq_f64_e32 vcc, 0, v[121:122]
	v_cmp_eq_f64_e64 s[0:1], 0, v[123:124]
	s_and_b64 s[0:1], vcc, s[0:1]
	s_and_saveexec_b64 s[18:19], s[0:1]
	s_xor_b64 s[0:1], exec, s[18:19]
; %bb.549:
	v_cmp_ne_u32_e32 vcc, 0, v99
	v_cndmask_b32_e32 v99, 27, v99, vcc
; %bb.550:
	s_andn2_saveexec_b64 s[0:1], s[0:1]
	s_cbranch_execz .LBB74_556
; %bb.551:
	v_cmp_ngt_f64_e64 s[18:19], |v[121:122]|, |v[123:124]|
	s_and_saveexec_b64 s[20:21], s[18:19]
	s_xor_b64 s[18:19], exec, s[20:21]
	s_cbranch_execz .LBB74_553
; %bb.552:
	v_div_scale_f64 v[102:103], s[20:21], v[123:124], v[123:124], v[121:122]
	v_rcp_f64_e32 v[104:105], v[102:103]
	v_fma_f64 v[106:107], -v[102:103], v[104:105], 1.0
	v_fma_f64 v[104:105], v[104:105], v[106:107], v[104:105]
	v_div_scale_f64 v[106:107], vcc, v[121:122], v[123:124], v[121:122]
	v_fma_f64 v[113:114], -v[102:103], v[104:105], 1.0
	v_fma_f64 v[104:105], v[104:105], v[113:114], v[104:105]
	v_mul_f64 v[113:114], v[106:107], v[104:105]
	v_fma_f64 v[102:103], -v[102:103], v[113:114], v[106:107]
	v_div_fmas_f64 v[102:103], v[102:103], v[104:105], v[113:114]
	v_div_fixup_f64 v[102:103], v[102:103], v[123:124], v[121:122]
	v_fma_f64 v[104:105], v[121:122], v[102:103], v[123:124]
	v_div_scale_f64 v[106:107], s[20:21], v[104:105], v[104:105], 1.0
	v_div_scale_f64 v[117:118], vcc, 1.0, v[104:105], 1.0
	v_rcp_f64_e32 v[113:114], v[106:107]
	v_fma_f64 v[115:116], -v[106:107], v[113:114], 1.0
	v_fma_f64 v[113:114], v[113:114], v[115:116], v[113:114]
	v_fma_f64 v[115:116], -v[106:107], v[113:114], 1.0
	v_fma_f64 v[113:114], v[113:114], v[115:116], v[113:114]
	v_mul_f64 v[115:116], v[117:118], v[113:114]
	v_fma_f64 v[106:107], -v[106:107], v[115:116], v[117:118]
	v_div_fmas_f64 v[106:107], v[106:107], v[113:114], v[115:116]
	v_div_fixup_f64 v[123:124], v[106:107], v[104:105], 1.0
	v_mul_f64 v[121:122], v[102:103], v[123:124]
	v_xor_b32_e32 v124, 0x80000000, v124
.LBB74_553:
	s_andn2_saveexec_b64 s[18:19], s[18:19]
	s_cbranch_execz .LBB74_555
; %bb.554:
	v_div_scale_f64 v[102:103], s[20:21], v[121:122], v[121:122], v[123:124]
	v_rcp_f64_e32 v[104:105], v[102:103]
	v_fma_f64 v[106:107], -v[102:103], v[104:105], 1.0
	v_fma_f64 v[104:105], v[104:105], v[106:107], v[104:105]
	v_div_scale_f64 v[106:107], vcc, v[123:124], v[121:122], v[123:124]
	v_fma_f64 v[113:114], -v[102:103], v[104:105], 1.0
	v_fma_f64 v[104:105], v[104:105], v[113:114], v[104:105]
	v_mul_f64 v[113:114], v[106:107], v[104:105]
	v_fma_f64 v[102:103], -v[102:103], v[113:114], v[106:107]
	v_div_fmas_f64 v[102:103], v[102:103], v[104:105], v[113:114]
	v_div_fixup_f64 v[102:103], v[102:103], v[121:122], v[123:124]
	v_fma_f64 v[104:105], v[123:124], v[102:103], v[121:122]
	v_div_scale_f64 v[106:107], s[20:21], v[104:105], v[104:105], 1.0
	v_div_scale_f64 v[117:118], vcc, 1.0, v[104:105], 1.0
	v_rcp_f64_e32 v[113:114], v[106:107]
	v_fma_f64 v[115:116], -v[106:107], v[113:114], 1.0
	v_fma_f64 v[113:114], v[113:114], v[115:116], v[113:114]
	v_fma_f64 v[115:116], -v[106:107], v[113:114], 1.0
	v_fma_f64 v[113:114], v[113:114], v[115:116], v[113:114]
	v_mul_f64 v[115:116], v[117:118], v[113:114]
	v_fma_f64 v[106:107], -v[106:107], v[115:116], v[117:118]
	v_div_fmas_f64 v[106:107], v[106:107], v[113:114], v[115:116]
	v_div_fixup_f64 v[121:122], v[106:107], v[104:105], 1.0
	v_mul_f64 v[123:124], v[102:103], -v[121:122]
.LBB74_555:
	s_or_b64 exec, exec, s[18:19]
.LBB74_556:
	s_or_b64 exec, exec, s[0:1]
	v_cmp_ne_u32_e32 vcc, v100, v101
	s_and_saveexec_b64 s[0:1], vcc
	s_xor_b64 s[0:1], exec, s[0:1]
	s_cbranch_execz .LBB74_562
; %bb.557:
	v_cmp_eq_u32_e32 vcc, 26, v100
	s_and_saveexec_b64 s[18:19], vcc
	s_cbranch_execz .LBB74_561
; %bb.558:
	v_cmp_ne_u32_e32 vcc, 26, v101
	s_xor_b64 s[20:21], s[6:7], -1
	s_and_b64 s[22:23], s[20:21], vcc
	s_and_saveexec_b64 s[20:21], s[22:23]
	s_cbranch_execz .LBB74_560
; %bb.559:
	v_ashrrev_i32_e32 v102, 31, v101
	v_lshlrev_b64 v[102:103], 2, v[101:102]
	v_add_co_u32_e32 v102, vcc, v119, v102
	v_addc_co_u32_e32 v103, vcc, v120, v103, vcc
	global_load_dword v0, v[102:103], off
	global_load_dword v100, v[119:120], off offset:104
	s_waitcnt vmcnt(1)
	global_store_dword v[119:120], v0, off offset:104
	s_waitcnt vmcnt(1)
	global_store_dword v[102:103], v100, off
.LBB74_560:
	s_or_b64 exec, exec, s[20:21]
	v_mov_b32_e32 v100, v101
	v_mov_b32_e32 v0, v101
.LBB74_561:
	s_or_b64 exec, exec, s[18:19]
.LBB74_562:
	s_andn2_saveexec_b64 s[0:1], s[0:1]
	s_cbranch_execz .LBB74_564
; %bb.563:
	v_mov_b32_e32 v100, 26
	ds_write2_b64 v98, v[37:38], v[39:40] offset0:54 offset1:55
	ds_write2_b64 v98, v[33:34], v[35:36] offset0:56 offset1:57
	ds_write2_b64 v98, v[29:30], v[31:32] offset0:58 offset1:59
	ds_write2_b64 v98, v[25:26], v[27:28] offset0:60 offset1:61
	ds_write2_b64 v98, v[21:22], v[23:24] offset0:62 offset1:63
	ds_write2_b64 v98, v[17:18], v[19:20] offset0:64 offset1:65
	ds_write2_b64 v98, v[13:14], v[15:16] offset0:66 offset1:67
	ds_write2_b64 v98, v[9:10], v[11:12] offset0:68 offset1:69
	ds_write2_b64 v98, v[5:6], v[7:8] offset0:70 offset1:71
	ds_write2_b64 v98, v[1:2], v[3:4] offset0:72 offset1:73
	ds_write2_b64 v98, v[109:110], v[111:112] offset0:74 offset1:75
.LBB74_564:
	s_or_b64 exec, exec, s[0:1]
	v_cmp_lt_i32_e32 vcc, 26, v100
	s_waitcnt vmcnt(0) lgkmcnt(0)
	s_barrier
	s_and_saveexec_b64 s[0:1], vcc
	s_cbranch_execz .LBB74_566
; %bb.565:
	v_mul_f64 v[101:102], v[121:122], v[43:44]
	v_mul_f64 v[43:44], v[123:124], v[43:44]
	ds_read2_b64 v[103:106], v98 offset0:54 offset1:55
	v_fma_f64 v[101:102], v[123:124], v[41:42], v[101:102]
	v_fma_f64 v[41:42], v[121:122], v[41:42], -v[43:44]
	s_waitcnt lgkmcnt(0)
	v_mul_f64 v[43:44], v[105:106], v[101:102]
	v_fma_f64 v[43:44], v[103:104], v[41:42], -v[43:44]
	v_mul_f64 v[103:104], v[103:104], v[101:102]
	v_add_f64 v[37:38], v[37:38], -v[43:44]
	v_fma_f64 v[103:104], v[105:106], v[41:42], v[103:104]
	v_add_f64 v[39:40], v[39:40], -v[103:104]
	ds_read2_b64 v[103:106], v98 offset0:56 offset1:57
	s_waitcnt lgkmcnt(0)
	v_mul_f64 v[43:44], v[105:106], v[101:102]
	v_fma_f64 v[43:44], v[103:104], v[41:42], -v[43:44]
	v_mul_f64 v[103:104], v[103:104], v[101:102]
	v_add_f64 v[33:34], v[33:34], -v[43:44]
	v_fma_f64 v[103:104], v[105:106], v[41:42], v[103:104]
	v_add_f64 v[35:36], v[35:36], -v[103:104]
	ds_read2_b64 v[103:106], v98 offset0:58 offset1:59
	;; [unrolled: 8-line block ×10, first 2 shown]
	s_waitcnt lgkmcnt(0)
	v_mul_f64 v[43:44], v[105:106], v[101:102]
	v_fma_f64 v[43:44], v[103:104], v[41:42], -v[43:44]
	v_mul_f64 v[103:104], v[103:104], v[101:102]
	v_add_f64 v[109:110], v[109:110], -v[43:44]
	v_fma_f64 v[103:104], v[105:106], v[41:42], v[103:104]
	v_mov_b32_e32 v43, v101
	v_mov_b32_e32 v44, v102
	v_add_f64 v[111:112], v[111:112], -v[103:104]
.LBB74_566:
	s_or_b64 exec, exec, s[0:1]
	v_lshl_add_u32 v101, v100, 4, v98
	s_barrier
	ds_write2_b64 v101, v[37:38], v[39:40] offset1:1
	s_waitcnt lgkmcnt(0)
	s_barrier
	ds_read2_b64 v[121:124], v98 offset0:54 offset1:55
	s_cmp_lt_i32 s3, 29
	v_mov_b32_e32 v101, 27
	s_cbranch_scc1 .LBB74_569
; %bb.567:
	v_add_u32_e32 v102, 0x1c0, v98
	s_mov_b32 s0, 28
	v_mov_b32_e32 v101, 27
.LBB74_568:                             ; =>This Inner Loop Header: Depth=1
	s_waitcnt lgkmcnt(0)
	v_cmp_gt_f64_e32 vcc, 0, v[121:122]
	v_xor_b32_e32 v107, 0x80000000, v122
	ds_read2_b64 v[103:106], v102 offset1:1
	v_xor_b32_e32 v113, 0x80000000, v124
	v_add_u32_e32 v102, 16, v102
	s_waitcnt lgkmcnt(0)
	v_xor_b32_e32 v115, 0x80000000, v106
	v_cndmask_b32_e32 v108, v122, v107, vcc
	v_cmp_gt_f64_e32 vcc, 0, v[123:124]
	v_mov_b32_e32 v107, v121
	v_cndmask_b32_e32 v114, v124, v113, vcc
	v_cmp_gt_f64_e32 vcc, 0, v[103:104]
	v_mov_b32_e32 v113, v123
	v_add_f64 v[107:108], v[107:108], v[113:114]
	v_xor_b32_e32 v113, 0x80000000, v104
	v_cndmask_b32_e32 v114, v104, v113, vcc
	v_cmp_gt_f64_e32 vcc, 0, v[105:106]
	v_mov_b32_e32 v113, v103
	v_cndmask_b32_e32 v116, v106, v115, vcc
	v_mov_b32_e32 v115, v105
	v_add_f64 v[113:114], v[113:114], v[115:116]
	v_cmp_lt_f64_e32 vcc, v[107:108], v[113:114]
	v_cndmask_b32_e32 v121, v121, v103, vcc
	v_mov_b32_e32 v103, s0
	s_add_i32 s0, s0, 1
	v_cndmask_b32_e32 v122, v122, v104, vcc
	v_cndmask_b32_e32 v124, v124, v106, vcc
	;; [unrolled: 1-line block ×4, first 2 shown]
	s_cmp_lg_u32 s3, s0
	s_cbranch_scc1 .LBB74_568
.LBB74_569:
	s_waitcnt lgkmcnt(0)
	v_cmp_eq_f64_e32 vcc, 0, v[121:122]
	v_cmp_eq_f64_e64 s[0:1], 0, v[123:124]
	s_and_b64 s[0:1], vcc, s[0:1]
	s_and_saveexec_b64 s[18:19], s[0:1]
	s_xor_b64 s[0:1], exec, s[18:19]
; %bb.570:
	v_cmp_ne_u32_e32 vcc, 0, v99
	v_cndmask_b32_e32 v99, 28, v99, vcc
; %bb.571:
	s_andn2_saveexec_b64 s[0:1], s[0:1]
	s_cbranch_execz .LBB74_577
; %bb.572:
	v_cmp_ngt_f64_e64 s[18:19], |v[121:122]|, |v[123:124]|
	s_and_saveexec_b64 s[20:21], s[18:19]
	s_xor_b64 s[18:19], exec, s[20:21]
	s_cbranch_execz .LBB74_574
; %bb.573:
	v_div_scale_f64 v[102:103], s[20:21], v[123:124], v[123:124], v[121:122]
	v_rcp_f64_e32 v[104:105], v[102:103]
	v_fma_f64 v[106:107], -v[102:103], v[104:105], 1.0
	v_fma_f64 v[104:105], v[104:105], v[106:107], v[104:105]
	v_div_scale_f64 v[106:107], vcc, v[121:122], v[123:124], v[121:122]
	v_fma_f64 v[113:114], -v[102:103], v[104:105], 1.0
	v_fma_f64 v[104:105], v[104:105], v[113:114], v[104:105]
	v_mul_f64 v[113:114], v[106:107], v[104:105]
	v_fma_f64 v[102:103], -v[102:103], v[113:114], v[106:107]
	v_div_fmas_f64 v[102:103], v[102:103], v[104:105], v[113:114]
	v_div_fixup_f64 v[102:103], v[102:103], v[123:124], v[121:122]
	v_fma_f64 v[104:105], v[121:122], v[102:103], v[123:124]
	v_div_scale_f64 v[106:107], s[20:21], v[104:105], v[104:105], 1.0
	v_div_scale_f64 v[117:118], vcc, 1.0, v[104:105], 1.0
	v_rcp_f64_e32 v[113:114], v[106:107]
	v_fma_f64 v[115:116], -v[106:107], v[113:114], 1.0
	v_fma_f64 v[113:114], v[113:114], v[115:116], v[113:114]
	v_fma_f64 v[115:116], -v[106:107], v[113:114], 1.0
	v_fma_f64 v[113:114], v[113:114], v[115:116], v[113:114]
	v_mul_f64 v[115:116], v[117:118], v[113:114]
	v_fma_f64 v[106:107], -v[106:107], v[115:116], v[117:118]
	v_div_fmas_f64 v[106:107], v[106:107], v[113:114], v[115:116]
	v_div_fixup_f64 v[123:124], v[106:107], v[104:105], 1.0
	v_mul_f64 v[121:122], v[102:103], v[123:124]
	v_xor_b32_e32 v124, 0x80000000, v124
.LBB74_574:
	s_andn2_saveexec_b64 s[18:19], s[18:19]
	s_cbranch_execz .LBB74_576
; %bb.575:
	v_div_scale_f64 v[102:103], s[20:21], v[121:122], v[121:122], v[123:124]
	v_rcp_f64_e32 v[104:105], v[102:103]
	v_fma_f64 v[106:107], -v[102:103], v[104:105], 1.0
	v_fma_f64 v[104:105], v[104:105], v[106:107], v[104:105]
	v_div_scale_f64 v[106:107], vcc, v[123:124], v[121:122], v[123:124]
	v_fma_f64 v[113:114], -v[102:103], v[104:105], 1.0
	v_fma_f64 v[104:105], v[104:105], v[113:114], v[104:105]
	v_mul_f64 v[113:114], v[106:107], v[104:105]
	v_fma_f64 v[102:103], -v[102:103], v[113:114], v[106:107]
	v_div_fmas_f64 v[102:103], v[102:103], v[104:105], v[113:114]
	v_div_fixup_f64 v[102:103], v[102:103], v[121:122], v[123:124]
	v_fma_f64 v[104:105], v[123:124], v[102:103], v[121:122]
	v_div_scale_f64 v[106:107], s[20:21], v[104:105], v[104:105], 1.0
	v_div_scale_f64 v[117:118], vcc, 1.0, v[104:105], 1.0
	v_rcp_f64_e32 v[113:114], v[106:107]
	v_fma_f64 v[115:116], -v[106:107], v[113:114], 1.0
	v_fma_f64 v[113:114], v[113:114], v[115:116], v[113:114]
	v_fma_f64 v[115:116], -v[106:107], v[113:114], 1.0
	v_fma_f64 v[113:114], v[113:114], v[115:116], v[113:114]
	v_mul_f64 v[115:116], v[117:118], v[113:114]
	v_fma_f64 v[106:107], -v[106:107], v[115:116], v[117:118]
	v_div_fmas_f64 v[106:107], v[106:107], v[113:114], v[115:116]
	v_div_fixup_f64 v[121:122], v[106:107], v[104:105], 1.0
	v_mul_f64 v[123:124], v[102:103], -v[121:122]
.LBB74_576:
	s_or_b64 exec, exec, s[18:19]
.LBB74_577:
	s_or_b64 exec, exec, s[0:1]
	v_cmp_ne_u32_e32 vcc, v100, v101
	s_and_saveexec_b64 s[0:1], vcc
	s_xor_b64 s[0:1], exec, s[0:1]
	s_cbranch_execz .LBB74_583
; %bb.578:
	v_cmp_eq_u32_e32 vcc, 27, v100
	s_and_saveexec_b64 s[18:19], vcc
	s_cbranch_execz .LBB74_582
; %bb.579:
	v_cmp_ne_u32_e32 vcc, 27, v101
	s_xor_b64 s[20:21], s[6:7], -1
	s_and_b64 s[22:23], s[20:21], vcc
	s_and_saveexec_b64 s[20:21], s[22:23]
	s_cbranch_execz .LBB74_581
; %bb.580:
	v_ashrrev_i32_e32 v102, 31, v101
	v_lshlrev_b64 v[102:103], 2, v[101:102]
	v_add_co_u32_e32 v102, vcc, v119, v102
	v_addc_co_u32_e32 v103, vcc, v120, v103, vcc
	global_load_dword v0, v[102:103], off
	global_load_dword v100, v[119:120], off offset:108
	s_waitcnt vmcnt(1)
	global_store_dword v[119:120], v0, off offset:108
	s_waitcnt vmcnt(1)
	global_store_dword v[102:103], v100, off
.LBB74_581:
	s_or_b64 exec, exec, s[20:21]
	v_mov_b32_e32 v100, v101
	v_mov_b32_e32 v0, v101
.LBB74_582:
	s_or_b64 exec, exec, s[18:19]
.LBB74_583:
	s_andn2_saveexec_b64 s[0:1], s[0:1]
	s_cbranch_execz .LBB74_585
; %bb.584:
	v_mov_b32_e32 v100, 27
	ds_write2_b64 v98, v[33:34], v[35:36] offset0:56 offset1:57
	ds_write2_b64 v98, v[29:30], v[31:32] offset0:58 offset1:59
	;; [unrolled: 1-line block ×10, first 2 shown]
.LBB74_585:
	s_or_b64 exec, exec, s[0:1]
	v_cmp_lt_i32_e32 vcc, 27, v100
	s_waitcnt vmcnt(0) lgkmcnt(0)
	s_barrier
	s_and_saveexec_b64 s[0:1], vcc
	s_cbranch_execz .LBB74_587
; %bb.586:
	v_mul_f64 v[101:102], v[121:122], v[39:40]
	v_mul_f64 v[39:40], v[123:124], v[39:40]
	ds_read2_b64 v[103:106], v98 offset0:56 offset1:57
	v_fma_f64 v[101:102], v[123:124], v[37:38], v[101:102]
	v_fma_f64 v[37:38], v[121:122], v[37:38], -v[39:40]
	s_waitcnt lgkmcnt(0)
	v_mul_f64 v[39:40], v[105:106], v[101:102]
	v_fma_f64 v[39:40], v[103:104], v[37:38], -v[39:40]
	v_mul_f64 v[103:104], v[103:104], v[101:102]
	v_add_f64 v[33:34], v[33:34], -v[39:40]
	v_fma_f64 v[103:104], v[105:106], v[37:38], v[103:104]
	v_add_f64 v[35:36], v[35:36], -v[103:104]
	ds_read2_b64 v[103:106], v98 offset0:58 offset1:59
	s_waitcnt lgkmcnt(0)
	v_mul_f64 v[39:40], v[105:106], v[101:102]
	v_fma_f64 v[39:40], v[103:104], v[37:38], -v[39:40]
	v_mul_f64 v[103:104], v[103:104], v[101:102]
	v_add_f64 v[29:30], v[29:30], -v[39:40]
	v_fma_f64 v[103:104], v[105:106], v[37:38], v[103:104]
	v_add_f64 v[31:32], v[31:32], -v[103:104]
	ds_read2_b64 v[103:106], v98 offset0:60 offset1:61
	s_waitcnt lgkmcnt(0)
	v_mul_f64 v[39:40], v[105:106], v[101:102]
	v_fma_f64 v[39:40], v[103:104], v[37:38], -v[39:40]
	v_mul_f64 v[103:104], v[103:104], v[101:102]
	v_add_f64 v[25:26], v[25:26], -v[39:40]
	v_fma_f64 v[103:104], v[105:106], v[37:38], v[103:104]
	v_add_f64 v[27:28], v[27:28], -v[103:104]
	ds_read2_b64 v[103:106], v98 offset0:62 offset1:63
	s_waitcnt lgkmcnt(0)
	v_mul_f64 v[39:40], v[105:106], v[101:102]
	v_fma_f64 v[39:40], v[103:104], v[37:38], -v[39:40]
	v_mul_f64 v[103:104], v[103:104], v[101:102]
	v_add_f64 v[21:22], v[21:22], -v[39:40]
	v_fma_f64 v[103:104], v[105:106], v[37:38], v[103:104]
	v_add_f64 v[23:24], v[23:24], -v[103:104]
	ds_read2_b64 v[103:106], v98 offset0:64 offset1:65
	s_waitcnt lgkmcnt(0)
	v_mul_f64 v[39:40], v[105:106], v[101:102]
	v_fma_f64 v[39:40], v[103:104], v[37:38], -v[39:40]
	v_mul_f64 v[103:104], v[103:104], v[101:102]
	v_add_f64 v[17:18], v[17:18], -v[39:40]
	v_fma_f64 v[103:104], v[105:106], v[37:38], v[103:104]
	v_add_f64 v[19:20], v[19:20], -v[103:104]
	ds_read2_b64 v[103:106], v98 offset0:66 offset1:67
	s_waitcnt lgkmcnt(0)
	v_mul_f64 v[39:40], v[105:106], v[101:102]
	v_fma_f64 v[39:40], v[103:104], v[37:38], -v[39:40]
	v_mul_f64 v[103:104], v[103:104], v[101:102]
	v_add_f64 v[13:14], v[13:14], -v[39:40]
	v_fma_f64 v[103:104], v[105:106], v[37:38], v[103:104]
	v_add_f64 v[15:16], v[15:16], -v[103:104]
	ds_read2_b64 v[103:106], v98 offset0:68 offset1:69
	s_waitcnt lgkmcnt(0)
	v_mul_f64 v[39:40], v[105:106], v[101:102]
	v_fma_f64 v[39:40], v[103:104], v[37:38], -v[39:40]
	v_mul_f64 v[103:104], v[103:104], v[101:102]
	v_add_f64 v[9:10], v[9:10], -v[39:40]
	v_fma_f64 v[103:104], v[105:106], v[37:38], v[103:104]
	v_add_f64 v[11:12], v[11:12], -v[103:104]
	ds_read2_b64 v[103:106], v98 offset0:70 offset1:71
	s_waitcnt lgkmcnt(0)
	v_mul_f64 v[39:40], v[105:106], v[101:102]
	v_fma_f64 v[39:40], v[103:104], v[37:38], -v[39:40]
	v_mul_f64 v[103:104], v[103:104], v[101:102]
	v_add_f64 v[5:6], v[5:6], -v[39:40]
	v_fma_f64 v[103:104], v[105:106], v[37:38], v[103:104]
	v_add_f64 v[7:8], v[7:8], -v[103:104]
	ds_read2_b64 v[103:106], v98 offset0:72 offset1:73
	s_waitcnt lgkmcnt(0)
	v_mul_f64 v[39:40], v[105:106], v[101:102]
	v_fma_f64 v[39:40], v[103:104], v[37:38], -v[39:40]
	v_mul_f64 v[103:104], v[103:104], v[101:102]
	v_add_f64 v[1:2], v[1:2], -v[39:40]
	v_fma_f64 v[103:104], v[105:106], v[37:38], v[103:104]
	v_add_f64 v[3:4], v[3:4], -v[103:104]
	ds_read2_b64 v[103:106], v98 offset0:74 offset1:75
	s_waitcnt lgkmcnt(0)
	v_mul_f64 v[39:40], v[105:106], v[101:102]
	v_fma_f64 v[39:40], v[103:104], v[37:38], -v[39:40]
	v_mul_f64 v[103:104], v[103:104], v[101:102]
	v_add_f64 v[109:110], v[109:110], -v[39:40]
	v_fma_f64 v[103:104], v[105:106], v[37:38], v[103:104]
	v_mov_b32_e32 v39, v101
	v_mov_b32_e32 v40, v102
	v_add_f64 v[111:112], v[111:112], -v[103:104]
.LBB74_587:
	s_or_b64 exec, exec, s[0:1]
	v_lshl_add_u32 v101, v100, 4, v98
	s_barrier
	ds_write2_b64 v101, v[33:34], v[35:36] offset1:1
	s_waitcnt lgkmcnt(0)
	s_barrier
	ds_read2_b64 v[121:124], v98 offset0:56 offset1:57
	s_cmp_lt_i32 s3, 30
	v_mov_b32_e32 v101, 28
	s_cbranch_scc1 .LBB74_590
; %bb.588:
	v_add_u32_e32 v102, 0x1d0, v98
	s_mov_b32 s0, 29
	v_mov_b32_e32 v101, 28
.LBB74_589:                             ; =>This Inner Loop Header: Depth=1
	s_waitcnt lgkmcnt(0)
	v_cmp_gt_f64_e32 vcc, 0, v[121:122]
	v_xor_b32_e32 v107, 0x80000000, v122
	ds_read2_b64 v[103:106], v102 offset1:1
	v_xor_b32_e32 v113, 0x80000000, v124
	v_add_u32_e32 v102, 16, v102
	s_waitcnt lgkmcnt(0)
	v_xor_b32_e32 v115, 0x80000000, v106
	v_cndmask_b32_e32 v108, v122, v107, vcc
	v_cmp_gt_f64_e32 vcc, 0, v[123:124]
	v_mov_b32_e32 v107, v121
	v_cndmask_b32_e32 v114, v124, v113, vcc
	v_cmp_gt_f64_e32 vcc, 0, v[103:104]
	v_mov_b32_e32 v113, v123
	v_add_f64 v[107:108], v[107:108], v[113:114]
	v_xor_b32_e32 v113, 0x80000000, v104
	v_cndmask_b32_e32 v114, v104, v113, vcc
	v_cmp_gt_f64_e32 vcc, 0, v[105:106]
	v_mov_b32_e32 v113, v103
	v_cndmask_b32_e32 v116, v106, v115, vcc
	v_mov_b32_e32 v115, v105
	v_add_f64 v[113:114], v[113:114], v[115:116]
	v_cmp_lt_f64_e32 vcc, v[107:108], v[113:114]
	v_cndmask_b32_e32 v121, v121, v103, vcc
	v_mov_b32_e32 v103, s0
	s_add_i32 s0, s0, 1
	v_cndmask_b32_e32 v122, v122, v104, vcc
	v_cndmask_b32_e32 v124, v124, v106, vcc
	;; [unrolled: 1-line block ×4, first 2 shown]
	s_cmp_lg_u32 s3, s0
	s_cbranch_scc1 .LBB74_589
.LBB74_590:
	s_waitcnt lgkmcnt(0)
	v_cmp_eq_f64_e32 vcc, 0, v[121:122]
	v_cmp_eq_f64_e64 s[0:1], 0, v[123:124]
	s_and_b64 s[0:1], vcc, s[0:1]
	s_and_saveexec_b64 s[18:19], s[0:1]
	s_xor_b64 s[0:1], exec, s[18:19]
; %bb.591:
	v_cmp_ne_u32_e32 vcc, 0, v99
	v_cndmask_b32_e32 v99, 29, v99, vcc
; %bb.592:
	s_andn2_saveexec_b64 s[0:1], s[0:1]
	s_cbranch_execz .LBB74_598
; %bb.593:
	v_cmp_ngt_f64_e64 s[18:19], |v[121:122]|, |v[123:124]|
	s_and_saveexec_b64 s[20:21], s[18:19]
	s_xor_b64 s[18:19], exec, s[20:21]
	s_cbranch_execz .LBB74_595
; %bb.594:
	v_div_scale_f64 v[102:103], s[20:21], v[123:124], v[123:124], v[121:122]
	v_rcp_f64_e32 v[104:105], v[102:103]
	v_fma_f64 v[106:107], -v[102:103], v[104:105], 1.0
	v_fma_f64 v[104:105], v[104:105], v[106:107], v[104:105]
	v_div_scale_f64 v[106:107], vcc, v[121:122], v[123:124], v[121:122]
	v_fma_f64 v[113:114], -v[102:103], v[104:105], 1.0
	v_fma_f64 v[104:105], v[104:105], v[113:114], v[104:105]
	v_mul_f64 v[113:114], v[106:107], v[104:105]
	v_fma_f64 v[102:103], -v[102:103], v[113:114], v[106:107]
	v_div_fmas_f64 v[102:103], v[102:103], v[104:105], v[113:114]
	v_div_fixup_f64 v[102:103], v[102:103], v[123:124], v[121:122]
	v_fma_f64 v[104:105], v[121:122], v[102:103], v[123:124]
	v_div_scale_f64 v[106:107], s[20:21], v[104:105], v[104:105], 1.0
	v_div_scale_f64 v[117:118], vcc, 1.0, v[104:105], 1.0
	v_rcp_f64_e32 v[113:114], v[106:107]
	v_fma_f64 v[115:116], -v[106:107], v[113:114], 1.0
	v_fma_f64 v[113:114], v[113:114], v[115:116], v[113:114]
	v_fma_f64 v[115:116], -v[106:107], v[113:114], 1.0
	v_fma_f64 v[113:114], v[113:114], v[115:116], v[113:114]
	v_mul_f64 v[115:116], v[117:118], v[113:114]
	v_fma_f64 v[106:107], -v[106:107], v[115:116], v[117:118]
	v_div_fmas_f64 v[106:107], v[106:107], v[113:114], v[115:116]
	v_div_fixup_f64 v[123:124], v[106:107], v[104:105], 1.0
	v_mul_f64 v[121:122], v[102:103], v[123:124]
	v_xor_b32_e32 v124, 0x80000000, v124
.LBB74_595:
	s_andn2_saveexec_b64 s[18:19], s[18:19]
	s_cbranch_execz .LBB74_597
; %bb.596:
	v_div_scale_f64 v[102:103], s[20:21], v[121:122], v[121:122], v[123:124]
	v_rcp_f64_e32 v[104:105], v[102:103]
	v_fma_f64 v[106:107], -v[102:103], v[104:105], 1.0
	v_fma_f64 v[104:105], v[104:105], v[106:107], v[104:105]
	v_div_scale_f64 v[106:107], vcc, v[123:124], v[121:122], v[123:124]
	v_fma_f64 v[113:114], -v[102:103], v[104:105], 1.0
	v_fma_f64 v[104:105], v[104:105], v[113:114], v[104:105]
	v_mul_f64 v[113:114], v[106:107], v[104:105]
	v_fma_f64 v[102:103], -v[102:103], v[113:114], v[106:107]
	v_div_fmas_f64 v[102:103], v[102:103], v[104:105], v[113:114]
	v_div_fixup_f64 v[102:103], v[102:103], v[121:122], v[123:124]
	v_fma_f64 v[104:105], v[123:124], v[102:103], v[121:122]
	v_div_scale_f64 v[106:107], s[20:21], v[104:105], v[104:105], 1.0
	v_div_scale_f64 v[117:118], vcc, 1.0, v[104:105], 1.0
	v_rcp_f64_e32 v[113:114], v[106:107]
	v_fma_f64 v[115:116], -v[106:107], v[113:114], 1.0
	v_fma_f64 v[113:114], v[113:114], v[115:116], v[113:114]
	v_fma_f64 v[115:116], -v[106:107], v[113:114], 1.0
	v_fma_f64 v[113:114], v[113:114], v[115:116], v[113:114]
	v_mul_f64 v[115:116], v[117:118], v[113:114]
	v_fma_f64 v[106:107], -v[106:107], v[115:116], v[117:118]
	v_div_fmas_f64 v[106:107], v[106:107], v[113:114], v[115:116]
	v_div_fixup_f64 v[121:122], v[106:107], v[104:105], 1.0
	v_mul_f64 v[123:124], v[102:103], -v[121:122]
.LBB74_597:
	s_or_b64 exec, exec, s[18:19]
.LBB74_598:
	s_or_b64 exec, exec, s[0:1]
	v_cmp_ne_u32_e32 vcc, v100, v101
	s_and_saveexec_b64 s[0:1], vcc
	s_xor_b64 s[0:1], exec, s[0:1]
	s_cbranch_execz .LBB74_604
; %bb.599:
	v_cmp_eq_u32_e32 vcc, 28, v100
	s_and_saveexec_b64 s[18:19], vcc
	s_cbranch_execz .LBB74_603
; %bb.600:
	v_cmp_ne_u32_e32 vcc, 28, v101
	s_xor_b64 s[20:21], s[6:7], -1
	s_and_b64 s[22:23], s[20:21], vcc
	s_and_saveexec_b64 s[20:21], s[22:23]
	s_cbranch_execz .LBB74_602
; %bb.601:
	v_ashrrev_i32_e32 v102, 31, v101
	v_lshlrev_b64 v[102:103], 2, v[101:102]
	v_add_co_u32_e32 v102, vcc, v119, v102
	v_addc_co_u32_e32 v103, vcc, v120, v103, vcc
	global_load_dword v0, v[102:103], off
	global_load_dword v100, v[119:120], off offset:112
	s_waitcnt vmcnt(1)
	global_store_dword v[119:120], v0, off offset:112
	s_waitcnt vmcnt(1)
	global_store_dword v[102:103], v100, off
.LBB74_602:
	s_or_b64 exec, exec, s[20:21]
	v_mov_b32_e32 v100, v101
	v_mov_b32_e32 v0, v101
.LBB74_603:
	s_or_b64 exec, exec, s[18:19]
.LBB74_604:
	s_andn2_saveexec_b64 s[0:1], s[0:1]
	s_cbranch_execz .LBB74_606
; %bb.605:
	v_mov_b32_e32 v100, 28
	ds_write2_b64 v98, v[29:30], v[31:32] offset0:58 offset1:59
	ds_write2_b64 v98, v[25:26], v[27:28] offset0:60 offset1:61
	;; [unrolled: 1-line block ×9, first 2 shown]
.LBB74_606:
	s_or_b64 exec, exec, s[0:1]
	v_cmp_lt_i32_e32 vcc, 28, v100
	s_waitcnt vmcnt(0) lgkmcnt(0)
	s_barrier
	s_and_saveexec_b64 s[0:1], vcc
	s_cbranch_execz .LBB74_608
; %bb.607:
	v_mul_f64 v[101:102], v[121:122], v[35:36]
	v_mul_f64 v[35:36], v[123:124], v[35:36]
	ds_read2_b64 v[103:106], v98 offset0:58 offset1:59
	v_fma_f64 v[101:102], v[123:124], v[33:34], v[101:102]
	v_fma_f64 v[33:34], v[121:122], v[33:34], -v[35:36]
	s_waitcnt lgkmcnt(0)
	v_mul_f64 v[35:36], v[105:106], v[101:102]
	v_fma_f64 v[35:36], v[103:104], v[33:34], -v[35:36]
	v_mul_f64 v[103:104], v[103:104], v[101:102]
	v_add_f64 v[29:30], v[29:30], -v[35:36]
	v_fma_f64 v[103:104], v[105:106], v[33:34], v[103:104]
	v_add_f64 v[31:32], v[31:32], -v[103:104]
	ds_read2_b64 v[103:106], v98 offset0:60 offset1:61
	s_waitcnt lgkmcnt(0)
	v_mul_f64 v[35:36], v[105:106], v[101:102]
	v_fma_f64 v[35:36], v[103:104], v[33:34], -v[35:36]
	v_mul_f64 v[103:104], v[103:104], v[101:102]
	v_add_f64 v[25:26], v[25:26], -v[35:36]
	v_fma_f64 v[103:104], v[105:106], v[33:34], v[103:104]
	v_add_f64 v[27:28], v[27:28], -v[103:104]
	ds_read2_b64 v[103:106], v98 offset0:62 offset1:63
	;; [unrolled: 8-line block ×8, first 2 shown]
	s_waitcnt lgkmcnt(0)
	v_mul_f64 v[35:36], v[105:106], v[101:102]
	v_fma_f64 v[35:36], v[103:104], v[33:34], -v[35:36]
	v_mul_f64 v[103:104], v[103:104], v[101:102]
	v_add_f64 v[109:110], v[109:110], -v[35:36]
	v_fma_f64 v[103:104], v[105:106], v[33:34], v[103:104]
	v_mov_b32_e32 v35, v101
	v_mov_b32_e32 v36, v102
	v_add_f64 v[111:112], v[111:112], -v[103:104]
.LBB74_608:
	s_or_b64 exec, exec, s[0:1]
	v_lshl_add_u32 v101, v100, 4, v98
	s_barrier
	ds_write2_b64 v101, v[29:30], v[31:32] offset1:1
	s_waitcnt lgkmcnt(0)
	s_barrier
	ds_read2_b64 v[121:124], v98 offset0:58 offset1:59
	s_cmp_lt_i32 s3, 31
	v_mov_b32_e32 v101, 29
	s_cbranch_scc1 .LBB74_611
; %bb.609:
	v_add_u32_e32 v102, 0x1e0, v98
	s_mov_b32 s0, 30
	v_mov_b32_e32 v101, 29
.LBB74_610:                             ; =>This Inner Loop Header: Depth=1
	s_waitcnt lgkmcnt(0)
	v_cmp_gt_f64_e32 vcc, 0, v[121:122]
	v_xor_b32_e32 v107, 0x80000000, v122
	ds_read2_b64 v[103:106], v102 offset1:1
	v_xor_b32_e32 v113, 0x80000000, v124
	v_add_u32_e32 v102, 16, v102
	s_waitcnt lgkmcnt(0)
	v_xor_b32_e32 v115, 0x80000000, v106
	v_cndmask_b32_e32 v108, v122, v107, vcc
	v_cmp_gt_f64_e32 vcc, 0, v[123:124]
	v_mov_b32_e32 v107, v121
	v_cndmask_b32_e32 v114, v124, v113, vcc
	v_cmp_gt_f64_e32 vcc, 0, v[103:104]
	v_mov_b32_e32 v113, v123
	v_add_f64 v[107:108], v[107:108], v[113:114]
	v_xor_b32_e32 v113, 0x80000000, v104
	v_cndmask_b32_e32 v114, v104, v113, vcc
	v_cmp_gt_f64_e32 vcc, 0, v[105:106]
	v_mov_b32_e32 v113, v103
	v_cndmask_b32_e32 v116, v106, v115, vcc
	v_mov_b32_e32 v115, v105
	v_add_f64 v[113:114], v[113:114], v[115:116]
	v_cmp_lt_f64_e32 vcc, v[107:108], v[113:114]
	v_cndmask_b32_e32 v121, v121, v103, vcc
	v_mov_b32_e32 v103, s0
	s_add_i32 s0, s0, 1
	v_cndmask_b32_e32 v122, v122, v104, vcc
	v_cndmask_b32_e32 v124, v124, v106, vcc
	;; [unrolled: 1-line block ×4, first 2 shown]
	s_cmp_lg_u32 s3, s0
	s_cbranch_scc1 .LBB74_610
.LBB74_611:
	s_waitcnt lgkmcnt(0)
	v_cmp_eq_f64_e32 vcc, 0, v[121:122]
	v_cmp_eq_f64_e64 s[0:1], 0, v[123:124]
	s_and_b64 s[0:1], vcc, s[0:1]
	s_and_saveexec_b64 s[18:19], s[0:1]
	s_xor_b64 s[0:1], exec, s[18:19]
; %bb.612:
	v_cmp_ne_u32_e32 vcc, 0, v99
	v_cndmask_b32_e32 v99, 30, v99, vcc
; %bb.613:
	s_andn2_saveexec_b64 s[0:1], s[0:1]
	s_cbranch_execz .LBB74_619
; %bb.614:
	v_cmp_ngt_f64_e64 s[18:19], |v[121:122]|, |v[123:124]|
	s_and_saveexec_b64 s[20:21], s[18:19]
	s_xor_b64 s[18:19], exec, s[20:21]
	s_cbranch_execz .LBB74_616
; %bb.615:
	v_div_scale_f64 v[102:103], s[20:21], v[123:124], v[123:124], v[121:122]
	v_rcp_f64_e32 v[104:105], v[102:103]
	v_fma_f64 v[106:107], -v[102:103], v[104:105], 1.0
	v_fma_f64 v[104:105], v[104:105], v[106:107], v[104:105]
	v_div_scale_f64 v[106:107], vcc, v[121:122], v[123:124], v[121:122]
	v_fma_f64 v[113:114], -v[102:103], v[104:105], 1.0
	v_fma_f64 v[104:105], v[104:105], v[113:114], v[104:105]
	v_mul_f64 v[113:114], v[106:107], v[104:105]
	v_fma_f64 v[102:103], -v[102:103], v[113:114], v[106:107]
	v_div_fmas_f64 v[102:103], v[102:103], v[104:105], v[113:114]
	v_div_fixup_f64 v[102:103], v[102:103], v[123:124], v[121:122]
	v_fma_f64 v[104:105], v[121:122], v[102:103], v[123:124]
	v_div_scale_f64 v[106:107], s[20:21], v[104:105], v[104:105], 1.0
	v_div_scale_f64 v[117:118], vcc, 1.0, v[104:105], 1.0
	v_rcp_f64_e32 v[113:114], v[106:107]
	v_fma_f64 v[115:116], -v[106:107], v[113:114], 1.0
	v_fma_f64 v[113:114], v[113:114], v[115:116], v[113:114]
	v_fma_f64 v[115:116], -v[106:107], v[113:114], 1.0
	v_fma_f64 v[113:114], v[113:114], v[115:116], v[113:114]
	v_mul_f64 v[115:116], v[117:118], v[113:114]
	v_fma_f64 v[106:107], -v[106:107], v[115:116], v[117:118]
	v_div_fmas_f64 v[106:107], v[106:107], v[113:114], v[115:116]
	v_div_fixup_f64 v[123:124], v[106:107], v[104:105], 1.0
	v_mul_f64 v[121:122], v[102:103], v[123:124]
	v_xor_b32_e32 v124, 0x80000000, v124
.LBB74_616:
	s_andn2_saveexec_b64 s[18:19], s[18:19]
	s_cbranch_execz .LBB74_618
; %bb.617:
	v_div_scale_f64 v[102:103], s[20:21], v[121:122], v[121:122], v[123:124]
	v_rcp_f64_e32 v[104:105], v[102:103]
	v_fma_f64 v[106:107], -v[102:103], v[104:105], 1.0
	v_fma_f64 v[104:105], v[104:105], v[106:107], v[104:105]
	v_div_scale_f64 v[106:107], vcc, v[123:124], v[121:122], v[123:124]
	v_fma_f64 v[113:114], -v[102:103], v[104:105], 1.0
	v_fma_f64 v[104:105], v[104:105], v[113:114], v[104:105]
	v_mul_f64 v[113:114], v[106:107], v[104:105]
	v_fma_f64 v[102:103], -v[102:103], v[113:114], v[106:107]
	v_div_fmas_f64 v[102:103], v[102:103], v[104:105], v[113:114]
	v_div_fixup_f64 v[102:103], v[102:103], v[121:122], v[123:124]
	v_fma_f64 v[104:105], v[123:124], v[102:103], v[121:122]
	v_div_scale_f64 v[106:107], s[20:21], v[104:105], v[104:105], 1.0
	v_div_scale_f64 v[117:118], vcc, 1.0, v[104:105], 1.0
	v_rcp_f64_e32 v[113:114], v[106:107]
	v_fma_f64 v[115:116], -v[106:107], v[113:114], 1.0
	v_fma_f64 v[113:114], v[113:114], v[115:116], v[113:114]
	v_fma_f64 v[115:116], -v[106:107], v[113:114], 1.0
	v_fma_f64 v[113:114], v[113:114], v[115:116], v[113:114]
	v_mul_f64 v[115:116], v[117:118], v[113:114]
	v_fma_f64 v[106:107], -v[106:107], v[115:116], v[117:118]
	v_div_fmas_f64 v[106:107], v[106:107], v[113:114], v[115:116]
	v_div_fixup_f64 v[121:122], v[106:107], v[104:105], 1.0
	v_mul_f64 v[123:124], v[102:103], -v[121:122]
.LBB74_618:
	s_or_b64 exec, exec, s[18:19]
.LBB74_619:
	s_or_b64 exec, exec, s[0:1]
	v_cmp_ne_u32_e32 vcc, v100, v101
	s_and_saveexec_b64 s[0:1], vcc
	s_xor_b64 s[0:1], exec, s[0:1]
	s_cbranch_execz .LBB74_625
; %bb.620:
	v_cmp_eq_u32_e32 vcc, 29, v100
	s_and_saveexec_b64 s[18:19], vcc
	s_cbranch_execz .LBB74_624
; %bb.621:
	v_cmp_ne_u32_e32 vcc, 29, v101
	s_xor_b64 s[20:21], s[6:7], -1
	s_and_b64 s[22:23], s[20:21], vcc
	s_and_saveexec_b64 s[20:21], s[22:23]
	s_cbranch_execz .LBB74_623
; %bb.622:
	v_ashrrev_i32_e32 v102, 31, v101
	v_lshlrev_b64 v[102:103], 2, v[101:102]
	v_add_co_u32_e32 v102, vcc, v119, v102
	v_addc_co_u32_e32 v103, vcc, v120, v103, vcc
	global_load_dword v0, v[102:103], off
	global_load_dword v100, v[119:120], off offset:116
	s_waitcnt vmcnt(1)
	global_store_dword v[119:120], v0, off offset:116
	s_waitcnt vmcnt(1)
	global_store_dword v[102:103], v100, off
.LBB74_623:
	s_or_b64 exec, exec, s[20:21]
	v_mov_b32_e32 v100, v101
	v_mov_b32_e32 v0, v101
.LBB74_624:
	s_or_b64 exec, exec, s[18:19]
.LBB74_625:
	s_andn2_saveexec_b64 s[0:1], s[0:1]
	s_cbranch_execz .LBB74_627
; %bb.626:
	v_mov_b32_e32 v100, 29
	ds_write2_b64 v98, v[25:26], v[27:28] offset0:60 offset1:61
	ds_write2_b64 v98, v[21:22], v[23:24] offset0:62 offset1:63
	;; [unrolled: 1-line block ×8, first 2 shown]
.LBB74_627:
	s_or_b64 exec, exec, s[0:1]
	v_cmp_lt_i32_e32 vcc, 29, v100
	s_waitcnt vmcnt(0) lgkmcnt(0)
	s_barrier
	s_and_saveexec_b64 s[0:1], vcc
	s_cbranch_execz .LBB74_629
; %bb.628:
	v_mul_f64 v[101:102], v[121:122], v[31:32]
	v_mul_f64 v[31:32], v[123:124], v[31:32]
	ds_read2_b64 v[103:106], v98 offset0:60 offset1:61
	v_fma_f64 v[101:102], v[123:124], v[29:30], v[101:102]
	v_fma_f64 v[29:30], v[121:122], v[29:30], -v[31:32]
	s_waitcnt lgkmcnt(0)
	v_mul_f64 v[31:32], v[105:106], v[101:102]
	v_fma_f64 v[31:32], v[103:104], v[29:30], -v[31:32]
	v_mul_f64 v[103:104], v[103:104], v[101:102]
	v_add_f64 v[25:26], v[25:26], -v[31:32]
	v_fma_f64 v[103:104], v[105:106], v[29:30], v[103:104]
	v_add_f64 v[27:28], v[27:28], -v[103:104]
	ds_read2_b64 v[103:106], v98 offset0:62 offset1:63
	s_waitcnt lgkmcnt(0)
	v_mul_f64 v[31:32], v[105:106], v[101:102]
	v_fma_f64 v[31:32], v[103:104], v[29:30], -v[31:32]
	v_mul_f64 v[103:104], v[103:104], v[101:102]
	v_add_f64 v[21:22], v[21:22], -v[31:32]
	v_fma_f64 v[103:104], v[105:106], v[29:30], v[103:104]
	v_add_f64 v[23:24], v[23:24], -v[103:104]
	ds_read2_b64 v[103:106], v98 offset0:64 offset1:65
	;; [unrolled: 8-line block ×7, first 2 shown]
	s_waitcnt lgkmcnt(0)
	v_mul_f64 v[31:32], v[105:106], v[101:102]
	v_fma_f64 v[31:32], v[103:104], v[29:30], -v[31:32]
	v_mul_f64 v[103:104], v[103:104], v[101:102]
	v_add_f64 v[109:110], v[109:110], -v[31:32]
	v_fma_f64 v[103:104], v[105:106], v[29:30], v[103:104]
	v_mov_b32_e32 v31, v101
	v_mov_b32_e32 v32, v102
	v_add_f64 v[111:112], v[111:112], -v[103:104]
.LBB74_629:
	s_or_b64 exec, exec, s[0:1]
	v_lshl_add_u32 v101, v100, 4, v98
	s_barrier
	ds_write2_b64 v101, v[25:26], v[27:28] offset1:1
	s_waitcnt lgkmcnt(0)
	s_barrier
	ds_read2_b64 v[121:124], v98 offset0:60 offset1:61
	s_cmp_lt_i32 s3, 32
	v_mov_b32_e32 v101, 30
	s_cbranch_scc1 .LBB74_632
; %bb.630:
	v_add_u32_e32 v102, 0x1f0, v98
	s_mov_b32 s0, 31
	v_mov_b32_e32 v101, 30
.LBB74_631:                             ; =>This Inner Loop Header: Depth=1
	s_waitcnt lgkmcnt(0)
	v_cmp_gt_f64_e32 vcc, 0, v[121:122]
	v_xor_b32_e32 v107, 0x80000000, v122
	ds_read2_b64 v[103:106], v102 offset1:1
	v_xor_b32_e32 v113, 0x80000000, v124
	v_add_u32_e32 v102, 16, v102
	s_waitcnt lgkmcnt(0)
	v_xor_b32_e32 v115, 0x80000000, v106
	v_cndmask_b32_e32 v108, v122, v107, vcc
	v_cmp_gt_f64_e32 vcc, 0, v[123:124]
	v_mov_b32_e32 v107, v121
	v_cndmask_b32_e32 v114, v124, v113, vcc
	v_cmp_gt_f64_e32 vcc, 0, v[103:104]
	v_mov_b32_e32 v113, v123
	v_add_f64 v[107:108], v[107:108], v[113:114]
	v_xor_b32_e32 v113, 0x80000000, v104
	v_cndmask_b32_e32 v114, v104, v113, vcc
	v_cmp_gt_f64_e32 vcc, 0, v[105:106]
	v_mov_b32_e32 v113, v103
	v_cndmask_b32_e32 v116, v106, v115, vcc
	v_mov_b32_e32 v115, v105
	v_add_f64 v[113:114], v[113:114], v[115:116]
	v_cmp_lt_f64_e32 vcc, v[107:108], v[113:114]
	v_cndmask_b32_e32 v121, v121, v103, vcc
	v_mov_b32_e32 v103, s0
	s_add_i32 s0, s0, 1
	v_cndmask_b32_e32 v122, v122, v104, vcc
	v_cndmask_b32_e32 v124, v124, v106, vcc
	;; [unrolled: 1-line block ×4, first 2 shown]
	s_cmp_lg_u32 s3, s0
	s_cbranch_scc1 .LBB74_631
.LBB74_632:
	s_waitcnt lgkmcnt(0)
	v_cmp_eq_f64_e32 vcc, 0, v[121:122]
	v_cmp_eq_f64_e64 s[0:1], 0, v[123:124]
	s_and_b64 s[0:1], vcc, s[0:1]
	s_and_saveexec_b64 s[18:19], s[0:1]
	s_xor_b64 s[0:1], exec, s[18:19]
; %bb.633:
	v_cmp_ne_u32_e32 vcc, 0, v99
	v_cndmask_b32_e32 v99, 31, v99, vcc
; %bb.634:
	s_andn2_saveexec_b64 s[0:1], s[0:1]
	s_cbranch_execz .LBB74_640
; %bb.635:
	v_cmp_ngt_f64_e64 s[18:19], |v[121:122]|, |v[123:124]|
	s_and_saveexec_b64 s[20:21], s[18:19]
	s_xor_b64 s[18:19], exec, s[20:21]
	s_cbranch_execz .LBB74_637
; %bb.636:
	v_div_scale_f64 v[102:103], s[20:21], v[123:124], v[123:124], v[121:122]
	v_rcp_f64_e32 v[104:105], v[102:103]
	v_fma_f64 v[106:107], -v[102:103], v[104:105], 1.0
	v_fma_f64 v[104:105], v[104:105], v[106:107], v[104:105]
	v_div_scale_f64 v[106:107], vcc, v[121:122], v[123:124], v[121:122]
	v_fma_f64 v[113:114], -v[102:103], v[104:105], 1.0
	v_fma_f64 v[104:105], v[104:105], v[113:114], v[104:105]
	v_mul_f64 v[113:114], v[106:107], v[104:105]
	v_fma_f64 v[102:103], -v[102:103], v[113:114], v[106:107]
	v_div_fmas_f64 v[102:103], v[102:103], v[104:105], v[113:114]
	v_div_fixup_f64 v[102:103], v[102:103], v[123:124], v[121:122]
	v_fma_f64 v[104:105], v[121:122], v[102:103], v[123:124]
	v_div_scale_f64 v[106:107], s[20:21], v[104:105], v[104:105], 1.0
	v_div_scale_f64 v[117:118], vcc, 1.0, v[104:105], 1.0
	v_rcp_f64_e32 v[113:114], v[106:107]
	v_fma_f64 v[115:116], -v[106:107], v[113:114], 1.0
	v_fma_f64 v[113:114], v[113:114], v[115:116], v[113:114]
	v_fma_f64 v[115:116], -v[106:107], v[113:114], 1.0
	v_fma_f64 v[113:114], v[113:114], v[115:116], v[113:114]
	v_mul_f64 v[115:116], v[117:118], v[113:114]
	v_fma_f64 v[106:107], -v[106:107], v[115:116], v[117:118]
	v_div_fmas_f64 v[106:107], v[106:107], v[113:114], v[115:116]
	v_div_fixup_f64 v[123:124], v[106:107], v[104:105], 1.0
	v_mul_f64 v[121:122], v[102:103], v[123:124]
	v_xor_b32_e32 v124, 0x80000000, v124
.LBB74_637:
	s_andn2_saveexec_b64 s[18:19], s[18:19]
	s_cbranch_execz .LBB74_639
; %bb.638:
	v_div_scale_f64 v[102:103], s[20:21], v[121:122], v[121:122], v[123:124]
	v_rcp_f64_e32 v[104:105], v[102:103]
	v_fma_f64 v[106:107], -v[102:103], v[104:105], 1.0
	v_fma_f64 v[104:105], v[104:105], v[106:107], v[104:105]
	v_div_scale_f64 v[106:107], vcc, v[123:124], v[121:122], v[123:124]
	v_fma_f64 v[113:114], -v[102:103], v[104:105], 1.0
	v_fma_f64 v[104:105], v[104:105], v[113:114], v[104:105]
	v_mul_f64 v[113:114], v[106:107], v[104:105]
	v_fma_f64 v[102:103], -v[102:103], v[113:114], v[106:107]
	v_div_fmas_f64 v[102:103], v[102:103], v[104:105], v[113:114]
	v_div_fixup_f64 v[102:103], v[102:103], v[121:122], v[123:124]
	v_fma_f64 v[104:105], v[123:124], v[102:103], v[121:122]
	v_div_scale_f64 v[106:107], s[20:21], v[104:105], v[104:105], 1.0
	v_div_scale_f64 v[117:118], vcc, 1.0, v[104:105], 1.0
	v_rcp_f64_e32 v[113:114], v[106:107]
	v_fma_f64 v[115:116], -v[106:107], v[113:114], 1.0
	v_fma_f64 v[113:114], v[113:114], v[115:116], v[113:114]
	v_fma_f64 v[115:116], -v[106:107], v[113:114], 1.0
	v_fma_f64 v[113:114], v[113:114], v[115:116], v[113:114]
	v_mul_f64 v[115:116], v[117:118], v[113:114]
	v_fma_f64 v[106:107], -v[106:107], v[115:116], v[117:118]
	v_div_fmas_f64 v[106:107], v[106:107], v[113:114], v[115:116]
	v_div_fixup_f64 v[121:122], v[106:107], v[104:105], 1.0
	v_mul_f64 v[123:124], v[102:103], -v[121:122]
.LBB74_639:
	s_or_b64 exec, exec, s[18:19]
.LBB74_640:
	s_or_b64 exec, exec, s[0:1]
	v_cmp_ne_u32_e32 vcc, v100, v101
	s_and_saveexec_b64 s[0:1], vcc
	s_xor_b64 s[0:1], exec, s[0:1]
	s_cbranch_execz .LBB74_646
; %bb.641:
	v_cmp_eq_u32_e32 vcc, 30, v100
	s_and_saveexec_b64 s[18:19], vcc
	s_cbranch_execz .LBB74_645
; %bb.642:
	v_cmp_ne_u32_e32 vcc, 30, v101
	s_xor_b64 s[20:21], s[6:7], -1
	s_and_b64 s[22:23], s[20:21], vcc
	s_and_saveexec_b64 s[20:21], s[22:23]
	s_cbranch_execz .LBB74_644
; %bb.643:
	v_ashrrev_i32_e32 v102, 31, v101
	v_lshlrev_b64 v[102:103], 2, v[101:102]
	v_add_co_u32_e32 v102, vcc, v119, v102
	v_addc_co_u32_e32 v103, vcc, v120, v103, vcc
	global_load_dword v0, v[102:103], off
	global_load_dword v100, v[119:120], off offset:120
	s_waitcnt vmcnt(1)
	global_store_dword v[119:120], v0, off offset:120
	s_waitcnt vmcnt(1)
	global_store_dword v[102:103], v100, off
.LBB74_644:
	s_or_b64 exec, exec, s[20:21]
	v_mov_b32_e32 v100, v101
	v_mov_b32_e32 v0, v101
.LBB74_645:
	s_or_b64 exec, exec, s[18:19]
.LBB74_646:
	s_andn2_saveexec_b64 s[0:1], s[0:1]
	s_cbranch_execz .LBB74_648
; %bb.647:
	v_mov_b32_e32 v100, 30
	ds_write2_b64 v98, v[21:22], v[23:24] offset0:62 offset1:63
	ds_write2_b64 v98, v[17:18], v[19:20] offset0:64 offset1:65
	;; [unrolled: 1-line block ×7, first 2 shown]
.LBB74_648:
	s_or_b64 exec, exec, s[0:1]
	v_cmp_lt_i32_e32 vcc, 30, v100
	s_waitcnt vmcnt(0) lgkmcnt(0)
	s_barrier
	s_and_saveexec_b64 s[0:1], vcc
	s_cbranch_execz .LBB74_650
; %bb.649:
	v_mul_f64 v[101:102], v[121:122], v[27:28]
	v_mul_f64 v[27:28], v[123:124], v[27:28]
	ds_read2_b64 v[103:106], v98 offset0:62 offset1:63
	v_fma_f64 v[101:102], v[123:124], v[25:26], v[101:102]
	v_fma_f64 v[25:26], v[121:122], v[25:26], -v[27:28]
	s_waitcnt lgkmcnt(0)
	v_mul_f64 v[27:28], v[105:106], v[101:102]
	v_fma_f64 v[27:28], v[103:104], v[25:26], -v[27:28]
	v_mul_f64 v[103:104], v[103:104], v[101:102]
	v_add_f64 v[21:22], v[21:22], -v[27:28]
	v_fma_f64 v[103:104], v[105:106], v[25:26], v[103:104]
	v_add_f64 v[23:24], v[23:24], -v[103:104]
	ds_read2_b64 v[103:106], v98 offset0:64 offset1:65
	s_waitcnt lgkmcnt(0)
	v_mul_f64 v[27:28], v[105:106], v[101:102]
	v_fma_f64 v[27:28], v[103:104], v[25:26], -v[27:28]
	v_mul_f64 v[103:104], v[103:104], v[101:102]
	v_add_f64 v[17:18], v[17:18], -v[27:28]
	v_fma_f64 v[103:104], v[105:106], v[25:26], v[103:104]
	v_add_f64 v[19:20], v[19:20], -v[103:104]
	ds_read2_b64 v[103:106], v98 offset0:66 offset1:67
	;; [unrolled: 8-line block ×6, first 2 shown]
	s_waitcnt lgkmcnt(0)
	v_mul_f64 v[27:28], v[105:106], v[101:102]
	v_fma_f64 v[27:28], v[103:104], v[25:26], -v[27:28]
	v_mul_f64 v[103:104], v[103:104], v[101:102]
	v_add_f64 v[109:110], v[109:110], -v[27:28]
	v_fma_f64 v[103:104], v[105:106], v[25:26], v[103:104]
	v_mov_b32_e32 v27, v101
	v_mov_b32_e32 v28, v102
	v_add_f64 v[111:112], v[111:112], -v[103:104]
.LBB74_650:
	s_or_b64 exec, exec, s[0:1]
	v_lshl_add_u32 v101, v100, 4, v98
	s_barrier
	ds_write2_b64 v101, v[21:22], v[23:24] offset1:1
	s_waitcnt lgkmcnt(0)
	s_barrier
	ds_read2_b64 v[121:124], v98 offset0:62 offset1:63
	s_cmp_lt_i32 s3, 33
	v_mov_b32_e32 v101, 31
	s_cbranch_scc1 .LBB74_653
; %bb.651:
	v_add_u32_e32 v102, 0x200, v98
	s_mov_b32 s0, 32
	v_mov_b32_e32 v101, 31
.LBB74_652:                             ; =>This Inner Loop Header: Depth=1
	s_waitcnt lgkmcnt(0)
	v_cmp_gt_f64_e32 vcc, 0, v[121:122]
	v_xor_b32_e32 v107, 0x80000000, v122
	ds_read2_b64 v[103:106], v102 offset1:1
	v_xor_b32_e32 v113, 0x80000000, v124
	v_add_u32_e32 v102, 16, v102
	s_waitcnt lgkmcnt(0)
	v_xor_b32_e32 v115, 0x80000000, v106
	v_cndmask_b32_e32 v108, v122, v107, vcc
	v_cmp_gt_f64_e32 vcc, 0, v[123:124]
	v_mov_b32_e32 v107, v121
	v_cndmask_b32_e32 v114, v124, v113, vcc
	v_cmp_gt_f64_e32 vcc, 0, v[103:104]
	v_mov_b32_e32 v113, v123
	v_add_f64 v[107:108], v[107:108], v[113:114]
	v_xor_b32_e32 v113, 0x80000000, v104
	v_cndmask_b32_e32 v114, v104, v113, vcc
	v_cmp_gt_f64_e32 vcc, 0, v[105:106]
	v_mov_b32_e32 v113, v103
	v_cndmask_b32_e32 v116, v106, v115, vcc
	v_mov_b32_e32 v115, v105
	v_add_f64 v[113:114], v[113:114], v[115:116]
	v_cmp_lt_f64_e32 vcc, v[107:108], v[113:114]
	v_cndmask_b32_e32 v121, v121, v103, vcc
	v_mov_b32_e32 v103, s0
	s_add_i32 s0, s0, 1
	v_cndmask_b32_e32 v122, v122, v104, vcc
	v_cndmask_b32_e32 v124, v124, v106, vcc
	;; [unrolled: 1-line block ×4, first 2 shown]
	s_cmp_lg_u32 s3, s0
	s_cbranch_scc1 .LBB74_652
.LBB74_653:
	s_waitcnt lgkmcnt(0)
	v_cmp_eq_f64_e32 vcc, 0, v[121:122]
	v_cmp_eq_f64_e64 s[0:1], 0, v[123:124]
	s_and_b64 s[0:1], vcc, s[0:1]
	s_and_saveexec_b64 s[18:19], s[0:1]
	s_xor_b64 s[0:1], exec, s[18:19]
; %bb.654:
	v_cmp_ne_u32_e32 vcc, 0, v99
	v_cndmask_b32_e32 v99, 32, v99, vcc
; %bb.655:
	s_andn2_saveexec_b64 s[0:1], s[0:1]
	s_cbranch_execz .LBB74_661
; %bb.656:
	v_cmp_ngt_f64_e64 s[18:19], |v[121:122]|, |v[123:124]|
	s_and_saveexec_b64 s[20:21], s[18:19]
	s_xor_b64 s[18:19], exec, s[20:21]
	s_cbranch_execz .LBB74_658
; %bb.657:
	v_div_scale_f64 v[102:103], s[20:21], v[123:124], v[123:124], v[121:122]
	v_rcp_f64_e32 v[104:105], v[102:103]
	v_fma_f64 v[106:107], -v[102:103], v[104:105], 1.0
	v_fma_f64 v[104:105], v[104:105], v[106:107], v[104:105]
	v_div_scale_f64 v[106:107], vcc, v[121:122], v[123:124], v[121:122]
	v_fma_f64 v[113:114], -v[102:103], v[104:105], 1.0
	v_fma_f64 v[104:105], v[104:105], v[113:114], v[104:105]
	v_mul_f64 v[113:114], v[106:107], v[104:105]
	v_fma_f64 v[102:103], -v[102:103], v[113:114], v[106:107]
	v_div_fmas_f64 v[102:103], v[102:103], v[104:105], v[113:114]
	v_div_fixup_f64 v[102:103], v[102:103], v[123:124], v[121:122]
	v_fma_f64 v[104:105], v[121:122], v[102:103], v[123:124]
	v_div_scale_f64 v[106:107], s[20:21], v[104:105], v[104:105], 1.0
	v_div_scale_f64 v[117:118], vcc, 1.0, v[104:105], 1.0
	v_rcp_f64_e32 v[113:114], v[106:107]
	v_fma_f64 v[115:116], -v[106:107], v[113:114], 1.0
	v_fma_f64 v[113:114], v[113:114], v[115:116], v[113:114]
	v_fma_f64 v[115:116], -v[106:107], v[113:114], 1.0
	v_fma_f64 v[113:114], v[113:114], v[115:116], v[113:114]
	v_mul_f64 v[115:116], v[117:118], v[113:114]
	v_fma_f64 v[106:107], -v[106:107], v[115:116], v[117:118]
	v_div_fmas_f64 v[106:107], v[106:107], v[113:114], v[115:116]
	v_div_fixup_f64 v[123:124], v[106:107], v[104:105], 1.0
	v_mul_f64 v[121:122], v[102:103], v[123:124]
	v_xor_b32_e32 v124, 0x80000000, v124
.LBB74_658:
	s_andn2_saveexec_b64 s[18:19], s[18:19]
	s_cbranch_execz .LBB74_660
; %bb.659:
	v_div_scale_f64 v[102:103], s[20:21], v[121:122], v[121:122], v[123:124]
	v_rcp_f64_e32 v[104:105], v[102:103]
	v_fma_f64 v[106:107], -v[102:103], v[104:105], 1.0
	v_fma_f64 v[104:105], v[104:105], v[106:107], v[104:105]
	v_div_scale_f64 v[106:107], vcc, v[123:124], v[121:122], v[123:124]
	v_fma_f64 v[113:114], -v[102:103], v[104:105], 1.0
	v_fma_f64 v[104:105], v[104:105], v[113:114], v[104:105]
	v_mul_f64 v[113:114], v[106:107], v[104:105]
	v_fma_f64 v[102:103], -v[102:103], v[113:114], v[106:107]
	v_div_fmas_f64 v[102:103], v[102:103], v[104:105], v[113:114]
	v_div_fixup_f64 v[102:103], v[102:103], v[121:122], v[123:124]
	v_fma_f64 v[104:105], v[123:124], v[102:103], v[121:122]
	v_div_scale_f64 v[106:107], s[20:21], v[104:105], v[104:105], 1.0
	v_div_scale_f64 v[117:118], vcc, 1.0, v[104:105], 1.0
	v_rcp_f64_e32 v[113:114], v[106:107]
	v_fma_f64 v[115:116], -v[106:107], v[113:114], 1.0
	v_fma_f64 v[113:114], v[113:114], v[115:116], v[113:114]
	v_fma_f64 v[115:116], -v[106:107], v[113:114], 1.0
	v_fma_f64 v[113:114], v[113:114], v[115:116], v[113:114]
	v_mul_f64 v[115:116], v[117:118], v[113:114]
	v_fma_f64 v[106:107], -v[106:107], v[115:116], v[117:118]
	v_div_fmas_f64 v[106:107], v[106:107], v[113:114], v[115:116]
	v_div_fixup_f64 v[121:122], v[106:107], v[104:105], 1.0
	v_mul_f64 v[123:124], v[102:103], -v[121:122]
.LBB74_660:
	s_or_b64 exec, exec, s[18:19]
.LBB74_661:
	s_or_b64 exec, exec, s[0:1]
	v_cmp_ne_u32_e32 vcc, v100, v101
	s_and_saveexec_b64 s[0:1], vcc
	s_xor_b64 s[0:1], exec, s[0:1]
	s_cbranch_execz .LBB74_667
; %bb.662:
	v_cmp_eq_u32_e32 vcc, 31, v100
	s_and_saveexec_b64 s[18:19], vcc
	s_cbranch_execz .LBB74_666
; %bb.663:
	v_cmp_ne_u32_e32 vcc, 31, v101
	s_xor_b64 s[20:21], s[6:7], -1
	s_and_b64 s[22:23], s[20:21], vcc
	s_and_saveexec_b64 s[20:21], s[22:23]
	s_cbranch_execz .LBB74_665
; %bb.664:
	v_ashrrev_i32_e32 v102, 31, v101
	v_lshlrev_b64 v[102:103], 2, v[101:102]
	v_add_co_u32_e32 v102, vcc, v119, v102
	v_addc_co_u32_e32 v103, vcc, v120, v103, vcc
	global_load_dword v0, v[102:103], off
	global_load_dword v100, v[119:120], off offset:124
	s_waitcnt vmcnt(1)
	global_store_dword v[119:120], v0, off offset:124
	s_waitcnt vmcnt(1)
	global_store_dword v[102:103], v100, off
.LBB74_665:
	s_or_b64 exec, exec, s[20:21]
	v_mov_b32_e32 v100, v101
	v_mov_b32_e32 v0, v101
.LBB74_666:
	s_or_b64 exec, exec, s[18:19]
.LBB74_667:
	s_andn2_saveexec_b64 s[0:1], s[0:1]
	s_cbranch_execz .LBB74_669
; %bb.668:
	v_mov_b32_e32 v100, 31
	ds_write2_b64 v98, v[17:18], v[19:20] offset0:64 offset1:65
	ds_write2_b64 v98, v[13:14], v[15:16] offset0:66 offset1:67
	ds_write2_b64 v98, v[9:10], v[11:12] offset0:68 offset1:69
	ds_write2_b64 v98, v[5:6], v[7:8] offset0:70 offset1:71
	ds_write2_b64 v98, v[1:2], v[3:4] offset0:72 offset1:73
	ds_write2_b64 v98, v[109:110], v[111:112] offset0:74 offset1:75
.LBB74_669:
	s_or_b64 exec, exec, s[0:1]
	v_cmp_lt_i32_e32 vcc, 31, v100
	s_waitcnt vmcnt(0) lgkmcnt(0)
	s_barrier
	s_and_saveexec_b64 s[0:1], vcc
	s_cbranch_execz .LBB74_671
; %bb.670:
	v_mul_f64 v[101:102], v[121:122], v[23:24]
	v_mul_f64 v[23:24], v[123:124], v[23:24]
	ds_read2_b64 v[103:106], v98 offset0:64 offset1:65
	v_fma_f64 v[101:102], v[123:124], v[21:22], v[101:102]
	v_fma_f64 v[21:22], v[121:122], v[21:22], -v[23:24]
	s_waitcnt lgkmcnt(0)
	v_mul_f64 v[23:24], v[105:106], v[101:102]
	v_fma_f64 v[23:24], v[103:104], v[21:22], -v[23:24]
	v_mul_f64 v[103:104], v[103:104], v[101:102]
	v_add_f64 v[17:18], v[17:18], -v[23:24]
	v_fma_f64 v[103:104], v[105:106], v[21:22], v[103:104]
	v_add_f64 v[19:20], v[19:20], -v[103:104]
	ds_read2_b64 v[103:106], v98 offset0:66 offset1:67
	s_waitcnt lgkmcnt(0)
	v_mul_f64 v[23:24], v[105:106], v[101:102]
	v_fma_f64 v[23:24], v[103:104], v[21:22], -v[23:24]
	v_mul_f64 v[103:104], v[103:104], v[101:102]
	v_add_f64 v[13:14], v[13:14], -v[23:24]
	v_fma_f64 v[103:104], v[105:106], v[21:22], v[103:104]
	v_add_f64 v[15:16], v[15:16], -v[103:104]
	ds_read2_b64 v[103:106], v98 offset0:68 offset1:69
	;; [unrolled: 8-line block ×5, first 2 shown]
	s_waitcnt lgkmcnt(0)
	v_mul_f64 v[23:24], v[105:106], v[101:102]
	v_fma_f64 v[23:24], v[103:104], v[21:22], -v[23:24]
	v_mul_f64 v[103:104], v[103:104], v[101:102]
	v_add_f64 v[109:110], v[109:110], -v[23:24]
	v_fma_f64 v[103:104], v[105:106], v[21:22], v[103:104]
	v_mov_b32_e32 v23, v101
	v_mov_b32_e32 v24, v102
	v_add_f64 v[111:112], v[111:112], -v[103:104]
.LBB74_671:
	s_or_b64 exec, exec, s[0:1]
	v_lshl_add_u32 v101, v100, 4, v98
	s_barrier
	ds_write2_b64 v101, v[17:18], v[19:20] offset1:1
	s_waitcnt lgkmcnt(0)
	s_barrier
	ds_read2_b64 v[121:124], v98 offset0:64 offset1:65
	s_cmp_lt_i32 s3, 34
	v_mov_b32_e32 v101, 32
	s_cbranch_scc1 .LBB74_674
; %bb.672:
	v_add_u32_e32 v102, 0x210, v98
	s_mov_b32 s0, 33
	v_mov_b32_e32 v101, 32
.LBB74_673:                             ; =>This Inner Loop Header: Depth=1
	s_waitcnt lgkmcnt(0)
	v_cmp_gt_f64_e32 vcc, 0, v[121:122]
	v_xor_b32_e32 v107, 0x80000000, v122
	ds_read2_b64 v[103:106], v102 offset1:1
	v_xor_b32_e32 v113, 0x80000000, v124
	v_add_u32_e32 v102, 16, v102
	s_waitcnt lgkmcnt(0)
	v_xor_b32_e32 v115, 0x80000000, v106
	v_cndmask_b32_e32 v108, v122, v107, vcc
	v_cmp_gt_f64_e32 vcc, 0, v[123:124]
	v_mov_b32_e32 v107, v121
	v_cndmask_b32_e32 v114, v124, v113, vcc
	v_cmp_gt_f64_e32 vcc, 0, v[103:104]
	v_mov_b32_e32 v113, v123
	v_add_f64 v[107:108], v[107:108], v[113:114]
	v_xor_b32_e32 v113, 0x80000000, v104
	v_cndmask_b32_e32 v114, v104, v113, vcc
	v_cmp_gt_f64_e32 vcc, 0, v[105:106]
	v_mov_b32_e32 v113, v103
	v_cndmask_b32_e32 v116, v106, v115, vcc
	v_mov_b32_e32 v115, v105
	v_add_f64 v[113:114], v[113:114], v[115:116]
	v_cmp_lt_f64_e32 vcc, v[107:108], v[113:114]
	v_cndmask_b32_e32 v121, v121, v103, vcc
	v_mov_b32_e32 v103, s0
	s_add_i32 s0, s0, 1
	v_cndmask_b32_e32 v122, v122, v104, vcc
	v_cndmask_b32_e32 v124, v124, v106, vcc
	;; [unrolled: 1-line block ×4, first 2 shown]
	s_cmp_lg_u32 s3, s0
	s_cbranch_scc1 .LBB74_673
.LBB74_674:
	s_waitcnt lgkmcnt(0)
	v_cmp_eq_f64_e32 vcc, 0, v[121:122]
	v_cmp_eq_f64_e64 s[0:1], 0, v[123:124]
	s_and_b64 s[0:1], vcc, s[0:1]
	s_and_saveexec_b64 s[18:19], s[0:1]
	s_xor_b64 s[0:1], exec, s[18:19]
; %bb.675:
	v_cmp_ne_u32_e32 vcc, 0, v99
	v_cndmask_b32_e32 v99, 33, v99, vcc
; %bb.676:
	s_andn2_saveexec_b64 s[0:1], s[0:1]
	s_cbranch_execz .LBB74_682
; %bb.677:
	v_cmp_ngt_f64_e64 s[18:19], |v[121:122]|, |v[123:124]|
	s_and_saveexec_b64 s[20:21], s[18:19]
	s_xor_b64 s[18:19], exec, s[20:21]
	s_cbranch_execz .LBB74_679
; %bb.678:
	v_div_scale_f64 v[102:103], s[20:21], v[123:124], v[123:124], v[121:122]
	v_rcp_f64_e32 v[104:105], v[102:103]
	v_fma_f64 v[106:107], -v[102:103], v[104:105], 1.0
	v_fma_f64 v[104:105], v[104:105], v[106:107], v[104:105]
	v_div_scale_f64 v[106:107], vcc, v[121:122], v[123:124], v[121:122]
	v_fma_f64 v[113:114], -v[102:103], v[104:105], 1.0
	v_fma_f64 v[104:105], v[104:105], v[113:114], v[104:105]
	v_mul_f64 v[113:114], v[106:107], v[104:105]
	v_fma_f64 v[102:103], -v[102:103], v[113:114], v[106:107]
	v_div_fmas_f64 v[102:103], v[102:103], v[104:105], v[113:114]
	v_div_fixup_f64 v[102:103], v[102:103], v[123:124], v[121:122]
	v_fma_f64 v[104:105], v[121:122], v[102:103], v[123:124]
	v_div_scale_f64 v[106:107], s[20:21], v[104:105], v[104:105], 1.0
	v_div_scale_f64 v[117:118], vcc, 1.0, v[104:105], 1.0
	v_rcp_f64_e32 v[113:114], v[106:107]
	v_fma_f64 v[115:116], -v[106:107], v[113:114], 1.0
	v_fma_f64 v[113:114], v[113:114], v[115:116], v[113:114]
	v_fma_f64 v[115:116], -v[106:107], v[113:114], 1.0
	v_fma_f64 v[113:114], v[113:114], v[115:116], v[113:114]
	v_mul_f64 v[115:116], v[117:118], v[113:114]
	v_fma_f64 v[106:107], -v[106:107], v[115:116], v[117:118]
	v_div_fmas_f64 v[106:107], v[106:107], v[113:114], v[115:116]
	v_div_fixup_f64 v[123:124], v[106:107], v[104:105], 1.0
	v_mul_f64 v[121:122], v[102:103], v[123:124]
	v_xor_b32_e32 v124, 0x80000000, v124
.LBB74_679:
	s_andn2_saveexec_b64 s[18:19], s[18:19]
	s_cbranch_execz .LBB74_681
; %bb.680:
	v_div_scale_f64 v[102:103], s[20:21], v[121:122], v[121:122], v[123:124]
	v_rcp_f64_e32 v[104:105], v[102:103]
	v_fma_f64 v[106:107], -v[102:103], v[104:105], 1.0
	v_fma_f64 v[104:105], v[104:105], v[106:107], v[104:105]
	v_div_scale_f64 v[106:107], vcc, v[123:124], v[121:122], v[123:124]
	v_fma_f64 v[113:114], -v[102:103], v[104:105], 1.0
	v_fma_f64 v[104:105], v[104:105], v[113:114], v[104:105]
	v_mul_f64 v[113:114], v[106:107], v[104:105]
	v_fma_f64 v[102:103], -v[102:103], v[113:114], v[106:107]
	v_div_fmas_f64 v[102:103], v[102:103], v[104:105], v[113:114]
	v_div_fixup_f64 v[102:103], v[102:103], v[121:122], v[123:124]
	v_fma_f64 v[104:105], v[123:124], v[102:103], v[121:122]
	v_div_scale_f64 v[106:107], s[20:21], v[104:105], v[104:105], 1.0
	v_div_scale_f64 v[117:118], vcc, 1.0, v[104:105], 1.0
	v_rcp_f64_e32 v[113:114], v[106:107]
	v_fma_f64 v[115:116], -v[106:107], v[113:114], 1.0
	v_fma_f64 v[113:114], v[113:114], v[115:116], v[113:114]
	v_fma_f64 v[115:116], -v[106:107], v[113:114], 1.0
	v_fma_f64 v[113:114], v[113:114], v[115:116], v[113:114]
	v_mul_f64 v[115:116], v[117:118], v[113:114]
	v_fma_f64 v[106:107], -v[106:107], v[115:116], v[117:118]
	v_div_fmas_f64 v[106:107], v[106:107], v[113:114], v[115:116]
	v_div_fixup_f64 v[121:122], v[106:107], v[104:105], 1.0
	v_mul_f64 v[123:124], v[102:103], -v[121:122]
.LBB74_681:
	s_or_b64 exec, exec, s[18:19]
.LBB74_682:
	s_or_b64 exec, exec, s[0:1]
	v_cmp_ne_u32_e32 vcc, v100, v101
	s_and_saveexec_b64 s[0:1], vcc
	s_xor_b64 s[0:1], exec, s[0:1]
	s_cbranch_execz .LBB74_688
; %bb.683:
	v_cmp_eq_u32_e32 vcc, 32, v100
	s_and_saveexec_b64 s[18:19], vcc
	s_cbranch_execz .LBB74_687
; %bb.684:
	v_cmp_ne_u32_e32 vcc, 32, v101
	s_xor_b64 s[20:21], s[6:7], -1
	s_and_b64 s[22:23], s[20:21], vcc
	s_and_saveexec_b64 s[20:21], s[22:23]
	s_cbranch_execz .LBB74_686
; %bb.685:
	v_ashrrev_i32_e32 v102, 31, v101
	v_lshlrev_b64 v[102:103], 2, v[101:102]
	v_add_co_u32_e32 v102, vcc, v119, v102
	v_addc_co_u32_e32 v103, vcc, v120, v103, vcc
	global_load_dword v0, v[102:103], off
	global_load_dword v100, v[119:120], off offset:128
	s_waitcnt vmcnt(1)
	global_store_dword v[119:120], v0, off offset:128
	s_waitcnt vmcnt(1)
	global_store_dword v[102:103], v100, off
.LBB74_686:
	s_or_b64 exec, exec, s[20:21]
	v_mov_b32_e32 v100, v101
	v_mov_b32_e32 v0, v101
.LBB74_687:
	s_or_b64 exec, exec, s[18:19]
.LBB74_688:
	s_andn2_saveexec_b64 s[0:1], s[0:1]
	s_cbranch_execz .LBB74_690
; %bb.689:
	v_mov_b32_e32 v100, 32
	ds_write2_b64 v98, v[13:14], v[15:16] offset0:66 offset1:67
	ds_write2_b64 v98, v[9:10], v[11:12] offset0:68 offset1:69
	;; [unrolled: 1-line block ×5, first 2 shown]
.LBB74_690:
	s_or_b64 exec, exec, s[0:1]
	v_cmp_lt_i32_e32 vcc, 32, v100
	s_waitcnt vmcnt(0) lgkmcnt(0)
	s_barrier
	s_and_saveexec_b64 s[0:1], vcc
	s_cbranch_execz .LBB74_692
; %bb.691:
	v_mul_f64 v[101:102], v[121:122], v[19:20]
	v_mul_f64 v[19:20], v[123:124], v[19:20]
	v_fma_f64 v[105:106], v[123:124], v[17:18], v[101:102]
	ds_read2_b64 v[101:104], v98 offset0:66 offset1:67
	v_fma_f64 v[17:18], v[121:122], v[17:18], -v[19:20]
	s_waitcnt lgkmcnt(0)
	v_mul_f64 v[19:20], v[103:104], v[105:106]
	v_fma_f64 v[19:20], v[101:102], v[17:18], -v[19:20]
	v_mul_f64 v[101:102], v[101:102], v[105:106]
	v_add_f64 v[13:14], v[13:14], -v[19:20]
	v_fma_f64 v[101:102], v[103:104], v[17:18], v[101:102]
	v_add_f64 v[15:16], v[15:16], -v[101:102]
	ds_read2_b64 v[101:104], v98 offset0:68 offset1:69
	s_waitcnt lgkmcnt(0)
	v_mul_f64 v[19:20], v[103:104], v[105:106]
	v_fma_f64 v[19:20], v[101:102], v[17:18], -v[19:20]
	v_mul_f64 v[101:102], v[101:102], v[105:106]
	v_add_f64 v[9:10], v[9:10], -v[19:20]
	v_fma_f64 v[101:102], v[103:104], v[17:18], v[101:102]
	v_add_f64 v[11:12], v[11:12], -v[101:102]
	ds_read2_b64 v[101:104], v98 offset0:70 offset1:71
	;; [unrolled: 8-line block ×4, first 2 shown]
	s_waitcnt lgkmcnt(0)
	v_mul_f64 v[19:20], v[103:104], v[105:106]
	v_fma_f64 v[19:20], v[101:102], v[17:18], -v[19:20]
	v_mul_f64 v[101:102], v[101:102], v[105:106]
	v_add_f64 v[109:110], v[109:110], -v[19:20]
	v_fma_f64 v[101:102], v[103:104], v[17:18], v[101:102]
	v_mov_b32_e32 v19, v105
	v_mov_b32_e32 v20, v106
	v_add_f64 v[111:112], v[111:112], -v[101:102]
.LBB74_692:
	s_or_b64 exec, exec, s[0:1]
	v_lshl_add_u32 v101, v100, 4, v98
	s_barrier
	ds_write2_b64 v101, v[13:14], v[15:16] offset1:1
	s_waitcnt lgkmcnt(0)
	s_barrier
	ds_read2_b64 v[121:124], v98 offset0:66 offset1:67
	s_cmp_lt_i32 s3, 35
	v_mov_b32_e32 v101, 33
	s_cbranch_scc1 .LBB74_695
; %bb.693:
	v_add_u32_e32 v102, 0x220, v98
	s_mov_b32 s0, 34
	v_mov_b32_e32 v101, 33
.LBB74_694:                             ; =>This Inner Loop Header: Depth=1
	s_waitcnt lgkmcnt(0)
	v_cmp_gt_f64_e32 vcc, 0, v[121:122]
	v_xor_b32_e32 v107, 0x80000000, v122
	ds_read2_b64 v[103:106], v102 offset1:1
	v_xor_b32_e32 v113, 0x80000000, v124
	v_add_u32_e32 v102, 16, v102
	s_waitcnt lgkmcnt(0)
	v_xor_b32_e32 v115, 0x80000000, v106
	v_cndmask_b32_e32 v108, v122, v107, vcc
	v_cmp_gt_f64_e32 vcc, 0, v[123:124]
	v_mov_b32_e32 v107, v121
	v_cndmask_b32_e32 v114, v124, v113, vcc
	v_cmp_gt_f64_e32 vcc, 0, v[103:104]
	v_mov_b32_e32 v113, v123
	v_add_f64 v[107:108], v[107:108], v[113:114]
	v_xor_b32_e32 v113, 0x80000000, v104
	v_cndmask_b32_e32 v114, v104, v113, vcc
	v_cmp_gt_f64_e32 vcc, 0, v[105:106]
	v_mov_b32_e32 v113, v103
	v_cndmask_b32_e32 v116, v106, v115, vcc
	v_mov_b32_e32 v115, v105
	v_add_f64 v[113:114], v[113:114], v[115:116]
	v_cmp_lt_f64_e32 vcc, v[107:108], v[113:114]
	v_cndmask_b32_e32 v121, v121, v103, vcc
	v_mov_b32_e32 v103, s0
	s_add_i32 s0, s0, 1
	v_cndmask_b32_e32 v122, v122, v104, vcc
	v_cndmask_b32_e32 v124, v124, v106, vcc
	;; [unrolled: 1-line block ×4, first 2 shown]
	s_cmp_lg_u32 s3, s0
	s_cbranch_scc1 .LBB74_694
.LBB74_695:
	s_waitcnt lgkmcnt(0)
	v_cmp_eq_f64_e32 vcc, 0, v[121:122]
	v_cmp_eq_f64_e64 s[0:1], 0, v[123:124]
	s_and_b64 s[0:1], vcc, s[0:1]
	s_and_saveexec_b64 s[18:19], s[0:1]
	s_xor_b64 s[0:1], exec, s[18:19]
; %bb.696:
	v_cmp_ne_u32_e32 vcc, 0, v99
	v_cndmask_b32_e32 v99, 34, v99, vcc
; %bb.697:
	s_andn2_saveexec_b64 s[0:1], s[0:1]
	s_cbranch_execz .LBB74_703
; %bb.698:
	v_cmp_ngt_f64_e64 s[18:19], |v[121:122]|, |v[123:124]|
	s_and_saveexec_b64 s[20:21], s[18:19]
	s_xor_b64 s[18:19], exec, s[20:21]
	s_cbranch_execz .LBB74_700
; %bb.699:
	v_div_scale_f64 v[102:103], s[20:21], v[123:124], v[123:124], v[121:122]
	v_rcp_f64_e32 v[104:105], v[102:103]
	v_fma_f64 v[106:107], -v[102:103], v[104:105], 1.0
	v_fma_f64 v[104:105], v[104:105], v[106:107], v[104:105]
	v_div_scale_f64 v[106:107], vcc, v[121:122], v[123:124], v[121:122]
	v_fma_f64 v[113:114], -v[102:103], v[104:105], 1.0
	v_fma_f64 v[104:105], v[104:105], v[113:114], v[104:105]
	v_mul_f64 v[113:114], v[106:107], v[104:105]
	v_fma_f64 v[102:103], -v[102:103], v[113:114], v[106:107]
	v_div_fmas_f64 v[102:103], v[102:103], v[104:105], v[113:114]
	v_div_fixup_f64 v[102:103], v[102:103], v[123:124], v[121:122]
	v_fma_f64 v[104:105], v[121:122], v[102:103], v[123:124]
	v_div_scale_f64 v[106:107], s[20:21], v[104:105], v[104:105], 1.0
	v_div_scale_f64 v[117:118], vcc, 1.0, v[104:105], 1.0
	v_rcp_f64_e32 v[113:114], v[106:107]
	v_fma_f64 v[115:116], -v[106:107], v[113:114], 1.0
	v_fma_f64 v[113:114], v[113:114], v[115:116], v[113:114]
	v_fma_f64 v[115:116], -v[106:107], v[113:114], 1.0
	v_fma_f64 v[113:114], v[113:114], v[115:116], v[113:114]
	v_mul_f64 v[115:116], v[117:118], v[113:114]
	v_fma_f64 v[106:107], -v[106:107], v[115:116], v[117:118]
	v_div_fmas_f64 v[106:107], v[106:107], v[113:114], v[115:116]
	v_div_fixup_f64 v[123:124], v[106:107], v[104:105], 1.0
	v_mul_f64 v[121:122], v[102:103], v[123:124]
	v_xor_b32_e32 v124, 0x80000000, v124
.LBB74_700:
	s_andn2_saveexec_b64 s[18:19], s[18:19]
	s_cbranch_execz .LBB74_702
; %bb.701:
	v_div_scale_f64 v[102:103], s[20:21], v[121:122], v[121:122], v[123:124]
	v_rcp_f64_e32 v[104:105], v[102:103]
	v_fma_f64 v[106:107], -v[102:103], v[104:105], 1.0
	v_fma_f64 v[104:105], v[104:105], v[106:107], v[104:105]
	v_div_scale_f64 v[106:107], vcc, v[123:124], v[121:122], v[123:124]
	v_fma_f64 v[113:114], -v[102:103], v[104:105], 1.0
	v_fma_f64 v[104:105], v[104:105], v[113:114], v[104:105]
	v_mul_f64 v[113:114], v[106:107], v[104:105]
	v_fma_f64 v[102:103], -v[102:103], v[113:114], v[106:107]
	v_div_fmas_f64 v[102:103], v[102:103], v[104:105], v[113:114]
	v_div_fixup_f64 v[102:103], v[102:103], v[121:122], v[123:124]
	v_fma_f64 v[104:105], v[123:124], v[102:103], v[121:122]
	v_div_scale_f64 v[106:107], s[20:21], v[104:105], v[104:105], 1.0
	v_div_scale_f64 v[117:118], vcc, 1.0, v[104:105], 1.0
	v_rcp_f64_e32 v[113:114], v[106:107]
	v_fma_f64 v[115:116], -v[106:107], v[113:114], 1.0
	v_fma_f64 v[113:114], v[113:114], v[115:116], v[113:114]
	v_fma_f64 v[115:116], -v[106:107], v[113:114], 1.0
	v_fma_f64 v[113:114], v[113:114], v[115:116], v[113:114]
	v_mul_f64 v[115:116], v[117:118], v[113:114]
	v_fma_f64 v[106:107], -v[106:107], v[115:116], v[117:118]
	v_div_fmas_f64 v[106:107], v[106:107], v[113:114], v[115:116]
	v_div_fixup_f64 v[121:122], v[106:107], v[104:105], 1.0
	v_mul_f64 v[123:124], v[102:103], -v[121:122]
.LBB74_702:
	s_or_b64 exec, exec, s[18:19]
.LBB74_703:
	s_or_b64 exec, exec, s[0:1]
	v_cmp_ne_u32_e32 vcc, v100, v101
	s_and_saveexec_b64 s[0:1], vcc
	s_xor_b64 s[0:1], exec, s[0:1]
	s_cbranch_execz .LBB74_709
; %bb.704:
	v_cmp_eq_u32_e32 vcc, 33, v100
	s_and_saveexec_b64 s[18:19], vcc
	s_cbranch_execz .LBB74_708
; %bb.705:
	v_cmp_ne_u32_e32 vcc, 33, v101
	s_xor_b64 s[20:21], s[6:7], -1
	s_and_b64 s[22:23], s[20:21], vcc
	s_and_saveexec_b64 s[20:21], s[22:23]
	s_cbranch_execz .LBB74_707
; %bb.706:
	v_ashrrev_i32_e32 v102, 31, v101
	v_lshlrev_b64 v[102:103], 2, v[101:102]
	v_add_co_u32_e32 v102, vcc, v119, v102
	v_addc_co_u32_e32 v103, vcc, v120, v103, vcc
	global_load_dword v0, v[102:103], off
	global_load_dword v100, v[119:120], off offset:132
	s_waitcnt vmcnt(1)
	global_store_dword v[119:120], v0, off offset:132
	s_waitcnt vmcnt(1)
	global_store_dword v[102:103], v100, off
.LBB74_707:
	s_or_b64 exec, exec, s[20:21]
	v_mov_b32_e32 v100, v101
	v_mov_b32_e32 v0, v101
.LBB74_708:
	s_or_b64 exec, exec, s[18:19]
.LBB74_709:
	s_andn2_saveexec_b64 s[0:1], s[0:1]
	s_cbranch_execz .LBB74_711
; %bb.710:
	v_mov_b32_e32 v100, 33
	ds_write2_b64 v98, v[9:10], v[11:12] offset0:68 offset1:69
	ds_write2_b64 v98, v[5:6], v[7:8] offset0:70 offset1:71
	;; [unrolled: 1-line block ×4, first 2 shown]
.LBB74_711:
	s_or_b64 exec, exec, s[0:1]
	v_cmp_lt_i32_e32 vcc, 33, v100
	s_waitcnt vmcnt(0) lgkmcnt(0)
	s_barrier
	s_and_saveexec_b64 s[0:1], vcc
	s_cbranch_execz .LBB74_713
; %bb.712:
	v_mul_f64 v[101:102], v[121:122], v[15:16]
	v_mul_f64 v[15:16], v[123:124], v[15:16]
	v_fma_f64 v[105:106], v[123:124], v[13:14], v[101:102]
	ds_read2_b64 v[101:104], v98 offset0:68 offset1:69
	v_fma_f64 v[13:14], v[121:122], v[13:14], -v[15:16]
	s_waitcnt lgkmcnt(0)
	v_mul_f64 v[15:16], v[103:104], v[105:106]
	v_fma_f64 v[15:16], v[101:102], v[13:14], -v[15:16]
	v_mul_f64 v[101:102], v[101:102], v[105:106]
	v_add_f64 v[9:10], v[9:10], -v[15:16]
	v_fma_f64 v[101:102], v[103:104], v[13:14], v[101:102]
	v_add_f64 v[11:12], v[11:12], -v[101:102]
	ds_read2_b64 v[101:104], v98 offset0:70 offset1:71
	s_waitcnt lgkmcnt(0)
	v_mul_f64 v[15:16], v[103:104], v[105:106]
	v_fma_f64 v[15:16], v[101:102], v[13:14], -v[15:16]
	v_mul_f64 v[101:102], v[101:102], v[105:106]
	v_add_f64 v[5:6], v[5:6], -v[15:16]
	v_fma_f64 v[101:102], v[103:104], v[13:14], v[101:102]
	v_add_f64 v[7:8], v[7:8], -v[101:102]
	ds_read2_b64 v[101:104], v98 offset0:72 offset1:73
	;; [unrolled: 8-line block ×3, first 2 shown]
	s_waitcnt lgkmcnt(0)
	v_mul_f64 v[15:16], v[103:104], v[105:106]
	v_fma_f64 v[15:16], v[101:102], v[13:14], -v[15:16]
	v_mul_f64 v[101:102], v[101:102], v[105:106]
	v_add_f64 v[109:110], v[109:110], -v[15:16]
	v_fma_f64 v[101:102], v[103:104], v[13:14], v[101:102]
	v_mov_b32_e32 v15, v105
	v_mov_b32_e32 v16, v106
	v_add_f64 v[111:112], v[111:112], -v[101:102]
.LBB74_713:
	s_or_b64 exec, exec, s[0:1]
	v_lshl_add_u32 v101, v100, 4, v98
	s_barrier
	ds_write2_b64 v101, v[9:10], v[11:12] offset1:1
	s_waitcnt lgkmcnt(0)
	s_barrier
	ds_read2_b64 v[121:124], v98 offset0:68 offset1:69
	s_cmp_lt_i32 s3, 36
	v_mov_b32_e32 v101, 34
	s_cbranch_scc1 .LBB74_716
; %bb.714:
	v_add_u32_e32 v102, 0x230, v98
	s_mov_b32 s0, 35
	v_mov_b32_e32 v101, 34
.LBB74_715:                             ; =>This Inner Loop Header: Depth=1
	s_waitcnt lgkmcnt(0)
	v_cmp_gt_f64_e32 vcc, 0, v[121:122]
	v_xor_b32_e32 v107, 0x80000000, v122
	ds_read2_b64 v[103:106], v102 offset1:1
	v_xor_b32_e32 v113, 0x80000000, v124
	v_add_u32_e32 v102, 16, v102
	s_waitcnt lgkmcnt(0)
	v_xor_b32_e32 v115, 0x80000000, v106
	v_cndmask_b32_e32 v108, v122, v107, vcc
	v_cmp_gt_f64_e32 vcc, 0, v[123:124]
	v_mov_b32_e32 v107, v121
	v_cndmask_b32_e32 v114, v124, v113, vcc
	v_cmp_gt_f64_e32 vcc, 0, v[103:104]
	v_mov_b32_e32 v113, v123
	v_add_f64 v[107:108], v[107:108], v[113:114]
	v_xor_b32_e32 v113, 0x80000000, v104
	v_cndmask_b32_e32 v114, v104, v113, vcc
	v_cmp_gt_f64_e32 vcc, 0, v[105:106]
	v_mov_b32_e32 v113, v103
	v_cndmask_b32_e32 v116, v106, v115, vcc
	v_mov_b32_e32 v115, v105
	v_add_f64 v[113:114], v[113:114], v[115:116]
	v_cmp_lt_f64_e32 vcc, v[107:108], v[113:114]
	v_cndmask_b32_e32 v121, v121, v103, vcc
	v_mov_b32_e32 v103, s0
	s_add_i32 s0, s0, 1
	v_cndmask_b32_e32 v122, v122, v104, vcc
	v_cndmask_b32_e32 v124, v124, v106, vcc
	v_cndmask_b32_e32 v123, v123, v105, vcc
	v_cndmask_b32_e32 v101, v101, v103, vcc
	s_cmp_lg_u32 s3, s0
	s_cbranch_scc1 .LBB74_715
.LBB74_716:
	s_waitcnt lgkmcnt(0)
	v_cmp_eq_f64_e32 vcc, 0, v[121:122]
	v_cmp_eq_f64_e64 s[0:1], 0, v[123:124]
	s_and_b64 s[0:1], vcc, s[0:1]
	s_and_saveexec_b64 s[18:19], s[0:1]
	s_xor_b64 s[0:1], exec, s[18:19]
; %bb.717:
	v_cmp_ne_u32_e32 vcc, 0, v99
	v_cndmask_b32_e32 v99, 35, v99, vcc
; %bb.718:
	s_andn2_saveexec_b64 s[0:1], s[0:1]
	s_cbranch_execz .LBB74_724
; %bb.719:
	v_cmp_ngt_f64_e64 s[18:19], |v[121:122]|, |v[123:124]|
	s_and_saveexec_b64 s[20:21], s[18:19]
	s_xor_b64 s[18:19], exec, s[20:21]
	s_cbranch_execz .LBB74_721
; %bb.720:
	v_div_scale_f64 v[102:103], s[20:21], v[123:124], v[123:124], v[121:122]
	v_rcp_f64_e32 v[104:105], v[102:103]
	v_fma_f64 v[106:107], -v[102:103], v[104:105], 1.0
	v_fma_f64 v[104:105], v[104:105], v[106:107], v[104:105]
	v_div_scale_f64 v[106:107], vcc, v[121:122], v[123:124], v[121:122]
	v_fma_f64 v[113:114], -v[102:103], v[104:105], 1.0
	v_fma_f64 v[104:105], v[104:105], v[113:114], v[104:105]
	v_mul_f64 v[113:114], v[106:107], v[104:105]
	v_fma_f64 v[102:103], -v[102:103], v[113:114], v[106:107]
	v_div_fmas_f64 v[102:103], v[102:103], v[104:105], v[113:114]
	v_div_fixup_f64 v[102:103], v[102:103], v[123:124], v[121:122]
	v_fma_f64 v[104:105], v[121:122], v[102:103], v[123:124]
	v_div_scale_f64 v[106:107], s[20:21], v[104:105], v[104:105], 1.0
	v_div_scale_f64 v[117:118], vcc, 1.0, v[104:105], 1.0
	v_rcp_f64_e32 v[113:114], v[106:107]
	v_fma_f64 v[115:116], -v[106:107], v[113:114], 1.0
	v_fma_f64 v[113:114], v[113:114], v[115:116], v[113:114]
	v_fma_f64 v[115:116], -v[106:107], v[113:114], 1.0
	v_fma_f64 v[113:114], v[113:114], v[115:116], v[113:114]
	v_mul_f64 v[115:116], v[117:118], v[113:114]
	v_fma_f64 v[106:107], -v[106:107], v[115:116], v[117:118]
	v_div_fmas_f64 v[106:107], v[106:107], v[113:114], v[115:116]
	v_div_fixup_f64 v[123:124], v[106:107], v[104:105], 1.0
	v_mul_f64 v[121:122], v[102:103], v[123:124]
	v_xor_b32_e32 v124, 0x80000000, v124
.LBB74_721:
	s_andn2_saveexec_b64 s[18:19], s[18:19]
	s_cbranch_execz .LBB74_723
; %bb.722:
	v_div_scale_f64 v[102:103], s[20:21], v[121:122], v[121:122], v[123:124]
	v_rcp_f64_e32 v[104:105], v[102:103]
	v_fma_f64 v[106:107], -v[102:103], v[104:105], 1.0
	v_fma_f64 v[104:105], v[104:105], v[106:107], v[104:105]
	v_div_scale_f64 v[106:107], vcc, v[123:124], v[121:122], v[123:124]
	v_fma_f64 v[113:114], -v[102:103], v[104:105], 1.0
	v_fma_f64 v[104:105], v[104:105], v[113:114], v[104:105]
	v_mul_f64 v[113:114], v[106:107], v[104:105]
	v_fma_f64 v[102:103], -v[102:103], v[113:114], v[106:107]
	v_div_fmas_f64 v[102:103], v[102:103], v[104:105], v[113:114]
	v_div_fixup_f64 v[102:103], v[102:103], v[121:122], v[123:124]
	v_fma_f64 v[104:105], v[123:124], v[102:103], v[121:122]
	v_div_scale_f64 v[106:107], s[20:21], v[104:105], v[104:105], 1.0
	v_div_scale_f64 v[117:118], vcc, 1.0, v[104:105], 1.0
	v_rcp_f64_e32 v[113:114], v[106:107]
	v_fma_f64 v[115:116], -v[106:107], v[113:114], 1.0
	v_fma_f64 v[113:114], v[113:114], v[115:116], v[113:114]
	v_fma_f64 v[115:116], -v[106:107], v[113:114], 1.0
	v_fma_f64 v[113:114], v[113:114], v[115:116], v[113:114]
	v_mul_f64 v[115:116], v[117:118], v[113:114]
	v_fma_f64 v[106:107], -v[106:107], v[115:116], v[117:118]
	v_div_fmas_f64 v[106:107], v[106:107], v[113:114], v[115:116]
	v_div_fixup_f64 v[121:122], v[106:107], v[104:105], 1.0
	v_mul_f64 v[123:124], v[102:103], -v[121:122]
.LBB74_723:
	s_or_b64 exec, exec, s[18:19]
.LBB74_724:
	s_or_b64 exec, exec, s[0:1]
	v_cmp_ne_u32_e32 vcc, v100, v101
	s_and_saveexec_b64 s[0:1], vcc
	s_xor_b64 s[0:1], exec, s[0:1]
	s_cbranch_execz .LBB74_730
; %bb.725:
	v_cmp_eq_u32_e32 vcc, 34, v100
	s_and_saveexec_b64 s[18:19], vcc
	s_cbranch_execz .LBB74_729
; %bb.726:
	v_cmp_ne_u32_e32 vcc, 34, v101
	s_xor_b64 s[20:21], s[6:7], -1
	s_and_b64 s[22:23], s[20:21], vcc
	s_and_saveexec_b64 s[20:21], s[22:23]
	s_cbranch_execz .LBB74_728
; %bb.727:
	v_ashrrev_i32_e32 v102, 31, v101
	v_lshlrev_b64 v[102:103], 2, v[101:102]
	v_add_co_u32_e32 v102, vcc, v119, v102
	v_addc_co_u32_e32 v103, vcc, v120, v103, vcc
	global_load_dword v0, v[102:103], off
	global_load_dword v100, v[119:120], off offset:136
	s_waitcnt vmcnt(1)
	global_store_dword v[119:120], v0, off offset:136
	s_waitcnt vmcnt(1)
	global_store_dword v[102:103], v100, off
.LBB74_728:
	s_or_b64 exec, exec, s[20:21]
	v_mov_b32_e32 v100, v101
	v_mov_b32_e32 v0, v101
.LBB74_729:
	s_or_b64 exec, exec, s[18:19]
.LBB74_730:
	s_andn2_saveexec_b64 s[0:1], s[0:1]
	s_cbranch_execz .LBB74_732
; %bb.731:
	v_mov_b32_e32 v100, 34
	ds_write2_b64 v98, v[5:6], v[7:8] offset0:70 offset1:71
	ds_write2_b64 v98, v[1:2], v[3:4] offset0:72 offset1:73
	;; [unrolled: 1-line block ×3, first 2 shown]
.LBB74_732:
	s_or_b64 exec, exec, s[0:1]
	v_cmp_lt_i32_e32 vcc, 34, v100
	s_waitcnt vmcnt(0) lgkmcnt(0)
	s_barrier
	s_and_saveexec_b64 s[0:1], vcc
	s_cbranch_execz .LBB74_734
; %bb.733:
	v_mul_f64 v[101:102], v[121:122], v[11:12]
	v_mul_f64 v[11:12], v[123:124], v[11:12]
	v_fma_f64 v[105:106], v[123:124], v[9:10], v[101:102]
	ds_read2_b64 v[101:104], v98 offset0:70 offset1:71
	v_fma_f64 v[9:10], v[121:122], v[9:10], -v[11:12]
	s_waitcnt lgkmcnt(0)
	v_mul_f64 v[11:12], v[103:104], v[105:106]
	v_fma_f64 v[11:12], v[101:102], v[9:10], -v[11:12]
	v_mul_f64 v[101:102], v[101:102], v[105:106]
	v_add_f64 v[5:6], v[5:6], -v[11:12]
	v_fma_f64 v[101:102], v[103:104], v[9:10], v[101:102]
	v_add_f64 v[7:8], v[7:8], -v[101:102]
	ds_read2_b64 v[101:104], v98 offset0:72 offset1:73
	s_waitcnt lgkmcnt(0)
	v_mul_f64 v[11:12], v[103:104], v[105:106]
	v_fma_f64 v[11:12], v[101:102], v[9:10], -v[11:12]
	v_mul_f64 v[101:102], v[101:102], v[105:106]
	v_add_f64 v[1:2], v[1:2], -v[11:12]
	v_fma_f64 v[101:102], v[103:104], v[9:10], v[101:102]
	v_add_f64 v[3:4], v[3:4], -v[101:102]
	ds_read2_b64 v[101:104], v98 offset0:74 offset1:75
	s_waitcnt lgkmcnt(0)
	v_mul_f64 v[11:12], v[103:104], v[105:106]
	v_fma_f64 v[11:12], v[101:102], v[9:10], -v[11:12]
	v_mul_f64 v[101:102], v[101:102], v[105:106]
	v_add_f64 v[109:110], v[109:110], -v[11:12]
	v_fma_f64 v[101:102], v[103:104], v[9:10], v[101:102]
	v_mov_b32_e32 v11, v105
	v_mov_b32_e32 v12, v106
	v_add_f64 v[111:112], v[111:112], -v[101:102]
.LBB74_734:
	s_or_b64 exec, exec, s[0:1]
	v_lshl_add_u32 v101, v100, 4, v98
	s_barrier
	ds_write2_b64 v101, v[5:6], v[7:8] offset1:1
	s_waitcnt lgkmcnt(0)
	s_barrier
	ds_read2_b64 v[121:124], v98 offset0:70 offset1:71
	s_cmp_lt_i32 s3, 37
	v_mov_b32_e32 v101, 35
	s_cbranch_scc1 .LBB74_737
; %bb.735:
	v_add_u32_e32 v102, 0x240, v98
	s_mov_b32 s0, 36
	v_mov_b32_e32 v101, 35
.LBB74_736:                             ; =>This Inner Loop Header: Depth=1
	s_waitcnt lgkmcnt(0)
	v_cmp_gt_f64_e32 vcc, 0, v[121:122]
	v_xor_b32_e32 v107, 0x80000000, v122
	ds_read2_b64 v[103:106], v102 offset1:1
	v_xor_b32_e32 v113, 0x80000000, v124
	v_add_u32_e32 v102, 16, v102
	s_waitcnt lgkmcnt(0)
	v_xor_b32_e32 v115, 0x80000000, v106
	v_cndmask_b32_e32 v108, v122, v107, vcc
	v_cmp_gt_f64_e32 vcc, 0, v[123:124]
	v_mov_b32_e32 v107, v121
	v_cndmask_b32_e32 v114, v124, v113, vcc
	v_cmp_gt_f64_e32 vcc, 0, v[103:104]
	v_mov_b32_e32 v113, v123
	v_add_f64 v[107:108], v[107:108], v[113:114]
	v_xor_b32_e32 v113, 0x80000000, v104
	v_cndmask_b32_e32 v114, v104, v113, vcc
	v_cmp_gt_f64_e32 vcc, 0, v[105:106]
	v_mov_b32_e32 v113, v103
	v_cndmask_b32_e32 v116, v106, v115, vcc
	v_mov_b32_e32 v115, v105
	v_add_f64 v[113:114], v[113:114], v[115:116]
	v_cmp_lt_f64_e32 vcc, v[107:108], v[113:114]
	v_cndmask_b32_e32 v121, v121, v103, vcc
	v_mov_b32_e32 v103, s0
	s_add_i32 s0, s0, 1
	v_cndmask_b32_e32 v122, v122, v104, vcc
	v_cndmask_b32_e32 v124, v124, v106, vcc
	;; [unrolled: 1-line block ×4, first 2 shown]
	s_cmp_lg_u32 s3, s0
	s_cbranch_scc1 .LBB74_736
.LBB74_737:
	s_waitcnt lgkmcnt(0)
	v_cmp_eq_f64_e32 vcc, 0, v[121:122]
	v_cmp_eq_f64_e64 s[0:1], 0, v[123:124]
	s_and_b64 s[0:1], vcc, s[0:1]
	s_and_saveexec_b64 s[18:19], s[0:1]
	s_xor_b64 s[0:1], exec, s[18:19]
; %bb.738:
	v_cmp_ne_u32_e32 vcc, 0, v99
	v_cndmask_b32_e32 v99, 36, v99, vcc
; %bb.739:
	s_andn2_saveexec_b64 s[0:1], s[0:1]
	s_cbranch_execz .LBB74_745
; %bb.740:
	v_cmp_ngt_f64_e64 s[18:19], |v[121:122]|, |v[123:124]|
	s_and_saveexec_b64 s[20:21], s[18:19]
	s_xor_b64 s[18:19], exec, s[20:21]
	s_cbranch_execz .LBB74_742
; %bb.741:
	v_div_scale_f64 v[102:103], s[20:21], v[123:124], v[123:124], v[121:122]
	v_rcp_f64_e32 v[104:105], v[102:103]
	v_fma_f64 v[106:107], -v[102:103], v[104:105], 1.0
	v_fma_f64 v[104:105], v[104:105], v[106:107], v[104:105]
	v_div_scale_f64 v[106:107], vcc, v[121:122], v[123:124], v[121:122]
	v_fma_f64 v[113:114], -v[102:103], v[104:105], 1.0
	v_fma_f64 v[104:105], v[104:105], v[113:114], v[104:105]
	v_mul_f64 v[113:114], v[106:107], v[104:105]
	v_fma_f64 v[102:103], -v[102:103], v[113:114], v[106:107]
	v_div_fmas_f64 v[102:103], v[102:103], v[104:105], v[113:114]
	v_div_fixup_f64 v[102:103], v[102:103], v[123:124], v[121:122]
	v_fma_f64 v[104:105], v[121:122], v[102:103], v[123:124]
	v_div_scale_f64 v[106:107], s[20:21], v[104:105], v[104:105], 1.0
	v_div_scale_f64 v[117:118], vcc, 1.0, v[104:105], 1.0
	v_rcp_f64_e32 v[113:114], v[106:107]
	v_fma_f64 v[115:116], -v[106:107], v[113:114], 1.0
	v_fma_f64 v[113:114], v[113:114], v[115:116], v[113:114]
	v_fma_f64 v[115:116], -v[106:107], v[113:114], 1.0
	v_fma_f64 v[113:114], v[113:114], v[115:116], v[113:114]
	v_mul_f64 v[115:116], v[117:118], v[113:114]
	v_fma_f64 v[106:107], -v[106:107], v[115:116], v[117:118]
	v_div_fmas_f64 v[106:107], v[106:107], v[113:114], v[115:116]
	v_div_fixup_f64 v[123:124], v[106:107], v[104:105], 1.0
	v_mul_f64 v[121:122], v[102:103], v[123:124]
	v_xor_b32_e32 v124, 0x80000000, v124
.LBB74_742:
	s_andn2_saveexec_b64 s[18:19], s[18:19]
	s_cbranch_execz .LBB74_744
; %bb.743:
	v_div_scale_f64 v[102:103], s[20:21], v[121:122], v[121:122], v[123:124]
	v_rcp_f64_e32 v[104:105], v[102:103]
	v_fma_f64 v[106:107], -v[102:103], v[104:105], 1.0
	v_fma_f64 v[104:105], v[104:105], v[106:107], v[104:105]
	v_div_scale_f64 v[106:107], vcc, v[123:124], v[121:122], v[123:124]
	v_fma_f64 v[113:114], -v[102:103], v[104:105], 1.0
	v_fma_f64 v[104:105], v[104:105], v[113:114], v[104:105]
	v_mul_f64 v[113:114], v[106:107], v[104:105]
	v_fma_f64 v[102:103], -v[102:103], v[113:114], v[106:107]
	v_div_fmas_f64 v[102:103], v[102:103], v[104:105], v[113:114]
	v_div_fixup_f64 v[102:103], v[102:103], v[121:122], v[123:124]
	v_fma_f64 v[104:105], v[123:124], v[102:103], v[121:122]
	v_div_scale_f64 v[106:107], s[20:21], v[104:105], v[104:105], 1.0
	v_div_scale_f64 v[117:118], vcc, 1.0, v[104:105], 1.0
	v_rcp_f64_e32 v[113:114], v[106:107]
	v_fma_f64 v[115:116], -v[106:107], v[113:114], 1.0
	v_fma_f64 v[113:114], v[113:114], v[115:116], v[113:114]
	v_fma_f64 v[115:116], -v[106:107], v[113:114], 1.0
	v_fma_f64 v[113:114], v[113:114], v[115:116], v[113:114]
	v_mul_f64 v[115:116], v[117:118], v[113:114]
	v_fma_f64 v[106:107], -v[106:107], v[115:116], v[117:118]
	v_div_fmas_f64 v[106:107], v[106:107], v[113:114], v[115:116]
	v_div_fixup_f64 v[121:122], v[106:107], v[104:105], 1.0
	v_mul_f64 v[123:124], v[102:103], -v[121:122]
.LBB74_744:
	s_or_b64 exec, exec, s[18:19]
.LBB74_745:
	s_or_b64 exec, exec, s[0:1]
	v_cmp_ne_u32_e32 vcc, v100, v101
	s_and_saveexec_b64 s[0:1], vcc
	s_xor_b64 s[0:1], exec, s[0:1]
	s_cbranch_execz .LBB74_751
; %bb.746:
	v_cmp_eq_u32_e32 vcc, 35, v100
	s_and_saveexec_b64 s[18:19], vcc
	s_cbranch_execz .LBB74_750
; %bb.747:
	v_cmp_ne_u32_e32 vcc, 35, v101
	s_xor_b64 s[20:21], s[6:7], -1
	s_and_b64 s[22:23], s[20:21], vcc
	s_and_saveexec_b64 s[20:21], s[22:23]
	s_cbranch_execz .LBB74_749
; %bb.748:
	v_ashrrev_i32_e32 v102, 31, v101
	v_lshlrev_b64 v[102:103], 2, v[101:102]
	v_add_co_u32_e32 v102, vcc, v119, v102
	v_addc_co_u32_e32 v103, vcc, v120, v103, vcc
	global_load_dword v0, v[102:103], off
	global_load_dword v100, v[119:120], off offset:140
	s_waitcnt vmcnt(1)
	global_store_dword v[119:120], v0, off offset:140
	s_waitcnt vmcnt(1)
	global_store_dword v[102:103], v100, off
.LBB74_749:
	s_or_b64 exec, exec, s[20:21]
	v_mov_b32_e32 v100, v101
	v_mov_b32_e32 v0, v101
.LBB74_750:
	s_or_b64 exec, exec, s[18:19]
.LBB74_751:
	s_andn2_saveexec_b64 s[0:1], s[0:1]
	s_cbranch_execz .LBB74_753
; %bb.752:
	v_mov_b32_e32 v100, 35
	ds_write2_b64 v98, v[1:2], v[3:4] offset0:72 offset1:73
	ds_write2_b64 v98, v[109:110], v[111:112] offset0:74 offset1:75
.LBB74_753:
	s_or_b64 exec, exec, s[0:1]
	v_cmp_lt_i32_e32 vcc, 35, v100
	s_waitcnt vmcnt(0) lgkmcnt(0)
	s_barrier
	s_and_saveexec_b64 s[0:1], vcc
	s_cbranch_execz .LBB74_755
; %bb.754:
	v_mul_f64 v[101:102], v[121:122], v[7:8]
	v_mul_f64 v[7:8], v[123:124], v[7:8]
	v_fma_f64 v[105:106], v[123:124], v[5:6], v[101:102]
	ds_read2_b64 v[101:104], v98 offset0:72 offset1:73
	v_fma_f64 v[5:6], v[121:122], v[5:6], -v[7:8]
	s_waitcnt lgkmcnt(0)
	v_mul_f64 v[7:8], v[103:104], v[105:106]
	v_fma_f64 v[7:8], v[101:102], v[5:6], -v[7:8]
	v_mul_f64 v[101:102], v[101:102], v[105:106]
	v_add_f64 v[1:2], v[1:2], -v[7:8]
	v_fma_f64 v[101:102], v[103:104], v[5:6], v[101:102]
	v_add_f64 v[3:4], v[3:4], -v[101:102]
	ds_read2_b64 v[101:104], v98 offset0:74 offset1:75
	s_waitcnt lgkmcnt(0)
	v_mul_f64 v[7:8], v[103:104], v[105:106]
	v_fma_f64 v[7:8], v[101:102], v[5:6], -v[7:8]
	v_mul_f64 v[101:102], v[101:102], v[105:106]
	v_add_f64 v[109:110], v[109:110], -v[7:8]
	v_fma_f64 v[101:102], v[103:104], v[5:6], v[101:102]
	v_mov_b32_e32 v7, v105
	v_mov_b32_e32 v8, v106
	v_add_f64 v[111:112], v[111:112], -v[101:102]
.LBB74_755:
	s_or_b64 exec, exec, s[0:1]
	v_lshl_add_u32 v101, v100, 4, v98
	s_barrier
	ds_write2_b64 v101, v[1:2], v[3:4] offset1:1
	s_waitcnt lgkmcnt(0)
	s_barrier
	ds_read2_b64 v[121:124], v98 offset0:72 offset1:73
	s_cmp_lt_i32 s3, 38
	v_mov_b32_e32 v101, 36
	s_cbranch_scc1 .LBB74_758
; %bb.756:
	v_add_u32_e32 v102, 0x250, v98
	s_mov_b32 s0, 37
	v_mov_b32_e32 v101, 36
.LBB74_757:                             ; =>This Inner Loop Header: Depth=1
	s_waitcnt lgkmcnt(0)
	v_cmp_gt_f64_e32 vcc, 0, v[121:122]
	v_xor_b32_e32 v107, 0x80000000, v122
	ds_read2_b64 v[103:106], v102 offset1:1
	v_xor_b32_e32 v113, 0x80000000, v124
	v_add_u32_e32 v102, 16, v102
	s_waitcnt lgkmcnt(0)
	v_xor_b32_e32 v115, 0x80000000, v106
	v_cndmask_b32_e32 v108, v122, v107, vcc
	v_cmp_gt_f64_e32 vcc, 0, v[123:124]
	v_mov_b32_e32 v107, v121
	v_cndmask_b32_e32 v114, v124, v113, vcc
	v_cmp_gt_f64_e32 vcc, 0, v[103:104]
	v_mov_b32_e32 v113, v123
	v_add_f64 v[107:108], v[107:108], v[113:114]
	v_xor_b32_e32 v113, 0x80000000, v104
	v_cndmask_b32_e32 v114, v104, v113, vcc
	v_cmp_gt_f64_e32 vcc, 0, v[105:106]
	v_mov_b32_e32 v113, v103
	v_cndmask_b32_e32 v116, v106, v115, vcc
	v_mov_b32_e32 v115, v105
	v_add_f64 v[113:114], v[113:114], v[115:116]
	v_cmp_lt_f64_e32 vcc, v[107:108], v[113:114]
	v_cndmask_b32_e32 v121, v121, v103, vcc
	v_mov_b32_e32 v103, s0
	s_add_i32 s0, s0, 1
	v_cndmask_b32_e32 v122, v122, v104, vcc
	v_cndmask_b32_e32 v124, v124, v106, vcc
	;; [unrolled: 1-line block ×4, first 2 shown]
	s_cmp_lg_u32 s3, s0
	s_cbranch_scc1 .LBB74_757
.LBB74_758:
	s_waitcnt lgkmcnt(0)
	v_cmp_eq_f64_e32 vcc, 0, v[121:122]
	v_cmp_eq_f64_e64 s[0:1], 0, v[123:124]
	s_and_b64 s[0:1], vcc, s[0:1]
	s_and_saveexec_b64 s[18:19], s[0:1]
	s_xor_b64 s[0:1], exec, s[18:19]
; %bb.759:
	v_cmp_ne_u32_e32 vcc, 0, v99
	v_cndmask_b32_e32 v99, 37, v99, vcc
; %bb.760:
	s_andn2_saveexec_b64 s[0:1], s[0:1]
	s_cbranch_execz .LBB74_766
; %bb.761:
	v_cmp_ngt_f64_e64 s[18:19], |v[121:122]|, |v[123:124]|
	s_and_saveexec_b64 s[20:21], s[18:19]
	s_xor_b64 s[18:19], exec, s[20:21]
	s_cbranch_execz .LBB74_763
; %bb.762:
	v_div_scale_f64 v[102:103], s[20:21], v[123:124], v[123:124], v[121:122]
	v_rcp_f64_e32 v[104:105], v[102:103]
	v_fma_f64 v[106:107], -v[102:103], v[104:105], 1.0
	v_fma_f64 v[104:105], v[104:105], v[106:107], v[104:105]
	v_div_scale_f64 v[106:107], vcc, v[121:122], v[123:124], v[121:122]
	v_fma_f64 v[113:114], -v[102:103], v[104:105], 1.0
	v_fma_f64 v[104:105], v[104:105], v[113:114], v[104:105]
	v_mul_f64 v[113:114], v[106:107], v[104:105]
	v_fma_f64 v[102:103], -v[102:103], v[113:114], v[106:107]
	v_div_fmas_f64 v[102:103], v[102:103], v[104:105], v[113:114]
	v_div_fixup_f64 v[102:103], v[102:103], v[123:124], v[121:122]
	v_fma_f64 v[104:105], v[121:122], v[102:103], v[123:124]
	v_div_scale_f64 v[106:107], s[20:21], v[104:105], v[104:105], 1.0
	v_div_scale_f64 v[117:118], vcc, 1.0, v[104:105], 1.0
	v_rcp_f64_e32 v[113:114], v[106:107]
	v_fma_f64 v[115:116], -v[106:107], v[113:114], 1.0
	v_fma_f64 v[113:114], v[113:114], v[115:116], v[113:114]
	v_fma_f64 v[115:116], -v[106:107], v[113:114], 1.0
	v_fma_f64 v[113:114], v[113:114], v[115:116], v[113:114]
	v_mul_f64 v[115:116], v[117:118], v[113:114]
	v_fma_f64 v[106:107], -v[106:107], v[115:116], v[117:118]
	v_div_fmas_f64 v[106:107], v[106:107], v[113:114], v[115:116]
	v_div_fixup_f64 v[123:124], v[106:107], v[104:105], 1.0
	v_mul_f64 v[121:122], v[102:103], v[123:124]
	v_xor_b32_e32 v124, 0x80000000, v124
.LBB74_763:
	s_andn2_saveexec_b64 s[18:19], s[18:19]
	s_cbranch_execz .LBB74_765
; %bb.764:
	v_div_scale_f64 v[102:103], s[20:21], v[121:122], v[121:122], v[123:124]
	v_rcp_f64_e32 v[104:105], v[102:103]
	v_fma_f64 v[106:107], -v[102:103], v[104:105], 1.0
	v_fma_f64 v[104:105], v[104:105], v[106:107], v[104:105]
	v_div_scale_f64 v[106:107], vcc, v[123:124], v[121:122], v[123:124]
	v_fma_f64 v[113:114], -v[102:103], v[104:105], 1.0
	v_fma_f64 v[104:105], v[104:105], v[113:114], v[104:105]
	v_mul_f64 v[113:114], v[106:107], v[104:105]
	v_fma_f64 v[102:103], -v[102:103], v[113:114], v[106:107]
	v_div_fmas_f64 v[102:103], v[102:103], v[104:105], v[113:114]
	v_div_fixup_f64 v[102:103], v[102:103], v[121:122], v[123:124]
	v_fma_f64 v[104:105], v[123:124], v[102:103], v[121:122]
	v_div_scale_f64 v[106:107], s[20:21], v[104:105], v[104:105], 1.0
	v_div_scale_f64 v[117:118], vcc, 1.0, v[104:105], 1.0
	v_rcp_f64_e32 v[113:114], v[106:107]
	v_fma_f64 v[115:116], -v[106:107], v[113:114], 1.0
	v_fma_f64 v[113:114], v[113:114], v[115:116], v[113:114]
	v_fma_f64 v[115:116], -v[106:107], v[113:114], 1.0
	v_fma_f64 v[113:114], v[113:114], v[115:116], v[113:114]
	v_mul_f64 v[115:116], v[117:118], v[113:114]
	v_fma_f64 v[106:107], -v[106:107], v[115:116], v[117:118]
	v_div_fmas_f64 v[106:107], v[106:107], v[113:114], v[115:116]
	v_div_fixup_f64 v[121:122], v[106:107], v[104:105], 1.0
	v_mul_f64 v[123:124], v[102:103], -v[121:122]
.LBB74_765:
	s_or_b64 exec, exec, s[18:19]
.LBB74_766:
	s_or_b64 exec, exec, s[0:1]
	v_cmp_ne_u32_e32 vcc, v100, v101
	s_and_saveexec_b64 s[0:1], vcc
	s_xor_b64 s[0:1], exec, s[0:1]
	s_cbranch_execz .LBB74_772
; %bb.767:
	v_cmp_eq_u32_e32 vcc, 36, v100
	s_and_saveexec_b64 s[18:19], vcc
	s_cbranch_execz .LBB74_771
; %bb.768:
	v_cmp_ne_u32_e32 vcc, 36, v101
	s_xor_b64 s[20:21], s[6:7], -1
	s_and_b64 s[22:23], s[20:21], vcc
	s_and_saveexec_b64 s[20:21], s[22:23]
	s_cbranch_execz .LBB74_770
; %bb.769:
	v_ashrrev_i32_e32 v102, 31, v101
	v_lshlrev_b64 v[102:103], 2, v[101:102]
	v_add_co_u32_e32 v102, vcc, v119, v102
	v_addc_co_u32_e32 v103, vcc, v120, v103, vcc
	global_load_dword v0, v[102:103], off
	global_load_dword v100, v[119:120], off offset:144
	s_waitcnt vmcnt(1)
	global_store_dword v[119:120], v0, off offset:144
	s_waitcnt vmcnt(1)
	global_store_dword v[102:103], v100, off
.LBB74_770:
	s_or_b64 exec, exec, s[20:21]
	v_mov_b32_e32 v100, v101
	v_mov_b32_e32 v0, v101
.LBB74_771:
	s_or_b64 exec, exec, s[18:19]
.LBB74_772:
	s_andn2_saveexec_b64 s[0:1], s[0:1]
; %bb.773:
	v_mov_b32_e32 v100, 36
	ds_write2_b64 v98, v[109:110], v[111:112] offset0:74 offset1:75
; %bb.774:
	s_or_b64 exec, exec, s[0:1]
	v_cmp_lt_i32_e32 vcc, 36, v100
	s_waitcnt vmcnt(0) lgkmcnt(0)
	s_barrier
	s_and_saveexec_b64 s[0:1], vcc
	s_cbranch_execz .LBB74_776
; %bb.775:
	v_mul_f64 v[101:102], v[121:122], v[3:4]
	v_mul_f64 v[3:4], v[123:124], v[3:4]
	v_fma_f64 v[105:106], v[123:124], v[1:2], v[101:102]
	ds_read2_b64 v[101:104], v98 offset0:74 offset1:75
	v_fma_f64 v[1:2], v[121:122], v[1:2], -v[3:4]
	s_waitcnt lgkmcnt(0)
	v_mul_f64 v[3:4], v[103:104], v[105:106]
	v_fma_f64 v[3:4], v[101:102], v[1:2], -v[3:4]
	v_mul_f64 v[101:102], v[101:102], v[105:106]
	v_add_f64 v[109:110], v[109:110], -v[3:4]
	v_fma_f64 v[101:102], v[103:104], v[1:2], v[101:102]
	v_mov_b32_e32 v3, v105
	v_mov_b32_e32 v4, v106
	v_add_f64 v[111:112], v[111:112], -v[101:102]
.LBB74_776:
	s_or_b64 exec, exec, s[0:1]
	v_lshl_add_u32 v101, v100, 4, v98
	s_barrier
	ds_write2_b64 v101, v[109:110], v[111:112] offset1:1
	s_waitcnt lgkmcnt(0)
	s_barrier
	ds_read2_b64 v[121:124], v98 offset0:74 offset1:75
	s_cmp_lt_i32 s3, 39
	v_mov_b32_e32 v101, 37
	s_cbranch_scc1 .LBB74_779
; %bb.777:
	v_add_u32_e32 v98, 0x260, v98
	s_mov_b32 s0, 38
	v_mov_b32_e32 v101, 37
.LBB74_778:                             ; =>This Inner Loop Header: Depth=1
	s_waitcnt lgkmcnt(0)
	v_cmp_gt_f64_e32 vcc, 0, v[121:122]
	v_xor_b32_e32 v106, 0x80000000, v122
	ds_read2_b64 v[102:105], v98 offset1:1
	v_xor_b32_e32 v108, 0x80000000, v124
	v_mov_b32_e32 v113, v123
	v_add_u32_e32 v98, 16, v98
	s_waitcnt lgkmcnt(0)
	v_mov_b32_e32 v115, v104
	v_cndmask_b32_e32 v107, v122, v106, vcc
	v_cmp_gt_f64_e32 vcc, 0, v[123:124]
	v_mov_b32_e32 v106, v121
	v_cndmask_b32_e32 v114, v124, v108, vcc
	v_cmp_gt_f64_e32 vcc, 0, v[102:103]
	v_xor_b32_e32 v108, 0x80000000, v103
	v_add_f64 v[106:107], v[106:107], v[113:114]
	v_mov_b32_e32 v113, v102
	v_cndmask_b32_e32 v114, v103, v108, vcc
	v_cmp_gt_f64_e32 vcc, 0, v[104:105]
	v_xor_b32_e32 v108, 0x80000000, v105
	v_cndmask_b32_e32 v116, v105, v108, vcc
	v_add_f64 v[113:114], v[113:114], v[115:116]
	v_cmp_lt_f64_e32 vcc, v[106:107], v[113:114]
	v_cndmask_b32_e32 v121, v121, v102, vcc
	v_mov_b32_e32 v102, s0
	s_add_i32 s0, s0, 1
	v_cndmask_b32_e32 v122, v122, v103, vcc
	v_cndmask_b32_e32 v124, v124, v105, vcc
	v_cndmask_b32_e32 v123, v123, v104, vcc
	v_cndmask_b32_e32 v101, v101, v102, vcc
	s_cmp_lg_u32 s3, s0
	s_cbranch_scc1 .LBB74_778
.LBB74_779:
	s_waitcnt lgkmcnt(0)
	v_cmp_eq_f64_e32 vcc, 0, v[121:122]
	v_cmp_eq_f64_e64 s[0:1], 0, v[123:124]
	s_and_b64 s[0:1], vcc, s[0:1]
	s_and_saveexec_b64 s[18:19], s[0:1]
	s_xor_b64 s[0:1], exec, s[18:19]
; %bb.780:
	v_cmp_ne_u32_e32 vcc, 0, v99
	v_cndmask_b32_e32 v99, 38, v99, vcc
; %bb.781:
	s_andn2_saveexec_b64 s[0:1], s[0:1]
	s_cbranch_execz .LBB74_787
; %bb.782:
	v_cmp_ngt_f64_e64 s[18:19], |v[121:122]|, |v[123:124]|
	s_and_saveexec_b64 s[20:21], s[18:19]
	s_xor_b64 s[18:19], exec, s[20:21]
	s_cbranch_execz .LBB74_784
; %bb.783:
	v_div_scale_f64 v[102:103], s[20:21], v[123:124], v[123:124], v[121:122]
	v_rcp_f64_e32 v[104:105], v[102:103]
	v_fma_f64 v[106:107], -v[102:103], v[104:105], 1.0
	v_fma_f64 v[104:105], v[104:105], v[106:107], v[104:105]
	v_div_scale_f64 v[106:107], vcc, v[121:122], v[123:124], v[121:122]
	v_fma_f64 v[113:114], -v[102:103], v[104:105], 1.0
	v_fma_f64 v[104:105], v[104:105], v[113:114], v[104:105]
	v_mul_f64 v[113:114], v[106:107], v[104:105]
	v_fma_f64 v[102:103], -v[102:103], v[113:114], v[106:107]
	v_div_fmas_f64 v[102:103], v[102:103], v[104:105], v[113:114]
	v_div_fixup_f64 v[102:103], v[102:103], v[123:124], v[121:122]
	v_fma_f64 v[104:105], v[121:122], v[102:103], v[123:124]
	v_div_scale_f64 v[106:107], s[20:21], v[104:105], v[104:105], 1.0
	v_div_scale_f64 v[117:118], vcc, 1.0, v[104:105], 1.0
	v_rcp_f64_e32 v[113:114], v[106:107]
	v_fma_f64 v[115:116], -v[106:107], v[113:114], 1.0
	v_fma_f64 v[113:114], v[113:114], v[115:116], v[113:114]
	v_fma_f64 v[115:116], -v[106:107], v[113:114], 1.0
	v_fma_f64 v[113:114], v[113:114], v[115:116], v[113:114]
	v_mul_f64 v[115:116], v[117:118], v[113:114]
	v_fma_f64 v[106:107], -v[106:107], v[115:116], v[117:118]
	v_div_fmas_f64 v[106:107], v[106:107], v[113:114], v[115:116]
	v_div_fixup_f64 v[123:124], v[106:107], v[104:105], 1.0
	v_mul_f64 v[121:122], v[102:103], v[123:124]
	v_xor_b32_e32 v124, 0x80000000, v124
.LBB74_784:
	s_andn2_saveexec_b64 s[18:19], s[18:19]
	s_cbranch_execz .LBB74_786
; %bb.785:
	v_div_scale_f64 v[102:103], s[20:21], v[121:122], v[121:122], v[123:124]
	v_rcp_f64_e32 v[104:105], v[102:103]
	v_fma_f64 v[106:107], -v[102:103], v[104:105], 1.0
	v_fma_f64 v[104:105], v[104:105], v[106:107], v[104:105]
	v_div_scale_f64 v[106:107], vcc, v[123:124], v[121:122], v[123:124]
	v_fma_f64 v[113:114], -v[102:103], v[104:105], 1.0
	v_fma_f64 v[104:105], v[104:105], v[113:114], v[104:105]
	v_mul_f64 v[113:114], v[106:107], v[104:105]
	v_fma_f64 v[102:103], -v[102:103], v[113:114], v[106:107]
	v_div_fmas_f64 v[102:103], v[102:103], v[104:105], v[113:114]
	v_div_fixup_f64 v[102:103], v[102:103], v[121:122], v[123:124]
	v_fma_f64 v[104:105], v[123:124], v[102:103], v[121:122]
	v_div_scale_f64 v[106:107], s[20:21], v[104:105], v[104:105], 1.0
	v_div_scale_f64 v[117:118], vcc, 1.0, v[104:105], 1.0
	v_rcp_f64_e32 v[113:114], v[106:107]
	v_fma_f64 v[115:116], -v[106:107], v[113:114], 1.0
	v_fma_f64 v[113:114], v[113:114], v[115:116], v[113:114]
	v_fma_f64 v[115:116], -v[106:107], v[113:114], 1.0
	v_fma_f64 v[113:114], v[113:114], v[115:116], v[113:114]
	v_mul_f64 v[115:116], v[117:118], v[113:114]
	v_fma_f64 v[106:107], -v[106:107], v[115:116], v[117:118]
	v_div_fmas_f64 v[106:107], v[106:107], v[113:114], v[115:116]
	v_div_fixup_f64 v[121:122], v[106:107], v[104:105], 1.0
	v_mul_f64 v[123:124], v[102:103], -v[121:122]
.LBB74_786:
	s_or_b64 exec, exec, s[18:19]
.LBB74_787:
	s_or_b64 exec, exec, s[0:1]
	v_cmp_ne_u32_e32 vcc, v100, v101
	v_mov_b32_e32 v102, 37
	s_and_saveexec_b64 s[0:1], vcc
	s_cbranch_execz .LBB74_793
; %bb.788:
	v_cmp_eq_u32_e32 vcc, 37, v100
	s_and_saveexec_b64 s[18:19], vcc
	s_cbranch_execz .LBB74_792
; %bb.789:
	v_cmp_ne_u32_e32 vcc, 37, v101
	s_xor_b64 s[6:7], s[6:7], -1
	s_and_b64 s[20:21], s[6:7], vcc
	s_and_saveexec_b64 s[6:7], s[20:21]
	s_cbranch_execz .LBB74_791
; %bb.790:
	v_ashrrev_i32_e32 v102, 31, v101
	v_lshlrev_b64 v[102:103], 2, v[101:102]
	v_add_co_u32_e32 v102, vcc, v119, v102
	v_addc_co_u32_e32 v103, vcc, v120, v103, vcc
	global_load_dword v0, v[102:103], off
	global_load_dword v98, v[119:120], off offset:148
	s_waitcnt vmcnt(1)
	global_store_dword v[119:120], v0, off offset:148
	s_waitcnt vmcnt(1)
	global_store_dword v[102:103], v98, off
.LBB74_791:
	s_or_b64 exec, exec, s[6:7]
	v_mov_b32_e32 v100, v101
	v_mov_b32_e32 v0, v101
.LBB74_792:
	s_or_b64 exec, exec, s[18:19]
	v_mov_b32_e32 v102, v100
.LBB74_793:
	s_or_b64 exec, exec, s[0:1]
	v_cmp_gt_i32_e32 vcc, 38, v102
	v_ashrrev_i32_e32 v103, 31, v102
	s_waitcnt vmcnt(0)
	s_barrier
	s_barrier
	s_and_saveexec_b64 s[0:1], vcc
	s_cbranch_execz .LBB74_795
; %bb.794:
	buffer_load_dword v100, off, s[24:27], 0 offset:216 ; 4-byte Folded Reload
	buffer_load_dword v101, off, s[24:27], 0 offset:220 ; 4-byte Folded Reload
	v_add3_u32 v0, v0, s17, 1
	s_waitcnt vmcnt(1)
	v_mul_lo_u32 v98, s15, v100
	s_waitcnt vmcnt(0)
	v_mul_lo_u32 v104, s14, v101
	v_mad_u64_u32 v[100:101], s[6:7], s14, v100, 0
	s_lshl_b64 s[6:7], s[12:13], 2
	v_add3_u32 v101, v101, v104, v98
	v_lshlrev_b64 v[100:101], 2, v[100:101]
	v_mov_b32_e32 v98, s11
	v_add_co_u32_e32 v100, vcc, s10, v100
	v_addc_co_u32_e32 v98, vcc, v98, v101, vcc
	v_mov_b32_e32 v101, s7
	v_add_co_u32_e32 v104, vcc, s6, v100
	v_addc_co_u32_e32 v98, vcc, v98, v101, vcc
	v_lshlrev_b64 v[100:101], 2, v[102:103]
	v_add_co_u32_e32 v100, vcc, v104, v100
	v_addc_co_u32_e32 v101, vcc, v98, v101, vcc
	global_store_dword v[100:101], v0, off
.LBB74_795:
	s_or_b64 exec, exec, s[0:1]
	v_cmp_eq_u32_e32 vcc, 0, v102
	s_and_saveexec_b64 s[6:7], vcc
	s_cbranch_execz .LBB74_798
; %bb.796:
	buffer_load_dword v100, off, s[24:27], 0 offset:216 ; 4-byte Folded Reload
	buffer_load_dword v101, off, s[24:27], 0 offset:220 ; 4-byte Folded Reload
	v_mov_b32_e32 v0, s5
	v_cmp_ne_u32_e64 s[0:1], 0, v99
	s_waitcnt vmcnt(0)
	v_lshlrev_b64 v[100:101], 2, v[100:101]
	v_add_co_u32_e32 v104, vcc, s4, v100
	v_addc_co_u32_e32 v105, vcc, v0, v101, vcc
	global_load_dword v0, v[104:105], off
	s_waitcnt vmcnt(0)
	v_cmp_eq_u32_e32 vcc, 0, v0
	s_and_b64 s[0:1], vcc, s[0:1]
	s_and_b64 exec, exec, s[0:1]
	s_cbranch_execz .LBB74_798
; %bb.797:
	v_add_u32_e32 v0, s17, v99
	global_store_dword v[104:105], v0, off
.LBB74_798:
	s_or_b64 exec, exec, s[6:7]
	v_mul_f64 v[98:99], v[121:122], v[111:112]
	v_cmp_lt_i32_e32 vcc, 37, v102
	v_mul_f64 v[100:101], v[123:124], v[111:112]
	v_mov_b32_e32 v0, s9
	v_fma_f64 v[98:99], v[123:124], v[109:110], v[98:99]
	v_fma_f64 v[100:101], v[121:122], v[109:110], -v[100:101]
	v_cndmask_b32_e32 v112, v112, v99, vcc
	v_cndmask_b32_e32 v111, v111, v98, vcc
	v_lshlrev_b64 v[98:99], 4, v[102:103]
	buffer_load_dword v103, off, s[24:27], 0 offset:200 ; 4-byte Folded Reload
	buffer_load_dword v104, off, s[24:27], 0 offset:204 ; 4-byte Folded Reload
	;; [unrolled: 1-line block ×4, first 2 shown]
	v_cndmask_b32_e32 v110, v110, v101, vcc
	v_cndmask_b32_e32 v109, v109, v100, vcc
	v_add_co_u32_e32 v98, vcc, v127, v98
	v_addc_co_u32_e32 v99, vcc, v97, v99, vcc
	s_waitcnt vmcnt(0)
	global_store_dwordx4 v[98:99], v[103:106], off
	buffer_load_dword v103, off, s[24:27], 0 offset:176 ; 4-byte Folded Reload
	s_nop 0
	buffer_load_dword v104, off, s[24:27], 0 offset:180 ; 4-byte Folded Reload
	buffer_load_dword v105, off, s[24:27], 0 offset:184 ; 4-byte Folded Reload
	;; [unrolled: 1-line block ×3, first 2 shown]
	v_add_co_u32_e32 v98, vcc, s8, v98
	v_addc_co_u32_e32 v99, vcc, v99, v0, vcc
	s_waitcnt vmcnt(0)
	global_store_dwordx4 v[98:99], v[103:106], off
	v_add_u32_e32 v98, s16, v102
	buffer_load_dword v101, off, s[24:27], 0 offset:160 ; 4-byte Folded Reload
	buffer_load_dword v102, off, s[24:27], 0 offset:164 ; 4-byte Folded Reload
	;; [unrolled: 1-line block ×4, first 2 shown]
	v_ashrrev_i32_e32 v99, 31, v98
	v_lshlrev_b64 v[99:100], 4, v[98:99]
	v_add_u32_e32 v98, s2, v98
	v_add_co_u32_e32 v99, vcc, v127, v99
	v_addc_co_u32_e32 v100, vcc, v97, v100, vcc
	s_waitcnt vmcnt(0)
	global_store_dwordx4 v[99:100], v[101:104], off
	buffer_load_dword v101, off, s[24:27], 0 offset:144 ; 4-byte Folded Reload
	s_nop 0
	buffer_load_dword v102, off, s[24:27], 0 offset:148 ; 4-byte Folded Reload
	buffer_load_dword v103, off, s[24:27], 0 offset:152 ; 4-byte Folded Reload
	buffer_load_dword v104, off, s[24:27], 0 offset:156 ; 4-byte Folded Reload
	v_ashrrev_i32_e32 v99, 31, v98
	v_lshlrev_b64 v[99:100], 4, v[98:99]
	v_add_u32_e32 v98, s2, v98
	v_add_co_u32_e32 v99, vcc, v127, v99
	v_addc_co_u32_e32 v100, vcc, v97, v100, vcc
	s_waitcnt vmcnt(0)
	global_store_dwordx4 v[99:100], v[101:104], off
	buffer_load_dword v101, off, s[24:27], 0 offset:128 ; 4-byte Folded Reload
	s_nop 0
	buffer_load_dword v102, off, s[24:27], 0 offset:132 ; 4-byte Folded Reload
	buffer_load_dword v103, off, s[24:27], 0 offset:136 ; 4-byte Folded Reload
	buffer_load_dword v104, off, s[24:27], 0 offset:140 ; 4-byte Folded Reload
	;; [unrolled: 12-line block ×9, first 2 shown]
	v_ashrrev_i32_e32 v99, 31, v98
	v_lshlrev_b64 v[99:100], 4, v[98:99]
	v_add_u32_e32 v98, s2, v98
	v_add_co_u32_e32 v99, vcc, v127, v99
	v_addc_co_u32_e32 v100, vcc, v97, v100, vcc
	s_waitcnt vmcnt(0)
	global_store_dwordx4 v[99:100], v[101:104], off
	buffer_load_dword v101, off, s[24:27], 0 ; 4-byte Folded Reload
	s_nop 0
	buffer_load_dword v102, off, s[24:27], 0 offset:4 ; 4-byte Folded Reload
	buffer_load_dword v103, off, s[24:27], 0 offset:8 ; 4-byte Folded Reload
	;; [unrolled: 1-line block ×3, first 2 shown]
	v_ashrrev_i32_e32 v99, 31, v98
	v_lshlrev_b64 v[99:100], 4, v[98:99]
	v_add_u32_e32 v98, s2, v98
	v_add_co_u32_e32 v99, vcc, v127, v99
	v_addc_co_u32_e32 v100, vcc, v97, v100, vcc
	s_waitcnt vmcnt(0)
	global_store_dwordx4 v[99:100], v[101:104], off
	v_ashrrev_i32_e32 v99, 31, v98
	v_lshlrev_b64 v[99:100], 4, v[98:99]
	v_add_co_u32_e32 v99, vcc, v127, v99
	v_addc_co_u32_e32 v100, vcc, v97, v100, vcc
	global_store_dwordx4 v[99:100], v[93:96], off
	s_nop 0
	v_add_u32_e32 v93, s2, v98
	v_ashrrev_i32_e32 v94, 31, v93
	v_lshlrev_b64 v[94:95], 4, v[93:94]
	v_add_co_u32_e32 v94, vcc, v127, v94
	v_addc_co_u32_e32 v95, vcc, v97, v95, vcc
	global_store_dwordx4 v[94:95], v[89:92], off
	s_nop 0
	v_add_u32_e32 v89, s2, v93
	;; [unrolled: 7-line block ×23, first 2 shown]
	v_ashrrev_i32_e32 v6, 31, v5
	v_lshlrev_b64 v[6:7], 4, v[5:6]
	v_add_u32_e32 v0, s2, v5
	v_add_co_u32_e32 v6, vcc, v127, v6
	v_addc_co_u32_e32 v7, vcc, v97, v7, vcc
	global_store_dwordx4 v[6:7], v[1:4], off
	s_nop 0
	v_ashrrev_i32_e32 v1, 31, v0
	v_lshlrev_b64 v[0:1], 4, v[0:1]
	v_add_co_u32_e32 v0, vcc, v127, v0
	v_addc_co_u32_e32 v1, vcc, v97, v1, vcc
	global_store_dwordx4 v[0:1], v[109:112], off
.LBB74_799:
	s_endpgm
	.section	.rodata,"a",@progbits
	.p2align	6, 0x0
	.amdhsa_kernel _ZN9rocsolver6v33100L18getf2_small_kernelILi38E19rocblas_complex_numIdEiiPS3_EEvT1_T3_lS5_lPS5_llPT2_S5_S5_S7_l
		.amdhsa_group_segment_fixed_size 0
		.amdhsa_private_segment_fixed_size 228
		.amdhsa_kernarg_size 352
		.amdhsa_user_sgpr_count 6
		.amdhsa_user_sgpr_private_segment_buffer 1
		.amdhsa_user_sgpr_dispatch_ptr 0
		.amdhsa_user_sgpr_queue_ptr 0
		.amdhsa_user_sgpr_kernarg_segment_ptr 1
		.amdhsa_user_sgpr_dispatch_id 0
		.amdhsa_user_sgpr_flat_scratch_init 0
		.amdhsa_user_sgpr_private_segment_size 0
		.amdhsa_uses_dynamic_stack 0
		.amdhsa_system_sgpr_private_segment_wavefront_offset 1
		.amdhsa_system_sgpr_workgroup_id_x 1
		.amdhsa_system_sgpr_workgroup_id_y 1
		.amdhsa_system_sgpr_workgroup_id_z 0
		.amdhsa_system_sgpr_workgroup_info 0
		.amdhsa_system_vgpr_workitem_id 1
		.amdhsa_next_free_vgpr 128
		.amdhsa_next_free_sgpr 28
		.amdhsa_reserve_vcc 1
		.amdhsa_reserve_flat_scratch 0
		.amdhsa_float_round_mode_32 0
		.amdhsa_float_round_mode_16_64 0
		.amdhsa_float_denorm_mode_32 3
		.amdhsa_float_denorm_mode_16_64 3
		.amdhsa_dx10_clamp 1
		.amdhsa_ieee_mode 1
		.amdhsa_fp16_overflow 0
		.amdhsa_exception_fp_ieee_invalid_op 0
		.amdhsa_exception_fp_denorm_src 0
		.amdhsa_exception_fp_ieee_div_zero 0
		.amdhsa_exception_fp_ieee_overflow 0
		.amdhsa_exception_fp_ieee_underflow 0
		.amdhsa_exception_fp_ieee_inexact 0
		.amdhsa_exception_int_div_zero 0
	.end_amdhsa_kernel
	.section	.text._ZN9rocsolver6v33100L18getf2_small_kernelILi38E19rocblas_complex_numIdEiiPS3_EEvT1_T3_lS5_lPS5_llPT2_S5_S5_S7_l,"axG",@progbits,_ZN9rocsolver6v33100L18getf2_small_kernelILi38E19rocblas_complex_numIdEiiPS3_EEvT1_T3_lS5_lPS5_llPT2_S5_S5_S7_l,comdat
.Lfunc_end74:
	.size	_ZN9rocsolver6v33100L18getf2_small_kernelILi38E19rocblas_complex_numIdEiiPS3_EEvT1_T3_lS5_lPS5_llPT2_S5_S5_S7_l, .Lfunc_end74-_ZN9rocsolver6v33100L18getf2_small_kernelILi38E19rocblas_complex_numIdEiiPS3_EEvT1_T3_lS5_lPS5_llPT2_S5_S5_S7_l
                                        ; -- End function
	.set _ZN9rocsolver6v33100L18getf2_small_kernelILi38E19rocblas_complex_numIdEiiPS3_EEvT1_T3_lS5_lPS5_llPT2_S5_S5_S7_l.num_vgpr, 128
	.set _ZN9rocsolver6v33100L18getf2_small_kernelILi38E19rocblas_complex_numIdEiiPS3_EEvT1_T3_lS5_lPS5_llPT2_S5_S5_S7_l.num_agpr, 0
	.set _ZN9rocsolver6v33100L18getf2_small_kernelILi38E19rocblas_complex_numIdEiiPS3_EEvT1_T3_lS5_lPS5_llPT2_S5_S5_S7_l.numbered_sgpr, 28
	.set _ZN9rocsolver6v33100L18getf2_small_kernelILi38E19rocblas_complex_numIdEiiPS3_EEvT1_T3_lS5_lPS5_llPT2_S5_S5_S7_l.num_named_barrier, 0
	.set _ZN9rocsolver6v33100L18getf2_small_kernelILi38E19rocblas_complex_numIdEiiPS3_EEvT1_T3_lS5_lPS5_llPT2_S5_S5_S7_l.private_seg_size, 228
	.set _ZN9rocsolver6v33100L18getf2_small_kernelILi38E19rocblas_complex_numIdEiiPS3_EEvT1_T3_lS5_lPS5_llPT2_S5_S5_S7_l.uses_vcc, 1
	.set _ZN9rocsolver6v33100L18getf2_small_kernelILi38E19rocblas_complex_numIdEiiPS3_EEvT1_T3_lS5_lPS5_llPT2_S5_S5_S7_l.uses_flat_scratch, 0
	.set _ZN9rocsolver6v33100L18getf2_small_kernelILi38E19rocblas_complex_numIdEiiPS3_EEvT1_T3_lS5_lPS5_llPT2_S5_S5_S7_l.has_dyn_sized_stack, 0
	.set _ZN9rocsolver6v33100L18getf2_small_kernelILi38E19rocblas_complex_numIdEiiPS3_EEvT1_T3_lS5_lPS5_llPT2_S5_S5_S7_l.has_recursion, 0
	.set _ZN9rocsolver6v33100L18getf2_small_kernelILi38E19rocblas_complex_numIdEiiPS3_EEvT1_T3_lS5_lPS5_llPT2_S5_S5_S7_l.has_indirect_call, 0
	.section	.AMDGPU.csdata,"",@progbits
; Kernel info:
; codeLenInByte = 95600
; TotalNumSgprs: 32
; NumVgprs: 128
; ScratchSize: 228
; MemoryBound: 0
; FloatMode: 240
; IeeeMode: 1
; LDSByteSize: 0 bytes/workgroup (compile time only)
; SGPRBlocks: 3
; VGPRBlocks: 31
; NumSGPRsForWavesPerEU: 32
; NumVGPRsForWavesPerEU: 128
; Occupancy: 2
; WaveLimiterHint : 0
; COMPUTE_PGM_RSRC2:SCRATCH_EN: 1
; COMPUTE_PGM_RSRC2:USER_SGPR: 6
; COMPUTE_PGM_RSRC2:TRAP_HANDLER: 0
; COMPUTE_PGM_RSRC2:TGID_X_EN: 1
; COMPUTE_PGM_RSRC2:TGID_Y_EN: 1
; COMPUTE_PGM_RSRC2:TGID_Z_EN: 0
; COMPUTE_PGM_RSRC2:TIDIG_COMP_CNT: 1
	.section	.text._ZN9rocsolver6v33100L23getf2_npvt_small_kernelILi38E19rocblas_complex_numIdEiiPS3_EEvT1_T3_lS5_lPT2_S5_S5_,"axG",@progbits,_ZN9rocsolver6v33100L23getf2_npvt_small_kernelILi38E19rocblas_complex_numIdEiiPS3_EEvT1_T3_lS5_lPT2_S5_S5_,comdat
	.globl	_ZN9rocsolver6v33100L23getf2_npvt_small_kernelILi38E19rocblas_complex_numIdEiiPS3_EEvT1_T3_lS5_lPT2_S5_S5_ ; -- Begin function _ZN9rocsolver6v33100L23getf2_npvt_small_kernelILi38E19rocblas_complex_numIdEiiPS3_EEvT1_T3_lS5_lPT2_S5_S5_
	.p2align	8
	.type	_ZN9rocsolver6v33100L23getf2_npvt_small_kernelILi38E19rocblas_complex_numIdEiiPS3_EEvT1_T3_lS5_lPT2_S5_S5_,@function
_ZN9rocsolver6v33100L23getf2_npvt_small_kernelILi38E19rocblas_complex_numIdEiiPS3_EEvT1_T3_lS5_lPT2_S5_S5_: ; @_ZN9rocsolver6v33100L23getf2_npvt_small_kernelILi38E19rocblas_complex_numIdEiiPS3_EEvT1_T3_lS5_lPT2_S5_S5_
; %bb.0:
	s_mov_b64 s[22:23], s[2:3]
	s_mov_b64 s[20:21], s[0:1]
	s_load_dword s0, s[4:5], 0x44
	s_load_dwordx2 s[12:13], s[4:5], 0x30
	s_add_u32 s20, s20, s8
	s_addc_u32 s21, s21, 0
	s_waitcnt lgkmcnt(0)
	s_lshr_b32 s2, s0, 16
	s_mul_i32 s7, s7, s2
	v_add_u32_e32 v3, s7, v1
	v_mov_b32_e32 v2, v3
	v_cmp_gt_i32_e32 vcc, s12, v3
	s_and_saveexec_b64 s[0:1], vcc
	s_cbranch_execz .LBB75_345
; %bb.1:
	s_load_dwordx4 s[8:11], s[4:5], 0x20
	s_load_dwordx4 s[16:19], s[4:5], 0x8
	v_ashrrev_i32_e32 v3, 31, v2
	s_mulk_i32 s2, 0x260
	s_waitcnt lgkmcnt(0)
	v_mul_lo_u32 v4, s9, v2
	v_mul_lo_u32 v5, s8, v3
	buffer_store_dword v2, off, s[20:23], 0 offset:1056 ; 4-byte Folded Spill
	s_nop 0
	buffer_store_dword v3, off, s[20:23], 0 offset:1060 ; 4-byte Folded Spill
	v_mov_b32_e32 v6, s17
	v_mad_u64_u32 v[2:3], s[0:1], s8, v2, 0
	s_load_dword s0, s[4:5], 0x18
	s_lshl_b64 s[4:5], s[18:19], 4
	v_add3_u32 v3, v3, v5, v4
	v_lshlrev_b64 v[2:3], 4, v[2:3]
	v_mov_b32_e32 v4, s5
	v_add_co_u32_e32 v2, vcc, s16, v2
	v_addc_co_u32_e32 v3, vcc, v6, v3, vcc
	v_add_co_u32_e32 v2, vcc, s4, v2
	s_waitcnt lgkmcnt(0)
	s_add_i32 s1, s0, s0
	v_addc_co_u32_e32 v3, vcc, v3, v4, vcc
	v_add_u32_e32 v4, s1, v0
	v_ashrrev_i32_e32 v5, 31, v4
	v_lshlrev_b64 v[5:6], 4, v[4:5]
	v_add_u32_e32 v4, s0, v4
	v_add_co_u32_e32 v53, vcc, v2, v5
	v_ashrrev_i32_e32 v5, 31, v4
	v_addc_co_u32_e32 v54, vcc, v3, v6, vcc
	v_lshlrev_b64 v[5:6], 4, v[4:5]
	v_add_u32_e32 v4, s0, v4
	v_add_co_u32_e32 v7, vcc, v2, v5
	v_ashrrev_i32_e32 v5, 31, v4
	v_addc_co_u32_e32 v8, vcc, v3, v6, vcc
	;; [unrolled: 5-line block ×34, first 2 shown]
	v_lshlrev_b64 v[5:6], 4, v[4:5]
	v_add_u32_e32 v4, s0, v4
	v_add_co_u32_e32 v109, vcc, v2, v5
	v_ashrrev_i32_e32 v5, 31, v4
	v_lshlrev_b64 v[4:5], 4, v[4:5]
	v_addc_co_u32_e32 v110, vcc, v3, v6, vcc
	v_add_co_u32_e32 v111, vcc, v2, v4
	v_addc_co_u32_e32 v112, vcc, v3, v5, vcc
	v_lshlrev_b32_e32 v4, 4, v0
	v_add_co_u32_e32 v4, vcc, v2, v4
	s_ashr_i32 s1, s0, 31
	v_addc_co_u32_e32 v5, vcc, 0, v3, vcc
	s_lshl_b64 s[0:1], s[0:1], 4
	v_mov_b32_e32 v2, s1
	v_add_co_u32_e32 v55, vcc, s0, v4
	v_addc_co_u32_e32 v56, vcc, v5, v2, vcc
	buffer_store_dword v4, off, s[20:23], 0 offset:544 ; 4-byte Folded Spill
	s_nop 0
	buffer_store_dword v5, off, s[20:23], 0 offset:548 ; 4-byte Folded Spill
	s_movk_i32 s0, 0x260
	s_add_i32 s1, s2, 0
	v_mad_u32_u24 v125, v1, s0, 0
	v_lshl_add_u32 v127, v1, 4, s1
	v_cmp_ne_u32_e64 s[2:3], 0, v0
	v_cmp_eq_u32_e64 s[0:1], 0, v0
	global_load_dwordx4 v[1:4], v[4:5], off
	s_waitcnt vmcnt(0)
	buffer_store_dword v1, off, s[20:23], 0 offset:192 ; 4-byte Folded Spill
	s_nop 0
	buffer_store_dword v2, off, s[20:23], 0 offset:196 ; 4-byte Folded Spill
	buffer_store_dword v3, off, s[20:23], 0 offset:200 ; 4-byte Folded Spill
	buffer_store_dword v4, off, s[20:23], 0 offset:204 ; 4-byte Folded Spill
	buffer_store_dword v55, off, s[20:23], 0 offset:552 ; 4-byte Folded Spill
	s_nop 0
	buffer_store_dword v56, off, s[20:23], 0 offset:556 ; 4-byte Folded Spill
	global_load_dwordx4 v[1:4], v[55:56], off
	s_waitcnt vmcnt(0)
	buffer_store_dword v1, off, s[20:23], 0 offset:176 ; 4-byte Folded Spill
	s_nop 0
	buffer_store_dword v2, off, s[20:23], 0 offset:180 ; 4-byte Folded Spill
	buffer_store_dword v3, off, s[20:23], 0 offset:184 ; 4-byte Folded Spill
	buffer_store_dword v4, off, s[20:23], 0 offset:188 ; 4-byte Folded Spill
	buffer_store_dword v53, off, s[20:23], 0 offset:504 ; 4-byte Folded Spill
	s_nop 0
	buffer_store_dword v54, off, s[20:23], 0 offset:508 ; 4-byte Folded Spill
	;; [unrolled: 10-line block ×8, first 2 shown]
	global_load_dwordx4 v[73:76], v[15:16], off
	s_nop 0
	buffer_store_dword v17, off, s[20:23], 0 offset:248 ; 4-byte Folded Spill
	s_nop 0
	buffer_store_dword v18, off, s[20:23], 0 offset:252 ; 4-byte Folded Spill
	global_load_dwordx4 v[77:80], v[17:18], off
	s_nop 0
	buffer_store_dword v19, off, s[20:23], 0 offset:256 ; 4-byte Folded Spill
	s_nop 0
	buffer_store_dword v20, off, s[20:23], 0 offset:260 ; 4-byte Folded Spill
	global_load_dwordx4 v[1:4], v[19:20], off
	s_waitcnt vmcnt(0)
	buffer_store_dword v1, off, s[20:23], 0 offset:64 ; 4-byte Folded Spill
	s_nop 0
	buffer_store_dword v2, off, s[20:23], 0 offset:68 ; 4-byte Folded Spill
	buffer_store_dword v3, off, s[20:23], 0 offset:72 ; 4-byte Folded Spill
	;; [unrolled: 1-line block ×4, first 2 shown]
	s_nop 0
	buffer_store_dword v22, off, s[20:23], 0 offset:268 ; 4-byte Folded Spill
	global_load_dwordx4 v[113:116], v[21:22], off
	s_nop 0
	buffer_store_dword v23, off, s[20:23], 0 offset:272 ; 4-byte Folded Spill
	s_nop 0
	buffer_store_dword v24, off, s[20:23], 0 offset:276 ; 4-byte Folded Spill
	global_load_dwordx4 v[1:4], v[23:24], off
	s_waitcnt vmcnt(0)
	buffer_store_dword v1, off, s[20:23], 0 offset:48 ; 4-byte Folded Spill
	s_nop 0
	buffer_store_dword v2, off, s[20:23], 0 offset:52 ; 4-byte Folded Spill
	buffer_store_dword v3, off, s[20:23], 0 offset:56 ; 4-byte Folded Spill
	;; [unrolled: 1-line block ×4, first 2 shown]
	s_nop 0
	buffer_store_dword v26, off, s[20:23], 0 offset:284 ; 4-byte Folded Spill
	global_load_dwordx4 v[121:124], v[25:26], off
	s_nop 0
	buffer_store_dword v27, off, s[20:23], 0 offset:288 ; 4-byte Folded Spill
	s_nop 0
	buffer_store_dword v28, off, s[20:23], 0 offset:292 ; 4-byte Folded Spill
	global_load_dwordx4 v[117:120], v[27:28], off
	s_nop 0
	buffer_store_dword v29, off, s[20:23], 0 offset:296 ; 4-byte Folded Spill
	s_nop 0
	buffer_store_dword v30, off, s[20:23], 0 offset:300 ; 4-byte Folded Spill
	global_load_dwordx4 v[1:4], v[29:30], off
	s_waitcnt vmcnt(0)
	buffer_store_dword v1, off, s[20:23], 0 offset:32 ; 4-byte Folded Spill
	s_nop 0
	buffer_store_dword v2, off, s[20:23], 0 offset:36 ; 4-byte Folded Spill
	buffer_store_dword v3, off, s[20:23], 0 offset:40 ; 4-byte Folded Spill
	buffer_store_dword v4, off, s[20:23], 0 offset:44 ; 4-byte Folded Spill
	buffer_store_dword v31, off, s[20:23], 0 offset:304 ; 4-byte Folded Spill
	s_nop 0
	buffer_store_dword v32, off, s[20:23], 0 offset:308 ; 4-byte Folded Spill
	global_load_dwordx4 v[1:4], v[31:32], off
	s_nop 0
	buffer_store_dword v33, off, s[20:23], 0 offset:312 ; 4-byte Folded Spill
	s_nop 0
	buffer_store_dword v34, off, s[20:23], 0 offset:316 ; 4-byte Folded Spill
	global_load_dwordx4 v[5:8], v[33:34], off
	s_waitcnt vmcnt(0)
	buffer_store_dword v5, off, s[20:23], 0 offset:16 ; 4-byte Folded Spill
	s_nop 0
	buffer_store_dword v6, off, s[20:23], 0 offset:20 ; 4-byte Folded Spill
	buffer_store_dword v7, off, s[20:23], 0 offset:24 ; 4-byte Folded Spill
	;; [unrolled: 1-line block ×4, first 2 shown]
	s_nop 0
	buffer_store_dword v36, off, s[20:23], 0 offset:324 ; 4-byte Folded Spill
	global_load_dwordx4 v[5:8], v[35:36], off
	s_waitcnt vmcnt(0)
	buffer_store_dword v5, off, s[20:23], 0 ; 4-byte Folded Spill
	s_nop 0
	buffer_store_dword v6, off, s[20:23], 0 offset:4 ; 4-byte Folded Spill
	buffer_store_dword v7, off, s[20:23], 0 offset:8 ; 4-byte Folded Spill
	;; [unrolled: 1-line block ×4, first 2 shown]
	s_nop 0
	buffer_store_dword v38, off, s[20:23], 0 offset:332 ; 4-byte Folded Spill
	global_load_dwordx4 v[69:72], v[37:38], off
	s_nop 0
	buffer_store_dword v39, off, s[20:23], 0 offset:336 ; 4-byte Folded Spill
	s_nop 0
	buffer_store_dword v40, off, s[20:23], 0 offset:340 ; 4-byte Folded Spill
	global_load_dwordx4 v[65:68], v[39:40], off
	s_nop 0
	buffer_store_dword v41, off, s[20:23], 0 offset:344 ; 4-byte Folded Spill
	;; [unrolled: 5-line block ×8, first 2 shown]
	s_nop 0
	buffer_store_dword v92, off, s[20:23], 0 offset:388 ; 4-byte Folded Spill
	v_mov_b32_e32 v81, v113
	v_mov_b32_e32 v82, v114
	;; [unrolled: 1-line block ×4, first 2 shown]
	global_load_dwordx4 v[37:40], v[91:92], off
	s_nop 0
	buffer_store_dword v93, off, s[20:23], 0 offset:392 ; 4-byte Folded Spill
	s_nop 0
	buffer_store_dword v94, off, s[20:23], 0 offset:396 ; 4-byte Folded Spill
	v_mov_b32_e32 v92, v76
	v_mov_b32_e32 v91, v75
	;; [unrolled: 1-line block ×4, first 2 shown]
	global_load_dwordx4 v[33:36], v[93:94], off
	s_nop 0
	buffer_store_dword v95, off, s[20:23], 0 offset:400 ; 4-byte Folded Spill
	s_nop 0
	buffer_store_dword v96, off, s[20:23], 0 offset:404 ; 4-byte Folded Spill
	global_load_dwordx4 v[29:32], v[95:96], off
	s_nop 0
	buffer_store_dword v97, off, s[20:23], 0 offset:408 ; 4-byte Folded Spill
	s_nop 0
	buffer_store_dword v98, off, s[20:23], 0 offset:412 ; 4-byte Folded Spill
	v_mov_b32_e32 v96, v4
	v_mov_b32_e32 v95, v3
	;; [unrolled: 1-line block ×4, first 2 shown]
	global_load_dwordx4 v[25:28], v[97:98], off
	s_nop 0
	buffer_store_dword v99, off, s[20:23], 0 offset:416 ; 4-byte Folded Spill
	s_nop 0
	buffer_store_dword v100, off, s[20:23], 0 offset:420 ; 4-byte Folded Spill
	global_load_dwordx4 v[21:24], v[99:100], off
	s_nop 0
	buffer_store_dword v101, off, s[20:23], 0 offset:424 ; 4-byte Folded Spill
	s_nop 0
	buffer_store_dword v102, off, s[20:23], 0 offset:428 ; 4-byte Folded Spill
	;; [unrolled: 5-line block ×7, first 2 shown]
	global_load_dwordx4 v[85:88], v[111:112], off
	v_mov_b32_e32 v109, v117
	v_mov_b32_e32 v110, v118
	;; [unrolled: 1-line block ×8, first 2 shown]
	s_waitcnt vmcnt(0)
	v_mov_b32_e32 v116, v88
	v_mov_b32_e32 v115, v87
	;; [unrolled: 1-line block ×8, first 2 shown]
	s_and_saveexec_b64 s[6:7], s[0:1]
	s_cbranch_execz .LBB75_8
; %bb.2:
	buffer_load_dword v73, off, s[20:23], 0 offset:192 ; 4-byte Folded Reload
	buffer_load_dword v74, off, s[20:23], 0 offset:196 ; 4-byte Folded Reload
	;; [unrolled: 1-line block ×4, first 2 shown]
	s_waitcnt vmcnt(0)
	ds_write2_b64 v127, v[73:74], v[75:76] offset1:1
	buffer_load_dword v73, off, s[20:23], 0 offset:176 ; 4-byte Folded Reload
	buffer_load_dword v74, off, s[20:23], 0 offset:180 ; 4-byte Folded Reload
	buffer_load_dword v75, off, s[20:23], 0 offset:184 ; 4-byte Folded Reload
	buffer_load_dword v76, off, s[20:23], 0 offset:188 ; 4-byte Folded Reload
	s_waitcnt vmcnt(0)
	ds_write2_b64 v125, v[73:74], v[75:76] offset0:2 offset1:3
	buffer_load_dword v73, off, s[20:23], 0 offset:160 ; 4-byte Folded Reload
	buffer_load_dword v74, off, s[20:23], 0 offset:164 ; 4-byte Folded Reload
	buffer_load_dword v75, off, s[20:23], 0 offset:168 ; 4-byte Folded Reload
	buffer_load_dword v76, off, s[20:23], 0 offset:172 ; 4-byte Folded Reload
	s_waitcnt vmcnt(0)
	ds_write2_b64 v125, v[73:74], v[75:76] offset0:4 offset1:5
	;; [unrolled: 6-line block ×7, first 2 shown]
	ds_write2_b64 v125, v[89:90], v[91:92] offset0:16 offset1:17
	ds_write2_b64 v125, v[85:86], v[87:88] offset0:18 offset1:19
	buffer_load_dword v73, off, s[20:23], 0 offset:64 ; 4-byte Folded Reload
	buffer_load_dword v74, off, s[20:23], 0 offset:68 ; 4-byte Folded Reload
	;; [unrolled: 1-line block ×4, first 2 shown]
	s_waitcnt vmcnt(0)
	ds_write2_b64 v125, v[73:74], v[75:76] offset0:20 offset1:21
	ds_write2_b64 v125, v[81:82], v[83:84] offset0:22 offset1:23
	buffer_load_dword v73, off, s[20:23], 0 offset:48 ; 4-byte Folded Reload
	buffer_load_dword v74, off, s[20:23], 0 offset:52 ; 4-byte Folded Reload
	;; [unrolled: 1-line block ×4, first 2 shown]
	s_waitcnt vmcnt(0)
	ds_write2_b64 v125, v[73:74], v[75:76] offset0:24 offset1:25
	ds_write2_b64 v125, v[117:118], v[119:120] offset0:26 offset1:27
	;; [unrolled: 1-line block ×3, first 2 shown]
	buffer_load_dword v97, off, s[20:23], 0 offset:32 ; 4-byte Folded Reload
	buffer_load_dword v98, off, s[20:23], 0 offset:36 ; 4-byte Folded Reload
	;; [unrolled: 1-line block ×4, first 2 shown]
	s_waitcnt vmcnt(0)
	ds_write2_b64 v125, v[97:98], v[99:100] offset0:30 offset1:31
	ds_write2_b64 v125, v[93:94], v[95:96] offset0:32 offset1:33
	buffer_load_dword v77, off, s[20:23], 0 offset:16 ; 4-byte Folded Reload
	buffer_load_dword v78, off, s[20:23], 0 offset:20 ; 4-byte Folded Reload
	;; [unrolled: 1-line block ×4, first 2 shown]
	s_waitcnt vmcnt(0)
	ds_write2_b64 v125, v[77:78], v[79:80] offset0:34 offset1:35
	buffer_load_dword v73, off, s[20:23], 0 ; 4-byte Folded Reload
	buffer_load_dword v74, off, s[20:23], 0 offset:4 ; 4-byte Folded Reload
	buffer_load_dword v75, off, s[20:23], 0 offset:8 ; 4-byte Folded Reload
	;; [unrolled: 1-line block ×3, first 2 shown]
	s_waitcnt vmcnt(0)
	ds_write2_b64 v125, v[73:74], v[75:76] offset0:36 offset1:37
	ds_write2_b64 v125, v[69:70], v[71:72] offset0:38 offset1:39
	;; [unrolled: 1-line block ×20, first 2 shown]
	ds_read2_b64 v[97:100], v127 offset1:1
	s_waitcnt lgkmcnt(0)
	v_cmp_neq_f64_e32 vcc, 0, v[97:98]
	v_cmp_neq_f64_e64 s[4:5], 0, v[99:100]
	s_or_b64 s[4:5], vcc, s[4:5]
	s_and_b64 exec, exec, s[4:5]
	s_cbranch_execz .LBB75_8
; %bb.3:
	v_cmp_ngt_f64_e64 s[4:5], |v[97:98]|, |v[99:100]|
                                        ; implicit-def: $vgpr101_vgpr102
	s_and_saveexec_b64 s[8:9], s[4:5]
	s_xor_b64 s[4:5], exec, s[8:9]
                                        ; implicit-def: $vgpr103_vgpr104
	s_cbranch_execz .LBB75_5
; %bb.4:
	v_div_scale_f64 v[101:102], s[8:9], v[99:100], v[99:100], v[97:98]
	v_rcp_f64_e32 v[103:104], v[101:102]
	v_fma_f64 v[105:106], -v[101:102], v[103:104], 1.0
	v_fma_f64 v[103:104], v[103:104], v[105:106], v[103:104]
	v_div_scale_f64 v[105:106], vcc, v[97:98], v[99:100], v[97:98]
	v_fma_f64 v[107:108], -v[101:102], v[103:104], 1.0
	v_fma_f64 v[103:104], v[103:104], v[107:108], v[103:104]
	v_mul_f64 v[107:108], v[105:106], v[103:104]
	v_fma_f64 v[101:102], -v[101:102], v[107:108], v[105:106]
	v_div_fmas_f64 v[101:102], v[101:102], v[103:104], v[107:108]
	v_div_fixup_f64 v[101:102], v[101:102], v[99:100], v[97:98]
	v_fma_f64 v[97:98], v[97:98], v[101:102], v[99:100]
	v_div_scale_f64 v[99:100], s[8:9], v[97:98], v[97:98], 1.0
	v_div_scale_f64 v[107:108], vcc, 1.0, v[97:98], 1.0
	v_rcp_f64_e32 v[103:104], v[99:100]
	v_fma_f64 v[105:106], -v[99:100], v[103:104], 1.0
	v_fma_f64 v[103:104], v[103:104], v[105:106], v[103:104]
	v_fma_f64 v[105:106], -v[99:100], v[103:104], 1.0
	v_fma_f64 v[103:104], v[103:104], v[105:106], v[103:104]
	v_mul_f64 v[105:106], v[107:108], v[103:104]
	v_fma_f64 v[99:100], -v[99:100], v[105:106], v[107:108]
	v_div_fmas_f64 v[99:100], v[99:100], v[103:104], v[105:106]
	v_div_fixup_f64 v[103:104], v[99:100], v[97:98], 1.0
                                        ; implicit-def: $vgpr97_vgpr98
	v_mul_f64 v[101:102], v[101:102], v[103:104]
	v_xor_b32_e32 v104, 0x80000000, v104
.LBB75_5:
	s_andn2_saveexec_b64 s[4:5], s[4:5]
	s_cbranch_execz .LBB75_7
; %bb.6:
	v_div_scale_f64 v[101:102], s[8:9], v[97:98], v[97:98], v[99:100]
	v_rcp_f64_e32 v[103:104], v[101:102]
	v_fma_f64 v[105:106], -v[101:102], v[103:104], 1.0
	v_fma_f64 v[103:104], v[103:104], v[105:106], v[103:104]
	v_div_scale_f64 v[105:106], vcc, v[99:100], v[97:98], v[99:100]
	v_fma_f64 v[107:108], -v[101:102], v[103:104], 1.0
	v_fma_f64 v[103:104], v[103:104], v[107:108], v[103:104]
	v_mul_f64 v[107:108], v[105:106], v[103:104]
	v_fma_f64 v[101:102], -v[101:102], v[107:108], v[105:106]
	v_div_fmas_f64 v[101:102], v[101:102], v[103:104], v[107:108]
	v_div_fixup_f64 v[103:104], v[101:102], v[97:98], v[99:100]
	v_fma_f64 v[97:98], v[99:100], v[103:104], v[97:98]
	v_div_scale_f64 v[99:100], s[8:9], v[97:98], v[97:98], 1.0
	v_div_scale_f64 v[107:108], vcc, 1.0, v[97:98], 1.0
	v_rcp_f64_e32 v[101:102], v[99:100]
	v_fma_f64 v[105:106], -v[99:100], v[101:102], 1.0
	v_fma_f64 v[101:102], v[101:102], v[105:106], v[101:102]
	v_fma_f64 v[105:106], -v[99:100], v[101:102], 1.0
	v_fma_f64 v[101:102], v[101:102], v[105:106], v[101:102]
	v_mul_f64 v[105:106], v[107:108], v[101:102]
	v_fma_f64 v[99:100], -v[99:100], v[105:106], v[107:108]
	v_div_fmas_f64 v[99:100], v[99:100], v[101:102], v[105:106]
	v_div_fixup_f64 v[101:102], v[99:100], v[97:98], 1.0
	v_mul_f64 v[103:104], v[103:104], -v[101:102]
.LBB75_7:
	s_or_b64 exec, exec, s[4:5]
	ds_write2_b64 v127, v[101:102], v[103:104] offset1:1
.LBB75_8:
	s_or_b64 exec, exec, s[6:7]
	s_waitcnt lgkmcnt(0)
	s_barrier
	ds_read2_b64 v[73:76], v127 offset1:1
	s_waitcnt lgkmcnt(0)
	buffer_store_dword v73, off, s[20:23], 0 offset:560 ; 4-byte Folded Spill
	s_nop 0
	buffer_store_dword v74, off, s[20:23], 0 offset:564 ; 4-byte Folded Spill
	buffer_store_dword v75, off, s[20:23], 0 offset:568 ; 4-byte Folded Spill
	;; [unrolled: 1-line block ×3, first 2 shown]
	s_and_saveexec_b64 s[4:5], s[2:3]
	s_cbranch_execz .LBB75_10
; %bb.9:
	buffer_load_dword v121, off, s[20:23], 0 offset:192 ; 4-byte Folded Reload
	buffer_load_dword v122, off, s[20:23], 0 offset:196 ; 4-byte Folded Reload
	;; [unrolled: 1-line block ×8, first 2 shown]
	s_waitcnt vmcnt(2)
	v_mul_f64 v[99:100], v[73:74], v[123:124]
	s_waitcnt vmcnt(0)
	v_mul_f64 v[97:98], v[75:76], v[123:124]
	v_fma_f64 v[123:124], v[75:76], v[121:122], v[99:100]
	ds_read2_b64 v[99:102], v125 offset0:2 offset1:3
	v_fma_f64 v[97:98], v[73:74], v[121:122], -v[97:98]
	buffer_load_dword v73, off, s[20:23], 0 offset:176 ; 4-byte Folded Reload
	buffer_load_dword v74, off, s[20:23], 0 offset:180 ; 4-byte Folded Reload
	;; [unrolled: 1-line block ×4, first 2 shown]
	s_waitcnt lgkmcnt(0)
	v_mul_f64 v[103:104], v[101:102], v[123:124]
	v_mov_b32_e32 v122, v98
	v_mov_b32_e32 v121, v97
	v_fma_f64 v[103:104], v[99:100], v[97:98], -v[103:104]
	v_mul_f64 v[99:100], v[99:100], v[123:124]
	v_fma_f64 v[99:100], v[101:102], v[97:98], v[99:100]
	s_waitcnt vmcnt(2)
	v_add_f64 v[73:74], v[73:74], -v[103:104]
	s_waitcnt vmcnt(0)
	v_add_f64 v[75:76], v[75:76], -v[99:100]
	buffer_store_dword v73, off, s[20:23], 0 offset:176 ; 4-byte Folded Spill
	s_nop 0
	buffer_store_dword v74, off, s[20:23], 0 offset:180 ; 4-byte Folded Spill
	buffer_store_dword v75, off, s[20:23], 0 offset:184 ; 4-byte Folded Spill
	buffer_store_dword v76, off, s[20:23], 0 offset:188 ; 4-byte Folded Spill
	ds_read2_b64 v[99:102], v125 offset0:4 offset1:5
	buffer_load_dword v73, off, s[20:23], 0 offset:160 ; 4-byte Folded Reload
	buffer_load_dword v74, off, s[20:23], 0 offset:164 ; 4-byte Folded Reload
	buffer_load_dword v75, off, s[20:23], 0 offset:168 ; 4-byte Folded Reload
	buffer_load_dword v76, off, s[20:23], 0 offset:172 ; 4-byte Folded Reload
	s_waitcnt lgkmcnt(0)
	v_mul_f64 v[103:104], v[101:102], v[123:124]
	v_fma_f64 v[103:104], v[99:100], v[97:98], -v[103:104]
	v_mul_f64 v[99:100], v[99:100], v[123:124]
	v_fma_f64 v[99:100], v[101:102], v[97:98], v[99:100]
	s_waitcnt vmcnt(2)
	v_add_f64 v[73:74], v[73:74], -v[103:104]
	s_waitcnt vmcnt(0)
	v_add_f64 v[75:76], v[75:76], -v[99:100]
	buffer_store_dword v73, off, s[20:23], 0 offset:160 ; 4-byte Folded Spill
	s_nop 0
	buffer_store_dword v74, off, s[20:23], 0 offset:164 ; 4-byte Folded Spill
	buffer_store_dword v75, off, s[20:23], 0 offset:168 ; 4-byte Folded Spill
	buffer_store_dword v76, off, s[20:23], 0 offset:172 ; 4-byte Folded Spill
	ds_read2_b64 v[99:102], v125 offset0:6 offset1:7
	buffer_load_dword v73, off, s[20:23], 0 offset:144 ; 4-byte Folded Reload
	buffer_load_dword v74, off, s[20:23], 0 offset:148 ; 4-byte Folded Reload
	buffer_load_dword v75, off, s[20:23], 0 offset:152 ; 4-byte Folded Reload
	buffer_load_dword v76, off, s[20:23], 0 offset:156 ; 4-byte Folded Reload
	s_waitcnt lgkmcnt(0)
	v_mul_f64 v[103:104], v[101:102], v[123:124]
	;; [unrolled: 19-line block ×6, first 2 shown]
	v_fma_f64 v[103:104], v[99:100], v[97:98], -v[103:104]
	v_mul_f64 v[99:100], v[99:100], v[123:124]
	v_fma_f64 v[99:100], v[101:102], v[97:98], v[99:100]
	s_waitcnt vmcnt(2)
	v_add_f64 v[73:74], v[73:74], -v[103:104]
	s_waitcnt vmcnt(0)
	v_add_f64 v[75:76], v[75:76], -v[99:100]
	buffer_store_dword v73, off, s[20:23], 0 offset:80 ; 4-byte Folded Spill
	s_nop 0
	buffer_store_dword v74, off, s[20:23], 0 offset:84 ; 4-byte Folded Spill
	buffer_store_dword v75, off, s[20:23], 0 offset:88 ; 4-byte Folded Spill
	;; [unrolled: 1-line block ×3, first 2 shown]
	ds_read2_b64 v[99:102], v125 offset0:16 offset1:17
	s_waitcnt lgkmcnt(0)
	v_mul_f64 v[103:104], v[101:102], v[123:124]
	v_fma_f64 v[103:104], v[99:100], v[97:98], -v[103:104]
	v_mul_f64 v[99:100], v[99:100], v[123:124]
	v_add_f64 v[89:90], v[89:90], -v[103:104]
	v_fma_f64 v[99:100], v[101:102], v[97:98], v[99:100]
	v_add_f64 v[91:92], v[91:92], -v[99:100]
	ds_read2_b64 v[99:102], v125 offset0:18 offset1:19
	s_waitcnt lgkmcnt(0)
	v_mul_f64 v[103:104], v[101:102], v[123:124]
	v_fma_f64 v[103:104], v[99:100], v[97:98], -v[103:104]
	v_mul_f64 v[99:100], v[99:100], v[123:124]
	v_add_f64 v[85:86], v[85:86], -v[103:104]
	v_fma_f64 v[99:100], v[101:102], v[97:98], v[99:100]
	v_add_f64 v[87:88], v[87:88], -v[99:100]
	ds_read2_b64 v[99:102], v125 offset0:20 offset1:21
	buffer_load_dword v73, off, s[20:23], 0 offset:64 ; 4-byte Folded Reload
	buffer_load_dword v74, off, s[20:23], 0 offset:68 ; 4-byte Folded Reload
	;; [unrolled: 1-line block ×4, first 2 shown]
	s_waitcnt lgkmcnt(0)
	v_mul_f64 v[103:104], v[101:102], v[123:124]
	v_fma_f64 v[103:104], v[99:100], v[97:98], -v[103:104]
	v_mul_f64 v[99:100], v[99:100], v[123:124]
	v_fma_f64 v[99:100], v[101:102], v[97:98], v[99:100]
	s_waitcnt vmcnt(2)
	v_add_f64 v[73:74], v[73:74], -v[103:104]
	s_waitcnt vmcnt(0)
	v_add_f64 v[75:76], v[75:76], -v[99:100]
	buffer_store_dword v73, off, s[20:23], 0 offset:64 ; 4-byte Folded Spill
	s_nop 0
	buffer_store_dword v74, off, s[20:23], 0 offset:68 ; 4-byte Folded Spill
	buffer_store_dword v75, off, s[20:23], 0 offset:72 ; 4-byte Folded Spill
	;; [unrolled: 1-line block ×3, first 2 shown]
	ds_read2_b64 v[99:102], v125 offset0:22 offset1:23
	s_waitcnt lgkmcnt(0)
	v_mul_f64 v[103:104], v[101:102], v[123:124]
	v_fma_f64 v[103:104], v[99:100], v[97:98], -v[103:104]
	v_mul_f64 v[99:100], v[99:100], v[123:124]
	v_add_f64 v[81:82], v[81:82], -v[103:104]
	v_fma_f64 v[99:100], v[101:102], v[97:98], v[99:100]
	v_add_f64 v[83:84], v[83:84], -v[99:100]
	ds_read2_b64 v[99:102], v125 offset0:24 offset1:25
	buffer_load_dword v73, off, s[20:23], 0 offset:48 ; 4-byte Folded Reload
	buffer_load_dword v74, off, s[20:23], 0 offset:52 ; 4-byte Folded Reload
	;; [unrolled: 1-line block ×4, first 2 shown]
	s_waitcnt lgkmcnt(0)
	v_mul_f64 v[103:104], v[101:102], v[123:124]
	v_fma_f64 v[103:104], v[99:100], v[97:98], -v[103:104]
	v_mul_f64 v[99:100], v[99:100], v[123:124]
	v_fma_f64 v[99:100], v[101:102], v[97:98], v[99:100]
	s_waitcnt vmcnt(2)
	v_add_f64 v[73:74], v[73:74], -v[103:104]
	s_waitcnt vmcnt(0)
	v_add_f64 v[75:76], v[75:76], -v[99:100]
	buffer_store_dword v73, off, s[20:23], 0 offset:48 ; 4-byte Folded Spill
	s_nop 0
	buffer_store_dword v74, off, s[20:23], 0 offset:52 ; 4-byte Folded Spill
	buffer_store_dword v75, off, s[20:23], 0 offset:56 ; 4-byte Folded Spill
	;; [unrolled: 1-line block ×3, first 2 shown]
	ds_read2_b64 v[99:102], v125 offset0:26 offset1:27
	s_waitcnt lgkmcnt(0)
	v_mul_f64 v[103:104], v[101:102], v[123:124]
	v_fma_f64 v[103:104], v[99:100], v[97:98], -v[103:104]
	v_mul_f64 v[99:100], v[99:100], v[123:124]
	v_add_f64 v[117:118], v[117:118], -v[103:104]
	v_fma_f64 v[99:100], v[101:102], v[97:98], v[99:100]
	v_add_f64 v[119:120], v[119:120], -v[99:100]
	ds_read2_b64 v[99:102], v125 offset0:28 offset1:29
	s_waitcnt lgkmcnt(0)
	v_mul_f64 v[103:104], v[101:102], v[123:124]
	v_fma_f64 v[103:104], v[99:100], v[97:98], -v[103:104]
	v_mul_f64 v[99:100], v[99:100], v[123:124]
	v_add_f64 v[109:110], v[109:110], -v[103:104]
	v_fma_f64 v[99:100], v[101:102], v[97:98], v[99:100]
	v_add_f64 v[111:112], v[111:112], -v[99:100]
	ds_read2_b64 v[99:102], v125 offset0:30 offset1:31
	buffer_load_dword v105, off, s[20:23], 0 offset:32 ; 4-byte Folded Reload
	buffer_load_dword v106, off, s[20:23], 0 offset:36 ; 4-byte Folded Reload
	;; [unrolled: 1-line block ×4, first 2 shown]
	s_waitcnt lgkmcnt(0)
	v_mul_f64 v[103:104], v[101:102], v[123:124]
	v_fma_f64 v[103:104], v[99:100], v[97:98], -v[103:104]
	v_mul_f64 v[99:100], v[99:100], v[123:124]
	v_fma_f64 v[99:100], v[101:102], v[97:98], v[99:100]
	s_waitcnt vmcnt(2)
	v_add_f64 v[105:106], v[105:106], -v[103:104]
	s_waitcnt vmcnt(0)
	v_add_f64 v[107:108], v[107:108], -v[99:100]
	buffer_store_dword v105, off, s[20:23], 0 offset:32 ; 4-byte Folded Spill
	s_nop 0
	buffer_store_dword v106, off, s[20:23], 0 offset:36 ; 4-byte Folded Spill
	buffer_store_dword v107, off, s[20:23], 0 offset:40 ; 4-byte Folded Spill
	;; [unrolled: 1-line block ×3, first 2 shown]
	ds_read2_b64 v[99:102], v125 offset0:32 offset1:33
	s_waitcnt lgkmcnt(0)
	v_mul_f64 v[103:104], v[101:102], v[123:124]
	v_fma_f64 v[103:104], v[99:100], v[97:98], -v[103:104]
	v_mul_f64 v[99:100], v[99:100], v[123:124]
	v_add_f64 v[93:94], v[93:94], -v[103:104]
	v_fma_f64 v[99:100], v[101:102], v[97:98], v[99:100]
	v_add_f64 v[95:96], v[95:96], -v[99:100]
	ds_read2_b64 v[99:102], v125 offset0:34 offset1:35
	buffer_load_dword v77, off, s[20:23], 0 offset:16 ; 4-byte Folded Reload
	buffer_load_dword v78, off, s[20:23], 0 offset:20 ; 4-byte Folded Reload
	;; [unrolled: 1-line block ×4, first 2 shown]
	s_waitcnt lgkmcnt(0)
	v_mul_f64 v[103:104], v[101:102], v[123:124]
	v_fma_f64 v[103:104], v[99:100], v[97:98], -v[103:104]
	v_mul_f64 v[99:100], v[99:100], v[123:124]
	v_fma_f64 v[99:100], v[101:102], v[97:98], v[99:100]
	s_waitcnt vmcnt(2)
	v_add_f64 v[77:78], v[77:78], -v[103:104]
	s_waitcnt vmcnt(0)
	v_add_f64 v[79:80], v[79:80], -v[99:100]
	buffer_store_dword v77, off, s[20:23], 0 offset:16 ; 4-byte Folded Spill
	s_nop 0
	buffer_store_dword v78, off, s[20:23], 0 offset:20 ; 4-byte Folded Spill
	buffer_store_dword v79, off, s[20:23], 0 offset:24 ; 4-byte Folded Spill
	;; [unrolled: 1-line block ×3, first 2 shown]
	ds_read2_b64 v[99:102], v125 offset0:36 offset1:37
	buffer_load_dword v73, off, s[20:23], 0 ; 4-byte Folded Reload
	buffer_load_dword v74, off, s[20:23], 0 offset:4 ; 4-byte Folded Reload
	buffer_load_dword v75, off, s[20:23], 0 offset:8 ; 4-byte Folded Reload
	;; [unrolled: 1-line block ×3, first 2 shown]
	s_waitcnt lgkmcnt(0)
	v_mul_f64 v[103:104], v[101:102], v[123:124]
	v_fma_f64 v[103:104], v[99:100], v[97:98], -v[103:104]
	v_mul_f64 v[99:100], v[99:100], v[123:124]
	v_fma_f64 v[99:100], v[101:102], v[97:98], v[99:100]
	s_waitcnt vmcnt(2)
	v_add_f64 v[73:74], v[73:74], -v[103:104]
	s_waitcnt vmcnt(0)
	v_add_f64 v[75:76], v[75:76], -v[99:100]
	buffer_store_dword v73, off, s[20:23], 0 ; 4-byte Folded Spill
	s_nop 0
	buffer_store_dword v74, off, s[20:23], 0 offset:4 ; 4-byte Folded Spill
	buffer_store_dword v75, off, s[20:23], 0 offset:8 ; 4-byte Folded Spill
	;; [unrolled: 1-line block ×3, first 2 shown]
	ds_read2_b64 v[99:102], v125 offset0:38 offset1:39
	s_waitcnt lgkmcnt(0)
	v_mul_f64 v[103:104], v[101:102], v[123:124]
	v_fma_f64 v[103:104], v[99:100], v[97:98], -v[103:104]
	v_mul_f64 v[99:100], v[99:100], v[123:124]
	v_add_f64 v[69:70], v[69:70], -v[103:104]
	v_fma_f64 v[99:100], v[101:102], v[97:98], v[99:100]
	v_add_f64 v[71:72], v[71:72], -v[99:100]
	ds_read2_b64 v[99:102], v125 offset0:40 offset1:41
	s_waitcnt lgkmcnt(0)
	v_mul_f64 v[103:104], v[101:102], v[123:124]
	v_fma_f64 v[103:104], v[99:100], v[97:98], -v[103:104]
	v_mul_f64 v[99:100], v[99:100], v[123:124]
	v_add_f64 v[65:66], v[65:66], -v[103:104]
	v_fma_f64 v[99:100], v[101:102], v[97:98], v[99:100]
	v_add_f64 v[67:68], v[67:68], -v[99:100]
	;; [unrolled: 8-line block ×18, first 2 shown]
	ds_read2_b64 v[99:102], v125 offset0:74 offset1:75
	s_waitcnt lgkmcnt(0)
	v_mul_f64 v[103:104], v[101:102], v[123:124]
	v_fma_f64 v[103:104], v[99:100], v[97:98], -v[103:104]
	v_mul_f64 v[99:100], v[99:100], v[123:124]
	buffer_store_dword v121, off, s[20:23], 0 offset:192 ; 4-byte Folded Spill
	s_nop 0
	buffer_store_dword v122, off, s[20:23], 0 offset:196 ; 4-byte Folded Spill
	buffer_store_dword v123, off, s[20:23], 0 offset:200 ; 4-byte Folded Spill
	;; [unrolled: 1-line block ×3, first 2 shown]
	v_add_f64 v[113:114], v[113:114], -v[103:104]
	v_fma_f64 v[99:100], v[101:102], v[97:98], v[99:100]
	v_add_f64 v[115:116], v[115:116], -v[99:100]
.LBB75_10:
	s_or_b64 exec, exec, s[4:5]
	v_cmp_eq_u32_e32 vcc, 1, v0
	s_waitcnt vmcnt(0)
	s_barrier
	s_and_saveexec_b64 s[4:5], vcc
	s_cbranch_execz .LBB75_17
; %bb.11:
	buffer_load_dword v73, off, s[20:23], 0 offset:176 ; 4-byte Folded Reload
	buffer_load_dword v74, off, s[20:23], 0 offset:180 ; 4-byte Folded Reload
	;; [unrolled: 1-line block ×4, first 2 shown]
	s_waitcnt vmcnt(0)
	ds_write2_b64 v127, v[73:74], v[75:76] offset1:1
	buffer_load_dword v73, off, s[20:23], 0 offset:160 ; 4-byte Folded Reload
	buffer_load_dword v74, off, s[20:23], 0 offset:164 ; 4-byte Folded Reload
	buffer_load_dword v75, off, s[20:23], 0 offset:168 ; 4-byte Folded Reload
	buffer_load_dword v76, off, s[20:23], 0 offset:172 ; 4-byte Folded Reload
	s_waitcnt vmcnt(0)
	ds_write2_b64 v125, v[73:74], v[75:76] offset0:4 offset1:5
	buffer_load_dword v73, off, s[20:23], 0 offset:144 ; 4-byte Folded Reload
	buffer_load_dword v74, off, s[20:23], 0 offset:148 ; 4-byte Folded Reload
	buffer_load_dword v75, off, s[20:23], 0 offset:152 ; 4-byte Folded Reload
	buffer_load_dword v76, off, s[20:23], 0 offset:156 ; 4-byte Folded Reload
	s_waitcnt vmcnt(0)
	ds_write2_b64 v125, v[73:74], v[75:76] offset0:6 offset1:7
	;; [unrolled: 6-line block ×6, first 2 shown]
	ds_write2_b64 v125, v[89:90], v[91:92] offset0:16 offset1:17
	ds_write2_b64 v125, v[85:86], v[87:88] offset0:18 offset1:19
	buffer_load_dword v73, off, s[20:23], 0 offset:64 ; 4-byte Folded Reload
	buffer_load_dword v74, off, s[20:23], 0 offset:68 ; 4-byte Folded Reload
	;; [unrolled: 1-line block ×4, first 2 shown]
	s_waitcnt vmcnt(0)
	ds_write2_b64 v125, v[73:74], v[75:76] offset0:20 offset1:21
	ds_write2_b64 v125, v[81:82], v[83:84] offset0:22 offset1:23
	buffer_load_dword v73, off, s[20:23], 0 offset:48 ; 4-byte Folded Reload
	buffer_load_dword v74, off, s[20:23], 0 offset:52 ; 4-byte Folded Reload
	;; [unrolled: 1-line block ×4, first 2 shown]
	s_waitcnt vmcnt(0)
	ds_write2_b64 v125, v[73:74], v[75:76] offset0:24 offset1:25
	ds_write2_b64 v125, v[117:118], v[119:120] offset0:26 offset1:27
	;; [unrolled: 1-line block ×3, first 2 shown]
	buffer_load_dword v97, off, s[20:23], 0 offset:32 ; 4-byte Folded Reload
	buffer_load_dword v98, off, s[20:23], 0 offset:36 ; 4-byte Folded Reload
	;; [unrolled: 1-line block ×4, first 2 shown]
	s_waitcnt vmcnt(0)
	ds_write2_b64 v125, v[97:98], v[99:100] offset0:30 offset1:31
	ds_write2_b64 v125, v[93:94], v[95:96] offset0:32 offset1:33
	buffer_load_dword v77, off, s[20:23], 0 offset:16 ; 4-byte Folded Reload
	buffer_load_dword v78, off, s[20:23], 0 offset:20 ; 4-byte Folded Reload
	;; [unrolled: 1-line block ×4, first 2 shown]
	s_waitcnt vmcnt(0)
	ds_write2_b64 v125, v[77:78], v[79:80] offset0:34 offset1:35
	buffer_load_dword v73, off, s[20:23], 0 ; 4-byte Folded Reload
	buffer_load_dword v74, off, s[20:23], 0 offset:4 ; 4-byte Folded Reload
	buffer_load_dword v75, off, s[20:23], 0 offset:8 ; 4-byte Folded Reload
	;; [unrolled: 1-line block ×3, first 2 shown]
	s_waitcnt vmcnt(0)
	ds_write2_b64 v125, v[73:74], v[75:76] offset0:36 offset1:37
	ds_write2_b64 v125, v[69:70], v[71:72] offset0:38 offset1:39
	;; [unrolled: 1-line block ×20, first 2 shown]
	ds_read2_b64 v[97:100], v127 offset1:1
	s_waitcnt lgkmcnt(0)
	v_cmp_neq_f64_e32 vcc, 0, v[97:98]
	v_cmp_neq_f64_e64 s[2:3], 0, v[99:100]
	s_or_b64 s[2:3], vcc, s[2:3]
	s_and_b64 exec, exec, s[2:3]
	s_cbranch_execz .LBB75_17
; %bb.12:
	v_cmp_ngt_f64_e64 s[2:3], |v[97:98]|, |v[99:100]|
                                        ; implicit-def: $vgpr101_vgpr102
	s_and_saveexec_b64 s[6:7], s[2:3]
	s_xor_b64 s[2:3], exec, s[6:7]
                                        ; implicit-def: $vgpr103_vgpr104
	s_cbranch_execz .LBB75_14
; %bb.13:
	v_div_scale_f64 v[101:102], s[6:7], v[99:100], v[99:100], v[97:98]
	v_rcp_f64_e32 v[103:104], v[101:102]
	v_fma_f64 v[105:106], -v[101:102], v[103:104], 1.0
	v_fma_f64 v[103:104], v[103:104], v[105:106], v[103:104]
	v_div_scale_f64 v[105:106], vcc, v[97:98], v[99:100], v[97:98]
	v_fma_f64 v[107:108], -v[101:102], v[103:104], 1.0
	v_fma_f64 v[103:104], v[103:104], v[107:108], v[103:104]
	v_mul_f64 v[107:108], v[105:106], v[103:104]
	v_fma_f64 v[101:102], -v[101:102], v[107:108], v[105:106]
	v_div_fmas_f64 v[101:102], v[101:102], v[103:104], v[107:108]
	v_div_fixup_f64 v[101:102], v[101:102], v[99:100], v[97:98]
	v_fma_f64 v[97:98], v[97:98], v[101:102], v[99:100]
	v_div_scale_f64 v[99:100], s[6:7], v[97:98], v[97:98], 1.0
	v_div_scale_f64 v[107:108], vcc, 1.0, v[97:98], 1.0
	v_rcp_f64_e32 v[103:104], v[99:100]
	v_fma_f64 v[105:106], -v[99:100], v[103:104], 1.0
	v_fma_f64 v[103:104], v[103:104], v[105:106], v[103:104]
	v_fma_f64 v[105:106], -v[99:100], v[103:104], 1.0
	v_fma_f64 v[103:104], v[103:104], v[105:106], v[103:104]
	v_mul_f64 v[105:106], v[107:108], v[103:104]
	v_fma_f64 v[99:100], -v[99:100], v[105:106], v[107:108]
	v_div_fmas_f64 v[99:100], v[99:100], v[103:104], v[105:106]
	v_div_fixup_f64 v[103:104], v[99:100], v[97:98], 1.0
                                        ; implicit-def: $vgpr97_vgpr98
	v_mul_f64 v[101:102], v[101:102], v[103:104]
	v_xor_b32_e32 v104, 0x80000000, v104
.LBB75_14:
	s_andn2_saveexec_b64 s[2:3], s[2:3]
	s_cbranch_execz .LBB75_16
; %bb.15:
	v_div_scale_f64 v[101:102], s[6:7], v[97:98], v[97:98], v[99:100]
	v_rcp_f64_e32 v[103:104], v[101:102]
	v_fma_f64 v[105:106], -v[101:102], v[103:104], 1.0
	v_fma_f64 v[103:104], v[103:104], v[105:106], v[103:104]
	v_div_scale_f64 v[105:106], vcc, v[99:100], v[97:98], v[99:100]
	v_fma_f64 v[107:108], -v[101:102], v[103:104], 1.0
	v_fma_f64 v[103:104], v[103:104], v[107:108], v[103:104]
	v_mul_f64 v[107:108], v[105:106], v[103:104]
	v_fma_f64 v[101:102], -v[101:102], v[107:108], v[105:106]
	v_div_fmas_f64 v[101:102], v[101:102], v[103:104], v[107:108]
	v_div_fixup_f64 v[103:104], v[101:102], v[97:98], v[99:100]
	v_fma_f64 v[97:98], v[99:100], v[103:104], v[97:98]
	v_div_scale_f64 v[99:100], s[6:7], v[97:98], v[97:98], 1.0
	v_div_scale_f64 v[107:108], vcc, 1.0, v[97:98], 1.0
	v_rcp_f64_e32 v[101:102], v[99:100]
	v_fma_f64 v[105:106], -v[99:100], v[101:102], 1.0
	v_fma_f64 v[101:102], v[101:102], v[105:106], v[101:102]
	v_fma_f64 v[105:106], -v[99:100], v[101:102], 1.0
	v_fma_f64 v[101:102], v[101:102], v[105:106], v[101:102]
	v_mul_f64 v[105:106], v[107:108], v[101:102]
	v_fma_f64 v[99:100], -v[99:100], v[105:106], v[107:108]
	v_div_fmas_f64 v[99:100], v[99:100], v[101:102], v[105:106]
	v_div_fixup_f64 v[101:102], v[99:100], v[97:98], 1.0
	v_mul_f64 v[103:104], v[103:104], -v[101:102]
.LBB75_16:
	s_or_b64 exec, exec, s[2:3]
	ds_write2_b64 v127, v[101:102], v[103:104] offset1:1
.LBB75_17:
	s_or_b64 exec, exec, s[4:5]
	s_waitcnt lgkmcnt(0)
	s_barrier
	ds_read2_b64 v[73:76], v127 offset1:1
	v_cmp_lt_u32_e32 vcc, 1, v0
	s_waitcnt lgkmcnt(0)
	buffer_store_dword v73, off, s[20:23], 0 offset:576 ; 4-byte Folded Spill
	s_nop 0
	buffer_store_dword v74, off, s[20:23], 0 offset:580 ; 4-byte Folded Spill
	buffer_store_dword v75, off, s[20:23], 0 offset:584 ; 4-byte Folded Spill
	;; [unrolled: 1-line block ×3, first 2 shown]
	s_and_saveexec_b64 s[2:3], vcc
	s_cbranch_execz .LBB75_19
; %bb.18:
	buffer_load_dword v121, off, s[20:23], 0 offset:176 ; 4-byte Folded Reload
	buffer_load_dword v122, off, s[20:23], 0 offset:180 ; 4-byte Folded Reload
	;; [unrolled: 1-line block ×8, first 2 shown]
	s_waitcnt vmcnt(2)
	v_mul_f64 v[99:100], v[73:74], v[123:124]
	s_waitcnt vmcnt(0)
	v_mul_f64 v[97:98], v[75:76], v[123:124]
	v_fma_f64 v[123:124], v[75:76], v[121:122], v[99:100]
	ds_read2_b64 v[99:102], v125 offset0:4 offset1:5
	v_fma_f64 v[97:98], v[73:74], v[121:122], -v[97:98]
	buffer_load_dword v73, off, s[20:23], 0 offset:160 ; 4-byte Folded Reload
	buffer_load_dword v74, off, s[20:23], 0 offset:164 ; 4-byte Folded Reload
	;; [unrolled: 1-line block ×4, first 2 shown]
	s_waitcnt lgkmcnt(0)
	v_mul_f64 v[103:104], v[101:102], v[123:124]
	v_mov_b32_e32 v122, v98
	v_mov_b32_e32 v121, v97
	v_fma_f64 v[103:104], v[99:100], v[97:98], -v[103:104]
	v_mul_f64 v[99:100], v[99:100], v[123:124]
	v_fma_f64 v[99:100], v[101:102], v[97:98], v[99:100]
	s_waitcnt vmcnt(2)
	v_add_f64 v[73:74], v[73:74], -v[103:104]
	s_waitcnt vmcnt(0)
	v_add_f64 v[75:76], v[75:76], -v[99:100]
	buffer_store_dword v73, off, s[20:23], 0 offset:160 ; 4-byte Folded Spill
	s_nop 0
	buffer_store_dword v74, off, s[20:23], 0 offset:164 ; 4-byte Folded Spill
	buffer_store_dword v75, off, s[20:23], 0 offset:168 ; 4-byte Folded Spill
	buffer_store_dword v76, off, s[20:23], 0 offset:172 ; 4-byte Folded Spill
	ds_read2_b64 v[99:102], v125 offset0:6 offset1:7
	buffer_load_dword v73, off, s[20:23], 0 offset:144 ; 4-byte Folded Reload
	buffer_load_dword v74, off, s[20:23], 0 offset:148 ; 4-byte Folded Reload
	buffer_load_dword v75, off, s[20:23], 0 offset:152 ; 4-byte Folded Reload
	buffer_load_dword v76, off, s[20:23], 0 offset:156 ; 4-byte Folded Reload
	s_waitcnt lgkmcnt(0)
	v_mul_f64 v[103:104], v[101:102], v[123:124]
	v_fma_f64 v[103:104], v[99:100], v[97:98], -v[103:104]
	v_mul_f64 v[99:100], v[99:100], v[123:124]
	v_fma_f64 v[99:100], v[101:102], v[97:98], v[99:100]
	s_waitcnt vmcnt(2)
	v_add_f64 v[73:74], v[73:74], -v[103:104]
	s_waitcnt vmcnt(0)
	v_add_f64 v[75:76], v[75:76], -v[99:100]
	buffer_store_dword v73, off, s[20:23], 0 offset:144 ; 4-byte Folded Spill
	s_nop 0
	buffer_store_dword v74, off, s[20:23], 0 offset:148 ; 4-byte Folded Spill
	buffer_store_dword v75, off, s[20:23], 0 offset:152 ; 4-byte Folded Spill
	buffer_store_dword v76, off, s[20:23], 0 offset:156 ; 4-byte Folded Spill
	ds_read2_b64 v[99:102], v125 offset0:8 offset1:9
	buffer_load_dword v73, off, s[20:23], 0 offset:128 ; 4-byte Folded Reload
	buffer_load_dword v74, off, s[20:23], 0 offset:132 ; 4-byte Folded Reload
	buffer_load_dword v75, off, s[20:23], 0 offset:136 ; 4-byte Folded Reload
	buffer_load_dword v76, off, s[20:23], 0 offset:140 ; 4-byte Folded Reload
	s_waitcnt lgkmcnt(0)
	v_mul_f64 v[103:104], v[101:102], v[123:124]
	;; [unrolled: 19-line block ×5, first 2 shown]
	v_fma_f64 v[103:104], v[99:100], v[97:98], -v[103:104]
	v_mul_f64 v[99:100], v[99:100], v[123:124]
	v_fma_f64 v[99:100], v[101:102], v[97:98], v[99:100]
	s_waitcnt vmcnt(2)
	v_add_f64 v[73:74], v[73:74], -v[103:104]
	s_waitcnt vmcnt(0)
	v_add_f64 v[75:76], v[75:76], -v[99:100]
	buffer_store_dword v73, off, s[20:23], 0 offset:80 ; 4-byte Folded Spill
	s_nop 0
	buffer_store_dword v74, off, s[20:23], 0 offset:84 ; 4-byte Folded Spill
	buffer_store_dword v75, off, s[20:23], 0 offset:88 ; 4-byte Folded Spill
	;; [unrolled: 1-line block ×3, first 2 shown]
	ds_read2_b64 v[99:102], v125 offset0:16 offset1:17
	s_waitcnt lgkmcnt(0)
	v_mul_f64 v[103:104], v[101:102], v[123:124]
	v_fma_f64 v[103:104], v[99:100], v[97:98], -v[103:104]
	v_mul_f64 v[99:100], v[99:100], v[123:124]
	v_add_f64 v[89:90], v[89:90], -v[103:104]
	v_fma_f64 v[99:100], v[101:102], v[97:98], v[99:100]
	v_add_f64 v[91:92], v[91:92], -v[99:100]
	ds_read2_b64 v[99:102], v125 offset0:18 offset1:19
	s_waitcnt lgkmcnt(0)
	v_mul_f64 v[103:104], v[101:102], v[123:124]
	v_fma_f64 v[103:104], v[99:100], v[97:98], -v[103:104]
	v_mul_f64 v[99:100], v[99:100], v[123:124]
	v_add_f64 v[85:86], v[85:86], -v[103:104]
	v_fma_f64 v[99:100], v[101:102], v[97:98], v[99:100]
	v_add_f64 v[87:88], v[87:88], -v[99:100]
	ds_read2_b64 v[99:102], v125 offset0:20 offset1:21
	buffer_load_dword v73, off, s[20:23], 0 offset:64 ; 4-byte Folded Reload
	buffer_load_dword v74, off, s[20:23], 0 offset:68 ; 4-byte Folded Reload
	;; [unrolled: 1-line block ×4, first 2 shown]
	s_waitcnt lgkmcnt(0)
	v_mul_f64 v[103:104], v[101:102], v[123:124]
	v_fma_f64 v[103:104], v[99:100], v[97:98], -v[103:104]
	v_mul_f64 v[99:100], v[99:100], v[123:124]
	v_fma_f64 v[99:100], v[101:102], v[97:98], v[99:100]
	s_waitcnt vmcnt(2)
	v_add_f64 v[73:74], v[73:74], -v[103:104]
	s_waitcnt vmcnt(0)
	v_add_f64 v[75:76], v[75:76], -v[99:100]
	buffer_store_dword v73, off, s[20:23], 0 offset:64 ; 4-byte Folded Spill
	s_nop 0
	buffer_store_dword v74, off, s[20:23], 0 offset:68 ; 4-byte Folded Spill
	buffer_store_dword v75, off, s[20:23], 0 offset:72 ; 4-byte Folded Spill
	;; [unrolled: 1-line block ×3, first 2 shown]
	ds_read2_b64 v[99:102], v125 offset0:22 offset1:23
	s_waitcnt lgkmcnt(0)
	v_mul_f64 v[103:104], v[101:102], v[123:124]
	v_fma_f64 v[103:104], v[99:100], v[97:98], -v[103:104]
	v_mul_f64 v[99:100], v[99:100], v[123:124]
	v_add_f64 v[81:82], v[81:82], -v[103:104]
	v_fma_f64 v[99:100], v[101:102], v[97:98], v[99:100]
	v_add_f64 v[83:84], v[83:84], -v[99:100]
	ds_read2_b64 v[99:102], v125 offset0:24 offset1:25
	buffer_load_dword v73, off, s[20:23], 0 offset:48 ; 4-byte Folded Reload
	buffer_load_dword v74, off, s[20:23], 0 offset:52 ; 4-byte Folded Reload
	;; [unrolled: 1-line block ×4, first 2 shown]
	s_waitcnt lgkmcnt(0)
	v_mul_f64 v[103:104], v[101:102], v[123:124]
	v_fma_f64 v[103:104], v[99:100], v[97:98], -v[103:104]
	v_mul_f64 v[99:100], v[99:100], v[123:124]
	v_fma_f64 v[99:100], v[101:102], v[97:98], v[99:100]
	s_waitcnt vmcnt(2)
	v_add_f64 v[73:74], v[73:74], -v[103:104]
	s_waitcnt vmcnt(0)
	v_add_f64 v[75:76], v[75:76], -v[99:100]
	buffer_store_dword v73, off, s[20:23], 0 offset:48 ; 4-byte Folded Spill
	s_nop 0
	buffer_store_dword v74, off, s[20:23], 0 offset:52 ; 4-byte Folded Spill
	buffer_store_dword v75, off, s[20:23], 0 offset:56 ; 4-byte Folded Spill
	;; [unrolled: 1-line block ×3, first 2 shown]
	ds_read2_b64 v[99:102], v125 offset0:26 offset1:27
	s_waitcnt lgkmcnt(0)
	v_mul_f64 v[103:104], v[101:102], v[123:124]
	v_fma_f64 v[103:104], v[99:100], v[97:98], -v[103:104]
	v_mul_f64 v[99:100], v[99:100], v[123:124]
	v_add_f64 v[117:118], v[117:118], -v[103:104]
	v_fma_f64 v[99:100], v[101:102], v[97:98], v[99:100]
	v_add_f64 v[119:120], v[119:120], -v[99:100]
	ds_read2_b64 v[99:102], v125 offset0:28 offset1:29
	s_waitcnt lgkmcnt(0)
	v_mul_f64 v[103:104], v[101:102], v[123:124]
	v_fma_f64 v[103:104], v[99:100], v[97:98], -v[103:104]
	v_mul_f64 v[99:100], v[99:100], v[123:124]
	v_add_f64 v[109:110], v[109:110], -v[103:104]
	v_fma_f64 v[99:100], v[101:102], v[97:98], v[99:100]
	v_add_f64 v[111:112], v[111:112], -v[99:100]
	ds_read2_b64 v[99:102], v125 offset0:30 offset1:31
	buffer_load_dword v105, off, s[20:23], 0 offset:32 ; 4-byte Folded Reload
	buffer_load_dword v106, off, s[20:23], 0 offset:36 ; 4-byte Folded Reload
	;; [unrolled: 1-line block ×4, first 2 shown]
	s_waitcnt lgkmcnt(0)
	v_mul_f64 v[103:104], v[101:102], v[123:124]
	v_fma_f64 v[103:104], v[99:100], v[97:98], -v[103:104]
	v_mul_f64 v[99:100], v[99:100], v[123:124]
	v_fma_f64 v[99:100], v[101:102], v[97:98], v[99:100]
	s_waitcnt vmcnt(2)
	v_add_f64 v[105:106], v[105:106], -v[103:104]
	s_waitcnt vmcnt(0)
	v_add_f64 v[107:108], v[107:108], -v[99:100]
	buffer_store_dword v105, off, s[20:23], 0 offset:32 ; 4-byte Folded Spill
	s_nop 0
	buffer_store_dword v106, off, s[20:23], 0 offset:36 ; 4-byte Folded Spill
	buffer_store_dword v107, off, s[20:23], 0 offset:40 ; 4-byte Folded Spill
	;; [unrolled: 1-line block ×3, first 2 shown]
	ds_read2_b64 v[99:102], v125 offset0:32 offset1:33
	s_waitcnt lgkmcnt(0)
	v_mul_f64 v[103:104], v[101:102], v[123:124]
	v_fma_f64 v[103:104], v[99:100], v[97:98], -v[103:104]
	v_mul_f64 v[99:100], v[99:100], v[123:124]
	v_add_f64 v[93:94], v[93:94], -v[103:104]
	v_fma_f64 v[99:100], v[101:102], v[97:98], v[99:100]
	v_add_f64 v[95:96], v[95:96], -v[99:100]
	ds_read2_b64 v[99:102], v125 offset0:34 offset1:35
	buffer_load_dword v77, off, s[20:23], 0 offset:16 ; 4-byte Folded Reload
	buffer_load_dword v78, off, s[20:23], 0 offset:20 ; 4-byte Folded Reload
	;; [unrolled: 1-line block ×4, first 2 shown]
	s_waitcnt lgkmcnt(0)
	v_mul_f64 v[103:104], v[101:102], v[123:124]
	v_fma_f64 v[103:104], v[99:100], v[97:98], -v[103:104]
	v_mul_f64 v[99:100], v[99:100], v[123:124]
	v_fma_f64 v[99:100], v[101:102], v[97:98], v[99:100]
	s_waitcnt vmcnt(2)
	v_add_f64 v[77:78], v[77:78], -v[103:104]
	s_waitcnt vmcnt(0)
	v_add_f64 v[79:80], v[79:80], -v[99:100]
	buffer_store_dword v77, off, s[20:23], 0 offset:16 ; 4-byte Folded Spill
	s_nop 0
	buffer_store_dword v78, off, s[20:23], 0 offset:20 ; 4-byte Folded Spill
	buffer_store_dword v79, off, s[20:23], 0 offset:24 ; 4-byte Folded Spill
	;; [unrolled: 1-line block ×3, first 2 shown]
	ds_read2_b64 v[99:102], v125 offset0:36 offset1:37
	buffer_load_dword v73, off, s[20:23], 0 ; 4-byte Folded Reload
	buffer_load_dword v74, off, s[20:23], 0 offset:4 ; 4-byte Folded Reload
	buffer_load_dword v75, off, s[20:23], 0 offset:8 ; 4-byte Folded Reload
	;; [unrolled: 1-line block ×3, first 2 shown]
	s_waitcnt lgkmcnt(0)
	v_mul_f64 v[103:104], v[101:102], v[123:124]
	v_fma_f64 v[103:104], v[99:100], v[97:98], -v[103:104]
	v_mul_f64 v[99:100], v[99:100], v[123:124]
	v_fma_f64 v[99:100], v[101:102], v[97:98], v[99:100]
	s_waitcnt vmcnt(2)
	v_add_f64 v[73:74], v[73:74], -v[103:104]
	s_waitcnt vmcnt(0)
	v_add_f64 v[75:76], v[75:76], -v[99:100]
	buffer_store_dword v73, off, s[20:23], 0 ; 4-byte Folded Spill
	s_nop 0
	buffer_store_dword v74, off, s[20:23], 0 offset:4 ; 4-byte Folded Spill
	buffer_store_dword v75, off, s[20:23], 0 offset:8 ; 4-byte Folded Spill
	;; [unrolled: 1-line block ×3, first 2 shown]
	ds_read2_b64 v[99:102], v125 offset0:38 offset1:39
	s_waitcnt lgkmcnt(0)
	v_mul_f64 v[103:104], v[101:102], v[123:124]
	v_fma_f64 v[103:104], v[99:100], v[97:98], -v[103:104]
	v_mul_f64 v[99:100], v[99:100], v[123:124]
	v_add_f64 v[69:70], v[69:70], -v[103:104]
	v_fma_f64 v[99:100], v[101:102], v[97:98], v[99:100]
	v_add_f64 v[71:72], v[71:72], -v[99:100]
	ds_read2_b64 v[99:102], v125 offset0:40 offset1:41
	s_waitcnt lgkmcnt(0)
	v_mul_f64 v[103:104], v[101:102], v[123:124]
	v_fma_f64 v[103:104], v[99:100], v[97:98], -v[103:104]
	v_mul_f64 v[99:100], v[99:100], v[123:124]
	v_add_f64 v[65:66], v[65:66], -v[103:104]
	v_fma_f64 v[99:100], v[101:102], v[97:98], v[99:100]
	v_add_f64 v[67:68], v[67:68], -v[99:100]
	;; [unrolled: 8-line block ×18, first 2 shown]
	ds_read2_b64 v[99:102], v125 offset0:74 offset1:75
	s_waitcnt lgkmcnt(0)
	v_mul_f64 v[103:104], v[101:102], v[123:124]
	v_fma_f64 v[103:104], v[99:100], v[97:98], -v[103:104]
	v_mul_f64 v[99:100], v[99:100], v[123:124]
	buffer_store_dword v121, off, s[20:23], 0 offset:176 ; 4-byte Folded Spill
	s_nop 0
	buffer_store_dword v122, off, s[20:23], 0 offset:180 ; 4-byte Folded Spill
	buffer_store_dword v123, off, s[20:23], 0 offset:184 ; 4-byte Folded Spill
	;; [unrolled: 1-line block ×3, first 2 shown]
	v_add_f64 v[113:114], v[113:114], -v[103:104]
	v_fma_f64 v[99:100], v[101:102], v[97:98], v[99:100]
	v_add_f64 v[115:116], v[115:116], -v[99:100]
.LBB75_19:
	s_or_b64 exec, exec, s[2:3]
	v_cmp_eq_u32_e32 vcc, 2, v0
	s_waitcnt vmcnt(0)
	s_barrier
	s_and_saveexec_b64 s[4:5], vcc
	s_cbranch_execz .LBB75_26
; %bb.20:
	buffer_load_dword v73, off, s[20:23], 0 offset:160 ; 4-byte Folded Reload
	buffer_load_dword v74, off, s[20:23], 0 offset:164 ; 4-byte Folded Reload
	;; [unrolled: 1-line block ×4, first 2 shown]
	s_waitcnt vmcnt(0)
	ds_write2_b64 v127, v[73:74], v[75:76] offset1:1
	buffer_load_dword v73, off, s[20:23], 0 offset:144 ; 4-byte Folded Reload
	buffer_load_dword v74, off, s[20:23], 0 offset:148 ; 4-byte Folded Reload
	buffer_load_dword v75, off, s[20:23], 0 offset:152 ; 4-byte Folded Reload
	buffer_load_dword v76, off, s[20:23], 0 offset:156 ; 4-byte Folded Reload
	s_waitcnt vmcnt(0)
	ds_write2_b64 v125, v[73:74], v[75:76] offset0:6 offset1:7
	buffer_load_dword v73, off, s[20:23], 0 offset:128 ; 4-byte Folded Reload
	buffer_load_dword v74, off, s[20:23], 0 offset:132 ; 4-byte Folded Reload
	buffer_load_dword v75, off, s[20:23], 0 offset:136 ; 4-byte Folded Reload
	buffer_load_dword v76, off, s[20:23], 0 offset:140 ; 4-byte Folded Reload
	s_waitcnt vmcnt(0)
	ds_write2_b64 v125, v[73:74], v[75:76] offset0:8 offset1:9
	;; [unrolled: 6-line block ×5, first 2 shown]
	ds_write2_b64 v125, v[89:90], v[91:92] offset0:16 offset1:17
	ds_write2_b64 v125, v[85:86], v[87:88] offset0:18 offset1:19
	buffer_load_dword v73, off, s[20:23], 0 offset:64 ; 4-byte Folded Reload
	buffer_load_dword v74, off, s[20:23], 0 offset:68 ; 4-byte Folded Reload
	;; [unrolled: 1-line block ×4, first 2 shown]
	s_waitcnt vmcnt(0)
	ds_write2_b64 v125, v[73:74], v[75:76] offset0:20 offset1:21
	ds_write2_b64 v125, v[81:82], v[83:84] offset0:22 offset1:23
	buffer_load_dword v73, off, s[20:23], 0 offset:48 ; 4-byte Folded Reload
	buffer_load_dword v74, off, s[20:23], 0 offset:52 ; 4-byte Folded Reload
	;; [unrolled: 1-line block ×4, first 2 shown]
	s_waitcnt vmcnt(0)
	ds_write2_b64 v125, v[73:74], v[75:76] offset0:24 offset1:25
	ds_write2_b64 v125, v[117:118], v[119:120] offset0:26 offset1:27
	;; [unrolled: 1-line block ×3, first 2 shown]
	buffer_load_dword v97, off, s[20:23], 0 offset:32 ; 4-byte Folded Reload
	buffer_load_dword v98, off, s[20:23], 0 offset:36 ; 4-byte Folded Reload
	;; [unrolled: 1-line block ×4, first 2 shown]
	s_waitcnt vmcnt(0)
	ds_write2_b64 v125, v[97:98], v[99:100] offset0:30 offset1:31
	ds_write2_b64 v125, v[93:94], v[95:96] offset0:32 offset1:33
	buffer_load_dword v77, off, s[20:23], 0 offset:16 ; 4-byte Folded Reload
	buffer_load_dword v78, off, s[20:23], 0 offset:20 ; 4-byte Folded Reload
	;; [unrolled: 1-line block ×4, first 2 shown]
	s_waitcnt vmcnt(0)
	ds_write2_b64 v125, v[77:78], v[79:80] offset0:34 offset1:35
	buffer_load_dword v73, off, s[20:23], 0 ; 4-byte Folded Reload
	buffer_load_dword v74, off, s[20:23], 0 offset:4 ; 4-byte Folded Reload
	buffer_load_dword v75, off, s[20:23], 0 offset:8 ; 4-byte Folded Reload
	;; [unrolled: 1-line block ×3, first 2 shown]
	s_waitcnt vmcnt(0)
	ds_write2_b64 v125, v[73:74], v[75:76] offset0:36 offset1:37
	ds_write2_b64 v125, v[69:70], v[71:72] offset0:38 offset1:39
	;; [unrolled: 1-line block ×20, first 2 shown]
	ds_read2_b64 v[97:100], v127 offset1:1
	s_waitcnt lgkmcnt(0)
	v_cmp_neq_f64_e32 vcc, 0, v[97:98]
	v_cmp_neq_f64_e64 s[2:3], 0, v[99:100]
	s_or_b64 s[2:3], vcc, s[2:3]
	s_and_b64 exec, exec, s[2:3]
	s_cbranch_execz .LBB75_26
; %bb.21:
	v_cmp_ngt_f64_e64 s[2:3], |v[97:98]|, |v[99:100]|
                                        ; implicit-def: $vgpr101_vgpr102
	s_and_saveexec_b64 s[6:7], s[2:3]
	s_xor_b64 s[2:3], exec, s[6:7]
                                        ; implicit-def: $vgpr103_vgpr104
	s_cbranch_execz .LBB75_23
; %bb.22:
	v_div_scale_f64 v[101:102], s[6:7], v[99:100], v[99:100], v[97:98]
	v_rcp_f64_e32 v[103:104], v[101:102]
	v_fma_f64 v[105:106], -v[101:102], v[103:104], 1.0
	v_fma_f64 v[103:104], v[103:104], v[105:106], v[103:104]
	v_div_scale_f64 v[105:106], vcc, v[97:98], v[99:100], v[97:98]
	v_fma_f64 v[107:108], -v[101:102], v[103:104], 1.0
	v_fma_f64 v[103:104], v[103:104], v[107:108], v[103:104]
	v_mul_f64 v[107:108], v[105:106], v[103:104]
	v_fma_f64 v[101:102], -v[101:102], v[107:108], v[105:106]
	v_div_fmas_f64 v[101:102], v[101:102], v[103:104], v[107:108]
	v_div_fixup_f64 v[101:102], v[101:102], v[99:100], v[97:98]
	v_fma_f64 v[97:98], v[97:98], v[101:102], v[99:100]
	v_div_scale_f64 v[99:100], s[6:7], v[97:98], v[97:98], 1.0
	v_div_scale_f64 v[107:108], vcc, 1.0, v[97:98], 1.0
	v_rcp_f64_e32 v[103:104], v[99:100]
	v_fma_f64 v[105:106], -v[99:100], v[103:104], 1.0
	v_fma_f64 v[103:104], v[103:104], v[105:106], v[103:104]
	v_fma_f64 v[105:106], -v[99:100], v[103:104], 1.0
	v_fma_f64 v[103:104], v[103:104], v[105:106], v[103:104]
	v_mul_f64 v[105:106], v[107:108], v[103:104]
	v_fma_f64 v[99:100], -v[99:100], v[105:106], v[107:108]
	v_div_fmas_f64 v[99:100], v[99:100], v[103:104], v[105:106]
	v_div_fixup_f64 v[103:104], v[99:100], v[97:98], 1.0
                                        ; implicit-def: $vgpr97_vgpr98
	v_mul_f64 v[101:102], v[101:102], v[103:104]
	v_xor_b32_e32 v104, 0x80000000, v104
.LBB75_23:
	s_andn2_saveexec_b64 s[2:3], s[2:3]
	s_cbranch_execz .LBB75_25
; %bb.24:
	v_div_scale_f64 v[101:102], s[6:7], v[97:98], v[97:98], v[99:100]
	v_rcp_f64_e32 v[103:104], v[101:102]
	v_fma_f64 v[105:106], -v[101:102], v[103:104], 1.0
	v_fma_f64 v[103:104], v[103:104], v[105:106], v[103:104]
	v_div_scale_f64 v[105:106], vcc, v[99:100], v[97:98], v[99:100]
	v_fma_f64 v[107:108], -v[101:102], v[103:104], 1.0
	v_fma_f64 v[103:104], v[103:104], v[107:108], v[103:104]
	v_mul_f64 v[107:108], v[105:106], v[103:104]
	v_fma_f64 v[101:102], -v[101:102], v[107:108], v[105:106]
	v_div_fmas_f64 v[101:102], v[101:102], v[103:104], v[107:108]
	v_div_fixup_f64 v[103:104], v[101:102], v[97:98], v[99:100]
	v_fma_f64 v[97:98], v[99:100], v[103:104], v[97:98]
	v_div_scale_f64 v[99:100], s[6:7], v[97:98], v[97:98], 1.0
	v_div_scale_f64 v[107:108], vcc, 1.0, v[97:98], 1.0
	v_rcp_f64_e32 v[101:102], v[99:100]
	v_fma_f64 v[105:106], -v[99:100], v[101:102], 1.0
	v_fma_f64 v[101:102], v[101:102], v[105:106], v[101:102]
	v_fma_f64 v[105:106], -v[99:100], v[101:102], 1.0
	v_fma_f64 v[101:102], v[101:102], v[105:106], v[101:102]
	v_mul_f64 v[105:106], v[107:108], v[101:102]
	v_fma_f64 v[99:100], -v[99:100], v[105:106], v[107:108]
	v_div_fmas_f64 v[99:100], v[99:100], v[101:102], v[105:106]
	v_div_fixup_f64 v[101:102], v[99:100], v[97:98], 1.0
	v_mul_f64 v[103:104], v[103:104], -v[101:102]
.LBB75_25:
	s_or_b64 exec, exec, s[2:3]
	ds_write2_b64 v127, v[101:102], v[103:104] offset1:1
.LBB75_26:
	s_or_b64 exec, exec, s[4:5]
	s_waitcnt lgkmcnt(0)
	s_barrier
	ds_read2_b64 v[73:76], v127 offset1:1
	v_cmp_lt_u32_e32 vcc, 2, v0
	s_waitcnt lgkmcnt(0)
	buffer_store_dword v73, off, s[20:23], 0 offset:592 ; 4-byte Folded Spill
	s_nop 0
	buffer_store_dword v74, off, s[20:23], 0 offset:596 ; 4-byte Folded Spill
	buffer_store_dword v75, off, s[20:23], 0 offset:600 ; 4-byte Folded Spill
	;; [unrolled: 1-line block ×3, first 2 shown]
	s_and_saveexec_b64 s[2:3], vcc
	s_cbranch_execz .LBB75_28
; %bb.27:
	v_mov_b32_e32 v124, v116
	v_mov_b32_e32 v123, v115
	;; [unrolled: 1-line block ×4, first 2 shown]
	buffer_load_dword v113, off, s[20:23], 0 offset:160 ; 4-byte Folded Reload
	buffer_load_dword v114, off, s[20:23], 0 offset:164 ; 4-byte Folded Reload
	;; [unrolled: 1-line block ×8, first 2 shown]
	s_waitcnt vmcnt(2)
	v_mul_f64 v[99:100], v[73:74], v[115:116]
	s_waitcnt vmcnt(0)
	v_mul_f64 v[97:98], v[75:76], v[115:116]
	v_fma_f64 v[115:116], v[75:76], v[113:114], v[99:100]
	ds_read2_b64 v[99:102], v125 offset0:6 offset1:7
	v_fma_f64 v[97:98], v[73:74], v[113:114], -v[97:98]
	buffer_load_dword v73, off, s[20:23], 0 offset:144 ; 4-byte Folded Reload
	buffer_load_dword v74, off, s[20:23], 0 offset:148 ; 4-byte Folded Reload
	;; [unrolled: 1-line block ×4, first 2 shown]
	s_waitcnt lgkmcnt(0)
	v_mul_f64 v[103:104], v[101:102], v[115:116]
	v_mov_b32_e32 v114, v98
	v_mov_b32_e32 v113, v97
	v_fma_f64 v[103:104], v[99:100], v[97:98], -v[103:104]
	v_mul_f64 v[99:100], v[99:100], v[115:116]
	v_fma_f64 v[99:100], v[101:102], v[97:98], v[99:100]
	s_waitcnt vmcnt(2)
	v_add_f64 v[73:74], v[73:74], -v[103:104]
	s_waitcnt vmcnt(0)
	v_add_f64 v[75:76], v[75:76], -v[99:100]
	buffer_store_dword v73, off, s[20:23], 0 offset:144 ; 4-byte Folded Spill
	s_nop 0
	buffer_store_dword v74, off, s[20:23], 0 offset:148 ; 4-byte Folded Spill
	buffer_store_dword v75, off, s[20:23], 0 offset:152 ; 4-byte Folded Spill
	buffer_store_dword v76, off, s[20:23], 0 offset:156 ; 4-byte Folded Spill
	ds_read2_b64 v[99:102], v125 offset0:8 offset1:9
	buffer_load_dword v73, off, s[20:23], 0 offset:128 ; 4-byte Folded Reload
	buffer_load_dword v74, off, s[20:23], 0 offset:132 ; 4-byte Folded Reload
	buffer_load_dword v75, off, s[20:23], 0 offset:136 ; 4-byte Folded Reload
	buffer_load_dword v76, off, s[20:23], 0 offset:140 ; 4-byte Folded Reload
	s_waitcnt lgkmcnt(0)
	v_mul_f64 v[103:104], v[101:102], v[115:116]
	v_fma_f64 v[103:104], v[99:100], v[97:98], -v[103:104]
	v_mul_f64 v[99:100], v[99:100], v[115:116]
	v_fma_f64 v[99:100], v[101:102], v[97:98], v[99:100]
	s_waitcnt vmcnt(2)
	v_add_f64 v[73:74], v[73:74], -v[103:104]
	s_waitcnt vmcnt(0)
	v_add_f64 v[75:76], v[75:76], -v[99:100]
	buffer_store_dword v73, off, s[20:23], 0 offset:128 ; 4-byte Folded Spill
	s_nop 0
	buffer_store_dword v74, off, s[20:23], 0 offset:132 ; 4-byte Folded Spill
	buffer_store_dword v75, off, s[20:23], 0 offset:136 ; 4-byte Folded Spill
	buffer_store_dword v76, off, s[20:23], 0 offset:140 ; 4-byte Folded Spill
	ds_read2_b64 v[99:102], v125 offset0:10 offset1:11
	buffer_load_dword v73, off, s[20:23], 0 offset:112 ; 4-byte Folded Reload
	buffer_load_dword v74, off, s[20:23], 0 offset:116 ; 4-byte Folded Reload
	buffer_load_dword v75, off, s[20:23], 0 offset:120 ; 4-byte Folded Reload
	buffer_load_dword v76, off, s[20:23], 0 offset:124 ; 4-byte Folded Reload
	s_waitcnt lgkmcnt(0)
	v_mul_f64 v[103:104], v[101:102], v[115:116]
	;; [unrolled: 19-line block ×4, first 2 shown]
	v_fma_f64 v[103:104], v[99:100], v[97:98], -v[103:104]
	v_mul_f64 v[99:100], v[99:100], v[115:116]
	v_fma_f64 v[99:100], v[101:102], v[97:98], v[99:100]
	s_waitcnt vmcnt(2)
	v_add_f64 v[73:74], v[73:74], -v[103:104]
	s_waitcnt vmcnt(0)
	v_add_f64 v[75:76], v[75:76], -v[99:100]
	buffer_store_dword v73, off, s[20:23], 0 offset:80 ; 4-byte Folded Spill
	s_nop 0
	buffer_store_dword v74, off, s[20:23], 0 offset:84 ; 4-byte Folded Spill
	buffer_store_dword v75, off, s[20:23], 0 offset:88 ; 4-byte Folded Spill
	;; [unrolled: 1-line block ×3, first 2 shown]
	ds_read2_b64 v[99:102], v125 offset0:16 offset1:17
	s_waitcnt lgkmcnt(0)
	v_mul_f64 v[103:104], v[101:102], v[115:116]
	v_fma_f64 v[103:104], v[99:100], v[97:98], -v[103:104]
	v_mul_f64 v[99:100], v[99:100], v[115:116]
	v_add_f64 v[89:90], v[89:90], -v[103:104]
	v_fma_f64 v[99:100], v[101:102], v[97:98], v[99:100]
	v_add_f64 v[91:92], v[91:92], -v[99:100]
	ds_read2_b64 v[99:102], v125 offset0:18 offset1:19
	s_waitcnt lgkmcnt(0)
	v_mul_f64 v[103:104], v[101:102], v[115:116]
	v_fma_f64 v[103:104], v[99:100], v[97:98], -v[103:104]
	v_mul_f64 v[99:100], v[99:100], v[115:116]
	v_add_f64 v[85:86], v[85:86], -v[103:104]
	v_fma_f64 v[99:100], v[101:102], v[97:98], v[99:100]
	v_add_f64 v[87:88], v[87:88], -v[99:100]
	ds_read2_b64 v[99:102], v125 offset0:20 offset1:21
	buffer_load_dword v73, off, s[20:23], 0 offset:64 ; 4-byte Folded Reload
	buffer_load_dword v74, off, s[20:23], 0 offset:68 ; 4-byte Folded Reload
	buffer_load_dword v75, off, s[20:23], 0 offset:72 ; 4-byte Folded Reload
	buffer_load_dword v76, off, s[20:23], 0 offset:76 ; 4-byte Folded Reload
	s_waitcnt lgkmcnt(0)
	v_mul_f64 v[103:104], v[101:102], v[115:116]
	v_fma_f64 v[103:104], v[99:100], v[97:98], -v[103:104]
	v_mul_f64 v[99:100], v[99:100], v[115:116]
	v_fma_f64 v[99:100], v[101:102], v[97:98], v[99:100]
	s_waitcnt vmcnt(2)
	v_add_f64 v[73:74], v[73:74], -v[103:104]
	s_waitcnt vmcnt(0)
	v_add_f64 v[75:76], v[75:76], -v[99:100]
	buffer_store_dword v73, off, s[20:23], 0 offset:64 ; 4-byte Folded Spill
	s_nop 0
	buffer_store_dword v74, off, s[20:23], 0 offset:68 ; 4-byte Folded Spill
	buffer_store_dword v75, off, s[20:23], 0 offset:72 ; 4-byte Folded Spill
	;; [unrolled: 1-line block ×3, first 2 shown]
	ds_read2_b64 v[99:102], v125 offset0:22 offset1:23
	s_waitcnt lgkmcnt(0)
	v_mul_f64 v[103:104], v[101:102], v[115:116]
	v_fma_f64 v[103:104], v[99:100], v[97:98], -v[103:104]
	v_mul_f64 v[99:100], v[99:100], v[115:116]
	v_add_f64 v[81:82], v[81:82], -v[103:104]
	v_fma_f64 v[99:100], v[101:102], v[97:98], v[99:100]
	v_add_f64 v[83:84], v[83:84], -v[99:100]
	ds_read2_b64 v[99:102], v125 offset0:24 offset1:25
	buffer_load_dword v73, off, s[20:23], 0 offset:48 ; 4-byte Folded Reload
	buffer_load_dword v74, off, s[20:23], 0 offset:52 ; 4-byte Folded Reload
	;; [unrolled: 1-line block ×4, first 2 shown]
	s_waitcnt lgkmcnt(0)
	v_mul_f64 v[103:104], v[101:102], v[115:116]
	v_fma_f64 v[103:104], v[99:100], v[97:98], -v[103:104]
	v_mul_f64 v[99:100], v[99:100], v[115:116]
	v_fma_f64 v[99:100], v[101:102], v[97:98], v[99:100]
	s_waitcnt vmcnt(2)
	v_add_f64 v[73:74], v[73:74], -v[103:104]
	s_waitcnt vmcnt(0)
	v_add_f64 v[75:76], v[75:76], -v[99:100]
	buffer_store_dword v73, off, s[20:23], 0 offset:48 ; 4-byte Folded Spill
	s_nop 0
	buffer_store_dword v74, off, s[20:23], 0 offset:52 ; 4-byte Folded Spill
	buffer_store_dword v75, off, s[20:23], 0 offset:56 ; 4-byte Folded Spill
	;; [unrolled: 1-line block ×3, first 2 shown]
	ds_read2_b64 v[99:102], v125 offset0:26 offset1:27
	s_waitcnt lgkmcnt(0)
	v_mul_f64 v[103:104], v[101:102], v[115:116]
	v_fma_f64 v[103:104], v[99:100], v[97:98], -v[103:104]
	v_mul_f64 v[99:100], v[99:100], v[115:116]
	v_add_f64 v[117:118], v[117:118], -v[103:104]
	v_fma_f64 v[99:100], v[101:102], v[97:98], v[99:100]
	v_add_f64 v[119:120], v[119:120], -v[99:100]
	ds_read2_b64 v[99:102], v125 offset0:28 offset1:29
	s_waitcnt lgkmcnt(0)
	v_mul_f64 v[103:104], v[101:102], v[115:116]
	v_fma_f64 v[103:104], v[99:100], v[97:98], -v[103:104]
	v_mul_f64 v[99:100], v[99:100], v[115:116]
	v_add_f64 v[109:110], v[109:110], -v[103:104]
	v_fma_f64 v[99:100], v[101:102], v[97:98], v[99:100]
	v_add_f64 v[111:112], v[111:112], -v[99:100]
	ds_read2_b64 v[99:102], v125 offset0:30 offset1:31
	buffer_load_dword v105, off, s[20:23], 0 offset:32 ; 4-byte Folded Reload
	buffer_load_dword v106, off, s[20:23], 0 offset:36 ; 4-byte Folded Reload
	;; [unrolled: 1-line block ×4, first 2 shown]
	s_waitcnt lgkmcnt(0)
	v_mul_f64 v[103:104], v[101:102], v[115:116]
	v_fma_f64 v[103:104], v[99:100], v[97:98], -v[103:104]
	v_mul_f64 v[99:100], v[99:100], v[115:116]
	v_fma_f64 v[99:100], v[101:102], v[97:98], v[99:100]
	s_waitcnt vmcnt(2)
	v_add_f64 v[105:106], v[105:106], -v[103:104]
	s_waitcnt vmcnt(0)
	v_add_f64 v[107:108], v[107:108], -v[99:100]
	buffer_store_dword v105, off, s[20:23], 0 offset:32 ; 4-byte Folded Spill
	s_nop 0
	buffer_store_dword v106, off, s[20:23], 0 offset:36 ; 4-byte Folded Spill
	buffer_store_dword v107, off, s[20:23], 0 offset:40 ; 4-byte Folded Spill
	;; [unrolled: 1-line block ×3, first 2 shown]
	ds_read2_b64 v[99:102], v125 offset0:32 offset1:33
	s_waitcnt lgkmcnt(0)
	v_mul_f64 v[103:104], v[101:102], v[115:116]
	v_fma_f64 v[103:104], v[99:100], v[97:98], -v[103:104]
	v_mul_f64 v[99:100], v[99:100], v[115:116]
	v_add_f64 v[93:94], v[93:94], -v[103:104]
	v_fma_f64 v[99:100], v[101:102], v[97:98], v[99:100]
	v_add_f64 v[95:96], v[95:96], -v[99:100]
	ds_read2_b64 v[99:102], v125 offset0:34 offset1:35
	buffer_load_dword v77, off, s[20:23], 0 offset:16 ; 4-byte Folded Reload
	buffer_load_dword v78, off, s[20:23], 0 offset:20 ; 4-byte Folded Reload
	;; [unrolled: 1-line block ×4, first 2 shown]
	s_waitcnt lgkmcnt(0)
	v_mul_f64 v[103:104], v[101:102], v[115:116]
	v_fma_f64 v[103:104], v[99:100], v[97:98], -v[103:104]
	v_mul_f64 v[99:100], v[99:100], v[115:116]
	v_fma_f64 v[99:100], v[101:102], v[97:98], v[99:100]
	s_waitcnt vmcnt(2)
	v_add_f64 v[77:78], v[77:78], -v[103:104]
	s_waitcnt vmcnt(0)
	v_add_f64 v[79:80], v[79:80], -v[99:100]
	buffer_store_dword v77, off, s[20:23], 0 offset:16 ; 4-byte Folded Spill
	s_nop 0
	buffer_store_dword v78, off, s[20:23], 0 offset:20 ; 4-byte Folded Spill
	buffer_store_dword v79, off, s[20:23], 0 offset:24 ; 4-byte Folded Spill
	;; [unrolled: 1-line block ×3, first 2 shown]
	ds_read2_b64 v[99:102], v125 offset0:36 offset1:37
	buffer_load_dword v73, off, s[20:23], 0 ; 4-byte Folded Reload
	buffer_load_dword v74, off, s[20:23], 0 offset:4 ; 4-byte Folded Reload
	buffer_load_dword v75, off, s[20:23], 0 offset:8 ; 4-byte Folded Reload
	;; [unrolled: 1-line block ×3, first 2 shown]
	s_waitcnt lgkmcnt(0)
	v_mul_f64 v[103:104], v[101:102], v[115:116]
	v_fma_f64 v[103:104], v[99:100], v[97:98], -v[103:104]
	v_mul_f64 v[99:100], v[99:100], v[115:116]
	v_fma_f64 v[99:100], v[101:102], v[97:98], v[99:100]
	s_waitcnt vmcnt(2)
	v_add_f64 v[73:74], v[73:74], -v[103:104]
	s_waitcnt vmcnt(0)
	v_add_f64 v[75:76], v[75:76], -v[99:100]
	buffer_store_dword v73, off, s[20:23], 0 ; 4-byte Folded Spill
	s_nop 0
	buffer_store_dword v74, off, s[20:23], 0 offset:4 ; 4-byte Folded Spill
	buffer_store_dword v75, off, s[20:23], 0 offset:8 ; 4-byte Folded Spill
	;; [unrolled: 1-line block ×3, first 2 shown]
	ds_read2_b64 v[99:102], v125 offset0:38 offset1:39
	s_waitcnt lgkmcnt(0)
	v_mul_f64 v[103:104], v[101:102], v[115:116]
	v_fma_f64 v[103:104], v[99:100], v[97:98], -v[103:104]
	v_mul_f64 v[99:100], v[99:100], v[115:116]
	v_add_f64 v[69:70], v[69:70], -v[103:104]
	v_fma_f64 v[99:100], v[101:102], v[97:98], v[99:100]
	v_add_f64 v[71:72], v[71:72], -v[99:100]
	ds_read2_b64 v[99:102], v125 offset0:40 offset1:41
	s_waitcnt lgkmcnt(0)
	v_mul_f64 v[103:104], v[101:102], v[115:116]
	v_fma_f64 v[103:104], v[99:100], v[97:98], -v[103:104]
	v_mul_f64 v[99:100], v[99:100], v[115:116]
	v_add_f64 v[65:66], v[65:66], -v[103:104]
	v_fma_f64 v[99:100], v[101:102], v[97:98], v[99:100]
	v_add_f64 v[67:68], v[67:68], -v[99:100]
	;; [unrolled: 8-line block ×18, first 2 shown]
	ds_read2_b64 v[99:102], v125 offset0:74 offset1:75
	s_waitcnt lgkmcnt(0)
	v_mul_f64 v[103:104], v[101:102], v[115:116]
	v_fma_f64 v[103:104], v[99:100], v[97:98], -v[103:104]
	v_mul_f64 v[99:100], v[99:100], v[115:116]
	buffer_store_dword v113, off, s[20:23], 0 offset:160 ; 4-byte Folded Spill
	s_nop 0
	buffer_store_dword v114, off, s[20:23], 0 offset:164 ; 4-byte Folded Spill
	buffer_store_dword v115, off, s[20:23], 0 offset:168 ; 4-byte Folded Spill
	;; [unrolled: 1-line block ×3, first 2 shown]
	v_add_f64 v[121:122], v[121:122], -v[103:104]
	v_fma_f64 v[99:100], v[101:102], v[97:98], v[99:100]
	v_add_f64 v[123:124], v[123:124], -v[99:100]
	v_mov_b32_e32 v113, v121
	v_mov_b32_e32 v114, v122
	v_mov_b32_e32 v115, v123
	v_mov_b32_e32 v116, v124
.LBB75_28:
	s_or_b64 exec, exec, s[2:3]
	v_cmp_eq_u32_e32 vcc, 3, v0
	s_waitcnt vmcnt(0)
	s_barrier
	s_and_saveexec_b64 s[4:5], vcc
	s_cbranch_execz .LBB75_35
; %bb.29:
	buffer_load_dword v73, off, s[20:23], 0 offset:144 ; 4-byte Folded Reload
	buffer_load_dword v74, off, s[20:23], 0 offset:148 ; 4-byte Folded Reload
	;; [unrolled: 1-line block ×4, first 2 shown]
	s_waitcnt vmcnt(0)
	ds_write2_b64 v127, v[73:74], v[75:76] offset1:1
	buffer_load_dword v73, off, s[20:23], 0 offset:128 ; 4-byte Folded Reload
	buffer_load_dword v74, off, s[20:23], 0 offset:132 ; 4-byte Folded Reload
	buffer_load_dword v75, off, s[20:23], 0 offset:136 ; 4-byte Folded Reload
	buffer_load_dword v76, off, s[20:23], 0 offset:140 ; 4-byte Folded Reload
	s_waitcnt vmcnt(0)
	ds_write2_b64 v125, v[73:74], v[75:76] offset0:8 offset1:9
	buffer_load_dword v73, off, s[20:23], 0 offset:112 ; 4-byte Folded Reload
	buffer_load_dword v74, off, s[20:23], 0 offset:116 ; 4-byte Folded Reload
	buffer_load_dword v75, off, s[20:23], 0 offset:120 ; 4-byte Folded Reload
	buffer_load_dword v76, off, s[20:23], 0 offset:124 ; 4-byte Folded Reload
	s_waitcnt vmcnt(0)
	ds_write2_b64 v125, v[73:74], v[75:76] offset0:10 offset1:11
	;; [unrolled: 6-line block ×4, first 2 shown]
	ds_write2_b64 v125, v[89:90], v[91:92] offset0:16 offset1:17
	ds_write2_b64 v125, v[85:86], v[87:88] offset0:18 offset1:19
	buffer_load_dword v73, off, s[20:23], 0 offset:64 ; 4-byte Folded Reload
	buffer_load_dword v74, off, s[20:23], 0 offset:68 ; 4-byte Folded Reload
	;; [unrolled: 1-line block ×4, first 2 shown]
	s_waitcnt vmcnt(0)
	ds_write2_b64 v125, v[73:74], v[75:76] offset0:20 offset1:21
	ds_write2_b64 v125, v[81:82], v[83:84] offset0:22 offset1:23
	buffer_load_dword v73, off, s[20:23], 0 offset:48 ; 4-byte Folded Reload
	buffer_load_dword v74, off, s[20:23], 0 offset:52 ; 4-byte Folded Reload
	;; [unrolled: 1-line block ×4, first 2 shown]
	s_waitcnt vmcnt(0)
	ds_write2_b64 v125, v[73:74], v[75:76] offset0:24 offset1:25
	ds_write2_b64 v125, v[117:118], v[119:120] offset0:26 offset1:27
	;; [unrolled: 1-line block ×3, first 2 shown]
	buffer_load_dword v97, off, s[20:23], 0 offset:32 ; 4-byte Folded Reload
	buffer_load_dword v98, off, s[20:23], 0 offset:36 ; 4-byte Folded Reload
	;; [unrolled: 1-line block ×4, first 2 shown]
	s_waitcnt vmcnt(0)
	ds_write2_b64 v125, v[97:98], v[99:100] offset0:30 offset1:31
	ds_write2_b64 v125, v[93:94], v[95:96] offset0:32 offset1:33
	buffer_load_dword v77, off, s[20:23], 0 offset:16 ; 4-byte Folded Reload
	buffer_load_dword v78, off, s[20:23], 0 offset:20 ; 4-byte Folded Reload
	;; [unrolled: 1-line block ×4, first 2 shown]
	s_waitcnt vmcnt(0)
	ds_write2_b64 v125, v[77:78], v[79:80] offset0:34 offset1:35
	buffer_load_dword v73, off, s[20:23], 0 ; 4-byte Folded Reload
	buffer_load_dword v74, off, s[20:23], 0 offset:4 ; 4-byte Folded Reload
	buffer_load_dword v75, off, s[20:23], 0 offset:8 ; 4-byte Folded Reload
	;; [unrolled: 1-line block ×3, first 2 shown]
	s_waitcnt vmcnt(0)
	ds_write2_b64 v125, v[73:74], v[75:76] offset0:36 offset1:37
	ds_write2_b64 v125, v[69:70], v[71:72] offset0:38 offset1:39
	;; [unrolled: 1-line block ×20, first 2 shown]
	ds_read2_b64 v[97:100], v127 offset1:1
	s_waitcnt lgkmcnt(0)
	v_cmp_neq_f64_e32 vcc, 0, v[97:98]
	v_cmp_neq_f64_e64 s[2:3], 0, v[99:100]
	s_or_b64 s[2:3], vcc, s[2:3]
	s_and_b64 exec, exec, s[2:3]
	s_cbranch_execz .LBB75_35
; %bb.30:
	v_cmp_ngt_f64_e64 s[2:3], |v[97:98]|, |v[99:100]|
                                        ; implicit-def: $vgpr101_vgpr102
	s_and_saveexec_b64 s[6:7], s[2:3]
	s_xor_b64 s[2:3], exec, s[6:7]
                                        ; implicit-def: $vgpr103_vgpr104
	s_cbranch_execz .LBB75_32
; %bb.31:
	v_div_scale_f64 v[101:102], s[6:7], v[99:100], v[99:100], v[97:98]
	v_rcp_f64_e32 v[103:104], v[101:102]
	v_fma_f64 v[105:106], -v[101:102], v[103:104], 1.0
	v_fma_f64 v[103:104], v[103:104], v[105:106], v[103:104]
	v_div_scale_f64 v[105:106], vcc, v[97:98], v[99:100], v[97:98]
	v_fma_f64 v[107:108], -v[101:102], v[103:104], 1.0
	v_fma_f64 v[103:104], v[103:104], v[107:108], v[103:104]
	v_mul_f64 v[107:108], v[105:106], v[103:104]
	v_fma_f64 v[101:102], -v[101:102], v[107:108], v[105:106]
	v_div_fmas_f64 v[101:102], v[101:102], v[103:104], v[107:108]
	v_div_fixup_f64 v[101:102], v[101:102], v[99:100], v[97:98]
	v_fma_f64 v[97:98], v[97:98], v[101:102], v[99:100]
	v_div_scale_f64 v[99:100], s[6:7], v[97:98], v[97:98], 1.0
	v_div_scale_f64 v[107:108], vcc, 1.0, v[97:98], 1.0
	v_rcp_f64_e32 v[103:104], v[99:100]
	v_fma_f64 v[105:106], -v[99:100], v[103:104], 1.0
	v_fma_f64 v[103:104], v[103:104], v[105:106], v[103:104]
	v_fma_f64 v[105:106], -v[99:100], v[103:104], 1.0
	v_fma_f64 v[103:104], v[103:104], v[105:106], v[103:104]
	v_mul_f64 v[105:106], v[107:108], v[103:104]
	v_fma_f64 v[99:100], -v[99:100], v[105:106], v[107:108]
	v_div_fmas_f64 v[99:100], v[99:100], v[103:104], v[105:106]
	v_div_fixup_f64 v[103:104], v[99:100], v[97:98], 1.0
                                        ; implicit-def: $vgpr97_vgpr98
	v_mul_f64 v[101:102], v[101:102], v[103:104]
	v_xor_b32_e32 v104, 0x80000000, v104
.LBB75_32:
	s_andn2_saveexec_b64 s[2:3], s[2:3]
	s_cbranch_execz .LBB75_34
; %bb.33:
	v_div_scale_f64 v[101:102], s[6:7], v[97:98], v[97:98], v[99:100]
	v_rcp_f64_e32 v[103:104], v[101:102]
	v_fma_f64 v[105:106], -v[101:102], v[103:104], 1.0
	v_fma_f64 v[103:104], v[103:104], v[105:106], v[103:104]
	v_div_scale_f64 v[105:106], vcc, v[99:100], v[97:98], v[99:100]
	v_fma_f64 v[107:108], -v[101:102], v[103:104], 1.0
	v_fma_f64 v[103:104], v[103:104], v[107:108], v[103:104]
	v_mul_f64 v[107:108], v[105:106], v[103:104]
	v_fma_f64 v[101:102], -v[101:102], v[107:108], v[105:106]
	v_div_fmas_f64 v[101:102], v[101:102], v[103:104], v[107:108]
	v_div_fixup_f64 v[103:104], v[101:102], v[97:98], v[99:100]
	v_fma_f64 v[97:98], v[99:100], v[103:104], v[97:98]
	v_div_scale_f64 v[99:100], s[6:7], v[97:98], v[97:98], 1.0
	v_div_scale_f64 v[107:108], vcc, 1.0, v[97:98], 1.0
	v_rcp_f64_e32 v[101:102], v[99:100]
	v_fma_f64 v[105:106], -v[99:100], v[101:102], 1.0
	v_fma_f64 v[101:102], v[101:102], v[105:106], v[101:102]
	v_fma_f64 v[105:106], -v[99:100], v[101:102], 1.0
	v_fma_f64 v[101:102], v[101:102], v[105:106], v[101:102]
	v_mul_f64 v[105:106], v[107:108], v[101:102]
	v_fma_f64 v[99:100], -v[99:100], v[105:106], v[107:108]
	v_div_fmas_f64 v[99:100], v[99:100], v[101:102], v[105:106]
	v_div_fixup_f64 v[101:102], v[99:100], v[97:98], 1.0
	v_mul_f64 v[103:104], v[103:104], -v[101:102]
.LBB75_34:
	s_or_b64 exec, exec, s[2:3]
	ds_write2_b64 v127, v[101:102], v[103:104] offset1:1
.LBB75_35:
	s_or_b64 exec, exec, s[4:5]
	s_waitcnt lgkmcnt(0)
	s_barrier
	ds_read2_b64 v[73:76], v127 offset1:1
	v_cmp_lt_u32_e32 vcc, 3, v0
	s_waitcnt lgkmcnt(0)
	buffer_store_dword v73, off, s[20:23], 0 offset:608 ; 4-byte Folded Spill
	s_nop 0
	buffer_store_dword v74, off, s[20:23], 0 offset:612 ; 4-byte Folded Spill
	buffer_store_dword v75, off, s[20:23], 0 offset:616 ; 4-byte Folded Spill
	;; [unrolled: 1-line block ×3, first 2 shown]
	s_and_saveexec_b64 s[2:3], vcc
	s_cbranch_execz .LBB75_37
; %bb.36:
	v_mov_b32_e32 v124, v116
	v_mov_b32_e32 v123, v115
	;; [unrolled: 1-line block ×4, first 2 shown]
	buffer_load_dword v113, off, s[20:23], 0 offset:144 ; 4-byte Folded Reload
	buffer_load_dword v114, off, s[20:23], 0 offset:148 ; 4-byte Folded Reload
	;; [unrolled: 1-line block ×8, first 2 shown]
	s_waitcnt vmcnt(2)
	v_mul_f64 v[99:100], v[73:74], v[115:116]
	s_waitcnt vmcnt(0)
	v_mul_f64 v[97:98], v[75:76], v[115:116]
	v_fma_f64 v[115:116], v[75:76], v[113:114], v[99:100]
	ds_read2_b64 v[99:102], v125 offset0:8 offset1:9
	v_fma_f64 v[97:98], v[73:74], v[113:114], -v[97:98]
	buffer_load_dword v73, off, s[20:23], 0 offset:128 ; 4-byte Folded Reload
	buffer_load_dword v74, off, s[20:23], 0 offset:132 ; 4-byte Folded Reload
	;; [unrolled: 1-line block ×4, first 2 shown]
	s_waitcnt lgkmcnt(0)
	v_mul_f64 v[103:104], v[101:102], v[115:116]
	v_mov_b32_e32 v114, v98
	v_mov_b32_e32 v113, v97
	v_fma_f64 v[103:104], v[99:100], v[97:98], -v[103:104]
	v_mul_f64 v[99:100], v[99:100], v[115:116]
	v_fma_f64 v[99:100], v[101:102], v[97:98], v[99:100]
	s_waitcnt vmcnt(2)
	v_add_f64 v[73:74], v[73:74], -v[103:104]
	s_waitcnt vmcnt(0)
	v_add_f64 v[75:76], v[75:76], -v[99:100]
	buffer_store_dword v73, off, s[20:23], 0 offset:128 ; 4-byte Folded Spill
	s_nop 0
	buffer_store_dword v74, off, s[20:23], 0 offset:132 ; 4-byte Folded Spill
	buffer_store_dword v75, off, s[20:23], 0 offset:136 ; 4-byte Folded Spill
	buffer_store_dword v76, off, s[20:23], 0 offset:140 ; 4-byte Folded Spill
	ds_read2_b64 v[99:102], v125 offset0:10 offset1:11
	buffer_load_dword v73, off, s[20:23], 0 offset:112 ; 4-byte Folded Reload
	buffer_load_dword v74, off, s[20:23], 0 offset:116 ; 4-byte Folded Reload
	buffer_load_dword v75, off, s[20:23], 0 offset:120 ; 4-byte Folded Reload
	buffer_load_dword v76, off, s[20:23], 0 offset:124 ; 4-byte Folded Reload
	s_waitcnt lgkmcnt(0)
	v_mul_f64 v[103:104], v[101:102], v[115:116]
	v_fma_f64 v[103:104], v[99:100], v[97:98], -v[103:104]
	v_mul_f64 v[99:100], v[99:100], v[115:116]
	v_fma_f64 v[99:100], v[101:102], v[97:98], v[99:100]
	s_waitcnt vmcnt(2)
	v_add_f64 v[73:74], v[73:74], -v[103:104]
	s_waitcnt vmcnt(0)
	v_add_f64 v[75:76], v[75:76], -v[99:100]
	buffer_store_dword v73, off, s[20:23], 0 offset:112 ; 4-byte Folded Spill
	s_nop 0
	buffer_store_dword v74, off, s[20:23], 0 offset:116 ; 4-byte Folded Spill
	buffer_store_dword v75, off, s[20:23], 0 offset:120 ; 4-byte Folded Spill
	buffer_store_dword v76, off, s[20:23], 0 offset:124 ; 4-byte Folded Spill
	ds_read2_b64 v[99:102], v125 offset0:12 offset1:13
	buffer_load_dword v73, off, s[20:23], 0 offset:96 ; 4-byte Folded Reload
	buffer_load_dword v74, off, s[20:23], 0 offset:100 ; 4-byte Folded Reload
	buffer_load_dword v75, off, s[20:23], 0 offset:104 ; 4-byte Folded Reload
	buffer_load_dword v76, off, s[20:23], 0 offset:108 ; 4-byte Folded Reload
	s_waitcnt lgkmcnt(0)
	v_mul_f64 v[103:104], v[101:102], v[115:116]
	;; [unrolled: 19-line block ×3, first 2 shown]
	v_fma_f64 v[103:104], v[99:100], v[97:98], -v[103:104]
	v_mul_f64 v[99:100], v[99:100], v[115:116]
	v_fma_f64 v[99:100], v[101:102], v[97:98], v[99:100]
	s_waitcnt vmcnt(2)
	v_add_f64 v[73:74], v[73:74], -v[103:104]
	s_waitcnt vmcnt(0)
	v_add_f64 v[75:76], v[75:76], -v[99:100]
	buffer_store_dword v73, off, s[20:23], 0 offset:80 ; 4-byte Folded Spill
	s_nop 0
	buffer_store_dword v74, off, s[20:23], 0 offset:84 ; 4-byte Folded Spill
	buffer_store_dword v75, off, s[20:23], 0 offset:88 ; 4-byte Folded Spill
	;; [unrolled: 1-line block ×3, first 2 shown]
	ds_read2_b64 v[99:102], v125 offset0:16 offset1:17
	s_waitcnt lgkmcnt(0)
	v_mul_f64 v[103:104], v[101:102], v[115:116]
	v_fma_f64 v[103:104], v[99:100], v[97:98], -v[103:104]
	v_mul_f64 v[99:100], v[99:100], v[115:116]
	v_add_f64 v[89:90], v[89:90], -v[103:104]
	v_fma_f64 v[99:100], v[101:102], v[97:98], v[99:100]
	v_add_f64 v[91:92], v[91:92], -v[99:100]
	ds_read2_b64 v[99:102], v125 offset0:18 offset1:19
	s_waitcnt lgkmcnt(0)
	v_mul_f64 v[103:104], v[101:102], v[115:116]
	v_fma_f64 v[103:104], v[99:100], v[97:98], -v[103:104]
	v_mul_f64 v[99:100], v[99:100], v[115:116]
	v_add_f64 v[85:86], v[85:86], -v[103:104]
	v_fma_f64 v[99:100], v[101:102], v[97:98], v[99:100]
	v_add_f64 v[87:88], v[87:88], -v[99:100]
	ds_read2_b64 v[99:102], v125 offset0:20 offset1:21
	buffer_load_dword v73, off, s[20:23], 0 offset:64 ; 4-byte Folded Reload
	buffer_load_dword v74, off, s[20:23], 0 offset:68 ; 4-byte Folded Reload
	;; [unrolled: 1-line block ×4, first 2 shown]
	s_waitcnt lgkmcnt(0)
	v_mul_f64 v[103:104], v[101:102], v[115:116]
	v_fma_f64 v[103:104], v[99:100], v[97:98], -v[103:104]
	v_mul_f64 v[99:100], v[99:100], v[115:116]
	v_fma_f64 v[99:100], v[101:102], v[97:98], v[99:100]
	s_waitcnt vmcnt(2)
	v_add_f64 v[73:74], v[73:74], -v[103:104]
	s_waitcnt vmcnt(0)
	v_add_f64 v[75:76], v[75:76], -v[99:100]
	buffer_store_dword v73, off, s[20:23], 0 offset:64 ; 4-byte Folded Spill
	s_nop 0
	buffer_store_dword v74, off, s[20:23], 0 offset:68 ; 4-byte Folded Spill
	buffer_store_dword v75, off, s[20:23], 0 offset:72 ; 4-byte Folded Spill
	;; [unrolled: 1-line block ×3, first 2 shown]
	ds_read2_b64 v[99:102], v125 offset0:22 offset1:23
	s_waitcnt lgkmcnt(0)
	v_mul_f64 v[103:104], v[101:102], v[115:116]
	v_fma_f64 v[103:104], v[99:100], v[97:98], -v[103:104]
	v_mul_f64 v[99:100], v[99:100], v[115:116]
	v_add_f64 v[81:82], v[81:82], -v[103:104]
	v_fma_f64 v[99:100], v[101:102], v[97:98], v[99:100]
	v_add_f64 v[83:84], v[83:84], -v[99:100]
	ds_read2_b64 v[99:102], v125 offset0:24 offset1:25
	buffer_load_dword v73, off, s[20:23], 0 offset:48 ; 4-byte Folded Reload
	buffer_load_dword v74, off, s[20:23], 0 offset:52 ; 4-byte Folded Reload
	;; [unrolled: 1-line block ×4, first 2 shown]
	s_waitcnt lgkmcnt(0)
	v_mul_f64 v[103:104], v[101:102], v[115:116]
	v_fma_f64 v[103:104], v[99:100], v[97:98], -v[103:104]
	v_mul_f64 v[99:100], v[99:100], v[115:116]
	v_fma_f64 v[99:100], v[101:102], v[97:98], v[99:100]
	s_waitcnt vmcnt(2)
	v_add_f64 v[73:74], v[73:74], -v[103:104]
	s_waitcnt vmcnt(0)
	v_add_f64 v[75:76], v[75:76], -v[99:100]
	buffer_store_dword v73, off, s[20:23], 0 offset:48 ; 4-byte Folded Spill
	s_nop 0
	buffer_store_dword v74, off, s[20:23], 0 offset:52 ; 4-byte Folded Spill
	buffer_store_dword v75, off, s[20:23], 0 offset:56 ; 4-byte Folded Spill
	buffer_store_dword v76, off, s[20:23], 0 offset:60 ; 4-byte Folded Spill
	ds_read2_b64 v[99:102], v125 offset0:26 offset1:27
	s_waitcnt lgkmcnt(0)
	v_mul_f64 v[103:104], v[101:102], v[115:116]
	v_fma_f64 v[103:104], v[99:100], v[97:98], -v[103:104]
	v_mul_f64 v[99:100], v[99:100], v[115:116]
	v_add_f64 v[117:118], v[117:118], -v[103:104]
	v_fma_f64 v[99:100], v[101:102], v[97:98], v[99:100]
	v_add_f64 v[119:120], v[119:120], -v[99:100]
	ds_read2_b64 v[99:102], v125 offset0:28 offset1:29
	s_waitcnt lgkmcnt(0)
	v_mul_f64 v[103:104], v[101:102], v[115:116]
	v_fma_f64 v[103:104], v[99:100], v[97:98], -v[103:104]
	v_mul_f64 v[99:100], v[99:100], v[115:116]
	v_add_f64 v[109:110], v[109:110], -v[103:104]
	v_fma_f64 v[99:100], v[101:102], v[97:98], v[99:100]
	v_add_f64 v[111:112], v[111:112], -v[99:100]
	ds_read2_b64 v[99:102], v125 offset0:30 offset1:31
	buffer_load_dword v105, off, s[20:23], 0 offset:32 ; 4-byte Folded Reload
	buffer_load_dword v106, off, s[20:23], 0 offset:36 ; 4-byte Folded Reload
	;; [unrolled: 1-line block ×4, first 2 shown]
	s_waitcnt lgkmcnt(0)
	v_mul_f64 v[103:104], v[101:102], v[115:116]
	v_fma_f64 v[103:104], v[99:100], v[97:98], -v[103:104]
	v_mul_f64 v[99:100], v[99:100], v[115:116]
	v_fma_f64 v[99:100], v[101:102], v[97:98], v[99:100]
	s_waitcnt vmcnt(2)
	v_add_f64 v[105:106], v[105:106], -v[103:104]
	s_waitcnt vmcnt(0)
	v_add_f64 v[107:108], v[107:108], -v[99:100]
	buffer_store_dword v105, off, s[20:23], 0 offset:32 ; 4-byte Folded Spill
	s_nop 0
	buffer_store_dword v106, off, s[20:23], 0 offset:36 ; 4-byte Folded Spill
	buffer_store_dword v107, off, s[20:23], 0 offset:40 ; 4-byte Folded Spill
	;; [unrolled: 1-line block ×3, first 2 shown]
	ds_read2_b64 v[99:102], v125 offset0:32 offset1:33
	s_waitcnt lgkmcnt(0)
	v_mul_f64 v[103:104], v[101:102], v[115:116]
	v_fma_f64 v[103:104], v[99:100], v[97:98], -v[103:104]
	v_mul_f64 v[99:100], v[99:100], v[115:116]
	v_add_f64 v[93:94], v[93:94], -v[103:104]
	v_fma_f64 v[99:100], v[101:102], v[97:98], v[99:100]
	v_add_f64 v[95:96], v[95:96], -v[99:100]
	ds_read2_b64 v[99:102], v125 offset0:34 offset1:35
	buffer_load_dword v77, off, s[20:23], 0 offset:16 ; 4-byte Folded Reload
	buffer_load_dword v78, off, s[20:23], 0 offset:20 ; 4-byte Folded Reload
	;; [unrolled: 1-line block ×4, first 2 shown]
	s_waitcnt lgkmcnt(0)
	v_mul_f64 v[103:104], v[101:102], v[115:116]
	v_fma_f64 v[103:104], v[99:100], v[97:98], -v[103:104]
	v_mul_f64 v[99:100], v[99:100], v[115:116]
	v_fma_f64 v[99:100], v[101:102], v[97:98], v[99:100]
	s_waitcnt vmcnt(2)
	v_add_f64 v[77:78], v[77:78], -v[103:104]
	s_waitcnt vmcnt(0)
	v_add_f64 v[79:80], v[79:80], -v[99:100]
	buffer_store_dword v77, off, s[20:23], 0 offset:16 ; 4-byte Folded Spill
	s_nop 0
	buffer_store_dword v78, off, s[20:23], 0 offset:20 ; 4-byte Folded Spill
	buffer_store_dword v79, off, s[20:23], 0 offset:24 ; 4-byte Folded Spill
	;; [unrolled: 1-line block ×3, first 2 shown]
	ds_read2_b64 v[99:102], v125 offset0:36 offset1:37
	buffer_load_dword v73, off, s[20:23], 0 ; 4-byte Folded Reload
	buffer_load_dword v74, off, s[20:23], 0 offset:4 ; 4-byte Folded Reload
	buffer_load_dword v75, off, s[20:23], 0 offset:8 ; 4-byte Folded Reload
	;; [unrolled: 1-line block ×3, first 2 shown]
	s_waitcnt lgkmcnt(0)
	v_mul_f64 v[103:104], v[101:102], v[115:116]
	v_fma_f64 v[103:104], v[99:100], v[97:98], -v[103:104]
	v_mul_f64 v[99:100], v[99:100], v[115:116]
	v_fma_f64 v[99:100], v[101:102], v[97:98], v[99:100]
	s_waitcnt vmcnt(2)
	v_add_f64 v[73:74], v[73:74], -v[103:104]
	s_waitcnt vmcnt(0)
	v_add_f64 v[75:76], v[75:76], -v[99:100]
	buffer_store_dword v73, off, s[20:23], 0 ; 4-byte Folded Spill
	s_nop 0
	buffer_store_dword v74, off, s[20:23], 0 offset:4 ; 4-byte Folded Spill
	buffer_store_dword v75, off, s[20:23], 0 offset:8 ; 4-byte Folded Spill
	buffer_store_dword v76, off, s[20:23], 0 offset:12 ; 4-byte Folded Spill
	ds_read2_b64 v[99:102], v125 offset0:38 offset1:39
	s_waitcnt lgkmcnt(0)
	v_mul_f64 v[103:104], v[101:102], v[115:116]
	v_fma_f64 v[103:104], v[99:100], v[97:98], -v[103:104]
	v_mul_f64 v[99:100], v[99:100], v[115:116]
	v_add_f64 v[69:70], v[69:70], -v[103:104]
	v_fma_f64 v[99:100], v[101:102], v[97:98], v[99:100]
	v_add_f64 v[71:72], v[71:72], -v[99:100]
	ds_read2_b64 v[99:102], v125 offset0:40 offset1:41
	s_waitcnt lgkmcnt(0)
	v_mul_f64 v[103:104], v[101:102], v[115:116]
	v_fma_f64 v[103:104], v[99:100], v[97:98], -v[103:104]
	v_mul_f64 v[99:100], v[99:100], v[115:116]
	v_add_f64 v[65:66], v[65:66], -v[103:104]
	v_fma_f64 v[99:100], v[101:102], v[97:98], v[99:100]
	v_add_f64 v[67:68], v[67:68], -v[99:100]
	;; [unrolled: 8-line block ×18, first 2 shown]
	ds_read2_b64 v[99:102], v125 offset0:74 offset1:75
	s_waitcnt lgkmcnt(0)
	v_mul_f64 v[103:104], v[101:102], v[115:116]
	v_fma_f64 v[103:104], v[99:100], v[97:98], -v[103:104]
	v_mul_f64 v[99:100], v[99:100], v[115:116]
	buffer_store_dword v113, off, s[20:23], 0 offset:144 ; 4-byte Folded Spill
	s_nop 0
	buffer_store_dword v114, off, s[20:23], 0 offset:148 ; 4-byte Folded Spill
	buffer_store_dword v115, off, s[20:23], 0 offset:152 ; 4-byte Folded Spill
	;; [unrolled: 1-line block ×3, first 2 shown]
	v_add_f64 v[121:122], v[121:122], -v[103:104]
	v_fma_f64 v[99:100], v[101:102], v[97:98], v[99:100]
	v_add_f64 v[123:124], v[123:124], -v[99:100]
	v_mov_b32_e32 v113, v121
	v_mov_b32_e32 v114, v122
	;; [unrolled: 1-line block ×4, first 2 shown]
.LBB75_37:
	s_or_b64 exec, exec, s[2:3]
	v_cmp_eq_u32_e32 vcc, 4, v0
	s_waitcnt vmcnt(0)
	s_barrier
	s_and_saveexec_b64 s[4:5], vcc
	s_cbranch_execz .LBB75_44
; %bb.38:
	buffer_load_dword v73, off, s[20:23], 0 offset:128 ; 4-byte Folded Reload
	buffer_load_dword v74, off, s[20:23], 0 offset:132 ; 4-byte Folded Reload
	;; [unrolled: 1-line block ×4, first 2 shown]
	s_waitcnt vmcnt(0)
	ds_write2_b64 v127, v[73:74], v[75:76] offset1:1
	buffer_load_dword v73, off, s[20:23], 0 offset:112 ; 4-byte Folded Reload
	buffer_load_dword v74, off, s[20:23], 0 offset:116 ; 4-byte Folded Reload
	buffer_load_dword v75, off, s[20:23], 0 offset:120 ; 4-byte Folded Reload
	buffer_load_dword v76, off, s[20:23], 0 offset:124 ; 4-byte Folded Reload
	s_waitcnt vmcnt(0)
	ds_write2_b64 v125, v[73:74], v[75:76] offset0:10 offset1:11
	buffer_load_dword v73, off, s[20:23], 0 offset:96 ; 4-byte Folded Reload
	buffer_load_dword v74, off, s[20:23], 0 offset:100 ; 4-byte Folded Reload
	buffer_load_dword v75, off, s[20:23], 0 offset:104 ; 4-byte Folded Reload
	buffer_load_dword v76, off, s[20:23], 0 offset:108 ; 4-byte Folded Reload
	s_waitcnt vmcnt(0)
	ds_write2_b64 v125, v[73:74], v[75:76] offset0:12 offset1:13
	;; [unrolled: 6-line block ×3, first 2 shown]
	ds_write2_b64 v125, v[89:90], v[91:92] offset0:16 offset1:17
	ds_write2_b64 v125, v[85:86], v[87:88] offset0:18 offset1:19
	buffer_load_dword v73, off, s[20:23], 0 offset:64 ; 4-byte Folded Reload
	buffer_load_dword v74, off, s[20:23], 0 offset:68 ; 4-byte Folded Reload
	;; [unrolled: 1-line block ×4, first 2 shown]
	s_waitcnt vmcnt(0)
	ds_write2_b64 v125, v[73:74], v[75:76] offset0:20 offset1:21
	ds_write2_b64 v125, v[81:82], v[83:84] offset0:22 offset1:23
	buffer_load_dword v73, off, s[20:23], 0 offset:48 ; 4-byte Folded Reload
	buffer_load_dword v74, off, s[20:23], 0 offset:52 ; 4-byte Folded Reload
	;; [unrolled: 1-line block ×4, first 2 shown]
	s_waitcnt vmcnt(0)
	ds_write2_b64 v125, v[73:74], v[75:76] offset0:24 offset1:25
	ds_write2_b64 v125, v[117:118], v[119:120] offset0:26 offset1:27
	;; [unrolled: 1-line block ×3, first 2 shown]
	buffer_load_dword v97, off, s[20:23], 0 offset:32 ; 4-byte Folded Reload
	buffer_load_dword v98, off, s[20:23], 0 offset:36 ; 4-byte Folded Reload
	buffer_load_dword v99, off, s[20:23], 0 offset:40 ; 4-byte Folded Reload
	buffer_load_dword v100, off, s[20:23], 0 offset:44 ; 4-byte Folded Reload
	s_waitcnt vmcnt(0)
	ds_write2_b64 v125, v[97:98], v[99:100] offset0:30 offset1:31
	ds_write2_b64 v125, v[93:94], v[95:96] offset0:32 offset1:33
	buffer_load_dword v77, off, s[20:23], 0 offset:16 ; 4-byte Folded Reload
	buffer_load_dword v78, off, s[20:23], 0 offset:20 ; 4-byte Folded Reload
	;; [unrolled: 1-line block ×4, first 2 shown]
	s_waitcnt vmcnt(0)
	ds_write2_b64 v125, v[77:78], v[79:80] offset0:34 offset1:35
	buffer_load_dword v73, off, s[20:23], 0 ; 4-byte Folded Reload
	buffer_load_dword v74, off, s[20:23], 0 offset:4 ; 4-byte Folded Reload
	buffer_load_dword v75, off, s[20:23], 0 offset:8 ; 4-byte Folded Reload
	;; [unrolled: 1-line block ×3, first 2 shown]
	s_waitcnt vmcnt(0)
	ds_write2_b64 v125, v[73:74], v[75:76] offset0:36 offset1:37
	ds_write2_b64 v125, v[69:70], v[71:72] offset0:38 offset1:39
	;; [unrolled: 1-line block ×20, first 2 shown]
	ds_read2_b64 v[97:100], v127 offset1:1
	s_waitcnt lgkmcnt(0)
	v_cmp_neq_f64_e32 vcc, 0, v[97:98]
	v_cmp_neq_f64_e64 s[2:3], 0, v[99:100]
	s_or_b64 s[2:3], vcc, s[2:3]
	s_and_b64 exec, exec, s[2:3]
	s_cbranch_execz .LBB75_44
; %bb.39:
	v_cmp_ngt_f64_e64 s[2:3], |v[97:98]|, |v[99:100]|
                                        ; implicit-def: $vgpr101_vgpr102
	s_and_saveexec_b64 s[6:7], s[2:3]
	s_xor_b64 s[2:3], exec, s[6:7]
                                        ; implicit-def: $vgpr103_vgpr104
	s_cbranch_execz .LBB75_41
; %bb.40:
	v_div_scale_f64 v[101:102], s[6:7], v[99:100], v[99:100], v[97:98]
	v_rcp_f64_e32 v[103:104], v[101:102]
	v_fma_f64 v[105:106], -v[101:102], v[103:104], 1.0
	v_fma_f64 v[103:104], v[103:104], v[105:106], v[103:104]
	v_div_scale_f64 v[105:106], vcc, v[97:98], v[99:100], v[97:98]
	v_fma_f64 v[107:108], -v[101:102], v[103:104], 1.0
	v_fma_f64 v[103:104], v[103:104], v[107:108], v[103:104]
	v_mul_f64 v[107:108], v[105:106], v[103:104]
	v_fma_f64 v[101:102], -v[101:102], v[107:108], v[105:106]
	v_div_fmas_f64 v[101:102], v[101:102], v[103:104], v[107:108]
	v_div_fixup_f64 v[101:102], v[101:102], v[99:100], v[97:98]
	v_fma_f64 v[97:98], v[97:98], v[101:102], v[99:100]
	v_div_scale_f64 v[99:100], s[6:7], v[97:98], v[97:98], 1.0
	v_div_scale_f64 v[107:108], vcc, 1.0, v[97:98], 1.0
	v_rcp_f64_e32 v[103:104], v[99:100]
	v_fma_f64 v[105:106], -v[99:100], v[103:104], 1.0
	v_fma_f64 v[103:104], v[103:104], v[105:106], v[103:104]
	v_fma_f64 v[105:106], -v[99:100], v[103:104], 1.0
	v_fma_f64 v[103:104], v[103:104], v[105:106], v[103:104]
	v_mul_f64 v[105:106], v[107:108], v[103:104]
	v_fma_f64 v[99:100], -v[99:100], v[105:106], v[107:108]
	v_div_fmas_f64 v[99:100], v[99:100], v[103:104], v[105:106]
	v_div_fixup_f64 v[103:104], v[99:100], v[97:98], 1.0
                                        ; implicit-def: $vgpr97_vgpr98
	v_mul_f64 v[101:102], v[101:102], v[103:104]
	v_xor_b32_e32 v104, 0x80000000, v104
.LBB75_41:
	s_andn2_saveexec_b64 s[2:3], s[2:3]
	s_cbranch_execz .LBB75_43
; %bb.42:
	v_div_scale_f64 v[101:102], s[6:7], v[97:98], v[97:98], v[99:100]
	v_rcp_f64_e32 v[103:104], v[101:102]
	v_fma_f64 v[105:106], -v[101:102], v[103:104], 1.0
	v_fma_f64 v[103:104], v[103:104], v[105:106], v[103:104]
	v_div_scale_f64 v[105:106], vcc, v[99:100], v[97:98], v[99:100]
	v_fma_f64 v[107:108], -v[101:102], v[103:104], 1.0
	v_fma_f64 v[103:104], v[103:104], v[107:108], v[103:104]
	v_mul_f64 v[107:108], v[105:106], v[103:104]
	v_fma_f64 v[101:102], -v[101:102], v[107:108], v[105:106]
	v_div_fmas_f64 v[101:102], v[101:102], v[103:104], v[107:108]
	v_div_fixup_f64 v[103:104], v[101:102], v[97:98], v[99:100]
	v_fma_f64 v[97:98], v[99:100], v[103:104], v[97:98]
	v_div_scale_f64 v[99:100], s[6:7], v[97:98], v[97:98], 1.0
	v_div_scale_f64 v[107:108], vcc, 1.0, v[97:98], 1.0
	v_rcp_f64_e32 v[101:102], v[99:100]
	v_fma_f64 v[105:106], -v[99:100], v[101:102], 1.0
	v_fma_f64 v[101:102], v[101:102], v[105:106], v[101:102]
	v_fma_f64 v[105:106], -v[99:100], v[101:102], 1.0
	v_fma_f64 v[101:102], v[101:102], v[105:106], v[101:102]
	v_mul_f64 v[105:106], v[107:108], v[101:102]
	v_fma_f64 v[99:100], -v[99:100], v[105:106], v[107:108]
	v_div_fmas_f64 v[99:100], v[99:100], v[101:102], v[105:106]
	v_div_fixup_f64 v[101:102], v[99:100], v[97:98], 1.0
	v_mul_f64 v[103:104], v[103:104], -v[101:102]
.LBB75_43:
	s_or_b64 exec, exec, s[2:3]
	ds_write2_b64 v127, v[101:102], v[103:104] offset1:1
.LBB75_44:
	s_or_b64 exec, exec, s[4:5]
	s_waitcnt lgkmcnt(0)
	s_barrier
	ds_read2_b64 v[73:76], v127 offset1:1
	v_cmp_lt_u32_e32 vcc, 4, v0
	s_waitcnt lgkmcnt(0)
	buffer_store_dword v73, off, s[20:23], 0 offset:624 ; 4-byte Folded Spill
	s_nop 0
	buffer_store_dword v74, off, s[20:23], 0 offset:628 ; 4-byte Folded Spill
	buffer_store_dword v75, off, s[20:23], 0 offset:632 ; 4-byte Folded Spill
	;; [unrolled: 1-line block ×3, first 2 shown]
	s_and_saveexec_b64 s[2:3], vcc
	s_cbranch_execz .LBB75_46
; %bb.45:
	v_mov_b32_e32 v124, v116
	v_mov_b32_e32 v123, v115
	;; [unrolled: 1-line block ×4, first 2 shown]
	buffer_load_dword v113, off, s[20:23], 0 offset:128 ; 4-byte Folded Reload
	buffer_load_dword v114, off, s[20:23], 0 offset:132 ; 4-byte Folded Reload
	;; [unrolled: 1-line block ×8, first 2 shown]
	s_waitcnt vmcnt(2)
	v_mul_f64 v[99:100], v[73:74], v[115:116]
	s_waitcnt vmcnt(0)
	v_mul_f64 v[97:98], v[75:76], v[115:116]
	v_fma_f64 v[115:116], v[75:76], v[113:114], v[99:100]
	ds_read2_b64 v[99:102], v125 offset0:10 offset1:11
	v_fma_f64 v[97:98], v[73:74], v[113:114], -v[97:98]
	buffer_load_dword v73, off, s[20:23], 0 offset:112 ; 4-byte Folded Reload
	buffer_load_dword v74, off, s[20:23], 0 offset:116 ; 4-byte Folded Reload
	;; [unrolled: 1-line block ×4, first 2 shown]
	s_waitcnt lgkmcnt(0)
	v_mul_f64 v[103:104], v[101:102], v[115:116]
	v_mov_b32_e32 v114, v98
	v_mov_b32_e32 v113, v97
	v_fma_f64 v[103:104], v[99:100], v[97:98], -v[103:104]
	v_mul_f64 v[99:100], v[99:100], v[115:116]
	v_fma_f64 v[99:100], v[101:102], v[97:98], v[99:100]
	s_waitcnt vmcnt(2)
	v_add_f64 v[73:74], v[73:74], -v[103:104]
	s_waitcnt vmcnt(0)
	v_add_f64 v[75:76], v[75:76], -v[99:100]
	buffer_store_dword v73, off, s[20:23], 0 offset:112 ; 4-byte Folded Spill
	s_nop 0
	buffer_store_dword v74, off, s[20:23], 0 offset:116 ; 4-byte Folded Spill
	buffer_store_dword v75, off, s[20:23], 0 offset:120 ; 4-byte Folded Spill
	;; [unrolled: 1-line block ×3, first 2 shown]
	ds_read2_b64 v[99:102], v125 offset0:12 offset1:13
	buffer_load_dword v73, off, s[20:23], 0 offset:96 ; 4-byte Folded Reload
	buffer_load_dword v74, off, s[20:23], 0 offset:100 ; 4-byte Folded Reload
	;; [unrolled: 1-line block ×4, first 2 shown]
	s_waitcnt lgkmcnt(0)
	v_mul_f64 v[103:104], v[101:102], v[115:116]
	v_fma_f64 v[103:104], v[99:100], v[97:98], -v[103:104]
	v_mul_f64 v[99:100], v[99:100], v[115:116]
	v_fma_f64 v[99:100], v[101:102], v[97:98], v[99:100]
	s_waitcnt vmcnt(2)
	v_add_f64 v[73:74], v[73:74], -v[103:104]
	s_waitcnt vmcnt(0)
	v_add_f64 v[75:76], v[75:76], -v[99:100]
	buffer_store_dword v73, off, s[20:23], 0 offset:96 ; 4-byte Folded Spill
	s_nop 0
	buffer_store_dword v74, off, s[20:23], 0 offset:100 ; 4-byte Folded Spill
	buffer_store_dword v75, off, s[20:23], 0 offset:104 ; 4-byte Folded Spill
	;; [unrolled: 1-line block ×3, first 2 shown]
	ds_read2_b64 v[99:102], v125 offset0:14 offset1:15
	buffer_load_dword v73, off, s[20:23], 0 offset:80 ; 4-byte Folded Reload
	buffer_load_dword v74, off, s[20:23], 0 offset:84 ; 4-byte Folded Reload
	;; [unrolled: 1-line block ×4, first 2 shown]
	s_waitcnt lgkmcnt(0)
	v_mul_f64 v[103:104], v[101:102], v[115:116]
	v_fma_f64 v[103:104], v[99:100], v[97:98], -v[103:104]
	v_mul_f64 v[99:100], v[99:100], v[115:116]
	v_fma_f64 v[99:100], v[101:102], v[97:98], v[99:100]
	s_waitcnt vmcnt(2)
	v_add_f64 v[73:74], v[73:74], -v[103:104]
	s_waitcnt vmcnt(0)
	v_add_f64 v[75:76], v[75:76], -v[99:100]
	buffer_store_dword v73, off, s[20:23], 0 offset:80 ; 4-byte Folded Spill
	s_nop 0
	buffer_store_dword v74, off, s[20:23], 0 offset:84 ; 4-byte Folded Spill
	buffer_store_dword v75, off, s[20:23], 0 offset:88 ; 4-byte Folded Spill
	;; [unrolled: 1-line block ×3, first 2 shown]
	ds_read2_b64 v[99:102], v125 offset0:16 offset1:17
	s_waitcnt lgkmcnt(0)
	v_mul_f64 v[103:104], v[101:102], v[115:116]
	v_fma_f64 v[103:104], v[99:100], v[97:98], -v[103:104]
	v_mul_f64 v[99:100], v[99:100], v[115:116]
	v_add_f64 v[89:90], v[89:90], -v[103:104]
	v_fma_f64 v[99:100], v[101:102], v[97:98], v[99:100]
	v_add_f64 v[91:92], v[91:92], -v[99:100]
	ds_read2_b64 v[99:102], v125 offset0:18 offset1:19
	s_waitcnt lgkmcnt(0)
	v_mul_f64 v[103:104], v[101:102], v[115:116]
	v_fma_f64 v[103:104], v[99:100], v[97:98], -v[103:104]
	v_mul_f64 v[99:100], v[99:100], v[115:116]
	v_add_f64 v[85:86], v[85:86], -v[103:104]
	v_fma_f64 v[99:100], v[101:102], v[97:98], v[99:100]
	v_add_f64 v[87:88], v[87:88], -v[99:100]
	ds_read2_b64 v[99:102], v125 offset0:20 offset1:21
	buffer_load_dword v73, off, s[20:23], 0 offset:64 ; 4-byte Folded Reload
	buffer_load_dword v74, off, s[20:23], 0 offset:68 ; 4-byte Folded Reload
	;; [unrolled: 1-line block ×4, first 2 shown]
	s_waitcnt lgkmcnt(0)
	v_mul_f64 v[103:104], v[101:102], v[115:116]
	v_fma_f64 v[103:104], v[99:100], v[97:98], -v[103:104]
	v_mul_f64 v[99:100], v[99:100], v[115:116]
	v_fma_f64 v[99:100], v[101:102], v[97:98], v[99:100]
	s_waitcnt vmcnt(2)
	v_add_f64 v[73:74], v[73:74], -v[103:104]
	s_waitcnt vmcnt(0)
	v_add_f64 v[75:76], v[75:76], -v[99:100]
	buffer_store_dword v73, off, s[20:23], 0 offset:64 ; 4-byte Folded Spill
	s_nop 0
	buffer_store_dword v74, off, s[20:23], 0 offset:68 ; 4-byte Folded Spill
	buffer_store_dword v75, off, s[20:23], 0 offset:72 ; 4-byte Folded Spill
	;; [unrolled: 1-line block ×3, first 2 shown]
	ds_read2_b64 v[99:102], v125 offset0:22 offset1:23
	s_waitcnt lgkmcnt(0)
	v_mul_f64 v[103:104], v[101:102], v[115:116]
	v_fma_f64 v[103:104], v[99:100], v[97:98], -v[103:104]
	v_mul_f64 v[99:100], v[99:100], v[115:116]
	v_add_f64 v[81:82], v[81:82], -v[103:104]
	v_fma_f64 v[99:100], v[101:102], v[97:98], v[99:100]
	v_add_f64 v[83:84], v[83:84], -v[99:100]
	ds_read2_b64 v[99:102], v125 offset0:24 offset1:25
	buffer_load_dword v73, off, s[20:23], 0 offset:48 ; 4-byte Folded Reload
	buffer_load_dword v74, off, s[20:23], 0 offset:52 ; 4-byte Folded Reload
	;; [unrolled: 1-line block ×4, first 2 shown]
	s_waitcnt lgkmcnt(0)
	v_mul_f64 v[103:104], v[101:102], v[115:116]
	v_fma_f64 v[103:104], v[99:100], v[97:98], -v[103:104]
	v_mul_f64 v[99:100], v[99:100], v[115:116]
	v_fma_f64 v[99:100], v[101:102], v[97:98], v[99:100]
	s_waitcnt vmcnt(2)
	v_add_f64 v[73:74], v[73:74], -v[103:104]
	s_waitcnt vmcnt(0)
	v_add_f64 v[75:76], v[75:76], -v[99:100]
	buffer_store_dword v73, off, s[20:23], 0 offset:48 ; 4-byte Folded Spill
	s_nop 0
	buffer_store_dword v74, off, s[20:23], 0 offset:52 ; 4-byte Folded Spill
	buffer_store_dword v75, off, s[20:23], 0 offset:56 ; 4-byte Folded Spill
	buffer_store_dword v76, off, s[20:23], 0 offset:60 ; 4-byte Folded Spill
	ds_read2_b64 v[99:102], v125 offset0:26 offset1:27
	s_waitcnt lgkmcnt(0)
	v_mul_f64 v[103:104], v[101:102], v[115:116]
	v_fma_f64 v[103:104], v[99:100], v[97:98], -v[103:104]
	v_mul_f64 v[99:100], v[99:100], v[115:116]
	v_add_f64 v[117:118], v[117:118], -v[103:104]
	v_fma_f64 v[99:100], v[101:102], v[97:98], v[99:100]
	v_add_f64 v[119:120], v[119:120], -v[99:100]
	ds_read2_b64 v[99:102], v125 offset0:28 offset1:29
	s_waitcnt lgkmcnt(0)
	v_mul_f64 v[103:104], v[101:102], v[115:116]
	v_fma_f64 v[103:104], v[99:100], v[97:98], -v[103:104]
	v_mul_f64 v[99:100], v[99:100], v[115:116]
	v_add_f64 v[109:110], v[109:110], -v[103:104]
	v_fma_f64 v[99:100], v[101:102], v[97:98], v[99:100]
	v_add_f64 v[111:112], v[111:112], -v[99:100]
	ds_read2_b64 v[99:102], v125 offset0:30 offset1:31
	buffer_load_dword v105, off, s[20:23], 0 offset:32 ; 4-byte Folded Reload
	buffer_load_dword v106, off, s[20:23], 0 offset:36 ; 4-byte Folded Reload
	;; [unrolled: 1-line block ×4, first 2 shown]
	s_waitcnt lgkmcnt(0)
	v_mul_f64 v[103:104], v[101:102], v[115:116]
	v_fma_f64 v[103:104], v[99:100], v[97:98], -v[103:104]
	v_mul_f64 v[99:100], v[99:100], v[115:116]
	v_fma_f64 v[99:100], v[101:102], v[97:98], v[99:100]
	s_waitcnt vmcnt(2)
	v_add_f64 v[105:106], v[105:106], -v[103:104]
	s_waitcnt vmcnt(0)
	v_add_f64 v[107:108], v[107:108], -v[99:100]
	buffer_store_dword v105, off, s[20:23], 0 offset:32 ; 4-byte Folded Spill
	s_nop 0
	buffer_store_dword v106, off, s[20:23], 0 offset:36 ; 4-byte Folded Spill
	buffer_store_dword v107, off, s[20:23], 0 offset:40 ; 4-byte Folded Spill
	;; [unrolled: 1-line block ×3, first 2 shown]
	ds_read2_b64 v[99:102], v125 offset0:32 offset1:33
	s_waitcnt lgkmcnt(0)
	v_mul_f64 v[103:104], v[101:102], v[115:116]
	v_fma_f64 v[103:104], v[99:100], v[97:98], -v[103:104]
	v_mul_f64 v[99:100], v[99:100], v[115:116]
	v_add_f64 v[93:94], v[93:94], -v[103:104]
	v_fma_f64 v[99:100], v[101:102], v[97:98], v[99:100]
	v_add_f64 v[95:96], v[95:96], -v[99:100]
	ds_read2_b64 v[99:102], v125 offset0:34 offset1:35
	buffer_load_dword v77, off, s[20:23], 0 offset:16 ; 4-byte Folded Reload
	buffer_load_dword v78, off, s[20:23], 0 offset:20 ; 4-byte Folded Reload
	;; [unrolled: 1-line block ×4, first 2 shown]
	s_waitcnt lgkmcnt(0)
	v_mul_f64 v[103:104], v[101:102], v[115:116]
	v_fma_f64 v[103:104], v[99:100], v[97:98], -v[103:104]
	v_mul_f64 v[99:100], v[99:100], v[115:116]
	v_fma_f64 v[99:100], v[101:102], v[97:98], v[99:100]
	s_waitcnt vmcnt(2)
	v_add_f64 v[77:78], v[77:78], -v[103:104]
	s_waitcnt vmcnt(0)
	v_add_f64 v[79:80], v[79:80], -v[99:100]
	buffer_store_dword v77, off, s[20:23], 0 offset:16 ; 4-byte Folded Spill
	s_nop 0
	buffer_store_dword v78, off, s[20:23], 0 offset:20 ; 4-byte Folded Spill
	buffer_store_dword v79, off, s[20:23], 0 offset:24 ; 4-byte Folded Spill
	buffer_store_dword v80, off, s[20:23], 0 offset:28 ; 4-byte Folded Spill
	ds_read2_b64 v[99:102], v125 offset0:36 offset1:37
	buffer_load_dword v73, off, s[20:23], 0 ; 4-byte Folded Reload
	buffer_load_dword v74, off, s[20:23], 0 offset:4 ; 4-byte Folded Reload
	buffer_load_dword v75, off, s[20:23], 0 offset:8 ; 4-byte Folded Reload
	;; [unrolled: 1-line block ×3, first 2 shown]
	s_waitcnt lgkmcnt(0)
	v_mul_f64 v[103:104], v[101:102], v[115:116]
	v_fma_f64 v[103:104], v[99:100], v[97:98], -v[103:104]
	v_mul_f64 v[99:100], v[99:100], v[115:116]
	v_fma_f64 v[99:100], v[101:102], v[97:98], v[99:100]
	s_waitcnt vmcnt(2)
	v_add_f64 v[73:74], v[73:74], -v[103:104]
	s_waitcnt vmcnt(0)
	v_add_f64 v[75:76], v[75:76], -v[99:100]
	buffer_store_dword v73, off, s[20:23], 0 ; 4-byte Folded Spill
	s_nop 0
	buffer_store_dword v74, off, s[20:23], 0 offset:4 ; 4-byte Folded Spill
	buffer_store_dword v75, off, s[20:23], 0 offset:8 ; 4-byte Folded Spill
	;; [unrolled: 1-line block ×3, first 2 shown]
	ds_read2_b64 v[99:102], v125 offset0:38 offset1:39
	s_waitcnt lgkmcnt(0)
	v_mul_f64 v[103:104], v[101:102], v[115:116]
	v_fma_f64 v[103:104], v[99:100], v[97:98], -v[103:104]
	v_mul_f64 v[99:100], v[99:100], v[115:116]
	v_add_f64 v[69:70], v[69:70], -v[103:104]
	v_fma_f64 v[99:100], v[101:102], v[97:98], v[99:100]
	v_add_f64 v[71:72], v[71:72], -v[99:100]
	ds_read2_b64 v[99:102], v125 offset0:40 offset1:41
	s_waitcnt lgkmcnt(0)
	v_mul_f64 v[103:104], v[101:102], v[115:116]
	v_fma_f64 v[103:104], v[99:100], v[97:98], -v[103:104]
	v_mul_f64 v[99:100], v[99:100], v[115:116]
	v_add_f64 v[65:66], v[65:66], -v[103:104]
	v_fma_f64 v[99:100], v[101:102], v[97:98], v[99:100]
	v_add_f64 v[67:68], v[67:68], -v[99:100]
	;; [unrolled: 8-line block ×18, first 2 shown]
	ds_read2_b64 v[99:102], v125 offset0:74 offset1:75
	s_waitcnt lgkmcnt(0)
	v_mul_f64 v[103:104], v[101:102], v[115:116]
	v_fma_f64 v[103:104], v[99:100], v[97:98], -v[103:104]
	v_mul_f64 v[99:100], v[99:100], v[115:116]
	buffer_store_dword v113, off, s[20:23], 0 offset:128 ; 4-byte Folded Spill
	s_nop 0
	buffer_store_dword v114, off, s[20:23], 0 offset:132 ; 4-byte Folded Spill
	buffer_store_dword v115, off, s[20:23], 0 offset:136 ; 4-byte Folded Spill
	;; [unrolled: 1-line block ×3, first 2 shown]
	v_add_f64 v[121:122], v[121:122], -v[103:104]
	v_fma_f64 v[99:100], v[101:102], v[97:98], v[99:100]
	v_add_f64 v[123:124], v[123:124], -v[99:100]
	v_mov_b32_e32 v113, v121
	v_mov_b32_e32 v114, v122
	;; [unrolled: 1-line block ×4, first 2 shown]
.LBB75_46:
	s_or_b64 exec, exec, s[2:3]
	v_cmp_eq_u32_e32 vcc, 5, v0
	s_waitcnt vmcnt(0)
	s_barrier
	s_and_saveexec_b64 s[4:5], vcc
	s_cbranch_execz .LBB75_53
; %bb.47:
	buffer_load_dword v73, off, s[20:23], 0 offset:112 ; 4-byte Folded Reload
	buffer_load_dword v74, off, s[20:23], 0 offset:116 ; 4-byte Folded Reload
	buffer_load_dword v75, off, s[20:23], 0 offset:120 ; 4-byte Folded Reload
	buffer_load_dword v76, off, s[20:23], 0 offset:124 ; 4-byte Folded Reload
	s_waitcnt vmcnt(0)
	ds_write2_b64 v127, v[73:74], v[75:76] offset1:1
	buffer_load_dword v73, off, s[20:23], 0 offset:96 ; 4-byte Folded Reload
	buffer_load_dword v74, off, s[20:23], 0 offset:100 ; 4-byte Folded Reload
	;; [unrolled: 1-line block ×4, first 2 shown]
	s_waitcnt vmcnt(0)
	ds_write2_b64 v125, v[73:74], v[75:76] offset0:12 offset1:13
	buffer_load_dword v73, off, s[20:23], 0 offset:80 ; 4-byte Folded Reload
	buffer_load_dword v74, off, s[20:23], 0 offset:84 ; 4-byte Folded Reload
	;; [unrolled: 1-line block ×4, first 2 shown]
	s_waitcnt vmcnt(0)
	ds_write2_b64 v125, v[73:74], v[75:76] offset0:14 offset1:15
	ds_write2_b64 v125, v[89:90], v[91:92] offset0:16 offset1:17
	;; [unrolled: 1-line block ×3, first 2 shown]
	buffer_load_dword v73, off, s[20:23], 0 offset:64 ; 4-byte Folded Reload
	buffer_load_dword v74, off, s[20:23], 0 offset:68 ; 4-byte Folded Reload
	;; [unrolled: 1-line block ×4, first 2 shown]
	s_waitcnt vmcnt(0)
	ds_write2_b64 v125, v[73:74], v[75:76] offset0:20 offset1:21
	ds_write2_b64 v125, v[81:82], v[83:84] offset0:22 offset1:23
	buffer_load_dword v73, off, s[20:23], 0 offset:48 ; 4-byte Folded Reload
	buffer_load_dword v74, off, s[20:23], 0 offset:52 ; 4-byte Folded Reload
	;; [unrolled: 1-line block ×4, first 2 shown]
	s_waitcnt vmcnt(0)
	ds_write2_b64 v125, v[73:74], v[75:76] offset0:24 offset1:25
	ds_write2_b64 v125, v[117:118], v[119:120] offset0:26 offset1:27
	;; [unrolled: 1-line block ×3, first 2 shown]
	buffer_load_dword v97, off, s[20:23], 0 offset:32 ; 4-byte Folded Reload
	buffer_load_dword v98, off, s[20:23], 0 offset:36 ; 4-byte Folded Reload
	buffer_load_dword v99, off, s[20:23], 0 offset:40 ; 4-byte Folded Reload
	buffer_load_dword v100, off, s[20:23], 0 offset:44 ; 4-byte Folded Reload
	s_waitcnt vmcnt(0)
	ds_write2_b64 v125, v[97:98], v[99:100] offset0:30 offset1:31
	ds_write2_b64 v125, v[93:94], v[95:96] offset0:32 offset1:33
	buffer_load_dword v77, off, s[20:23], 0 offset:16 ; 4-byte Folded Reload
	buffer_load_dword v78, off, s[20:23], 0 offset:20 ; 4-byte Folded Reload
	;; [unrolled: 1-line block ×4, first 2 shown]
	s_waitcnt vmcnt(0)
	ds_write2_b64 v125, v[77:78], v[79:80] offset0:34 offset1:35
	buffer_load_dword v73, off, s[20:23], 0 ; 4-byte Folded Reload
	buffer_load_dword v74, off, s[20:23], 0 offset:4 ; 4-byte Folded Reload
	buffer_load_dword v75, off, s[20:23], 0 offset:8 ; 4-byte Folded Reload
	;; [unrolled: 1-line block ×3, first 2 shown]
	s_waitcnt vmcnt(0)
	ds_write2_b64 v125, v[73:74], v[75:76] offset0:36 offset1:37
	ds_write2_b64 v125, v[69:70], v[71:72] offset0:38 offset1:39
	;; [unrolled: 1-line block ×20, first 2 shown]
	ds_read2_b64 v[97:100], v127 offset1:1
	s_waitcnt lgkmcnt(0)
	v_cmp_neq_f64_e32 vcc, 0, v[97:98]
	v_cmp_neq_f64_e64 s[2:3], 0, v[99:100]
	s_or_b64 s[2:3], vcc, s[2:3]
	s_and_b64 exec, exec, s[2:3]
	s_cbranch_execz .LBB75_53
; %bb.48:
	v_cmp_ngt_f64_e64 s[2:3], |v[97:98]|, |v[99:100]|
                                        ; implicit-def: $vgpr101_vgpr102
	s_and_saveexec_b64 s[6:7], s[2:3]
	s_xor_b64 s[2:3], exec, s[6:7]
                                        ; implicit-def: $vgpr103_vgpr104
	s_cbranch_execz .LBB75_50
; %bb.49:
	v_div_scale_f64 v[101:102], s[6:7], v[99:100], v[99:100], v[97:98]
	v_rcp_f64_e32 v[103:104], v[101:102]
	v_fma_f64 v[105:106], -v[101:102], v[103:104], 1.0
	v_fma_f64 v[103:104], v[103:104], v[105:106], v[103:104]
	v_div_scale_f64 v[105:106], vcc, v[97:98], v[99:100], v[97:98]
	v_fma_f64 v[107:108], -v[101:102], v[103:104], 1.0
	v_fma_f64 v[103:104], v[103:104], v[107:108], v[103:104]
	v_mul_f64 v[107:108], v[105:106], v[103:104]
	v_fma_f64 v[101:102], -v[101:102], v[107:108], v[105:106]
	v_div_fmas_f64 v[101:102], v[101:102], v[103:104], v[107:108]
	v_div_fixup_f64 v[101:102], v[101:102], v[99:100], v[97:98]
	v_fma_f64 v[97:98], v[97:98], v[101:102], v[99:100]
	v_div_scale_f64 v[99:100], s[6:7], v[97:98], v[97:98], 1.0
	v_div_scale_f64 v[107:108], vcc, 1.0, v[97:98], 1.0
	v_rcp_f64_e32 v[103:104], v[99:100]
	v_fma_f64 v[105:106], -v[99:100], v[103:104], 1.0
	v_fma_f64 v[103:104], v[103:104], v[105:106], v[103:104]
	v_fma_f64 v[105:106], -v[99:100], v[103:104], 1.0
	v_fma_f64 v[103:104], v[103:104], v[105:106], v[103:104]
	v_mul_f64 v[105:106], v[107:108], v[103:104]
	v_fma_f64 v[99:100], -v[99:100], v[105:106], v[107:108]
	v_div_fmas_f64 v[99:100], v[99:100], v[103:104], v[105:106]
	v_div_fixup_f64 v[103:104], v[99:100], v[97:98], 1.0
                                        ; implicit-def: $vgpr97_vgpr98
	v_mul_f64 v[101:102], v[101:102], v[103:104]
	v_xor_b32_e32 v104, 0x80000000, v104
.LBB75_50:
	s_andn2_saveexec_b64 s[2:3], s[2:3]
	s_cbranch_execz .LBB75_52
; %bb.51:
	v_div_scale_f64 v[101:102], s[6:7], v[97:98], v[97:98], v[99:100]
	v_rcp_f64_e32 v[103:104], v[101:102]
	v_fma_f64 v[105:106], -v[101:102], v[103:104], 1.0
	v_fma_f64 v[103:104], v[103:104], v[105:106], v[103:104]
	v_div_scale_f64 v[105:106], vcc, v[99:100], v[97:98], v[99:100]
	v_fma_f64 v[107:108], -v[101:102], v[103:104], 1.0
	v_fma_f64 v[103:104], v[103:104], v[107:108], v[103:104]
	v_mul_f64 v[107:108], v[105:106], v[103:104]
	v_fma_f64 v[101:102], -v[101:102], v[107:108], v[105:106]
	v_div_fmas_f64 v[101:102], v[101:102], v[103:104], v[107:108]
	v_div_fixup_f64 v[103:104], v[101:102], v[97:98], v[99:100]
	v_fma_f64 v[97:98], v[99:100], v[103:104], v[97:98]
	v_div_scale_f64 v[99:100], s[6:7], v[97:98], v[97:98], 1.0
	v_div_scale_f64 v[107:108], vcc, 1.0, v[97:98], 1.0
	v_rcp_f64_e32 v[101:102], v[99:100]
	v_fma_f64 v[105:106], -v[99:100], v[101:102], 1.0
	v_fma_f64 v[101:102], v[101:102], v[105:106], v[101:102]
	v_fma_f64 v[105:106], -v[99:100], v[101:102], 1.0
	v_fma_f64 v[101:102], v[101:102], v[105:106], v[101:102]
	v_mul_f64 v[105:106], v[107:108], v[101:102]
	v_fma_f64 v[99:100], -v[99:100], v[105:106], v[107:108]
	v_div_fmas_f64 v[99:100], v[99:100], v[101:102], v[105:106]
	v_div_fixup_f64 v[101:102], v[99:100], v[97:98], 1.0
	v_mul_f64 v[103:104], v[103:104], -v[101:102]
.LBB75_52:
	s_or_b64 exec, exec, s[2:3]
	ds_write2_b64 v127, v[101:102], v[103:104] offset1:1
.LBB75_53:
	s_or_b64 exec, exec, s[4:5]
	s_waitcnt lgkmcnt(0)
	s_barrier
	ds_read2_b64 v[73:76], v127 offset1:1
	v_cmp_lt_u32_e32 vcc, 5, v0
	s_waitcnt lgkmcnt(0)
	buffer_store_dword v73, off, s[20:23], 0 offset:640 ; 4-byte Folded Spill
	s_nop 0
	buffer_store_dword v74, off, s[20:23], 0 offset:644 ; 4-byte Folded Spill
	buffer_store_dword v75, off, s[20:23], 0 offset:648 ; 4-byte Folded Spill
	;; [unrolled: 1-line block ×3, first 2 shown]
	s_and_saveexec_b64 s[2:3], vcc
	s_cbranch_execz .LBB75_55
; %bb.54:
	v_mov_b32_e32 v124, v116
	v_mov_b32_e32 v123, v115
	;; [unrolled: 1-line block ×4, first 2 shown]
	buffer_load_dword v113, off, s[20:23], 0 offset:112 ; 4-byte Folded Reload
	buffer_load_dword v114, off, s[20:23], 0 offset:116 ; 4-byte Folded Reload
	;; [unrolled: 1-line block ×8, first 2 shown]
	s_waitcnt vmcnt(2)
	v_mul_f64 v[99:100], v[73:74], v[115:116]
	s_waitcnt vmcnt(0)
	v_mul_f64 v[97:98], v[75:76], v[115:116]
	v_fma_f64 v[115:116], v[75:76], v[113:114], v[99:100]
	ds_read2_b64 v[99:102], v125 offset0:12 offset1:13
	v_fma_f64 v[97:98], v[73:74], v[113:114], -v[97:98]
	buffer_load_dword v73, off, s[20:23], 0 offset:96 ; 4-byte Folded Reload
	buffer_load_dword v74, off, s[20:23], 0 offset:100 ; 4-byte Folded Reload
	buffer_load_dword v75, off, s[20:23], 0 offset:104 ; 4-byte Folded Reload
	buffer_load_dword v76, off, s[20:23], 0 offset:108 ; 4-byte Folded Reload
	s_waitcnt lgkmcnt(0)
	v_mul_f64 v[103:104], v[101:102], v[115:116]
	v_mov_b32_e32 v114, v98
	v_mov_b32_e32 v113, v97
	v_fma_f64 v[103:104], v[99:100], v[97:98], -v[103:104]
	v_mul_f64 v[99:100], v[99:100], v[115:116]
	v_fma_f64 v[99:100], v[101:102], v[97:98], v[99:100]
	s_waitcnt vmcnt(2)
	v_add_f64 v[73:74], v[73:74], -v[103:104]
	s_waitcnt vmcnt(0)
	v_add_f64 v[75:76], v[75:76], -v[99:100]
	buffer_store_dword v73, off, s[20:23], 0 offset:96 ; 4-byte Folded Spill
	s_nop 0
	buffer_store_dword v74, off, s[20:23], 0 offset:100 ; 4-byte Folded Spill
	buffer_store_dword v75, off, s[20:23], 0 offset:104 ; 4-byte Folded Spill
	;; [unrolled: 1-line block ×3, first 2 shown]
	ds_read2_b64 v[99:102], v125 offset0:14 offset1:15
	buffer_load_dword v73, off, s[20:23], 0 offset:80 ; 4-byte Folded Reload
	buffer_load_dword v74, off, s[20:23], 0 offset:84 ; 4-byte Folded Reload
	;; [unrolled: 1-line block ×4, first 2 shown]
	s_waitcnt lgkmcnt(0)
	v_mul_f64 v[103:104], v[101:102], v[115:116]
	v_fma_f64 v[103:104], v[99:100], v[97:98], -v[103:104]
	v_mul_f64 v[99:100], v[99:100], v[115:116]
	v_fma_f64 v[99:100], v[101:102], v[97:98], v[99:100]
	s_waitcnt vmcnt(2)
	v_add_f64 v[73:74], v[73:74], -v[103:104]
	s_waitcnt vmcnt(0)
	v_add_f64 v[75:76], v[75:76], -v[99:100]
	buffer_store_dword v73, off, s[20:23], 0 offset:80 ; 4-byte Folded Spill
	s_nop 0
	buffer_store_dword v74, off, s[20:23], 0 offset:84 ; 4-byte Folded Spill
	buffer_store_dword v75, off, s[20:23], 0 offset:88 ; 4-byte Folded Spill
	;; [unrolled: 1-line block ×3, first 2 shown]
	ds_read2_b64 v[99:102], v125 offset0:16 offset1:17
	s_waitcnt lgkmcnt(0)
	v_mul_f64 v[103:104], v[101:102], v[115:116]
	v_fma_f64 v[103:104], v[99:100], v[97:98], -v[103:104]
	v_mul_f64 v[99:100], v[99:100], v[115:116]
	v_add_f64 v[89:90], v[89:90], -v[103:104]
	v_fma_f64 v[99:100], v[101:102], v[97:98], v[99:100]
	v_add_f64 v[91:92], v[91:92], -v[99:100]
	ds_read2_b64 v[99:102], v125 offset0:18 offset1:19
	s_waitcnt lgkmcnt(0)
	v_mul_f64 v[103:104], v[101:102], v[115:116]
	v_fma_f64 v[103:104], v[99:100], v[97:98], -v[103:104]
	v_mul_f64 v[99:100], v[99:100], v[115:116]
	v_add_f64 v[85:86], v[85:86], -v[103:104]
	v_fma_f64 v[99:100], v[101:102], v[97:98], v[99:100]
	v_add_f64 v[87:88], v[87:88], -v[99:100]
	ds_read2_b64 v[99:102], v125 offset0:20 offset1:21
	buffer_load_dword v73, off, s[20:23], 0 offset:64 ; 4-byte Folded Reload
	buffer_load_dword v74, off, s[20:23], 0 offset:68 ; 4-byte Folded Reload
	;; [unrolled: 1-line block ×4, first 2 shown]
	s_waitcnt lgkmcnt(0)
	v_mul_f64 v[103:104], v[101:102], v[115:116]
	v_fma_f64 v[103:104], v[99:100], v[97:98], -v[103:104]
	v_mul_f64 v[99:100], v[99:100], v[115:116]
	v_fma_f64 v[99:100], v[101:102], v[97:98], v[99:100]
	s_waitcnt vmcnt(2)
	v_add_f64 v[73:74], v[73:74], -v[103:104]
	s_waitcnt vmcnt(0)
	v_add_f64 v[75:76], v[75:76], -v[99:100]
	buffer_store_dword v73, off, s[20:23], 0 offset:64 ; 4-byte Folded Spill
	s_nop 0
	buffer_store_dword v74, off, s[20:23], 0 offset:68 ; 4-byte Folded Spill
	buffer_store_dword v75, off, s[20:23], 0 offset:72 ; 4-byte Folded Spill
	;; [unrolled: 1-line block ×3, first 2 shown]
	ds_read2_b64 v[99:102], v125 offset0:22 offset1:23
	s_waitcnt lgkmcnt(0)
	v_mul_f64 v[103:104], v[101:102], v[115:116]
	v_fma_f64 v[103:104], v[99:100], v[97:98], -v[103:104]
	v_mul_f64 v[99:100], v[99:100], v[115:116]
	v_add_f64 v[81:82], v[81:82], -v[103:104]
	v_fma_f64 v[99:100], v[101:102], v[97:98], v[99:100]
	v_add_f64 v[83:84], v[83:84], -v[99:100]
	ds_read2_b64 v[99:102], v125 offset0:24 offset1:25
	buffer_load_dword v73, off, s[20:23], 0 offset:48 ; 4-byte Folded Reload
	buffer_load_dword v74, off, s[20:23], 0 offset:52 ; 4-byte Folded Reload
	;; [unrolled: 1-line block ×4, first 2 shown]
	s_waitcnt lgkmcnt(0)
	v_mul_f64 v[103:104], v[101:102], v[115:116]
	v_fma_f64 v[103:104], v[99:100], v[97:98], -v[103:104]
	v_mul_f64 v[99:100], v[99:100], v[115:116]
	v_fma_f64 v[99:100], v[101:102], v[97:98], v[99:100]
	s_waitcnt vmcnt(2)
	v_add_f64 v[73:74], v[73:74], -v[103:104]
	s_waitcnt vmcnt(0)
	v_add_f64 v[75:76], v[75:76], -v[99:100]
	buffer_store_dword v73, off, s[20:23], 0 offset:48 ; 4-byte Folded Spill
	s_nop 0
	buffer_store_dword v74, off, s[20:23], 0 offset:52 ; 4-byte Folded Spill
	buffer_store_dword v75, off, s[20:23], 0 offset:56 ; 4-byte Folded Spill
	;; [unrolled: 1-line block ×3, first 2 shown]
	ds_read2_b64 v[99:102], v125 offset0:26 offset1:27
	s_waitcnt lgkmcnt(0)
	v_mul_f64 v[103:104], v[101:102], v[115:116]
	v_fma_f64 v[103:104], v[99:100], v[97:98], -v[103:104]
	v_mul_f64 v[99:100], v[99:100], v[115:116]
	v_add_f64 v[117:118], v[117:118], -v[103:104]
	v_fma_f64 v[99:100], v[101:102], v[97:98], v[99:100]
	v_add_f64 v[119:120], v[119:120], -v[99:100]
	ds_read2_b64 v[99:102], v125 offset0:28 offset1:29
	s_waitcnt lgkmcnt(0)
	v_mul_f64 v[103:104], v[101:102], v[115:116]
	v_fma_f64 v[103:104], v[99:100], v[97:98], -v[103:104]
	v_mul_f64 v[99:100], v[99:100], v[115:116]
	v_add_f64 v[109:110], v[109:110], -v[103:104]
	v_fma_f64 v[99:100], v[101:102], v[97:98], v[99:100]
	v_add_f64 v[111:112], v[111:112], -v[99:100]
	ds_read2_b64 v[99:102], v125 offset0:30 offset1:31
	buffer_load_dword v105, off, s[20:23], 0 offset:32 ; 4-byte Folded Reload
	buffer_load_dword v106, off, s[20:23], 0 offset:36 ; 4-byte Folded Reload
	buffer_load_dword v107, off, s[20:23], 0 offset:40 ; 4-byte Folded Reload
	buffer_load_dword v108, off, s[20:23], 0 offset:44 ; 4-byte Folded Reload
	s_waitcnt lgkmcnt(0)
	v_mul_f64 v[103:104], v[101:102], v[115:116]
	v_fma_f64 v[103:104], v[99:100], v[97:98], -v[103:104]
	v_mul_f64 v[99:100], v[99:100], v[115:116]
	v_fma_f64 v[99:100], v[101:102], v[97:98], v[99:100]
	s_waitcnt vmcnt(2)
	v_add_f64 v[105:106], v[105:106], -v[103:104]
	s_waitcnt vmcnt(0)
	v_add_f64 v[107:108], v[107:108], -v[99:100]
	buffer_store_dword v105, off, s[20:23], 0 offset:32 ; 4-byte Folded Spill
	s_nop 0
	buffer_store_dword v106, off, s[20:23], 0 offset:36 ; 4-byte Folded Spill
	buffer_store_dword v107, off, s[20:23], 0 offset:40 ; 4-byte Folded Spill
	buffer_store_dword v108, off, s[20:23], 0 offset:44 ; 4-byte Folded Spill
	ds_read2_b64 v[99:102], v125 offset0:32 offset1:33
	s_waitcnt lgkmcnt(0)
	v_mul_f64 v[103:104], v[101:102], v[115:116]
	v_fma_f64 v[103:104], v[99:100], v[97:98], -v[103:104]
	v_mul_f64 v[99:100], v[99:100], v[115:116]
	v_add_f64 v[93:94], v[93:94], -v[103:104]
	v_fma_f64 v[99:100], v[101:102], v[97:98], v[99:100]
	v_add_f64 v[95:96], v[95:96], -v[99:100]
	ds_read2_b64 v[99:102], v125 offset0:34 offset1:35
	buffer_load_dword v77, off, s[20:23], 0 offset:16 ; 4-byte Folded Reload
	buffer_load_dword v78, off, s[20:23], 0 offset:20 ; 4-byte Folded Reload
	;; [unrolled: 1-line block ×4, first 2 shown]
	s_waitcnt lgkmcnt(0)
	v_mul_f64 v[103:104], v[101:102], v[115:116]
	v_fma_f64 v[103:104], v[99:100], v[97:98], -v[103:104]
	v_mul_f64 v[99:100], v[99:100], v[115:116]
	v_fma_f64 v[99:100], v[101:102], v[97:98], v[99:100]
	s_waitcnt vmcnt(2)
	v_add_f64 v[77:78], v[77:78], -v[103:104]
	s_waitcnt vmcnt(0)
	v_add_f64 v[79:80], v[79:80], -v[99:100]
	buffer_store_dword v77, off, s[20:23], 0 offset:16 ; 4-byte Folded Spill
	s_nop 0
	buffer_store_dword v78, off, s[20:23], 0 offset:20 ; 4-byte Folded Spill
	buffer_store_dword v79, off, s[20:23], 0 offset:24 ; 4-byte Folded Spill
	;; [unrolled: 1-line block ×3, first 2 shown]
	ds_read2_b64 v[99:102], v125 offset0:36 offset1:37
	buffer_load_dword v73, off, s[20:23], 0 ; 4-byte Folded Reload
	buffer_load_dword v74, off, s[20:23], 0 offset:4 ; 4-byte Folded Reload
	buffer_load_dword v75, off, s[20:23], 0 offset:8 ; 4-byte Folded Reload
	;; [unrolled: 1-line block ×3, first 2 shown]
	s_waitcnt lgkmcnt(0)
	v_mul_f64 v[103:104], v[101:102], v[115:116]
	v_fma_f64 v[103:104], v[99:100], v[97:98], -v[103:104]
	v_mul_f64 v[99:100], v[99:100], v[115:116]
	v_fma_f64 v[99:100], v[101:102], v[97:98], v[99:100]
	s_waitcnt vmcnt(2)
	v_add_f64 v[73:74], v[73:74], -v[103:104]
	s_waitcnt vmcnt(0)
	v_add_f64 v[75:76], v[75:76], -v[99:100]
	buffer_store_dword v73, off, s[20:23], 0 ; 4-byte Folded Spill
	s_nop 0
	buffer_store_dword v74, off, s[20:23], 0 offset:4 ; 4-byte Folded Spill
	buffer_store_dword v75, off, s[20:23], 0 offset:8 ; 4-byte Folded Spill
	;; [unrolled: 1-line block ×3, first 2 shown]
	ds_read2_b64 v[99:102], v125 offset0:38 offset1:39
	s_waitcnt lgkmcnt(0)
	v_mul_f64 v[103:104], v[101:102], v[115:116]
	v_fma_f64 v[103:104], v[99:100], v[97:98], -v[103:104]
	v_mul_f64 v[99:100], v[99:100], v[115:116]
	v_add_f64 v[69:70], v[69:70], -v[103:104]
	v_fma_f64 v[99:100], v[101:102], v[97:98], v[99:100]
	v_add_f64 v[71:72], v[71:72], -v[99:100]
	ds_read2_b64 v[99:102], v125 offset0:40 offset1:41
	s_waitcnt lgkmcnt(0)
	v_mul_f64 v[103:104], v[101:102], v[115:116]
	v_fma_f64 v[103:104], v[99:100], v[97:98], -v[103:104]
	v_mul_f64 v[99:100], v[99:100], v[115:116]
	v_add_f64 v[65:66], v[65:66], -v[103:104]
	v_fma_f64 v[99:100], v[101:102], v[97:98], v[99:100]
	v_add_f64 v[67:68], v[67:68], -v[99:100]
	ds_read2_b64 v[99:102], v125 offset0:42 offset1:43
	s_waitcnt lgkmcnt(0)
	v_mul_f64 v[103:104], v[101:102], v[115:116]
	v_fma_f64 v[103:104], v[99:100], v[97:98], -v[103:104]
	v_mul_f64 v[99:100], v[99:100], v[115:116]
	v_add_f64 v[61:62], v[61:62], -v[103:104]
	v_fma_f64 v[99:100], v[101:102], v[97:98], v[99:100]
	v_add_f64 v[63:64], v[63:64], -v[99:100]
	ds_read2_b64 v[99:102], v125 offset0:44 offset1:45
	s_waitcnt lgkmcnt(0)
	v_mul_f64 v[103:104], v[101:102], v[115:116]
	v_fma_f64 v[103:104], v[99:100], v[97:98], -v[103:104]
	v_mul_f64 v[99:100], v[99:100], v[115:116]
	v_add_f64 v[57:58], v[57:58], -v[103:104]
	v_fma_f64 v[99:100], v[101:102], v[97:98], v[99:100]
	v_add_f64 v[59:60], v[59:60], -v[99:100]
	ds_read2_b64 v[99:102], v125 offset0:46 offset1:47
	s_waitcnt lgkmcnt(0)
	v_mul_f64 v[103:104], v[101:102], v[115:116]
	v_fma_f64 v[103:104], v[99:100], v[97:98], -v[103:104]
	v_mul_f64 v[99:100], v[99:100], v[115:116]
	v_add_f64 v[53:54], v[53:54], -v[103:104]
	v_fma_f64 v[99:100], v[101:102], v[97:98], v[99:100]
	v_add_f64 v[55:56], v[55:56], -v[99:100]
	ds_read2_b64 v[99:102], v125 offset0:48 offset1:49
	s_waitcnt lgkmcnt(0)
	v_mul_f64 v[103:104], v[101:102], v[115:116]
	v_fma_f64 v[103:104], v[99:100], v[97:98], -v[103:104]
	v_mul_f64 v[99:100], v[99:100], v[115:116]
	v_add_f64 v[49:50], v[49:50], -v[103:104]
	v_fma_f64 v[99:100], v[101:102], v[97:98], v[99:100]
	v_add_f64 v[51:52], v[51:52], -v[99:100]
	ds_read2_b64 v[99:102], v125 offset0:50 offset1:51
	s_waitcnt lgkmcnt(0)
	v_mul_f64 v[103:104], v[101:102], v[115:116]
	v_fma_f64 v[103:104], v[99:100], v[97:98], -v[103:104]
	v_mul_f64 v[99:100], v[99:100], v[115:116]
	v_add_f64 v[45:46], v[45:46], -v[103:104]
	v_fma_f64 v[99:100], v[101:102], v[97:98], v[99:100]
	v_add_f64 v[47:48], v[47:48], -v[99:100]
	ds_read2_b64 v[99:102], v125 offset0:52 offset1:53
	s_waitcnt lgkmcnt(0)
	v_mul_f64 v[103:104], v[101:102], v[115:116]
	v_fma_f64 v[103:104], v[99:100], v[97:98], -v[103:104]
	v_mul_f64 v[99:100], v[99:100], v[115:116]
	v_add_f64 v[41:42], v[41:42], -v[103:104]
	v_fma_f64 v[99:100], v[101:102], v[97:98], v[99:100]
	v_add_f64 v[43:44], v[43:44], -v[99:100]
	ds_read2_b64 v[99:102], v125 offset0:54 offset1:55
	s_waitcnt lgkmcnt(0)
	v_mul_f64 v[103:104], v[101:102], v[115:116]
	v_fma_f64 v[103:104], v[99:100], v[97:98], -v[103:104]
	v_mul_f64 v[99:100], v[99:100], v[115:116]
	v_add_f64 v[37:38], v[37:38], -v[103:104]
	v_fma_f64 v[99:100], v[101:102], v[97:98], v[99:100]
	v_add_f64 v[39:40], v[39:40], -v[99:100]
	ds_read2_b64 v[99:102], v125 offset0:56 offset1:57
	s_waitcnt lgkmcnt(0)
	v_mul_f64 v[103:104], v[101:102], v[115:116]
	v_fma_f64 v[103:104], v[99:100], v[97:98], -v[103:104]
	v_mul_f64 v[99:100], v[99:100], v[115:116]
	v_add_f64 v[33:34], v[33:34], -v[103:104]
	v_fma_f64 v[99:100], v[101:102], v[97:98], v[99:100]
	v_add_f64 v[35:36], v[35:36], -v[99:100]
	ds_read2_b64 v[99:102], v125 offset0:58 offset1:59
	s_waitcnt lgkmcnt(0)
	v_mul_f64 v[103:104], v[101:102], v[115:116]
	v_fma_f64 v[103:104], v[99:100], v[97:98], -v[103:104]
	v_mul_f64 v[99:100], v[99:100], v[115:116]
	v_add_f64 v[29:30], v[29:30], -v[103:104]
	v_fma_f64 v[99:100], v[101:102], v[97:98], v[99:100]
	v_add_f64 v[31:32], v[31:32], -v[99:100]
	ds_read2_b64 v[99:102], v125 offset0:60 offset1:61
	s_waitcnt lgkmcnt(0)
	v_mul_f64 v[103:104], v[101:102], v[115:116]
	v_fma_f64 v[103:104], v[99:100], v[97:98], -v[103:104]
	v_mul_f64 v[99:100], v[99:100], v[115:116]
	v_add_f64 v[25:26], v[25:26], -v[103:104]
	v_fma_f64 v[99:100], v[101:102], v[97:98], v[99:100]
	v_add_f64 v[27:28], v[27:28], -v[99:100]
	ds_read2_b64 v[99:102], v125 offset0:62 offset1:63
	s_waitcnt lgkmcnt(0)
	v_mul_f64 v[103:104], v[101:102], v[115:116]
	v_fma_f64 v[103:104], v[99:100], v[97:98], -v[103:104]
	v_mul_f64 v[99:100], v[99:100], v[115:116]
	v_add_f64 v[21:22], v[21:22], -v[103:104]
	v_fma_f64 v[99:100], v[101:102], v[97:98], v[99:100]
	v_add_f64 v[23:24], v[23:24], -v[99:100]
	ds_read2_b64 v[99:102], v125 offset0:64 offset1:65
	s_waitcnt lgkmcnt(0)
	v_mul_f64 v[103:104], v[101:102], v[115:116]
	v_fma_f64 v[103:104], v[99:100], v[97:98], -v[103:104]
	v_mul_f64 v[99:100], v[99:100], v[115:116]
	v_add_f64 v[17:18], v[17:18], -v[103:104]
	v_fma_f64 v[99:100], v[101:102], v[97:98], v[99:100]
	v_add_f64 v[19:20], v[19:20], -v[99:100]
	ds_read2_b64 v[99:102], v125 offset0:66 offset1:67
	s_waitcnt lgkmcnt(0)
	v_mul_f64 v[103:104], v[101:102], v[115:116]
	v_fma_f64 v[103:104], v[99:100], v[97:98], -v[103:104]
	v_mul_f64 v[99:100], v[99:100], v[115:116]
	v_add_f64 v[13:14], v[13:14], -v[103:104]
	v_fma_f64 v[99:100], v[101:102], v[97:98], v[99:100]
	v_add_f64 v[15:16], v[15:16], -v[99:100]
	ds_read2_b64 v[99:102], v125 offset0:68 offset1:69
	s_waitcnt lgkmcnt(0)
	v_mul_f64 v[103:104], v[101:102], v[115:116]
	v_fma_f64 v[103:104], v[99:100], v[97:98], -v[103:104]
	v_mul_f64 v[99:100], v[99:100], v[115:116]
	v_add_f64 v[9:10], v[9:10], -v[103:104]
	v_fma_f64 v[99:100], v[101:102], v[97:98], v[99:100]
	v_add_f64 v[11:12], v[11:12], -v[99:100]
	ds_read2_b64 v[99:102], v125 offset0:70 offset1:71
	s_waitcnt lgkmcnt(0)
	v_mul_f64 v[103:104], v[101:102], v[115:116]
	v_fma_f64 v[103:104], v[99:100], v[97:98], -v[103:104]
	v_mul_f64 v[99:100], v[99:100], v[115:116]
	v_add_f64 v[5:6], v[5:6], -v[103:104]
	v_fma_f64 v[99:100], v[101:102], v[97:98], v[99:100]
	v_add_f64 v[7:8], v[7:8], -v[99:100]
	ds_read2_b64 v[99:102], v125 offset0:72 offset1:73
	s_waitcnt lgkmcnt(0)
	v_mul_f64 v[103:104], v[101:102], v[115:116]
	v_fma_f64 v[103:104], v[99:100], v[97:98], -v[103:104]
	v_mul_f64 v[99:100], v[99:100], v[115:116]
	v_add_f64 v[1:2], v[1:2], -v[103:104]
	v_fma_f64 v[99:100], v[101:102], v[97:98], v[99:100]
	v_add_f64 v[3:4], v[3:4], -v[99:100]
	ds_read2_b64 v[99:102], v125 offset0:74 offset1:75
	s_waitcnt lgkmcnt(0)
	v_mul_f64 v[103:104], v[101:102], v[115:116]
	v_fma_f64 v[103:104], v[99:100], v[97:98], -v[103:104]
	v_mul_f64 v[99:100], v[99:100], v[115:116]
	buffer_store_dword v113, off, s[20:23], 0 offset:112 ; 4-byte Folded Spill
	s_nop 0
	buffer_store_dword v114, off, s[20:23], 0 offset:116 ; 4-byte Folded Spill
	buffer_store_dword v115, off, s[20:23], 0 offset:120 ; 4-byte Folded Spill
	;; [unrolled: 1-line block ×3, first 2 shown]
	v_add_f64 v[121:122], v[121:122], -v[103:104]
	v_fma_f64 v[99:100], v[101:102], v[97:98], v[99:100]
	v_add_f64 v[123:124], v[123:124], -v[99:100]
	v_mov_b32_e32 v113, v121
	v_mov_b32_e32 v114, v122
	;; [unrolled: 1-line block ×4, first 2 shown]
.LBB75_55:
	s_or_b64 exec, exec, s[2:3]
	v_cmp_eq_u32_e32 vcc, 6, v0
	s_waitcnt vmcnt(0)
	s_barrier
	s_and_saveexec_b64 s[4:5], vcc
	s_cbranch_execz .LBB75_62
; %bb.56:
	buffer_load_dword v73, off, s[20:23], 0 offset:96 ; 4-byte Folded Reload
	buffer_load_dword v74, off, s[20:23], 0 offset:100 ; 4-byte Folded Reload
	;; [unrolled: 1-line block ×4, first 2 shown]
	s_waitcnt vmcnt(0)
	ds_write2_b64 v127, v[73:74], v[75:76] offset1:1
	buffer_load_dword v73, off, s[20:23], 0 offset:80 ; 4-byte Folded Reload
	buffer_load_dword v74, off, s[20:23], 0 offset:84 ; 4-byte Folded Reload
	;; [unrolled: 1-line block ×4, first 2 shown]
	s_waitcnt vmcnt(0)
	ds_write2_b64 v125, v[73:74], v[75:76] offset0:14 offset1:15
	ds_write2_b64 v125, v[89:90], v[91:92] offset0:16 offset1:17
	;; [unrolled: 1-line block ×3, first 2 shown]
	buffer_load_dword v73, off, s[20:23], 0 offset:64 ; 4-byte Folded Reload
	buffer_load_dword v74, off, s[20:23], 0 offset:68 ; 4-byte Folded Reload
	;; [unrolled: 1-line block ×4, first 2 shown]
	s_waitcnt vmcnt(0)
	ds_write2_b64 v125, v[73:74], v[75:76] offset0:20 offset1:21
	ds_write2_b64 v125, v[81:82], v[83:84] offset0:22 offset1:23
	buffer_load_dword v73, off, s[20:23], 0 offset:48 ; 4-byte Folded Reload
	buffer_load_dword v74, off, s[20:23], 0 offset:52 ; 4-byte Folded Reload
	;; [unrolled: 1-line block ×4, first 2 shown]
	s_waitcnt vmcnt(0)
	ds_write2_b64 v125, v[73:74], v[75:76] offset0:24 offset1:25
	ds_write2_b64 v125, v[117:118], v[119:120] offset0:26 offset1:27
	;; [unrolled: 1-line block ×3, first 2 shown]
	buffer_load_dword v97, off, s[20:23], 0 offset:32 ; 4-byte Folded Reload
	buffer_load_dword v98, off, s[20:23], 0 offset:36 ; 4-byte Folded Reload
	;; [unrolled: 1-line block ×4, first 2 shown]
	s_waitcnt vmcnt(0)
	ds_write2_b64 v125, v[97:98], v[99:100] offset0:30 offset1:31
	ds_write2_b64 v125, v[93:94], v[95:96] offset0:32 offset1:33
	buffer_load_dword v77, off, s[20:23], 0 offset:16 ; 4-byte Folded Reload
	buffer_load_dword v78, off, s[20:23], 0 offset:20 ; 4-byte Folded Reload
	;; [unrolled: 1-line block ×4, first 2 shown]
	s_waitcnt vmcnt(0)
	ds_write2_b64 v125, v[77:78], v[79:80] offset0:34 offset1:35
	buffer_load_dword v73, off, s[20:23], 0 ; 4-byte Folded Reload
	buffer_load_dword v74, off, s[20:23], 0 offset:4 ; 4-byte Folded Reload
	buffer_load_dword v75, off, s[20:23], 0 offset:8 ; 4-byte Folded Reload
	;; [unrolled: 1-line block ×3, first 2 shown]
	s_waitcnt vmcnt(0)
	ds_write2_b64 v125, v[73:74], v[75:76] offset0:36 offset1:37
	ds_write2_b64 v125, v[69:70], v[71:72] offset0:38 offset1:39
	;; [unrolled: 1-line block ×20, first 2 shown]
	ds_read2_b64 v[97:100], v127 offset1:1
	s_waitcnt lgkmcnt(0)
	v_cmp_neq_f64_e32 vcc, 0, v[97:98]
	v_cmp_neq_f64_e64 s[2:3], 0, v[99:100]
	s_or_b64 s[2:3], vcc, s[2:3]
	s_and_b64 exec, exec, s[2:3]
	s_cbranch_execz .LBB75_62
; %bb.57:
	v_cmp_ngt_f64_e64 s[2:3], |v[97:98]|, |v[99:100]|
                                        ; implicit-def: $vgpr101_vgpr102
	s_and_saveexec_b64 s[6:7], s[2:3]
	s_xor_b64 s[2:3], exec, s[6:7]
                                        ; implicit-def: $vgpr103_vgpr104
	s_cbranch_execz .LBB75_59
; %bb.58:
	v_div_scale_f64 v[101:102], s[6:7], v[99:100], v[99:100], v[97:98]
	v_rcp_f64_e32 v[103:104], v[101:102]
	v_fma_f64 v[105:106], -v[101:102], v[103:104], 1.0
	v_fma_f64 v[103:104], v[103:104], v[105:106], v[103:104]
	v_div_scale_f64 v[105:106], vcc, v[97:98], v[99:100], v[97:98]
	v_fma_f64 v[107:108], -v[101:102], v[103:104], 1.0
	v_fma_f64 v[103:104], v[103:104], v[107:108], v[103:104]
	v_mul_f64 v[107:108], v[105:106], v[103:104]
	v_fma_f64 v[101:102], -v[101:102], v[107:108], v[105:106]
	v_div_fmas_f64 v[101:102], v[101:102], v[103:104], v[107:108]
	v_div_fixup_f64 v[101:102], v[101:102], v[99:100], v[97:98]
	v_fma_f64 v[97:98], v[97:98], v[101:102], v[99:100]
	v_div_scale_f64 v[99:100], s[6:7], v[97:98], v[97:98], 1.0
	v_div_scale_f64 v[107:108], vcc, 1.0, v[97:98], 1.0
	v_rcp_f64_e32 v[103:104], v[99:100]
	v_fma_f64 v[105:106], -v[99:100], v[103:104], 1.0
	v_fma_f64 v[103:104], v[103:104], v[105:106], v[103:104]
	v_fma_f64 v[105:106], -v[99:100], v[103:104], 1.0
	v_fma_f64 v[103:104], v[103:104], v[105:106], v[103:104]
	v_mul_f64 v[105:106], v[107:108], v[103:104]
	v_fma_f64 v[99:100], -v[99:100], v[105:106], v[107:108]
	v_div_fmas_f64 v[99:100], v[99:100], v[103:104], v[105:106]
	v_div_fixup_f64 v[103:104], v[99:100], v[97:98], 1.0
                                        ; implicit-def: $vgpr97_vgpr98
	v_mul_f64 v[101:102], v[101:102], v[103:104]
	v_xor_b32_e32 v104, 0x80000000, v104
.LBB75_59:
	s_andn2_saveexec_b64 s[2:3], s[2:3]
	s_cbranch_execz .LBB75_61
; %bb.60:
	v_div_scale_f64 v[101:102], s[6:7], v[97:98], v[97:98], v[99:100]
	v_rcp_f64_e32 v[103:104], v[101:102]
	v_fma_f64 v[105:106], -v[101:102], v[103:104], 1.0
	v_fma_f64 v[103:104], v[103:104], v[105:106], v[103:104]
	v_div_scale_f64 v[105:106], vcc, v[99:100], v[97:98], v[99:100]
	v_fma_f64 v[107:108], -v[101:102], v[103:104], 1.0
	v_fma_f64 v[103:104], v[103:104], v[107:108], v[103:104]
	v_mul_f64 v[107:108], v[105:106], v[103:104]
	v_fma_f64 v[101:102], -v[101:102], v[107:108], v[105:106]
	v_div_fmas_f64 v[101:102], v[101:102], v[103:104], v[107:108]
	v_div_fixup_f64 v[103:104], v[101:102], v[97:98], v[99:100]
	v_fma_f64 v[97:98], v[99:100], v[103:104], v[97:98]
	v_div_scale_f64 v[99:100], s[6:7], v[97:98], v[97:98], 1.0
	v_div_scale_f64 v[107:108], vcc, 1.0, v[97:98], 1.0
	v_rcp_f64_e32 v[101:102], v[99:100]
	v_fma_f64 v[105:106], -v[99:100], v[101:102], 1.0
	v_fma_f64 v[101:102], v[101:102], v[105:106], v[101:102]
	v_fma_f64 v[105:106], -v[99:100], v[101:102], 1.0
	v_fma_f64 v[101:102], v[101:102], v[105:106], v[101:102]
	v_mul_f64 v[105:106], v[107:108], v[101:102]
	v_fma_f64 v[99:100], -v[99:100], v[105:106], v[107:108]
	v_div_fmas_f64 v[99:100], v[99:100], v[101:102], v[105:106]
	v_div_fixup_f64 v[101:102], v[99:100], v[97:98], 1.0
	v_mul_f64 v[103:104], v[103:104], -v[101:102]
.LBB75_61:
	s_or_b64 exec, exec, s[2:3]
	ds_write2_b64 v127, v[101:102], v[103:104] offset1:1
.LBB75_62:
	s_or_b64 exec, exec, s[4:5]
	s_waitcnt lgkmcnt(0)
	s_barrier
	ds_read2_b64 v[73:76], v127 offset1:1
	v_cmp_lt_u32_e32 vcc, 6, v0
	s_waitcnt lgkmcnt(0)
	buffer_store_dword v73, off, s[20:23], 0 offset:656 ; 4-byte Folded Spill
	s_nop 0
	buffer_store_dword v74, off, s[20:23], 0 offset:660 ; 4-byte Folded Spill
	buffer_store_dword v75, off, s[20:23], 0 offset:664 ; 4-byte Folded Spill
	;; [unrolled: 1-line block ×3, first 2 shown]
	s_and_saveexec_b64 s[2:3], vcc
	s_cbranch_execz .LBB75_64
; %bb.63:
	v_mov_b32_e32 v124, v116
	v_mov_b32_e32 v123, v115
	;; [unrolled: 1-line block ×4, first 2 shown]
	buffer_load_dword v113, off, s[20:23], 0 offset:96 ; 4-byte Folded Reload
	buffer_load_dword v114, off, s[20:23], 0 offset:100 ; 4-byte Folded Reload
	;; [unrolled: 1-line block ×8, first 2 shown]
	s_waitcnt vmcnt(2)
	v_mul_f64 v[99:100], v[73:74], v[115:116]
	s_waitcnt vmcnt(0)
	v_mul_f64 v[97:98], v[75:76], v[115:116]
	v_fma_f64 v[115:116], v[75:76], v[113:114], v[99:100]
	ds_read2_b64 v[99:102], v125 offset0:14 offset1:15
	v_fma_f64 v[97:98], v[73:74], v[113:114], -v[97:98]
	buffer_load_dword v73, off, s[20:23], 0 offset:80 ; 4-byte Folded Reload
	buffer_load_dword v74, off, s[20:23], 0 offset:84 ; 4-byte Folded Reload
	;; [unrolled: 1-line block ×4, first 2 shown]
	s_waitcnt lgkmcnt(0)
	v_mul_f64 v[103:104], v[101:102], v[115:116]
	v_mov_b32_e32 v114, v98
	v_mov_b32_e32 v113, v97
	v_fma_f64 v[103:104], v[99:100], v[97:98], -v[103:104]
	v_mul_f64 v[99:100], v[99:100], v[115:116]
	v_fma_f64 v[99:100], v[101:102], v[97:98], v[99:100]
	s_waitcnt vmcnt(2)
	v_add_f64 v[73:74], v[73:74], -v[103:104]
	s_waitcnt vmcnt(0)
	v_add_f64 v[75:76], v[75:76], -v[99:100]
	buffer_store_dword v73, off, s[20:23], 0 offset:80 ; 4-byte Folded Spill
	s_nop 0
	buffer_store_dword v74, off, s[20:23], 0 offset:84 ; 4-byte Folded Spill
	buffer_store_dword v75, off, s[20:23], 0 offset:88 ; 4-byte Folded Spill
	;; [unrolled: 1-line block ×3, first 2 shown]
	ds_read2_b64 v[99:102], v125 offset0:16 offset1:17
	s_waitcnt lgkmcnt(0)
	v_mul_f64 v[103:104], v[101:102], v[115:116]
	v_fma_f64 v[103:104], v[99:100], v[97:98], -v[103:104]
	v_mul_f64 v[99:100], v[99:100], v[115:116]
	v_add_f64 v[89:90], v[89:90], -v[103:104]
	v_fma_f64 v[99:100], v[101:102], v[97:98], v[99:100]
	v_add_f64 v[91:92], v[91:92], -v[99:100]
	ds_read2_b64 v[99:102], v125 offset0:18 offset1:19
	s_waitcnt lgkmcnt(0)
	v_mul_f64 v[103:104], v[101:102], v[115:116]
	v_fma_f64 v[103:104], v[99:100], v[97:98], -v[103:104]
	v_mul_f64 v[99:100], v[99:100], v[115:116]
	v_add_f64 v[85:86], v[85:86], -v[103:104]
	v_fma_f64 v[99:100], v[101:102], v[97:98], v[99:100]
	v_add_f64 v[87:88], v[87:88], -v[99:100]
	ds_read2_b64 v[99:102], v125 offset0:20 offset1:21
	buffer_load_dword v73, off, s[20:23], 0 offset:64 ; 4-byte Folded Reload
	buffer_load_dword v74, off, s[20:23], 0 offset:68 ; 4-byte Folded Reload
	;; [unrolled: 1-line block ×4, first 2 shown]
	s_waitcnt lgkmcnt(0)
	v_mul_f64 v[103:104], v[101:102], v[115:116]
	v_fma_f64 v[103:104], v[99:100], v[97:98], -v[103:104]
	v_mul_f64 v[99:100], v[99:100], v[115:116]
	v_fma_f64 v[99:100], v[101:102], v[97:98], v[99:100]
	s_waitcnt vmcnt(2)
	v_add_f64 v[73:74], v[73:74], -v[103:104]
	s_waitcnt vmcnt(0)
	v_add_f64 v[75:76], v[75:76], -v[99:100]
	buffer_store_dword v73, off, s[20:23], 0 offset:64 ; 4-byte Folded Spill
	s_nop 0
	buffer_store_dword v74, off, s[20:23], 0 offset:68 ; 4-byte Folded Spill
	buffer_store_dword v75, off, s[20:23], 0 offset:72 ; 4-byte Folded Spill
	;; [unrolled: 1-line block ×3, first 2 shown]
	ds_read2_b64 v[99:102], v125 offset0:22 offset1:23
	s_waitcnt lgkmcnt(0)
	v_mul_f64 v[103:104], v[101:102], v[115:116]
	v_fma_f64 v[103:104], v[99:100], v[97:98], -v[103:104]
	v_mul_f64 v[99:100], v[99:100], v[115:116]
	v_add_f64 v[81:82], v[81:82], -v[103:104]
	v_fma_f64 v[99:100], v[101:102], v[97:98], v[99:100]
	v_add_f64 v[83:84], v[83:84], -v[99:100]
	ds_read2_b64 v[99:102], v125 offset0:24 offset1:25
	buffer_load_dword v73, off, s[20:23], 0 offset:48 ; 4-byte Folded Reload
	buffer_load_dword v74, off, s[20:23], 0 offset:52 ; 4-byte Folded Reload
	;; [unrolled: 1-line block ×4, first 2 shown]
	s_waitcnt lgkmcnt(0)
	v_mul_f64 v[103:104], v[101:102], v[115:116]
	v_fma_f64 v[103:104], v[99:100], v[97:98], -v[103:104]
	v_mul_f64 v[99:100], v[99:100], v[115:116]
	v_fma_f64 v[99:100], v[101:102], v[97:98], v[99:100]
	s_waitcnt vmcnt(2)
	v_add_f64 v[73:74], v[73:74], -v[103:104]
	s_waitcnt vmcnt(0)
	v_add_f64 v[75:76], v[75:76], -v[99:100]
	buffer_store_dword v73, off, s[20:23], 0 offset:48 ; 4-byte Folded Spill
	s_nop 0
	buffer_store_dword v74, off, s[20:23], 0 offset:52 ; 4-byte Folded Spill
	buffer_store_dword v75, off, s[20:23], 0 offset:56 ; 4-byte Folded Spill
	buffer_store_dword v76, off, s[20:23], 0 offset:60 ; 4-byte Folded Spill
	ds_read2_b64 v[99:102], v125 offset0:26 offset1:27
	s_waitcnt lgkmcnt(0)
	v_mul_f64 v[103:104], v[101:102], v[115:116]
	v_fma_f64 v[103:104], v[99:100], v[97:98], -v[103:104]
	v_mul_f64 v[99:100], v[99:100], v[115:116]
	v_add_f64 v[117:118], v[117:118], -v[103:104]
	v_fma_f64 v[99:100], v[101:102], v[97:98], v[99:100]
	v_add_f64 v[119:120], v[119:120], -v[99:100]
	ds_read2_b64 v[99:102], v125 offset0:28 offset1:29
	s_waitcnt lgkmcnt(0)
	v_mul_f64 v[103:104], v[101:102], v[115:116]
	v_fma_f64 v[103:104], v[99:100], v[97:98], -v[103:104]
	v_mul_f64 v[99:100], v[99:100], v[115:116]
	v_add_f64 v[109:110], v[109:110], -v[103:104]
	v_fma_f64 v[99:100], v[101:102], v[97:98], v[99:100]
	v_add_f64 v[111:112], v[111:112], -v[99:100]
	ds_read2_b64 v[99:102], v125 offset0:30 offset1:31
	buffer_load_dword v105, off, s[20:23], 0 offset:32 ; 4-byte Folded Reload
	buffer_load_dword v106, off, s[20:23], 0 offset:36 ; 4-byte Folded Reload
	;; [unrolled: 1-line block ×4, first 2 shown]
	s_waitcnt lgkmcnt(0)
	v_mul_f64 v[103:104], v[101:102], v[115:116]
	v_fma_f64 v[103:104], v[99:100], v[97:98], -v[103:104]
	v_mul_f64 v[99:100], v[99:100], v[115:116]
	v_fma_f64 v[99:100], v[101:102], v[97:98], v[99:100]
	s_waitcnt vmcnt(2)
	v_add_f64 v[105:106], v[105:106], -v[103:104]
	s_waitcnt vmcnt(0)
	v_add_f64 v[107:108], v[107:108], -v[99:100]
	buffer_store_dword v105, off, s[20:23], 0 offset:32 ; 4-byte Folded Spill
	s_nop 0
	buffer_store_dword v106, off, s[20:23], 0 offset:36 ; 4-byte Folded Spill
	buffer_store_dword v107, off, s[20:23], 0 offset:40 ; 4-byte Folded Spill
	;; [unrolled: 1-line block ×3, first 2 shown]
	ds_read2_b64 v[99:102], v125 offset0:32 offset1:33
	s_waitcnt lgkmcnt(0)
	v_mul_f64 v[103:104], v[101:102], v[115:116]
	v_fma_f64 v[103:104], v[99:100], v[97:98], -v[103:104]
	v_mul_f64 v[99:100], v[99:100], v[115:116]
	v_add_f64 v[93:94], v[93:94], -v[103:104]
	v_fma_f64 v[99:100], v[101:102], v[97:98], v[99:100]
	v_add_f64 v[95:96], v[95:96], -v[99:100]
	ds_read2_b64 v[99:102], v125 offset0:34 offset1:35
	buffer_load_dword v77, off, s[20:23], 0 offset:16 ; 4-byte Folded Reload
	buffer_load_dword v78, off, s[20:23], 0 offset:20 ; 4-byte Folded Reload
	;; [unrolled: 1-line block ×4, first 2 shown]
	s_waitcnt lgkmcnt(0)
	v_mul_f64 v[103:104], v[101:102], v[115:116]
	v_fma_f64 v[103:104], v[99:100], v[97:98], -v[103:104]
	v_mul_f64 v[99:100], v[99:100], v[115:116]
	v_fma_f64 v[99:100], v[101:102], v[97:98], v[99:100]
	s_waitcnt vmcnt(2)
	v_add_f64 v[77:78], v[77:78], -v[103:104]
	s_waitcnt vmcnt(0)
	v_add_f64 v[79:80], v[79:80], -v[99:100]
	buffer_store_dword v77, off, s[20:23], 0 offset:16 ; 4-byte Folded Spill
	s_nop 0
	buffer_store_dword v78, off, s[20:23], 0 offset:20 ; 4-byte Folded Spill
	buffer_store_dword v79, off, s[20:23], 0 offset:24 ; 4-byte Folded Spill
	;; [unrolled: 1-line block ×3, first 2 shown]
	ds_read2_b64 v[99:102], v125 offset0:36 offset1:37
	buffer_load_dword v73, off, s[20:23], 0 ; 4-byte Folded Reload
	buffer_load_dword v74, off, s[20:23], 0 offset:4 ; 4-byte Folded Reload
	buffer_load_dword v75, off, s[20:23], 0 offset:8 ; 4-byte Folded Reload
	buffer_load_dword v76, off, s[20:23], 0 offset:12 ; 4-byte Folded Reload
	s_waitcnt lgkmcnt(0)
	v_mul_f64 v[103:104], v[101:102], v[115:116]
	v_fma_f64 v[103:104], v[99:100], v[97:98], -v[103:104]
	v_mul_f64 v[99:100], v[99:100], v[115:116]
	v_fma_f64 v[99:100], v[101:102], v[97:98], v[99:100]
	s_waitcnt vmcnt(2)
	v_add_f64 v[73:74], v[73:74], -v[103:104]
	s_waitcnt vmcnt(0)
	v_add_f64 v[75:76], v[75:76], -v[99:100]
	buffer_store_dword v73, off, s[20:23], 0 ; 4-byte Folded Spill
	s_nop 0
	buffer_store_dword v74, off, s[20:23], 0 offset:4 ; 4-byte Folded Spill
	buffer_store_dword v75, off, s[20:23], 0 offset:8 ; 4-byte Folded Spill
	;; [unrolled: 1-line block ×3, first 2 shown]
	ds_read2_b64 v[99:102], v125 offset0:38 offset1:39
	s_waitcnt lgkmcnt(0)
	v_mul_f64 v[103:104], v[101:102], v[115:116]
	v_fma_f64 v[103:104], v[99:100], v[97:98], -v[103:104]
	v_mul_f64 v[99:100], v[99:100], v[115:116]
	v_add_f64 v[69:70], v[69:70], -v[103:104]
	v_fma_f64 v[99:100], v[101:102], v[97:98], v[99:100]
	v_add_f64 v[71:72], v[71:72], -v[99:100]
	ds_read2_b64 v[99:102], v125 offset0:40 offset1:41
	s_waitcnt lgkmcnt(0)
	v_mul_f64 v[103:104], v[101:102], v[115:116]
	v_fma_f64 v[103:104], v[99:100], v[97:98], -v[103:104]
	v_mul_f64 v[99:100], v[99:100], v[115:116]
	v_add_f64 v[65:66], v[65:66], -v[103:104]
	v_fma_f64 v[99:100], v[101:102], v[97:98], v[99:100]
	v_add_f64 v[67:68], v[67:68], -v[99:100]
	ds_read2_b64 v[99:102], v125 offset0:42 offset1:43
	s_waitcnt lgkmcnt(0)
	v_mul_f64 v[103:104], v[101:102], v[115:116]
	v_fma_f64 v[103:104], v[99:100], v[97:98], -v[103:104]
	v_mul_f64 v[99:100], v[99:100], v[115:116]
	v_add_f64 v[61:62], v[61:62], -v[103:104]
	v_fma_f64 v[99:100], v[101:102], v[97:98], v[99:100]
	v_add_f64 v[63:64], v[63:64], -v[99:100]
	ds_read2_b64 v[99:102], v125 offset0:44 offset1:45
	s_waitcnt lgkmcnt(0)
	v_mul_f64 v[103:104], v[101:102], v[115:116]
	v_fma_f64 v[103:104], v[99:100], v[97:98], -v[103:104]
	v_mul_f64 v[99:100], v[99:100], v[115:116]
	v_add_f64 v[57:58], v[57:58], -v[103:104]
	v_fma_f64 v[99:100], v[101:102], v[97:98], v[99:100]
	v_add_f64 v[59:60], v[59:60], -v[99:100]
	ds_read2_b64 v[99:102], v125 offset0:46 offset1:47
	s_waitcnt lgkmcnt(0)
	v_mul_f64 v[103:104], v[101:102], v[115:116]
	v_fma_f64 v[103:104], v[99:100], v[97:98], -v[103:104]
	v_mul_f64 v[99:100], v[99:100], v[115:116]
	v_add_f64 v[53:54], v[53:54], -v[103:104]
	v_fma_f64 v[99:100], v[101:102], v[97:98], v[99:100]
	v_add_f64 v[55:56], v[55:56], -v[99:100]
	ds_read2_b64 v[99:102], v125 offset0:48 offset1:49
	s_waitcnt lgkmcnt(0)
	v_mul_f64 v[103:104], v[101:102], v[115:116]
	v_fma_f64 v[103:104], v[99:100], v[97:98], -v[103:104]
	v_mul_f64 v[99:100], v[99:100], v[115:116]
	v_add_f64 v[49:50], v[49:50], -v[103:104]
	v_fma_f64 v[99:100], v[101:102], v[97:98], v[99:100]
	v_add_f64 v[51:52], v[51:52], -v[99:100]
	ds_read2_b64 v[99:102], v125 offset0:50 offset1:51
	s_waitcnt lgkmcnt(0)
	v_mul_f64 v[103:104], v[101:102], v[115:116]
	v_fma_f64 v[103:104], v[99:100], v[97:98], -v[103:104]
	v_mul_f64 v[99:100], v[99:100], v[115:116]
	v_add_f64 v[45:46], v[45:46], -v[103:104]
	v_fma_f64 v[99:100], v[101:102], v[97:98], v[99:100]
	v_add_f64 v[47:48], v[47:48], -v[99:100]
	ds_read2_b64 v[99:102], v125 offset0:52 offset1:53
	s_waitcnt lgkmcnt(0)
	v_mul_f64 v[103:104], v[101:102], v[115:116]
	v_fma_f64 v[103:104], v[99:100], v[97:98], -v[103:104]
	v_mul_f64 v[99:100], v[99:100], v[115:116]
	v_add_f64 v[41:42], v[41:42], -v[103:104]
	v_fma_f64 v[99:100], v[101:102], v[97:98], v[99:100]
	v_add_f64 v[43:44], v[43:44], -v[99:100]
	ds_read2_b64 v[99:102], v125 offset0:54 offset1:55
	s_waitcnt lgkmcnt(0)
	v_mul_f64 v[103:104], v[101:102], v[115:116]
	v_fma_f64 v[103:104], v[99:100], v[97:98], -v[103:104]
	v_mul_f64 v[99:100], v[99:100], v[115:116]
	v_add_f64 v[37:38], v[37:38], -v[103:104]
	v_fma_f64 v[99:100], v[101:102], v[97:98], v[99:100]
	v_add_f64 v[39:40], v[39:40], -v[99:100]
	ds_read2_b64 v[99:102], v125 offset0:56 offset1:57
	s_waitcnt lgkmcnt(0)
	v_mul_f64 v[103:104], v[101:102], v[115:116]
	v_fma_f64 v[103:104], v[99:100], v[97:98], -v[103:104]
	v_mul_f64 v[99:100], v[99:100], v[115:116]
	v_add_f64 v[33:34], v[33:34], -v[103:104]
	v_fma_f64 v[99:100], v[101:102], v[97:98], v[99:100]
	v_add_f64 v[35:36], v[35:36], -v[99:100]
	ds_read2_b64 v[99:102], v125 offset0:58 offset1:59
	s_waitcnt lgkmcnt(0)
	v_mul_f64 v[103:104], v[101:102], v[115:116]
	v_fma_f64 v[103:104], v[99:100], v[97:98], -v[103:104]
	v_mul_f64 v[99:100], v[99:100], v[115:116]
	v_add_f64 v[29:30], v[29:30], -v[103:104]
	v_fma_f64 v[99:100], v[101:102], v[97:98], v[99:100]
	v_add_f64 v[31:32], v[31:32], -v[99:100]
	ds_read2_b64 v[99:102], v125 offset0:60 offset1:61
	s_waitcnt lgkmcnt(0)
	v_mul_f64 v[103:104], v[101:102], v[115:116]
	v_fma_f64 v[103:104], v[99:100], v[97:98], -v[103:104]
	v_mul_f64 v[99:100], v[99:100], v[115:116]
	v_add_f64 v[25:26], v[25:26], -v[103:104]
	v_fma_f64 v[99:100], v[101:102], v[97:98], v[99:100]
	v_add_f64 v[27:28], v[27:28], -v[99:100]
	ds_read2_b64 v[99:102], v125 offset0:62 offset1:63
	s_waitcnt lgkmcnt(0)
	v_mul_f64 v[103:104], v[101:102], v[115:116]
	v_fma_f64 v[103:104], v[99:100], v[97:98], -v[103:104]
	v_mul_f64 v[99:100], v[99:100], v[115:116]
	v_add_f64 v[21:22], v[21:22], -v[103:104]
	v_fma_f64 v[99:100], v[101:102], v[97:98], v[99:100]
	v_add_f64 v[23:24], v[23:24], -v[99:100]
	ds_read2_b64 v[99:102], v125 offset0:64 offset1:65
	s_waitcnt lgkmcnt(0)
	v_mul_f64 v[103:104], v[101:102], v[115:116]
	v_fma_f64 v[103:104], v[99:100], v[97:98], -v[103:104]
	v_mul_f64 v[99:100], v[99:100], v[115:116]
	v_add_f64 v[17:18], v[17:18], -v[103:104]
	v_fma_f64 v[99:100], v[101:102], v[97:98], v[99:100]
	v_add_f64 v[19:20], v[19:20], -v[99:100]
	ds_read2_b64 v[99:102], v125 offset0:66 offset1:67
	s_waitcnt lgkmcnt(0)
	v_mul_f64 v[103:104], v[101:102], v[115:116]
	v_fma_f64 v[103:104], v[99:100], v[97:98], -v[103:104]
	v_mul_f64 v[99:100], v[99:100], v[115:116]
	v_add_f64 v[13:14], v[13:14], -v[103:104]
	v_fma_f64 v[99:100], v[101:102], v[97:98], v[99:100]
	v_add_f64 v[15:16], v[15:16], -v[99:100]
	ds_read2_b64 v[99:102], v125 offset0:68 offset1:69
	s_waitcnt lgkmcnt(0)
	v_mul_f64 v[103:104], v[101:102], v[115:116]
	v_fma_f64 v[103:104], v[99:100], v[97:98], -v[103:104]
	v_mul_f64 v[99:100], v[99:100], v[115:116]
	v_add_f64 v[9:10], v[9:10], -v[103:104]
	v_fma_f64 v[99:100], v[101:102], v[97:98], v[99:100]
	v_add_f64 v[11:12], v[11:12], -v[99:100]
	ds_read2_b64 v[99:102], v125 offset0:70 offset1:71
	s_waitcnt lgkmcnt(0)
	v_mul_f64 v[103:104], v[101:102], v[115:116]
	v_fma_f64 v[103:104], v[99:100], v[97:98], -v[103:104]
	v_mul_f64 v[99:100], v[99:100], v[115:116]
	v_add_f64 v[5:6], v[5:6], -v[103:104]
	v_fma_f64 v[99:100], v[101:102], v[97:98], v[99:100]
	v_add_f64 v[7:8], v[7:8], -v[99:100]
	ds_read2_b64 v[99:102], v125 offset0:72 offset1:73
	s_waitcnt lgkmcnt(0)
	v_mul_f64 v[103:104], v[101:102], v[115:116]
	v_fma_f64 v[103:104], v[99:100], v[97:98], -v[103:104]
	v_mul_f64 v[99:100], v[99:100], v[115:116]
	v_add_f64 v[1:2], v[1:2], -v[103:104]
	v_fma_f64 v[99:100], v[101:102], v[97:98], v[99:100]
	v_add_f64 v[3:4], v[3:4], -v[99:100]
	ds_read2_b64 v[99:102], v125 offset0:74 offset1:75
	s_waitcnt lgkmcnt(0)
	v_mul_f64 v[103:104], v[101:102], v[115:116]
	v_fma_f64 v[103:104], v[99:100], v[97:98], -v[103:104]
	v_mul_f64 v[99:100], v[99:100], v[115:116]
	buffer_store_dword v113, off, s[20:23], 0 offset:96 ; 4-byte Folded Spill
	s_nop 0
	buffer_store_dword v114, off, s[20:23], 0 offset:100 ; 4-byte Folded Spill
	buffer_store_dword v115, off, s[20:23], 0 offset:104 ; 4-byte Folded Spill
	buffer_store_dword v116, off, s[20:23], 0 offset:108 ; 4-byte Folded Spill
	v_add_f64 v[121:122], v[121:122], -v[103:104]
	v_fma_f64 v[99:100], v[101:102], v[97:98], v[99:100]
	v_add_f64 v[123:124], v[123:124], -v[99:100]
	v_mov_b32_e32 v113, v121
	v_mov_b32_e32 v114, v122
	;; [unrolled: 1-line block ×4, first 2 shown]
.LBB75_64:
	s_or_b64 exec, exec, s[2:3]
	v_cmp_eq_u32_e32 vcc, 7, v0
	s_waitcnt vmcnt(0)
	s_barrier
	s_and_saveexec_b64 s[4:5], vcc
	s_cbranch_execz .LBB75_71
; %bb.65:
	buffer_load_dword v73, off, s[20:23], 0 offset:80 ; 4-byte Folded Reload
	buffer_load_dword v74, off, s[20:23], 0 offset:84 ; 4-byte Folded Reload
	;; [unrolled: 1-line block ×4, first 2 shown]
	s_waitcnt vmcnt(0)
	ds_write2_b64 v127, v[73:74], v[75:76] offset1:1
	ds_write2_b64 v125, v[89:90], v[91:92] offset0:16 offset1:17
	ds_write2_b64 v125, v[85:86], v[87:88] offset0:18 offset1:19
	buffer_load_dword v73, off, s[20:23], 0 offset:64 ; 4-byte Folded Reload
	buffer_load_dword v74, off, s[20:23], 0 offset:68 ; 4-byte Folded Reload
	;; [unrolled: 1-line block ×4, first 2 shown]
	s_waitcnt vmcnt(0)
	ds_write2_b64 v125, v[73:74], v[75:76] offset0:20 offset1:21
	ds_write2_b64 v125, v[81:82], v[83:84] offset0:22 offset1:23
	buffer_load_dword v73, off, s[20:23], 0 offset:48 ; 4-byte Folded Reload
	buffer_load_dword v74, off, s[20:23], 0 offset:52 ; 4-byte Folded Reload
	;; [unrolled: 1-line block ×4, first 2 shown]
	s_waitcnt vmcnt(0)
	ds_write2_b64 v125, v[73:74], v[75:76] offset0:24 offset1:25
	ds_write2_b64 v125, v[117:118], v[119:120] offset0:26 offset1:27
	;; [unrolled: 1-line block ×3, first 2 shown]
	buffer_load_dword v97, off, s[20:23], 0 offset:32 ; 4-byte Folded Reload
	buffer_load_dword v98, off, s[20:23], 0 offset:36 ; 4-byte Folded Reload
	;; [unrolled: 1-line block ×4, first 2 shown]
	s_waitcnt vmcnt(0)
	ds_write2_b64 v125, v[97:98], v[99:100] offset0:30 offset1:31
	ds_write2_b64 v125, v[93:94], v[95:96] offset0:32 offset1:33
	buffer_load_dword v77, off, s[20:23], 0 offset:16 ; 4-byte Folded Reload
	buffer_load_dword v78, off, s[20:23], 0 offset:20 ; 4-byte Folded Reload
	;; [unrolled: 1-line block ×4, first 2 shown]
	s_waitcnt vmcnt(0)
	ds_write2_b64 v125, v[77:78], v[79:80] offset0:34 offset1:35
	buffer_load_dword v73, off, s[20:23], 0 ; 4-byte Folded Reload
	buffer_load_dword v74, off, s[20:23], 0 offset:4 ; 4-byte Folded Reload
	buffer_load_dword v75, off, s[20:23], 0 offset:8 ; 4-byte Folded Reload
	;; [unrolled: 1-line block ×3, first 2 shown]
	s_waitcnt vmcnt(0)
	ds_write2_b64 v125, v[73:74], v[75:76] offset0:36 offset1:37
	ds_write2_b64 v125, v[69:70], v[71:72] offset0:38 offset1:39
	;; [unrolled: 1-line block ×20, first 2 shown]
	ds_read2_b64 v[97:100], v127 offset1:1
	s_waitcnt lgkmcnt(0)
	v_cmp_neq_f64_e32 vcc, 0, v[97:98]
	v_cmp_neq_f64_e64 s[2:3], 0, v[99:100]
	s_or_b64 s[2:3], vcc, s[2:3]
	s_and_b64 exec, exec, s[2:3]
	s_cbranch_execz .LBB75_71
; %bb.66:
	v_cmp_ngt_f64_e64 s[2:3], |v[97:98]|, |v[99:100]|
                                        ; implicit-def: $vgpr101_vgpr102
	s_and_saveexec_b64 s[6:7], s[2:3]
	s_xor_b64 s[2:3], exec, s[6:7]
                                        ; implicit-def: $vgpr103_vgpr104
	s_cbranch_execz .LBB75_68
; %bb.67:
	v_div_scale_f64 v[101:102], s[6:7], v[99:100], v[99:100], v[97:98]
	v_rcp_f64_e32 v[103:104], v[101:102]
	v_fma_f64 v[105:106], -v[101:102], v[103:104], 1.0
	v_fma_f64 v[103:104], v[103:104], v[105:106], v[103:104]
	v_div_scale_f64 v[105:106], vcc, v[97:98], v[99:100], v[97:98]
	v_fma_f64 v[107:108], -v[101:102], v[103:104], 1.0
	v_fma_f64 v[103:104], v[103:104], v[107:108], v[103:104]
	v_mul_f64 v[107:108], v[105:106], v[103:104]
	v_fma_f64 v[101:102], -v[101:102], v[107:108], v[105:106]
	v_div_fmas_f64 v[101:102], v[101:102], v[103:104], v[107:108]
	v_div_fixup_f64 v[101:102], v[101:102], v[99:100], v[97:98]
	v_fma_f64 v[97:98], v[97:98], v[101:102], v[99:100]
	v_div_scale_f64 v[99:100], s[6:7], v[97:98], v[97:98], 1.0
	v_div_scale_f64 v[107:108], vcc, 1.0, v[97:98], 1.0
	v_rcp_f64_e32 v[103:104], v[99:100]
	v_fma_f64 v[105:106], -v[99:100], v[103:104], 1.0
	v_fma_f64 v[103:104], v[103:104], v[105:106], v[103:104]
	v_fma_f64 v[105:106], -v[99:100], v[103:104], 1.0
	v_fma_f64 v[103:104], v[103:104], v[105:106], v[103:104]
	v_mul_f64 v[105:106], v[107:108], v[103:104]
	v_fma_f64 v[99:100], -v[99:100], v[105:106], v[107:108]
	v_div_fmas_f64 v[99:100], v[99:100], v[103:104], v[105:106]
	v_div_fixup_f64 v[103:104], v[99:100], v[97:98], 1.0
                                        ; implicit-def: $vgpr97_vgpr98
	v_mul_f64 v[101:102], v[101:102], v[103:104]
	v_xor_b32_e32 v104, 0x80000000, v104
.LBB75_68:
	s_andn2_saveexec_b64 s[2:3], s[2:3]
	s_cbranch_execz .LBB75_70
; %bb.69:
	v_div_scale_f64 v[101:102], s[6:7], v[97:98], v[97:98], v[99:100]
	v_rcp_f64_e32 v[103:104], v[101:102]
	v_fma_f64 v[105:106], -v[101:102], v[103:104], 1.0
	v_fma_f64 v[103:104], v[103:104], v[105:106], v[103:104]
	v_div_scale_f64 v[105:106], vcc, v[99:100], v[97:98], v[99:100]
	v_fma_f64 v[107:108], -v[101:102], v[103:104], 1.0
	v_fma_f64 v[103:104], v[103:104], v[107:108], v[103:104]
	v_mul_f64 v[107:108], v[105:106], v[103:104]
	v_fma_f64 v[101:102], -v[101:102], v[107:108], v[105:106]
	v_div_fmas_f64 v[101:102], v[101:102], v[103:104], v[107:108]
	v_div_fixup_f64 v[103:104], v[101:102], v[97:98], v[99:100]
	v_fma_f64 v[97:98], v[99:100], v[103:104], v[97:98]
	v_div_scale_f64 v[99:100], s[6:7], v[97:98], v[97:98], 1.0
	v_div_scale_f64 v[107:108], vcc, 1.0, v[97:98], 1.0
	v_rcp_f64_e32 v[101:102], v[99:100]
	v_fma_f64 v[105:106], -v[99:100], v[101:102], 1.0
	v_fma_f64 v[101:102], v[101:102], v[105:106], v[101:102]
	v_fma_f64 v[105:106], -v[99:100], v[101:102], 1.0
	v_fma_f64 v[101:102], v[101:102], v[105:106], v[101:102]
	v_mul_f64 v[105:106], v[107:108], v[101:102]
	v_fma_f64 v[99:100], -v[99:100], v[105:106], v[107:108]
	v_div_fmas_f64 v[99:100], v[99:100], v[101:102], v[105:106]
	v_div_fixup_f64 v[101:102], v[99:100], v[97:98], 1.0
	v_mul_f64 v[103:104], v[103:104], -v[101:102]
.LBB75_70:
	s_or_b64 exec, exec, s[2:3]
	ds_write2_b64 v127, v[101:102], v[103:104] offset1:1
.LBB75_71:
	s_or_b64 exec, exec, s[4:5]
	s_waitcnt lgkmcnt(0)
	s_barrier
	ds_read2_b64 v[73:76], v127 offset1:1
	v_cmp_lt_u32_e32 vcc, 7, v0
	s_waitcnt lgkmcnt(0)
	buffer_store_dword v73, off, s[20:23], 0 offset:672 ; 4-byte Folded Spill
	s_nop 0
	buffer_store_dword v74, off, s[20:23], 0 offset:676 ; 4-byte Folded Spill
	buffer_store_dword v75, off, s[20:23], 0 offset:680 ; 4-byte Folded Spill
	;; [unrolled: 1-line block ×3, first 2 shown]
	s_and_saveexec_b64 s[2:3], vcc
	s_cbranch_execz .LBB75_73
; %bb.72:
	v_mov_b32_e32 v124, v116
	v_mov_b32_e32 v123, v115
	;; [unrolled: 1-line block ×4, first 2 shown]
	buffer_load_dword v113, off, s[20:23], 0 offset:80 ; 4-byte Folded Reload
	buffer_load_dword v114, off, s[20:23], 0 offset:84 ; 4-byte Folded Reload
	;; [unrolled: 1-line block ×8, first 2 shown]
	s_waitcnt vmcnt(2)
	v_mul_f64 v[99:100], v[73:74], v[115:116]
	s_waitcnt vmcnt(0)
	v_mul_f64 v[97:98], v[75:76], v[115:116]
	v_fma_f64 v[115:116], v[75:76], v[113:114], v[99:100]
	ds_read2_b64 v[99:102], v125 offset0:16 offset1:17
	v_fma_f64 v[97:98], v[73:74], v[113:114], -v[97:98]
	s_waitcnt lgkmcnt(0)
	v_mul_f64 v[103:104], v[101:102], v[115:116]
	v_mov_b32_e32 v114, v98
	v_mov_b32_e32 v113, v97
	v_fma_f64 v[103:104], v[99:100], v[97:98], -v[103:104]
	v_mul_f64 v[99:100], v[99:100], v[115:116]
	v_add_f64 v[89:90], v[89:90], -v[103:104]
	v_fma_f64 v[99:100], v[101:102], v[97:98], v[99:100]
	v_add_f64 v[91:92], v[91:92], -v[99:100]
	ds_read2_b64 v[99:102], v125 offset0:18 offset1:19
	s_waitcnt lgkmcnt(0)
	v_mul_f64 v[103:104], v[101:102], v[115:116]
	v_fma_f64 v[103:104], v[99:100], v[97:98], -v[103:104]
	v_mul_f64 v[99:100], v[99:100], v[115:116]
	v_add_f64 v[85:86], v[85:86], -v[103:104]
	v_fma_f64 v[99:100], v[101:102], v[97:98], v[99:100]
	v_add_f64 v[87:88], v[87:88], -v[99:100]
	ds_read2_b64 v[99:102], v125 offset0:20 offset1:21
	buffer_load_dword v73, off, s[20:23], 0 offset:64 ; 4-byte Folded Reload
	buffer_load_dword v74, off, s[20:23], 0 offset:68 ; 4-byte Folded Reload
	buffer_load_dword v75, off, s[20:23], 0 offset:72 ; 4-byte Folded Reload
	buffer_load_dword v76, off, s[20:23], 0 offset:76 ; 4-byte Folded Reload
	s_waitcnt lgkmcnt(0)
	v_mul_f64 v[103:104], v[101:102], v[115:116]
	v_fma_f64 v[103:104], v[99:100], v[97:98], -v[103:104]
	v_mul_f64 v[99:100], v[99:100], v[115:116]
	v_fma_f64 v[99:100], v[101:102], v[97:98], v[99:100]
	s_waitcnt vmcnt(2)
	v_add_f64 v[73:74], v[73:74], -v[103:104]
	s_waitcnt vmcnt(0)
	v_add_f64 v[75:76], v[75:76], -v[99:100]
	buffer_store_dword v73, off, s[20:23], 0 offset:64 ; 4-byte Folded Spill
	s_nop 0
	buffer_store_dword v74, off, s[20:23], 0 offset:68 ; 4-byte Folded Spill
	buffer_store_dword v75, off, s[20:23], 0 offset:72 ; 4-byte Folded Spill
	;; [unrolled: 1-line block ×3, first 2 shown]
	ds_read2_b64 v[99:102], v125 offset0:22 offset1:23
	s_waitcnt lgkmcnt(0)
	v_mul_f64 v[103:104], v[101:102], v[115:116]
	v_fma_f64 v[103:104], v[99:100], v[97:98], -v[103:104]
	v_mul_f64 v[99:100], v[99:100], v[115:116]
	v_add_f64 v[81:82], v[81:82], -v[103:104]
	v_fma_f64 v[99:100], v[101:102], v[97:98], v[99:100]
	v_add_f64 v[83:84], v[83:84], -v[99:100]
	ds_read2_b64 v[99:102], v125 offset0:24 offset1:25
	buffer_load_dword v73, off, s[20:23], 0 offset:48 ; 4-byte Folded Reload
	buffer_load_dword v74, off, s[20:23], 0 offset:52 ; 4-byte Folded Reload
	;; [unrolled: 1-line block ×4, first 2 shown]
	s_waitcnt lgkmcnt(0)
	v_mul_f64 v[103:104], v[101:102], v[115:116]
	v_fma_f64 v[103:104], v[99:100], v[97:98], -v[103:104]
	v_mul_f64 v[99:100], v[99:100], v[115:116]
	v_fma_f64 v[99:100], v[101:102], v[97:98], v[99:100]
	s_waitcnt vmcnt(2)
	v_add_f64 v[73:74], v[73:74], -v[103:104]
	s_waitcnt vmcnt(0)
	v_add_f64 v[75:76], v[75:76], -v[99:100]
	buffer_store_dword v73, off, s[20:23], 0 offset:48 ; 4-byte Folded Spill
	s_nop 0
	buffer_store_dword v74, off, s[20:23], 0 offset:52 ; 4-byte Folded Spill
	buffer_store_dword v75, off, s[20:23], 0 offset:56 ; 4-byte Folded Spill
	buffer_store_dword v76, off, s[20:23], 0 offset:60 ; 4-byte Folded Spill
	ds_read2_b64 v[99:102], v125 offset0:26 offset1:27
	s_waitcnt lgkmcnt(0)
	v_mul_f64 v[103:104], v[101:102], v[115:116]
	v_fma_f64 v[103:104], v[99:100], v[97:98], -v[103:104]
	v_mul_f64 v[99:100], v[99:100], v[115:116]
	v_add_f64 v[117:118], v[117:118], -v[103:104]
	v_fma_f64 v[99:100], v[101:102], v[97:98], v[99:100]
	v_add_f64 v[119:120], v[119:120], -v[99:100]
	ds_read2_b64 v[99:102], v125 offset0:28 offset1:29
	s_waitcnt lgkmcnt(0)
	v_mul_f64 v[103:104], v[101:102], v[115:116]
	v_fma_f64 v[103:104], v[99:100], v[97:98], -v[103:104]
	v_mul_f64 v[99:100], v[99:100], v[115:116]
	v_add_f64 v[109:110], v[109:110], -v[103:104]
	v_fma_f64 v[99:100], v[101:102], v[97:98], v[99:100]
	v_add_f64 v[111:112], v[111:112], -v[99:100]
	ds_read2_b64 v[99:102], v125 offset0:30 offset1:31
	buffer_load_dword v105, off, s[20:23], 0 offset:32 ; 4-byte Folded Reload
	buffer_load_dword v106, off, s[20:23], 0 offset:36 ; 4-byte Folded Reload
	;; [unrolled: 1-line block ×4, first 2 shown]
	s_waitcnt lgkmcnt(0)
	v_mul_f64 v[103:104], v[101:102], v[115:116]
	v_fma_f64 v[103:104], v[99:100], v[97:98], -v[103:104]
	v_mul_f64 v[99:100], v[99:100], v[115:116]
	v_fma_f64 v[99:100], v[101:102], v[97:98], v[99:100]
	s_waitcnt vmcnt(2)
	v_add_f64 v[105:106], v[105:106], -v[103:104]
	s_waitcnt vmcnt(0)
	v_add_f64 v[107:108], v[107:108], -v[99:100]
	buffer_store_dword v105, off, s[20:23], 0 offset:32 ; 4-byte Folded Spill
	s_nop 0
	buffer_store_dword v106, off, s[20:23], 0 offset:36 ; 4-byte Folded Spill
	buffer_store_dword v107, off, s[20:23], 0 offset:40 ; 4-byte Folded Spill
	;; [unrolled: 1-line block ×3, first 2 shown]
	ds_read2_b64 v[99:102], v125 offset0:32 offset1:33
	s_waitcnt lgkmcnt(0)
	v_mul_f64 v[103:104], v[101:102], v[115:116]
	v_fma_f64 v[103:104], v[99:100], v[97:98], -v[103:104]
	v_mul_f64 v[99:100], v[99:100], v[115:116]
	v_add_f64 v[93:94], v[93:94], -v[103:104]
	v_fma_f64 v[99:100], v[101:102], v[97:98], v[99:100]
	v_add_f64 v[95:96], v[95:96], -v[99:100]
	ds_read2_b64 v[99:102], v125 offset0:34 offset1:35
	buffer_load_dword v77, off, s[20:23], 0 offset:16 ; 4-byte Folded Reload
	buffer_load_dword v78, off, s[20:23], 0 offset:20 ; 4-byte Folded Reload
	buffer_load_dword v79, off, s[20:23], 0 offset:24 ; 4-byte Folded Reload
	buffer_load_dword v80, off, s[20:23], 0 offset:28 ; 4-byte Folded Reload
	s_waitcnt lgkmcnt(0)
	v_mul_f64 v[103:104], v[101:102], v[115:116]
	v_fma_f64 v[103:104], v[99:100], v[97:98], -v[103:104]
	v_mul_f64 v[99:100], v[99:100], v[115:116]
	v_fma_f64 v[99:100], v[101:102], v[97:98], v[99:100]
	s_waitcnt vmcnt(2)
	v_add_f64 v[77:78], v[77:78], -v[103:104]
	s_waitcnt vmcnt(0)
	v_add_f64 v[79:80], v[79:80], -v[99:100]
	buffer_store_dword v77, off, s[20:23], 0 offset:16 ; 4-byte Folded Spill
	s_nop 0
	buffer_store_dword v78, off, s[20:23], 0 offset:20 ; 4-byte Folded Spill
	buffer_store_dword v79, off, s[20:23], 0 offset:24 ; 4-byte Folded Spill
	;; [unrolled: 1-line block ×3, first 2 shown]
	ds_read2_b64 v[99:102], v125 offset0:36 offset1:37
	buffer_load_dword v73, off, s[20:23], 0 ; 4-byte Folded Reload
	buffer_load_dword v74, off, s[20:23], 0 offset:4 ; 4-byte Folded Reload
	buffer_load_dword v75, off, s[20:23], 0 offset:8 ; 4-byte Folded Reload
	buffer_load_dword v76, off, s[20:23], 0 offset:12 ; 4-byte Folded Reload
	s_waitcnt lgkmcnt(0)
	v_mul_f64 v[103:104], v[101:102], v[115:116]
	v_fma_f64 v[103:104], v[99:100], v[97:98], -v[103:104]
	v_mul_f64 v[99:100], v[99:100], v[115:116]
	v_fma_f64 v[99:100], v[101:102], v[97:98], v[99:100]
	s_waitcnt vmcnt(2)
	v_add_f64 v[73:74], v[73:74], -v[103:104]
	s_waitcnt vmcnt(0)
	v_add_f64 v[75:76], v[75:76], -v[99:100]
	buffer_store_dword v73, off, s[20:23], 0 ; 4-byte Folded Spill
	s_nop 0
	buffer_store_dword v74, off, s[20:23], 0 offset:4 ; 4-byte Folded Spill
	buffer_store_dword v75, off, s[20:23], 0 offset:8 ; 4-byte Folded Spill
	;; [unrolled: 1-line block ×3, first 2 shown]
	ds_read2_b64 v[99:102], v125 offset0:38 offset1:39
	s_waitcnt lgkmcnt(0)
	v_mul_f64 v[103:104], v[101:102], v[115:116]
	v_fma_f64 v[103:104], v[99:100], v[97:98], -v[103:104]
	v_mul_f64 v[99:100], v[99:100], v[115:116]
	v_add_f64 v[69:70], v[69:70], -v[103:104]
	v_fma_f64 v[99:100], v[101:102], v[97:98], v[99:100]
	v_add_f64 v[71:72], v[71:72], -v[99:100]
	ds_read2_b64 v[99:102], v125 offset0:40 offset1:41
	s_waitcnt lgkmcnt(0)
	v_mul_f64 v[103:104], v[101:102], v[115:116]
	v_fma_f64 v[103:104], v[99:100], v[97:98], -v[103:104]
	v_mul_f64 v[99:100], v[99:100], v[115:116]
	v_add_f64 v[65:66], v[65:66], -v[103:104]
	v_fma_f64 v[99:100], v[101:102], v[97:98], v[99:100]
	v_add_f64 v[67:68], v[67:68], -v[99:100]
	;; [unrolled: 8-line block ×18, first 2 shown]
	ds_read2_b64 v[99:102], v125 offset0:74 offset1:75
	s_waitcnt lgkmcnt(0)
	v_mul_f64 v[103:104], v[101:102], v[115:116]
	v_fma_f64 v[103:104], v[99:100], v[97:98], -v[103:104]
	v_mul_f64 v[99:100], v[99:100], v[115:116]
	buffer_store_dword v113, off, s[20:23], 0 offset:80 ; 4-byte Folded Spill
	s_nop 0
	buffer_store_dword v114, off, s[20:23], 0 offset:84 ; 4-byte Folded Spill
	buffer_store_dword v115, off, s[20:23], 0 offset:88 ; 4-byte Folded Spill
	;; [unrolled: 1-line block ×3, first 2 shown]
	v_add_f64 v[121:122], v[121:122], -v[103:104]
	v_fma_f64 v[99:100], v[101:102], v[97:98], v[99:100]
	v_add_f64 v[123:124], v[123:124], -v[99:100]
	v_mov_b32_e32 v113, v121
	v_mov_b32_e32 v114, v122
	;; [unrolled: 1-line block ×4, first 2 shown]
.LBB75_73:
	s_or_b64 exec, exec, s[2:3]
	v_cmp_eq_u32_e32 vcc, 8, v0
	s_waitcnt vmcnt(0)
	s_barrier
	s_and_saveexec_b64 s[4:5], vcc
	s_cbranch_execz .LBB75_80
; %bb.74:
	ds_write2_b64 v127, v[89:90], v[91:92] offset1:1
	ds_write2_b64 v125, v[85:86], v[87:88] offset0:18 offset1:19
	buffer_load_dword v73, off, s[20:23], 0 offset:64 ; 4-byte Folded Reload
	buffer_load_dword v74, off, s[20:23], 0 offset:68 ; 4-byte Folded Reload
	;; [unrolled: 1-line block ×4, first 2 shown]
	s_waitcnt vmcnt(0)
	ds_write2_b64 v125, v[73:74], v[75:76] offset0:20 offset1:21
	ds_write2_b64 v125, v[81:82], v[83:84] offset0:22 offset1:23
	buffer_load_dword v73, off, s[20:23], 0 offset:48 ; 4-byte Folded Reload
	buffer_load_dword v74, off, s[20:23], 0 offset:52 ; 4-byte Folded Reload
	;; [unrolled: 1-line block ×4, first 2 shown]
	s_waitcnt vmcnt(0)
	ds_write2_b64 v125, v[73:74], v[75:76] offset0:24 offset1:25
	ds_write2_b64 v125, v[117:118], v[119:120] offset0:26 offset1:27
	;; [unrolled: 1-line block ×3, first 2 shown]
	buffer_load_dword v97, off, s[20:23], 0 offset:32 ; 4-byte Folded Reload
	buffer_load_dword v98, off, s[20:23], 0 offset:36 ; 4-byte Folded Reload
	;; [unrolled: 1-line block ×4, first 2 shown]
	s_waitcnt vmcnt(0)
	ds_write2_b64 v125, v[97:98], v[99:100] offset0:30 offset1:31
	ds_write2_b64 v125, v[93:94], v[95:96] offset0:32 offset1:33
	buffer_load_dword v77, off, s[20:23], 0 offset:16 ; 4-byte Folded Reload
	buffer_load_dword v78, off, s[20:23], 0 offset:20 ; 4-byte Folded Reload
	;; [unrolled: 1-line block ×4, first 2 shown]
	s_waitcnt vmcnt(0)
	ds_write2_b64 v125, v[77:78], v[79:80] offset0:34 offset1:35
	buffer_load_dword v73, off, s[20:23], 0 ; 4-byte Folded Reload
	buffer_load_dword v74, off, s[20:23], 0 offset:4 ; 4-byte Folded Reload
	buffer_load_dword v75, off, s[20:23], 0 offset:8 ; 4-byte Folded Reload
	;; [unrolled: 1-line block ×3, first 2 shown]
	s_waitcnt vmcnt(0)
	ds_write2_b64 v125, v[73:74], v[75:76] offset0:36 offset1:37
	ds_write2_b64 v125, v[69:70], v[71:72] offset0:38 offset1:39
	;; [unrolled: 1-line block ×20, first 2 shown]
	ds_read2_b64 v[97:100], v127 offset1:1
	s_waitcnt lgkmcnt(0)
	v_cmp_neq_f64_e32 vcc, 0, v[97:98]
	v_cmp_neq_f64_e64 s[2:3], 0, v[99:100]
	s_or_b64 s[2:3], vcc, s[2:3]
	s_and_b64 exec, exec, s[2:3]
	s_cbranch_execz .LBB75_80
; %bb.75:
	v_cmp_ngt_f64_e64 s[2:3], |v[97:98]|, |v[99:100]|
                                        ; implicit-def: $vgpr101_vgpr102
	s_and_saveexec_b64 s[6:7], s[2:3]
	s_xor_b64 s[2:3], exec, s[6:7]
                                        ; implicit-def: $vgpr103_vgpr104
	s_cbranch_execz .LBB75_77
; %bb.76:
	v_div_scale_f64 v[101:102], s[6:7], v[99:100], v[99:100], v[97:98]
	v_rcp_f64_e32 v[103:104], v[101:102]
	v_fma_f64 v[105:106], -v[101:102], v[103:104], 1.0
	v_fma_f64 v[103:104], v[103:104], v[105:106], v[103:104]
	v_div_scale_f64 v[105:106], vcc, v[97:98], v[99:100], v[97:98]
	v_fma_f64 v[107:108], -v[101:102], v[103:104], 1.0
	v_fma_f64 v[103:104], v[103:104], v[107:108], v[103:104]
	v_mul_f64 v[107:108], v[105:106], v[103:104]
	v_fma_f64 v[101:102], -v[101:102], v[107:108], v[105:106]
	v_div_fmas_f64 v[101:102], v[101:102], v[103:104], v[107:108]
	v_div_fixup_f64 v[101:102], v[101:102], v[99:100], v[97:98]
	v_fma_f64 v[97:98], v[97:98], v[101:102], v[99:100]
	v_div_scale_f64 v[99:100], s[6:7], v[97:98], v[97:98], 1.0
	v_div_scale_f64 v[107:108], vcc, 1.0, v[97:98], 1.0
	v_rcp_f64_e32 v[103:104], v[99:100]
	v_fma_f64 v[105:106], -v[99:100], v[103:104], 1.0
	v_fma_f64 v[103:104], v[103:104], v[105:106], v[103:104]
	v_fma_f64 v[105:106], -v[99:100], v[103:104], 1.0
	v_fma_f64 v[103:104], v[103:104], v[105:106], v[103:104]
	v_mul_f64 v[105:106], v[107:108], v[103:104]
	v_fma_f64 v[99:100], -v[99:100], v[105:106], v[107:108]
	v_div_fmas_f64 v[99:100], v[99:100], v[103:104], v[105:106]
	v_div_fixup_f64 v[103:104], v[99:100], v[97:98], 1.0
                                        ; implicit-def: $vgpr97_vgpr98
	v_mul_f64 v[101:102], v[101:102], v[103:104]
	v_xor_b32_e32 v104, 0x80000000, v104
.LBB75_77:
	s_andn2_saveexec_b64 s[2:3], s[2:3]
	s_cbranch_execz .LBB75_79
; %bb.78:
	v_div_scale_f64 v[101:102], s[6:7], v[97:98], v[97:98], v[99:100]
	v_rcp_f64_e32 v[103:104], v[101:102]
	v_fma_f64 v[105:106], -v[101:102], v[103:104], 1.0
	v_fma_f64 v[103:104], v[103:104], v[105:106], v[103:104]
	v_div_scale_f64 v[105:106], vcc, v[99:100], v[97:98], v[99:100]
	v_fma_f64 v[107:108], -v[101:102], v[103:104], 1.0
	v_fma_f64 v[103:104], v[103:104], v[107:108], v[103:104]
	v_mul_f64 v[107:108], v[105:106], v[103:104]
	v_fma_f64 v[101:102], -v[101:102], v[107:108], v[105:106]
	v_div_fmas_f64 v[101:102], v[101:102], v[103:104], v[107:108]
	v_div_fixup_f64 v[103:104], v[101:102], v[97:98], v[99:100]
	v_fma_f64 v[97:98], v[99:100], v[103:104], v[97:98]
	v_div_scale_f64 v[99:100], s[6:7], v[97:98], v[97:98], 1.0
	v_div_scale_f64 v[107:108], vcc, 1.0, v[97:98], 1.0
	v_rcp_f64_e32 v[101:102], v[99:100]
	v_fma_f64 v[105:106], -v[99:100], v[101:102], 1.0
	v_fma_f64 v[101:102], v[101:102], v[105:106], v[101:102]
	v_fma_f64 v[105:106], -v[99:100], v[101:102], 1.0
	v_fma_f64 v[101:102], v[101:102], v[105:106], v[101:102]
	v_mul_f64 v[105:106], v[107:108], v[101:102]
	v_fma_f64 v[99:100], -v[99:100], v[105:106], v[107:108]
	v_div_fmas_f64 v[99:100], v[99:100], v[101:102], v[105:106]
	v_div_fixup_f64 v[101:102], v[99:100], v[97:98], 1.0
	v_mul_f64 v[103:104], v[103:104], -v[101:102]
.LBB75_79:
	s_or_b64 exec, exec, s[2:3]
	ds_write2_b64 v127, v[101:102], v[103:104] offset1:1
.LBB75_80:
	s_or_b64 exec, exec, s[4:5]
	s_waitcnt lgkmcnt(0)
	s_barrier
	ds_read2_b64 v[73:76], v127 offset1:1
	v_cmp_lt_u32_e32 vcc, 8, v0
	s_waitcnt lgkmcnt(0)
	buffer_store_dword v73, off, s[20:23], 0 offset:688 ; 4-byte Folded Spill
	s_nop 0
	buffer_store_dword v74, off, s[20:23], 0 offset:692 ; 4-byte Folded Spill
	buffer_store_dword v75, off, s[20:23], 0 offset:696 ; 4-byte Folded Spill
	;; [unrolled: 1-line block ×3, first 2 shown]
	s_and_saveexec_b64 s[2:3], vcc
	s_cbranch_execz .LBB75_82
; %bb.81:
	buffer_load_dword v73, off, s[20:23], 0 offset:688 ; 4-byte Folded Reload
	buffer_load_dword v74, off, s[20:23], 0 offset:692 ; 4-byte Folded Reload
	;; [unrolled: 1-line block ×4, first 2 shown]
	s_waitcnt vmcnt(2)
	v_mul_f64 v[99:100], v[73:74], v[91:92]
	s_waitcnt vmcnt(0)
	v_mul_f64 v[97:98], v[75:76], v[91:92]
	v_fma_f64 v[91:92], v[75:76], v[89:90], v[99:100]
	ds_read2_b64 v[99:102], v125 offset0:18 offset1:19
	v_fma_f64 v[97:98], v[73:74], v[89:90], -v[97:98]
	s_waitcnt lgkmcnt(0)
	v_mul_f64 v[103:104], v[101:102], v[91:92]
	v_mov_b32_e32 v89, v97
	v_mov_b32_e32 v90, v98
	v_fma_f64 v[103:104], v[99:100], v[97:98], -v[103:104]
	v_mul_f64 v[99:100], v[99:100], v[91:92]
	v_add_f64 v[85:86], v[85:86], -v[103:104]
	v_fma_f64 v[99:100], v[101:102], v[97:98], v[99:100]
	v_add_f64 v[87:88], v[87:88], -v[99:100]
	ds_read2_b64 v[99:102], v125 offset0:20 offset1:21
	buffer_load_dword v73, off, s[20:23], 0 offset:64 ; 4-byte Folded Reload
	buffer_load_dword v74, off, s[20:23], 0 offset:68 ; 4-byte Folded Reload
	;; [unrolled: 1-line block ×4, first 2 shown]
	s_waitcnt lgkmcnt(0)
	v_mul_f64 v[103:104], v[101:102], v[91:92]
	v_fma_f64 v[103:104], v[99:100], v[97:98], -v[103:104]
	v_mul_f64 v[99:100], v[99:100], v[91:92]
	v_fma_f64 v[99:100], v[101:102], v[97:98], v[99:100]
	s_waitcnt vmcnt(2)
	v_add_f64 v[73:74], v[73:74], -v[103:104]
	s_waitcnt vmcnt(0)
	v_add_f64 v[75:76], v[75:76], -v[99:100]
	buffer_store_dword v73, off, s[20:23], 0 offset:64 ; 4-byte Folded Spill
	s_nop 0
	buffer_store_dword v74, off, s[20:23], 0 offset:68 ; 4-byte Folded Spill
	buffer_store_dword v75, off, s[20:23], 0 offset:72 ; 4-byte Folded Spill
	;; [unrolled: 1-line block ×3, first 2 shown]
	ds_read2_b64 v[99:102], v125 offset0:22 offset1:23
	s_waitcnt lgkmcnt(0)
	v_mul_f64 v[103:104], v[101:102], v[91:92]
	v_fma_f64 v[103:104], v[99:100], v[97:98], -v[103:104]
	v_mul_f64 v[99:100], v[99:100], v[91:92]
	v_add_f64 v[81:82], v[81:82], -v[103:104]
	v_fma_f64 v[99:100], v[101:102], v[97:98], v[99:100]
	v_add_f64 v[83:84], v[83:84], -v[99:100]
	ds_read2_b64 v[99:102], v125 offset0:24 offset1:25
	buffer_load_dword v73, off, s[20:23], 0 offset:48 ; 4-byte Folded Reload
	buffer_load_dword v74, off, s[20:23], 0 offset:52 ; 4-byte Folded Reload
	;; [unrolled: 1-line block ×4, first 2 shown]
	s_waitcnt lgkmcnt(0)
	v_mul_f64 v[103:104], v[101:102], v[91:92]
	v_fma_f64 v[103:104], v[99:100], v[97:98], -v[103:104]
	v_mul_f64 v[99:100], v[99:100], v[91:92]
	v_fma_f64 v[99:100], v[101:102], v[97:98], v[99:100]
	s_waitcnt vmcnt(2)
	v_add_f64 v[73:74], v[73:74], -v[103:104]
	s_waitcnt vmcnt(0)
	v_add_f64 v[75:76], v[75:76], -v[99:100]
	buffer_store_dword v73, off, s[20:23], 0 offset:48 ; 4-byte Folded Spill
	s_nop 0
	buffer_store_dword v74, off, s[20:23], 0 offset:52 ; 4-byte Folded Spill
	buffer_store_dword v75, off, s[20:23], 0 offset:56 ; 4-byte Folded Spill
	;; [unrolled: 1-line block ×3, first 2 shown]
	ds_read2_b64 v[99:102], v125 offset0:26 offset1:27
	s_waitcnt lgkmcnt(0)
	v_mul_f64 v[103:104], v[101:102], v[91:92]
	v_fma_f64 v[103:104], v[99:100], v[97:98], -v[103:104]
	v_mul_f64 v[99:100], v[99:100], v[91:92]
	v_add_f64 v[117:118], v[117:118], -v[103:104]
	v_fma_f64 v[99:100], v[101:102], v[97:98], v[99:100]
	v_add_f64 v[119:120], v[119:120], -v[99:100]
	ds_read2_b64 v[99:102], v125 offset0:28 offset1:29
	s_waitcnt lgkmcnt(0)
	v_mul_f64 v[103:104], v[101:102], v[91:92]
	v_fma_f64 v[103:104], v[99:100], v[97:98], -v[103:104]
	v_mul_f64 v[99:100], v[99:100], v[91:92]
	v_add_f64 v[109:110], v[109:110], -v[103:104]
	v_fma_f64 v[99:100], v[101:102], v[97:98], v[99:100]
	v_add_f64 v[111:112], v[111:112], -v[99:100]
	ds_read2_b64 v[99:102], v125 offset0:30 offset1:31
	buffer_load_dword v105, off, s[20:23], 0 offset:32 ; 4-byte Folded Reload
	buffer_load_dword v106, off, s[20:23], 0 offset:36 ; 4-byte Folded Reload
	buffer_load_dword v107, off, s[20:23], 0 offset:40 ; 4-byte Folded Reload
	buffer_load_dword v108, off, s[20:23], 0 offset:44 ; 4-byte Folded Reload
	s_waitcnt lgkmcnt(0)
	v_mul_f64 v[103:104], v[101:102], v[91:92]
	v_fma_f64 v[103:104], v[99:100], v[97:98], -v[103:104]
	v_mul_f64 v[99:100], v[99:100], v[91:92]
	v_fma_f64 v[99:100], v[101:102], v[97:98], v[99:100]
	s_waitcnt vmcnt(2)
	v_add_f64 v[105:106], v[105:106], -v[103:104]
	s_waitcnt vmcnt(0)
	v_add_f64 v[107:108], v[107:108], -v[99:100]
	buffer_store_dword v105, off, s[20:23], 0 offset:32 ; 4-byte Folded Spill
	s_nop 0
	buffer_store_dword v106, off, s[20:23], 0 offset:36 ; 4-byte Folded Spill
	buffer_store_dword v107, off, s[20:23], 0 offset:40 ; 4-byte Folded Spill
	;; [unrolled: 1-line block ×3, first 2 shown]
	ds_read2_b64 v[99:102], v125 offset0:32 offset1:33
	s_waitcnt lgkmcnt(0)
	v_mul_f64 v[103:104], v[101:102], v[91:92]
	v_fma_f64 v[103:104], v[99:100], v[97:98], -v[103:104]
	v_mul_f64 v[99:100], v[99:100], v[91:92]
	v_add_f64 v[93:94], v[93:94], -v[103:104]
	v_fma_f64 v[99:100], v[101:102], v[97:98], v[99:100]
	v_add_f64 v[95:96], v[95:96], -v[99:100]
	ds_read2_b64 v[99:102], v125 offset0:34 offset1:35
	buffer_load_dword v77, off, s[20:23], 0 offset:16 ; 4-byte Folded Reload
	buffer_load_dword v78, off, s[20:23], 0 offset:20 ; 4-byte Folded Reload
	;; [unrolled: 1-line block ×4, first 2 shown]
	s_waitcnt lgkmcnt(0)
	v_mul_f64 v[103:104], v[101:102], v[91:92]
	v_fma_f64 v[103:104], v[99:100], v[97:98], -v[103:104]
	v_mul_f64 v[99:100], v[99:100], v[91:92]
	v_fma_f64 v[99:100], v[101:102], v[97:98], v[99:100]
	s_waitcnt vmcnt(2)
	v_add_f64 v[77:78], v[77:78], -v[103:104]
	s_waitcnt vmcnt(0)
	v_add_f64 v[79:80], v[79:80], -v[99:100]
	buffer_store_dword v77, off, s[20:23], 0 offset:16 ; 4-byte Folded Spill
	s_nop 0
	buffer_store_dword v78, off, s[20:23], 0 offset:20 ; 4-byte Folded Spill
	buffer_store_dword v79, off, s[20:23], 0 offset:24 ; 4-byte Folded Spill
	;; [unrolled: 1-line block ×3, first 2 shown]
	ds_read2_b64 v[99:102], v125 offset0:36 offset1:37
	buffer_load_dword v73, off, s[20:23], 0 ; 4-byte Folded Reload
	buffer_load_dword v74, off, s[20:23], 0 offset:4 ; 4-byte Folded Reload
	buffer_load_dword v75, off, s[20:23], 0 offset:8 ; 4-byte Folded Reload
	;; [unrolled: 1-line block ×3, first 2 shown]
	s_waitcnt lgkmcnt(0)
	v_mul_f64 v[103:104], v[101:102], v[91:92]
	v_fma_f64 v[103:104], v[99:100], v[97:98], -v[103:104]
	v_mul_f64 v[99:100], v[99:100], v[91:92]
	v_fma_f64 v[99:100], v[101:102], v[97:98], v[99:100]
	s_waitcnt vmcnt(2)
	v_add_f64 v[73:74], v[73:74], -v[103:104]
	s_waitcnt vmcnt(0)
	v_add_f64 v[75:76], v[75:76], -v[99:100]
	buffer_store_dword v73, off, s[20:23], 0 ; 4-byte Folded Spill
	s_nop 0
	buffer_store_dword v74, off, s[20:23], 0 offset:4 ; 4-byte Folded Spill
	buffer_store_dword v75, off, s[20:23], 0 offset:8 ; 4-byte Folded Spill
	;; [unrolled: 1-line block ×3, first 2 shown]
	ds_read2_b64 v[99:102], v125 offset0:38 offset1:39
	s_waitcnt lgkmcnt(0)
	v_mul_f64 v[103:104], v[101:102], v[91:92]
	v_fma_f64 v[103:104], v[99:100], v[97:98], -v[103:104]
	v_mul_f64 v[99:100], v[99:100], v[91:92]
	v_add_f64 v[69:70], v[69:70], -v[103:104]
	v_fma_f64 v[99:100], v[101:102], v[97:98], v[99:100]
	v_add_f64 v[71:72], v[71:72], -v[99:100]
	ds_read2_b64 v[99:102], v125 offset0:40 offset1:41
	s_waitcnt lgkmcnt(0)
	v_mul_f64 v[103:104], v[101:102], v[91:92]
	v_fma_f64 v[103:104], v[99:100], v[97:98], -v[103:104]
	v_mul_f64 v[99:100], v[99:100], v[91:92]
	v_add_f64 v[65:66], v[65:66], -v[103:104]
	v_fma_f64 v[99:100], v[101:102], v[97:98], v[99:100]
	v_add_f64 v[67:68], v[67:68], -v[99:100]
	;; [unrolled: 8-line block ×19, first 2 shown]
.LBB75_82:
	s_or_b64 exec, exec, s[2:3]
	v_cmp_eq_u32_e32 vcc, 9, v0
	s_waitcnt vmcnt(0)
	s_barrier
	s_and_saveexec_b64 s[4:5], vcc
	s_cbranch_execz .LBB75_89
; %bb.83:
	ds_write2_b64 v127, v[85:86], v[87:88] offset1:1
	buffer_load_dword v73, off, s[20:23], 0 offset:64 ; 4-byte Folded Reload
	buffer_load_dword v74, off, s[20:23], 0 offset:68 ; 4-byte Folded Reload
	;; [unrolled: 1-line block ×4, first 2 shown]
	s_waitcnt vmcnt(0)
	ds_write2_b64 v125, v[73:74], v[75:76] offset0:20 offset1:21
	ds_write2_b64 v125, v[81:82], v[83:84] offset0:22 offset1:23
	buffer_load_dword v73, off, s[20:23], 0 offset:48 ; 4-byte Folded Reload
	buffer_load_dword v74, off, s[20:23], 0 offset:52 ; 4-byte Folded Reload
	;; [unrolled: 1-line block ×4, first 2 shown]
	s_waitcnt vmcnt(0)
	ds_write2_b64 v125, v[73:74], v[75:76] offset0:24 offset1:25
	ds_write2_b64 v125, v[117:118], v[119:120] offset0:26 offset1:27
	;; [unrolled: 1-line block ×3, first 2 shown]
	buffer_load_dword v97, off, s[20:23], 0 offset:32 ; 4-byte Folded Reload
	buffer_load_dword v98, off, s[20:23], 0 offset:36 ; 4-byte Folded Reload
	;; [unrolled: 1-line block ×4, first 2 shown]
	s_waitcnt vmcnt(0)
	ds_write2_b64 v125, v[97:98], v[99:100] offset0:30 offset1:31
	ds_write2_b64 v125, v[93:94], v[95:96] offset0:32 offset1:33
	buffer_load_dword v77, off, s[20:23], 0 offset:16 ; 4-byte Folded Reload
	buffer_load_dword v78, off, s[20:23], 0 offset:20 ; 4-byte Folded Reload
	buffer_load_dword v79, off, s[20:23], 0 offset:24 ; 4-byte Folded Reload
	buffer_load_dword v80, off, s[20:23], 0 offset:28 ; 4-byte Folded Reload
	s_waitcnt vmcnt(0)
	ds_write2_b64 v125, v[77:78], v[79:80] offset0:34 offset1:35
	buffer_load_dword v73, off, s[20:23], 0 ; 4-byte Folded Reload
	buffer_load_dword v74, off, s[20:23], 0 offset:4 ; 4-byte Folded Reload
	buffer_load_dword v75, off, s[20:23], 0 offset:8 ; 4-byte Folded Reload
	;; [unrolled: 1-line block ×3, first 2 shown]
	s_waitcnt vmcnt(0)
	ds_write2_b64 v125, v[73:74], v[75:76] offset0:36 offset1:37
	ds_write2_b64 v125, v[69:70], v[71:72] offset0:38 offset1:39
	;; [unrolled: 1-line block ×20, first 2 shown]
	ds_read2_b64 v[97:100], v127 offset1:1
	s_waitcnt lgkmcnt(0)
	v_cmp_neq_f64_e32 vcc, 0, v[97:98]
	v_cmp_neq_f64_e64 s[2:3], 0, v[99:100]
	s_or_b64 s[2:3], vcc, s[2:3]
	s_and_b64 exec, exec, s[2:3]
	s_cbranch_execz .LBB75_89
; %bb.84:
	v_cmp_ngt_f64_e64 s[2:3], |v[97:98]|, |v[99:100]|
                                        ; implicit-def: $vgpr101_vgpr102
	s_and_saveexec_b64 s[6:7], s[2:3]
	s_xor_b64 s[2:3], exec, s[6:7]
                                        ; implicit-def: $vgpr103_vgpr104
	s_cbranch_execz .LBB75_86
; %bb.85:
	v_div_scale_f64 v[101:102], s[6:7], v[99:100], v[99:100], v[97:98]
	v_rcp_f64_e32 v[103:104], v[101:102]
	v_fma_f64 v[105:106], -v[101:102], v[103:104], 1.0
	v_fma_f64 v[103:104], v[103:104], v[105:106], v[103:104]
	v_div_scale_f64 v[105:106], vcc, v[97:98], v[99:100], v[97:98]
	v_fma_f64 v[107:108], -v[101:102], v[103:104], 1.0
	v_fma_f64 v[103:104], v[103:104], v[107:108], v[103:104]
	v_mul_f64 v[107:108], v[105:106], v[103:104]
	v_fma_f64 v[101:102], -v[101:102], v[107:108], v[105:106]
	v_div_fmas_f64 v[101:102], v[101:102], v[103:104], v[107:108]
	v_div_fixup_f64 v[101:102], v[101:102], v[99:100], v[97:98]
	v_fma_f64 v[97:98], v[97:98], v[101:102], v[99:100]
	v_div_scale_f64 v[99:100], s[6:7], v[97:98], v[97:98], 1.0
	v_div_scale_f64 v[107:108], vcc, 1.0, v[97:98], 1.0
	v_rcp_f64_e32 v[103:104], v[99:100]
	v_fma_f64 v[105:106], -v[99:100], v[103:104], 1.0
	v_fma_f64 v[103:104], v[103:104], v[105:106], v[103:104]
	v_fma_f64 v[105:106], -v[99:100], v[103:104], 1.0
	v_fma_f64 v[103:104], v[103:104], v[105:106], v[103:104]
	v_mul_f64 v[105:106], v[107:108], v[103:104]
	v_fma_f64 v[99:100], -v[99:100], v[105:106], v[107:108]
	v_div_fmas_f64 v[99:100], v[99:100], v[103:104], v[105:106]
	v_div_fixup_f64 v[103:104], v[99:100], v[97:98], 1.0
                                        ; implicit-def: $vgpr97_vgpr98
	v_mul_f64 v[101:102], v[101:102], v[103:104]
	v_xor_b32_e32 v104, 0x80000000, v104
.LBB75_86:
	s_andn2_saveexec_b64 s[2:3], s[2:3]
	s_cbranch_execz .LBB75_88
; %bb.87:
	v_div_scale_f64 v[101:102], s[6:7], v[97:98], v[97:98], v[99:100]
	v_rcp_f64_e32 v[103:104], v[101:102]
	v_fma_f64 v[105:106], -v[101:102], v[103:104], 1.0
	v_fma_f64 v[103:104], v[103:104], v[105:106], v[103:104]
	v_div_scale_f64 v[105:106], vcc, v[99:100], v[97:98], v[99:100]
	v_fma_f64 v[107:108], -v[101:102], v[103:104], 1.0
	v_fma_f64 v[103:104], v[103:104], v[107:108], v[103:104]
	v_mul_f64 v[107:108], v[105:106], v[103:104]
	v_fma_f64 v[101:102], -v[101:102], v[107:108], v[105:106]
	v_div_fmas_f64 v[101:102], v[101:102], v[103:104], v[107:108]
	v_div_fixup_f64 v[103:104], v[101:102], v[97:98], v[99:100]
	v_fma_f64 v[97:98], v[99:100], v[103:104], v[97:98]
	v_div_scale_f64 v[99:100], s[6:7], v[97:98], v[97:98], 1.0
	v_div_scale_f64 v[107:108], vcc, 1.0, v[97:98], 1.0
	v_rcp_f64_e32 v[101:102], v[99:100]
	v_fma_f64 v[105:106], -v[99:100], v[101:102], 1.0
	v_fma_f64 v[101:102], v[101:102], v[105:106], v[101:102]
	v_fma_f64 v[105:106], -v[99:100], v[101:102], 1.0
	v_fma_f64 v[101:102], v[101:102], v[105:106], v[101:102]
	v_mul_f64 v[105:106], v[107:108], v[101:102]
	v_fma_f64 v[99:100], -v[99:100], v[105:106], v[107:108]
	v_div_fmas_f64 v[99:100], v[99:100], v[101:102], v[105:106]
	v_div_fixup_f64 v[101:102], v[99:100], v[97:98], 1.0
	v_mul_f64 v[103:104], v[103:104], -v[101:102]
.LBB75_88:
	s_or_b64 exec, exec, s[2:3]
	ds_write2_b64 v127, v[101:102], v[103:104] offset1:1
.LBB75_89:
	s_or_b64 exec, exec, s[4:5]
	s_waitcnt lgkmcnt(0)
	s_barrier
	ds_read2_b64 v[73:76], v127 offset1:1
	v_cmp_lt_u32_e32 vcc, 9, v0
	s_waitcnt lgkmcnt(0)
	buffer_store_dword v73, off, s[20:23], 0 offset:704 ; 4-byte Folded Spill
	s_nop 0
	buffer_store_dword v74, off, s[20:23], 0 offset:708 ; 4-byte Folded Spill
	buffer_store_dword v75, off, s[20:23], 0 offset:712 ; 4-byte Folded Spill
	;; [unrolled: 1-line block ×3, first 2 shown]
	s_and_saveexec_b64 s[2:3], vcc
	s_cbranch_execz .LBB75_91
; %bb.90:
	buffer_load_dword v73, off, s[20:23], 0 offset:704 ; 4-byte Folded Reload
	buffer_load_dword v74, off, s[20:23], 0 offset:708 ; 4-byte Folded Reload
	;; [unrolled: 1-line block ×4, first 2 shown]
	s_waitcnt vmcnt(2)
	v_mul_f64 v[99:100], v[73:74], v[87:88]
	s_waitcnt vmcnt(0)
	v_mul_f64 v[97:98], v[75:76], v[87:88]
	v_fma_f64 v[87:88], v[75:76], v[85:86], v[99:100]
	ds_read2_b64 v[99:102], v125 offset0:20 offset1:21
	v_fma_f64 v[97:98], v[73:74], v[85:86], -v[97:98]
	buffer_load_dword v73, off, s[20:23], 0 offset:64 ; 4-byte Folded Reload
	buffer_load_dword v74, off, s[20:23], 0 offset:68 ; 4-byte Folded Reload
	;; [unrolled: 1-line block ×4, first 2 shown]
	s_waitcnt lgkmcnt(0)
	v_mul_f64 v[103:104], v[101:102], v[87:88]
	v_mov_b32_e32 v85, v97
	v_mov_b32_e32 v86, v98
	v_fma_f64 v[103:104], v[99:100], v[97:98], -v[103:104]
	v_mul_f64 v[99:100], v[99:100], v[87:88]
	v_fma_f64 v[99:100], v[101:102], v[97:98], v[99:100]
	s_waitcnt vmcnt(2)
	v_add_f64 v[73:74], v[73:74], -v[103:104]
	s_waitcnt vmcnt(0)
	v_add_f64 v[75:76], v[75:76], -v[99:100]
	buffer_store_dword v73, off, s[20:23], 0 offset:64 ; 4-byte Folded Spill
	s_nop 0
	buffer_store_dword v74, off, s[20:23], 0 offset:68 ; 4-byte Folded Spill
	buffer_store_dword v75, off, s[20:23], 0 offset:72 ; 4-byte Folded Spill
	;; [unrolled: 1-line block ×3, first 2 shown]
	ds_read2_b64 v[99:102], v125 offset0:22 offset1:23
	s_waitcnt lgkmcnt(0)
	v_mul_f64 v[103:104], v[101:102], v[87:88]
	v_fma_f64 v[103:104], v[99:100], v[97:98], -v[103:104]
	v_mul_f64 v[99:100], v[99:100], v[87:88]
	v_add_f64 v[81:82], v[81:82], -v[103:104]
	v_fma_f64 v[99:100], v[101:102], v[97:98], v[99:100]
	v_add_f64 v[83:84], v[83:84], -v[99:100]
	ds_read2_b64 v[99:102], v125 offset0:24 offset1:25
	buffer_load_dword v73, off, s[20:23], 0 offset:48 ; 4-byte Folded Reload
	buffer_load_dword v74, off, s[20:23], 0 offset:52 ; 4-byte Folded Reload
	;; [unrolled: 1-line block ×4, first 2 shown]
	s_waitcnt lgkmcnt(0)
	v_mul_f64 v[103:104], v[101:102], v[87:88]
	v_fma_f64 v[103:104], v[99:100], v[97:98], -v[103:104]
	v_mul_f64 v[99:100], v[99:100], v[87:88]
	v_fma_f64 v[99:100], v[101:102], v[97:98], v[99:100]
	s_waitcnt vmcnt(2)
	v_add_f64 v[73:74], v[73:74], -v[103:104]
	s_waitcnt vmcnt(0)
	v_add_f64 v[75:76], v[75:76], -v[99:100]
	buffer_store_dword v73, off, s[20:23], 0 offset:48 ; 4-byte Folded Spill
	s_nop 0
	buffer_store_dword v74, off, s[20:23], 0 offset:52 ; 4-byte Folded Spill
	buffer_store_dword v75, off, s[20:23], 0 offset:56 ; 4-byte Folded Spill
	;; [unrolled: 1-line block ×3, first 2 shown]
	ds_read2_b64 v[99:102], v125 offset0:26 offset1:27
	s_waitcnt lgkmcnt(0)
	v_mul_f64 v[103:104], v[101:102], v[87:88]
	v_fma_f64 v[103:104], v[99:100], v[97:98], -v[103:104]
	v_mul_f64 v[99:100], v[99:100], v[87:88]
	v_add_f64 v[117:118], v[117:118], -v[103:104]
	v_fma_f64 v[99:100], v[101:102], v[97:98], v[99:100]
	v_add_f64 v[119:120], v[119:120], -v[99:100]
	ds_read2_b64 v[99:102], v125 offset0:28 offset1:29
	s_waitcnt lgkmcnt(0)
	v_mul_f64 v[103:104], v[101:102], v[87:88]
	v_fma_f64 v[103:104], v[99:100], v[97:98], -v[103:104]
	v_mul_f64 v[99:100], v[99:100], v[87:88]
	v_add_f64 v[109:110], v[109:110], -v[103:104]
	v_fma_f64 v[99:100], v[101:102], v[97:98], v[99:100]
	v_add_f64 v[111:112], v[111:112], -v[99:100]
	ds_read2_b64 v[99:102], v125 offset0:30 offset1:31
	buffer_load_dword v105, off, s[20:23], 0 offset:32 ; 4-byte Folded Reload
	buffer_load_dword v106, off, s[20:23], 0 offset:36 ; 4-byte Folded Reload
	;; [unrolled: 1-line block ×4, first 2 shown]
	s_waitcnt lgkmcnt(0)
	v_mul_f64 v[103:104], v[101:102], v[87:88]
	v_fma_f64 v[103:104], v[99:100], v[97:98], -v[103:104]
	v_mul_f64 v[99:100], v[99:100], v[87:88]
	v_fma_f64 v[99:100], v[101:102], v[97:98], v[99:100]
	s_waitcnt vmcnt(2)
	v_add_f64 v[105:106], v[105:106], -v[103:104]
	s_waitcnt vmcnt(0)
	v_add_f64 v[107:108], v[107:108], -v[99:100]
	buffer_store_dword v105, off, s[20:23], 0 offset:32 ; 4-byte Folded Spill
	s_nop 0
	buffer_store_dword v106, off, s[20:23], 0 offset:36 ; 4-byte Folded Spill
	buffer_store_dword v107, off, s[20:23], 0 offset:40 ; 4-byte Folded Spill
	;; [unrolled: 1-line block ×3, first 2 shown]
	ds_read2_b64 v[99:102], v125 offset0:32 offset1:33
	s_waitcnt lgkmcnt(0)
	v_mul_f64 v[103:104], v[101:102], v[87:88]
	v_fma_f64 v[103:104], v[99:100], v[97:98], -v[103:104]
	v_mul_f64 v[99:100], v[99:100], v[87:88]
	v_add_f64 v[93:94], v[93:94], -v[103:104]
	v_fma_f64 v[99:100], v[101:102], v[97:98], v[99:100]
	v_add_f64 v[95:96], v[95:96], -v[99:100]
	ds_read2_b64 v[99:102], v125 offset0:34 offset1:35
	buffer_load_dword v77, off, s[20:23], 0 offset:16 ; 4-byte Folded Reload
	buffer_load_dword v78, off, s[20:23], 0 offset:20 ; 4-byte Folded Reload
	;; [unrolled: 1-line block ×4, first 2 shown]
	s_waitcnt lgkmcnt(0)
	v_mul_f64 v[103:104], v[101:102], v[87:88]
	v_fma_f64 v[103:104], v[99:100], v[97:98], -v[103:104]
	v_mul_f64 v[99:100], v[99:100], v[87:88]
	v_fma_f64 v[99:100], v[101:102], v[97:98], v[99:100]
	s_waitcnt vmcnt(2)
	v_add_f64 v[77:78], v[77:78], -v[103:104]
	s_waitcnt vmcnt(0)
	v_add_f64 v[79:80], v[79:80], -v[99:100]
	buffer_store_dword v77, off, s[20:23], 0 offset:16 ; 4-byte Folded Spill
	s_nop 0
	buffer_store_dword v78, off, s[20:23], 0 offset:20 ; 4-byte Folded Spill
	buffer_store_dword v79, off, s[20:23], 0 offset:24 ; 4-byte Folded Spill
	;; [unrolled: 1-line block ×3, first 2 shown]
	ds_read2_b64 v[99:102], v125 offset0:36 offset1:37
	buffer_load_dword v73, off, s[20:23], 0 ; 4-byte Folded Reload
	buffer_load_dword v74, off, s[20:23], 0 offset:4 ; 4-byte Folded Reload
	buffer_load_dword v75, off, s[20:23], 0 offset:8 ; 4-byte Folded Reload
	;; [unrolled: 1-line block ×3, first 2 shown]
	s_waitcnt lgkmcnt(0)
	v_mul_f64 v[103:104], v[101:102], v[87:88]
	v_fma_f64 v[103:104], v[99:100], v[97:98], -v[103:104]
	v_mul_f64 v[99:100], v[99:100], v[87:88]
	v_fma_f64 v[99:100], v[101:102], v[97:98], v[99:100]
	s_waitcnt vmcnt(2)
	v_add_f64 v[73:74], v[73:74], -v[103:104]
	s_waitcnt vmcnt(0)
	v_add_f64 v[75:76], v[75:76], -v[99:100]
	buffer_store_dword v73, off, s[20:23], 0 ; 4-byte Folded Spill
	s_nop 0
	buffer_store_dword v74, off, s[20:23], 0 offset:4 ; 4-byte Folded Spill
	buffer_store_dword v75, off, s[20:23], 0 offset:8 ; 4-byte Folded Spill
	;; [unrolled: 1-line block ×3, first 2 shown]
	ds_read2_b64 v[99:102], v125 offset0:38 offset1:39
	s_waitcnt lgkmcnt(0)
	v_mul_f64 v[103:104], v[101:102], v[87:88]
	v_fma_f64 v[103:104], v[99:100], v[97:98], -v[103:104]
	v_mul_f64 v[99:100], v[99:100], v[87:88]
	v_add_f64 v[69:70], v[69:70], -v[103:104]
	v_fma_f64 v[99:100], v[101:102], v[97:98], v[99:100]
	v_add_f64 v[71:72], v[71:72], -v[99:100]
	ds_read2_b64 v[99:102], v125 offset0:40 offset1:41
	s_waitcnt lgkmcnt(0)
	v_mul_f64 v[103:104], v[101:102], v[87:88]
	v_fma_f64 v[103:104], v[99:100], v[97:98], -v[103:104]
	v_mul_f64 v[99:100], v[99:100], v[87:88]
	v_add_f64 v[65:66], v[65:66], -v[103:104]
	v_fma_f64 v[99:100], v[101:102], v[97:98], v[99:100]
	v_add_f64 v[67:68], v[67:68], -v[99:100]
	;; [unrolled: 8-line block ×19, first 2 shown]
.LBB75_91:
	s_or_b64 exec, exec, s[2:3]
	v_cmp_eq_u32_e32 vcc, 10, v0
	s_waitcnt vmcnt(0)
	s_barrier
	s_and_saveexec_b64 s[4:5], vcc
	s_cbranch_execz .LBB75_98
; %bb.92:
	buffer_load_dword v73, off, s[20:23], 0 offset:64 ; 4-byte Folded Reload
	buffer_load_dword v74, off, s[20:23], 0 offset:68 ; 4-byte Folded Reload
	;; [unrolled: 1-line block ×4, first 2 shown]
	s_waitcnt vmcnt(0)
	ds_write2_b64 v127, v[73:74], v[75:76] offset1:1
	ds_write2_b64 v125, v[81:82], v[83:84] offset0:22 offset1:23
	buffer_load_dword v73, off, s[20:23], 0 offset:48 ; 4-byte Folded Reload
	buffer_load_dword v74, off, s[20:23], 0 offset:52 ; 4-byte Folded Reload
	;; [unrolled: 1-line block ×4, first 2 shown]
	s_waitcnt vmcnt(0)
	ds_write2_b64 v125, v[73:74], v[75:76] offset0:24 offset1:25
	ds_write2_b64 v125, v[117:118], v[119:120] offset0:26 offset1:27
	ds_write2_b64 v125, v[109:110], v[111:112] offset0:28 offset1:29
	buffer_load_dword v97, off, s[20:23], 0 offset:32 ; 4-byte Folded Reload
	buffer_load_dword v98, off, s[20:23], 0 offset:36 ; 4-byte Folded Reload
	;; [unrolled: 1-line block ×4, first 2 shown]
	s_waitcnt vmcnt(0)
	ds_write2_b64 v125, v[97:98], v[99:100] offset0:30 offset1:31
	ds_write2_b64 v125, v[93:94], v[95:96] offset0:32 offset1:33
	buffer_load_dword v77, off, s[20:23], 0 offset:16 ; 4-byte Folded Reload
	buffer_load_dword v78, off, s[20:23], 0 offset:20 ; 4-byte Folded Reload
	buffer_load_dword v79, off, s[20:23], 0 offset:24 ; 4-byte Folded Reload
	buffer_load_dword v80, off, s[20:23], 0 offset:28 ; 4-byte Folded Reload
	s_waitcnt vmcnt(0)
	ds_write2_b64 v125, v[77:78], v[79:80] offset0:34 offset1:35
	buffer_load_dword v73, off, s[20:23], 0 ; 4-byte Folded Reload
	buffer_load_dword v74, off, s[20:23], 0 offset:4 ; 4-byte Folded Reload
	buffer_load_dword v75, off, s[20:23], 0 offset:8 ; 4-byte Folded Reload
	;; [unrolled: 1-line block ×3, first 2 shown]
	s_waitcnt vmcnt(0)
	ds_write2_b64 v125, v[73:74], v[75:76] offset0:36 offset1:37
	ds_write2_b64 v125, v[69:70], v[71:72] offset0:38 offset1:39
	ds_write2_b64 v125, v[65:66], v[67:68] offset0:40 offset1:41
	ds_write2_b64 v125, v[61:62], v[63:64] offset0:42 offset1:43
	ds_write2_b64 v125, v[57:58], v[59:60] offset0:44 offset1:45
	ds_write2_b64 v125, v[53:54], v[55:56] offset0:46 offset1:47
	ds_write2_b64 v125, v[49:50], v[51:52] offset0:48 offset1:49
	ds_write2_b64 v125, v[45:46], v[47:48] offset0:50 offset1:51
	ds_write2_b64 v125, v[41:42], v[43:44] offset0:52 offset1:53
	ds_write2_b64 v125, v[37:38], v[39:40] offset0:54 offset1:55
	ds_write2_b64 v125, v[33:34], v[35:36] offset0:56 offset1:57
	ds_write2_b64 v125, v[29:30], v[31:32] offset0:58 offset1:59
	ds_write2_b64 v125, v[25:26], v[27:28] offset0:60 offset1:61
	ds_write2_b64 v125, v[21:22], v[23:24] offset0:62 offset1:63
	ds_write2_b64 v125, v[17:18], v[19:20] offset0:64 offset1:65
	ds_write2_b64 v125, v[13:14], v[15:16] offset0:66 offset1:67
	ds_write2_b64 v125, v[9:10], v[11:12] offset0:68 offset1:69
	ds_write2_b64 v125, v[5:6], v[7:8] offset0:70 offset1:71
	ds_write2_b64 v125, v[1:2], v[3:4] offset0:72 offset1:73
	ds_write2_b64 v125, v[113:114], v[115:116] offset0:74 offset1:75
	ds_read2_b64 v[97:100], v127 offset1:1
	s_waitcnt lgkmcnt(0)
	v_cmp_neq_f64_e32 vcc, 0, v[97:98]
	v_cmp_neq_f64_e64 s[2:3], 0, v[99:100]
	s_or_b64 s[2:3], vcc, s[2:3]
	s_and_b64 exec, exec, s[2:3]
	s_cbranch_execz .LBB75_98
; %bb.93:
	v_cmp_ngt_f64_e64 s[2:3], |v[97:98]|, |v[99:100]|
                                        ; implicit-def: $vgpr101_vgpr102
	s_and_saveexec_b64 s[6:7], s[2:3]
	s_xor_b64 s[2:3], exec, s[6:7]
                                        ; implicit-def: $vgpr103_vgpr104
	s_cbranch_execz .LBB75_95
; %bb.94:
	v_div_scale_f64 v[101:102], s[6:7], v[99:100], v[99:100], v[97:98]
	v_rcp_f64_e32 v[103:104], v[101:102]
	v_fma_f64 v[105:106], -v[101:102], v[103:104], 1.0
	v_fma_f64 v[103:104], v[103:104], v[105:106], v[103:104]
	v_div_scale_f64 v[105:106], vcc, v[97:98], v[99:100], v[97:98]
	v_fma_f64 v[107:108], -v[101:102], v[103:104], 1.0
	v_fma_f64 v[103:104], v[103:104], v[107:108], v[103:104]
	v_mul_f64 v[107:108], v[105:106], v[103:104]
	v_fma_f64 v[101:102], -v[101:102], v[107:108], v[105:106]
	v_div_fmas_f64 v[101:102], v[101:102], v[103:104], v[107:108]
	v_div_fixup_f64 v[101:102], v[101:102], v[99:100], v[97:98]
	v_fma_f64 v[97:98], v[97:98], v[101:102], v[99:100]
	v_div_scale_f64 v[99:100], s[6:7], v[97:98], v[97:98], 1.0
	v_div_scale_f64 v[107:108], vcc, 1.0, v[97:98], 1.0
	v_rcp_f64_e32 v[103:104], v[99:100]
	v_fma_f64 v[105:106], -v[99:100], v[103:104], 1.0
	v_fma_f64 v[103:104], v[103:104], v[105:106], v[103:104]
	v_fma_f64 v[105:106], -v[99:100], v[103:104], 1.0
	v_fma_f64 v[103:104], v[103:104], v[105:106], v[103:104]
	v_mul_f64 v[105:106], v[107:108], v[103:104]
	v_fma_f64 v[99:100], -v[99:100], v[105:106], v[107:108]
	v_div_fmas_f64 v[99:100], v[99:100], v[103:104], v[105:106]
	v_div_fixup_f64 v[103:104], v[99:100], v[97:98], 1.0
                                        ; implicit-def: $vgpr97_vgpr98
	v_mul_f64 v[101:102], v[101:102], v[103:104]
	v_xor_b32_e32 v104, 0x80000000, v104
.LBB75_95:
	s_andn2_saveexec_b64 s[2:3], s[2:3]
	s_cbranch_execz .LBB75_97
; %bb.96:
	v_div_scale_f64 v[101:102], s[6:7], v[97:98], v[97:98], v[99:100]
	v_rcp_f64_e32 v[103:104], v[101:102]
	v_fma_f64 v[105:106], -v[101:102], v[103:104], 1.0
	v_fma_f64 v[103:104], v[103:104], v[105:106], v[103:104]
	v_div_scale_f64 v[105:106], vcc, v[99:100], v[97:98], v[99:100]
	v_fma_f64 v[107:108], -v[101:102], v[103:104], 1.0
	v_fma_f64 v[103:104], v[103:104], v[107:108], v[103:104]
	v_mul_f64 v[107:108], v[105:106], v[103:104]
	v_fma_f64 v[101:102], -v[101:102], v[107:108], v[105:106]
	v_div_fmas_f64 v[101:102], v[101:102], v[103:104], v[107:108]
	v_div_fixup_f64 v[103:104], v[101:102], v[97:98], v[99:100]
	v_fma_f64 v[97:98], v[99:100], v[103:104], v[97:98]
	v_div_scale_f64 v[99:100], s[6:7], v[97:98], v[97:98], 1.0
	v_div_scale_f64 v[107:108], vcc, 1.0, v[97:98], 1.0
	v_rcp_f64_e32 v[101:102], v[99:100]
	v_fma_f64 v[105:106], -v[99:100], v[101:102], 1.0
	v_fma_f64 v[101:102], v[101:102], v[105:106], v[101:102]
	v_fma_f64 v[105:106], -v[99:100], v[101:102], 1.0
	v_fma_f64 v[101:102], v[101:102], v[105:106], v[101:102]
	v_mul_f64 v[105:106], v[107:108], v[101:102]
	v_fma_f64 v[99:100], -v[99:100], v[105:106], v[107:108]
	v_div_fmas_f64 v[99:100], v[99:100], v[101:102], v[105:106]
	v_div_fixup_f64 v[101:102], v[99:100], v[97:98], 1.0
	v_mul_f64 v[103:104], v[103:104], -v[101:102]
.LBB75_97:
	s_or_b64 exec, exec, s[2:3]
	ds_write2_b64 v127, v[101:102], v[103:104] offset1:1
.LBB75_98:
	s_or_b64 exec, exec, s[4:5]
	s_waitcnt lgkmcnt(0)
	s_barrier
	ds_read2_b64 v[73:76], v127 offset1:1
	v_cmp_lt_u32_e32 vcc, 10, v0
	s_waitcnt lgkmcnt(0)
	buffer_store_dword v73, off, s[20:23], 0 offset:720 ; 4-byte Folded Spill
	s_nop 0
	buffer_store_dword v74, off, s[20:23], 0 offset:724 ; 4-byte Folded Spill
	buffer_store_dword v75, off, s[20:23], 0 offset:728 ; 4-byte Folded Spill
	;; [unrolled: 1-line block ×3, first 2 shown]
	s_and_saveexec_b64 s[2:3], vcc
	s_cbranch_execz .LBB75_100
; %bb.99:
	v_mov_b32_e32 v124, v116
	v_mov_b32_e32 v123, v115
	;; [unrolled: 1-line block ×4, first 2 shown]
	buffer_load_dword v113, off, s[20:23], 0 offset:64 ; 4-byte Folded Reload
	buffer_load_dword v114, off, s[20:23], 0 offset:68 ; 4-byte Folded Reload
	;; [unrolled: 1-line block ×8, first 2 shown]
	s_waitcnt vmcnt(2)
	v_mul_f64 v[99:100], v[73:74], v[115:116]
	s_waitcnt vmcnt(0)
	v_mul_f64 v[97:98], v[75:76], v[115:116]
	v_fma_f64 v[115:116], v[75:76], v[113:114], v[99:100]
	ds_read2_b64 v[99:102], v125 offset0:22 offset1:23
	v_fma_f64 v[97:98], v[73:74], v[113:114], -v[97:98]
	s_waitcnt lgkmcnt(0)
	v_mul_f64 v[103:104], v[101:102], v[115:116]
	v_mov_b32_e32 v114, v98
	v_mov_b32_e32 v113, v97
	v_fma_f64 v[103:104], v[99:100], v[97:98], -v[103:104]
	v_mul_f64 v[99:100], v[99:100], v[115:116]
	v_add_f64 v[81:82], v[81:82], -v[103:104]
	v_fma_f64 v[99:100], v[101:102], v[97:98], v[99:100]
	v_add_f64 v[83:84], v[83:84], -v[99:100]
	ds_read2_b64 v[99:102], v125 offset0:24 offset1:25
	buffer_load_dword v73, off, s[20:23], 0 offset:48 ; 4-byte Folded Reload
	buffer_load_dword v74, off, s[20:23], 0 offset:52 ; 4-byte Folded Reload
	;; [unrolled: 1-line block ×4, first 2 shown]
	s_waitcnt lgkmcnt(0)
	v_mul_f64 v[103:104], v[101:102], v[115:116]
	v_fma_f64 v[103:104], v[99:100], v[97:98], -v[103:104]
	v_mul_f64 v[99:100], v[99:100], v[115:116]
	v_fma_f64 v[99:100], v[101:102], v[97:98], v[99:100]
	s_waitcnt vmcnt(2)
	v_add_f64 v[73:74], v[73:74], -v[103:104]
	s_waitcnt vmcnt(0)
	v_add_f64 v[75:76], v[75:76], -v[99:100]
	buffer_store_dword v73, off, s[20:23], 0 offset:48 ; 4-byte Folded Spill
	s_nop 0
	buffer_store_dword v74, off, s[20:23], 0 offset:52 ; 4-byte Folded Spill
	buffer_store_dword v75, off, s[20:23], 0 offset:56 ; 4-byte Folded Spill
	buffer_store_dword v76, off, s[20:23], 0 offset:60 ; 4-byte Folded Spill
	ds_read2_b64 v[99:102], v125 offset0:26 offset1:27
	s_waitcnt lgkmcnt(0)
	v_mul_f64 v[103:104], v[101:102], v[115:116]
	v_fma_f64 v[103:104], v[99:100], v[97:98], -v[103:104]
	v_mul_f64 v[99:100], v[99:100], v[115:116]
	v_add_f64 v[117:118], v[117:118], -v[103:104]
	v_fma_f64 v[99:100], v[101:102], v[97:98], v[99:100]
	v_add_f64 v[119:120], v[119:120], -v[99:100]
	ds_read2_b64 v[99:102], v125 offset0:28 offset1:29
	s_waitcnt lgkmcnt(0)
	v_mul_f64 v[103:104], v[101:102], v[115:116]
	v_fma_f64 v[103:104], v[99:100], v[97:98], -v[103:104]
	v_mul_f64 v[99:100], v[99:100], v[115:116]
	v_add_f64 v[109:110], v[109:110], -v[103:104]
	v_fma_f64 v[99:100], v[101:102], v[97:98], v[99:100]
	v_add_f64 v[111:112], v[111:112], -v[99:100]
	ds_read2_b64 v[99:102], v125 offset0:30 offset1:31
	buffer_load_dword v105, off, s[20:23], 0 offset:32 ; 4-byte Folded Reload
	buffer_load_dword v106, off, s[20:23], 0 offset:36 ; 4-byte Folded Reload
	;; [unrolled: 1-line block ×4, first 2 shown]
	s_waitcnt lgkmcnt(0)
	v_mul_f64 v[103:104], v[101:102], v[115:116]
	v_fma_f64 v[103:104], v[99:100], v[97:98], -v[103:104]
	v_mul_f64 v[99:100], v[99:100], v[115:116]
	v_fma_f64 v[99:100], v[101:102], v[97:98], v[99:100]
	s_waitcnt vmcnt(2)
	v_add_f64 v[105:106], v[105:106], -v[103:104]
	s_waitcnt vmcnt(0)
	v_add_f64 v[107:108], v[107:108], -v[99:100]
	buffer_store_dword v105, off, s[20:23], 0 offset:32 ; 4-byte Folded Spill
	s_nop 0
	buffer_store_dword v106, off, s[20:23], 0 offset:36 ; 4-byte Folded Spill
	buffer_store_dword v107, off, s[20:23], 0 offset:40 ; 4-byte Folded Spill
	;; [unrolled: 1-line block ×3, first 2 shown]
	ds_read2_b64 v[99:102], v125 offset0:32 offset1:33
	s_waitcnt lgkmcnt(0)
	v_mul_f64 v[103:104], v[101:102], v[115:116]
	v_fma_f64 v[103:104], v[99:100], v[97:98], -v[103:104]
	v_mul_f64 v[99:100], v[99:100], v[115:116]
	v_add_f64 v[93:94], v[93:94], -v[103:104]
	v_fma_f64 v[99:100], v[101:102], v[97:98], v[99:100]
	v_add_f64 v[95:96], v[95:96], -v[99:100]
	ds_read2_b64 v[99:102], v125 offset0:34 offset1:35
	buffer_load_dword v77, off, s[20:23], 0 offset:16 ; 4-byte Folded Reload
	buffer_load_dword v78, off, s[20:23], 0 offset:20 ; 4-byte Folded Reload
	;; [unrolled: 1-line block ×4, first 2 shown]
	s_waitcnt lgkmcnt(0)
	v_mul_f64 v[103:104], v[101:102], v[115:116]
	v_fma_f64 v[103:104], v[99:100], v[97:98], -v[103:104]
	v_mul_f64 v[99:100], v[99:100], v[115:116]
	v_fma_f64 v[99:100], v[101:102], v[97:98], v[99:100]
	s_waitcnt vmcnt(2)
	v_add_f64 v[77:78], v[77:78], -v[103:104]
	s_waitcnt vmcnt(0)
	v_add_f64 v[79:80], v[79:80], -v[99:100]
	buffer_store_dword v77, off, s[20:23], 0 offset:16 ; 4-byte Folded Spill
	s_nop 0
	buffer_store_dword v78, off, s[20:23], 0 offset:20 ; 4-byte Folded Spill
	buffer_store_dword v79, off, s[20:23], 0 offset:24 ; 4-byte Folded Spill
	;; [unrolled: 1-line block ×3, first 2 shown]
	ds_read2_b64 v[99:102], v125 offset0:36 offset1:37
	buffer_load_dword v73, off, s[20:23], 0 ; 4-byte Folded Reload
	buffer_load_dword v74, off, s[20:23], 0 offset:4 ; 4-byte Folded Reload
	buffer_load_dword v75, off, s[20:23], 0 offset:8 ; 4-byte Folded Reload
	;; [unrolled: 1-line block ×3, first 2 shown]
	s_waitcnt lgkmcnt(0)
	v_mul_f64 v[103:104], v[101:102], v[115:116]
	v_fma_f64 v[103:104], v[99:100], v[97:98], -v[103:104]
	v_mul_f64 v[99:100], v[99:100], v[115:116]
	v_fma_f64 v[99:100], v[101:102], v[97:98], v[99:100]
	s_waitcnt vmcnt(2)
	v_add_f64 v[73:74], v[73:74], -v[103:104]
	s_waitcnt vmcnt(0)
	v_add_f64 v[75:76], v[75:76], -v[99:100]
	buffer_store_dword v73, off, s[20:23], 0 ; 4-byte Folded Spill
	s_nop 0
	buffer_store_dword v74, off, s[20:23], 0 offset:4 ; 4-byte Folded Spill
	buffer_store_dword v75, off, s[20:23], 0 offset:8 ; 4-byte Folded Spill
	;; [unrolled: 1-line block ×3, first 2 shown]
	ds_read2_b64 v[99:102], v125 offset0:38 offset1:39
	s_waitcnt lgkmcnt(0)
	v_mul_f64 v[103:104], v[101:102], v[115:116]
	v_fma_f64 v[103:104], v[99:100], v[97:98], -v[103:104]
	v_mul_f64 v[99:100], v[99:100], v[115:116]
	v_add_f64 v[69:70], v[69:70], -v[103:104]
	v_fma_f64 v[99:100], v[101:102], v[97:98], v[99:100]
	v_add_f64 v[71:72], v[71:72], -v[99:100]
	ds_read2_b64 v[99:102], v125 offset0:40 offset1:41
	s_waitcnt lgkmcnt(0)
	v_mul_f64 v[103:104], v[101:102], v[115:116]
	v_fma_f64 v[103:104], v[99:100], v[97:98], -v[103:104]
	v_mul_f64 v[99:100], v[99:100], v[115:116]
	v_add_f64 v[65:66], v[65:66], -v[103:104]
	v_fma_f64 v[99:100], v[101:102], v[97:98], v[99:100]
	v_add_f64 v[67:68], v[67:68], -v[99:100]
	;; [unrolled: 8-line block ×18, first 2 shown]
	ds_read2_b64 v[99:102], v125 offset0:74 offset1:75
	s_waitcnt lgkmcnt(0)
	v_mul_f64 v[103:104], v[101:102], v[115:116]
	v_fma_f64 v[103:104], v[99:100], v[97:98], -v[103:104]
	v_mul_f64 v[99:100], v[99:100], v[115:116]
	buffer_store_dword v113, off, s[20:23], 0 offset:64 ; 4-byte Folded Spill
	s_nop 0
	buffer_store_dword v114, off, s[20:23], 0 offset:68 ; 4-byte Folded Spill
	buffer_store_dword v115, off, s[20:23], 0 offset:72 ; 4-byte Folded Spill
	;; [unrolled: 1-line block ×3, first 2 shown]
	v_add_f64 v[121:122], v[121:122], -v[103:104]
	v_fma_f64 v[99:100], v[101:102], v[97:98], v[99:100]
	v_add_f64 v[123:124], v[123:124], -v[99:100]
	v_mov_b32_e32 v113, v121
	v_mov_b32_e32 v114, v122
	;; [unrolled: 1-line block ×4, first 2 shown]
.LBB75_100:
	s_or_b64 exec, exec, s[2:3]
	v_cmp_eq_u32_e32 vcc, 11, v0
	s_waitcnt vmcnt(0)
	s_barrier
	s_and_saveexec_b64 s[4:5], vcc
	s_cbranch_execz .LBB75_107
; %bb.101:
	ds_write2_b64 v127, v[81:82], v[83:84] offset1:1
	buffer_load_dword v73, off, s[20:23], 0 offset:48 ; 4-byte Folded Reload
	buffer_load_dword v74, off, s[20:23], 0 offset:52 ; 4-byte Folded Reload
	;; [unrolled: 1-line block ×4, first 2 shown]
	s_waitcnt vmcnt(0)
	ds_write2_b64 v125, v[73:74], v[75:76] offset0:24 offset1:25
	ds_write2_b64 v125, v[117:118], v[119:120] offset0:26 offset1:27
	;; [unrolled: 1-line block ×3, first 2 shown]
	buffer_load_dword v97, off, s[20:23], 0 offset:32 ; 4-byte Folded Reload
	buffer_load_dword v98, off, s[20:23], 0 offset:36 ; 4-byte Folded Reload
	;; [unrolled: 1-line block ×4, first 2 shown]
	s_waitcnt vmcnt(0)
	ds_write2_b64 v125, v[97:98], v[99:100] offset0:30 offset1:31
	ds_write2_b64 v125, v[93:94], v[95:96] offset0:32 offset1:33
	buffer_load_dword v77, off, s[20:23], 0 offset:16 ; 4-byte Folded Reload
	buffer_load_dword v78, off, s[20:23], 0 offset:20 ; 4-byte Folded Reload
	;; [unrolled: 1-line block ×4, first 2 shown]
	s_waitcnt vmcnt(0)
	ds_write2_b64 v125, v[77:78], v[79:80] offset0:34 offset1:35
	buffer_load_dword v73, off, s[20:23], 0 ; 4-byte Folded Reload
	buffer_load_dword v74, off, s[20:23], 0 offset:4 ; 4-byte Folded Reload
	buffer_load_dword v75, off, s[20:23], 0 offset:8 ; 4-byte Folded Reload
	;; [unrolled: 1-line block ×3, first 2 shown]
	s_waitcnt vmcnt(0)
	ds_write2_b64 v125, v[73:74], v[75:76] offset0:36 offset1:37
	ds_write2_b64 v125, v[69:70], v[71:72] offset0:38 offset1:39
	;; [unrolled: 1-line block ×20, first 2 shown]
	ds_read2_b64 v[97:100], v127 offset1:1
	s_waitcnt lgkmcnt(0)
	v_cmp_neq_f64_e32 vcc, 0, v[97:98]
	v_cmp_neq_f64_e64 s[2:3], 0, v[99:100]
	s_or_b64 s[2:3], vcc, s[2:3]
	s_and_b64 exec, exec, s[2:3]
	s_cbranch_execz .LBB75_107
; %bb.102:
	v_cmp_ngt_f64_e64 s[2:3], |v[97:98]|, |v[99:100]|
                                        ; implicit-def: $vgpr101_vgpr102
	s_and_saveexec_b64 s[6:7], s[2:3]
	s_xor_b64 s[2:3], exec, s[6:7]
                                        ; implicit-def: $vgpr103_vgpr104
	s_cbranch_execz .LBB75_104
; %bb.103:
	v_div_scale_f64 v[101:102], s[6:7], v[99:100], v[99:100], v[97:98]
	v_rcp_f64_e32 v[103:104], v[101:102]
	v_fma_f64 v[105:106], -v[101:102], v[103:104], 1.0
	v_fma_f64 v[103:104], v[103:104], v[105:106], v[103:104]
	v_div_scale_f64 v[105:106], vcc, v[97:98], v[99:100], v[97:98]
	v_fma_f64 v[107:108], -v[101:102], v[103:104], 1.0
	v_fma_f64 v[103:104], v[103:104], v[107:108], v[103:104]
	v_mul_f64 v[107:108], v[105:106], v[103:104]
	v_fma_f64 v[101:102], -v[101:102], v[107:108], v[105:106]
	v_div_fmas_f64 v[101:102], v[101:102], v[103:104], v[107:108]
	v_div_fixup_f64 v[101:102], v[101:102], v[99:100], v[97:98]
	v_fma_f64 v[97:98], v[97:98], v[101:102], v[99:100]
	v_div_scale_f64 v[99:100], s[6:7], v[97:98], v[97:98], 1.0
	v_div_scale_f64 v[107:108], vcc, 1.0, v[97:98], 1.0
	v_rcp_f64_e32 v[103:104], v[99:100]
	v_fma_f64 v[105:106], -v[99:100], v[103:104], 1.0
	v_fma_f64 v[103:104], v[103:104], v[105:106], v[103:104]
	v_fma_f64 v[105:106], -v[99:100], v[103:104], 1.0
	v_fma_f64 v[103:104], v[103:104], v[105:106], v[103:104]
	v_mul_f64 v[105:106], v[107:108], v[103:104]
	v_fma_f64 v[99:100], -v[99:100], v[105:106], v[107:108]
	v_div_fmas_f64 v[99:100], v[99:100], v[103:104], v[105:106]
	v_div_fixup_f64 v[103:104], v[99:100], v[97:98], 1.0
                                        ; implicit-def: $vgpr97_vgpr98
	v_mul_f64 v[101:102], v[101:102], v[103:104]
	v_xor_b32_e32 v104, 0x80000000, v104
.LBB75_104:
	s_andn2_saveexec_b64 s[2:3], s[2:3]
	s_cbranch_execz .LBB75_106
; %bb.105:
	v_div_scale_f64 v[101:102], s[6:7], v[97:98], v[97:98], v[99:100]
	v_rcp_f64_e32 v[103:104], v[101:102]
	v_fma_f64 v[105:106], -v[101:102], v[103:104], 1.0
	v_fma_f64 v[103:104], v[103:104], v[105:106], v[103:104]
	v_div_scale_f64 v[105:106], vcc, v[99:100], v[97:98], v[99:100]
	v_fma_f64 v[107:108], -v[101:102], v[103:104], 1.0
	v_fma_f64 v[103:104], v[103:104], v[107:108], v[103:104]
	v_mul_f64 v[107:108], v[105:106], v[103:104]
	v_fma_f64 v[101:102], -v[101:102], v[107:108], v[105:106]
	v_div_fmas_f64 v[101:102], v[101:102], v[103:104], v[107:108]
	v_div_fixup_f64 v[103:104], v[101:102], v[97:98], v[99:100]
	v_fma_f64 v[97:98], v[99:100], v[103:104], v[97:98]
	v_div_scale_f64 v[99:100], s[6:7], v[97:98], v[97:98], 1.0
	v_div_scale_f64 v[107:108], vcc, 1.0, v[97:98], 1.0
	v_rcp_f64_e32 v[101:102], v[99:100]
	v_fma_f64 v[105:106], -v[99:100], v[101:102], 1.0
	v_fma_f64 v[101:102], v[101:102], v[105:106], v[101:102]
	v_fma_f64 v[105:106], -v[99:100], v[101:102], 1.0
	v_fma_f64 v[101:102], v[101:102], v[105:106], v[101:102]
	v_mul_f64 v[105:106], v[107:108], v[101:102]
	v_fma_f64 v[99:100], -v[99:100], v[105:106], v[107:108]
	v_div_fmas_f64 v[99:100], v[99:100], v[101:102], v[105:106]
	v_div_fixup_f64 v[101:102], v[99:100], v[97:98], 1.0
	v_mul_f64 v[103:104], v[103:104], -v[101:102]
.LBB75_106:
	s_or_b64 exec, exec, s[2:3]
	ds_write2_b64 v127, v[101:102], v[103:104] offset1:1
.LBB75_107:
	s_or_b64 exec, exec, s[4:5]
	s_waitcnt lgkmcnt(0)
	s_barrier
	ds_read2_b64 v[73:76], v127 offset1:1
	v_cmp_lt_u32_e32 vcc, 11, v0
	s_waitcnt lgkmcnt(0)
	buffer_store_dword v73, off, s[20:23], 0 offset:736 ; 4-byte Folded Spill
	s_nop 0
	buffer_store_dword v74, off, s[20:23], 0 offset:740 ; 4-byte Folded Spill
	buffer_store_dword v75, off, s[20:23], 0 offset:744 ; 4-byte Folded Spill
	;; [unrolled: 1-line block ×3, first 2 shown]
	s_and_saveexec_b64 s[2:3], vcc
	s_cbranch_execz .LBB75_109
; %bb.108:
	buffer_load_dword v73, off, s[20:23], 0 offset:736 ; 4-byte Folded Reload
	buffer_load_dword v74, off, s[20:23], 0 offset:740 ; 4-byte Folded Reload
	;; [unrolled: 1-line block ×4, first 2 shown]
	s_waitcnt vmcnt(2)
	v_mul_f64 v[99:100], v[73:74], v[83:84]
	s_waitcnt vmcnt(0)
	v_mul_f64 v[97:98], v[75:76], v[83:84]
	v_fma_f64 v[83:84], v[75:76], v[81:82], v[99:100]
	ds_read2_b64 v[99:102], v125 offset0:24 offset1:25
	v_fma_f64 v[97:98], v[73:74], v[81:82], -v[97:98]
	buffer_load_dword v73, off, s[20:23], 0 offset:48 ; 4-byte Folded Reload
	buffer_load_dword v74, off, s[20:23], 0 offset:52 ; 4-byte Folded Reload
	;; [unrolled: 1-line block ×4, first 2 shown]
	s_waitcnt lgkmcnt(0)
	v_mul_f64 v[103:104], v[101:102], v[83:84]
	v_mov_b32_e32 v81, v97
	v_mov_b32_e32 v82, v98
	v_fma_f64 v[103:104], v[99:100], v[97:98], -v[103:104]
	v_mul_f64 v[99:100], v[99:100], v[83:84]
	v_fma_f64 v[99:100], v[101:102], v[97:98], v[99:100]
	s_waitcnt vmcnt(2)
	v_add_f64 v[73:74], v[73:74], -v[103:104]
	s_waitcnt vmcnt(0)
	v_add_f64 v[75:76], v[75:76], -v[99:100]
	buffer_store_dword v73, off, s[20:23], 0 offset:48 ; 4-byte Folded Spill
	s_nop 0
	buffer_store_dword v74, off, s[20:23], 0 offset:52 ; 4-byte Folded Spill
	buffer_store_dword v75, off, s[20:23], 0 offset:56 ; 4-byte Folded Spill
	;; [unrolled: 1-line block ×3, first 2 shown]
	ds_read2_b64 v[99:102], v125 offset0:26 offset1:27
	s_waitcnt lgkmcnt(0)
	v_mul_f64 v[103:104], v[101:102], v[83:84]
	v_fma_f64 v[103:104], v[99:100], v[97:98], -v[103:104]
	v_mul_f64 v[99:100], v[99:100], v[83:84]
	v_add_f64 v[117:118], v[117:118], -v[103:104]
	v_fma_f64 v[99:100], v[101:102], v[97:98], v[99:100]
	v_add_f64 v[119:120], v[119:120], -v[99:100]
	ds_read2_b64 v[99:102], v125 offset0:28 offset1:29
	s_waitcnt lgkmcnt(0)
	v_mul_f64 v[103:104], v[101:102], v[83:84]
	v_fma_f64 v[103:104], v[99:100], v[97:98], -v[103:104]
	v_mul_f64 v[99:100], v[99:100], v[83:84]
	v_add_f64 v[109:110], v[109:110], -v[103:104]
	v_fma_f64 v[99:100], v[101:102], v[97:98], v[99:100]
	v_add_f64 v[111:112], v[111:112], -v[99:100]
	ds_read2_b64 v[99:102], v125 offset0:30 offset1:31
	buffer_load_dword v105, off, s[20:23], 0 offset:32 ; 4-byte Folded Reload
	buffer_load_dword v106, off, s[20:23], 0 offset:36 ; 4-byte Folded Reload
	;; [unrolled: 1-line block ×4, first 2 shown]
	s_waitcnt lgkmcnt(0)
	v_mul_f64 v[103:104], v[101:102], v[83:84]
	v_fma_f64 v[103:104], v[99:100], v[97:98], -v[103:104]
	v_mul_f64 v[99:100], v[99:100], v[83:84]
	v_fma_f64 v[99:100], v[101:102], v[97:98], v[99:100]
	s_waitcnt vmcnt(2)
	v_add_f64 v[105:106], v[105:106], -v[103:104]
	s_waitcnt vmcnt(0)
	v_add_f64 v[107:108], v[107:108], -v[99:100]
	buffer_store_dword v105, off, s[20:23], 0 offset:32 ; 4-byte Folded Spill
	s_nop 0
	buffer_store_dword v106, off, s[20:23], 0 offset:36 ; 4-byte Folded Spill
	buffer_store_dword v107, off, s[20:23], 0 offset:40 ; 4-byte Folded Spill
	;; [unrolled: 1-line block ×3, first 2 shown]
	ds_read2_b64 v[99:102], v125 offset0:32 offset1:33
	s_waitcnt lgkmcnt(0)
	v_mul_f64 v[103:104], v[101:102], v[83:84]
	v_fma_f64 v[103:104], v[99:100], v[97:98], -v[103:104]
	v_mul_f64 v[99:100], v[99:100], v[83:84]
	v_add_f64 v[93:94], v[93:94], -v[103:104]
	v_fma_f64 v[99:100], v[101:102], v[97:98], v[99:100]
	v_add_f64 v[95:96], v[95:96], -v[99:100]
	ds_read2_b64 v[99:102], v125 offset0:34 offset1:35
	buffer_load_dword v77, off, s[20:23], 0 offset:16 ; 4-byte Folded Reload
	buffer_load_dword v78, off, s[20:23], 0 offset:20 ; 4-byte Folded Reload
	buffer_load_dword v79, off, s[20:23], 0 offset:24 ; 4-byte Folded Reload
	buffer_load_dword v80, off, s[20:23], 0 offset:28 ; 4-byte Folded Reload
	s_waitcnt lgkmcnt(0)
	v_mul_f64 v[103:104], v[101:102], v[83:84]
	v_fma_f64 v[103:104], v[99:100], v[97:98], -v[103:104]
	v_mul_f64 v[99:100], v[99:100], v[83:84]
	v_fma_f64 v[99:100], v[101:102], v[97:98], v[99:100]
	s_waitcnt vmcnt(2)
	v_add_f64 v[77:78], v[77:78], -v[103:104]
	s_waitcnt vmcnt(0)
	v_add_f64 v[79:80], v[79:80], -v[99:100]
	buffer_store_dword v77, off, s[20:23], 0 offset:16 ; 4-byte Folded Spill
	s_nop 0
	buffer_store_dword v78, off, s[20:23], 0 offset:20 ; 4-byte Folded Spill
	buffer_store_dword v79, off, s[20:23], 0 offset:24 ; 4-byte Folded Spill
	;; [unrolled: 1-line block ×3, first 2 shown]
	ds_read2_b64 v[99:102], v125 offset0:36 offset1:37
	buffer_load_dword v73, off, s[20:23], 0 ; 4-byte Folded Reload
	buffer_load_dword v74, off, s[20:23], 0 offset:4 ; 4-byte Folded Reload
	buffer_load_dword v75, off, s[20:23], 0 offset:8 ; 4-byte Folded Reload
	;; [unrolled: 1-line block ×3, first 2 shown]
	s_waitcnt lgkmcnt(0)
	v_mul_f64 v[103:104], v[101:102], v[83:84]
	v_fma_f64 v[103:104], v[99:100], v[97:98], -v[103:104]
	v_mul_f64 v[99:100], v[99:100], v[83:84]
	v_fma_f64 v[99:100], v[101:102], v[97:98], v[99:100]
	s_waitcnt vmcnt(2)
	v_add_f64 v[73:74], v[73:74], -v[103:104]
	s_waitcnt vmcnt(0)
	v_add_f64 v[75:76], v[75:76], -v[99:100]
	buffer_store_dword v73, off, s[20:23], 0 ; 4-byte Folded Spill
	s_nop 0
	buffer_store_dword v74, off, s[20:23], 0 offset:4 ; 4-byte Folded Spill
	buffer_store_dword v75, off, s[20:23], 0 offset:8 ; 4-byte Folded Spill
	;; [unrolled: 1-line block ×3, first 2 shown]
	ds_read2_b64 v[99:102], v125 offset0:38 offset1:39
	s_waitcnt lgkmcnt(0)
	v_mul_f64 v[103:104], v[101:102], v[83:84]
	v_fma_f64 v[103:104], v[99:100], v[97:98], -v[103:104]
	v_mul_f64 v[99:100], v[99:100], v[83:84]
	v_add_f64 v[69:70], v[69:70], -v[103:104]
	v_fma_f64 v[99:100], v[101:102], v[97:98], v[99:100]
	v_add_f64 v[71:72], v[71:72], -v[99:100]
	ds_read2_b64 v[99:102], v125 offset0:40 offset1:41
	s_waitcnt lgkmcnt(0)
	v_mul_f64 v[103:104], v[101:102], v[83:84]
	v_fma_f64 v[103:104], v[99:100], v[97:98], -v[103:104]
	v_mul_f64 v[99:100], v[99:100], v[83:84]
	v_add_f64 v[65:66], v[65:66], -v[103:104]
	v_fma_f64 v[99:100], v[101:102], v[97:98], v[99:100]
	v_add_f64 v[67:68], v[67:68], -v[99:100]
	ds_read2_b64 v[99:102], v125 offset0:42 offset1:43
	s_waitcnt lgkmcnt(0)
	v_mul_f64 v[103:104], v[101:102], v[83:84]
	v_fma_f64 v[103:104], v[99:100], v[97:98], -v[103:104]
	v_mul_f64 v[99:100], v[99:100], v[83:84]
	v_add_f64 v[61:62], v[61:62], -v[103:104]
	v_fma_f64 v[99:100], v[101:102], v[97:98], v[99:100]
	v_add_f64 v[63:64], v[63:64], -v[99:100]
	ds_read2_b64 v[99:102], v125 offset0:44 offset1:45
	s_waitcnt lgkmcnt(0)
	v_mul_f64 v[103:104], v[101:102], v[83:84]
	v_fma_f64 v[103:104], v[99:100], v[97:98], -v[103:104]
	v_mul_f64 v[99:100], v[99:100], v[83:84]
	v_add_f64 v[57:58], v[57:58], -v[103:104]
	v_fma_f64 v[99:100], v[101:102], v[97:98], v[99:100]
	v_add_f64 v[59:60], v[59:60], -v[99:100]
	ds_read2_b64 v[99:102], v125 offset0:46 offset1:47
	s_waitcnt lgkmcnt(0)
	v_mul_f64 v[103:104], v[101:102], v[83:84]
	v_fma_f64 v[103:104], v[99:100], v[97:98], -v[103:104]
	v_mul_f64 v[99:100], v[99:100], v[83:84]
	v_add_f64 v[53:54], v[53:54], -v[103:104]
	v_fma_f64 v[99:100], v[101:102], v[97:98], v[99:100]
	v_add_f64 v[55:56], v[55:56], -v[99:100]
	ds_read2_b64 v[99:102], v125 offset0:48 offset1:49
	s_waitcnt lgkmcnt(0)
	v_mul_f64 v[103:104], v[101:102], v[83:84]
	v_fma_f64 v[103:104], v[99:100], v[97:98], -v[103:104]
	v_mul_f64 v[99:100], v[99:100], v[83:84]
	v_add_f64 v[49:50], v[49:50], -v[103:104]
	v_fma_f64 v[99:100], v[101:102], v[97:98], v[99:100]
	v_add_f64 v[51:52], v[51:52], -v[99:100]
	ds_read2_b64 v[99:102], v125 offset0:50 offset1:51
	s_waitcnt lgkmcnt(0)
	v_mul_f64 v[103:104], v[101:102], v[83:84]
	v_fma_f64 v[103:104], v[99:100], v[97:98], -v[103:104]
	v_mul_f64 v[99:100], v[99:100], v[83:84]
	v_add_f64 v[45:46], v[45:46], -v[103:104]
	v_fma_f64 v[99:100], v[101:102], v[97:98], v[99:100]
	v_add_f64 v[47:48], v[47:48], -v[99:100]
	ds_read2_b64 v[99:102], v125 offset0:52 offset1:53
	s_waitcnt lgkmcnt(0)
	v_mul_f64 v[103:104], v[101:102], v[83:84]
	v_fma_f64 v[103:104], v[99:100], v[97:98], -v[103:104]
	v_mul_f64 v[99:100], v[99:100], v[83:84]
	v_add_f64 v[41:42], v[41:42], -v[103:104]
	v_fma_f64 v[99:100], v[101:102], v[97:98], v[99:100]
	v_add_f64 v[43:44], v[43:44], -v[99:100]
	ds_read2_b64 v[99:102], v125 offset0:54 offset1:55
	s_waitcnt lgkmcnt(0)
	v_mul_f64 v[103:104], v[101:102], v[83:84]
	v_fma_f64 v[103:104], v[99:100], v[97:98], -v[103:104]
	v_mul_f64 v[99:100], v[99:100], v[83:84]
	v_add_f64 v[37:38], v[37:38], -v[103:104]
	v_fma_f64 v[99:100], v[101:102], v[97:98], v[99:100]
	v_add_f64 v[39:40], v[39:40], -v[99:100]
	ds_read2_b64 v[99:102], v125 offset0:56 offset1:57
	s_waitcnt lgkmcnt(0)
	v_mul_f64 v[103:104], v[101:102], v[83:84]
	v_fma_f64 v[103:104], v[99:100], v[97:98], -v[103:104]
	v_mul_f64 v[99:100], v[99:100], v[83:84]
	v_add_f64 v[33:34], v[33:34], -v[103:104]
	v_fma_f64 v[99:100], v[101:102], v[97:98], v[99:100]
	v_add_f64 v[35:36], v[35:36], -v[99:100]
	ds_read2_b64 v[99:102], v125 offset0:58 offset1:59
	s_waitcnt lgkmcnt(0)
	v_mul_f64 v[103:104], v[101:102], v[83:84]
	v_fma_f64 v[103:104], v[99:100], v[97:98], -v[103:104]
	v_mul_f64 v[99:100], v[99:100], v[83:84]
	v_add_f64 v[29:30], v[29:30], -v[103:104]
	v_fma_f64 v[99:100], v[101:102], v[97:98], v[99:100]
	v_add_f64 v[31:32], v[31:32], -v[99:100]
	ds_read2_b64 v[99:102], v125 offset0:60 offset1:61
	s_waitcnt lgkmcnt(0)
	v_mul_f64 v[103:104], v[101:102], v[83:84]
	v_fma_f64 v[103:104], v[99:100], v[97:98], -v[103:104]
	v_mul_f64 v[99:100], v[99:100], v[83:84]
	v_add_f64 v[25:26], v[25:26], -v[103:104]
	v_fma_f64 v[99:100], v[101:102], v[97:98], v[99:100]
	v_add_f64 v[27:28], v[27:28], -v[99:100]
	ds_read2_b64 v[99:102], v125 offset0:62 offset1:63
	s_waitcnt lgkmcnt(0)
	v_mul_f64 v[103:104], v[101:102], v[83:84]
	v_fma_f64 v[103:104], v[99:100], v[97:98], -v[103:104]
	v_mul_f64 v[99:100], v[99:100], v[83:84]
	v_add_f64 v[21:22], v[21:22], -v[103:104]
	v_fma_f64 v[99:100], v[101:102], v[97:98], v[99:100]
	v_add_f64 v[23:24], v[23:24], -v[99:100]
	ds_read2_b64 v[99:102], v125 offset0:64 offset1:65
	s_waitcnt lgkmcnt(0)
	v_mul_f64 v[103:104], v[101:102], v[83:84]
	v_fma_f64 v[103:104], v[99:100], v[97:98], -v[103:104]
	v_mul_f64 v[99:100], v[99:100], v[83:84]
	v_add_f64 v[17:18], v[17:18], -v[103:104]
	v_fma_f64 v[99:100], v[101:102], v[97:98], v[99:100]
	v_add_f64 v[19:20], v[19:20], -v[99:100]
	ds_read2_b64 v[99:102], v125 offset0:66 offset1:67
	s_waitcnt lgkmcnt(0)
	v_mul_f64 v[103:104], v[101:102], v[83:84]
	v_fma_f64 v[103:104], v[99:100], v[97:98], -v[103:104]
	v_mul_f64 v[99:100], v[99:100], v[83:84]
	v_add_f64 v[13:14], v[13:14], -v[103:104]
	v_fma_f64 v[99:100], v[101:102], v[97:98], v[99:100]
	v_add_f64 v[15:16], v[15:16], -v[99:100]
	ds_read2_b64 v[99:102], v125 offset0:68 offset1:69
	s_waitcnt lgkmcnt(0)
	v_mul_f64 v[103:104], v[101:102], v[83:84]
	v_fma_f64 v[103:104], v[99:100], v[97:98], -v[103:104]
	v_mul_f64 v[99:100], v[99:100], v[83:84]
	v_add_f64 v[9:10], v[9:10], -v[103:104]
	v_fma_f64 v[99:100], v[101:102], v[97:98], v[99:100]
	v_add_f64 v[11:12], v[11:12], -v[99:100]
	ds_read2_b64 v[99:102], v125 offset0:70 offset1:71
	s_waitcnt lgkmcnt(0)
	v_mul_f64 v[103:104], v[101:102], v[83:84]
	v_fma_f64 v[103:104], v[99:100], v[97:98], -v[103:104]
	v_mul_f64 v[99:100], v[99:100], v[83:84]
	v_add_f64 v[5:6], v[5:6], -v[103:104]
	v_fma_f64 v[99:100], v[101:102], v[97:98], v[99:100]
	v_add_f64 v[7:8], v[7:8], -v[99:100]
	ds_read2_b64 v[99:102], v125 offset0:72 offset1:73
	s_waitcnt lgkmcnt(0)
	v_mul_f64 v[103:104], v[101:102], v[83:84]
	v_fma_f64 v[103:104], v[99:100], v[97:98], -v[103:104]
	v_mul_f64 v[99:100], v[99:100], v[83:84]
	v_add_f64 v[1:2], v[1:2], -v[103:104]
	v_fma_f64 v[99:100], v[101:102], v[97:98], v[99:100]
	v_add_f64 v[3:4], v[3:4], -v[99:100]
	ds_read2_b64 v[99:102], v125 offset0:74 offset1:75
	s_waitcnt lgkmcnt(0)
	v_mul_f64 v[103:104], v[101:102], v[83:84]
	v_fma_f64 v[103:104], v[99:100], v[97:98], -v[103:104]
	v_mul_f64 v[99:100], v[99:100], v[83:84]
	v_add_f64 v[113:114], v[113:114], -v[103:104]
	v_fma_f64 v[99:100], v[101:102], v[97:98], v[99:100]
	v_add_f64 v[115:116], v[115:116], -v[99:100]
.LBB75_109:
	s_or_b64 exec, exec, s[2:3]
	v_cmp_eq_u32_e32 vcc, 12, v0
	s_waitcnt vmcnt(0)
	s_barrier
	s_and_saveexec_b64 s[4:5], vcc
	s_cbranch_execz .LBB75_116
; %bb.110:
	buffer_load_dword v73, off, s[20:23], 0 offset:48 ; 4-byte Folded Reload
	buffer_load_dword v74, off, s[20:23], 0 offset:52 ; 4-byte Folded Reload
	;; [unrolled: 1-line block ×4, first 2 shown]
	s_waitcnt vmcnt(0)
	ds_write2_b64 v127, v[73:74], v[75:76] offset1:1
	ds_write2_b64 v125, v[117:118], v[119:120] offset0:26 offset1:27
	ds_write2_b64 v125, v[109:110], v[111:112] offset0:28 offset1:29
	buffer_load_dword v97, off, s[20:23], 0 offset:32 ; 4-byte Folded Reload
	buffer_load_dword v98, off, s[20:23], 0 offset:36 ; 4-byte Folded Reload
	;; [unrolled: 1-line block ×4, first 2 shown]
	s_waitcnt vmcnt(0)
	ds_write2_b64 v125, v[97:98], v[99:100] offset0:30 offset1:31
	ds_write2_b64 v125, v[93:94], v[95:96] offset0:32 offset1:33
	buffer_load_dword v77, off, s[20:23], 0 offset:16 ; 4-byte Folded Reload
	buffer_load_dword v78, off, s[20:23], 0 offset:20 ; 4-byte Folded Reload
	;; [unrolled: 1-line block ×4, first 2 shown]
	s_waitcnt vmcnt(0)
	ds_write2_b64 v125, v[77:78], v[79:80] offset0:34 offset1:35
	buffer_load_dword v73, off, s[20:23], 0 ; 4-byte Folded Reload
	buffer_load_dword v74, off, s[20:23], 0 offset:4 ; 4-byte Folded Reload
	buffer_load_dword v75, off, s[20:23], 0 offset:8 ; 4-byte Folded Reload
	;; [unrolled: 1-line block ×3, first 2 shown]
	s_waitcnt vmcnt(0)
	ds_write2_b64 v125, v[73:74], v[75:76] offset0:36 offset1:37
	ds_write2_b64 v125, v[69:70], v[71:72] offset0:38 offset1:39
	;; [unrolled: 1-line block ×20, first 2 shown]
	ds_read2_b64 v[97:100], v127 offset1:1
	s_waitcnt lgkmcnt(0)
	v_cmp_neq_f64_e32 vcc, 0, v[97:98]
	v_cmp_neq_f64_e64 s[2:3], 0, v[99:100]
	s_or_b64 s[2:3], vcc, s[2:3]
	s_and_b64 exec, exec, s[2:3]
	s_cbranch_execz .LBB75_116
; %bb.111:
	v_cmp_ngt_f64_e64 s[2:3], |v[97:98]|, |v[99:100]|
                                        ; implicit-def: $vgpr101_vgpr102
	s_and_saveexec_b64 s[6:7], s[2:3]
	s_xor_b64 s[2:3], exec, s[6:7]
                                        ; implicit-def: $vgpr103_vgpr104
	s_cbranch_execz .LBB75_113
; %bb.112:
	v_div_scale_f64 v[101:102], s[6:7], v[99:100], v[99:100], v[97:98]
	v_rcp_f64_e32 v[103:104], v[101:102]
	v_fma_f64 v[105:106], -v[101:102], v[103:104], 1.0
	v_fma_f64 v[103:104], v[103:104], v[105:106], v[103:104]
	v_div_scale_f64 v[105:106], vcc, v[97:98], v[99:100], v[97:98]
	v_fma_f64 v[107:108], -v[101:102], v[103:104], 1.0
	v_fma_f64 v[103:104], v[103:104], v[107:108], v[103:104]
	v_mul_f64 v[107:108], v[105:106], v[103:104]
	v_fma_f64 v[101:102], -v[101:102], v[107:108], v[105:106]
	v_div_fmas_f64 v[101:102], v[101:102], v[103:104], v[107:108]
	v_div_fixup_f64 v[101:102], v[101:102], v[99:100], v[97:98]
	v_fma_f64 v[97:98], v[97:98], v[101:102], v[99:100]
	v_div_scale_f64 v[99:100], s[6:7], v[97:98], v[97:98], 1.0
	v_div_scale_f64 v[107:108], vcc, 1.0, v[97:98], 1.0
	v_rcp_f64_e32 v[103:104], v[99:100]
	v_fma_f64 v[105:106], -v[99:100], v[103:104], 1.0
	v_fma_f64 v[103:104], v[103:104], v[105:106], v[103:104]
	v_fma_f64 v[105:106], -v[99:100], v[103:104], 1.0
	v_fma_f64 v[103:104], v[103:104], v[105:106], v[103:104]
	v_mul_f64 v[105:106], v[107:108], v[103:104]
	v_fma_f64 v[99:100], -v[99:100], v[105:106], v[107:108]
	v_div_fmas_f64 v[99:100], v[99:100], v[103:104], v[105:106]
	v_div_fixup_f64 v[103:104], v[99:100], v[97:98], 1.0
                                        ; implicit-def: $vgpr97_vgpr98
	v_mul_f64 v[101:102], v[101:102], v[103:104]
	v_xor_b32_e32 v104, 0x80000000, v104
.LBB75_113:
	s_andn2_saveexec_b64 s[2:3], s[2:3]
	s_cbranch_execz .LBB75_115
; %bb.114:
	v_div_scale_f64 v[101:102], s[6:7], v[97:98], v[97:98], v[99:100]
	v_rcp_f64_e32 v[103:104], v[101:102]
	v_fma_f64 v[105:106], -v[101:102], v[103:104], 1.0
	v_fma_f64 v[103:104], v[103:104], v[105:106], v[103:104]
	v_div_scale_f64 v[105:106], vcc, v[99:100], v[97:98], v[99:100]
	v_fma_f64 v[107:108], -v[101:102], v[103:104], 1.0
	v_fma_f64 v[103:104], v[103:104], v[107:108], v[103:104]
	v_mul_f64 v[107:108], v[105:106], v[103:104]
	v_fma_f64 v[101:102], -v[101:102], v[107:108], v[105:106]
	v_div_fmas_f64 v[101:102], v[101:102], v[103:104], v[107:108]
	v_div_fixup_f64 v[103:104], v[101:102], v[97:98], v[99:100]
	v_fma_f64 v[97:98], v[99:100], v[103:104], v[97:98]
	v_div_scale_f64 v[99:100], s[6:7], v[97:98], v[97:98], 1.0
	v_div_scale_f64 v[107:108], vcc, 1.0, v[97:98], 1.0
	v_rcp_f64_e32 v[101:102], v[99:100]
	v_fma_f64 v[105:106], -v[99:100], v[101:102], 1.0
	v_fma_f64 v[101:102], v[101:102], v[105:106], v[101:102]
	v_fma_f64 v[105:106], -v[99:100], v[101:102], 1.0
	v_fma_f64 v[101:102], v[101:102], v[105:106], v[101:102]
	v_mul_f64 v[105:106], v[107:108], v[101:102]
	v_fma_f64 v[99:100], -v[99:100], v[105:106], v[107:108]
	v_div_fmas_f64 v[99:100], v[99:100], v[101:102], v[105:106]
	v_div_fixup_f64 v[101:102], v[99:100], v[97:98], 1.0
	v_mul_f64 v[103:104], v[103:104], -v[101:102]
.LBB75_115:
	s_or_b64 exec, exec, s[2:3]
	ds_write2_b64 v127, v[101:102], v[103:104] offset1:1
.LBB75_116:
	s_or_b64 exec, exec, s[4:5]
	s_waitcnt lgkmcnt(0)
	s_barrier
	ds_read2_b64 v[73:76], v127 offset1:1
	v_cmp_lt_u32_e32 vcc, 12, v0
	s_waitcnt lgkmcnt(0)
	buffer_store_dword v73, off, s[20:23], 0 offset:752 ; 4-byte Folded Spill
	s_nop 0
	buffer_store_dword v74, off, s[20:23], 0 offset:756 ; 4-byte Folded Spill
	buffer_store_dword v75, off, s[20:23], 0 offset:760 ; 4-byte Folded Spill
	buffer_store_dword v76, off, s[20:23], 0 offset:764 ; 4-byte Folded Spill
	s_and_saveexec_b64 s[2:3], vcc
	s_cbranch_execz .LBB75_118
; %bb.117:
	buffer_load_dword v121, off, s[20:23], 0 offset:48 ; 4-byte Folded Reload
	buffer_load_dword v122, off, s[20:23], 0 offset:52 ; 4-byte Folded Reload
	;; [unrolled: 1-line block ×8, first 2 shown]
	s_waitcnt vmcnt(2)
	v_mul_f64 v[99:100], v[73:74], v[123:124]
	s_waitcnt vmcnt(0)
	v_mul_f64 v[97:98], v[75:76], v[123:124]
	v_fma_f64 v[123:124], v[75:76], v[121:122], v[99:100]
	ds_read2_b64 v[99:102], v125 offset0:26 offset1:27
	v_fma_f64 v[97:98], v[73:74], v[121:122], -v[97:98]
	s_waitcnt lgkmcnt(0)
	v_mul_f64 v[103:104], v[101:102], v[123:124]
	v_mov_b32_e32 v122, v98
	v_mov_b32_e32 v121, v97
	v_fma_f64 v[103:104], v[99:100], v[97:98], -v[103:104]
	v_mul_f64 v[99:100], v[99:100], v[123:124]
	v_add_f64 v[117:118], v[117:118], -v[103:104]
	v_fma_f64 v[99:100], v[101:102], v[97:98], v[99:100]
	v_add_f64 v[119:120], v[119:120], -v[99:100]
	ds_read2_b64 v[99:102], v125 offset0:28 offset1:29
	s_waitcnt lgkmcnt(0)
	v_mul_f64 v[103:104], v[101:102], v[123:124]
	v_fma_f64 v[103:104], v[99:100], v[97:98], -v[103:104]
	v_mul_f64 v[99:100], v[99:100], v[123:124]
	v_add_f64 v[109:110], v[109:110], -v[103:104]
	v_fma_f64 v[99:100], v[101:102], v[97:98], v[99:100]
	v_add_f64 v[111:112], v[111:112], -v[99:100]
	ds_read2_b64 v[99:102], v125 offset0:30 offset1:31
	buffer_load_dword v105, off, s[20:23], 0 offset:32 ; 4-byte Folded Reload
	buffer_load_dword v106, off, s[20:23], 0 offset:36 ; 4-byte Folded Reload
	;; [unrolled: 1-line block ×4, first 2 shown]
	s_waitcnt lgkmcnt(0)
	v_mul_f64 v[103:104], v[101:102], v[123:124]
	v_fma_f64 v[103:104], v[99:100], v[97:98], -v[103:104]
	v_mul_f64 v[99:100], v[99:100], v[123:124]
	v_fma_f64 v[99:100], v[101:102], v[97:98], v[99:100]
	s_waitcnt vmcnt(2)
	v_add_f64 v[105:106], v[105:106], -v[103:104]
	s_waitcnt vmcnt(0)
	v_add_f64 v[107:108], v[107:108], -v[99:100]
	buffer_store_dword v105, off, s[20:23], 0 offset:32 ; 4-byte Folded Spill
	s_nop 0
	buffer_store_dword v106, off, s[20:23], 0 offset:36 ; 4-byte Folded Spill
	buffer_store_dword v107, off, s[20:23], 0 offset:40 ; 4-byte Folded Spill
	buffer_store_dword v108, off, s[20:23], 0 offset:44 ; 4-byte Folded Spill
	ds_read2_b64 v[99:102], v125 offset0:32 offset1:33
	s_waitcnt lgkmcnt(0)
	v_mul_f64 v[103:104], v[101:102], v[123:124]
	v_fma_f64 v[103:104], v[99:100], v[97:98], -v[103:104]
	v_mul_f64 v[99:100], v[99:100], v[123:124]
	v_add_f64 v[93:94], v[93:94], -v[103:104]
	v_fma_f64 v[99:100], v[101:102], v[97:98], v[99:100]
	v_add_f64 v[95:96], v[95:96], -v[99:100]
	ds_read2_b64 v[99:102], v125 offset0:34 offset1:35
	buffer_load_dword v77, off, s[20:23], 0 offset:16 ; 4-byte Folded Reload
	buffer_load_dword v78, off, s[20:23], 0 offset:20 ; 4-byte Folded Reload
	;; [unrolled: 1-line block ×4, first 2 shown]
	s_waitcnt lgkmcnt(0)
	v_mul_f64 v[103:104], v[101:102], v[123:124]
	v_fma_f64 v[103:104], v[99:100], v[97:98], -v[103:104]
	v_mul_f64 v[99:100], v[99:100], v[123:124]
	v_fma_f64 v[99:100], v[101:102], v[97:98], v[99:100]
	s_waitcnt vmcnt(2)
	v_add_f64 v[77:78], v[77:78], -v[103:104]
	s_waitcnt vmcnt(0)
	v_add_f64 v[79:80], v[79:80], -v[99:100]
	buffer_store_dword v77, off, s[20:23], 0 offset:16 ; 4-byte Folded Spill
	s_nop 0
	buffer_store_dword v78, off, s[20:23], 0 offset:20 ; 4-byte Folded Spill
	buffer_store_dword v79, off, s[20:23], 0 offset:24 ; 4-byte Folded Spill
	buffer_store_dword v80, off, s[20:23], 0 offset:28 ; 4-byte Folded Spill
	ds_read2_b64 v[99:102], v125 offset0:36 offset1:37
	buffer_load_dword v73, off, s[20:23], 0 ; 4-byte Folded Reload
	buffer_load_dword v74, off, s[20:23], 0 offset:4 ; 4-byte Folded Reload
	buffer_load_dword v75, off, s[20:23], 0 offset:8 ; 4-byte Folded Reload
	;; [unrolled: 1-line block ×3, first 2 shown]
	s_waitcnt lgkmcnt(0)
	v_mul_f64 v[103:104], v[101:102], v[123:124]
	v_fma_f64 v[103:104], v[99:100], v[97:98], -v[103:104]
	v_mul_f64 v[99:100], v[99:100], v[123:124]
	v_fma_f64 v[99:100], v[101:102], v[97:98], v[99:100]
	s_waitcnt vmcnt(2)
	v_add_f64 v[73:74], v[73:74], -v[103:104]
	s_waitcnt vmcnt(0)
	v_add_f64 v[75:76], v[75:76], -v[99:100]
	buffer_store_dword v73, off, s[20:23], 0 ; 4-byte Folded Spill
	s_nop 0
	buffer_store_dword v74, off, s[20:23], 0 offset:4 ; 4-byte Folded Spill
	buffer_store_dword v75, off, s[20:23], 0 offset:8 ; 4-byte Folded Spill
	;; [unrolled: 1-line block ×3, first 2 shown]
	ds_read2_b64 v[99:102], v125 offset0:38 offset1:39
	s_waitcnt lgkmcnt(0)
	v_mul_f64 v[103:104], v[101:102], v[123:124]
	v_fma_f64 v[103:104], v[99:100], v[97:98], -v[103:104]
	v_mul_f64 v[99:100], v[99:100], v[123:124]
	v_add_f64 v[69:70], v[69:70], -v[103:104]
	v_fma_f64 v[99:100], v[101:102], v[97:98], v[99:100]
	v_add_f64 v[71:72], v[71:72], -v[99:100]
	ds_read2_b64 v[99:102], v125 offset0:40 offset1:41
	s_waitcnt lgkmcnt(0)
	v_mul_f64 v[103:104], v[101:102], v[123:124]
	v_fma_f64 v[103:104], v[99:100], v[97:98], -v[103:104]
	v_mul_f64 v[99:100], v[99:100], v[123:124]
	v_add_f64 v[65:66], v[65:66], -v[103:104]
	v_fma_f64 v[99:100], v[101:102], v[97:98], v[99:100]
	v_add_f64 v[67:68], v[67:68], -v[99:100]
	;; [unrolled: 8-line block ×18, first 2 shown]
	ds_read2_b64 v[99:102], v125 offset0:74 offset1:75
	s_waitcnt lgkmcnt(0)
	v_mul_f64 v[103:104], v[101:102], v[123:124]
	v_fma_f64 v[103:104], v[99:100], v[97:98], -v[103:104]
	v_mul_f64 v[99:100], v[99:100], v[123:124]
	buffer_store_dword v121, off, s[20:23], 0 offset:48 ; 4-byte Folded Spill
	s_nop 0
	buffer_store_dword v122, off, s[20:23], 0 offset:52 ; 4-byte Folded Spill
	buffer_store_dword v123, off, s[20:23], 0 offset:56 ; 4-byte Folded Spill
	;; [unrolled: 1-line block ×3, first 2 shown]
	v_add_f64 v[113:114], v[113:114], -v[103:104]
	v_fma_f64 v[99:100], v[101:102], v[97:98], v[99:100]
	v_add_f64 v[115:116], v[115:116], -v[99:100]
.LBB75_118:
	s_or_b64 exec, exec, s[2:3]
	v_cmp_eq_u32_e32 vcc, 13, v0
	s_waitcnt vmcnt(0)
	s_barrier
	s_and_saveexec_b64 s[4:5], vcc
	s_cbranch_execz .LBB75_125
; %bb.119:
	ds_write2_b64 v127, v[117:118], v[119:120] offset1:1
	ds_write2_b64 v125, v[109:110], v[111:112] offset0:28 offset1:29
	buffer_load_dword v97, off, s[20:23], 0 offset:32 ; 4-byte Folded Reload
	buffer_load_dword v98, off, s[20:23], 0 offset:36 ; 4-byte Folded Reload
	buffer_load_dword v99, off, s[20:23], 0 offset:40 ; 4-byte Folded Reload
	buffer_load_dword v100, off, s[20:23], 0 offset:44 ; 4-byte Folded Reload
	s_waitcnt vmcnt(0)
	ds_write2_b64 v125, v[97:98], v[99:100] offset0:30 offset1:31
	ds_write2_b64 v125, v[93:94], v[95:96] offset0:32 offset1:33
	buffer_load_dword v77, off, s[20:23], 0 offset:16 ; 4-byte Folded Reload
	buffer_load_dword v78, off, s[20:23], 0 offset:20 ; 4-byte Folded Reload
	;; [unrolled: 1-line block ×4, first 2 shown]
	s_waitcnt vmcnt(0)
	ds_write2_b64 v125, v[77:78], v[79:80] offset0:34 offset1:35
	buffer_load_dword v73, off, s[20:23], 0 ; 4-byte Folded Reload
	buffer_load_dword v74, off, s[20:23], 0 offset:4 ; 4-byte Folded Reload
	buffer_load_dword v75, off, s[20:23], 0 offset:8 ; 4-byte Folded Reload
	;; [unrolled: 1-line block ×3, first 2 shown]
	s_waitcnt vmcnt(0)
	ds_write2_b64 v125, v[73:74], v[75:76] offset0:36 offset1:37
	ds_write2_b64 v125, v[69:70], v[71:72] offset0:38 offset1:39
	ds_write2_b64 v125, v[65:66], v[67:68] offset0:40 offset1:41
	ds_write2_b64 v125, v[61:62], v[63:64] offset0:42 offset1:43
	ds_write2_b64 v125, v[57:58], v[59:60] offset0:44 offset1:45
	ds_write2_b64 v125, v[53:54], v[55:56] offset0:46 offset1:47
	ds_write2_b64 v125, v[49:50], v[51:52] offset0:48 offset1:49
	ds_write2_b64 v125, v[45:46], v[47:48] offset0:50 offset1:51
	ds_write2_b64 v125, v[41:42], v[43:44] offset0:52 offset1:53
	ds_write2_b64 v125, v[37:38], v[39:40] offset0:54 offset1:55
	ds_write2_b64 v125, v[33:34], v[35:36] offset0:56 offset1:57
	ds_write2_b64 v125, v[29:30], v[31:32] offset0:58 offset1:59
	ds_write2_b64 v125, v[25:26], v[27:28] offset0:60 offset1:61
	ds_write2_b64 v125, v[21:22], v[23:24] offset0:62 offset1:63
	ds_write2_b64 v125, v[17:18], v[19:20] offset0:64 offset1:65
	ds_write2_b64 v125, v[13:14], v[15:16] offset0:66 offset1:67
	ds_write2_b64 v125, v[9:10], v[11:12] offset0:68 offset1:69
	ds_write2_b64 v125, v[5:6], v[7:8] offset0:70 offset1:71
	ds_write2_b64 v125, v[1:2], v[3:4] offset0:72 offset1:73
	ds_write2_b64 v125, v[113:114], v[115:116] offset0:74 offset1:75
	ds_read2_b64 v[97:100], v127 offset1:1
	s_waitcnt lgkmcnt(0)
	v_cmp_neq_f64_e32 vcc, 0, v[97:98]
	v_cmp_neq_f64_e64 s[2:3], 0, v[99:100]
	s_or_b64 s[2:3], vcc, s[2:3]
	s_and_b64 exec, exec, s[2:3]
	s_cbranch_execz .LBB75_125
; %bb.120:
	v_cmp_ngt_f64_e64 s[2:3], |v[97:98]|, |v[99:100]|
                                        ; implicit-def: $vgpr101_vgpr102
	s_and_saveexec_b64 s[6:7], s[2:3]
	s_xor_b64 s[2:3], exec, s[6:7]
                                        ; implicit-def: $vgpr103_vgpr104
	s_cbranch_execz .LBB75_122
; %bb.121:
	v_div_scale_f64 v[101:102], s[6:7], v[99:100], v[99:100], v[97:98]
	v_rcp_f64_e32 v[103:104], v[101:102]
	v_fma_f64 v[105:106], -v[101:102], v[103:104], 1.0
	v_fma_f64 v[103:104], v[103:104], v[105:106], v[103:104]
	v_div_scale_f64 v[105:106], vcc, v[97:98], v[99:100], v[97:98]
	v_fma_f64 v[107:108], -v[101:102], v[103:104], 1.0
	v_fma_f64 v[103:104], v[103:104], v[107:108], v[103:104]
	v_mul_f64 v[107:108], v[105:106], v[103:104]
	v_fma_f64 v[101:102], -v[101:102], v[107:108], v[105:106]
	v_div_fmas_f64 v[101:102], v[101:102], v[103:104], v[107:108]
	v_div_fixup_f64 v[101:102], v[101:102], v[99:100], v[97:98]
	v_fma_f64 v[97:98], v[97:98], v[101:102], v[99:100]
	v_div_scale_f64 v[99:100], s[6:7], v[97:98], v[97:98], 1.0
	v_div_scale_f64 v[107:108], vcc, 1.0, v[97:98], 1.0
	v_rcp_f64_e32 v[103:104], v[99:100]
	v_fma_f64 v[105:106], -v[99:100], v[103:104], 1.0
	v_fma_f64 v[103:104], v[103:104], v[105:106], v[103:104]
	v_fma_f64 v[105:106], -v[99:100], v[103:104], 1.0
	v_fma_f64 v[103:104], v[103:104], v[105:106], v[103:104]
	v_mul_f64 v[105:106], v[107:108], v[103:104]
	v_fma_f64 v[99:100], -v[99:100], v[105:106], v[107:108]
	v_div_fmas_f64 v[99:100], v[99:100], v[103:104], v[105:106]
	v_div_fixup_f64 v[103:104], v[99:100], v[97:98], 1.0
                                        ; implicit-def: $vgpr97_vgpr98
	v_mul_f64 v[101:102], v[101:102], v[103:104]
	v_xor_b32_e32 v104, 0x80000000, v104
.LBB75_122:
	s_andn2_saveexec_b64 s[2:3], s[2:3]
	s_cbranch_execz .LBB75_124
; %bb.123:
	v_div_scale_f64 v[101:102], s[6:7], v[97:98], v[97:98], v[99:100]
	v_rcp_f64_e32 v[103:104], v[101:102]
	v_fma_f64 v[105:106], -v[101:102], v[103:104], 1.0
	v_fma_f64 v[103:104], v[103:104], v[105:106], v[103:104]
	v_div_scale_f64 v[105:106], vcc, v[99:100], v[97:98], v[99:100]
	v_fma_f64 v[107:108], -v[101:102], v[103:104], 1.0
	v_fma_f64 v[103:104], v[103:104], v[107:108], v[103:104]
	v_mul_f64 v[107:108], v[105:106], v[103:104]
	v_fma_f64 v[101:102], -v[101:102], v[107:108], v[105:106]
	v_div_fmas_f64 v[101:102], v[101:102], v[103:104], v[107:108]
	v_div_fixup_f64 v[103:104], v[101:102], v[97:98], v[99:100]
	v_fma_f64 v[97:98], v[99:100], v[103:104], v[97:98]
	v_div_scale_f64 v[99:100], s[6:7], v[97:98], v[97:98], 1.0
	v_div_scale_f64 v[107:108], vcc, 1.0, v[97:98], 1.0
	v_rcp_f64_e32 v[101:102], v[99:100]
	v_fma_f64 v[105:106], -v[99:100], v[101:102], 1.0
	v_fma_f64 v[101:102], v[101:102], v[105:106], v[101:102]
	v_fma_f64 v[105:106], -v[99:100], v[101:102], 1.0
	v_fma_f64 v[101:102], v[101:102], v[105:106], v[101:102]
	v_mul_f64 v[105:106], v[107:108], v[101:102]
	v_fma_f64 v[99:100], -v[99:100], v[105:106], v[107:108]
	v_div_fmas_f64 v[99:100], v[99:100], v[101:102], v[105:106]
	v_div_fixup_f64 v[101:102], v[99:100], v[97:98], 1.0
	v_mul_f64 v[103:104], v[103:104], -v[101:102]
.LBB75_124:
	s_or_b64 exec, exec, s[2:3]
	ds_write2_b64 v127, v[101:102], v[103:104] offset1:1
.LBB75_125:
	s_or_b64 exec, exec, s[4:5]
	s_waitcnt lgkmcnt(0)
	s_barrier
	ds_read2_b64 v[73:76], v127 offset1:1
	v_cmp_lt_u32_e32 vcc, 13, v0
	s_waitcnt lgkmcnt(0)
	buffer_store_dword v73, off, s[20:23], 0 offset:768 ; 4-byte Folded Spill
	s_nop 0
	buffer_store_dword v74, off, s[20:23], 0 offset:772 ; 4-byte Folded Spill
	buffer_store_dword v75, off, s[20:23], 0 offset:776 ; 4-byte Folded Spill
	;; [unrolled: 1-line block ×3, first 2 shown]
	s_mov_b64 s[2:3], exec
	s_and_b64 s[4:5], s[2:3], vcc
	buffer_store_dword v89, off, s[20:23], 0 offset:528 ; 4-byte Folded Spill
	s_nop 0
	buffer_store_dword v90, off, s[20:23], 0 offset:532 ; 4-byte Folded Spill
	buffer_store_dword v91, off, s[20:23], 0 offset:536 ; 4-byte Folded Spill
	;; [unrolled: 1-line block ×3, first 2 shown]
	s_mov_b64 exec, s[4:5]
	s_cbranch_execz .LBB75_127
; %bb.126:
	buffer_load_dword v73, off, s[20:23], 0 offset:768 ; 4-byte Folded Reload
	buffer_load_dword v74, off, s[20:23], 0 offset:772 ; 4-byte Folded Reload
	;; [unrolled: 1-line block ×4, first 2 shown]
	v_mov_b32_e32 v106, v96
	v_mov_b32_e32 v105, v95
	;; [unrolled: 1-line block ×4, first 2 shown]
	ds_read2_b64 v[99:102], v125 offset0:28 offset1:29
	s_waitcnt vmcnt(2)
	v_mul_f64 v[95:96], v[73:74], v[119:120]
	s_waitcnt vmcnt(0)
	v_mul_f64 v[97:98], v[75:76], v[119:120]
	v_fma_f64 v[119:120], v[75:76], v[117:118], v[95:96]
	v_fma_f64 v[97:98], v[73:74], v[117:118], -v[97:98]
	v_mov_b32_e32 v73, v113
	v_mov_b32_e32 v74, v114
	;; [unrolled: 1-line block ×4, first 2 shown]
	s_waitcnt lgkmcnt(0)
	v_mul_f64 v[93:94], v[101:102], v[119:120]
	v_mov_b32_e32 v118, v98
	v_mov_b32_e32 v117, v97
	v_fma_f64 v[93:94], v[99:100], v[97:98], -v[93:94]
	v_mul_f64 v[99:100], v[99:100], v[119:120]
	v_add_f64 v[109:110], v[109:110], -v[93:94]
	v_fma_f64 v[99:100], v[101:102], v[97:98], v[99:100]
	v_add_f64 v[111:112], v[111:112], -v[99:100]
	ds_read2_b64 v[99:102], v125 offset0:30 offset1:31
	buffer_load_dword v113, off, s[20:23], 0 offset:32 ; 4-byte Folded Reload
	buffer_load_dword v114, off, s[20:23], 0 offset:36 ; 4-byte Folded Reload
	;; [unrolled: 1-line block ×4, first 2 shown]
	s_waitcnt lgkmcnt(0)
	v_mul_f64 v[93:94], v[101:102], v[119:120]
	v_fma_f64 v[93:94], v[99:100], v[97:98], -v[93:94]
	v_mul_f64 v[99:100], v[99:100], v[119:120]
	v_fma_f64 v[99:100], v[101:102], v[97:98], v[99:100]
	s_waitcnt vmcnt(2)
	v_add_f64 v[113:114], v[113:114], -v[93:94]
	s_waitcnt vmcnt(0)
	v_add_f64 v[115:116], v[115:116], -v[99:100]
	buffer_store_dword v113, off, s[20:23], 0 offset:32 ; 4-byte Folded Spill
	s_nop 0
	buffer_store_dword v114, off, s[20:23], 0 offset:36 ; 4-byte Folded Spill
	buffer_store_dword v115, off, s[20:23], 0 offset:40 ; 4-byte Folded Spill
	buffer_store_dword v116, off, s[20:23], 0 offset:44 ; 4-byte Folded Spill
	ds_read2_b64 v[99:102], v125 offset0:32 offset1:33
	v_mov_b32_e32 v116, v76
	v_mov_b32_e32 v115, v75
	;; [unrolled: 1-line block ×4, first 2 shown]
	s_waitcnt lgkmcnt(0)
	v_mul_f64 v[93:94], v[101:102], v[119:120]
	v_fma_f64 v[93:94], v[99:100], v[97:98], -v[93:94]
	v_mul_f64 v[99:100], v[99:100], v[119:120]
	v_add_f64 v[103:104], v[103:104], -v[93:94]
	v_fma_f64 v[99:100], v[101:102], v[97:98], v[99:100]
	v_add_f64 v[105:106], v[105:106], -v[99:100]
	ds_read2_b64 v[99:102], v125 offset0:34 offset1:35
	buffer_load_dword v77, off, s[20:23], 0 offset:16 ; 4-byte Folded Reload
	buffer_load_dword v78, off, s[20:23], 0 offset:20 ; 4-byte Folded Reload
	;; [unrolled: 1-line block ×4, first 2 shown]
	s_waitcnt lgkmcnt(0)
	v_mul_f64 v[93:94], v[101:102], v[119:120]
	v_fma_f64 v[93:94], v[99:100], v[97:98], -v[93:94]
	v_mul_f64 v[99:100], v[99:100], v[119:120]
	v_fma_f64 v[99:100], v[101:102], v[97:98], v[99:100]
	s_waitcnt vmcnt(2)
	v_add_f64 v[77:78], v[77:78], -v[93:94]
	s_waitcnt vmcnt(0)
	v_add_f64 v[79:80], v[79:80], -v[99:100]
	buffer_store_dword v77, off, s[20:23], 0 offset:16 ; 4-byte Folded Spill
	s_nop 0
	buffer_store_dword v78, off, s[20:23], 0 offset:20 ; 4-byte Folded Spill
	buffer_store_dword v79, off, s[20:23], 0 offset:24 ; 4-byte Folded Spill
	;; [unrolled: 1-line block ×3, first 2 shown]
	ds_read2_b64 v[99:102], v125 offset0:36 offset1:37
	buffer_load_dword v73, off, s[20:23], 0 ; 4-byte Folded Reload
	buffer_load_dword v74, off, s[20:23], 0 offset:4 ; 4-byte Folded Reload
	buffer_load_dword v75, off, s[20:23], 0 offset:8 ; 4-byte Folded Reload
	;; [unrolled: 1-line block ×3, first 2 shown]
	s_waitcnt lgkmcnt(0)
	v_mul_f64 v[93:94], v[101:102], v[119:120]
	v_fma_f64 v[93:94], v[99:100], v[97:98], -v[93:94]
	v_mul_f64 v[99:100], v[99:100], v[119:120]
	v_fma_f64 v[99:100], v[101:102], v[97:98], v[99:100]
	s_waitcnt vmcnt(2)
	v_add_f64 v[73:74], v[73:74], -v[93:94]
	s_waitcnt vmcnt(0)
	v_add_f64 v[75:76], v[75:76], -v[99:100]
	buffer_store_dword v73, off, s[20:23], 0 ; 4-byte Folded Spill
	s_nop 0
	buffer_store_dword v74, off, s[20:23], 0 offset:4 ; 4-byte Folded Spill
	buffer_store_dword v75, off, s[20:23], 0 offset:8 ; 4-byte Folded Spill
	;; [unrolled: 1-line block ×3, first 2 shown]
	ds_read2_b64 v[99:102], v125 offset0:38 offset1:39
	s_waitcnt lgkmcnt(0)
	v_mul_f64 v[93:94], v[101:102], v[119:120]
	v_fma_f64 v[93:94], v[99:100], v[97:98], -v[93:94]
	v_mul_f64 v[99:100], v[99:100], v[119:120]
	v_add_f64 v[69:70], v[69:70], -v[93:94]
	v_fma_f64 v[99:100], v[101:102], v[97:98], v[99:100]
	v_add_f64 v[71:72], v[71:72], -v[99:100]
	ds_read2_b64 v[99:102], v125 offset0:40 offset1:41
	s_waitcnt lgkmcnt(0)
	v_mul_f64 v[93:94], v[101:102], v[119:120]
	v_fma_f64 v[93:94], v[99:100], v[97:98], -v[93:94]
	v_mul_f64 v[99:100], v[99:100], v[119:120]
	v_add_f64 v[65:66], v[65:66], -v[93:94]
	v_fma_f64 v[99:100], v[101:102], v[97:98], v[99:100]
	v_add_f64 v[67:68], v[67:68], -v[99:100]
	;; [unrolled: 8-line block ×18, first 2 shown]
	ds_read2_b64 v[99:102], v125 offset0:74 offset1:75
	s_waitcnt lgkmcnt(0)
	v_mul_f64 v[93:94], v[101:102], v[119:120]
	v_fma_f64 v[93:94], v[99:100], v[97:98], -v[93:94]
	v_mul_f64 v[99:100], v[99:100], v[119:120]
	v_add_f64 v[113:114], v[113:114], -v[93:94]
	v_fma_f64 v[99:100], v[101:102], v[97:98], v[99:100]
	v_mov_b32_e32 v93, v103
	v_mov_b32_e32 v94, v104
	;; [unrolled: 1-line block ×4, first 2 shown]
	v_add_f64 v[115:116], v[115:116], -v[99:100]
.LBB75_127:
	s_or_b64 exec, exec, s[2:3]
	v_cmp_eq_u32_e32 vcc, 14, v0
	s_waitcnt vmcnt(0)
	s_barrier
	s_and_saveexec_b64 s[4:5], vcc
	s_cbranch_execz .LBB75_134
; %bb.128:
	ds_write2_b64 v127, v[109:110], v[111:112] offset1:1
	buffer_load_dword v97, off, s[20:23], 0 offset:32 ; 4-byte Folded Reload
	buffer_load_dword v98, off, s[20:23], 0 offset:36 ; 4-byte Folded Reload
	;; [unrolled: 1-line block ×4, first 2 shown]
	s_waitcnt vmcnt(0)
	ds_write2_b64 v125, v[97:98], v[99:100] offset0:30 offset1:31
	ds_write2_b64 v125, v[93:94], v[95:96] offset0:32 offset1:33
	buffer_load_dword v77, off, s[20:23], 0 offset:16 ; 4-byte Folded Reload
	buffer_load_dword v78, off, s[20:23], 0 offset:20 ; 4-byte Folded Reload
	;; [unrolled: 1-line block ×4, first 2 shown]
	s_waitcnt vmcnt(0)
	ds_write2_b64 v125, v[77:78], v[79:80] offset0:34 offset1:35
	buffer_load_dword v73, off, s[20:23], 0 ; 4-byte Folded Reload
	buffer_load_dword v74, off, s[20:23], 0 offset:4 ; 4-byte Folded Reload
	buffer_load_dword v75, off, s[20:23], 0 offset:8 ; 4-byte Folded Reload
	buffer_load_dword v76, off, s[20:23], 0 offset:12 ; 4-byte Folded Reload
	s_waitcnt vmcnt(0)
	ds_write2_b64 v125, v[73:74], v[75:76] offset0:36 offset1:37
	ds_write2_b64 v125, v[69:70], v[71:72] offset0:38 offset1:39
	;; [unrolled: 1-line block ×20, first 2 shown]
	ds_read2_b64 v[97:100], v127 offset1:1
	s_waitcnt lgkmcnt(0)
	v_cmp_neq_f64_e32 vcc, 0, v[97:98]
	v_cmp_neq_f64_e64 s[2:3], 0, v[99:100]
	s_or_b64 s[2:3], vcc, s[2:3]
	s_and_b64 exec, exec, s[2:3]
	s_cbranch_execz .LBB75_134
; %bb.129:
	v_cmp_ngt_f64_e64 s[2:3], |v[97:98]|, |v[99:100]|
                                        ; implicit-def: $vgpr101_vgpr102
	s_and_saveexec_b64 s[6:7], s[2:3]
	s_xor_b64 s[2:3], exec, s[6:7]
                                        ; implicit-def: $vgpr103_vgpr104
	s_cbranch_execz .LBB75_131
; %bb.130:
	v_div_scale_f64 v[101:102], s[6:7], v[99:100], v[99:100], v[97:98]
	v_rcp_f64_e32 v[103:104], v[101:102]
	v_fma_f64 v[105:106], -v[101:102], v[103:104], 1.0
	v_fma_f64 v[103:104], v[103:104], v[105:106], v[103:104]
	v_div_scale_f64 v[105:106], vcc, v[97:98], v[99:100], v[97:98]
	v_fma_f64 v[107:108], -v[101:102], v[103:104], 1.0
	v_fma_f64 v[103:104], v[103:104], v[107:108], v[103:104]
	v_mul_f64 v[107:108], v[105:106], v[103:104]
	v_fma_f64 v[101:102], -v[101:102], v[107:108], v[105:106]
	v_div_fmas_f64 v[101:102], v[101:102], v[103:104], v[107:108]
	v_div_fixup_f64 v[101:102], v[101:102], v[99:100], v[97:98]
	v_fma_f64 v[97:98], v[97:98], v[101:102], v[99:100]
	v_div_scale_f64 v[99:100], s[6:7], v[97:98], v[97:98], 1.0
	v_div_scale_f64 v[107:108], vcc, 1.0, v[97:98], 1.0
	v_rcp_f64_e32 v[103:104], v[99:100]
	v_fma_f64 v[105:106], -v[99:100], v[103:104], 1.0
	v_fma_f64 v[103:104], v[103:104], v[105:106], v[103:104]
	v_fma_f64 v[105:106], -v[99:100], v[103:104], 1.0
	v_fma_f64 v[103:104], v[103:104], v[105:106], v[103:104]
	v_mul_f64 v[105:106], v[107:108], v[103:104]
	v_fma_f64 v[99:100], -v[99:100], v[105:106], v[107:108]
	v_div_fmas_f64 v[99:100], v[99:100], v[103:104], v[105:106]
	v_div_fixup_f64 v[103:104], v[99:100], v[97:98], 1.0
                                        ; implicit-def: $vgpr97_vgpr98
	v_mul_f64 v[101:102], v[101:102], v[103:104]
	v_xor_b32_e32 v104, 0x80000000, v104
.LBB75_131:
	s_andn2_saveexec_b64 s[2:3], s[2:3]
	s_cbranch_execz .LBB75_133
; %bb.132:
	v_div_scale_f64 v[101:102], s[6:7], v[97:98], v[97:98], v[99:100]
	v_rcp_f64_e32 v[103:104], v[101:102]
	v_fma_f64 v[105:106], -v[101:102], v[103:104], 1.0
	v_fma_f64 v[103:104], v[103:104], v[105:106], v[103:104]
	v_div_scale_f64 v[105:106], vcc, v[99:100], v[97:98], v[99:100]
	v_fma_f64 v[107:108], -v[101:102], v[103:104], 1.0
	v_fma_f64 v[103:104], v[103:104], v[107:108], v[103:104]
	v_mul_f64 v[107:108], v[105:106], v[103:104]
	v_fma_f64 v[101:102], -v[101:102], v[107:108], v[105:106]
	v_div_fmas_f64 v[101:102], v[101:102], v[103:104], v[107:108]
	v_div_fixup_f64 v[103:104], v[101:102], v[97:98], v[99:100]
	v_fma_f64 v[97:98], v[99:100], v[103:104], v[97:98]
	v_div_scale_f64 v[99:100], s[6:7], v[97:98], v[97:98], 1.0
	v_div_scale_f64 v[107:108], vcc, 1.0, v[97:98], 1.0
	v_rcp_f64_e32 v[101:102], v[99:100]
	v_fma_f64 v[105:106], -v[99:100], v[101:102], 1.0
	v_fma_f64 v[101:102], v[101:102], v[105:106], v[101:102]
	v_fma_f64 v[105:106], -v[99:100], v[101:102], 1.0
	v_fma_f64 v[101:102], v[101:102], v[105:106], v[101:102]
	v_mul_f64 v[105:106], v[107:108], v[101:102]
	v_fma_f64 v[99:100], -v[99:100], v[105:106], v[107:108]
	v_div_fmas_f64 v[99:100], v[99:100], v[101:102], v[105:106]
	v_div_fixup_f64 v[101:102], v[99:100], v[97:98], 1.0
	v_mul_f64 v[103:104], v[103:104], -v[101:102]
.LBB75_133:
	s_or_b64 exec, exec, s[2:3]
	ds_write2_b64 v127, v[101:102], v[103:104] offset1:1
.LBB75_134:
	s_or_b64 exec, exec, s[4:5]
	s_waitcnt lgkmcnt(0)
	s_barrier
	ds_read2_b64 v[73:76], v127 offset1:1
	v_cmp_lt_u32_e32 vcc, 14, v0
	s_waitcnt lgkmcnt(0)
	buffer_store_dword v73, off, s[20:23], 0 offset:784 ; 4-byte Folded Spill
	s_nop 0
	buffer_store_dword v74, off, s[20:23], 0 offset:788 ; 4-byte Folded Spill
	buffer_store_dword v75, off, s[20:23], 0 offset:792 ; 4-byte Folded Spill
	;; [unrolled: 1-line block ×3, first 2 shown]
	s_and_saveexec_b64 s[2:3], vcc
	s_cbranch_execz .LBB75_136
; %bb.135:
	buffer_load_dword v73, off, s[20:23], 0 offset:784 ; 4-byte Folded Reload
	buffer_load_dword v74, off, s[20:23], 0 offset:788 ; 4-byte Folded Reload
	;; [unrolled: 1-line block ×4, first 2 shown]
	ds_read2_b64 v[99:102], v125 offset0:30 offset1:31
	s_waitcnt vmcnt(2)
	v_mul_f64 v[91:92], v[73:74], v[111:112]
	s_waitcnt vmcnt(0)
	v_mul_f64 v[97:98], v[75:76], v[111:112]
	v_fma_f64 v[111:112], v[75:76], v[109:110], v[91:92]
	v_fma_f64 v[97:98], v[73:74], v[109:110], -v[97:98]
	s_waitcnt lgkmcnt(0)
	v_mul_f64 v[89:90], v[101:102], v[111:112]
	v_mov_b32_e32 v110, v98
	v_mov_b32_e32 v109, v97
	v_fma_f64 v[89:90], v[99:100], v[97:98], -v[89:90]
	v_mul_f64 v[99:100], v[99:100], v[111:112]
	v_fma_f64 v[99:100], v[101:102], v[97:98], v[99:100]
	buffer_load_dword v101, off, s[20:23], 0 offset:32 ; 4-byte Folded Reload
	buffer_load_dword v102, off, s[20:23], 0 offset:36 ; 4-byte Folded Reload
	;; [unrolled: 1-line block ×4, first 2 shown]
	s_waitcnt vmcnt(2)
	v_add_f64 v[101:102], v[101:102], -v[89:90]
	s_waitcnt vmcnt(0)
	v_add_f64 v[103:104], v[103:104], -v[99:100]
	buffer_store_dword v101, off, s[20:23], 0 offset:32 ; 4-byte Folded Spill
	s_nop 0
	buffer_store_dword v102, off, s[20:23], 0 offset:36 ; 4-byte Folded Spill
	buffer_store_dword v103, off, s[20:23], 0 offset:40 ; 4-byte Folded Spill
	;; [unrolled: 1-line block ×3, first 2 shown]
	ds_read2_b64 v[99:102], v125 offset0:32 offset1:33
	s_waitcnt lgkmcnt(0)
	v_mul_f64 v[89:90], v[101:102], v[111:112]
	v_fma_f64 v[89:90], v[99:100], v[97:98], -v[89:90]
	v_mul_f64 v[99:100], v[99:100], v[111:112]
	v_add_f64 v[93:94], v[93:94], -v[89:90]
	v_fma_f64 v[99:100], v[101:102], v[97:98], v[99:100]
	v_add_f64 v[95:96], v[95:96], -v[99:100]
	ds_read2_b64 v[99:102], v125 offset0:34 offset1:35
	buffer_load_dword v77, off, s[20:23], 0 offset:16 ; 4-byte Folded Reload
	buffer_load_dword v78, off, s[20:23], 0 offset:20 ; 4-byte Folded Reload
	buffer_load_dword v79, off, s[20:23], 0 offset:24 ; 4-byte Folded Reload
	buffer_load_dword v80, off, s[20:23], 0 offset:28 ; 4-byte Folded Reload
	s_waitcnt lgkmcnt(0)
	v_mul_f64 v[89:90], v[101:102], v[111:112]
	v_fma_f64 v[89:90], v[99:100], v[97:98], -v[89:90]
	v_mul_f64 v[99:100], v[99:100], v[111:112]
	v_fma_f64 v[99:100], v[101:102], v[97:98], v[99:100]
	s_waitcnt vmcnt(2)
	v_add_f64 v[77:78], v[77:78], -v[89:90]
	s_waitcnt vmcnt(0)
	v_add_f64 v[79:80], v[79:80], -v[99:100]
	buffer_store_dword v77, off, s[20:23], 0 offset:16 ; 4-byte Folded Spill
	s_nop 0
	buffer_store_dword v78, off, s[20:23], 0 offset:20 ; 4-byte Folded Spill
	buffer_store_dword v79, off, s[20:23], 0 offset:24 ; 4-byte Folded Spill
	;; [unrolled: 1-line block ×3, first 2 shown]
	ds_read2_b64 v[99:102], v125 offset0:36 offset1:37
	buffer_load_dword v73, off, s[20:23], 0 ; 4-byte Folded Reload
	buffer_load_dword v74, off, s[20:23], 0 offset:4 ; 4-byte Folded Reload
	buffer_load_dword v75, off, s[20:23], 0 offset:8 ; 4-byte Folded Reload
	;; [unrolled: 1-line block ×3, first 2 shown]
	s_waitcnt lgkmcnt(0)
	v_mul_f64 v[89:90], v[101:102], v[111:112]
	v_fma_f64 v[89:90], v[99:100], v[97:98], -v[89:90]
	v_mul_f64 v[99:100], v[99:100], v[111:112]
	v_fma_f64 v[99:100], v[101:102], v[97:98], v[99:100]
	s_waitcnt vmcnt(2)
	v_add_f64 v[73:74], v[73:74], -v[89:90]
	s_waitcnt vmcnt(0)
	v_add_f64 v[75:76], v[75:76], -v[99:100]
	buffer_store_dword v73, off, s[20:23], 0 ; 4-byte Folded Spill
	s_nop 0
	buffer_store_dword v74, off, s[20:23], 0 offset:4 ; 4-byte Folded Spill
	buffer_store_dword v75, off, s[20:23], 0 offset:8 ; 4-byte Folded Spill
	;; [unrolled: 1-line block ×3, first 2 shown]
	ds_read2_b64 v[99:102], v125 offset0:38 offset1:39
	s_waitcnt lgkmcnt(0)
	v_mul_f64 v[89:90], v[101:102], v[111:112]
	v_fma_f64 v[89:90], v[99:100], v[97:98], -v[89:90]
	v_mul_f64 v[99:100], v[99:100], v[111:112]
	v_add_f64 v[69:70], v[69:70], -v[89:90]
	v_fma_f64 v[99:100], v[101:102], v[97:98], v[99:100]
	v_add_f64 v[71:72], v[71:72], -v[99:100]
	ds_read2_b64 v[99:102], v125 offset0:40 offset1:41
	s_waitcnt lgkmcnt(0)
	v_mul_f64 v[89:90], v[101:102], v[111:112]
	v_fma_f64 v[89:90], v[99:100], v[97:98], -v[89:90]
	v_mul_f64 v[99:100], v[99:100], v[111:112]
	v_add_f64 v[65:66], v[65:66], -v[89:90]
	v_fma_f64 v[99:100], v[101:102], v[97:98], v[99:100]
	v_add_f64 v[67:68], v[67:68], -v[99:100]
	;; [unrolled: 8-line block ×19, first 2 shown]
.LBB75_136:
	s_or_b64 exec, exec, s[2:3]
	v_cmp_eq_u32_e32 vcc, 15, v0
	s_waitcnt vmcnt(0)
	s_barrier
	s_and_saveexec_b64 s[4:5], vcc
	s_cbranch_execz .LBB75_143
; %bb.137:
	buffer_load_dword v97, off, s[20:23], 0 offset:32 ; 4-byte Folded Reload
	buffer_load_dword v98, off, s[20:23], 0 offset:36 ; 4-byte Folded Reload
	;; [unrolled: 1-line block ×4, first 2 shown]
	s_waitcnt vmcnt(0)
	ds_write2_b64 v127, v[97:98], v[99:100] offset1:1
	ds_write2_b64 v125, v[93:94], v[95:96] offset0:32 offset1:33
	buffer_load_dword v77, off, s[20:23], 0 offset:16 ; 4-byte Folded Reload
	buffer_load_dword v78, off, s[20:23], 0 offset:20 ; 4-byte Folded Reload
	;; [unrolled: 1-line block ×4, first 2 shown]
	s_waitcnt vmcnt(0)
	ds_write2_b64 v125, v[77:78], v[79:80] offset0:34 offset1:35
	buffer_load_dword v73, off, s[20:23], 0 ; 4-byte Folded Reload
	buffer_load_dword v74, off, s[20:23], 0 offset:4 ; 4-byte Folded Reload
	buffer_load_dword v75, off, s[20:23], 0 offset:8 ; 4-byte Folded Reload
	;; [unrolled: 1-line block ×3, first 2 shown]
	s_waitcnt vmcnt(0)
	ds_write2_b64 v125, v[73:74], v[75:76] offset0:36 offset1:37
	ds_write2_b64 v125, v[69:70], v[71:72] offset0:38 offset1:39
	;; [unrolled: 1-line block ×20, first 2 shown]
	ds_read2_b64 v[97:100], v127 offset1:1
	s_waitcnt lgkmcnt(0)
	v_cmp_neq_f64_e32 vcc, 0, v[97:98]
	v_cmp_neq_f64_e64 s[2:3], 0, v[99:100]
	s_or_b64 s[2:3], vcc, s[2:3]
	s_and_b64 exec, exec, s[2:3]
	s_cbranch_execz .LBB75_143
; %bb.138:
	v_cmp_ngt_f64_e64 s[2:3], |v[97:98]|, |v[99:100]|
                                        ; implicit-def: $vgpr101_vgpr102
	s_and_saveexec_b64 s[6:7], s[2:3]
	s_xor_b64 s[2:3], exec, s[6:7]
                                        ; implicit-def: $vgpr103_vgpr104
	s_cbranch_execz .LBB75_140
; %bb.139:
	v_div_scale_f64 v[101:102], s[6:7], v[99:100], v[99:100], v[97:98]
	v_rcp_f64_e32 v[103:104], v[101:102]
	v_fma_f64 v[105:106], -v[101:102], v[103:104], 1.0
	v_fma_f64 v[103:104], v[103:104], v[105:106], v[103:104]
	v_div_scale_f64 v[105:106], vcc, v[97:98], v[99:100], v[97:98]
	v_fma_f64 v[107:108], -v[101:102], v[103:104], 1.0
	v_fma_f64 v[103:104], v[103:104], v[107:108], v[103:104]
	v_mul_f64 v[107:108], v[105:106], v[103:104]
	v_fma_f64 v[101:102], -v[101:102], v[107:108], v[105:106]
	v_div_fmas_f64 v[101:102], v[101:102], v[103:104], v[107:108]
	v_div_fixup_f64 v[101:102], v[101:102], v[99:100], v[97:98]
	v_fma_f64 v[97:98], v[97:98], v[101:102], v[99:100]
	v_div_scale_f64 v[99:100], s[6:7], v[97:98], v[97:98], 1.0
	v_div_scale_f64 v[107:108], vcc, 1.0, v[97:98], 1.0
	v_rcp_f64_e32 v[103:104], v[99:100]
	v_fma_f64 v[105:106], -v[99:100], v[103:104], 1.0
	v_fma_f64 v[103:104], v[103:104], v[105:106], v[103:104]
	v_fma_f64 v[105:106], -v[99:100], v[103:104], 1.0
	v_fma_f64 v[103:104], v[103:104], v[105:106], v[103:104]
	v_mul_f64 v[105:106], v[107:108], v[103:104]
	v_fma_f64 v[99:100], -v[99:100], v[105:106], v[107:108]
	v_div_fmas_f64 v[99:100], v[99:100], v[103:104], v[105:106]
	v_div_fixup_f64 v[103:104], v[99:100], v[97:98], 1.0
                                        ; implicit-def: $vgpr97_vgpr98
	v_mul_f64 v[101:102], v[101:102], v[103:104]
	v_xor_b32_e32 v104, 0x80000000, v104
.LBB75_140:
	s_andn2_saveexec_b64 s[2:3], s[2:3]
	s_cbranch_execz .LBB75_142
; %bb.141:
	v_div_scale_f64 v[101:102], s[6:7], v[97:98], v[97:98], v[99:100]
	v_rcp_f64_e32 v[103:104], v[101:102]
	v_fma_f64 v[105:106], -v[101:102], v[103:104], 1.0
	v_fma_f64 v[103:104], v[103:104], v[105:106], v[103:104]
	v_div_scale_f64 v[105:106], vcc, v[99:100], v[97:98], v[99:100]
	v_fma_f64 v[107:108], -v[101:102], v[103:104], 1.0
	v_fma_f64 v[103:104], v[103:104], v[107:108], v[103:104]
	v_mul_f64 v[107:108], v[105:106], v[103:104]
	v_fma_f64 v[101:102], -v[101:102], v[107:108], v[105:106]
	v_div_fmas_f64 v[101:102], v[101:102], v[103:104], v[107:108]
	v_div_fixup_f64 v[103:104], v[101:102], v[97:98], v[99:100]
	v_fma_f64 v[97:98], v[99:100], v[103:104], v[97:98]
	v_div_scale_f64 v[99:100], s[6:7], v[97:98], v[97:98], 1.0
	v_div_scale_f64 v[107:108], vcc, 1.0, v[97:98], 1.0
	v_rcp_f64_e32 v[101:102], v[99:100]
	v_fma_f64 v[105:106], -v[99:100], v[101:102], 1.0
	v_fma_f64 v[101:102], v[101:102], v[105:106], v[101:102]
	v_fma_f64 v[105:106], -v[99:100], v[101:102], 1.0
	v_fma_f64 v[101:102], v[101:102], v[105:106], v[101:102]
	v_mul_f64 v[105:106], v[107:108], v[101:102]
	v_fma_f64 v[99:100], -v[99:100], v[105:106], v[107:108]
	v_div_fmas_f64 v[99:100], v[99:100], v[101:102], v[105:106]
	v_div_fixup_f64 v[101:102], v[99:100], v[97:98], 1.0
	v_mul_f64 v[103:104], v[103:104], -v[101:102]
.LBB75_142:
	s_or_b64 exec, exec, s[2:3]
	ds_write2_b64 v127, v[101:102], v[103:104] offset1:1
.LBB75_143:
	s_or_b64 exec, exec, s[4:5]
	s_waitcnt lgkmcnt(0)
	s_barrier
	ds_read2_b64 v[89:92], v127 offset1:1
	v_cmp_lt_u32_e32 vcc, 15, v0
	s_mov_b64 s[2:3], exec
	s_and_b64 s[4:5], s[2:3], vcc
	buffer_store_dword v85, off, s[20:23], 0 offset:512 ; 4-byte Folded Spill
	s_nop 0
	buffer_store_dword v86, off, s[20:23], 0 offset:516 ; 4-byte Folded Spill
	buffer_store_dword v87, off, s[20:23], 0 offset:520 ; 4-byte Folded Spill
	;; [unrolled: 1-line block ×3, first 2 shown]
	s_mov_b64 exec, s[4:5]
	s_cbranch_execz .LBB75_145
; %bb.144:
	buffer_load_dword v101, off, s[20:23], 0 offset:32 ; 4-byte Folded Reload
	buffer_load_dword v102, off, s[20:23], 0 offset:36 ; 4-byte Folded Reload
	;; [unrolled: 1-line block ×4, first 2 shown]
	s_waitcnt vmcnt(0) lgkmcnt(0)
	v_mul_f64 v[87:88], v[89:90], v[103:104]
	v_mul_f64 v[97:98], v[91:92], v[103:104]
	v_fma_f64 v[103:104], v[91:92], v[101:102], v[87:88]
	v_fma_f64 v[97:98], v[89:90], v[101:102], -v[97:98]
	ds_read2_b64 v[99:102], v125 offset0:32 offset1:33
	s_waitcnt lgkmcnt(0)
	v_mul_f64 v[85:86], v[101:102], v[103:104]
	v_fma_f64 v[85:86], v[99:100], v[97:98], -v[85:86]
	v_mul_f64 v[99:100], v[99:100], v[103:104]
	v_add_f64 v[93:94], v[93:94], -v[85:86]
	v_fma_f64 v[99:100], v[101:102], v[97:98], v[99:100]
	v_add_f64 v[95:96], v[95:96], -v[99:100]
	ds_read2_b64 v[99:102], v125 offset0:34 offset1:35
	buffer_load_dword v77, off, s[20:23], 0 offset:16 ; 4-byte Folded Reload
	buffer_load_dword v78, off, s[20:23], 0 offset:20 ; 4-byte Folded Reload
	;; [unrolled: 1-line block ×4, first 2 shown]
	s_waitcnt lgkmcnt(0)
	v_mul_f64 v[85:86], v[101:102], v[103:104]
	v_fma_f64 v[85:86], v[99:100], v[97:98], -v[85:86]
	v_mul_f64 v[99:100], v[99:100], v[103:104]
	v_fma_f64 v[99:100], v[101:102], v[97:98], v[99:100]
	s_waitcnt vmcnt(2)
	v_add_f64 v[77:78], v[77:78], -v[85:86]
	s_waitcnt vmcnt(0)
	v_add_f64 v[79:80], v[79:80], -v[99:100]
	buffer_store_dword v77, off, s[20:23], 0 offset:16 ; 4-byte Folded Spill
	s_nop 0
	buffer_store_dword v78, off, s[20:23], 0 offset:20 ; 4-byte Folded Spill
	buffer_store_dword v79, off, s[20:23], 0 offset:24 ; 4-byte Folded Spill
	;; [unrolled: 1-line block ×3, first 2 shown]
	ds_read2_b64 v[99:102], v125 offset0:36 offset1:37
	buffer_load_dword v73, off, s[20:23], 0 ; 4-byte Folded Reload
	buffer_load_dword v74, off, s[20:23], 0 offset:4 ; 4-byte Folded Reload
	buffer_load_dword v75, off, s[20:23], 0 offset:8 ; 4-byte Folded Reload
	;; [unrolled: 1-line block ×3, first 2 shown]
	s_waitcnt lgkmcnt(0)
	v_mul_f64 v[85:86], v[101:102], v[103:104]
	v_fma_f64 v[85:86], v[99:100], v[97:98], -v[85:86]
	v_mul_f64 v[99:100], v[99:100], v[103:104]
	v_fma_f64 v[99:100], v[101:102], v[97:98], v[99:100]
	s_waitcnt vmcnt(2)
	v_add_f64 v[73:74], v[73:74], -v[85:86]
	s_waitcnt vmcnt(0)
	v_add_f64 v[75:76], v[75:76], -v[99:100]
	buffer_store_dword v73, off, s[20:23], 0 ; 4-byte Folded Spill
	s_nop 0
	buffer_store_dword v74, off, s[20:23], 0 offset:4 ; 4-byte Folded Spill
	buffer_store_dword v75, off, s[20:23], 0 offset:8 ; 4-byte Folded Spill
	;; [unrolled: 1-line block ×3, first 2 shown]
	ds_read2_b64 v[99:102], v125 offset0:38 offset1:39
	s_waitcnt lgkmcnt(0)
	v_mul_f64 v[85:86], v[101:102], v[103:104]
	v_fma_f64 v[85:86], v[99:100], v[97:98], -v[85:86]
	v_mul_f64 v[99:100], v[99:100], v[103:104]
	v_add_f64 v[69:70], v[69:70], -v[85:86]
	v_fma_f64 v[99:100], v[101:102], v[97:98], v[99:100]
	v_add_f64 v[71:72], v[71:72], -v[99:100]
	ds_read2_b64 v[99:102], v125 offset0:40 offset1:41
	s_waitcnt lgkmcnt(0)
	v_mul_f64 v[85:86], v[101:102], v[103:104]
	v_fma_f64 v[85:86], v[99:100], v[97:98], -v[85:86]
	v_mul_f64 v[99:100], v[99:100], v[103:104]
	v_add_f64 v[65:66], v[65:66], -v[85:86]
	v_fma_f64 v[99:100], v[101:102], v[97:98], v[99:100]
	v_add_f64 v[67:68], v[67:68], -v[99:100]
	;; [unrolled: 8-line block ×18, first 2 shown]
	ds_read2_b64 v[99:102], v125 offset0:74 offset1:75
	s_waitcnt lgkmcnt(0)
	v_mul_f64 v[85:86], v[101:102], v[103:104]
	v_fma_f64 v[85:86], v[99:100], v[97:98], -v[85:86]
	v_mul_f64 v[99:100], v[99:100], v[103:104]
	v_add_f64 v[113:114], v[113:114], -v[85:86]
	v_fma_f64 v[99:100], v[101:102], v[97:98], v[99:100]
	v_mov_b32_e32 v102, v98
	v_mov_b32_e32 v101, v97
	buffer_store_dword v101, off, s[20:23], 0 offset:32 ; 4-byte Folded Spill
	s_nop 0
	buffer_store_dword v102, off, s[20:23], 0 offset:36 ; 4-byte Folded Spill
	buffer_store_dword v103, off, s[20:23], 0 offset:40 ; 4-byte Folded Spill
	;; [unrolled: 1-line block ×3, first 2 shown]
	v_add_f64 v[115:116], v[115:116], -v[99:100]
.LBB75_145:
	s_or_b64 exec, exec, s[2:3]
	v_cmp_eq_u32_e32 vcc, 16, v0
	s_waitcnt vmcnt(0) lgkmcnt(0)
	s_barrier
	s_and_saveexec_b64 s[4:5], vcc
	s_cbranch_execz .LBB75_152
; %bb.146:
	ds_write2_b64 v127, v[93:94], v[95:96] offset1:1
	buffer_load_dword v77, off, s[20:23], 0 offset:16 ; 4-byte Folded Reload
	buffer_load_dword v78, off, s[20:23], 0 offset:20 ; 4-byte Folded Reload
	;; [unrolled: 1-line block ×4, first 2 shown]
	s_waitcnt vmcnt(0)
	ds_write2_b64 v125, v[77:78], v[79:80] offset0:34 offset1:35
	buffer_load_dword v73, off, s[20:23], 0 ; 4-byte Folded Reload
	buffer_load_dword v74, off, s[20:23], 0 offset:4 ; 4-byte Folded Reload
	buffer_load_dword v75, off, s[20:23], 0 offset:8 ; 4-byte Folded Reload
	;; [unrolled: 1-line block ×3, first 2 shown]
	s_waitcnt vmcnt(0)
	ds_write2_b64 v125, v[73:74], v[75:76] offset0:36 offset1:37
	ds_write2_b64 v125, v[69:70], v[71:72] offset0:38 offset1:39
	;; [unrolled: 1-line block ×20, first 2 shown]
	ds_read2_b64 v[97:100], v127 offset1:1
	s_waitcnt lgkmcnt(0)
	v_cmp_neq_f64_e32 vcc, 0, v[97:98]
	v_cmp_neq_f64_e64 s[2:3], 0, v[99:100]
	s_or_b64 s[2:3], vcc, s[2:3]
	s_and_b64 exec, exec, s[2:3]
	s_cbranch_execz .LBB75_152
; %bb.147:
	v_cmp_ngt_f64_e64 s[2:3], |v[97:98]|, |v[99:100]|
                                        ; implicit-def: $vgpr101_vgpr102
	s_and_saveexec_b64 s[6:7], s[2:3]
	s_xor_b64 s[2:3], exec, s[6:7]
                                        ; implicit-def: $vgpr103_vgpr104
	s_cbranch_execz .LBB75_149
; %bb.148:
	v_div_scale_f64 v[101:102], s[6:7], v[99:100], v[99:100], v[97:98]
	v_rcp_f64_e32 v[103:104], v[101:102]
	v_fma_f64 v[105:106], -v[101:102], v[103:104], 1.0
	v_fma_f64 v[103:104], v[103:104], v[105:106], v[103:104]
	v_div_scale_f64 v[105:106], vcc, v[97:98], v[99:100], v[97:98]
	v_fma_f64 v[107:108], -v[101:102], v[103:104], 1.0
	v_fma_f64 v[103:104], v[103:104], v[107:108], v[103:104]
	v_mul_f64 v[107:108], v[105:106], v[103:104]
	v_fma_f64 v[101:102], -v[101:102], v[107:108], v[105:106]
	v_div_fmas_f64 v[101:102], v[101:102], v[103:104], v[107:108]
	v_div_fixup_f64 v[101:102], v[101:102], v[99:100], v[97:98]
	v_fma_f64 v[97:98], v[97:98], v[101:102], v[99:100]
	v_div_scale_f64 v[99:100], s[6:7], v[97:98], v[97:98], 1.0
	v_div_scale_f64 v[107:108], vcc, 1.0, v[97:98], 1.0
	v_rcp_f64_e32 v[103:104], v[99:100]
	v_fma_f64 v[105:106], -v[99:100], v[103:104], 1.0
	v_fma_f64 v[103:104], v[103:104], v[105:106], v[103:104]
	v_fma_f64 v[105:106], -v[99:100], v[103:104], 1.0
	v_fma_f64 v[103:104], v[103:104], v[105:106], v[103:104]
	v_mul_f64 v[105:106], v[107:108], v[103:104]
	v_fma_f64 v[99:100], -v[99:100], v[105:106], v[107:108]
	v_div_fmas_f64 v[99:100], v[99:100], v[103:104], v[105:106]
	v_div_fixup_f64 v[103:104], v[99:100], v[97:98], 1.0
                                        ; implicit-def: $vgpr97_vgpr98
	v_mul_f64 v[101:102], v[101:102], v[103:104]
	v_xor_b32_e32 v104, 0x80000000, v104
.LBB75_149:
	s_andn2_saveexec_b64 s[2:3], s[2:3]
	s_cbranch_execz .LBB75_151
; %bb.150:
	v_div_scale_f64 v[101:102], s[6:7], v[97:98], v[97:98], v[99:100]
	v_rcp_f64_e32 v[103:104], v[101:102]
	v_fma_f64 v[105:106], -v[101:102], v[103:104], 1.0
	v_fma_f64 v[103:104], v[103:104], v[105:106], v[103:104]
	v_div_scale_f64 v[105:106], vcc, v[99:100], v[97:98], v[99:100]
	v_fma_f64 v[107:108], -v[101:102], v[103:104], 1.0
	v_fma_f64 v[103:104], v[103:104], v[107:108], v[103:104]
	v_mul_f64 v[107:108], v[105:106], v[103:104]
	v_fma_f64 v[101:102], -v[101:102], v[107:108], v[105:106]
	v_div_fmas_f64 v[101:102], v[101:102], v[103:104], v[107:108]
	v_div_fixup_f64 v[103:104], v[101:102], v[97:98], v[99:100]
	v_fma_f64 v[97:98], v[99:100], v[103:104], v[97:98]
	v_div_scale_f64 v[99:100], s[6:7], v[97:98], v[97:98], 1.0
	v_div_scale_f64 v[107:108], vcc, 1.0, v[97:98], 1.0
	v_rcp_f64_e32 v[101:102], v[99:100]
	v_fma_f64 v[105:106], -v[99:100], v[101:102], 1.0
	v_fma_f64 v[101:102], v[101:102], v[105:106], v[101:102]
	v_fma_f64 v[105:106], -v[99:100], v[101:102], 1.0
	v_fma_f64 v[101:102], v[101:102], v[105:106], v[101:102]
	v_mul_f64 v[105:106], v[107:108], v[101:102]
	v_fma_f64 v[99:100], -v[99:100], v[105:106], v[107:108]
	v_div_fmas_f64 v[99:100], v[99:100], v[101:102], v[105:106]
	v_div_fixup_f64 v[101:102], v[99:100], v[97:98], 1.0
	v_mul_f64 v[103:104], v[103:104], -v[101:102]
.LBB75_151:
	s_or_b64 exec, exec, s[2:3]
	ds_write2_b64 v127, v[101:102], v[103:104] offset1:1
.LBB75_152:
	s_or_b64 exec, exec, s[4:5]
	s_waitcnt lgkmcnt(0)
	s_barrier
	ds_read2_b64 v[73:76], v127 offset1:1
	v_cmp_lt_u32_e32 vcc, 16, v0
	s_waitcnt lgkmcnt(0)
	buffer_store_dword v73, off, s[20:23], 0 offset:880 ; 4-byte Folded Spill
	s_nop 0
	buffer_store_dword v74, off, s[20:23], 0 offset:884 ; 4-byte Folded Spill
	buffer_store_dword v75, off, s[20:23], 0 offset:888 ; 4-byte Folded Spill
	;; [unrolled: 1-line block ×3, first 2 shown]
	s_mov_b64 s[2:3], exec
	s_and_b64 s[4:5], s[2:3], vcc
	buffer_store_dword v81, off, s[20:23], 0 offset:488 ; 4-byte Folded Spill
	s_nop 0
	buffer_store_dword v82, off, s[20:23], 0 offset:492 ; 4-byte Folded Spill
	buffer_store_dword v83, off, s[20:23], 0 offset:496 ; 4-byte Folded Spill
	;; [unrolled: 1-line block ×3, first 2 shown]
	s_mov_b64 exec, s[4:5]
	s_cbranch_execz .LBB75_154
; %bb.153:
	buffer_load_dword v73, off, s[20:23], 0 offset:880 ; 4-byte Folded Reload
	buffer_load_dword v74, off, s[20:23], 0 offset:884 ; 4-byte Folded Reload
	buffer_load_dword v75, off, s[20:23], 0 offset:888 ; 4-byte Folded Reload
	buffer_load_dword v76, off, s[20:23], 0 offset:892 ; 4-byte Folded Reload
	ds_read2_b64 v[99:102], v125 offset0:34 offset1:35
	buffer_load_dword v77, off, s[20:23], 0 offset:16 ; 4-byte Folded Reload
	buffer_load_dword v78, off, s[20:23], 0 offset:20 ; 4-byte Folded Reload
	;; [unrolled: 1-line block ×4, first 2 shown]
	s_waitcnt vmcnt(6)
	v_mul_f64 v[83:84], v[73:74], v[95:96]
	s_waitcnt vmcnt(4)
	v_mul_f64 v[97:98], v[75:76], v[95:96]
	v_fma_f64 v[95:96], v[75:76], v[93:94], v[83:84]
	v_fma_f64 v[97:98], v[73:74], v[93:94], -v[97:98]
	s_waitcnt lgkmcnt(0)
	v_mul_f64 v[81:82], v[101:102], v[95:96]
	v_mov_b32_e32 v93, v97
	v_mov_b32_e32 v94, v98
	v_fma_f64 v[81:82], v[99:100], v[97:98], -v[81:82]
	v_mul_f64 v[99:100], v[99:100], v[95:96]
	s_waitcnt vmcnt(2)
	v_add_f64 v[77:78], v[77:78], -v[81:82]
	v_fma_f64 v[99:100], v[101:102], v[97:98], v[99:100]
	s_waitcnt vmcnt(0)
	v_add_f64 v[79:80], v[79:80], -v[99:100]
	buffer_store_dword v77, off, s[20:23], 0 offset:16 ; 4-byte Folded Spill
	s_nop 0
	buffer_store_dword v78, off, s[20:23], 0 offset:20 ; 4-byte Folded Spill
	buffer_store_dword v79, off, s[20:23], 0 offset:24 ; 4-byte Folded Spill
	buffer_store_dword v80, off, s[20:23], 0 offset:28 ; 4-byte Folded Spill
	ds_read2_b64 v[99:102], v125 offset0:36 offset1:37
	buffer_load_dword v73, off, s[20:23], 0 ; 4-byte Folded Reload
	buffer_load_dword v74, off, s[20:23], 0 offset:4 ; 4-byte Folded Reload
	buffer_load_dword v75, off, s[20:23], 0 offset:8 ; 4-byte Folded Reload
	buffer_load_dword v76, off, s[20:23], 0 offset:12 ; 4-byte Folded Reload
	s_waitcnt lgkmcnt(0)
	v_mul_f64 v[81:82], v[101:102], v[95:96]
	v_fma_f64 v[81:82], v[99:100], v[97:98], -v[81:82]
	v_mul_f64 v[99:100], v[99:100], v[95:96]
	v_fma_f64 v[99:100], v[101:102], v[97:98], v[99:100]
	s_waitcnt vmcnt(2)
	v_add_f64 v[73:74], v[73:74], -v[81:82]
	s_waitcnt vmcnt(0)
	v_add_f64 v[75:76], v[75:76], -v[99:100]
	buffer_store_dword v73, off, s[20:23], 0 ; 4-byte Folded Spill
	s_nop 0
	buffer_store_dword v74, off, s[20:23], 0 offset:4 ; 4-byte Folded Spill
	buffer_store_dword v75, off, s[20:23], 0 offset:8 ; 4-byte Folded Spill
	;; [unrolled: 1-line block ×3, first 2 shown]
	ds_read2_b64 v[99:102], v125 offset0:38 offset1:39
	s_waitcnt lgkmcnt(0)
	v_mul_f64 v[81:82], v[101:102], v[95:96]
	v_fma_f64 v[81:82], v[99:100], v[97:98], -v[81:82]
	v_mul_f64 v[99:100], v[99:100], v[95:96]
	v_add_f64 v[69:70], v[69:70], -v[81:82]
	v_fma_f64 v[99:100], v[101:102], v[97:98], v[99:100]
	v_add_f64 v[71:72], v[71:72], -v[99:100]
	ds_read2_b64 v[99:102], v125 offset0:40 offset1:41
	s_waitcnt lgkmcnt(0)
	v_mul_f64 v[81:82], v[101:102], v[95:96]
	v_fma_f64 v[81:82], v[99:100], v[97:98], -v[81:82]
	v_mul_f64 v[99:100], v[99:100], v[95:96]
	v_add_f64 v[65:66], v[65:66], -v[81:82]
	v_fma_f64 v[99:100], v[101:102], v[97:98], v[99:100]
	v_add_f64 v[67:68], v[67:68], -v[99:100]
	ds_read2_b64 v[99:102], v125 offset0:42 offset1:43
	s_waitcnt lgkmcnt(0)
	v_mul_f64 v[81:82], v[101:102], v[95:96]
	v_fma_f64 v[81:82], v[99:100], v[97:98], -v[81:82]
	v_mul_f64 v[99:100], v[99:100], v[95:96]
	v_add_f64 v[61:62], v[61:62], -v[81:82]
	v_fma_f64 v[99:100], v[101:102], v[97:98], v[99:100]
	v_add_f64 v[63:64], v[63:64], -v[99:100]
	ds_read2_b64 v[99:102], v125 offset0:44 offset1:45
	s_waitcnt lgkmcnt(0)
	v_mul_f64 v[81:82], v[101:102], v[95:96]
	v_fma_f64 v[81:82], v[99:100], v[97:98], -v[81:82]
	v_mul_f64 v[99:100], v[99:100], v[95:96]
	v_add_f64 v[57:58], v[57:58], -v[81:82]
	v_fma_f64 v[99:100], v[101:102], v[97:98], v[99:100]
	v_add_f64 v[59:60], v[59:60], -v[99:100]
	ds_read2_b64 v[99:102], v125 offset0:46 offset1:47
	s_waitcnt lgkmcnt(0)
	v_mul_f64 v[81:82], v[101:102], v[95:96]
	v_fma_f64 v[81:82], v[99:100], v[97:98], -v[81:82]
	v_mul_f64 v[99:100], v[99:100], v[95:96]
	v_add_f64 v[53:54], v[53:54], -v[81:82]
	v_fma_f64 v[99:100], v[101:102], v[97:98], v[99:100]
	v_add_f64 v[55:56], v[55:56], -v[99:100]
	ds_read2_b64 v[99:102], v125 offset0:48 offset1:49
	s_waitcnt lgkmcnt(0)
	v_mul_f64 v[81:82], v[101:102], v[95:96]
	v_fma_f64 v[81:82], v[99:100], v[97:98], -v[81:82]
	v_mul_f64 v[99:100], v[99:100], v[95:96]
	v_add_f64 v[49:50], v[49:50], -v[81:82]
	v_fma_f64 v[99:100], v[101:102], v[97:98], v[99:100]
	v_add_f64 v[51:52], v[51:52], -v[99:100]
	ds_read2_b64 v[99:102], v125 offset0:50 offset1:51
	s_waitcnt lgkmcnt(0)
	v_mul_f64 v[81:82], v[101:102], v[95:96]
	v_fma_f64 v[81:82], v[99:100], v[97:98], -v[81:82]
	v_mul_f64 v[99:100], v[99:100], v[95:96]
	v_add_f64 v[45:46], v[45:46], -v[81:82]
	v_fma_f64 v[99:100], v[101:102], v[97:98], v[99:100]
	v_add_f64 v[47:48], v[47:48], -v[99:100]
	ds_read2_b64 v[99:102], v125 offset0:52 offset1:53
	s_waitcnt lgkmcnt(0)
	v_mul_f64 v[81:82], v[101:102], v[95:96]
	v_fma_f64 v[81:82], v[99:100], v[97:98], -v[81:82]
	v_mul_f64 v[99:100], v[99:100], v[95:96]
	v_add_f64 v[41:42], v[41:42], -v[81:82]
	v_fma_f64 v[99:100], v[101:102], v[97:98], v[99:100]
	v_add_f64 v[43:44], v[43:44], -v[99:100]
	ds_read2_b64 v[99:102], v125 offset0:54 offset1:55
	s_waitcnt lgkmcnt(0)
	v_mul_f64 v[81:82], v[101:102], v[95:96]
	v_fma_f64 v[81:82], v[99:100], v[97:98], -v[81:82]
	v_mul_f64 v[99:100], v[99:100], v[95:96]
	v_add_f64 v[37:38], v[37:38], -v[81:82]
	v_fma_f64 v[99:100], v[101:102], v[97:98], v[99:100]
	v_add_f64 v[39:40], v[39:40], -v[99:100]
	ds_read2_b64 v[99:102], v125 offset0:56 offset1:57
	s_waitcnt lgkmcnt(0)
	v_mul_f64 v[81:82], v[101:102], v[95:96]
	v_fma_f64 v[81:82], v[99:100], v[97:98], -v[81:82]
	v_mul_f64 v[99:100], v[99:100], v[95:96]
	v_add_f64 v[33:34], v[33:34], -v[81:82]
	v_fma_f64 v[99:100], v[101:102], v[97:98], v[99:100]
	v_add_f64 v[35:36], v[35:36], -v[99:100]
	ds_read2_b64 v[99:102], v125 offset0:58 offset1:59
	s_waitcnt lgkmcnt(0)
	v_mul_f64 v[81:82], v[101:102], v[95:96]
	v_fma_f64 v[81:82], v[99:100], v[97:98], -v[81:82]
	v_mul_f64 v[99:100], v[99:100], v[95:96]
	v_add_f64 v[29:30], v[29:30], -v[81:82]
	v_fma_f64 v[99:100], v[101:102], v[97:98], v[99:100]
	v_add_f64 v[31:32], v[31:32], -v[99:100]
	ds_read2_b64 v[99:102], v125 offset0:60 offset1:61
	s_waitcnt lgkmcnt(0)
	v_mul_f64 v[81:82], v[101:102], v[95:96]
	v_fma_f64 v[81:82], v[99:100], v[97:98], -v[81:82]
	v_mul_f64 v[99:100], v[99:100], v[95:96]
	v_add_f64 v[25:26], v[25:26], -v[81:82]
	v_fma_f64 v[99:100], v[101:102], v[97:98], v[99:100]
	v_add_f64 v[27:28], v[27:28], -v[99:100]
	ds_read2_b64 v[99:102], v125 offset0:62 offset1:63
	s_waitcnt lgkmcnt(0)
	v_mul_f64 v[81:82], v[101:102], v[95:96]
	v_fma_f64 v[81:82], v[99:100], v[97:98], -v[81:82]
	v_mul_f64 v[99:100], v[99:100], v[95:96]
	v_add_f64 v[21:22], v[21:22], -v[81:82]
	v_fma_f64 v[99:100], v[101:102], v[97:98], v[99:100]
	v_add_f64 v[23:24], v[23:24], -v[99:100]
	ds_read2_b64 v[99:102], v125 offset0:64 offset1:65
	s_waitcnt lgkmcnt(0)
	v_mul_f64 v[81:82], v[101:102], v[95:96]
	v_fma_f64 v[81:82], v[99:100], v[97:98], -v[81:82]
	v_mul_f64 v[99:100], v[99:100], v[95:96]
	v_add_f64 v[17:18], v[17:18], -v[81:82]
	v_fma_f64 v[99:100], v[101:102], v[97:98], v[99:100]
	v_add_f64 v[19:20], v[19:20], -v[99:100]
	ds_read2_b64 v[99:102], v125 offset0:66 offset1:67
	s_waitcnt lgkmcnt(0)
	v_mul_f64 v[81:82], v[101:102], v[95:96]
	v_fma_f64 v[81:82], v[99:100], v[97:98], -v[81:82]
	v_mul_f64 v[99:100], v[99:100], v[95:96]
	v_add_f64 v[13:14], v[13:14], -v[81:82]
	v_fma_f64 v[99:100], v[101:102], v[97:98], v[99:100]
	v_add_f64 v[15:16], v[15:16], -v[99:100]
	ds_read2_b64 v[99:102], v125 offset0:68 offset1:69
	s_waitcnt lgkmcnt(0)
	v_mul_f64 v[81:82], v[101:102], v[95:96]
	v_fma_f64 v[81:82], v[99:100], v[97:98], -v[81:82]
	v_mul_f64 v[99:100], v[99:100], v[95:96]
	v_add_f64 v[9:10], v[9:10], -v[81:82]
	v_fma_f64 v[99:100], v[101:102], v[97:98], v[99:100]
	v_add_f64 v[11:12], v[11:12], -v[99:100]
	ds_read2_b64 v[99:102], v125 offset0:70 offset1:71
	s_waitcnt lgkmcnt(0)
	v_mul_f64 v[81:82], v[101:102], v[95:96]
	v_fma_f64 v[81:82], v[99:100], v[97:98], -v[81:82]
	v_mul_f64 v[99:100], v[99:100], v[95:96]
	v_add_f64 v[5:6], v[5:6], -v[81:82]
	v_fma_f64 v[99:100], v[101:102], v[97:98], v[99:100]
	v_add_f64 v[7:8], v[7:8], -v[99:100]
	ds_read2_b64 v[99:102], v125 offset0:72 offset1:73
	s_waitcnt lgkmcnt(0)
	v_mul_f64 v[81:82], v[101:102], v[95:96]
	v_fma_f64 v[81:82], v[99:100], v[97:98], -v[81:82]
	v_mul_f64 v[99:100], v[99:100], v[95:96]
	v_add_f64 v[1:2], v[1:2], -v[81:82]
	v_fma_f64 v[99:100], v[101:102], v[97:98], v[99:100]
	v_add_f64 v[3:4], v[3:4], -v[99:100]
	ds_read2_b64 v[99:102], v125 offset0:74 offset1:75
	s_waitcnt lgkmcnt(0)
	v_mul_f64 v[81:82], v[101:102], v[95:96]
	v_fma_f64 v[81:82], v[99:100], v[97:98], -v[81:82]
	v_mul_f64 v[99:100], v[99:100], v[95:96]
	v_add_f64 v[113:114], v[113:114], -v[81:82]
	v_fma_f64 v[99:100], v[101:102], v[97:98], v[99:100]
	v_add_f64 v[115:116], v[115:116], -v[99:100]
.LBB75_154:
	s_or_b64 exec, exec, s[2:3]
	v_cmp_eq_u32_e32 vcc, 17, v0
	s_waitcnt vmcnt(0)
	s_barrier
	s_and_saveexec_b64 s[4:5], vcc
	s_cbranch_execz .LBB75_161
; %bb.155:
	buffer_load_dword v77, off, s[20:23], 0 offset:16 ; 4-byte Folded Reload
	buffer_load_dword v78, off, s[20:23], 0 offset:20 ; 4-byte Folded Reload
	;; [unrolled: 1-line block ×4, first 2 shown]
	s_waitcnt vmcnt(0)
	ds_write2_b64 v127, v[77:78], v[79:80] offset1:1
	buffer_load_dword v73, off, s[20:23], 0 ; 4-byte Folded Reload
	buffer_load_dword v74, off, s[20:23], 0 offset:4 ; 4-byte Folded Reload
	buffer_load_dword v75, off, s[20:23], 0 offset:8 ; 4-byte Folded Reload
	buffer_load_dword v76, off, s[20:23], 0 offset:12 ; 4-byte Folded Reload
	s_waitcnt vmcnt(0)
	ds_write2_b64 v125, v[73:74], v[75:76] offset0:36 offset1:37
	ds_write2_b64 v125, v[69:70], v[71:72] offset0:38 offset1:39
	;; [unrolled: 1-line block ×20, first 2 shown]
	ds_read2_b64 v[97:100], v127 offset1:1
	s_waitcnt lgkmcnt(0)
	v_cmp_neq_f64_e32 vcc, 0, v[97:98]
	v_cmp_neq_f64_e64 s[2:3], 0, v[99:100]
	s_or_b64 s[2:3], vcc, s[2:3]
	s_and_b64 exec, exec, s[2:3]
	s_cbranch_execz .LBB75_161
; %bb.156:
	v_cmp_ngt_f64_e64 s[2:3], |v[97:98]|, |v[99:100]|
                                        ; implicit-def: $vgpr101_vgpr102
	s_and_saveexec_b64 s[6:7], s[2:3]
	s_xor_b64 s[2:3], exec, s[6:7]
                                        ; implicit-def: $vgpr103_vgpr104
	s_cbranch_execz .LBB75_158
; %bb.157:
	v_div_scale_f64 v[101:102], s[6:7], v[99:100], v[99:100], v[97:98]
	v_rcp_f64_e32 v[103:104], v[101:102]
	v_fma_f64 v[105:106], -v[101:102], v[103:104], 1.0
	v_fma_f64 v[103:104], v[103:104], v[105:106], v[103:104]
	v_div_scale_f64 v[105:106], vcc, v[97:98], v[99:100], v[97:98]
	v_fma_f64 v[107:108], -v[101:102], v[103:104], 1.0
	v_fma_f64 v[103:104], v[103:104], v[107:108], v[103:104]
	v_mul_f64 v[107:108], v[105:106], v[103:104]
	v_fma_f64 v[101:102], -v[101:102], v[107:108], v[105:106]
	v_div_fmas_f64 v[101:102], v[101:102], v[103:104], v[107:108]
	v_div_fixup_f64 v[101:102], v[101:102], v[99:100], v[97:98]
	v_fma_f64 v[97:98], v[97:98], v[101:102], v[99:100]
	v_div_scale_f64 v[99:100], s[6:7], v[97:98], v[97:98], 1.0
	v_div_scale_f64 v[107:108], vcc, 1.0, v[97:98], 1.0
	v_rcp_f64_e32 v[103:104], v[99:100]
	v_fma_f64 v[105:106], -v[99:100], v[103:104], 1.0
	v_fma_f64 v[103:104], v[103:104], v[105:106], v[103:104]
	v_fma_f64 v[105:106], -v[99:100], v[103:104], 1.0
	v_fma_f64 v[103:104], v[103:104], v[105:106], v[103:104]
	v_mul_f64 v[105:106], v[107:108], v[103:104]
	v_fma_f64 v[99:100], -v[99:100], v[105:106], v[107:108]
	v_div_fmas_f64 v[99:100], v[99:100], v[103:104], v[105:106]
	v_div_fixup_f64 v[103:104], v[99:100], v[97:98], 1.0
                                        ; implicit-def: $vgpr97_vgpr98
	v_mul_f64 v[101:102], v[101:102], v[103:104]
	v_xor_b32_e32 v104, 0x80000000, v104
.LBB75_158:
	s_andn2_saveexec_b64 s[2:3], s[2:3]
	s_cbranch_execz .LBB75_160
; %bb.159:
	v_div_scale_f64 v[101:102], s[6:7], v[97:98], v[97:98], v[99:100]
	v_rcp_f64_e32 v[103:104], v[101:102]
	v_fma_f64 v[105:106], -v[101:102], v[103:104], 1.0
	v_fma_f64 v[103:104], v[103:104], v[105:106], v[103:104]
	v_div_scale_f64 v[105:106], vcc, v[99:100], v[97:98], v[99:100]
	v_fma_f64 v[107:108], -v[101:102], v[103:104], 1.0
	v_fma_f64 v[103:104], v[103:104], v[107:108], v[103:104]
	v_mul_f64 v[107:108], v[105:106], v[103:104]
	v_fma_f64 v[101:102], -v[101:102], v[107:108], v[105:106]
	v_div_fmas_f64 v[101:102], v[101:102], v[103:104], v[107:108]
	v_div_fixup_f64 v[103:104], v[101:102], v[97:98], v[99:100]
	v_fma_f64 v[97:98], v[99:100], v[103:104], v[97:98]
	v_div_scale_f64 v[99:100], s[6:7], v[97:98], v[97:98], 1.0
	v_div_scale_f64 v[107:108], vcc, 1.0, v[97:98], 1.0
	v_rcp_f64_e32 v[101:102], v[99:100]
	v_fma_f64 v[105:106], -v[99:100], v[101:102], 1.0
	v_fma_f64 v[101:102], v[101:102], v[105:106], v[101:102]
	v_fma_f64 v[105:106], -v[99:100], v[101:102], 1.0
	v_fma_f64 v[101:102], v[101:102], v[105:106], v[101:102]
	v_mul_f64 v[105:106], v[107:108], v[101:102]
	v_fma_f64 v[99:100], -v[99:100], v[105:106], v[107:108]
	v_div_fmas_f64 v[99:100], v[99:100], v[101:102], v[105:106]
	v_div_fixup_f64 v[101:102], v[99:100], v[97:98], 1.0
	v_mul_f64 v[103:104], v[103:104], -v[101:102]
.LBB75_160:
	s_or_b64 exec, exec, s[2:3]
	ds_write2_b64 v127, v[101:102], v[103:104] offset1:1
.LBB75_161:
	s_or_b64 exec, exec, s[4:5]
	s_waitcnt lgkmcnt(0)
	s_barrier
	ds_read2_b64 v[81:84], v127 offset1:1
	v_cmp_lt_u32_e32 vcc, 17, v0
	s_and_saveexec_b64 s[2:3], vcc
	s_cbranch_execz .LBB75_163
; %bb.162:
	buffer_load_dword v77, off, s[20:23], 0 offset:16 ; 4-byte Folded Reload
	buffer_load_dword v78, off, s[20:23], 0 offset:20 ; 4-byte Folded Reload
	buffer_load_dword v79, off, s[20:23], 0 offset:24 ; 4-byte Folded Reload
	buffer_load_dword v80, off, s[20:23], 0 offset:28 ; 4-byte Folded Reload
	ds_read2_b64 v[99:102], v125 offset0:36 offset1:37
	buffer_load_dword v73, off, s[20:23], 0 ; 4-byte Folded Reload
	buffer_load_dword v74, off, s[20:23], 0 offset:4 ; 4-byte Folded Reload
	buffer_load_dword v75, off, s[20:23], 0 offset:8 ; 4-byte Folded Reload
	;; [unrolled: 1-line block ×3, first 2 shown]
	s_waitcnt vmcnt(4) lgkmcnt(1)
	v_mul_f64 v[97:98], v[83:84], v[79:80]
	v_mul_f64 v[79:80], v[81:82], v[79:80]
	v_fma_f64 v[97:98], v[81:82], v[77:78], -v[97:98]
	v_fma_f64 v[79:80], v[83:84], v[77:78], v[79:80]
	s_waitcnt lgkmcnt(0)
	v_mul_f64 v[77:78], v[101:102], v[79:80]
	v_fma_f64 v[77:78], v[99:100], v[97:98], -v[77:78]
	v_mul_f64 v[99:100], v[99:100], v[79:80]
	s_waitcnt vmcnt(2)
	v_add_f64 v[73:74], v[73:74], -v[77:78]
	v_fma_f64 v[99:100], v[101:102], v[97:98], v[99:100]
	s_waitcnt vmcnt(0)
	v_add_f64 v[75:76], v[75:76], -v[99:100]
	buffer_store_dword v73, off, s[20:23], 0 ; 4-byte Folded Spill
	s_nop 0
	buffer_store_dword v74, off, s[20:23], 0 offset:4 ; 4-byte Folded Spill
	buffer_store_dword v75, off, s[20:23], 0 offset:8 ; 4-byte Folded Spill
	;; [unrolled: 1-line block ×3, first 2 shown]
	ds_read2_b64 v[99:102], v125 offset0:38 offset1:39
	s_waitcnt lgkmcnt(0)
	v_mul_f64 v[77:78], v[101:102], v[79:80]
	v_fma_f64 v[77:78], v[99:100], v[97:98], -v[77:78]
	v_mul_f64 v[99:100], v[99:100], v[79:80]
	v_add_f64 v[69:70], v[69:70], -v[77:78]
	v_fma_f64 v[99:100], v[101:102], v[97:98], v[99:100]
	v_add_f64 v[71:72], v[71:72], -v[99:100]
	ds_read2_b64 v[99:102], v125 offset0:40 offset1:41
	s_waitcnt lgkmcnt(0)
	v_mul_f64 v[77:78], v[101:102], v[79:80]
	v_fma_f64 v[77:78], v[99:100], v[97:98], -v[77:78]
	v_mul_f64 v[99:100], v[99:100], v[79:80]
	v_add_f64 v[65:66], v[65:66], -v[77:78]
	v_fma_f64 v[99:100], v[101:102], v[97:98], v[99:100]
	v_add_f64 v[67:68], v[67:68], -v[99:100]
	;; [unrolled: 8-line block ×18, first 2 shown]
	ds_read2_b64 v[99:102], v125 offset0:74 offset1:75
	s_waitcnt lgkmcnt(0)
	v_mul_f64 v[77:78], v[101:102], v[79:80]
	v_fma_f64 v[77:78], v[99:100], v[97:98], -v[77:78]
	v_mul_f64 v[99:100], v[99:100], v[79:80]
	v_add_f64 v[113:114], v[113:114], -v[77:78]
	v_fma_f64 v[99:100], v[101:102], v[97:98], v[99:100]
	v_mov_b32_e32 v77, v97
	v_mov_b32_e32 v78, v98
	buffer_store_dword v77, off, s[20:23], 0 offset:16 ; 4-byte Folded Spill
	s_nop 0
	buffer_store_dword v78, off, s[20:23], 0 offset:20 ; 4-byte Folded Spill
	buffer_store_dword v79, off, s[20:23], 0 offset:24 ; 4-byte Folded Spill
	buffer_store_dword v80, off, s[20:23], 0 offset:28 ; 4-byte Folded Spill
	v_add_f64 v[115:116], v[115:116], -v[99:100]
.LBB75_163:
	s_or_b64 exec, exec, s[2:3]
	v_cmp_eq_u32_e32 vcc, 18, v0
	s_waitcnt vmcnt(0) lgkmcnt(0)
	s_barrier
	s_and_saveexec_b64 s[4:5], vcc
	s_cbranch_execz .LBB75_170
; %bb.164:
	buffer_load_dword v73, off, s[20:23], 0 ; 4-byte Folded Reload
	buffer_load_dword v74, off, s[20:23], 0 offset:4 ; 4-byte Folded Reload
	buffer_load_dword v75, off, s[20:23], 0 offset:8 ; 4-byte Folded Reload
	;; [unrolled: 1-line block ×3, first 2 shown]
	s_waitcnt vmcnt(0)
	ds_write2_b64 v127, v[73:74], v[75:76] offset1:1
	ds_write2_b64 v125, v[69:70], v[71:72] offset0:38 offset1:39
	ds_write2_b64 v125, v[65:66], v[67:68] offset0:40 offset1:41
	;; [unrolled: 1-line block ×19, first 2 shown]
	ds_read2_b64 v[97:100], v127 offset1:1
	s_waitcnt lgkmcnt(0)
	v_cmp_neq_f64_e32 vcc, 0, v[97:98]
	v_cmp_neq_f64_e64 s[2:3], 0, v[99:100]
	s_or_b64 s[2:3], vcc, s[2:3]
	s_and_b64 exec, exec, s[2:3]
	s_cbranch_execz .LBB75_170
; %bb.165:
	v_cmp_ngt_f64_e64 s[2:3], |v[97:98]|, |v[99:100]|
                                        ; implicit-def: $vgpr101_vgpr102
	s_and_saveexec_b64 s[6:7], s[2:3]
	s_xor_b64 s[2:3], exec, s[6:7]
                                        ; implicit-def: $vgpr103_vgpr104
	s_cbranch_execz .LBB75_167
; %bb.166:
	v_div_scale_f64 v[101:102], s[6:7], v[99:100], v[99:100], v[97:98]
	v_rcp_f64_e32 v[103:104], v[101:102]
	v_fma_f64 v[105:106], -v[101:102], v[103:104], 1.0
	v_fma_f64 v[103:104], v[103:104], v[105:106], v[103:104]
	v_div_scale_f64 v[105:106], vcc, v[97:98], v[99:100], v[97:98]
	v_fma_f64 v[107:108], -v[101:102], v[103:104], 1.0
	v_fma_f64 v[103:104], v[103:104], v[107:108], v[103:104]
	v_mul_f64 v[107:108], v[105:106], v[103:104]
	v_fma_f64 v[101:102], -v[101:102], v[107:108], v[105:106]
	v_div_fmas_f64 v[101:102], v[101:102], v[103:104], v[107:108]
	v_div_fixup_f64 v[101:102], v[101:102], v[99:100], v[97:98]
	v_fma_f64 v[97:98], v[97:98], v[101:102], v[99:100]
	v_div_scale_f64 v[99:100], s[6:7], v[97:98], v[97:98], 1.0
	v_div_scale_f64 v[107:108], vcc, 1.0, v[97:98], 1.0
	v_rcp_f64_e32 v[103:104], v[99:100]
	v_fma_f64 v[105:106], -v[99:100], v[103:104], 1.0
	v_fma_f64 v[103:104], v[103:104], v[105:106], v[103:104]
	v_fma_f64 v[105:106], -v[99:100], v[103:104], 1.0
	v_fma_f64 v[103:104], v[103:104], v[105:106], v[103:104]
	v_mul_f64 v[105:106], v[107:108], v[103:104]
	v_fma_f64 v[99:100], -v[99:100], v[105:106], v[107:108]
	v_div_fmas_f64 v[99:100], v[99:100], v[103:104], v[105:106]
	v_div_fixup_f64 v[103:104], v[99:100], v[97:98], 1.0
                                        ; implicit-def: $vgpr97_vgpr98
	v_mul_f64 v[101:102], v[101:102], v[103:104]
	v_xor_b32_e32 v104, 0x80000000, v104
.LBB75_167:
	s_andn2_saveexec_b64 s[2:3], s[2:3]
	s_cbranch_execz .LBB75_169
; %bb.168:
	v_div_scale_f64 v[101:102], s[6:7], v[97:98], v[97:98], v[99:100]
	v_rcp_f64_e32 v[103:104], v[101:102]
	v_fma_f64 v[105:106], -v[101:102], v[103:104], 1.0
	v_fma_f64 v[103:104], v[103:104], v[105:106], v[103:104]
	v_div_scale_f64 v[105:106], vcc, v[99:100], v[97:98], v[99:100]
	v_fma_f64 v[107:108], -v[101:102], v[103:104], 1.0
	v_fma_f64 v[103:104], v[103:104], v[107:108], v[103:104]
	v_mul_f64 v[107:108], v[105:106], v[103:104]
	v_fma_f64 v[101:102], -v[101:102], v[107:108], v[105:106]
	v_div_fmas_f64 v[101:102], v[101:102], v[103:104], v[107:108]
	v_div_fixup_f64 v[103:104], v[101:102], v[97:98], v[99:100]
	v_fma_f64 v[97:98], v[99:100], v[103:104], v[97:98]
	v_div_scale_f64 v[99:100], s[6:7], v[97:98], v[97:98], 1.0
	v_div_scale_f64 v[107:108], vcc, 1.0, v[97:98], 1.0
	v_rcp_f64_e32 v[101:102], v[99:100]
	v_fma_f64 v[105:106], -v[99:100], v[101:102], 1.0
	v_fma_f64 v[101:102], v[101:102], v[105:106], v[101:102]
	v_fma_f64 v[105:106], -v[99:100], v[101:102], 1.0
	v_fma_f64 v[101:102], v[101:102], v[105:106], v[101:102]
	v_mul_f64 v[105:106], v[107:108], v[101:102]
	v_fma_f64 v[99:100], -v[99:100], v[105:106], v[107:108]
	v_div_fmas_f64 v[99:100], v[99:100], v[101:102], v[105:106]
	v_div_fixup_f64 v[101:102], v[99:100], v[97:98], 1.0
	v_mul_f64 v[103:104], v[103:104], -v[101:102]
.LBB75_169:
	s_or_b64 exec, exec, s[2:3]
	ds_write2_b64 v127, v[101:102], v[103:104] offset1:1
.LBB75_170:
	s_or_b64 exec, exec, s[4:5]
	s_waitcnt lgkmcnt(0)
	s_barrier
	ds_read2_b64 v[77:80], v127 offset1:1
	v_cmp_lt_u32_e32 vcc, 18, v0
	s_and_saveexec_b64 s[2:3], vcc
	s_cbranch_execz .LBB75_172
; %bb.171:
	buffer_load_dword v73, off, s[20:23], 0 ; 4-byte Folded Reload
	buffer_load_dword v74, off, s[20:23], 0 offset:4 ; 4-byte Folded Reload
	buffer_load_dword v75, off, s[20:23], 0 offset:8 ; 4-byte Folded Reload
	buffer_load_dword v76, off, s[20:23], 0 offset:12 ; 4-byte Folded Reload
	ds_read2_b64 v[99:102], v125 offset0:38 offset1:39
	s_waitcnt vmcnt(0) lgkmcnt(1)
	v_mul_f64 v[97:98], v[79:80], v[75:76]
	v_mul_f64 v[75:76], v[77:78], v[75:76]
	v_fma_f64 v[97:98], v[77:78], v[73:74], -v[97:98]
	v_fma_f64 v[75:76], v[79:80], v[73:74], v[75:76]
	s_waitcnt lgkmcnt(0)
	v_mul_f64 v[73:74], v[101:102], v[75:76]
	v_fma_f64 v[73:74], v[99:100], v[97:98], -v[73:74]
	v_mul_f64 v[99:100], v[99:100], v[75:76]
	v_add_f64 v[69:70], v[69:70], -v[73:74]
	v_fma_f64 v[99:100], v[101:102], v[97:98], v[99:100]
	v_add_f64 v[71:72], v[71:72], -v[99:100]
	ds_read2_b64 v[99:102], v125 offset0:40 offset1:41
	s_waitcnt lgkmcnt(0)
	v_mul_f64 v[73:74], v[101:102], v[75:76]
	v_fma_f64 v[73:74], v[99:100], v[97:98], -v[73:74]
	v_mul_f64 v[99:100], v[99:100], v[75:76]
	v_add_f64 v[65:66], v[65:66], -v[73:74]
	v_fma_f64 v[99:100], v[101:102], v[97:98], v[99:100]
	v_add_f64 v[67:68], v[67:68], -v[99:100]
	ds_read2_b64 v[99:102], v125 offset0:42 offset1:43
	s_waitcnt lgkmcnt(0)
	v_mul_f64 v[73:74], v[101:102], v[75:76]
	v_fma_f64 v[73:74], v[99:100], v[97:98], -v[73:74]
	v_mul_f64 v[99:100], v[99:100], v[75:76]
	v_add_f64 v[61:62], v[61:62], -v[73:74]
	v_fma_f64 v[99:100], v[101:102], v[97:98], v[99:100]
	v_add_f64 v[63:64], v[63:64], -v[99:100]
	ds_read2_b64 v[99:102], v125 offset0:44 offset1:45
	s_waitcnt lgkmcnt(0)
	v_mul_f64 v[73:74], v[101:102], v[75:76]
	v_fma_f64 v[73:74], v[99:100], v[97:98], -v[73:74]
	v_mul_f64 v[99:100], v[99:100], v[75:76]
	v_add_f64 v[57:58], v[57:58], -v[73:74]
	v_fma_f64 v[99:100], v[101:102], v[97:98], v[99:100]
	v_add_f64 v[59:60], v[59:60], -v[99:100]
	ds_read2_b64 v[99:102], v125 offset0:46 offset1:47
	s_waitcnt lgkmcnt(0)
	v_mul_f64 v[73:74], v[101:102], v[75:76]
	v_fma_f64 v[73:74], v[99:100], v[97:98], -v[73:74]
	v_mul_f64 v[99:100], v[99:100], v[75:76]
	v_add_f64 v[53:54], v[53:54], -v[73:74]
	v_fma_f64 v[99:100], v[101:102], v[97:98], v[99:100]
	v_add_f64 v[55:56], v[55:56], -v[99:100]
	ds_read2_b64 v[99:102], v125 offset0:48 offset1:49
	s_waitcnt lgkmcnt(0)
	v_mul_f64 v[73:74], v[101:102], v[75:76]
	v_fma_f64 v[73:74], v[99:100], v[97:98], -v[73:74]
	v_mul_f64 v[99:100], v[99:100], v[75:76]
	v_add_f64 v[49:50], v[49:50], -v[73:74]
	v_fma_f64 v[99:100], v[101:102], v[97:98], v[99:100]
	v_add_f64 v[51:52], v[51:52], -v[99:100]
	ds_read2_b64 v[99:102], v125 offset0:50 offset1:51
	s_waitcnt lgkmcnt(0)
	v_mul_f64 v[73:74], v[101:102], v[75:76]
	v_fma_f64 v[73:74], v[99:100], v[97:98], -v[73:74]
	v_mul_f64 v[99:100], v[99:100], v[75:76]
	v_add_f64 v[45:46], v[45:46], -v[73:74]
	v_fma_f64 v[99:100], v[101:102], v[97:98], v[99:100]
	v_add_f64 v[47:48], v[47:48], -v[99:100]
	ds_read2_b64 v[99:102], v125 offset0:52 offset1:53
	s_waitcnt lgkmcnt(0)
	v_mul_f64 v[73:74], v[101:102], v[75:76]
	v_fma_f64 v[73:74], v[99:100], v[97:98], -v[73:74]
	v_mul_f64 v[99:100], v[99:100], v[75:76]
	v_add_f64 v[41:42], v[41:42], -v[73:74]
	v_fma_f64 v[99:100], v[101:102], v[97:98], v[99:100]
	v_add_f64 v[43:44], v[43:44], -v[99:100]
	ds_read2_b64 v[99:102], v125 offset0:54 offset1:55
	s_waitcnt lgkmcnt(0)
	v_mul_f64 v[73:74], v[101:102], v[75:76]
	v_fma_f64 v[73:74], v[99:100], v[97:98], -v[73:74]
	v_mul_f64 v[99:100], v[99:100], v[75:76]
	v_add_f64 v[37:38], v[37:38], -v[73:74]
	v_fma_f64 v[99:100], v[101:102], v[97:98], v[99:100]
	v_add_f64 v[39:40], v[39:40], -v[99:100]
	ds_read2_b64 v[99:102], v125 offset0:56 offset1:57
	s_waitcnt lgkmcnt(0)
	v_mul_f64 v[73:74], v[101:102], v[75:76]
	v_fma_f64 v[73:74], v[99:100], v[97:98], -v[73:74]
	v_mul_f64 v[99:100], v[99:100], v[75:76]
	v_add_f64 v[33:34], v[33:34], -v[73:74]
	v_fma_f64 v[99:100], v[101:102], v[97:98], v[99:100]
	v_add_f64 v[35:36], v[35:36], -v[99:100]
	ds_read2_b64 v[99:102], v125 offset0:58 offset1:59
	s_waitcnt lgkmcnt(0)
	v_mul_f64 v[73:74], v[101:102], v[75:76]
	v_fma_f64 v[73:74], v[99:100], v[97:98], -v[73:74]
	v_mul_f64 v[99:100], v[99:100], v[75:76]
	v_add_f64 v[29:30], v[29:30], -v[73:74]
	v_fma_f64 v[99:100], v[101:102], v[97:98], v[99:100]
	v_add_f64 v[31:32], v[31:32], -v[99:100]
	ds_read2_b64 v[99:102], v125 offset0:60 offset1:61
	s_waitcnt lgkmcnt(0)
	v_mul_f64 v[73:74], v[101:102], v[75:76]
	v_fma_f64 v[73:74], v[99:100], v[97:98], -v[73:74]
	v_mul_f64 v[99:100], v[99:100], v[75:76]
	v_add_f64 v[25:26], v[25:26], -v[73:74]
	v_fma_f64 v[99:100], v[101:102], v[97:98], v[99:100]
	v_add_f64 v[27:28], v[27:28], -v[99:100]
	ds_read2_b64 v[99:102], v125 offset0:62 offset1:63
	s_waitcnt lgkmcnt(0)
	v_mul_f64 v[73:74], v[101:102], v[75:76]
	v_fma_f64 v[73:74], v[99:100], v[97:98], -v[73:74]
	v_mul_f64 v[99:100], v[99:100], v[75:76]
	v_add_f64 v[21:22], v[21:22], -v[73:74]
	v_fma_f64 v[99:100], v[101:102], v[97:98], v[99:100]
	v_add_f64 v[23:24], v[23:24], -v[99:100]
	ds_read2_b64 v[99:102], v125 offset0:64 offset1:65
	s_waitcnt lgkmcnt(0)
	v_mul_f64 v[73:74], v[101:102], v[75:76]
	v_fma_f64 v[73:74], v[99:100], v[97:98], -v[73:74]
	v_mul_f64 v[99:100], v[99:100], v[75:76]
	v_add_f64 v[17:18], v[17:18], -v[73:74]
	v_fma_f64 v[99:100], v[101:102], v[97:98], v[99:100]
	v_add_f64 v[19:20], v[19:20], -v[99:100]
	ds_read2_b64 v[99:102], v125 offset0:66 offset1:67
	s_waitcnt lgkmcnt(0)
	v_mul_f64 v[73:74], v[101:102], v[75:76]
	v_fma_f64 v[73:74], v[99:100], v[97:98], -v[73:74]
	v_mul_f64 v[99:100], v[99:100], v[75:76]
	v_add_f64 v[13:14], v[13:14], -v[73:74]
	v_fma_f64 v[99:100], v[101:102], v[97:98], v[99:100]
	v_add_f64 v[15:16], v[15:16], -v[99:100]
	ds_read2_b64 v[99:102], v125 offset0:68 offset1:69
	s_waitcnt lgkmcnt(0)
	v_mul_f64 v[73:74], v[101:102], v[75:76]
	v_fma_f64 v[73:74], v[99:100], v[97:98], -v[73:74]
	v_mul_f64 v[99:100], v[99:100], v[75:76]
	v_add_f64 v[9:10], v[9:10], -v[73:74]
	v_fma_f64 v[99:100], v[101:102], v[97:98], v[99:100]
	v_add_f64 v[11:12], v[11:12], -v[99:100]
	ds_read2_b64 v[99:102], v125 offset0:70 offset1:71
	s_waitcnt lgkmcnt(0)
	v_mul_f64 v[73:74], v[101:102], v[75:76]
	v_fma_f64 v[73:74], v[99:100], v[97:98], -v[73:74]
	v_mul_f64 v[99:100], v[99:100], v[75:76]
	v_add_f64 v[5:6], v[5:6], -v[73:74]
	v_fma_f64 v[99:100], v[101:102], v[97:98], v[99:100]
	v_add_f64 v[7:8], v[7:8], -v[99:100]
	ds_read2_b64 v[99:102], v125 offset0:72 offset1:73
	s_waitcnt lgkmcnt(0)
	v_mul_f64 v[73:74], v[101:102], v[75:76]
	v_fma_f64 v[73:74], v[99:100], v[97:98], -v[73:74]
	v_mul_f64 v[99:100], v[99:100], v[75:76]
	v_add_f64 v[1:2], v[1:2], -v[73:74]
	v_fma_f64 v[99:100], v[101:102], v[97:98], v[99:100]
	v_add_f64 v[3:4], v[3:4], -v[99:100]
	ds_read2_b64 v[99:102], v125 offset0:74 offset1:75
	s_waitcnt lgkmcnt(0)
	v_mul_f64 v[73:74], v[101:102], v[75:76]
	v_fma_f64 v[73:74], v[99:100], v[97:98], -v[73:74]
	v_mul_f64 v[99:100], v[99:100], v[75:76]
	v_add_f64 v[113:114], v[113:114], -v[73:74]
	v_fma_f64 v[99:100], v[101:102], v[97:98], v[99:100]
	v_mov_b32_e32 v73, v97
	v_mov_b32_e32 v74, v98
	buffer_store_dword v73, off, s[20:23], 0 ; 4-byte Folded Spill
	s_nop 0
	buffer_store_dword v74, off, s[20:23], 0 offset:4 ; 4-byte Folded Spill
	buffer_store_dword v75, off, s[20:23], 0 offset:8 ; 4-byte Folded Spill
	;; [unrolled: 1-line block ×3, first 2 shown]
	v_add_f64 v[115:116], v[115:116], -v[99:100]
.LBB75_172:
	s_or_b64 exec, exec, s[2:3]
	v_cmp_eq_u32_e32 vcc, 19, v0
	s_waitcnt vmcnt(0) lgkmcnt(0)
	s_barrier
	s_and_saveexec_b64 s[4:5], vcc
	s_cbranch_execz .LBB75_179
; %bb.173:
	ds_write2_b64 v127, v[69:70], v[71:72] offset1:1
	ds_write2_b64 v125, v[65:66], v[67:68] offset0:40 offset1:41
	ds_write2_b64 v125, v[61:62], v[63:64] offset0:42 offset1:43
	;; [unrolled: 1-line block ×18, first 2 shown]
	ds_read2_b64 v[97:100], v127 offset1:1
	s_waitcnt lgkmcnt(0)
	v_cmp_neq_f64_e32 vcc, 0, v[97:98]
	v_cmp_neq_f64_e64 s[2:3], 0, v[99:100]
	s_or_b64 s[2:3], vcc, s[2:3]
	s_and_b64 exec, exec, s[2:3]
	s_cbranch_execz .LBB75_179
; %bb.174:
	v_cmp_ngt_f64_e64 s[2:3], |v[97:98]|, |v[99:100]|
                                        ; implicit-def: $vgpr101_vgpr102
	s_and_saveexec_b64 s[6:7], s[2:3]
	s_xor_b64 s[2:3], exec, s[6:7]
                                        ; implicit-def: $vgpr103_vgpr104
	s_cbranch_execz .LBB75_176
; %bb.175:
	v_div_scale_f64 v[101:102], s[6:7], v[99:100], v[99:100], v[97:98]
	v_rcp_f64_e32 v[103:104], v[101:102]
	v_fma_f64 v[105:106], -v[101:102], v[103:104], 1.0
	v_fma_f64 v[103:104], v[103:104], v[105:106], v[103:104]
	v_div_scale_f64 v[105:106], vcc, v[97:98], v[99:100], v[97:98]
	v_fma_f64 v[107:108], -v[101:102], v[103:104], 1.0
	v_fma_f64 v[103:104], v[103:104], v[107:108], v[103:104]
	v_mul_f64 v[107:108], v[105:106], v[103:104]
	v_fma_f64 v[101:102], -v[101:102], v[107:108], v[105:106]
	v_div_fmas_f64 v[101:102], v[101:102], v[103:104], v[107:108]
	v_div_fixup_f64 v[101:102], v[101:102], v[99:100], v[97:98]
	v_fma_f64 v[97:98], v[97:98], v[101:102], v[99:100]
	v_div_scale_f64 v[99:100], s[6:7], v[97:98], v[97:98], 1.0
	v_div_scale_f64 v[107:108], vcc, 1.0, v[97:98], 1.0
	v_rcp_f64_e32 v[103:104], v[99:100]
	v_fma_f64 v[105:106], -v[99:100], v[103:104], 1.0
	v_fma_f64 v[103:104], v[103:104], v[105:106], v[103:104]
	v_fma_f64 v[105:106], -v[99:100], v[103:104], 1.0
	v_fma_f64 v[103:104], v[103:104], v[105:106], v[103:104]
	v_mul_f64 v[105:106], v[107:108], v[103:104]
	v_fma_f64 v[99:100], -v[99:100], v[105:106], v[107:108]
	v_div_fmas_f64 v[99:100], v[99:100], v[103:104], v[105:106]
	v_div_fixup_f64 v[103:104], v[99:100], v[97:98], 1.0
                                        ; implicit-def: $vgpr97_vgpr98
	v_mul_f64 v[101:102], v[101:102], v[103:104]
	v_xor_b32_e32 v104, 0x80000000, v104
.LBB75_176:
	s_andn2_saveexec_b64 s[2:3], s[2:3]
	s_cbranch_execz .LBB75_178
; %bb.177:
	v_div_scale_f64 v[101:102], s[6:7], v[97:98], v[97:98], v[99:100]
	v_rcp_f64_e32 v[103:104], v[101:102]
	v_fma_f64 v[105:106], -v[101:102], v[103:104], 1.0
	v_fma_f64 v[103:104], v[103:104], v[105:106], v[103:104]
	v_div_scale_f64 v[105:106], vcc, v[99:100], v[97:98], v[99:100]
	v_fma_f64 v[107:108], -v[101:102], v[103:104], 1.0
	v_fma_f64 v[103:104], v[103:104], v[107:108], v[103:104]
	v_mul_f64 v[107:108], v[105:106], v[103:104]
	v_fma_f64 v[101:102], -v[101:102], v[107:108], v[105:106]
	v_div_fmas_f64 v[101:102], v[101:102], v[103:104], v[107:108]
	v_div_fixup_f64 v[103:104], v[101:102], v[97:98], v[99:100]
	v_fma_f64 v[97:98], v[99:100], v[103:104], v[97:98]
	v_div_scale_f64 v[99:100], s[6:7], v[97:98], v[97:98], 1.0
	v_div_scale_f64 v[107:108], vcc, 1.0, v[97:98], 1.0
	v_rcp_f64_e32 v[101:102], v[99:100]
	v_fma_f64 v[105:106], -v[99:100], v[101:102], 1.0
	v_fma_f64 v[101:102], v[101:102], v[105:106], v[101:102]
	v_fma_f64 v[105:106], -v[99:100], v[101:102], 1.0
	v_fma_f64 v[101:102], v[101:102], v[105:106], v[101:102]
	v_mul_f64 v[105:106], v[107:108], v[101:102]
	v_fma_f64 v[99:100], -v[99:100], v[105:106], v[107:108]
	v_div_fmas_f64 v[99:100], v[99:100], v[101:102], v[105:106]
	v_div_fixup_f64 v[101:102], v[99:100], v[97:98], 1.0
	v_mul_f64 v[103:104], v[103:104], -v[101:102]
.LBB75_178:
	s_or_b64 exec, exec, s[2:3]
	ds_write2_b64 v127, v[101:102], v[103:104] offset1:1
.LBB75_179:
	s_or_b64 exec, exec, s[4:5]
	s_waitcnt lgkmcnt(0)
	s_barrier
	ds_read2_b64 v[73:76], v127 offset1:1
	v_cmp_lt_u32_e32 vcc, 19, v0
	s_waitcnt lgkmcnt(0)
	buffer_store_dword v73, off, s[20:23], 0 offset:800 ; 4-byte Folded Spill
	s_nop 0
	buffer_store_dword v74, off, s[20:23], 0 offset:804 ; 4-byte Folded Spill
	buffer_store_dword v75, off, s[20:23], 0 offset:808 ; 4-byte Folded Spill
	;; [unrolled: 1-line block ×3, first 2 shown]
	s_and_saveexec_b64 s[2:3], vcc
	s_cbranch_execz .LBB75_181
; %bb.180:
	buffer_load_dword v73, off, s[20:23], 0 offset:800 ; 4-byte Folded Reload
	buffer_load_dword v74, off, s[20:23], 0 offset:804 ; 4-byte Folded Reload
	;; [unrolled: 1-line block ×4, first 2 shown]
	ds_read2_b64 v[99:102], v125 offset0:40 offset1:41
	s_waitcnt vmcnt(0)
	v_mul_f64 v[97:98], v[75:76], v[71:72]
	v_mul_f64 v[71:72], v[73:74], v[71:72]
	v_fma_f64 v[97:98], v[73:74], v[69:70], -v[97:98]
	v_fma_f64 v[71:72], v[75:76], v[69:70], v[71:72]
	s_waitcnt lgkmcnt(0)
	v_mul_f64 v[69:70], v[101:102], v[71:72]
	v_fma_f64 v[69:70], v[99:100], v[97:98], -v[69:70]
	v_mul_f64 v[99:100], v[99:100], v[71:72]
	v_add_f64 v[65:66], v[65:66], -v[69:70]
	v_fma_f64 v[99:100], v[101:102], v[97:98], v[99:100]
	v_add_f64 v[67:68], v[67:68], -v[99:100]
	ds_read2_b64 v[99:102], v125 offset0:42 offset1:43
	s_waitcnt lgkmcnt(0)
	v_mul_f64 v[69:70], v[101:102], v[71:72]
	v_fma_f64 v[69:70], v[99:100], v[97:98], -v[69:70]
	v_mul_f64 v[99:100], v[99:100], v[71:72]
	v_add_f64 v[61:62], v[61:62], -v[69:70]
	v_fma_f64 v[99:100], v[101:102], v[97:98], v[99:100]
	v_add_f64 v[63:64], v[63:64], -v[99:100]
	ds_read2_b64 v[99:102], v125 offset0:44 offset1:45
	;; [unrolled: 8-line block ×17, first 2 shown]
	s_waitcnt lgkmcnt(0)
	v_mul_f64 v[69:70], v[101:102], v[71:72]
	v_fma_f64 v[69:70], v[99:100], v[97:98], -v[69:70]
	v_mul_f64 v[99:100], v[99:100], v[71:72]
	v_add_f64 v[113:114], v[113:114], -v[69:70]
	v_fma_f64 v[99:100], v[101:102], v[97:98], v[99:100]
	v_mov_b32_e32 v69, v97
	v_mov_b32_e32 v70, v98
	v_add_f64 v[115:116], v[115:116], -v[99:100]
.LBB75_181:
	s_or_b64 exec, exec, s[2:3]
	v_cmp_eq_u32_e32 vcc, 20, v0
	s_waitcnt vmcnt(0)
	s_barrier
	s_and_saveexec_b64 s[4:5], vcc
	s_cbranch_execz .LBB75_188
; %bb.182:
	ds_write2_b64 v127, v[65:66], v[67:68] offset1:1
	ds_write2_b64 v125, v[61:62], v[63:64] offset0:42 offset1:43
	ds_write2_b64 v125, v[57:58], v[59:60] offset0:44 offset1:45
	ds_write2_b64 v125, v[53:54], v[55:56] offset0:46 offset1:47
	ds_write2_b64 v125, v[49:50], v[51:52] offset0:48 offset1:49
	ds_write2_b64 v125, v[45:46], v[47:48] offset0:50 offset1:51
	ds_write2_b64 v125, v[41:42], v[43:44] offset0:52 offset1:53
	ds_write2_b64 v125, v[37:38], v[39:40] offset0:54 offset1:55
	ds_write2_b64 v125, v[33:34], v[35:36] offset0:56 offset1:57
	ds_write2_b64 v125, v[29:30], v[31:32] offset0:58 offset1:59
	ds_write2_b64 v125, v[25:26], v[27:28] offset0:60 offset1:61
	ds_write2_b64 v125, v[21:22], v[23:24] offset0:62 offset1:63
	ds_write2_b64 v125, v[17:18], v[19:20] offset0:64 offset1:65
	ds_write2_b64 v125, v[13:14], v[15:16] offset0:66 offset1:67
	ds_write2_b64 v125, v[9:10], v[11:12] offset0:68 offset1:69
	ds_write2_b64 v125, v[5:6], v[7:8] offset0:70 offset1:71
	ds_write2_b64 v125, v[1:2], v[3:4] offset0:72 offset1:73
	ds_write2_b64 v125, v[113:114], v[115:116] offset0:74 offset1:75
	ds_read2_b64 v[97:100], v127 offset1:1
	s_waitcnt lgkmcnt(0)
	v_cmp_neq_f64_e32 vcc, 0, v[97:98]
	v_cmp_neq_f64_e64 s[2:3], 0, v[99:100]
	s_or_b64 s[2:3], vcc, s[2:3]
	s_and_b64 exec, exec, s[2:3]
	s_cbranch_execz .LBB75_188
; %bb.183:
	v_cmp_ngt_f64_e64 s[2:3], |v[97:98]|, |v[99:100]|
                                        ; implicit-def: $vgpr101_vgpr102
	s_and_saveexec_b64 s[6:7], s[2:3]
	s_xor_b64 s[2:3], exec, s[6:7]
                                        ; implicit-def: $vgpr103_vgpr104
	s_cbranch_execz .LBB75_185
; %bb.184:
	v_div_scale_f64 v[101:102], s[6:7], v[99:100], v[99:100], v[97:98]
	v_rcp_f64_e32 v[103:104], v[101:102]
	v_fma_f64 v[105:106], -v[101:102], v[103:104], 1.0
	v_fma_f64 v[103:104], v[103:104], v[105:106], v[103:104]
	v_div_scale_f64 v[105:106], vcc, v[97:98], v[99:100], v[97:98]
	v_fma_f64 v[107:108], -v[101:102], v[103:104], 1.0
	v_fma_f64 v[103:104], v[103:104], v[107:108], v[103:104]
	v_mul_f64 v[107:108], v[105:106], v[103:104]
	v_fma_f64 v[101:102], -v[101:102], v[107:108], v[105:106]
	v_div_fmas_f64 v[101:102], v[101:102], v[103:104], v[107:108]
	v_div_fixup_f64 v[101:102], v[101:102], v[99:100], v[97:98]
	v_fma_f64 v[97:98], v[97:98], v[101:102], v[99:100]
	v_div_scale_f64 v[99:100], s[6:7], v[97:98], v[97:98], 1.0
	v_div_scale_f64 v[107:108], vcc, 1.0, v[97:98], 1.0
	v_rcp_f64_e32 v[103:104], v[99:100]
	v_fma_f64 v[105:106], -v[99:100], v[103:104], 1.0
	v_fma_f64 v[103:104], v[103:104], v[105:106], v[103:104]
	v_fma_f64 v[105:106], -v[99:100], v[103:104], 1.0
	v_fma_f64 v[103:104], v[103:104], v[105:106], v[103:104]
	v_mul_f64 v[105:106], v[107:108], v[103:104]
	v_fma_f64 v[99:100], -v[99:100], v[105:106], v[107:108]
	v_div_fmas_f64 v[99:100], v[99:100], v[103:104], v[105:106]
	v_div_fixup_f64 v[103:104], v[99:100], v[97:98], 1.0
                                        ; implicit-def: $vgpr97_vgpr98
	v_mul_f64 v[101:102], v[101:102], v[103:104]
	v_xor_b32_e32 v104, 0x80000000, v104
.LBB75_185:
	s_andn2_saveexec_b64 s[2:3], s[2:3]
	s_cbranch_execz .LBB75_187
; %bb.186:
	v_div_scale_f64 v[101:102], s[6:7], v[97:98], v[97:98], v[99:100]
	v_rcp_f64_e32 v[103:104], v[101:102]
	v_fma_f64 v[105:106], -v[101:102], v[103:104], 1.0
	v_fma_f64 v[103:104], v[103:104], v[105:106], v[103:104]
	v_div_scale_f64 v[105:106], vcc, v[99:100], v[97:98], v[99:100]
	v_fma_f64 v[107:108], -v[101:102], v[103:104], 1.0
	v_fma_f64 v[103:104], v[103:104], v[107:108], v[103:104]
	v_mul_f64 v[107:108], v[105:106], v[103:104]
	v_fma_f64 v[101:102], -v[101:102], v[107:108], v[105:106]
	v_div_fmas_f64 v[101:102], v[101:102], v[103:104], v[107:108]
	v_div_fixup_f64 v[103:104], v[101:102], v[97:98], v[99:100]
	v_fma_f64 v[97:98], v[99:100], v[103:104], v[97:98]
	v_div_scale_f64 v[99:100], s[6:7], v[97:98], v[97:98], 1.0
	v_div_scale_f64 v[107:108], vcc, 1.0, v[97:98], 1.0
	v_rcp_f64_e32 v[101:102], v[99:100]
	v_fma_f64 v[105:106], -v[99:100], v[101:102], 1.0
	v_fma_f64 v[101:102], v[101:102], v[105:106], v[101:102]
	v_fma_f64 v[105:106], -v[99:100], v[101:102], 1.0
	v_fma_f64 v[101:102], v[101:102], v[105:106], v[101:102]
	v_mul_f64 v[105:106], v[107:108], v[101:102]
	v_fma_f64 v[99:100], -v[99:100], v[105:106], v[107:108]
	v_div_fmas_f64 v[99:100], v[99:100], v[101:102], v[105:106]
	v_div_fixup_f64 v[101:102], v[99:100], v[97:98], 1.0
	v_mul_f64 v[103:104], v[103:104], -v[101:102]
.LBB75_187:
	s_or_b64 exec, exec, s[2:3]
	ds_write2_b64 v127, v[101:102], v[103:104] offset1:1
.LBB75_188:
	s_or_b64 exec, exec, s[4:5]
	s_waitcnt lgkmcnt(0)
	s_barrier
	ds_read2_b64 v[73:76], v127 offset1:1
	v_cmp_lt_u32_e32 vcc, 20, v0
	s_waitcnt lgkmcnt(0)
	buffer_store_dword v73, off, s[20:23], 0 offset:816 ; 4-byte Folded Spill
	s_nop 0
	buffer_store_dword v74, off, s[20:23], 0 offset:820 ; 4-byte Folded Spill
	buffer_store_dword v75, off, s[20:23], 0 offset:824 ; 4-byte Folded Spill
	;; [unrolled: 1-line block ×3, first 2 shown]
	s_and_saveexec_b64 s[2:3], vcc
	s_cbranch_execz .LBB75_190
; %bb.189:
	buffer_load_dword v73, off, s[20:23], 0 offset:816 ; 4-byte Folded Reload
	buffer_load_dword v74, off, s[20:23], 0 offset:820 ; 4-byte Folded Reload
	;; [unrolled: 1-line block ×4, first 2 shown]
	ds_read2_b64 v[99:102], v125 offset0:42 offset1:43
	s_waitcnt vmcnt(0)
	v_mul_f64 v[97:98], v[75:76], v[67:68]
	v_mul_f64 v[67:68], v[73:74], v[67:68]
	v_fma_f64 v[97:98], v[73:74], v[65:66], -v[97:98]
	v_fma_f64 v[67:68], v[75:76], v[65:66], v[67:68]
	s_waitcnt lgkmcnt(0)
	v_mul_f64 v[65:66], v[101:102], v[67:68]
	v_fma_f64 v[65:66], v[99:100], v[97:98], -v[65:66]
	v_mul_f64 v[99:100], v[99:100], v[67:68]
	v_add_f64 v[61:62], v[61:62], -v[65:66]
	v_fma_f64 v[99:100], v[101:102], v[97:98], v[99:100]
	v_add_f64 v[63:64], v[63:64], -v[99:100]
	ds_read2_b64 v[99:102], v125 offset0:44 offset1:45
	s_waitcnt lgkmcnt(0)
	v_mul_f64 v[65:66], v[101:102], v[67:68]
	v_fma_f64 v[65:66], v[99:100], v[97:98], -v[65:66]
	v_mul_f64 v[99:100], v[99:100], v[67:68]
	v_add_f64 v[57:58], v[57:58], -v[65:66]
	v_fma_f64 v[99:100], v[101:102], v[97:98], v[99:100]
	v_add_f64 v[59:60], v[59:60], -v[99:100]
	ds_read2_b64 v[99:102], v125 offset0:46 offset1:47
	;; [unrolled: 8-line block ×16, first 2 shown]
	s_waitcnt lgkmcnt(0)
	v_mul_f64 v[65:66], v[101:102], v[67:68]
	v_fma_f64 v[65:66], v[99:100], v[97:98], -v[65:66]
	v_mul_f64 v[99:100], v[99:100], v[67:68]
	v_add_f64 v[113:114], v[113:114], -v[65:66]
	v_fma_f64 v[99:100], v[101:102], v[97:98], v[99:100]
	v_mov_b32_e32 v65, v97
	v_mov_b32_e32 v66, v98
	v_add_f64 v[115:116], v[115:116], -v[99:100]
.LBB75_190:
	s_or_b64 exec, exec, s[2:3]
	v_cmp_eq_u32_e32 vcc, 21, v0
	s_waitcnt vmcnt(0)
	s_barrier
	s_and_saveexec_b64 s[4:5], vcc
	s_cbranch_execz .LBB75_197
; %bb.191:
	ds_write2_b64 v127, v[61:62], v[63:64] offset1:1
	ds_write2_b64 v125, v[57:58], v[59:60] offset0:44 offset1:45
	ds_write2_b64 v125, v[53:54], v[55:56] offset0:46 offset1:47
	;; [unrolled: 1-line block ×16, first 2 shown]
	ds_read2_b64 v[97:100], v127 offset1:1
	s_waitcnt lgkmcnt(0)
	v_cmp_neq_f64_e32 vcc, 0, v[97:98]
	v_cmp_neq_f64_e64 s[2:3], 0, v[99:100]
	s_or_b64 s[2:3], vcc, s[2:3]
	s_and_b64 exec, exec, s[2:3]
	s_cbranch_execz .LBB75_197
; %bb.192:
	v_cmp_ngt_f64_e64 s[2:3], |v[97:98]|, |v[99:100]|
                                        ; implicit-def: $vgpr101_vgpr102
	s_and_saveexec_b64 s[6:7], s[2:3]
	s_xor_b64 s[2:3], exec, s[6:7]
                                        ; implicit-def: $vgpr103_vgpr104
	s_cbranch_execz .LBB75_194
; %bb.193:
	v_div_scale_f64 v[101:102], s[6:7], v[99:100], v[99:100], v[97:98]
	v_rcp_f64_e32 v[103:104], v[101:102]
	v_fma_f64 v[105:106], -v[101:102], v[103:104], 1.0
	v_fma_f64 v[103:104], v[103:104], v[105:106], v[103:104]
	v_div_scale_f64 v[105:106], vcc, v[97:98], v[99:100], v[97:98]
	v_fma_f64 v[107:108], -v[101:102], v[103:104], 1.0
	v_fma_f64 v[103:104], v[103:104], v[107:108], v[103:104]
	v_mul_f64 v[107:108], v[105:106], v[103:104]
	v_fma_f64 v[101:102], -v[101:102], v[107:108], v[105:106]
	v_div_fmas_f64 v[101:102], v[101:102], v[103:104], v[107:108]
	v_div_fixup_f64 v[101:102], v[101:102], v[99:100], v[97:98]
	v_fma_f64 v[97:98], v[97:98], v[101:102], v[99:100]
	v_div_scale_f64 v[99:100], s[6:7], v[97:98], v[97:98], 1.0
	v_div_scale_f64 v[107:108], vcc, 1.0, v[97:98], 1.0
	v_rcp_f64_e32 v[103:104], v[99:100]
	v_fma_f64 v[105:106], -v[99:100], v[103:104], 1.0
	v_fma_f64 v[103:104], v[103:104], v[105:106], v[103:104]
	v_fma_f64 v[105:106], -v[99:100], v[103:104], 1.0
	v_fma_f64 v[103:104], v[103:104], v[105:106], v[103:104]
	v_mul_f64 v[105:106], v[107:108], v[103:104]
	v_fma_f64 v[99:100], -v[99:100], v[105:106], v[107:108]
	v_div_fmas_f64 v[99:100], v[99:100], v[103:104], v[105:106]
	v_div_fixup_f64 v[103:104], v[99:100], v[97:98], 1.0
                                        ; implicit-def: $vgpr97_vgpr98
	v_mul_f64 v[101:102], v[101:102], v[103:104]
	v_xor_b32_e32 v104, 0x80000000, v104
.LBB75_194:
	s_andn2_saveexec_b64 s[2:3], s[2:3]
	s_cbranch_execz .LBB75_196
; %bb.195:
	v_div_scale_f64 v[101:102], s[6:7], v[97:98], v[97:98], v[99:100]
	v_rcp_f64_e32 v[103:104], v[101:102]
	v_fma_f64 v[105:106], -v[101:102], v[103:104], 1.0
	v_fma_f64 v[103:104], v[103:104], v[105:106], v[103:104]
	v_div_scale_f64 v[105:106], vcc, v[99:100], v[97:98], v[99:100]
	v_fma_f64 v[107:108], -v[101:102], v[103:104], 1.0
	v_fma_f64 v[103:104], v[103:104], v[107:108], v[103:104]
	v_mul_f64 v[107:108], v[105:106], v[103:104]
	v_fma_f64 v[101:102], -v[101:102], v[107:108], v[105:106]
	v_div_fmas_f64 v[101:102], v[101:102], v[103:104], v[107:108]
	v_div_fixup_f64 v[103:104], v[101:102], v[97:98], v[99:100]
	v_fma_f64 v[97:98], v[99:100], v[103:104], v[97:98]
	v_div_scale_f64 v[99:100], s[6:7], v[97:98], v[97:98], 1.0
	v_div_scale_f64 v[107:108], vcc, 1.0, v[97:98], 1.0
	v_rcp_f64_e32 v[101:102], v[99:100]
	v_fma_f64 v[105:106], -v[99:100], v[101:102], 1.0
	v_fma_f64 v[101:102], v[101:102], v[105:106], v[101:102]
	v_fma_f64 v[105:106], -v[99:100], v[101:102], 1.0
	v_fma_f64 v[101:102], v[101:102], v[105:106], v[101:102]
	v_mul_f64 v[105:106], v[107:108], v[101:102]
	v_fma_f64 v[99:100], -v[99:100], v[105:106], v[107:108]
	v_div_fmas_f64 v[99:100], v[99:100], v[101:102], v[105:106]
	v_div_fixup_f64 v[101:102], v[99:100], v[97:98], 1.0
	v_mul_f64 v[103:104], v[103:104], -v[101:102]
.LBB75_196:
	s_or_b64 exec, exec, s[2:3]
	ds_write2_b64 v127, v[101:102], v[103:104] offset1:1
.LBB75_197:
	s_or_b64 exec, exec, s[4:5]
	s_waitcnt lgkmcnt(0)
	s_barrier
	ds_read2_b64 v[73:76], v127 offset1:1
	v_cmp_lt_u32_e32 vcc, 21, v0
	s_waitcnt lgkmcnt(0)
	buffer_store_dword v73, off, s[20:23], 0 offset:832 ; 4-byte Folded Spill
	s_nop 0
	buffer_store_dword v74, off, s[20:23], 0 offset:836 ; 4-byte Folded Spill
	buffer_store_dword v75, off, s[20:23], 0 offset:840 ; 4-byte Folded Spill
	;; [unrolled: 1-line block ×3, first 2 shown]
	s_and_saveexec_b64 s[2:3], vcc
	s_cbranch_execz .LBB75_199
; %bb.198:
	buffer_load_dword v73, off, s[20:23], 0 offset:832 ; 4-byte Folded Reload
	buffer_load_dword v74, off, s[20:23], 0 offset:836 ; 4-byte Folded Reload
	buffer_load_dword v75, off, s[20:23], 0 offset:840 ; 4-byte Folded Reload
	buffer_load_dword v76, off, s[20:23], 0 offset:844 ; 4-byte Folded Reload
	ds_read2_b64 v[99:102], v125 offset0:44 offset1:45
	s_waitcnt vmcnt(2)
	v_mul_f64 v[97:98], v[73:74], v[63:64]
	s_waitcnt vmcnt(0)
	v_mul_f64 v[63:64], v[75:76], v[63:64]
	v_fma_f64 v[97:98], v[75:76], v[61:62], v[97:98]
	v_fma_f64 v[61:62], v[73:74], v[61:62], -v[63:64]
	s_waitcnt lgkmcnt(0)
	v_mul_f64 v[63:64], v[101:102], v[97:98]
	v_fma_f64 v[63:64], v[99:100], v[61:62], -v[63:64]
	v_mul_f64 v[99:100], v[99:100], v[97:98]
	v_add_f64 v[57:58], v[57:58], -v[63:64]
	v_fma_f64 v[99:100], v[101:102], v[61:62], v[99:100]
	v_add_f64 v[59:60], v[59:60], -v[99:100]
	ds_read2_b64 v[99:102], v125 offset0:46 offset1:47
	s_waitcnt lgkmcnt(0)
	v_mul_f64 v[63:64], v[101:102], v[97:98]
	v_fma_f64 v[63:64], v[99:100], v[61:62], -v[63:64]
	v_mul_f64 v[99:100], v[99:100], v[97:98]
	v_add_f64 v[53:54], v[53:54], -v[63:64]
	v_fma_f64 v[99:100], v[101:102], v[61:62], v[99:100]
	v_add_f64 v[55:56], v[55:56], -v[99:100]
	ds_read2_b64 v[99:102], v125 offset0:48 offset1:49
	;; [unrolled: 8-line block ×15, first 2 shown]
	s_waitcnt lgkmcnt(0)
	v_mul_f64 v[63:64], v[101:102], v[97:98]
	v_fma_f64 v[63:64], v[99:100], v[61:62], -v[63:64]
	v_mul_f64 v[99:100], v[99:100], v[97:98]
	v_add_f64 v[113:114], v[113:114], -v[63:64]
	v_fma_f64 v[99:100], v[101:102], v[61:62], v[99:100]
	v_mov_b32_e32 v63, v97
	v_mov_b32_e32 v64, v98
	v_add_f64 v[115:116], v[115:116], -v[99:100]
.LBB75_199:
	s_or_b64 exec, exec, s[2:3]
	v_cmp_eq_u32_e32 vcc, 22, v0
	s_waitcnt vmcnt(0)
	s_barrier
	s_and_saveexec_b64 s[4:5], vcc
	s_cbranch_execz .LBB75_206
; %bb.200:
	ds_write2_b64 v127, v[57:58], v[59:60] offset1:1
	ds_write2_b64 v125, v[53:54], v[55:56] offset0:46 offset1:47
	ds_write2_b64 v125, v[49:50], v[51:52] offset0:48 offset1:49
	;; [unrolled: 1-line block ×15, first 2 shown]
	ds_read2_b64 v[97:100], v127 offset1:1
	s_waitcnt lgkmcnt(0)
	v_cmp_neq_f64_e32 vcc, 0, v[97:98]
	v_cmp_neq_f64_e64 s[2:3], 0, v[99:100]
	s_or_b64 s[2:3], vcc, s[2:3]
	s_and_b64 exec, exec, s[2:3]
	s_cbranch_execz .LBB75_206
; %bb.201:
	v_cmp_ngt_f64_e64 s[2:3], |v[97:98]|, |v[99:100]|
                                        ; implicit-def: $vgpr101_vgpr102
	s_and_saveexec_b64 s[6:7], s[2:3]
	s_xor_b64 s[2:3], exec, s[6:7]
                                        ; implicit-def: $vgpr103_vgpr104
	s_cbranch_execz .LBB75_203
; %bb.202:
	v_div_scale_f64 v[101:102], s[6:7], v[99:100], v[99:100], v[97:98]
	v_rcp_f64_e32 v[103:104], v[101:102]
	v_fma_f64 v[105:106], -v[101:102], v[103:104], 1.0
	v_fma_f64 v[103:104], v[103:104], v[105:106], v[103:104]
	v_div_scale_f64 v[105:106], vcc, v[97:98], v[99:100], v[97:98]
	v_fma_f64 v[107:108], -v[101:102], v[103:104], 1.0
	v_fma_f64 v[103:104], v[103:104], v[107:108], v[103:104]
	v_mul_f64 v[107:108], v[105:106], v[103:104]
	v_fma_f64 v[101:102], -v[101:102], v[107:108], v[105:106]
	v_div_fmas_f64 v[101:102], v[101:102], v[103:104], v[107:108]
	v_div_fixup_f64 v[101:102], v[101:102], v[99:100], v[97:98]
	v_fma_f64 v[97:98], v[97:98], v[101:102], v[99:100]
	v_div_scale_f64 v[99:100], s[6:7], v[97:98], v[97:98], 1.0
	v_div_scale_f64 v[107:108], vcc, 1.0, v[97:98], 1.0
	v_rcp_f64_e32 v[103:104], v[99:100]
	v_fma_f64 v[105:106], -v[99:100], v[103:104], 1.0
	v_fma_f64 v[103:104], v[103:104], v[105:106], v[103:104]
	v_fma_f64 v[105:106], -v[99:100], v[103:104], 1.0
	v_fma_f64 v[103:104], v[103:104], v[105:106], v[103:104]
	v_mul_f64 v[105:106], v[107:108], v[103:104]
	v_fma_f64 v[99:100], -v[99:100], v[105:106], v[107:108]
	v_div_fmas_f64 v[99:100], v[99:100], v[103:104], v[105:106]
	v_div_fixup_f64 v[103:104], v[99:100], v[97:98], 1.0
                                        ; implicit-def: $vgpr97_vgpr98
	v_mul_f64 v[101:102], v[101:102], v[103:104]
	v_xor_b32_e32 v104, 0x80000000, v104
.LBB75_203:
	s_andn2_saveexec_b64 s[2:3], s[2:3]
	s_cbranch_execz .LBB75_205
; %bb.204:
	v_div_scale_f64 v[101:102], s[6:7], v[97:98], v[97:98], v[99:100]
	v_rcp_f64_e32 v[103:104], v[101:102]
	v_fma_f64 v[105:106], -v[101:102], v[103:104], 1.0
	v_fma_f64 v[103:104], v[103:104], v[105:106], v[103:104]
	v_div_scale_f64 v[105:106], vcc, v[99:100], v[97:98], v[99:100]
	v_fma_f64 v[107:108], -v[101:102], v[103:104], 1.0
	v_fma_f64 v[103:104], v[103:104], v[107:108], v[103:104]
	v_mul_f64 v[107:108], v[105:106], v[103:104]
	v_fma_f64 v[101:102], -v[101:102], v[107:108], v[105:106]
	v_div_fmas_f64 v[101:102], v[101:102], v[103:104], v[107:108]
	v_div_fixup_f64 v[103:104], v[101:102], v[97:98], v[99:100]
	v_fma_f64 v[97:98], v[99:100], v[103:104], v[97:98]
	v_div_scale_f64 v[99:100], s[6:7], v[97:98], v[97:98], 1.0
	v_div_scale_f64 v[107:108], vcc, 1.0, v[97:98], 1.0
	v_rcp_f64_e32 v[101:102], v[99:100]
	v_fma_f64 v[105:106], -v[99:100], v[101:102], 1.0
	v_fma_f64 v[101:102], v[101:102], v[105:106], v[101:102]
	v_fma_f64 v[105:106], -v[99:100], v[101:102], 1.0
	v_fma_f64 v[101:102], v[101:102], v[105:106], v[101:102]
	v_mul_f64 v[105:106], v[107:108], v[101:102]
	v_fma_f64 v[99:100], -v[99:100], v[105:106], v[107:108]
	v_div_fmas_f64 v[99:100], v[99:100], v[101:102], v[105:106]
	v_div_fixup_f64 v[101:102], v[99:100], v[97:98], 1.0
	v_mul_f64 v[103:104], v[103:104], -v[101:102]
.LBB75_205:
	s_or_b64 exec, exec, s[2:3]
	ds_write2_b64 v127, v[101:102], v[103:104] offset1:1
.LBB75_206:
	s_or_b64 exec, exec, s[4:5]
	s_waitcnt lgkmcnt(0)
	s_barrier
	ds_read2_b64 v[73:76], v127 offset1:1
	v_cmp_lt_u32_e32 vcc, 22, v0
	s_waitcnt lgkmcnt(0)
	buffer_store_dword v73, off, s[20:23], 0 offset:848 ; 4-byte Folded Spill
	s_nop 0
	buffer_store_dword v74, off, s[20:23], 0 offset:852 ; 4-byte Folded Spill
	buffer_store_dword v75, off, s[20:23], 0 offset:856 ; 4-byte Folded Spill
	;; [unrolled: 1-line block ×3, first 2 shown]
	s_and_saveexec_b64 s[2:3], vcc
	s_cbranch_execz .LBB75_208
; %bb.207:
	buffer_load_dword v73, off, s[20:23], 0 offset:848 ; 4-byte Folded Reload
	buffer_load_dword v74, off, s[20:23], 0 offset:852 ; 4-byte Folded Reload
	;; [unrolled: 1-line block ×4, first 2 shown]
	ds_read2_b64 v[99:102], v125 offset0:46 offset1:47
	s_waitcnt vmcnt(2)
	v_mul_f64 v[97:98], v[73:74], v[59:60]
	s_waitcnt vmcnt(0)
	v_mul_f64 v[59:60], v[75:76], v[59:60]
	v_fma_f64 v[97:98], v[75:76], v[57:58], v[97:98]
	v_fma_f64 v[57:58], v[73:74], v[57:58], -v[59:60]
	s_waitcnt lgkmcnt(0)
	v_mul_f64 v[59:60], v[101:102], v[97:98]
	v_fma_f64 v[59:60], v[99:100], v[57:58], -v[59:60]
	v_mul_f64 v[99:100], v[99:100], v[97:98]
	v_add_f64 v[53:54], v[53:54], -v[59:60]
	v_fma_f64 v[99:100], v[101:102], v[57:58], v[99:100]
	v_add_f64 v[55:56], v[55:56], -v[99:100]
	ds_read2_b64 v[99:102], v125 offset0:48 offset1:49
	s_waitcnt lgkmcnt(0)
	v_mul_f64 v[59:60], v[101:102], v[97:98]
	v_fma_f64 v[59:60], v[99:100], v[57:58], -v[59:60]
	v_mul_f64 v[99:100], v[99:100], v[97:98]
	v_add_f64 v[49:50], v[49:50], -v[59:60]
	v_fma_f64 v[99:100], v[101:102], v[57:58], v[99:100]
	v_add_f64 v[51:52], v[51:52], -v[99:100]
	ds_read2_b64 v[99:102], v125 offset0:50 offset1:51
	;; [unrolled: 8-line block ×14, first 2 shown]
	s_waitcnt lgkmcnt(0)
	v_mul_f64 v[59:60], v[101:102], v[97:98]
	v_fma_f64 v[59:60], v[99:100], v[57:58], -v[59:60]
	v_mul_f64 v[99:100], v[99:100], v[97:98]
	v_add_f64 v[113:114], v[113:114], -v[59:60]
	v_fma_f64 v[99:100], v[101:102], v[57:58], v[99:100]
	v_mov_b32_e32 v59, v97
	v_mov_b32_e32 v60, v98
	v_add_f64 v[115:116], v[115:116], -v[99:100]
.LBB75_208:
	s_or_b64 exec, exec, s[2:3]
	v_cmp_eq_u32_e32 vcc, 23, v0
	s_waitcnt vmcnt(0)
	s_barrier
	s_and_saveexec_b64 s[4:5], vcc
	s_cbranch_execz .LBB75_215
; %bb.209:
	ds_write2_b64 v127, v[53:54], v[55:56] offset1:1
	ds_write2_b64 v125, v[49:50], v[51:52] offset0:48 offset1:49
	ds_write2_b64 v125, v[45:46], v[47:48] offset0:50 offset1:51
	;; [unrolled: 1-line block ×14, first 2 shown]
	ds_read2_b64 v[97:100], v127 offset1:1
	s_waitcnt lgkmcnt(0)
	v_cmp_neq_f64_e32 vcc, 0, v[97:98]
	v_cmp_neq_f64_e64 s[2:3], 0, v[99:100]
	s_or_b64 s[2:3], vcc, s[2:3]
	s_and_b64 exec, exec, s[2:3]
	s_cbranch_execz .LBB75_215
; %bb.210:
	v_cmp_ngt_f64_e64 s[2:3], |v[97:98]|, |v[99:100]|
                                        ; implicit-def: $vgpr101_vgpr102
	s_and_saveexec_b64 s[6:7], s[2:3]
	s_xor_b64 s[2:3], exec, s[6:7]
                                        ; implicit-def: $vgpr103_vgpr104
	s_cbranch_execz .LBB75_212
; %bb.211:
	v_div_scale_f64 v[101:102], s[6:7], v[99:100], v[99:100], v[97:98]
	v_rcp_f64_e32 v[103:104], v[101:102]
	v_fma_f64 v[105:106], -v[101:102], v[103:104], 1.0
	v_fma_f64 v[103:104], v[103:104], v[105:106], v[103:104]
	v_div_scale_f64 v[105:106], vcc, v[97:98], v[99:100], v[97:98]
	v_fma_f64 v[107:108], -v[101:102], v[103:104], 1.0
	v_fma_f64 v[103:104], v[103:104], v[107:108], v[103:104]
	v_mul_f64 v[107:108], v[105:106], v[103:104]
	v_fma_f64 v[101:102], -v[101:102], v[107:108], v[105:106]
	v_div_fmas_f64 v[101:102], v[101:102], v[103:104], v[107:108]
	v_div_fixup_f64 v[101:102], v[101:102], v[99:100], v[97:98]
	v_fma_f64 v[97:98], v[97:98], v[101:102], v[99:100]
	v_div_scale_f64 v[99:100], s[6:7], v[97:98], v[97:98], 1.0
	v_div_scale_f64 v[107:108], vcc, 1.0, v[97:98], 1.0
	v_rcp_f64_e32 v[103:104], v[99:100]
	v_fma_f64 v[105:106], -v[99:100], v[103:104], 1.0
	v_fma_f64 v[103:104], v[103:104], v[105:106], v[103:104]
	v_fma_f64 v[105:106], -v[99:100], v[103:104], 1.0
	v_fma_f64 v[103:104], v[103:104], v[105:106], v[103:104]
	v_mul_f64 v[105:106], v[107:108], v[103:104]
	v_fma_f64 v[99:100], -v[99:100], v[105:106], v[107:108]
	v_div_fmas_f64 v[99:100], v[99:100], v[103:104], v[105:106]
	v_div_fixup_f64 v[103:104], v[99:100], v[97:98], 1.0
                                        ; implicit-def: $vgpr97_vgpr98
	v_mul_f64 v[101:102], v[101:102], v[103:104]
	v_xor_b32_e32 v104, 0x80000000, v104
.LBB75_212:
	s_andn2_saveexec_b64 s[2:3], s[2:3]
	s_cbranch_execz .LBB75_214
; %bb.213:
	v_div_scale_f64 v[101:102], s[6:7], v[97:98], v[97:98], v[99:100]
	v_rcp_f64_e32 v[103:104], v[101:102]
	v_fma_f64 v[105:106], -v[101:102], v[103:104], 1.0
	v_fma_f64 v[103:104], v[103:104], v[105:106], v[103:104]
	v_div_scale_f64 v[105:106], vcc, v[99:100], v[97:98], v[99:100]
	v_fma_f64 v[107:108], -v[101:102], v[103:104], 1.0
	v_fma_f64 v[103:104], v[103:104], v[107:108], v[103:104]
	v_mul_f64 v[107:108], v[105:106], v[103:104]
	v_fma_f64 v[101:102], -v[101:102], v[107:108], v[105:106]
	v_div_fmas_f64 v[101:102], v[101:102], v[103:104], v[107:108]
	v_div_fixup_f64 v[103:104], v[101:102], v[97:98], v[99:100]
	v_fma_f64 v[97:98], v[99:100], v[103:104], v[97:98]
	v_div_scale_f64 v[99:100], s[6:7], v[97:98], v[97:98], 1.0
	v_div_scale_f64 v[107:108], vcc, 1.0, v[97:98], 1.0
	v_rcp_f64_e32 v[101:102], v[99:100]
	v_fma_f64 v[105:106], -v[99:100], v[101:102], 1.0
	v_fma_f64 v[101:102], v[101:102], v[105:106], v[101:102]
	v_fma_f64 v[105:106], -v[99:100], v[101:102], 1.0
	v_fma_f64 v[101:102], v[101:102], v[105:106], v[101:102]
	v_mul_f64 v[105:106], v[107:108], v[101:102]
	v_fma_f64 v[99:100], -v[99:100], v[105:106], v[107:108]
	v_div_fmas_f64 v[99:100], v[99:100], v[101:102], v[105:106]
	v_div_fixup_f64 v[101:102], v[99:100], v[97:98], 1.0
	v_mul_f64 v[103:104], v[103:104], -v[101:102]
.LBB75_214:
	s_or_b64 exec, exec, s[2:3]
	ds_write2_b64 v127, v[101:102], v[103:104] offset1:1
.LBB75_215:
	s_or_b64 exec, exec, s[4:5]
	s_waitcnt lgkmcnt(0)
	s_barrier
	ds_read2_b64 v[73:76], v127 offset1:1
	v_cmp_lt_u32_e32 vcc, 23, v0
	s_waitcnt lgkmcnt(0)
	buffer_store_dword v73, off, s[20:23], 0 offset:864 ; 4-byte Folded Spill
	s_nop 0
	buffer_store_dword v74, off, s[20:23], 0 offset:868 ; 4-byte Folded Spill
	buffer_store_dword v75, off, s[20:23], 0 offset:872 ; 4-byte Folded Spill
	;; [unrolled: 1-line block ×3, first 2 shown]
	s_and_saveexec_b64 s[2:3], vcc
	s_cbranch_execz .LBB75_217
; %bb.216:
	buffer_load_dword v73, off, s[20:23], 0 offset:864 ; 4-byte Folded Reload
	buffer_load_dword v74, off, s[20:23], 0 offset:868 ; 4-byte Folded Reload
	;; [unrolled: 1-line block ×4, first 2 shown]
	ds_read2_b64 v[99:102], v125 offset0:48 offset1:49
	s_waitcnt vmcnt(2)
	v_mul_f64 v[97:98], v[73:74], v[55:56]
	s_waitcnt vmcnt(0)
	v_mul_f64 v[55:56], v[75:76], v[55:56]
	v_fma_f64 v[97:98], v[75:76], v[53:54], v[97:98]
	v_fma_f64 v[53:54], v[73:74], v[53:54], -v[55:56]
	s_waitcnt lgkmcnt(0)
	v_mul_f64 v[55:56], v[101:102], v[97:98]
	v_fma_f64 v[55:56], v[99:100], v[53:54], -v[55:56]
	v_mul_f64 v[99:100], v[99:100], v[97:98]
	v_add_f64 v[49:50], v[49:50], -v[55:56]
	v_fma_f64 v[99:100], v[101:102], v[53:54], v[99:100]
	v_add_f64 v[51:52], v[51:52], -v[99:100]
	ds_read2_b64 v[99:102], v125 offset0:50 offset1:51
	s_waitcnt lgkmcnt(0)
	v_mul_f64 v[55:56], v[101:102], v[97:98]
	v_fma_f64 v[55:56], v[99:100], v[53:54], -v[55:56]
	v_mul_f64 v[99:100], v[99:100], v[97:98]
	v_add_f64 v[45:46], v[45:46], -v[55:56]
	v_fma_f64 v[99:100], v[101:102], v[53:54], v[99:100]
	v_add_f64 v[47:48], v[47:48], -v[99:100]
	ds_read2_b64 v[99:102], v125 offset0:52 offset1:53
	;; [unrolled: 8-line block ×13, first 2 shown]
	s_waitcnt lgkmcnt(0)
	v_mul_f64 v[55:56], v[101:102], v[97:98]
	v_fma_f64 v[55:56], v[99:100], v[53:54], -v[55:56]
	v_mul_f64 v[99:100], v[99:100], v[97:98]
	v_add_f64 v[113:114], v[113:114], -v[55:56]
	v_fma_f64 v[99:100], v[101:102], v[53:54], v[99:100]
	v_mov_b32_e32 v55, v97
	v_mov_b32_e32 v56, v98
	v_add_f64 v[115:116], v[115:116], -v[99:100]
.LBB75_217:
	s_or_b64 exec, exec, s[2:3]
	v_cmp_eq_u32_e32 vcc, 24, v0
	s_waitcnt vmcnt(0)
	s_barrier
	s_and_saveexec_b64 s[4:5], vcc
	s_cbranch_execz .LBB75_224
; %bb.218:
	ds_write2_b64 v127, v[49:50], v[51:52] offset1:1
	ds_write2_b64 v125, v[45:46], v[47:48] offset0:50 offset1:51
	ds_write2_b64 v125, v[41:42], v[43:44] offset0:52 offset1:53
	;; [unrolled: 1-line block ×13, first 2 shown]
	ds_read2_b64 v[97:100], v127 offset1:1
	s_waitcnt lgkmcnt(0)
	v_cmp_neq_f64_e32 vcc, 0, v[97:98]
	v_cmp_neq_f64_e64 s[2:3], 0, v[99:100]
	s_or_b64 s[2:3], vcc, s[2:3]
	s_and_b64 exec, exec, s[2:3]
	s_cbranch_execz .LBB75_224
; %bb.219:
	v_cmp_ngt_f64_e64 s[2:3], |v[97:98]|, |v[99:100]|
                                        ; implicit-def: $vgpr101_vgpr102
	s_and_saveexec_b64 s[6:7], s[2:3]
	s_xor_b64 s[2:3], exec, s[6:7]
                                        ; implicit-def: $vgpr103_vgpr104
	s_cbranch_execz .LBB75_221
; %bb.220:
	v_div_scale_f64 v[101:102], s[6:7], v[99:100], v[99:100], v[97:98]
	v_rcp_f64_e32 v[103:104], v[101:102]
	v_fma_f64 v[105:106], -v[101:102], v[103:104], 1.0
	v_fma_f64 v[103:104], v[103:104], v[105:106], v[103:104]
	v_div_scale_f64 v[105:106], vcc, v[97:98], v[99:100], v[97:98]
	v_fma_f64 v[107:108], -v[101:102], v[103:104], 1.0
	v_fma_f64 v[103:104], v[103:104], v[107:108], v[103:104]
	v_mul_f64 v[107:108], v[105:106], v[103:104]
	v_fma_f64 v[101:102], -v[101:102], v[107:108], v[105:106]
	v_div_fmas_f64 v[101:102], v[101:102], v[103:104], v[107:108]
	v_div_fixup_f64 v[101:102], v[101:102], v[99:100], v[97:98]
	v_fma_f64 v[97:98], v[97:98], v[101:102], v[99:100]
	v_div_scale_f64 v[99:100], s[6:7], v[97:98], v[97:98], 1.0
	v_div_scale_f64 v[107:108], vcc, 1.0, v[97:98], 1.0
	v_rcp_f64_e32 v[103:104], v[99:100]
	v_fma_f64 v[105:106], -v[99:100], v[103:104], 1.0
	v_fma_f64 v[103:104], v[103:104], v[105:106], v[103:104]
	v_fma_f64 v[105:106], -v[99:100], v[103:104], 1.0
	v_fma_f64 v[103:104], v[103:104], v[105:106], v[103:104]
	v_mul_f64 v[105:106], v[107:108], v[103:104]
	v_fma_f64 v[99:100], -v[99:100], v[105:106], v[107:108]
	v_div_fmas_f64 v[99:100], v[99:100], v[103:104], v[105:106]
	v_div_fixup_f64 v[103:104], v[99:100], v[97:98], 1.0
                                        ; implicit-def: $vgpr97_vgpr98
	v_mul_f64 v[101:102], v[101:102], v[103:104]
	v_xor_b32_e32 v104, 0x80000000, v104
.LBB75_221:
	s_andn2_saveexec_b64 s[2:3], s[2:3]
	s_cbranch_execz .LBB75_223
; %bb.222:
	v_div_scale_f64 v[101:102], s[6:7], v[97:98], v[97:98], v[99:100]
	v_rcp_f64_e32 v[103:104], v[101:102]
	v_fma_f64 v[105:106], -v[101:102], v[103:104], 1.0
	v_fma_f64 v[103:104], v[103:104], v[105:106], v[103:104]
	v_div_scale_f64 v[105:106], vcc, v[99:100], v[97:98], v[99:100]
	v_fma_f64 v[107:108], -v[101:102], v[103:104], 1.0
	v_fma_f64 v[103:104], v[103:104], v[107:108], v[103:104]
	v_mul_f64 v[107:108], v[105:106], v[103:104]
	v_fma_f64 v[101:102], -v[101:102], v[107:108], v[105:106]
	v_div_fmas_f64 v[101:102], v[101:102], v[103:104], v[107:108]
	v_div_fixup_f64 v[103:104], v[101:102], v[97:98], v[99:100]
	v_fma_f64 v[97:98], v[99:100], v[103:104], v[97:98]
	v_div_scale_f64 v[99:100], s[6:7], v[97:98], v[97:98], 1.0
	v_div_scale_f64 v[107:108], vcc, 1.0, v[97:98], 1.0
	v_rcp_f64_e32 v[101:102], v[99:100]
	v_fma_f64 v[105:106], -v[99:100], v[101:102], 1.0
	v_fma_f64 v[101:102], v[101:102], v[105:106], v[101:102]
	v_fma_f64 v[105:106], -v[99:100], v[101:102], 1.0
	v_fma_f64 v[101:102], v[101:102], v[105:106], v[101:102]
	v_mul_f64 v[105:106], v[107:108], v[101:102]
	v_fma_f64 v[99:100], -v[99:100], v[105:106], v[107:108]
	v_div_fmas_f64 v[99:100], v[99:100], v[101:102], v[105:106]
	v_div_fixup_f64 v[101:102], v[99:100], v[97:98], 1.0
	v_mul_f64 v[103:104], v[103:104], -v[101:102]
.LBB75_223:
	s_or_b64 exec, exec, s[2:3]
	ds_write2_b64 v127, v[101:102], v[103:104] offset1:1
.LBB75_224:
	s_or_b64 exec, exec, s[4:5]
	s_waitcnt lgkmcnt(0)
	s_barrier
	ds_read2_b64 v[85:88], v127 offset1:1
	v_cmp_lt_u32_e32 vcc, 24, v0
	s_and_saveexec_b64 s[2:3], vcc
	s_cbranch_execz .LBB75_226
; %bb.225:
	s_waitcnt lgkmcnt(0)
	v_mov_b32_e32 v73, v85
	v_mov_b32_e32 v74, v86
	v_mul_f64 v[97:98], v[73:74], v[51:52]
	v_mov_b32_e32 v75, v87
	v_mov_b32_e32 v76, v88
	v_mul_f64 v[51:52], v[75:76], v[51:52]
	ds_read2_b64 v[99:102], v125 offset0:50 offset1:51
	v_fma_f64 v[97:98], v[75:76], v[49:50], v[97:98]
	v_fma_f64 v[49:50], v[73:74], v[49:50], -v[51:52]
	s_waitcnt lgkmcnt(0)
	v_mul_f64 v[51:52], v[101:102], v[97:98]
	v_fma_f64 v[51:52], v[99:100], v[49:50], -v[51:52]
	v_mul_f64 v[99:100], v[99:100], v[97:98]
	v_add_f64 v[45:46], v[45:46], -v[51:52]
	v_fma_f64 v[99:100], v[101:102], v[49:50], v[99:100]
	v_add_f64 v[47:48], v[47:48], -v[99:100]
	ds_read2_b64 v[99:102], v125 offset0:52 offset1:53
	s_waitcnt lgkmcnt(0)
	v_mul_f64 v[51:52], v[101:102], v[97:98]
	v_fma_f64 v[51:52], v[99:100], v[49:50], -v[51:52]
	v_mul_f64 v[99:100], v[99:100], v[97:98]
	v_add_f64 v[41:42], v[41:42], -v[51:52]
	v_fma_f64 v[99:100], v[101:102], v[49:50], v[99:100]
	v_add_f64 v[43:44], v[43:44], -v[99:100]
	ds_read2_b64 v[99:102], v125 offset0:54 offset1:55
	;; [unrolled: 8-line block ×12, first 2 shown]
	s_waitcnt lgkmcnt(0)
	v_mul_f64 v[51:52], v[101:102], v[97:98]
	v_fma_f64 v[51:52], v[99:100], v[49:50], -v[51:52]
	v_mul_f64 v[99:100], v[99:100], v[97:98]
	v_add_f64 v[113:114], v[113:114], -v[51:52]
	v_fma_f64 v[99:100], v[101:102], v[49:50], v[99:100]
	v_mov_b32_e32 v51, v97
	v_mov_b32_e32 v52, v98
	v_add_f64 v[115:116], v[115:116], -v[99:100]
.LBB75_226:
	s_or_b64 exec, exec, s[2:3]
	v_cmp_eq_u32_e32 vcc, 25, v0
	s_waitcnt lgkmcnt(0)
	s_barrier
	s_and_saveexec_b64 s[4:5], vcc
	s_cbranch_execz .LBB75_233
; %bb.227:
	ds_write2_b64 v127, v[45:46], v[47:48] offset1:1
	ds_write2_b64 v125, v[41:42], v[43:44] offset0:52 offset1:53
	ds_write2_b64 v125, v[37:38], v[39:40] offset0:54 offset1:55
	;; [unrolled: 1-line block ×12, first 2 shown]
	ds_read2_b64 v[97:100], v127 offset1:1
	s_waitcnt lgkmcnt(0)
	v_cmp_neq_f64_e32 vcc, 0, v[97:98]
	v_cmp_neq_f64_e64 s[2:3], 0, v[99:100]
	s_or_b64 s[2:3], vcc, s[2:3]
	s_and_b64 exec, exec, s[2:3]
	s_cbranch_execz .LBB75_233
; %bb.228:
	v_cmp_ngt_f64_e64 s[2:3], |v[97:98]|, |v[99:100]|
                                        ; implicit-def: $vgpr101_vgpr102
	s_and_saveexec_b64 s[6:7], s[2:3]
	s_xor_b64 s[2:3], exec, s[6:7]
                                        ; implicit-def: $vgpr103_vgpr104
	s_cbranch_execz .LBB75_230
; %bb.229:
	v_div_scale_f64 v[101:102], s[6:7], v[99:100], v[99:100], v[97:98]
	v_rcp_f64_e32 v[103:104], v[101:102]
	v_fma_f64 v[105:106], -v[101:102], v[103:104], 1.0
	v_fma_f64 v[103:104], v[103:104], v[105:106], v[103:104]
	v_div_scale_f64 v[105:106], vcc, v[97:98], v[99:100], v[97:98]
	v_fma_f64 v[107:108], -v[101:102], v[103:104], 1.0
	v_fma_f64 v[103:104], v[103:104], v[107:108], v[103:104]
	v_mul_f64 v[107:108], v[105:106], v[103:104]
	v_fma_f64 v[101:102], -v[101:102], v[107:108], v[105:106]
	v_div_fmas_f64 v[101:102], v[101:102], v[103:104], v[107:108]
	v_div_fixup_f64 v[101:102], v[101:102], v[99:100], v[97:98]
	v_fma_f64 v[97:98], v[97:98], v[101:102], v[99:100]
	v_div_scale_f64 v[99:100], s[6:7], v[97:98], v[97:98], 1.0
	v_div_scale_f64 v[107:108], vcc, 1.0, v[97:98], 1.0
	v_rcp_f64_e32 v[103:104], v[99:100]
	v_fma_f64 v[105:106], -v[99:100], v[103:104], 1.0
	v_fma_f64 v[103:104], v[103:104], v[105:106], v[103:104]
	v_fma_f64 v[105:106], -v[99:100], v[103:104], 1.0
	v_fma_f64 v[103:104], v[103:104], v[105:106], v[103:104]
	v_mul_f64 v[105:106], v[107:108], v[103:104]
	v_fma_f64 v[99:100], -v[99:100], v[105:106], v[107:108]
	v_div_fmas_f64 v[99:100], v[99:100], v[103:104], v[105:106]
	v_div_fixup_f64 v[103:104], v[99:100], v[97:98], 1.0
                                        ; implicit-def: $vgpr97_vgpr98
	v_mul_f64 v[101:102], v[101:102], v[103:104]
	v_xor_b32_e32 v104, 0x80000000, v104
.LBB75_230:
	s_andn2_saveexec_b64 s[2:3], s[2:3]
	s_cbranch_execz .LBB75_232
; %bb.231:
	v_div_scale_f64 v[101:102], s[6:7], v[97:98], v[97:98], v[99:100]
	v_rcp_f64_e32 v[103:104], v[101:102]
	v_fma_f64 v[105:106], -v[101:102], v[103:104], 1.0
	v_fma_f64 v[103:104], v[103:104], v[105:106], v[103:104]
	v_div_scale_f64 v[105:106], vcc, v[99:100], v[97:98], v[99:100]
	v_fma_f64 v[107:108], -v[101:102], v[103:104], 1.0
	v_fma_f64 v[103:104], v[103:104], v[107:108], v[103:104]
	v_mul_f64 v[107:108], v[105:106], v[103:104]
	v_fma_f64 v[101:102], -v[101:102], v[107:108], v[105:106]
	v_div_fmas_f64 v[101:102], v[101:102], v[103:104], v[107:108]
	v_div_fixup_f64 v[103:104], v[101:102], v[97:98], v[99:100]
	v_fma_f64 v[97:98], v[99:100], v[103:104], v[97:98]
	v_div_scale_f64 v[99:100], s[6:7], v[97:98], v[97:98], 1.0
	v_div_scale_f64 v[107:108], vcc, 1.0, v[97:98], 1.0
	v_rcp_f64_e32 v[101:102], v[99:100]
	v_fma_f64 v[105:106], -v[99:100], v[101:102], 1.0
	v_fma_f64 v[101:102], v[101:102], v[105:106], v[101:102]
	v_fma_f64 v[105:106], -v[99:100], v[101:102], 1.0
	v_fma_f64 v[101:102], v[101:102], v[105:106], v[101:102]
	v_mul_f64 v[105:106], v[107:108], v[101:102]
	v_fma_f64 v[99:100], -v[99:100], v[105:106], v[107:108]
	v_div_fmas_f64 v[99:100], v[99:100], v[101:102], v[105:106]
	v_div_fixup_f64 v[101:102], v[99:100], v[97:98], 1.0
	v_mul_f64 v[103:104], v[103:104], -v[101:102]
.LBB75_232:
	s_or_b64 exec, exec, s[2:3]
	ds_write2_b64 v127, v[101:102], v[103:104] offset1:1
.LBB75_233:
	s_or_b64 exec, exec, s[4:5]
	s_waitcnt lgkmcnt(0)
	s_barrier
	ds_read2_b64 v[73:76], v127 offset1:1
	v_cmp_lt_u32_e32 vcc, 25, v0
	s_waitcnt lgkmcnt(0)
	buffer_store_dword v73, off, s[20:23], 0 offset:896 ; 4-byte Folded Spill
	s_nop 0
	buffer_store_dword v74, off, s[20:23], 0 offset:900 ; 4-byte Folded Spill
	buffer_store_dword v75, off, s[20:23], 0 offset:904 ; 4-byte Folded Spill
	;; [unrolled: 1-line block ×3, first 2 shown]
	s_and_saveexec_b64 s[2:3], vcc
	s_cbranch_execz .LBB75_235
; %bb.234:
	buffer_load_dword v73, off, s[20:23], 0 offset:896 ; 4-byte Folded Reload
	buffer_load_dword v74, off, s[20:23], 0 offset:900 ; 4-byte Folded Reload
	buffer_load_dword v75, off, s[20:23], 0 offset:904 ; 4-byte Folded Reload
	buffer_load_dword v76, off, s[20:23], 0 offset:908 ; 4-byte Folded Reload
	ds_read2_b64 v[99:102], v125 offset0:52 offset1:53
	s_waitcnt vmcnt(2)
	v_mul_f64 v[97:98], v[73:74], v[47:48]
	s_waitcnt vmcnt(0)
	v_mul_f64 v[47:48], v[75:76], v[47:48]
	v_fma_f64 v[97:98], v[75:76], v[45:46], v[97:98]
	v_fma_f64 v[45:46], v[73:74], v[45:46], -v[47:48]
	s_waitcnt lgkmcnt(0)
	v_mul_f64 v[47:48], v[101:102], v[97:98]
	v_fma_f64 v[47:48], v[99:100], v[45:46], -v[47:48]
	v_mul_f64 v[99:100], v[99:100], v[97:98]
	v_add_f64 v[41:42], v[41:42], -v[47:48]
	v_fma_f64 v[99:100], v[101:102], v[45:46], v[99:100]
	v_add_f64 v[43:44], v[43:44], -v[99:100]
	ds_read2_b64 v[99:102], v125 offset0:54 offset1:55
	s_waitcnt lgkmcnt(0)
	v_mul_f64 v[47:48], v[101:102], v[97:98]
	v_fma_f64 v[47:48], v[99:100], v[45:46], -v[47:48]
	v_mul_f64 v[99:100], v[99:100], v[97:98]
	v_add_f64 v[37:38], v[37:38], -v[47:48]
	v_fma_f64 v[99:100], v[101:102], v[45:46], v[99:100]
	v_add_f64 v[39:40], v[39:40], -v[99:100]
	ds_read2_b64 v[99:102], v125 offset0:56 offset1:57
	;; [unrolled: 8-line block ×11, first 2 shown]
	s_waitcnt lgkmcnt(0)
	v_mul_f64 v[47:48], v[101:102], v[97:98]
	v_fma_f64 v[47:48], v[99:100], v[45:46], -v[47:48]
	v_mul_f64 v[99:100], v[99:100], v[97:98]
	v_add_f64 v[113:114], v[113:114], -v[47:48]
	v_fma_f64 v[99:100], v[101:102], v[45:46], v[99:100]
	v_mov_b32_e32 v47, v97
	v_mov_b32_e32 v48, v98
	v_add_f64 v[115:116], v[115:116], -v[99:100]
.LBB75_235:
	s_or_b64 exec, exec, s[2:3]
	v_cmp_eq_u32_e32 vcc, 26, v0
	s_waitcnt vmcnt(0)
	s_barrier
	s_and_saveexec_b64 s[4:5], vcc
	s_cbranch_execz .LBB75_242
; %bb.236:
	ds_write2_b64 v127, v[41:42], v[43:44] offset1:1
	ds_write2_b64 v125, v[37:38], v[39:40] offset0:54 offset1:55
	ds_write2_b64 v125, v[33:34], v[35:36] offset0:56 offset1:57
	;; [unrolled: 1-line block ×11, first 2 shown]
	ds_read2_b64 v[97:100], v127 offset1:1
	s_waitcnt lgkmcnt(0)
	v_cmp_neq_f64_e32 vcc, 0, v[97:98]
	v_cmp_neq_f64_e64 s[2:3], 0, v[99:100]
	s_or_b64 s[2:3], vcc, s[2:3]
	s_and_b64 exec, exec, s[2:3]
	s_cbranch_execz .LBB75_242
; %bb.237:
	v_cmp_ngt_f64_e64 s[2:3], |v[97:98]|, |v[99:100]|
                                        ; implicit-def: $vgpr101_vgpr102
	s_and_saveexec_b64 s[6:7], s[2:3]
	s_xor_b64 s[2:3], exec, s[6:7]
                                        ; implicit-def: $vgpr103_vgpr104
	s_cbranch_execz .LBB75_239
; %bb.238:
	v_div_scale_f64 v[101:102], s[6:7], v[99:100], v[99:100], v[97:98]
	v_rcp_f64_e32 v[103:104], v[101:102]
	v_fma_f64 v[105:106], -v[101:102], v[103:104], 1.0
	v_fma_f64 v[103:104], v[103:104], v[105:106], v[103:104]
	v_div_scale_f64 v[105:106], vcc, v[97:98], v[99:100], v[97:98]
	v_fma_f64 v[107:108], -v[101:102], v[103:104], 1.0
	v_fma_f64 v[103:104], v[103:104], v[107:108], v[103:104]
	v_mul_f64 v[107:108], v[105:106], v[103:104]
	v_fma_f64 v[101:102], -v[101:102], v[107:108], v[105:106]
	v_div_fmas_f64 v[101:102], v[101:102], v[103:104], v[107:108]
	v_div_fixup_f64 v[101:102], v[101:102], v[99:100], v[97:98]
	v_fma_f64 v[97:98], v[97:98], v[101:102], v[99:100]
	v_div_scale_f64 v[99:100], s[6:7], v[97:98], v[97:98], 1.0
	v_div_scale_f64 v[107:108], vcc, 1.0, v[97:98], 1.0
	v_rcp_f64_e32 v[103:104], v[99:100]
	v_fma_f64 v[105:106], -v[99:100], v[103:104], 1.0
	v_fma_f64 v[103:104], v[103:104], v[105:106], v[103:104]
	v_fma_f64 v[105:106], -v[99:100], v[103:104], 1.0
	v_fma_f64 v[103:104], v[103:104], v[105:106], v[103:104]
	v_mul_f64 v[105:106], v[107:108], v[103:104]
	v_fma_f64 v[99:100], -v[99:100], v[105:106], v[107:108]
	v_div_fmas_f64 v[99:100], v[99:100], v[103:104], v[105:106]
	v_div_fixup_f64 v[103:104], v[99:100], v[97:98], 1.0
                                        ; implicit-def: $vgpr97_vgpr98
	v_mul_f64 v[101:102], v[101:102], v[103:104]
	v_xor_b32_e32 v104, 0x80000000, v104
.LBB75_239:
	s_andn2_saveexec_b64 s[2:3], s[2:3]
	s_cbranch_execz .LBB75_241
; %bb.240:
	v_div_scale_f64 v[101:102], s[6:7], v[97:98], v[97:98], v[99:100]
	v_rcp_f64_e32 v[103:104], v[101:102]
	v_fma_f64 v[105:106], -v[101:102], v[103:104], 1.0
	v_fma_f64 v[103:104], v[103:104], v[105:106], v[103:104]
	v_div_scale_f64 v[105:106], vcc, v[99:100], v[97:98], v[99:100]
	v_fma_f64 v[107:108], -v[101:102], v[103:104], 1.0
	v_fma_f64 v[103:104], v[103:104], v[107:108], v[103:104]
	v_mul_f64 v[107:108], v[105:106], v[103:104]
	v_fma_f64 v[101:102], -v[101:102], v[107:108], v[105:106]
	v_div_fmas_f64 v[101:102], v[101:102], v[103:104], v[107:108]
	v_div_fixup_f64 v[103:104], v[101:102], v[97:98], v[99:100]
	v_fma_f64 v[97:98], v[99:100], v[103:104], v[97:98]
	v_div_scale_f64 v[99:100], s[6:7], v[97:98], v[97:98], 1.0
	v_div_scale_f64 v[107:108], vcc, 1.0, v[97:98], 1.0
	v_rcp_f64_e32 v[101:102], v[99:100]
	v_fma_f64 v[105:106], -v[99:100], v[101:102], 1.0
	v_fma_f64 v[101:102], v[101:102], v[105:106], v[101:102]
	v_fma_f64 v[105:106], -v[99:100], v[101:102], 1.0
	v_fma_f64 v[101:102], v[101:102], v[105:106], v[101:102]
	v_mul_f64 v[105:106], v[107:108], v[101:102]
	v_fma_f64 v[99:100], -v[99:100], v[105:106], v[107:108]
	v_div_fmas_f64 v[99:100], v[99:100], v[101:102], v[105:106]
	v_div_fixup_f64 v[101:102], v[99:100], v[97:98], 1.0
	v_mul_f64 v[103:104], v[103:104], -v[101:102]
.LBB75_241:
	s_or_b64 exec, exec, s[2:3]
	ds_write2_b64 v127, v[101:102], v[103:104] offset1:1
.LBB75_242:
	s_or_b64 exec, exec, s[4:5]
	s_waitcnt lgkmcnt(0)
	s_barrier
	ds_read2_b64 v[73:76], v127 offset1:1
	v_cmp_lt_u32_e32 vcc, 26, v0
	s_waitcnt lgkmcnt(0)
	buffer_store_dword v73, off, s[20:23], 0 offset:912 ; 4-byte Folded Spill
	s_nop 0
	buffer_store_dword v74, off, s[20:23], 0 offset:916 ; 4-byte Folded Spill
	buffer_store_dword v75, off, s[20:23], 0 offset:920 ; 4-byte Folded Spill
	;; [unrolled: 1-line block ×3, first 2 shown]
	s_and_saveexec_b64 s[2:3], vcc
	s_cbranch_execz .LBB75_244
; %bb.243:
	buffer_load_dword v73, off, s[20:23], 0 offset:912 ; 4-byte Folded Reload
	buffer_load_dword v74, off, s[20:23], 0 offset:916 ; 4-byte Folded Reload
	buffer_load_dword v75, off, s[20:23], 0 offset:920 ; 4-byte Folded Reload
	buffer_load_dword v76, off, s[20:23], 0 offset:924 ; 4-byte Folded Reload
	ds_read2_b64 v[99:102], v125 offset0:54 offset1:55
	s_waitcnt vmcnt(2)
	v_mul_f64 v[97:98], v[73:74], v[43:44]
	s_waitcnt vmcnt(0)
	v_mul_f64 v[43:44], v[75:76], v[43:44]
	v_fma_f64 v[97:98], v[75:76], v[41:42], v[97:98]
	v_fma_f64 v[41:42], v[73:74], v[41:42], -v[43:44]
	s_waitcnt lgkmcnt(0)
	v_mul_f64 v[43:44], v[101:102], v[97:98]
	v_fma_f64 v[43:44], v[99:100], v[41:42], -v[43:44]
	v_mul_f64 v[99:100], v[99:100], v[97:98]
	v_add_f64 v[37:38], v[37:38], -v[43:44]
	v_fma_f64 v[99:100], v[101:102], v[41:42], v[99:100]
	v_add_f64 v[39:40], v[39:40], -v[99:100]
	ds_read2_b64 v[99:102], v125 offset0:56 offset1:57
	s_waitcnt lgkmcnt(0)
	v_mul_f64 v[43:44], v[101:102], v[97:98]
	v_fma_f64 v[43:44], v[99:100], v[41:42], -v[43:44]
	v_mul_f64 v[99:100], v[99:100], v[97:98]
	v_add_f64 v[33:34], v[33:34], -v[43:44]
	v_fma_f64 v[99:100], v[101:102], v[41:42], v[99:100]
	v_add_f64 v[35:36], v[35:36], -v[99:100]
	ds_read2_b64 v[99:102], v125 offset0:58 offset1:59
	;; [unrolled: 8-line block ×10, first 2 shown]
	s_waitcnt lgkmcnt(0)
	v_mul_f64 v[43:44], v[101:102], v[97:98]
	v_fma_f64 v[43:44], v[99:100], v[41:42], -v[43:44]
	v_mul_f64 v[99:100], v[99:100], v[97:98]
	v_add_f64 v[113:114], v[113:114], -v[43:44]
	v_fma_f64 v[99:100], v[101:102], v[41:42], v[99:100]
	v_mov_b32_e32 v43, v97
	v_mov_b32_e32 v44, v98
	v_add_f64 v[115:116], v[115:116], -v[99:100]
.LBB75_244:
	s_or_b64 exec, exec, s[2:3]
	v_cmp_eq_u32_e32 vcc, 27, v0
	s_waitcnt vmcnt(0)
	s_barrier
	s_and_saveexec_b64 s[4:5], vcc
	s_cbranch_execz .LBB75_251
; %bb.245:
	ds_write2_b64 v127, v[37:38], v[39:40] offset1:1
	ds_write2_b64 v125, v[33:34], v[35:36] offset0:56 offset1:57
	ds_write2_b64 v125, v[29:30], v[31:32] offset0:58 offset1:59
	ds_write2_b64 v125, v[25:26], v[27:28] offset0:60 offset1:61
	ds_write2_b64 v125, v[21:22], v[23:24] offset0:62 offset1:63
	ds_write2_b64 v125, v[17:18], v[19:20] offset0:64 offset1:65
	ds_write2_b64 v125, v[13:14], v[15:16] offset0:66 offset1:67
	ds_write2_b64 v125, v[9:10], v[11:12] offset0:68 offset1:69
	ds_write2_b64 v125, v[5:6], v[7:8] offset0:70 offset1:71
	ds_write2_b64 v125, v[1:2], v[3:4] offset0:72 offset1:73
	ds_write2_b64 v125, v[113:114], v[115:116] offset0:74 offset1:75
	ds_read2_b64 v[97:100], v127 offset1:1
	s_waitcnt lgkmcnt(0)
	v_cmp_neq_f64_e32 vcc, 0, v[97:98]
	v_cmp_neq_f64_e64 s[2:3], 0, v[99:100]
	s_or_b64 s[2:3], vcc, s[2:3]
	s_and_b64 exec, exec, s[2:3]
	s_cbranch_execz .LBB75_251
; %bb.246:
	v_cmp_ngt_f64_e64 s[2:3], |v[97:98]|, |v[99:100]|
                                        ; implicit-def: $vgpr101_vgpr102
	s_and_saveexec_b64 s[6:7], s[2:3]
	s_xor_b64 s[2:3], exec, s[6:7]
                                        ; implicit-def: $vgpr103_vgpr104
	s_cbranch_execz .LBB75_248
; %bb.247:
	v_div_scale_f64 v[101:102], s[6:7], v[99:100], v[99:100], v[97:98]
	v_rcp_f64_e32 v[103:104], v[101:102]
	v_fma_f64 v[105:106], -v[101:102], v[103:104], 1.0
	v_fma_f64 v[103:104], v[103:104], v[105:106], v[103:104]
	v_div_scale_f64 v[105:106], vcc, v[97:98], v[99:100], v[97:98]
	v_fma_f64 v[107:108], -v[101:102], v[103:104], 1.0
	v_fma_f64 v[103:104], v[103:104], v[107:108], v[103:104]
	v_mul_f64 v[107:108], v[105:106], v[103:104]
	v_fma_f64 v[101:102], -v[101:102], v[107:108], v[105:106]
	v_div_fmas_f64 v[101:102], v[101:102], v[103:104], v[107:108]
	v_div_fixup_f64 v[101:102], v[101:102], v[99:100], v[97:98]
	v_fma_f64 v[97:98], v[97:98], v[101:102], v[99:100]
	v_div_scale_f64 v[99:100], s[6:7], v[97:98], v[97:98], 1.0
	v_div_scale_f64 v[107:108], vcc, 1.0, v[97:98], 1.0
	v_rcp_f64_e32 v[103:104], v[99:100]
	v_fma_f64 v[105:106], -v[99:100], v[103:104], 1.0
	v_fma_f64 v[103:104], v[103:104], v[105:106], v[103:104]
	v_fma_f64 v[105:106], -v[99:100], v[103:104], 1.0
	v_fma_f64 v[103:104], v[103:104], v[105:106], v[103:104]
	v_mul_f64 v[105:106], v[107:108], v[103:104]
	v_fma_f64 v[99:100], -v[99:100], v[105:106], v[107:108]
	v_div_fmas_f64 v[99:100], v[99:100], v[103:104], v[105:106]
	v_div_fixup_f64 v[103:104], v[99:100], v[97:98], 1.0
                                        ; implicit-def: $vgpr97_vgpr98
	v_mul_f64 v[101:102], v[101:102], v[103:104]
	v_xor_b32_e32 v104, 0x80000000, v104
.LBB75_248:
	s_andn2_saveexec_b64 s[2:3], s[2:3]
	s_cbranch_execz .LBB75_250
; %bb.249:
	v_div_scale_f64 v[101:102], s[6:7], v[97:98], v[97:98], v[99:100]
	v_rcp_f64_e32 v[103:104], v[101:102]
	v_fma_f64 v[105:106], -v[101:102], v[103:104], 1.0
	v_fma_f64 v[103:104], v[103:104], v[105:106], v[103:104]
	v_div_scale_f64 v[105:106], vcc, v[99:100], v[97:98], v[99:100]
	v_fma_f64 v[107:108], -v[101:102], v[103:104], 1.0
	v_fma_f64 v[103:104], v[103:104], v[107:108], v[103:104]
	v_mul_f64 v[107:108], v[105:106], v[103:104]
	v_fma_f64 v[101:102], -v[101:102], v[107:108], v[105:106]
	v_div_fmas_f64 v[101:102], v[101:102], v[103:104], v[107:108]
	v_div_fixup_f64 v[103:104], v[101:102], v[97:98], v[99:100]
	v_fma_f64 v[97:98], v[99:100], v[103:104], v[97:98]
	v_div_scale_f64 v[99:100], s[6:7], v[97:98], v[97:98], 1.0
	v_div_scale_f64 v[107:108], vcc, 1.0, v[97:98], 1.0
	v_rcp_f64_e32 v[101:102], v[99:100]
	v_fma_f64 v[105:106], -v[99:100], v[101:102], 1.0
	v_fma_f64 v[101:102], v[101:102], v[105:106], v[101:102]
	v_fma_f64 v[105:106], -v[99:100], v[101:102], 1.0
	v_fma_f64 v[101:102], v[101:102], v[105:106], v[101:102]
	v_mul_f64 v[105:106], v[107:108], v[101:102]
	v_fma_f64 v[99:100], -v[99:100], v[105:106], v[107:108]
	v_div_fmas_f64 v[99:100], v[99:100], v[101:102], v[105:106]
	v_div_fixup_f64 v[101:102], v[99:100], v[97:98], 1.0
	v_mul_f64 v[103:104], v[103:104], -v[101:102]
.LBB75_250:
	s_or_b64 exec, exec, s[2:3]
	ds_write2_b64 v127, v[101:102], v[103:104] offset1:1
.LBB75_251:
	s_or_b64 exec, exec, s[4:5]
	s_waitcnt lgkmcnt(0)
	s_barrier
	ds_read2_b64 v[73:76], v127 offset1:1
	v_cmp_lt_u32_e32 vcc, 27, v0
	s_waitcnt lgkmcnt(0)
	buffer_store_dword v73, off, s[20:23], 0 offset:928 ; 4-byte Folded Spill
	s_nop 0
	buffer_store_dword v74, off, s[20:23], 0 offset:932 ; 4-byte Folded Spill
	buffer_store_dword v75, off, s[20:23], 0 offset:936 ; 4-byte Folded Spill
	;; [unrolled: 1-line block ×3, first 2 shown]
	s_and_saveexec_b64 s[2:3], vcc
	s_cbranch_execz .LBB75_253
; %bb.252:
	buffer_load_dword v73, off, s[20:23], 0 offset:928 ; 4-byte Folded Reload
	buffer_load_dword v74, off, s[20:23], 0 offset:932 ; 4-byte Folded Reload
	;; [unrolled: 1-line block ×4, first 2 shown]
	ds_read2_b64 v[99:102], v125 offset0:56 offset1:57
	s_waitcnt vmcnt(2)
	v_mul_f64 v[97:98], v[73:74], v[39:40]
	s_waitcnt vmcnt(0)
	v_mul_f64 v[39:40], v[75:76], v[39:40]
	v_fma_f64 v[97:98], v[75:76], v[37:38], v[97:98]
	v_fma_f64 v[37:38], v[73:74], v[37:38], -v[39:40]
	s_waitcnt lgkmcnt(0)
	v_mul_f64 v[39:40], v[101:102], v[97:98]
	v_fma_f64 v[39:40], v[99:100], v[37:38], -v[39:40]
	v_mul_f64 v[99:100], v[99:100], v[97:98]
	v_add_f64 v[33:34], v[33:34], -v[39:40]
	v_fma_f64 v[99:100], v[101:102], v[37:38], v[99:100]
	v_add_f64 v[35:36], v[35:36], -v[99:100]
	ds_read2_b64 v[99:102], v125 offset0:58 offset1:59
	s_waitcnt lgkmcnt(0)
	v_mul_f64 v[39:40], v[101:102], v[97:98]
	v_fma_f64 v[39:40], v[99:100], v[37:38], -v[39:40]
	v_mul_f64 v[99:100], v[99:100], v[97:98]
	v_add_f64 v[29:30], v[29:30], -v[39:40]
	v_fma_f64 v[99:100], v[101:102], v[37:38], v[99:100]
	v_add_f64 v[31:32], v[31:32], -v[99:100]
	ds_read2_b64 v[99:102], v125 offset0:60 offset1:61
	;; [unrolled: 8-line block ×9, first 2 shown]
	s_waitcnt lgkmcnt(0)
	v_mul_f64 v[39:40], v[101:102], v[97:98]
	v_fma_f64 v[39:40], v[99:100], v[37:38], -v[39:40]
	v_mul_f64 v[99:100], v[99:100], v[97:98]
	v_add_f64 v[113:114], v[113:114], -v[39:40]
	v_fma_f64 v[99:100], v[101:102], v[37:38], v[99:100]
	v_mov_b32_e32 v39, v97
	v_mov_b32_e32 v40, v98
	v_add_f64 v[115:116], v[115:116], -v[99:100]
.LBB75_253:
	s_or_b64 exec, exec, s[2:3]
	v_cmp_eq_u32_e32 vcc, 28, v0
	s_waitcnt vmcnt(0)
	s_barrier
	s_and_saveexec_b64 s[4:5], vcc
	s_cbranch_execz .LBB75_260
; %bb.254:
	ds_write2_b64 v127, v[33:34], v[35:36] offset1:1
	ds_write2_b64 v125, v[29:30], v[31:32] offset0:58 offset1:59
	ds_write2_b64 v125, v[25:26], v[27:28] offset0:60 offset1:61
	;; [unrolled: 1-line block ×9, first 2 shown]
	ds_read2_b64 v[97:100], v127 offset1:1
	s_waitcnt lgkmcnt(0)
	v_cmp_neq_f64_e32 vcc, 0, v[97:98]
	v_cmp_neq_f64_e64 s[2:3], 0, v[99:100]
	s_or_b64 s[2:3], vcc, s[2:3]
	s_and_b64 exec, exec, s[2:3]
	s_cbranch_execz .LBB75_260
; %bb.255:
	v_cmp_ngt_f64_e64 s[2:3], |v[97:98]|, |v[99:100]|
                                        ; implicit-def: $vgpr101_vgpr102
	s_and_saveexec_b64 s[6:7], s[2:3]
	s_xor_b64 s[2:3], exec, s[6:7]
                                        ; implicit-def: $vgpr103_vgpr104
	s_cbranch_execz .LBB75_257
; %bb.256:
	v_div_scale_f64 v[101:102], s[6:7], v[99:100], v[99:100], v[97:98]
	v_rcp_f64_e32 v[103:104], v[101:102]
	v_fma_f64 v[105:106], -v[101:102], v[103:104], 1.0
	v_fma_f64 v[103:104], v[103:104], v[105:106], v[103:104]
	v_div_scale_f64 v[105:106], vcc, v[97:98], v[99:100], v[97:98]
	v_fma_f64 v[107:108], -v[101:102], v[103:104], 1.0
	v_fma_f64 v[103:104], v[103:104], v[107:108], v[103:104]
	v_mul_f64 v[107:108], v[105:106], v[103:104]
	v_fma_f64 v[101:102], -v[101:102], v[107:108], v[105:106]
	v_div_fmas_f64 v[101:102], v[101:102], v[103:104], v[107:108]
	v_div_fixup_f64 v[101:102], v[101:102], v[99:100], v[97:98]
	v_fma_f64 v[97:98], v[97:98], v[101:102], v[99:100]
	v_div_scale_f64 v[99:100], s[6:7], v[97:98], v[97:98], 1.0
	v_div_scale_f64 v[107:108], vcc, 1.0, v[97:98], 1.0
	v_rcp_f64_e32 v[103:104], v[99:100]
	v_fma_f64 v[105:106], -v[99:100], v[103:104], 1.0
	v_fma_f64 v[103:104], v[103:104], v[105:106], v[103:104]
	v_fma_f64 v[105:106], -v[99:100], v[103:104], 1.0
	v_fma_f64 v[103:104], v[103:104], v[105:106], v[103:104]
	v_mul_f64 v[105:106], v[107:108], v[103:104]
	v_fma_f64 v[99:100], -v[99:100], v[105:106], v[107:108]
	v_div_fmas_f64 v[99:100], v[99:100], v[103:104], v[105:106]
	v_div_fixup_f64 v[103:104], v[99:100], v[97:98], 1.0
                                        ; implicit-def: $vgpr97_vgpr98
	v_mul_f64 v[101:102], v[101:102], v[103:104]
	v_xor_b32_e32 v104, 0x80000000, v104
.LBB75_257:
	s_andn2_saveexec_b64 s[2:3], s[2:3]
	s_cbranch_execz .LBB75_259
; %bb.258:
	v_div_scale_f64 v[101:102], s[6:7], v[97:98], v[97:98], v[99:100]
	v_rcp_f64_e32 v[103:104], v[101:102]
	v_fma_f64 v[105:106], -v[101:102], v[103:104], 1.0
	v_fma_f64 v[103:104], v[103:104], v[105:106], v[103:104]
	v_div_scale_f64 v[105:106], vcc, v[99:100], v[97:98], v[99:100]
	v_fma_f64 v[107:108], -v[101:102], v[103:104], 1.0
	v_fma_f64 v[103:104], v[103:104], v[107:108], v[103:104]
	v_mul_f64 v[107:108], v[105:106], v[103:104]
	v_fma_f64 v[101:102], -v[101:102], v[107:108], v[105:106]
	v_div_fmas_f64 v[101:102], v[101:102], v[103:104], v[107:108]
	v_div_fixup_f64 v[103:104], v[101:102], v[97:98], v[99:100]
	v_fma_f64 v[97:98], v[99:100], v[103:104], v[97:98]
	v_div_scale_f64 v[99:100], s[6:7], v[97:98], v[97:98], 1.0
	v_div_scale_f64 v[107:108], vcc, 1.0, v[97:98], 1.0
	v_rcp_f64_e32 v[101:102], v[99:100]
	v_fma_f64 v[105:106], -v[99:100], v[101:102], 1.0
	v_fma_f64 v[101:102], v[101:102], v[105:106], v[101:102]
	v_fma_f64 v[105:106], -v[99:100], v[101:102], 1.0
	v_fma_f64 v[101:102], v[101:102], v[105:106], v[101:102]
	v_mul_f64 v[105:106], v[107:108], v[101:102]
	v_fma_f64 v[99:100], -v[99:100], v[105:106], v[107:108]
	v_div_fmas_f64 v[99:100], v[99:100], v[101:102], v[105:106]
	v_div_fixup_f64 v[101:102], v[99:100], v[97:98], 1.0
	v_mul_f64 v[103:104], v[103:104], -v[101:102]
.LBB75_259:
	s_or_b64 exec, exec, s[2:3]
	ds_write2_b64 v127, v[101:102], v[103:104] offset1:1
.LBB75_260:
	s_or_b64 exec, exec, s[4:5]
	s_waitcnt lgkmcnt(0)
	s_barrier
	ds_read2_b64 v[73:76], v127 offset1:1
	v_cmp_lt_u32_e32 vcc, 28, v0
	s_waitcnt lgkmcnt(0)
	buffer_store_dword v73, off, s[20:23], 0 offset:944 ; 4-byte Folded Spill
	s_nop 0
	buffer_store_dword v74, off, s[20:23], 0 offset:948 ; 4-byte Folded Spill
	buffer_store_dword v75, off, s[20:23], 0 offset:952 ; 4-byte Folded Spill
	;; [unrolled: 1-line block ×3, first 2 shown]
	s_and_saveexec_b64 s[2:3], vcc
	s_cbranch_execz .LBB75_262
; %bb.261:
	buffer_load_dword v73, off, s[20:23], 0 offset:944 ; 4-byte Folded Reload
	buffer_load_dword v74, off, s[20:23], 0 offset:948 ; 4-byte Folded Reload
	;; [unrolled: 1-line block ×4, first 2 shown]
	ds_read2_b64 v[99:102], v125 offset0:58 offset1:59
	s_waitcnt vmcnt(2)
	v_mul_f64 v[97:98], v[73:74], v[35:36]
	s_waitcnt vmcnt(0)
	v_mul_f64 v[35:36], v[75:76], v[35:36]
	v_fma_f64 v[97:98], v[75:76], v[33:34], v[97:98]
	v_fma_f64 v[33:34], v[73:74], v[33:34], -v[35:36]
	s_waitcnt lgkmcnt(0)
	v_mul_f64 v[35:36], v[101:102], v[97:98]
	v_fma_f64 v[35:36], v[99:100], v[33:34], -v[35:36]
	v_mul_f64 v[99:100], v[99:100], v[97:98]
	v_add_f64 v[29:30], v[29:30], -v[35:36]
	v_fma_f64 v[99:100], v[101:102], v[33:34], v[99:100]
	v_add_f64 v[31:32], v[31:32], -v[99:100]
	ds_read2_b64 v[99:102], v125 offset0:60 offset1:61
	s_waitcnt lgkmcnt(0)
	v_mul_f64 v[35:36], v[101:102], v[97:98]
	v_fma_f64 v[35:36], v[99:100], v[33:34], -v[35:36]
	v_mul_f64 v[99:100], v[99:100], v[97:98]
	v_add_f64 v[25:26], v[25:26], -v[35:36]
	v_fma_f64 v[99:100], v[101:102], v[33:34], v[99:100]
	v_add_f64 v[27:28], v[27:28], -v[99:100]
	ds_read2_b64 v[99:102], v125 offset0:62 offset1:63
	;; [unrolled: 8-line block ×8, first 2 shown]
	s_waitcnt lgkmcnt(0)
	v_mul_f64 v[35:36], v[101:102], v[97:98]
	v_fma_f64 v[35:36], v[99:100], v[33:34], -v[35:36]
	v_mul_f64 v[99:100], v[99:100], v[97:98]
	v_add_f64 v[113:114], v[113:114], -v[35:36]
	v_fma_f64 v[99:100], v[101:102], v[33:34], v[99:100]
	v_mov_b32_e32 v35, v97
	v_mov_b32_e32 v36, v98
	v_add_f64 v[115:116], v[115:116], -v[99:100]
.LBB75_262:
	s_or_b64 exec, exec, s[2:3]
	v_cmp_eq_u32_e32 vcc, 29, v0
	s_waitcnt vmcnt(0)
	s_barrier
	s_and_saveexec_b64 s[4:5], vcc
	s_cbranch_execz .LBB75_269
; %bb.263:
	ds_write2_b64 v127, v[29:30], v[31:32] offset1:1
	ds_write2_b64 v125, v[25:26], v[27:28] offset0:60 offset1:61
	ds_write2_b64 v125, v[21:22], v[23:24] offset0:62 offset1:63
	;; [unrolled: 1-line block ×8, first 2 shown]
	ds_read2_b64 v[97:100], v127 offset1:1
	s_waitcnt lgkmcnt(0)
	v_cmp_neq_f64_e32 vcc, 0, v[97:98]
	v_cmp_neq_f64_e64 s[2:3], 0, v[99:100]
	s_or_b64 s[2:3], vcc, s[2:3]
	s_and_b64 exec, exec, s[2:3]
	s_cbranch_execz .LBB75_269
; %bb.264:
	v_cmp_ngt_f64_e64 s[2:3], |v[97:98]|, |v[99:100]|
                                        ; implicit-def: $vgpr101_vgpr102
	s_and_saveexec_b64 s[6:7], s[2:3]
	s_xor_b64 s[2:3], exec, s[6:7]
                                        ; implicit-def: $vgpr103_vgpr104
	s_cbranch_execz .LBB75_266
; %bb.265:
	v_div_scale_f64 v[101:102], s[6:7], v[99:100], v[99:100], v[97:98]
	v_rcp_f64_e32 v[103:104], v[101:102]
	v_fma_f64 v[105:106], -v[101:102], v[103:104], 1.0
	v_fma_f64 v[103:104], v[103:104], v[105:106], v[103:104]
	v_div_scale_f64 v[105:106], vcc, v[97:98], v[99:100], v[97:98]
	v_fma_f64 v[107:108], -v[101:102], v[103:104], 1.0
	v_fma_f64 v[103:104], v[103:104], v[107:108], v[103:104]
	v_mul_f64 v[107:108], v[105:106], v[103:104]
	v_fma_f64 v[101:102], -v[101:102], v[107:108], v[105:106]
	v_div_fmas_f64 v[101:102], v[101:102], v[103:104], v[107:108]
	v_div_fixup_f64 v[101:102], v[101:102], v[99:100], v[97:98]
	v_fma_f64 v[97:98], v[97:98], v[101:102], v[99:100]
	v_div_scale_f64 v[99:100], s[6:7], v[97:98], v[97:98], 1.0
	v_div_scale_f64 v[107:108], vcc, 1.0, v[97:98], 1.0
	v_rcp_f64_e32 v[103:104], v[99:100]
	v_fma_f64 v[105:106], -v[99:100], v[103:104], 1.0
	v_fma_f64 v[103:104], v[103:104], v[105:106], v[103:104]
	v_fma_f64 v[105:106], -v[99:100], v[103:104], 1.0
	v_fma_f64 v[103:104], v[103:104], v[105:106], v[103:104]
	v_mul_f64 v[105:106], v[107:108], v[103:104]
	v_fma_f64 v[99:100], -v[99:100], v[105:106], v[107:108]
	v_div_fmas_f64 v[99:100], v[99:100], v[103:104], v[105:106]
	v_div_fixup_f64 v[103:104], v[99:100], v[97:98], 1.0
                                        ; implicit-def: $vgpr97_vgpr98
	v_mul_f64 v[101:102], v[101:102], v[103:104]
	v_xor_b32_e32 v104, 0x80000000, v104
.LBB75_266:
	s_andn2_saveexec_b64 s[2:3], s[2:3]
	s_cbranch_execz .LBB75_268
; %bb.267:
	v_div_scale_f64 v[101:102], s[6:7], v[97:98], v[97:98], v[99:100]
	v_rcp_f64_e32 v[103:104], v[101:102]
	v_fma_f64 v[105:106], -v[101:102], v[103:104], 1.0
	v_fma_f64 v[103:104], v[103:104], v[105:106], v[103:104]
	v_div_scale_f64 v[105:106], vcc, v[99:100], v[97:98], v[99:100]
	v_fma_f64 v[107:108], -v[101:102], v[103:104], 1.0
	v_fma_f64 v[103:104], v[103:104], v[107:108], v[103:104]
	v_mul_f64 v[107:108], v[105:106], v[103:104]
	v_fma_f64 v[101:102], -v[101:102], v[107:108], v[105:106]
	v_div_fmas_f64 v[101:102], v[101:102], v[103:104], v[107:108]
	v_div_fixup_f64 v[103:104], v[101:102], v[97:98], v[99:100]
	v_fma_f64 v[97:98], v[99:100], v[103:104], v[97:98]
	v_div_scale_f64 v[99:100], s[6:7], v[97:98], v[97:98], 1.0
	v_div_scale_f64 v[107:108], vcc, 1.0, v[97:98], 1.0
	v_rcp_f64_e32 v[101:102], v[99:100]
	v_fma_f64 v[105:106], -v[99:100], v[101:102], 1.0
	v_fma_f64 v[101:102], v[101:102], v[105:106], v[101:102]
	v_fma_f64 v[105:106], -v[99:100], v[101:102], 1.0
	v_fma_f64 v[101:102], v[101:102], v[105:106], v[101:102]
	v_mul_f64 v[105:106], v[107:108], v[101:102]
	v_fma_f64 v[99:100], -v[99:100], v[105:106], v[107:108]
	v_div_fmas_f64 v[99:100], v[99:100], v[101:102], v[105:106]
	v_div_fixup_f64 v[101:102], v[99:100], v[97:98], 1.0
	v_mul_f64 v[103:104], v[103:104], -v[101:102]
.LBB75_268:
	s_or_b64 exec, exec, s[2:3]
	ds_write2_b64 v127, v[101:102], v[103:104] offset1:1
.LBB75_269:
	s_or_b64 exec, exec, s[4:5]
	s_waitcnt lgkmcnt(0)
	s_barrier
	ds_read2_b64 v[73:76], v127 offset1:1
	v_cmp_lt_u32_e32 vcc, 29, v0
	s_waitcnt lgkmcnt(0)
	buffer_store_dword v73, off, s[20:23], 0 offset:960 ; 4-byte Folded Spill
	s_nop 0
	buffer_store_dword v74, off, s[20:23], 0 offset:964 ; 4-byte Folded Spill
	buffer_store_dword v75, off, s[20:23], 0 offset:968 ; 4-byte Folded Spill
	;; [unrolled: 1-line block ×3, first 2 shown]
	s_and_saveexec_b64 s[2:3], vcc
	s_cbranch_execz .LBB75_271
; %bb.270:
	buffer_load_dword v73, off, s[20:23], 0 offset:960 ; 4-byte Folded Reload
	buffer_load_dword v74, off, s[20:23], 0 offset:964 ; 4-byte Folded Reload
	;; [unrolled: 1-line block ×4, first 2 shown]
	ds_read2_b64 v[99:102], v125 offset0:60 offset1:61
	s_waitcnt vmcnt(2)
	v_mul_f64 v[97:98], v[73:74], v[31:32]
	s_waitcnt vmcnt(0)
	v_mul_f64 v[31:32], v[75:76], v[31:32]
	v_fma_f64 v[97:98], v[75:76], v[29:30], v[97:98]
	v_fma_f64 v[29:30], v[73:74], v[29:30], -v[31:32]
	s_waitcnt lgkmcnt(0)
	v_mul_f64 v[31:32], v[101:102], v[97:98]
	v_fma_f64 v[31:32], v[99:100], v[29:30], -v[31:32]
	v_mul_f64 v[99:100], v[99:100], v[97:98]
	v_add_f64 v[25:26], v[25:26], -v[31:32]
	v_fma_f64 v[99:100], v[101:102], v[29:30], v[99:100]
	v_add_f64 v[27:28], v[27:28], -v[99:100]
	ds_read2_b64 v[99:102], v125 offset0:62 offset1:63
	s_waitcnt lgkmcnt(0)
	v_mul_f64 v[31:32], v[101:102], v[97:98]
	v_fma_f64 v[31:32], v[99:100], v[29:30], -v[31:32]
	v_mul_f64 v[99:100], v[99:100], v[97:98]
	v_add_f64 v[21:22], v[21:22], -v[31:32]
	v_fma_f64 v[99:100], v[101:102], v[29:30], v[99:100]
	v_add_f64 v[23:24], v[23:24], -v[99:100]
	ds_read2_b64 v[99:102], v125 offset0:64 offset1:65
	;; [unrolled: 8-line block ×7, first 2 shown]
	s_waitcnt lgkmcnt(0)
	v_mul_f64 v[31:32], v[101:102], v[97:98]
	v_fma_f64 v[31:32], v[99:100], v[29:30], -v[31:32]
	v_mul_f64 v[99:100], v[99:100], v[97:98]
	v_add_f64 v[113:114], v[113:114], -v[31:32]
	v_fma_f64 v[99:100], v[101:102], v[29:30], v[99:100]
	v_mov_b32_e32 v31, v97
	v_mov_b32_e32 v32, v98
	v_add_f64 v[115:116], v[115:116], -v[99:100]
.LBB75_271:
	s_or_b64 exec, exec, s[2:3]
	v_cmp_eq_u32_e32 vcc, 30, v0
	s_waitcnt vmcnt(0)
	s_barrier
	s_and_saveexec_b64 s[4:5], vcc
	s_cbranch_execz .LBB75_278
; %bb.272:
	ds_write2_b64 v127, v[25:26], v[27:28] offset1:1
	ds_write2_b64 v125, v[21:22], v[23:24] offset0:62 offset1:63
	ds_write2_b64 v125, v[17:18], v[19:20] offset0:64 offset1:65
	;; [unrolled: 1-line block ×7, first 2 shown]
	ds_read2_b64 v[97:100], v127 offset1:1
	s_waitcnt lgkmcnt(0)
	v_cmp_neq_f64_e32 vcc, 0, v[97:98]
	v_cmp_neq_f64_e64 s[2:3], 0, v[99:100]
	s_or_b64 s[2:3], vcc, s[2:3]
	s_and_b64 exec, exec, s[2:3]
	s_cbranch_execz .LBB75_278
; %bb.273:
	v_cmp_ngt_f64_e64 s[2:3], |v[97:98]|, |v[99:100]|
                                        ; implicit-def: $vgpr101_vgpr102
	s_and_saveexec_b64 s[6:7], s[2:3]
	s_xor_b64 s[2:3], exec, s[6:7]
                                        ; implicit-def: $vgpr103_vgpr104
	s_cbranch_execz .LBB75_275
; %bb.274:
	v_div_scale_f64 v[101:102], s[6:7], v[99:100], v[99:100], v[97:98]
	v_rcp_f64_e32 v[103:104], v[101:102]
	v_fma_f64 v[105:106], -v[101:102], v[103:104], 1.0
	v_fma_f64 v[103:104], v[103:104], v[105:106], v[103:104]
	v_div_scale_f64 v[105:106], vcc, v[97:98], v[99:100], v[97:98]
	v_fma_f64 v[107:108], -v[101:102], v[103:104], 1.0
	v_fma_f64 v[103:104], v[103:104], v[107:108], v[103:104]
	v_mul_f64 v[107:108], v[105:106], v[103:104]
	v_fma_f64 v[101:102], -v[101:102], v[107:108], v[105:106]
	v_div_fmas_f64 v[101:102], v[101:102], v[103:104], v[107:108]
	v_div_fixup_f64 v[101:102], v[101:102], v[99:100], v[97:98]
	v_fma_f64 v[97:98], v[97:98], v[101:102], v[99:100]
	v_div_scale_f64 v[99:100], s[6:7], v[97:98], v[97:98], 1.0
	v_div_scale_f64 v[107:108], vcc, 1.0, v[97:98], 1.0
	v_rcp_f64_e32 v[103:104], v[99:100]
	v_fma_f64 v[105:106], -v[99:100], v[103:104], 1.0
	v_fma_f64 v[103:104], v[103:104], v[105:106], v[103:104]
	v_fma_f64 v[105:106], -v[99:100], v[103:104], 1.0
	v_fma_f64 v[103:104], v[103:104], v[105:106], v[103:104]
	v_mul_f64 v[105:106], v[107:108], v[103:104]
	v_fma_f64 v[99:100], -v[99:100], v[105:106], v[107:108]
	v_div_fmas_f64 v[99:100], v[99:100], v[103:104], v[105:106]
	v_div_fixup_f64 v[103:104], v[99:100], v[97:98], 1.0
                                        ; implicit-def: $vgpr97_vgpr98
	v_mul_f64 v[101:102], v[101:102], v[103:104]
	v_xor_b32_e32 v104, 0x80000000, v104
.LBB75_275:
	s_andn2_saveexec_b64 s[2:3], s[2:3]
	s_cbranch_execz .LBB75_277
; %bb.276:
	v_div_scale_f64 v[101:102], s[6:7], v[97:98], v[97:98], v[99:100]
	v_rcp_f64_e32 v[103:104], v[101:102]
	v_fma_f64 v[105:106], -v[101:102], v[103:104], 1.0
	v_fma_f64 v[103:104], v[103:104], v[105:106], v[103:104]
	v_div_scale_f64 v[105:106], vcc, v[99:100], v[97:98], v[99:100]
	v_fma_f64 v[107:108], -v[101:102], v[103:104], 1.0
	v_fma_f64 v[103:104], v[103:104], v[107:108], v[103:104]
	v_mul_f64 v[107:108], v[105:106], v[103:104]
	v_fma_f64 v[101:102], -v[101:102], v[107:108], v[105:106]
	v_div_fmas_f64 v[101:102], v[101:102], v[103:104], v[107:108]
	v_div_fixup_f64 v[103:104], v[101:102], v[97:98], v[99:100]
	v_fma_f64 v[97:98], v[99:100], v[103:104], v[97:98]
	v_div_scale_f64 v[99:100], s[6:7], v[97:98], v[97:98], 1.0
	v_div_scale_f64 v[107:108], vcc, 1.0, v[97:98], 1.0
	v_rcp_f64_e32 v[101:102], v[99:100]
	v_fma_f64 v[105:106], -v[99:100], v[101:102], 1.0
	v_fma_f64 v[101:102], v[101:102], v[105:106], v[101:102]
	v_fma_f64 v[105:106], -v[99:100], v[101:102], 1.0
	v_fma_f64 v[101:102], v[101:102], v[105:106], v[101:102]
	v_mul_f64 v[105:106], v[107:108], v[101:102]
	v_fma_f64 v[99:100], -v[99:100], v[105:106], v[107:108]
	v_div_fmas_f64 v[99:100], v[99:100], v[101:102], v[105:106]
	v_div_fixup_f64 v[101:102], v[99:100], v[97:98], 1.0
	v_mul_f64 v[103:104], v[103:104], -v[101:102]
.LBB75_277:
	s_or_b64 exec, exec, s[2:3]
	ds_write2_b64 v127, v[101:102], v[103:104] offset1:1
.LBB75_278:
	s_or_b64 exec, exec, s[4:5]
	s_waitcnt lgkmcnt(0)
	s_barrier
	ds_read2_b64 v[73:76], v127 offset1:1
	v_cmp_lt_u32_e32 vcc, 30, v0
	s_waitcnt lgkmcnt(0)
	buffer_store_dword v73, off, s[20:23], 0 offset:976 ; 4-byte Folded Spill
	s_nop 0
	buffer_store_dword v74, off, s[20:23], 0 offset:980 ; 4-byte Folded Spill
	buffer_store_dword v75, off, s[20:23], 0 offset:984 ; 4-byte Folded Spill
	;; [unrolled: 1-line block ×3, first 2 shown]
	s_and_saveexec_b64 s[2:3], vcc
	s_cbranch_execz .LBB75_280
; %bb.279:
	buffer_load_dword v73, off, s[20:23], 0 offset:976 ; 4-byte Folded Reload
	buffer_load_dword v74, off, s[20:23], 0 offset:980 ; 4-byte Folded Reload
	buffer_load_dword v75, off, s[20:23], 0 offset:984 ; 4-byte Folded Reload
	buffer_load_dword v76, off, s[20:23], 0 offset:988 ; 4-byte Folded Reload
	ds_read2_b64 v[99:102], v125 offset0:62 offset1:63
	s_waitcnt vmcnt(2)
	v_mul_f64 v[97:98], v[73:74], v[27:28]
	s_waitcnt vmcnt(0)
	v_mul_f64 v[27:28], v[75:76], v[27:28]
	v_fma_f64 v[97:98], v[75:76], v[25:26], v[97:98]
	v_fma_f64 v[25:26], v[73:74], v[25:26], -v[27:28]
	s_waitcnt lgkmcnt(0)
	v_mul_f64 v[27:28], v[101:102], v[97:98]
	v_fma_f64 v[27:28], v[99:100], v[25:26], -v[27:28]
	v_mul_f64 v[99:100], v[99:100], v[97:98]
	v_add_f64 v[21:22], v[21:22], -v[27:28]
	v_fma_f64 v[99:100], v[101:102], v[25:26], v[99:100]
	v_add_f64 v[23:24], v[23:24], -v[99:100]
	ds_read2_b64 v[99:102], v125 offset0:64 offset1:65
	s_waitcnt lgkmcnt(0)
	v_mul_f64 v[27:28], v[101:102], v[97:98]
	v_fma_f64 v[27:28], v[99:100], v[25:26], -v[27:28]
	v_mul_f64 v[99:100], v[99:100], v[97:98]
	v_add_f64 v[17:18], v[17:18], -v[27:28]
	v_fma_f64 v[99:100], v[101:102], v[25:26], v[99:100]
	v_add_f64 v[19:20], v[19:20], -v[99:100]
	ds_read2_b64 v[99:102], v125 offset0:66 offset1:67
	;; [unrolled: 8-line block ×6, first 2 shown]
	s_waitcnt lgkmcnt(0)
	v_mul_f64 v[27:28], v[101:102], v[97:98]
	v_fma_f64 v[27:28], v[99:100], v[25:26], -v[27:28]
	v_mul_f64 v[99:100], v[99:100], v[97:98]
	v_add_f64 v[113:114], v[113:114], -v[27:28]
	v_fma_f64 v[99:100], v[101:102], v[25:26], v[99:100]
	v_mov_b32_e32 v27, v97
	v_mov_b32_e32 v28, v98
	v_add_f64 v[115:116], v[115:116], -v[99:100]
.LBB75_280:
	s_or_b64 exec, exec, s[2:3]
	v_cmp_eq_u32_e32 vcc, 31, v0
	s_waitcnt vmcnt(0)
	s_barrier
	s_and_saveexec_b64 s[4:5], vcc
	s_cbranch_execz .LBB75_287
; %bb.281:
	ds_write2_b64 v127, v[21:22], v[23:24] offset1:1
	ds_write2_b64 v125, v[17:18], v[19:20] offset0:64 offset1:65
	ds_write2_b64 v125, v[13:14], v[15:16] offset0:66 offset1:67
	;; [unrolled: 1-line block ×6, first 2 shown]
	ds_read2_b64 v[97:100], v127 offset1:1
	s_waitcnt lgkmcnt(0)
	v_cmp_neq_f64_e32 vcc, 0, v[97:98]
	v_cmp_neq_f64_e64 s[2:3], 0, v[99:100]
	s_or_b64 s[2:3], vcc, s[2:3]
	s_and_b64 exec, exec, s[2:3]
	s_cbranch_execz .LBB75_287
; %bb.282:
	v_cmp_ngt_f64_e64 s[2:3], |v[97:98]|, |v[99:100]|
                                        ; implicit-def: $vgpr101_vgpr102
	s_and_saveexec_b64 s[6:7], s[2:3]
	s_xor_b64 s[2:3], exec, s[6:7]
                                        ; implicit-def: $vgpr103_vgpr104
	s_cbranch_execz .LBB75_284
; %bb.283:
	v_div_scale_f64 v[101:102], s[6:7], v[99:100], v[99:100], v[97:98]
	v_rcp_f64_e32 v[103:104], v[101:102]
	v_fma_f64 v[105:106], -v[101:102], v[103:104], 1.0
	v_fma_f64 v[103:104], v[103:104], v[105:106], v[103:104]
	v_div_scale_f64 v[105:106], vcc, v[97:98], v[99:100], v[97:98]
	v_fma_f64 v[107:108], -v[101:102], v[103:104], 1.0
	v_fma_f64 v[103:104], v[103:104], v[107:108], v[103:104]
	v_mul_f64 v[107:108], v[105:106], v[103:104]
	v_fma_f64 v[101:102], -v[101:102], v[107:108], v[105:106]
	v_div_fmas_f64 v[101:102], v[101:102], v[103:104], v[107:108]
	v_div_fixup_f64 v[101:102], v[101:102], v[99:100], v[97:98]
	v_fma_f64 v[97:98], v[97:98], v[101:102], v[99:100]
	v_div_scale_f64 v[99:100], s[6:7], v[97:98], v[97:98], 1.0
	v_div_scale_f64 v[107:108], vcc, 1.0, v[97:98], 1.0
	v_rcp_f64_e32 v[103:104], v[99:100]
	v_fma_f64 v[105:106], -v[99:100], v[103:104], 1.0
	v_fma_f64 v[103:104], v[103:104], v[105:106], v[103:104]
	v_fma_f64 v[105:106], -v[99:100], v[103:104], 1.0
	v_fma_f64 v[103:104], v[103:104], v[105:106], v[103:104]
	v_mul_f64 v[105:106], v[107:108], v[103:104]
	v_fma_f64 v[99:100], -v[99:100], v[105:106], v[107:108]
	v_div_fmas_f64 v[99:100], v[99:100], v[103:104], v[105:106]
	v_div_fixup_f64 v[103:104], v[99:100], v[97:98], 1.0
                                        ; implicit-def: $vgpr97_vgpr98
	v_mul_f64 v[101:102], v[101:102], v[103:104]
	v_xor_b32_e32 v104, 0x80000000, v104
.LBB75_284:
	s_andn2_saveexec_b64 s[2:3], s[2:3]
	s_cbranch_execz .LBB75_286
; %bb.285:
	v_div_scale_f64 v[101:102], s[6:7], v[97:98], v[97:98], v[99:100]
	v_rcp_f64_e32 v[103:104], v[101:102]
	v_fma_f64 v[105:106], -v[101:102], v[103:104], 1.0
	v_fma_f64 v[103:104], v[103:104], v[105:106], v[103:104]
	v_div_scale_f64 v[105:106], vcc, v[99:100], v[97:98], v[99:100]
	v_fma_f64 v[107:108], -v[101:102], v[103:104], 1.0
	v_fma_f64 v[103:104], v[103:104], v[107:108], v[103:104]
	v_mul_f64 v[107:108], v[105:106], v[103:104]
	v_fma_f64 v[101:102], -v[101:102], v[107:108], v[105:106]
	v_div_fmas_f64 v[101:102], v[101:102], v[103:104], v[107:108]
	v_div_fixup_f64 v[103:104], v[101:102], v[97:98], v[99:100]
	v_fma_f64 v[97:98], v[99:100], v[103:104], v[97:98]
	v_div_scale_f64 v[99:100], s[6:7], v[97:98], v[97:98], 1.0
	v_div_scale_f64 v[107:108], vcc, 1.0, v[97:98], 1.0
	v_rcp_f64_e32 v[101:102], v[99:100]
	v_fma_f64 v[105:106], -v[99:100], v[101:102], 1.0
	v_fma_f64 v[101:102], v[101:102], v[105:106], v[101:102]
	v_fma_f64 v[105:106], -v[99:100], v[101:102], 1.0
	v_fma_f64 v[101:102], v[101:102], v[105:106], v[101:102]
	v_mul_f64 v[105:106], v[107:108], v[101:102]
	v_fma_f64 v[99:100], -v[99:100], v[105:106], v[107:108]
	v_div_fmas_f64 v[99:100], v[99:100], v[101:102], v[105:106]
	v_div_fixup_f64 v[101:102], v[99:100], v[97:98], 1.0
	v_mul_f64 v[103:104], v[103:104], -v[101:102]
.LBB75_286:
	s_or_b64 exec, exec, s[2:3]
	ds_write2_b64 v127, v[101:102], v[103:104] offset1:1
.LBB75_287:
	s_or_b64 exec, exec, s[4:5]
	s_waitcnt lgkmcnt(0)
	s_barrier
	ds_read2_b64 v[73:76], v127 offset1:1
	v_cmp_lt_u32_e32 vcc, 31, v0
	s_waitcnt lgkmcnt(0)
	buffer_store_dword v73, off, s[20:23], 0 offset:992 ; 4-byte Folded Spill
	s_nop 0
	buffer_store_dword v74, off, s[20:23], 0 offset:996 ; 4-byte Folded Spill
	buffer_store_dword v75, off, s[20:23], 0 offset:1000 ; 4-byte Folded Spill
	;; [unrolled: 1-line block ×3, first 2 shown]
	s_and_saveexec_b64 s[2:3], vcc
	s_cbranch_execz .LBB75_289
; %bb.288:
	buffer_load_dword v73, off, s[20:23], 0 offset:992 ; 4-byte Folded Reload
	buffer_load_dword v74, off, s[20:23], 0 offset:996 ; 4-byte Folded Reload
	;; [unrolled: 1-line block ×4, first 2 shown]
	ds_read2_b64 v[99:102], v125 offset0:64 offset1:65
	s_waitcnt vmcnt(2)
	v_mul_f64 v[97:98], v[73:74], v[23:24]
	s_waitcnt vmcnt(0)
	v_mul_f64 v[23:24], v[75:76], v[23:24]
	v_fma_f64 v[97:98], v[75:76], v[21:22], v[97:98]
	v_fma_f64 v[21:22], v[73:74], v[21:22], -v[23:24]
	s_waitcnt lgkmcnt(0)
	v_mul_f64 v[23:24], v[101:102], v[97:98]
	v_fma_f64 v[23:24], v[99:100], v[21:22], -v[23:24]
	v_mul_f64 v[99:100], v[99:100], v[97:98]
	v_add_f64 v[17:18], v[17:18], -v[23:24]
	v_fma_f64 v[99:100], v[101:102], v[21:22], v[99:100]
	v_add_f64 v[19:20], v[19:20], -v[99:100]
	ds_read2_b64 v[99:102], v125 offset0:66 offset1:67
	s_waitcnt lgkmcnt(0)
	v_mul_f64 v[23:24], v[101:102], v[97:98]
	v_fma_f64 v[23:24], v[99:100], v[21:22], -v[23:24]
	v_mul_f64 v[99:100], v[99:100], v[97:98]
	v_add_f64 v[13:14], v[13:14], -v[23:24]
	v_fma_f64 v[99:100], v[101:102], v[21:22], v[99:100]
	v_add_f64 v[15:16], v[15:16], -v[99:100]
	ds_read2_b64 v[99:102], v125 offset0:68 offset1:69
	;; [unrolled: 8-line block ×5, first 2 shown]
	s_waitcnt lgkmcnt(0)
	v_mul_f64 v[23:24], v[101:102], v[97:98]
	v_fma_f64 v[23:24], v[99:100], v[21:22], -v[23:24]
	v_mul_f64 v[99:100], v[99:100], v[97:98]
	v_add_f64 v[113:114], v[113:114], -v[23:24]
	v_fma_f64 v[99:100], v[101:102], v[21:22], v[99:100]
	v_mov_b32_e32 v23, v97
	v_mov_b32_e32 v24, v98
	v_add_f64 v[115:116], v[115:116], -v[99:100]
.LBB75_289:
	s_or_b64 exec, exec, s[2:3]
	v_cmp_eq_u32_e32 vcc, 32, v0
	s_waitcnt vmcnt(0)
	s_barrier
	s_and_saveexec_b64 s[4:5], vcc
	s_cbranch_execz .LBB75_296
; %bb.290:
	ds_write2_b64 v127, v[17:18], v[19:20] offset1:1
	ds_write2_b64 v125, v[13:14], v[15:16] offset0:66 offset1:67
	ds_write2_b64 v125, v[9:10], v[11:12] offset0:68 offset1:69
	;; [unrolled: 1-line block ×5, first 2 shown]
	ds_read2_b64 v[97:100], v127 offset1:1
	s_waitcnt lgkmcnt(0)
	v_cmp_neq_f64_e32 vcc, 0, v[97:98]
	v_cmp_neq_f64_e64 s[2:3], 0, v[99:100]
	s_or_b64 s[2:3], vcc, s[2:3]
	s_and_b64 exec, exec, s[2:3]
	s_cbranch_execz .LBB75_296
; %bb.291:
	v_cmp_ngt_f64_e64 s[2:3], |v[97:98]|, |v[99:100]|
                                        ; implicit-def: $vgpr101_vgpr102
	s_and_saveexec_b64 s[6:7], s[2:3]
	s_xor_b64 s[2:3], exec, s[6:7]
                                        ; implicit-def: $vgpr103_vgpr104
	s_cbranch_execz .LBB75_293
; %bb.292:
	v_div_scale_f64 v[101:102], s[6:7], v[99:100], v[99:100], v[97:98]
	v_rcp_f64_e32 v[103:104], v[101:102]
	v_fma_f64 v[105:106], -v[101:102], v[103:104], 1.0
	v_fma_f64 v[103:104], v[103:104], v[105:106], v[103:104]
	v_div_scale_f64 v[105:106], vcc, v[97:98], v[99:100], v[97:98]
	v_fma_f64 v[107:108], -v[101:102], v[103:104], 1.0
	v_fma_f64 v[103:104], v[103:104], v[107:108], v[103:104]
	v_mul_f64 v[107:108], v[105:106], v[103:104]
	v_fma_f64 v[101:102], -v[101:102], v[107:108], v[105:106]
	v_div_fmas_f64 v[101:102], v[101:102], v[103:104], v[107:108]
	v_div_fixup_f64 v[101:102], v[101:102], v[99:100], v[97:98]
	v_fma_f64 v[97:98], v[97:98], v[101:102], v[99:100]
	v_div_scale_f64 v[99:100], s[6:7], v[97:98], v[97:98], 1.0
	v_div_scale_f64 v[107:108], vcc, 1.0, v[97:98], 1.0
	v_rcp_f64_e32 v[103:104], v[99:100]
	v_fma_f64 v[105:106], -v[99:100], v[103:104], 1.0
	v_fma_f64 v[103:104], v[103:104], v[105:106], v[103:104]
	v_fma_f64 v[105:106], -v[99:100], v[103:104], 1.0
	v_fma_f64 v[103:104], v[103:104], v[105:106], v[103:104]
	v_mul_f64 v[105:106], v[107:108], v[103:104]
	v_fma_f64 v[99:100], -v[99:100], v[105:106], v[107:108]
	v_div_fmas_f64 v[99:100], v[99:100], v[103:104], v[105:106]
	v_div_fixup_f64 v[103:104], v[99:100], v[97:98], 1.0
                                        ; implicit-def: $vgpr97_vgpr98
	v_mul_f64 v[101:102], v[101:102], v[103:104]
	v_xor_b32_e32 v104, 0x80000000, v104
.LBB75_293:
	s_andn2_saveexec_b64 s[2:3], s[2:3]
	s_cbranch_execz .LBB75_295
; %bb.294:
	v_div_scale_f64 v[101:102], s[6:7], v[97:98], v[97:98], v[99:100]
	v_rcp_f64_e32 v[103:104], v[101:102]
	v_fma_f64 v[105:106], -v[101:102], v[103:104], 1.0
	v_fma_f64 v[103:104], v[103:104], v[105:106], v[103:104]
	v_div_scale_f64 v[105:106], vcc, v[99:100], v[97:98], v[99:100]
	v_fma_f64 v[107:108], -v[101:102], v[103:104], 1.0
	v_fma_f64 v[103:104], v[103:104], v[107:108], v[103:104]
	v_mul_f64 v[107:108], v[105:106], v[103:104]
	v_fma_f64 v[101:102], -v[101:102], v[107:108], v[105:106]
	v_div_fmas_f64 v[101:102], v[101:102], v[103:104], v[107:108]
	v_div_fixup_f64 v[103:104], v[101:102], v[97:98], v[99:100]
	v_fma_f64 v[97:98], v[99:100], v[103:104], v[97:98]
	v_div_scale_f64 v[99:100], s[6:7], v[97:98], v[97:98], 1.0
	v_div_scale_f64 v[107:108], vcc, 1.0, v[97:98], 1.0
	v_rcp_f64_e32 v[101:102], v[99:100]
	v_fma_f64 v[105:106], -v[99:100], v[101:102], 1.0
	v_fma_f64 v[101:102], v[101:102], v[105:106], v[101:102]
	v_fma_f64 v[105:106], -v[99:100], v[101:102], 1.0
	v_fma_f64 v[101:102], v[101:102], v[105:106], v[101:102]
	v_mul_f64 v[105:106], v[107:108], v[101:102]
	v_fma_f64 v[99:100], -v[99:100], v[105:106], v[107:108]
	v_div_fmas_f64 v[99:100], v[99:100], v[101:102], v[105:106]
	v_div_fixup_f64 v[101:102], v[99:100], v[97:98], 1.0
	v_mul_f64 v[103:104], v[103:104], -v[101:102]
.LBB75_295:
	s_or_b64 exec, exec, s[2:3]
	ds_write2_b64 v127, v[101:102], v[103:104] offset1:1
.LBB75_296:
	s_or_b64 exec, exec, s[4:5]
	s_waitcnt lgkmcnt(0)
	s_barrier
	ds_read2_b64 v[73:76], v127 offset1:1
	v_cmp_lt_u32_e32 vcc, 32, v0
	s_waitcnt lgkmcnt(0)
	buffer_store_dword v73, off, s[20:23], 0 offset:1008 ; 4-byte Folded Spill
	s_nop 0
	buffer_store_dword v74, off, s[20:23], 0 offset:1012 ; 4-byte Folded Spill
	buffer_store_dword v75, off, s[20:23], 0 offset:1016 ; 4-byte Folded Spill
	;; [unrolled: 1-line block ×3, first 2 shown]
	s_and_saveexec_b64 s[2:3], vcc
	s_cbranch_execz .LBB75_298
; %bb.297:
	buffer_load_dword v73, off, s[20:23], 0 offset:1008 ; 4-byte Folded Reload
	buffer_load_dword v74, off, s[20:23], 0 offset:1012 ; 4-byte Folded Reload
	;; [unrolled: 1-line block ×4, first 2 shown]
	s_waitcnt vmcnt(2)
	v_mul_f64 v[97:98], v[73:74], v[19:20]
	s_waitcnt vmcnt(0)
	v_mul_f64 v[19:20], v[75:76], v[19:20]
	v_fma_f64 v[101:102], v[75:76], v[17:18], v[97:98]
	ds_read2_b64 v[97:100], v125 offset0:66 offset1:67
	v_fma_f64 v[17:18], v[73:74], v[17:18], -v[19:20]
	s_waitcnt lgkmcnt(0)
	v_mul_f64 v[19:20], v[99:100], v[101:102]
	v_fma_f64 v[19:20], v[97:98], v[17:18], -v[19:20]
	v_mul_f64 v[97:98], v[97:98], v[101:102]
	v_add_f64 v[13:14], v[13:14], -v[19:20]
	v_fma_f64 v[97:98], v[99:100], v[17:18], v[97:98]
	v_add_f64 v[15:16], v[15:16], -v[97:98]
	ds_read2_b64 v[97:100], v125 offset0:68 offset1:69
	s_waitcnt lgkmcnt(0)
	v_mul_f64 v[19:20], v[99:100], v[101:102]
	v_fma_f64 v[19:20], v[97:98], v[17:18], -v[19:20]
	v_mul_f64 v[97:98], v[97:98], v[101:102]
	v_add_f64 v[9:10], v[9:10], -v[19:20]
	v_fma_f64 v[97:98], v[99:100], v[17:18], v[97:98]
	v_add_f64 v[11:12], v[11:12], -v[97:98]
	ds_read2_b64 v[97:100], v125 offset0:70 offset1:71
	;; [unrolled: 8-line block ×4, first 2 shown]
	s_waitcnt lgkmcnt(0)
	v_mul_f64 v[19:20], v[99:100], v[101:102]
	v_fma_f64 v[19:20], v[97:98], v[17:18], -v[19:20]
	v_mul_f64 v[97:98], v[97:98], v[101:102]
	v_add_f64 v[113:114], v[113:114], -v[19:20]
	v_fma_f64 v[97:98], v[99:100], v[17:18], v[97:98]
	v_mov_b32_e32 v19, v101
	v_mov_b32_e32 v20, v102
	v_add_f64 v[115:116], v[115:116], -v[97:98]
.LBB75_298:
	s_or_b64 exec, exec, s[2:3]
	v_cmp_eq_u32_e32 vcc, 33, v0
	s_waitcnt vmcnt(0)
	s_barrier
	s_and_saveexec_b64 s[4:5], vcc
	s_cbranch_execz .LBB75_305
; %bb.299:
	ds_write2_b64 v127, v[13:14], v[15:16] offset1:1
	ds_write2_b64 v125, v[9:10], v[11:12] offset0:68 offset1:69
	ds_write2_b64 v125, v[5:6], v[7:8] offset0:70 offset1:71
	;; [unrolled: 1-line block ×4, first 2 shown]
	ds_read2_b64 v[97:100], v127 offset1:1
	s_waitcnt lgkmcnt(0)
	v_cmp_neq_f64_e32 vcc, 0, v[97:98]
	v_cmp_neq_f64_e64 s[2:3], 0, v[99:100]
	s_or_b64 s[2:3], vcc, s[2:3]
	s_and_b64 exec, exec, s[2:3]
	s_cbranch_execz .LBB75_305
; %bb.300:
	v_cmp_ngt_f64_e64 s[2:3], |v[97:98]|, |v[99:100]|
                                        ; implicit-def: $vgpr101_vgpr102
	s_and_saveexec_b64 s[6:7], s[2:3]
	s_xor_b64 s[2:3], exec, s[6:7]
                                        ; implicit-def: $vgpr103_vgpr104
	s_cbranch_execz .LBB75_302
; %bb.301:
	v_div_scale_f64 v[101:102], s[6:7], v[99:100], v[99:100], v[97:98]
	v_rcp_f64_e32 v[103:104], v[101:102]
	v_fma_f64 v[105:106], -v[101:102], v[103:104], 1.0
	v_fma_f64 v[103:104], v[103:104], v[105:106], v[103:104]
	v_div_scale_f64 v[105:106], vcc, v[97:98], v[99:100], v[97:98]
	v_fma_f64 v[107:108], -v[101:102], v[103:104], 1.0
	v_fma_f64 v[103:104], v[103:104], v[107:108], v[103:104]
	v_mul_f64 v[107:108], v[105:106], v[103:104]
	v_fma_f64 v[101:102], -v[101:102], v[107:108], v[105:106]
	v_div_fmas_f64 v[101:102], v[101:102], v[103:104], v[107:108]
	v_div_fixup_f64 v[101:102], v[101:102], v[99:100], v[97:98]
	v_fma_f64 v[97:98], v[97:98], v[101:102], v[99:100]
	v_div_scale_f64 v[99:100], s[6:7], v[97:98], v[97:98], 1.0
	v_div_scale_f64 v[107:108], vcc, 1.0, v[97:98], 1.0
	v_rcp_f64_e32 v[103:104], v[99:100]
	v_fma_f64 v[105:106], -v[99:100], v[103:104], 1.0
	v_fma_f64 v[103:104], v[103:104], v[105:106], v[103:104]
	v_fma_f64 v[105:106], -v[99:100], v[103:104], 1.0
	v_fma_f64 v[103:104], v[103:104], v[105:106], v[103:104]
	v_mul_f64 v[105:106], v[107:108], v[103:104]
	v_fma_f64 v[99:100], -v[99:100], v[105:106], v[107:108]
	v_div_fmas_f64 v[99:100], v[99:100], v[103:104], v[105:106]
	v_div_fixup_f64 v[103:104], v[99:100], v[97:98], 1.0
                                        ; implicit-def: $vgpr97_vgpr98
	v_mul_f64 v[101:102], v[101:102], v[103:104]
	v_xor_b32_e32 v104, 0x80000000, v104
.LBB75_302:
	s_andn2_saveexec_b64 s[2:3], s[2:3]
	s_cbranch_execz .LBB75_304
; %bb.303:
	v_div_scale_f64 v[101:102], s[6:7], v[97:98], v[97:98], v[99:100]
	v_rcp_f64_e32 v[103:104], v[101:102]
	v_fma_f64 v[105:106], -v[101:102], v[103:104], 1.0
	v_fma_f64 v[103:104], v[103:104], v[105:106], v[103:104]
	v_div_scale_f64 v[105:106], vcc, v[99:100], v[97:98], v[99:100]
	v_fma_f64 v[107:108], -v[101:102], v[103:104], 1.0
	v_fma_f64 v[103:104], v[103:104], v[107:108], v[103:104]
	v_mul_f64 v[107:108], v[105:106], v[103:104]
	v_fma_f64 v[101:102], -v[101:102], v[107:108], v[105:106]
	v_div_fmas_f64 v[101:102], v[101:102], v[103:104], v[107:108]
	v_div_fixup_f64 v[103:104], v[101:102], v[97:98], v[99:100]
	v_fma_f64 v[97:98], v[99:100], v[103:104], v[97:98]
	v_div_scale_f64 v[99:100], s[6:7], v[97:98], v[97:98], 1.0
	v_div_scale_f64 v[107:108], vcc, 1.0, v[97:98], 1.0
	v_rcp_f64_e32 v[101:102], v[99:100]
	v_fma_f64 v[105:106], -v[99:100], v[101:102], 1.0
	v_fma_f64 v[101:102], v[101:102], v[105:106], v[101:102]
	v_fma_f64 v[105:106], -v[99:100], v[101:102], 1.0
	v_fma_f64 v[101:102], v[101:102], v[105:106], v[101:102]
	v_mul_f64 v[105:106], v[107:108], v[101:102]
	v_fma_f64 v[99:100], -v[99:100], v[105:106], v[107:108]
	v_div_fmas_f64 v[99:100], v[99:100], v[101:102], v[105:106]
	v_div_fixup_f64 v[101:102], v[99:100], v[97:98], 1.0
	v_mul_f64 v[103:104], v[103:104], -v[101:102]
.LBB75_304:
	s_or_b64 exec, exec, s[2:3]
	ds_write2_b64 v127, v[101:102], v[103:104] offset1:1
.LBB75_305:
	s_or_b64 exec, exec, s[4:5]
	s_waitcnt lgkmcnt(0)
	s_barrier
	ds_read2_b64 v[73:76], v127 offset1:1
	v_cmp_lt_u32_e32 vcc, 33, v0
	s_waitcnt lgkmcnt(0)
	buffer_store_dword v73, off, s[20:23], 0 offset:1024 ; 4-byte Folded Spill
	s_nop 0
	buffer_store_dword v74, off, s[20:23], 0 offset:1028 ; 4-byte Folded Spill
	buffer_store_dword v75, off, s[20:23], 0 offset:1032 ; 4-byte Folded Spill
	;; [unrolled: 1-line block ×3, first 2 shown]
	s_and_saveexec_b64 s[2:3], vcc
	s_cbranch_execz .LBB75_307
; %bb.306:
	buffer_load_dword v73, off, s[20:23], 0 offset:1024 ; 4-byte Folded Reload
	buffer_load_dword v74, off, s[20:23], 0 offset:1028 ; 4-byte Folded Reload
	;; [unrolled: 1-line block ×4, first 2 shown]
	s_waitcnt vmcnt(2)
	v_mul_f64 v[97:98], v[73:74], v[15:16]
	s_waitcnt vmcnt(0)
	v_mul_f64 v[15:16], v[75:76], v[15:16]
	v_fma_f64 v[101:102], v[75:76], v[13:14], v[97:98]
	ds_read2_b64 v[97:100], v125 offset0:68 offset1:69
	v_fma_f64 v[13:14], v[73:74], v[13:14], -v[15:16]
	s_waitcnt lgkmcnt(0)
	v_mul_f64 v[15:16], v[99:100], v[101:102]
	v_fma_f64 v[15:16], v[97:98], v[13:14], -v[15:16]
	v_mul_f64 v[97:98], v[97:98], v[101:102]
	v_add_f64 v[9:10], v[9:10], -v[15:16]
	v_fma_f64 v[97:98], v[99:100], v[13:14], v[97:98]
	v_add_f64 v[11:12], v[11:12], -v[97:98]
	ds_read2_b64 v[97:100], v125 offset0:70 offset1:71
	s_waitcnt lgkmcnt(0)
	v_mul_f64 v[15:16], v[99:100], v[101:102]
	v_fma_f64 v[15:16], v[97:98], v[13:14], -v[15:16]
	v_mul_f64 v[97:98], v[97:98], v[101:102]
	v_add_f64 v[5:6], v[5:6], -v[15:16]
	v_fma_f64 v[97:98], v[99:100], v[13:14], v[97:98]
	v_add_f64 v[7:8], v[7:8], -v[97:98]
	ds_read2_b64 v[97:100], v125 offset0:72 offset1:73
	;; [unrolled: 8-line block ×3, first 2 shown]
	s_waitcnt lgkmcnt(0)
	v_mul_f64 v[15:16], v[99:100], v[101:102]
	v_fma_f64 v[15:16], v[97:98], v[13:14], -v[15:16]
	v_mul_f64 v[97:98], v[97:98], v[101:102]
	v_add_f64 v[113:114], v[113:114], -v[15:16]
	v_fma_f64 v[97:98], v[99:100], v[13:14], v[97:98]
	v_mov_b32_e32 v15, v101
	v_mov_b32_e32 v16, v102
	v_add_f64 v[115:116], v[115:116], -v[97:98]
.LBB75_307:
	s_or_b64 exec, exec, s[2:3]
	v_cmp_eq_u32_e32 vcc, 34, v0
	s_waitcnt vmcnt(0)
	s_barrier
	s_and_saveexec_b64 s[4:5], vcc
	s_cbranch_execz .LBB75_314
; %bb.308:
	ds_write2_b64 v127, v[9:10], v[11:12] offset1:1
	ds_write2_b64 v125, v[5:6], v[7:8] offset0:70 offset1:71
	ds_write2_b64 v125, v[1:2], v[3:4] offset0:72 offset1:73
	;; [unrolled: 1-line block ×3, first 2 shown]
	ds_read2_b64 v[97:100], v127 offset1:1
	s_waitcnt lgkmcnt(0)
	v_cmp_neq_f64_e32 vcc, 0, v[97:98]
	v_cmp_neq_f64_e64 s[2:3], 0, v[99:100]
	s_or_b64 s[2:3], vcc, s[2:3]
	s_and_b64 exec, exec, s[2:3]
	s_cbranch_execz .LBB75_314
; %bb.309:
	v_cmp_ngt_f64_e64 s[2:3], |v[97:98]|, |v[99:100]|
                                        ; implicit-def: $vgpr101_vgpr102
	s_and_saveexec_b64 s[6:7], s[2:3]
	s_xor_b64 s[2:3], exec, s[6:7]
                                        ; implicit-def: $vgpr103_vgpr104
	s_cbranch_execz .LBB75_311
; %bb.310:
	v_div_scale_f64 v[101:102], s[6:7], v[99:100], v[99:100], v[97:98]
	v_rcp_f64_e32 v[103:104], v[101:102]
	v_fma_f64 v[105:106], -v[101:102], v[103:104], 1.0
	v_fma_f64 v[103:104], v[103:104], v[105:106], v[103:104]
	v_div_scale_f64 v[105:106], vcc, v[97:98], v[99:100], v[97:98]
	v_fma_f64 v[107:108], -v[101:102], v[103:104], 1.0
	v_fma_f64 v[103:104], v[103:104], v[107:108], v[103:104]
	v_mul_f64 v[107:108], v[105:106], v[103:104]
	v_fma_f64 v[101:102], -v[101:102], v[107:108], v[105:106]
	v_div_fmas_f64 v[101:102], v[101:102], v[103:104], v[107:108]
	v_div_fixup_f64 v[101:102], v[101:102], v[99:100], v[97:98]
	v_fma_f64 v[97:98], v[97:98], v[101:102], v[99:100]
	v_div_scale_f64 v[99:100], s[6:7], v[97:98], v[97:98], 1.0
	v_div_scale_f64 v[107:108], vcc, 1.0, v[97:98], 1.0
	v_rcp_f64_e32 v[103:104], v[99:100]
	v_fma_f64 v[105:106], -v[99:100], v[103:104], 1.0
	v_fma_f64 v[103:104], v[103:104], v[105:106], v[103:104]
	v_fma_f64 v[105:106], -v[99:100], v[103:104], 1.0
	v_fma_f64 v[103:104], v[103:104], v[105:106], v[103:104]
	v_mul_f64 v[105:106], v[107:108], v[103:104]
	v_fma_f64 v[99:100], -v[99:100], v[105:106], v[107:108]
	v_div_fmas_f64 v[99:100], v[99:100], v[103:104], v[105:106]
	v_div_fixup_f64 v[103:104], v[99:100], v[97:98], 1.0
                                        ; implicit-def: $vgpr97_vgpr98
	v_mul_f64 v[101:102], v[101:102], v[103:104]
	v_xor_b32_e32 v104, 0x80000000, v104
.LBB75_311:
	s_andn2_saveexec_b64 s[2:3], s[2:3]
	s_cbranch_execz .LBB75_313
; %bb.312:
	v_div_scale_f64 v[101:102], s[6:7], v[97:98], v[97:98], v[99:100]
	v_rcp_f64_e32 v[103:104], v[101:102]
	v_fma_f64 v[105:106], -v[101:102], v[103:104], 1.0
	v_fma_f64 v[103:104], v[103:104], v[105:106], v[103:104]
	v_div_scale_f64 v[105:106], vcc, v[99:100], v[97:98], v[99:100]
	v_fma_f64 v[107:108], -v[101:102], v[103:104], 1.0
	v_fma_f64 v[103:104], v[103:104], v[107:108], v[103:104]
	v_mul_f64 v[107:108], v[105:106], v[103:104]
	v_fma_f64 v[101:102], -v[101:102], v[107:108], v[105:106]
	v_div_fmas_f64 v[101:102], v[101:102], v[103:104], v[107:108]
	v_div_fixup_f64 v[103:104], v[101:102], v[97:98], v[99:100]
	v_fma_f64 v[97:98], v[99:100], v[103:104], v[97:98]
	v_div_scale_f64 v[99:100], s[6:7], v[97:98], v[97:98], 1.0
	v_div_scale_f64 v[107:108], vcc, 1.0, v[97:98], 1.0
	v_rcp_f64_e32 v[101:102], v[99:100]
	v_fma_f64 v[105:106], -v[99:100], v[101:102], 1.0
	v_fma_f64 v[101:102], v[101:102], v[105:106], v[101:102]
	v_fma_f64 v[105:106], -v[99:100], v[101:102], 1.0
	v_fma_f64 v[101:102], v[101:102], v[105:106], v[101:102]
	v_mul_f64 v[105:106], v[107:108], v[101:102]
	v_fma_f64 v[99:100], -v[99:100], v[105:106], v[107:108]
	v_div_fmas_f64 v[99:100], v[99:100], v[101:102], v[105:106]
	v_div_fixup_f64 v[101:102], v[99:100], v[97:98], 1.0
	v_mul_f64 v[103:104], v[103:104], -v[101:102]
.LBB75_313:
	s_or_b64 exec, exec, s[2:3]
	ds_write2_b64 v127, v[101:102], v[103:104] offset1:1
.LBB75_314:
	s_or_b64 exec, exec, s[4:5]
	s_waitcnt lgkmcnt(0)
	s_barrier
	ds_read2_b64 v[73:76], v127 offset1:1
	v_cmp_lt_u32_e32 vcc, 34, v0
	s_waitcnt lgkmcnt(0)
	buffer_store_dword v73, off, s[20:23], 0 offset:1040 ; 4-byte Folded Spill
	s_nop 0
	buffer_store_dword v74, off, s[20:23], 0 offset:1044 ; 4-byte Folded Spill
	buffer_store_dword v75, off, s[20:23], 0 offset:1048 ; 4-byte Folded Spill
	;; [unrolled: 1-line block ×3, first 2 shown]
	s_and_saveexec_b64 s[2:3], vcc
	s_cbranch_execz .LBB75_316
; %bb.315:
	buffer_load_dword v73, off, s[20:23], 0 offset:1040 ; 4-byte Folded Reload
	buffer_load_dword v74, off, s[20:23], 0 offset:1044 ; 4-byte Folded Reload
	;; [unrolled: 1-line block ×4, first 2 shown]
	s_waitcnt vmcnt(2)
	v_mul_f64 v[97:98], v[73:74], v[11:12]
	s_waitcnt vmcnt(0)
	v_mul_f64 v[11:12], v[75:76], v[11:12]
	v_fma_f64 v[101:102], v[75:76], v[9:10], v[97:98]
	ds_read2_b64 v[97:100], v125 offset0:70 offset1:71
	v_fma_f64 v[9:10], v[73:74], v[9:10], -v[11:12]
	s_waitcnt lgkmcnt(0)
	v_mul_f64 v[11:12], v[99:100], v[101:102]
	v_fma_f64 v[11:12], v[97:98], v[9:10], -v[11:12]
	v_mul_f64 v[97:98], v[97:98], v[101:102]
	v_add_f64 v[5:6], v[5:6], -v[11:12]
	v_fma_f64 v[97:98], v[99:100], v[9:10], v[97:98]
	v_add_f64 v[7:8], v[7:8], -v[97:98]
	ds_read2_b64 v[97:100], v125 offset0:72 offset1:73
	s_waitcnt lgkmcnt(0)
	v_mul_f64 v[11:12], v[99:100], v[101:102]
	v_fma_f64 v[11:12], v[97:98], v[9:10], -v[11:12]
	v_mul_f64 v[97:98], v[97:98], v[101:102]
	v_add_f64 v[1:2], v[1:2], -v[11:12]
	v_fma_f64 v[97:98], v[99:100], v[9:10], v[97:98]
	v_add_f64 v[3:4], v[3:4], -v[97:98]
	ds_read2_b64 v[97:100], v125 offset0:74 offset1:75
	s_waitcnt lgkmcnt(0)
	v_mul_f64 v[11:12], v[99:100], v[101:102]
	v_fma_f64 v[11:12], v[97:98], v[9:10], -v[11:12]
	v_mul_f64 v[97:98], v[97:98], v[101:102]
	v_add_f64 v[113:114], v[113:114], -v[11:12]
	v_fma_f64 v[97:98], v[99:100], v[9:10], v[97:98]
	v_mov_b32_e32 v11, v101
	v_mov_b32_e32 v12, v102
	v_add_f64 v[115:116], v[115:116], -v[97:98]
.LBB75_316:
	s_or_b64 exec, exec, s[2:3]
	v_cmp_eq_u32_e32 vcc, 35, v0
	s_waitcnt vmcnt(0)
	s_barrier
	s_and_saveexec_b64 s[4:5], vcc
	s_cbranch_execz .LBB75_323
; %bb.317:
	ds_write2_b64 v127, v[5:6], v[7:8] offset1:1
	ds_write2_b64 v125, v[1:2], v[3:4] offset0:72 offset1:73
	ds_write2_b64 v125, v[113:114], v[115:116] offset0:74 offset1:75
	ds_read2_b64 v[97:100], v127 offset1:1
	s_waitcnt lgkmcnt(0)
	v_cmp_neq_f64_e32 vcc, 0, v[97:98]
	v_cmp_neq_f64_e64 s[2:3], 0, v[99:100]
	s_or_b64 s[2:3], vcc, s[2:3]
	s_and_b64 exec, exec, s[2:3]
	s_cbranch_execz .LBB75_323
; %bb.318:
	v_cmp_ngt_f64_e64 s[2:3], |v[97:98]|, |v[99:100]|
                                        ; implicit-def: $vgpr101_vgpr102
	s_and_saveexec_b64 s[6:7], s[2:3]
	s_xor_b64 s[2:3], exec, s[6:7]
                                        ; implicit-def: $vgpr103_vgpr104
	s_cbranch_execz .LBB75_320
; %bb.319:
	v_div_scale_f64 v[101:102], s[6:7], v[99:100], v[99:100], v[97:98]
	v_rcp_f64_e32 v[103:104], v[101:102]
	v_fma_f64 v[105:106], -v[101:102], v[103:104], 1.0
	v_fma_f64 v[103:104], v[103:104], v[105:106], v[103:104]
	v_div_scale_f64 v[105:106], vcc, v[97:98], v[99:100], v[97:98]
	v_fma_f64 v[107:108], -v[101:102], v[103:104], 1.0
	v_fma_f64 v[103:104], v[103:104], v[107:108], v[103:104]
	v_mul_f64 v[107:108], v[105:106], v[103:104]
	v_fma_f64 v[101:102], -v[101:102], v[107:108], v[105:106]
	v_div_fmas_f64 v[101:102], v[101:102], v[103:104], v[107:108]
	v_div_fixup_f64 v[101:102], v[101:102], v[99:100], v[97:98]
	v_fma_f64 v[97:98], v[97:98], v[101:102], v[99:100]
	v_div_scale_f64 v[99:100], s[6:7], v[97:98], v[97:98], 1.0
	v_div_scale_f64 v[107:108], vcc, 1.0, v[97:98], 1.0
	v_rcp_f64_e32 v[103:104], v[99:100]
	v_fma_f64 v[105:106], -v[99:100], v[103:104], 1.0
	v_fma_f64 v[103:104], v[103:104], v[105:106], v[103:104]
	v_fma_f64 v[105:106], -v[99:100], v[103:104], 1.0
	v_fma_f64 v[103:104], v[103:104], v[105:106], v[103:104]
	v_mul_f64 v[105:106], v[107:108], v[103:104]
	v_fma_f64 v[99:100], -v[99:100], v[105:106], v[107:108]
	v_div_fmas_f64 v[99:100], v[99:100], v[103:104], v[105:106]
	v_div_fixup_f64 v[103:104], v[99:100], v[97:98], 1.0
                                        ; implicit-def: $vgpr97_vgpr98
	v_mul_f64 v[101:102], v[101:102], v[103:104]
	v_xor_b32_e32 v104, 0x80000000, v104
.LBB75_320:
	s_andn2_saveexec_b64 s[2:3], s[2:3]
	s_cbranch_execz .LBB75_322
; %bb.321:
	v_div_scale_f64 v[101:102], s[6:7], v[97:98], v[97:98], v[99:100]
	v_rcp_f64_e32 v[103:104], v[101:102]
	v_fma_f64 v[105:106], -v[101:102], v[103:104], 1.0
	v_fma_f64 v[103:104], v[103:104], v[105:106], v[103:104]
	v_div_scale_f64 v[105:106], vcc, v[99:100], v[97:98], v[99:100]
	v_fma_f64 v[107:108], -v[101:102], v[103:104], 1.0
	v_fma_f64 v[103:104], v[103:104], v[107:108], v[103:104]
	v_mul_f64 v[107:108], v[105:106], v[103:104]
	v_fma_f64 v[101:102], -v[101:102], v[107:108], v[105:106]
	v_div_fmas_f64 v[101:102], v[101:102], v[103:104], v[107:108]
	v_div_fixup_f64 v[103:104], v[101:102], v[97:98], v[99:100]
	v_fma_f64 v[97:98], v[99:100], v[103:104], v[97:98]
	v_div_scale_f64 v[99:100], s[6:7], v[97:98], v[97:98], 1.0
	v_div_scale_f64 v[107:108], vcc, 1.0, v[97:98], 1.0
	v_rcp_f64_e32 v[101:102], v[99:100]
	v_fma_f64 v[105:106], -v[99:100], v[101:102], 1.0
	v_fma_f64 v[101:102], v[101:102], v[105:106], v[101:102]
	v_fma_f64 v[105:106], -v[99:100], v[101:102], 1.0
	v_fma_f64 v[101:102], v[101:102], v[105:106], v[101:102]
	v_mul_f64 v[105:106], v[107:108], v[101:102]
	v_fma_f64 v[99:100], -v[99:100], v[105:106], v[107:108]
	v_div_fmas_f64 v[99:100], v[99:100], v[101:102], v[105:106]
	v_div_fixup_f64 v[101:102], v[99:100], v[97:98], 1.0
	v_mul_f64 v[103:104], v[103:104], -v[101:102]
.LBB75_322:
	s_or_b64 exec, exec, s[2:3]
	ds_write2_b64 v127, v[101:102], v[103:104] offset1:1
.LBB75_323:
	s_or_b64 exec, exec, s[4:5]
	s_waitcnt lgkmcnt(0)
	s_barrier
	ds_read2_b64 v[101:104], v127 offset1:1
	v_cmp_lt_u32_e32 vcc, 35, v0
	s_and_saveexec_b64 s[2:3], vcc
	s_cbranch_execz .LBB75_325
; %bb.324:
	s_waitcnt lgkmcnt(0)
	v_mul_f64 v[97:98], v[101:102], v[7:8]
	v_mul_f64 v[7:8], v[103:104], v[7:8]
	v_fma_f64 v[105:106], v[103:104], v[5:6], v[97:98]
	ds_read2_b64 v[97:100], v125 offset0:72 offset1:73
	v_fma_f64 v[5:6], v[101:102], v[5:6], -v[7:8]
	s_waitcnt lgkmcnt(0)
	v_mul_f64 v[7:8], v[99:100], v[105:106]
	v_fma_f64 v[7:8], v[97:98], v[5:6], -v[7:8]
	v_mul_f64 v[97:98], v[97:98], v[105:106]
	v_add_f64 v[1:2], v[1:2], -v[7:8]
	v_fma_f64 v[97:98], v[99:100], v[5:6], v[97:98]
	v_add_f64 v[3:4], v[3:4], -v[97:98]
	ds_read2_b64 v[97:100], v125 offset0:74 offset1:75
	s_waitcnt lgkmcnt(0)
	v_mul_f64 v[7:8], v[99:100], v[105:106]
	v_fma_f64 v[7:8], v[97:98], v[5:6], -v[7:8]
	v_mul_f64 v[97:98], v[97:98], v[105:106]
	v_add_f64 v[113:114], v[113:114], -v[7:8]
	v_fma_f64 v[97:98], v[99:100], v[5:6], v[97:98]
	v_mov_b32_e32 v7, v105
	v_mov_b32_e32 v8, v106
	v_add_f64 v[115:116], v[115:116], -v[97:98]
.LBB75_325:
	s_or_b64 exec, exec, s[2:3]
	v_cmp_eq_u32_e32 vcc, 36, v0
	s_waitcnt lgkmcnt(0)
	s_barrier
	s_and_saveexec_b64 s[4:5], vcc
	s_cbranch_execz .LBB75_332
; %bb.326:
	ds_write2_b64 v127, v[1:2], v[3:4] offset1:1
	ds_write2_b64 v125, v[113:114], v[115:116] offset0:74 offset1:75
	ds_read2_b64 v[97:100], v127 offset1:1
	s_waitcnt lgkmcnt(0)
	v_cmp_neq_f64_e32 vcc, 0, v[97:98]
	v_cmp_neq_f64_e64 s[2:3], 0, v[99:100]
	s_or_b64 s[2:3], vcc, s[2:3]
	s_and_b64 exec, exec, s[2:3]
	s_cbranch_execz .LBB75_332
; %bb.327:
	v_cmp_ngt_f64_e64 s[2:3], |v[97:98]|, |v[99:100]|
                                        ; implicit-def: $vgpr105_vgpr106
	s_and_saveexec_b64 s[6:7], s[2:3]
	s_xor_b64 s[2:3], exec, s[6:7]
                                        ; implicit-def: $vgpr107_vgpr108
	s_cbranch_execz .LBB75_329
; %bb.328:
	v_div_scale_f64 v[105:106], s[6:7], v[99:100], v[99:100], v[97:98]
	v_mov_b32_e32 v73, v81
	v_mov_b32_e32 v74, v82
	;; [unrolled: 1-line block ×8, first 2 shown]
	v_div_scale_f64 v[95:96], vcc, v[97:98], v[99:100], v[97:98]
	v_rcp_f64_e32 v[107:108], v[105:106]
	v_fma_f64 v[93:94], -v[105:106], v[107:108], 1.0
	v_fma_f64 v[93:94], v[107:108], v[93:94], v[107:108]
	v_fma_f64 v[107:108], -v[105:106], v[93:94], 1.0
	v_fma_f64 v[93:94], v[93:94], v[107:108], v[93:94]
	v_mul_f64 v[107:108], v[95:96], v[93:94]
	v_fma_f64 v[95:96], -v[105:106], v[107:108], v[95:96]
	v_div_fmas_f64 v[93:94], v[95:96], v[93:94], v[107:108]
	v_div_fixup_f64 v[93:94], v[93:94], v[99:100], v[97:98]
	v_fma_f64 v[95:96], v[97:98], v[93:94], v[99:100]
	v_div_scale_f64 v[97:98], s[6:7], v[95:96], v[95:96], 1.0
	v_div_scale_f64 v[107:108], vcc, 1.0, v[95:96], 1.0
	v_rcp_f64_e32 v[99:100], v[97:98]
	v_fma_f64 v[105:106], -v[97:98], v[99:100], 1.0
	v_fma_f64 v[99:100], v[99:100], v[105:106], v[99:100]
	v_fma_f64 v[105:106], -v[97:98], v[99:100], 1.0
	v_fma_f64 v[99:100], v[99:100], v[105:106], v[99:100]
	v_mul_f64 v[105:106], v[107:108], v[99:100]
	v_fma_f64 v[97:98], -v[97:98], v[105:106], v[107:108]
	v_div_fmas_f64 v[97:98], v[97:98], v[99:100], v[105:106]
	v_div_fixup_f64 v[107:108], v[97:98], v[95:96], 1.0
                                        ; implicit-def: $vgpr97_vgpr98
	v_mul_f64 v[105:106], v[93:94], v[107:108]
	v_mov_b32_e32 v96, v84
	v_mov_b32_e32 v95, v83
	;; [unrolled: 1-line block ×8, first 2 shown]
	v_xor_b32_e32 v108, 0x80000000, v108
.LBB75_329:
	s_andn2_saveexec_b64 s[2:3], s[2:3]
	s_cbranch_execz .LBB75_331
; %bb.330:
	v_mov_b32_e32 v73, v81
	v_mov_b32_e32 v74, v82
	;; [unrolled: 1-line block ×8, first 2 shown]
	v_div_scale_f64 v[93:94], s[6:7], v[97:98], v[97:98], v[99:100]
	v_rcp_f64_e32 v[95:96], v[93:94]
	v_fma_f64 v[105:106], -v[93:94], v[95:96], 1.0
	v_fma_f64 v[95:96], v[95:96], v[105:106], v[95:96]
	v_div_scale_f64 v[105:106], vcc, v[99:100], v[97:98], v[99:100]
	v_fma_f64 v[107:108], -v[93:94], v[95:96], 1.0
	v_fma_f64 v[95:96], v[95:96], v[107:108], v[95:96]
	v_mul_f64 v[107:108], v[105:106], v[95:96]
	v_fma_f64 v[93:94], -v[93:94], v[107:108], v[105:106]
	v_div_fmas_f64 v[93:94], v[93:94], v[95:96], v[107:108]
	v_div_fixup_f64 v[93:94], v[93:94], v[97:98], v[99:100]
	v_fma_f64 v[95:96], v[99:100], v[93:94], v[97:98]
	v_div_scale_f64 v[97:98], s[6:7], v[95:96], v[95:96], 1.0
	v_div_scale_f64 v[107:108], vcc, 1.0, v[95:96], 1.0
	v_rcp_f64_e32 v[99:100], v[97:98]
	v_fma_f64 v[105:106], -v[97:98], v[99:100], 1.0
	v_fma_f64 v[99:100], v[99:100], v[105:106], v[99:100]
	v_fma_f64 v[105:106], -v[97:98], v[99:100], 1.0
	v_fma_f64 v[99:100], v[99:100], v[105:106], v[99:100]
	v_mul_f64 v[105:106], v[107:108], v[99:100]
	v_fma_f64 v[97:98], -v[97:98], v[105:106], v[107:108]
	v_div_fmas_f64 v[97:98], v[97:98], v[99:100], v[105:106]
	v_div_fixup_f64 v[105:106], v[97:98], v[95:96], 1.0
	v_mul_f64 v[107:108], v[93:94], -v[105:106]
	v_mov_b32_e32 v96, v84
	v_mov_b32_e32 v95, v83
	;; [unrolled: 1-line block ×8, first 2 shown]
.LBB75_331:
	s_or_b64 exec, exec, s[2:3]
	ds_write2_b64 v127, v[105:106], v[107:108] offset1:1
.LBB75_332:
	s_or_b64 exec, exec, s[4:5]
	s_waitcnt lgkmcnt(0)
	s_barrier
	ds_read2_b64 v[97:100], v127 offset1:1
	v_cmp_lt_u32_e32 vcc, 36, v0
	s_and_saveexec_b64 s[2:3], vcc
	s_cbranch_execz .LBB75_334
; %bb.333:
	v_mov_b32_e32 v73, v81
	v_mov_b32_e32 v74, v82
	;; [unrolled: 1-line block ×8, first 2 shown]
	s_waitcnt lgkmcnt(0)
	v_mul_f64 v[93:94], v[97:98], v[3:4]
	v_mul_f64 v[3:4], v[99:100], v[3:4]
	ds_read2_b64 v[105:108], v125 offset0:74 offset1:75
	v_fma_f64 v[93:94], v[99:100], v[1:2], v[93:94]
	v_fma_f64 v[1:2], v[97:98], v[1:2], -v[3:4]
	s_waitcnt lgkmcnt(0)
	v_mul_f64 v[3:4], v[107:108], v[93:94]
	v_mul_f64 v[95:96], v[105:106], v[93:94]
	v_fma_f64 v[3:4], v[105:106], v[1:2], -v[3:4]
	v_fma_f64 v[95:96], v[107:108], v[1:2], v[95:96]
	v_add_f64 v[113:114], v[113:114], -v[3:4]
	v_add_f64 v[115:116], v[115:116], -v[95:96]
	v_mov_b32_e32 v3, v93
	v_mov_b32_e32 v4, v94
	;; [unrolled: 1-line block ×10, first 2 shown]
.LBB75_334:
	s_or_b64 exec, exec, s[2:3]
	v_cmp_eq_u32_e32 vcc, 37, v0
	s_waitcnt lgkmcnt(0)
	s_barrier
	s_and_saveexec_b64 s[4:5], vcc
	s_cbranch_execz .LBB75_341
; %bb.335:
	v_cmp_neq_f64_e32 vcc, 0, v[113:114]
	v_cmp_neq_f64_e64 s[2:3], 0, v[115:116]
	ds_write2_b64 v127, v[113:114], v[115:116] offset1:1
	s_or_b64 s[2:3], vcc, s[2:3]
	s_and_b64 exec, exec, s[2:3]
	s_cbranch_execz .LBB75_341
; %bb.336:
	v_cmp_ngt_f64_e64 s[2:3], |v[113:114]|, |v[115:116]|
                                        ; implicit-def: $vgpr105_vgpr106
	s_and_saveexec_b64 s[6:7], s[2:3]
	s_xor_b64 s[2:3], exec, s[6:7]
                                        ; implicit-def: $vgpr107_vgpr108
	s_cbranch_execz .LBB75_338
; %bb.337:
	v_mov_b32_e32 v124, v120
	v_mov_b32_e32 v123, v119
	;; [unrolled: 1-line block ×88, first 2 shown]
	v_div_scale_f64 v[93:94], s[6:7], v[71:72], v[71:72], v[69:70]
	v_mov_b32_e32 v73, v101
	v_mov_b32_e32 v74, v102
	;; [unrolled: 1-line block ×12, first 2 shown]
	v_rcp_f64_e32 v[95:96], v[93:94]
	v_fma_f64 v[105:106], -v[93:94], v[95:96], 1.0
	v_fma_f64 v[95:96], v[95:96], v[105:106], v[95:96]
	v_div_scale_f64 v[105:106], vcc, v[69:70], v[71:72], v[69:70]
	v_fma_f64 v[107:108], -v[93:94], v[95:96], 1.0
	v_fma_f64 v[95:96], v[95:96], v[107:108], v[95:96]
	v_mul_f64 v[107:108], v[105:106], v[95:96]
	v_fma_f64 v[93:94], -v[93:94], v[107:108], v[105:106]
	v_div_fmas_f64 v[93:94], v[93:94], v[95:96], v[107:108]
	v_div_fixup_f64 v[93:94], v[93:94], v[71:72], v[69:70]
	v_fma_f64 v[95:96], v[69:70], v[93:94], v[71:72]
	v_div_scale_f64 v[105:106], s[6:7], v[95:96], v[95:96], 1.0
	v_div_scale_f64 v[89:90], vcc, 1.0, v[95:96], 1.0
	v_rcp_f64_e32 v[107:108], v[105:106]
	v_fma_f64 v[125:126], -v[105:106], v[107:108], 1.0
	v_fma_f64 v[107:108], v[107:108], v[125:126], v[107:108]
	v_fma_f64 v[125:126], -v[105:106], v[107:108], 1.0
	v_fma_f64 v[91:92], v[107:108], v[125:126], v[107:108]
	v_mul_f64 v[107:108], v[89:90], v[91:92]
	v_fma_f64 v[89:90], -v[105:106], v[107:108], v[89:90]
	v_div_fmas_f64 v[89:90], v[89:90], v[91:92], v[107:108]
	v_div_fixup_f64 v[107:108], v[89:90], v[95:96], 1.0
	v_mov_b32_e32 v92, v80
	v_mov_b32_e32 v91, v79
	;; [unrolled: 1-line block ×7, first 2 shown]
	v_mul_f64 v[105:106], v[93:94], v[107:108]
	v_mov_b32_e32 v93, v113
	v_mov_b32_e32 v94, v114
	;; [unrolled: 1-line block ×93, first 2 shown]
	v_xor_b32_e32 v108, 0x80000000, v108
.LBB75_338:
	s_andn2_saveexec_b64 s[2:3], s[2:3]
	s_cbranch_execz .LBB75_340
; %bb.339:
	v_mov_b32_e32 v73, v89
	v_mov_b32_e32 v74, v90
	;; [unrolled: 1-line block ×4, first 2 shown]
	v_div_scale_f64 v[89:90], s[6:7], v[113:114], v[113:114], v[115:116]
	v_mov_b32_e32 v124, v104
	v_mov_b32_e32 v123, v103
	;; [unrolled: 1-line block ×14, first 2 shown]
	v_rcp_f64_e32 v[91:92], v[89:90]
	v_mov_b32_e32 v83, v95
	v_mov_b32_e32 v84, v96
	v_fma_f64 v[93:94], -v[89:90], v[91:92], 1.0
	v_fma_f64 v[91:92], v[91:92], v[93:94], v[91:92]
	v_div_scale_f64 v[93:94], vcc, v[115:116], v[113:114], v[115:116]
	v_fma_f64 v[95:96], -v[89:90], v[91:92], 1.0
	v_fma_f64 v[91:92], v[91:92], v[95:96], v[91:92]
	v_mul_f64 v[95:96], v[93:94], v[91:92]
	v_fma_f64 v[89:90], -v[89:90], v[95:96], v[93:94]
	v_div_fmas_f64 v[89:90], v[89:90], v[91:92], v[95:96]
	v_div_fixup_f64 v[89:90], v[89:90], v[113:114], v[115:116]
	v_fma_f64 v[91:92], v[115:116], v[89:90], v[113:114]
	v_div_scale_f64 v[93:94], s[6:7], v[91:92], v[91:92], 1.0
	v_div_scale_f64 v[107:108], vcc, 1.0, v[91:92], 1.0
	v_rcp_f64_e32 v[95:96], v[93:94]
	v_fma_f64 v[105:106], -v[93:94], v[95:96], 1.0
	v_fma_f64 v[95:96], v[95:96], v[105:106], v[95:96]
	v_fma_f64 v[105:106], -v[93:94], v[95:96], 1.0
	v_fma_f64 v[95:96], v[95:96], v[105:106], v[95:96]
	v_mul_f64 v[105:106], v[107:108], v[95:96]
	v_fma_f64 v[93:94], -v[93:94], v[105:106], v[107:108]
	v_div_fmas_f64 v[93:94], v[93:94], v[95:96], v[105:106]
	v_div_fixup_f64 v[105:106], v[93:94], v[91:92], 1.0
	v_mov_b32_e32 v96, v84
	v_mov_b32_e32 v95, v83
	;; [unrolled: 1-line block ×7, first 2 shown]
	v_mul_f64 v[107:108], v[89:90], -v[105:106]
	v_mov_b32_e32 v81, v77
	v_mov_b32_e32 v77, v101
	;; [unrolled: 1-line block ×13, first 2 shown]
.LBB75_340:
	s_or_b64 exec, exec, s[2:3]
	ds_write2_b64 v127, v[105:106], v[107:108] offset1:1
.LBB75_341:
	s_or_b64 exec, exec, s[4:5]
	s_waitcnt lgkmcnt(0)
	s_barrier
	ds_read2_b64 v[105:108], v127 offset1:1
	s_waitcnt lgkmcnt(0)
	s_barrier
	s_and_saveexec_b64 s[2:3], s[0:1]
	s_cbranch_execz .LBB75_344
; %bb.342:
	buffer_load_dword v73, off, s[20:23], 0 offset:560 ; 4-byte Folded Reload
	buffer_load_dword v74, off, s[20:23], 0 offset:564 ; 4-byte Folded Reload
	;; [unrolled: 1-line block ×4, first 2 shown]
	v_mov_b32_e32 v124, v104
	v_mov_b32_e32 v123, v103
	;; [unrolled: 1-line block ×12, first 2 shown]
	s_waitcnt vmcnt(2)
	v_cmp_eq_f64_e32 vcc, 0, v[73:74]
	s_waitcnt vmcnt(0)
	v_cmp_eq_f64_e64 s[0:1], 0, v[75:76]
	buffer_load_dword v73, off, s[20:23], 0 offset:576 ; 4-byte Folded Reload
	buffer_load_dword v74, off, s[20:23], 0 offset:580 ; 4-byte Folded Reload
	;; [unrolled: 1-line block ×4, first 2 shown]
	s_and_b64 s[4:5], vcc, s[0:1]
	v_cndmask_b32_e64 v89, 0, 1, s[4:5]
	s_waitcnt vmcnt(2)
	v_cmp_neq_f64_e32 vcc, 0, v[73:74]
	s_waitcnt vmcnt(0)
	v_cmp_neq_f64_e64 s[0:1], 0, v[75:76]
	buffer_load_dword v73, off, s[20:23], 0 offset:592 ; 4-byte Folded Reload
	buffer_load_dword v74, off, s[20:23], 0 offset:596 ; 4-byte Folded Reload
	;; [unrolled: 1-line block ×4, first 2 shown]
	s_or_b64 s[0:1], vcc, s[0:1]
	s_or_b64 vcc, s[0:1], s[4:5]
	v_cndmask_b32_e32 v89, 2, v89, vcc
	s_waitcnt vmcnt(2)
	v_cmp_eq_f64_e32 vcc, 0, v[73:74]
	s_waitcnt vmcnt(0)
	v_cmp_eq_f64_e64 s[0:1], 0, v[75:76]
	buffer_load_dword v73, off, s[20:23], 0 offset:608 ; 4-byte Folded Reload
	buffer_load_dword v74, off, s[20:23], 0 offset:612 ; 4-byte Folded Reload
	buffer_load_dword v75, off, s[20:23], 0 offset:616 ; 4-byte Folded Reload
	buffer_load_dword v76, off, s[20:23], 0 offset:620 ; 4-byte Folded Reload
	s_and_b64 s[0:1], vcc, s[0:1]
	v_cmp_eq_u32_e32 vcc, 0, v89
	s_and_b64 s[0:1], s[0:1], vcc
	v_cndmask_b32_e64 v89, v89, 3, s[0:1]
	s_waitcnt vmcnt(2)
	v_cmp_eq_f64_e32 vcc, 0, v[73:74]
	s_waitcnt vmcnt(0)
	v_cmp_eq_f64_e64 s[0:1], 0, v[75:76]
	buffer_load_dword v73, off, s[20:23], 0 offset:624 ; 4-byte Folded Reload
	buffer_load_dword v74, off, s[20:23], 0 offset:628 ; 4-byte Folded Reload
	buffer_load_dword v75, off, s[20:23], 0 offset:632 ; 4-byte Folded Reload
	buffer_load_dword v76, off, s[20:23], 0 offset:636 ; 4-byte Folded Reload
	s_and_b64 s[0:1], vcc, s[0:1]
	v_cmp_eq_u32_e32 vcc, 0, v89
	s_and_b64 s[0:1], s[0:1], vcc
	v_cndmask_b32_e64 v89, v89, 4, s[0:1]
	;; [unrolled: 12-line block ×13, first 2 shown]
	v_cmp_eq_f64_e32 vcc, 0, v[77:78]
	v_cmp_eq_f64_e64 s[0:1], 0, v[79:80]
	s_and_b64 s[0:1], vcc, s[0:1]
	v_cmp_eq_u32_e32 vcc, 0, v89
	s_and_b64 s[0:1], s[0:1], vcc
	v_cndmask_b32_e64 v89, v89, 16, s[0:1]
	s_waitcnt vmcnt(2)
	v_cmp_eq_f64_e32 vcc, 0, v[73:74]
	s_waitcnt vmcnt(0)
	v_cmp_eq_f64_e64 s[0:1], 0, v[75:76]
	buffer_load_dword v73, off, s[20:23], 0 offset:800 ; 4-byte Folded Reload
	buffer_load_dword v74, off, s[20:23], 0 offset:804 ; 4-byte Folded Reload
	;; [unrolled: 1-line block ×4, first 2 shown]
	s_and_b64 s[0:1], vcc, s[0:1]
	v_cmp_eq_u32_e32 vcc, 0, v89
	s_and_b64 s[0:1], s[0:1], vcc
	v_cndmask_b32_e64 v89, v89, 17, s[0:1]
	v_cmp_eq_f64_e32 vcc, 0, v[81:82]
	v_cmp_eq_f64_e64 s[0:1], 0, v[83:84]
	s_and_b64 s[0:1], vcc, s[0:1]
	v_cmp_eq_u32_e32 vcc, 0, v89
	s_and_b64 s[0:1], s[0:1], vcc
	v_cndmask_b32_e64 v89, v89, 18, s[0:1]
	v_cmp_eq_f64_e32 vcc, 0, v[101:102]
	v_cmp_eq_f64_e64 s[0:1], 0, v[103:104]
	s_and_b64 s[0:1], vcc, s[0:1]
	v_cmp_eq_u32_e32 vcc, 0, v89
	s_and_b64 s[0:1], s[0:1], vcc
	v_cndmask_b32_e64 v89, v89, 19, s[0:1]
	s_waitcnt vmcnt(2)
	v_cmp_eq_f64_e32 vcc, 0, v[73:74]
	s_waitcnt vmcnt(0)
	v_cmp_eq_f64_e64 s[0:1], 0, v[75:76]
	buffer_load_dword v73, off, s[20:23], 0 offset:816 ; 4-byte Folded Reload
	buffer_load_dword v74, off, s[20:23], 0 offset:820 ; 4-byte Folded Reload
	buffer_load_dword v75, off, s[20:23], 0 offset:824 ; 4-byte Folded Reload
	buffer_load_dword v76, off, s[20:23], 0 offset:828 ; 4-byte Folded Reload
	s_and_b64 s[0:1], vcc, s[0:1]
	v_cmp_eq_u32_e32 vcc, 0, v89
	s_and_b64 s[0:1], s[0:1], vcc
	v_cndmask_b32_e64 v89, v89, 20, s[0:1]
	s_waitcnt vmcnt(2)
	v_cmp_eq_f64_e32 vcc, 0, v[73:74]
	s_waitcnt vmcnt(0)
	v_cmp_eq_f64_e64 s[0:1], 0, v[75:76]
	buffer_load_dword v73, off, s[20:23], 0 offset:832 ; 4-byte Folded Reload
	buffer_load_dword v74, off, s[20:23], 0 offset:836 ; 4-byte Folded Reload
	buffer_load_dword v75, off, s[20:23], 0 offset:840 ; 4-byte Folded Reload
	buffer_load_dword v76, off, s[20:23], 0 offset:844 ; 4-byte Folded Reload
	;; [unrolled: 12-line block ×5, first 2 shown]
	s_and_b64 s[0:1], vcc, s[0:1]
	v_cmp_eq_u32_e32 vcc, 0, v89
	s_and_b64 s[0:1], s[0:1], vcc
	v_cndmask_b32_e64 v89, v89, 24, s[0:1]
	v_cmp_eq_f64_e32 vcc, 0, v[85:86]
	v_cmp_eq_f64_e64 s[0:1], 0, v[87:88]
	s_and_b64 s[0:1], vcc, s[0:1]
	v_cmp_eq_u32_e32 vcc, 0, v89
	s_and_b64 s[0:1], s[0:1], vcc
	v_cndmask_b32_e64 v89, v89, 25, s[0:1]
	s_waitcnt vmcnt(2)
	v_cmp_eq_f64_e32 vcc, 0, v[73:74]
	s_waitcnt vmcnt(0)
	v_cmp_eq_f64_e64 s[0:1], 0, v[75:76]
	buffer_load_dword v73, off, s[20:23], 0 offset:912 ; 4-byte Folded Reload
	buffer_load_dword v74, off, s[20:23], 0 offset:916 ; 4-byte Folded Reload
	buffer_load_dword v75, off, s[20:23], 0 offset:920 ; 4-byte Folded Reload
	buffer_load_dword v76, off, s[20:23], 0 offset:924 ; 4-byte Folded Reload
	s_and_b64 s[0:1], vcc, s[0:1]
	v_cmp_eq_u32_e32 vcc, 0, v89
	s_and_b64 s[0:1], s[0:1], vcc
	v_cndmask_b32_e64 v89, v89, 26, s[0:1]
	s_waitcnt vmcnt(2)
	v_cmp_eq_f64_e32 vcc, 0, v[73:74]
	s_waitcnt vmcnt(0)
	v_cmp_eq_f64_e64 s[0:1], 0, v[75:76]
	buffer_load_dword v73, off, s[20:23], 0 offset:928 ; 4-byte Folded Reload
	buffer_load_dword v74, off, s[20:23], 0 offset:932 ; 4-byte Folded Reload
	buffer_load_dword v75, off, s[20:23], 0 offset:936 ; 4-byte Folded Reload
	buffer_load_dword v76, off, s[20:23], 0 offset:940 ; 4-byte Folded Reload
	;; [unrolled: 12-line block ×9, first 2 shown]
	buffer_load_dword v81, off, s[20:23], 0 offset:1056 ; 4-byte Folded Reload
	buffer_load_dword v82, off, s[20:23], 0 offset:1060 ; 4-byte Folded Reload
	s_and_b64 s[0:1], vcc, s[0:1]
	v_cmp_eq_u32_e32 vcc, 0, v89
	s_and_b64 s[0:1], s[0:1], vcc
	v_cndmask_b32_e64 v89, v89, 34, s[0:1]
	s_waitcnt vmcnt(4)
	v_cmp_eq_f64_e32 vcc, 0, v[73:74]
	s_waitcnt vmcnt(2)
	v_cmp_eq_f64_e64 s[0:1], 0, v[75:76]
	s_and_b64 s[0:1], vcc, s[0:1]
	v_cmp_eq_u32_e32 vcc, 0, v89
	s_and_b64 s[0:1], s[0:1], vcc
	v_cndmask_b32_e64 v89, v89, 35, s[0:1]
	v_cmp_eq_f64_e32 vcc, 0, v[121:122]
	v_cmp_eq_f64_e64 s[0:1], 0, v[123:124]
	s_and_b64 s[0:1], vcc, s[0:1]
	v_cmp_eq_u32_e32 vcc, 0, v89
	s_and_b64 s[0:1], s[0:1], vcc
	v_cndmask_b32_e64 v89, v89, 36, s[0:1]
	v_cmp_eq_f64_e32 vcc, 0, v[97:98]
	;; [unrolled: 6-line block ×3, first 2 shown]
	v_cmp_eq_f64_e64 s[0:1], 0, v[107:108]
	s_and_b64 s[0:1], vcc, s[0:1]
	v_cmp_eq_u32_e32 vcc, 0, v89
	s_and_b64 s[0:1], s[0:1], vcc
	v_cndmask_b32_e64 v99, v89, 38, s[0:1]
	s_waitcnt vmcnt(0)
	v_lshlrev_b64 v[89:90], 2, v[81:82]
	v_cmp_ne_u32_e64 s[0:1], 0, v99
	v_add_co_u32_e32 v97, vcc, s10, v89
	v_mov_b32_e32 v89, s11
	v_addc_co_u32_e32 v98, vcc, v89, v90, vcc
	global_load_dword v89, v[97:98], off
	s_waitcnt vmcnt(0)
	v_cmp_eq_u32_e32 vcc, 0, v89
	s_and_b64 s[0:1], vcc, s[0:1]
	s_and_b64 exec, exec, s[0:1]
	s_cbranch_execz .LBB75_344
; %bb.343:
	v_add_u32_e32 v89, s13, v99
	global_store_dword v[97:98], v89, off
.LBB75_344:
	s_or_b64 exec, exec, s[2:3]
	buffer_load_dword v73, off, s[20:23], 0 offset:544 ; 4-byte Folded Reload
	buffer_load_dword v74, off, s[20:23], 0 offset:548 ; 4-byte Folded Reload
	;; [unrolled: 1-line block ×6, first 2 shown]
	v_cmp_lt_u32_e32 vcc, 37, v0
	v_mul_f64 v[89:90], v[105:106], v[115:116]
	v_mul_f64 v[91:92], v[107:108], v[115:116]
	v_fma_f64 v[89:90], v[107:108], v[113:114], v[89:90]
	v_fma_f64 v[91:92], v[105:106], v[113:114], -v[91:92]
	v_cndmask_b32_e32 v100, v116, v90, vcc
	v_cndmask_b32_e32 v99, v115, v89, vcc
	;; [unrolled: 1-line block ×4, first 2 shown]
	s_waitcnt vmcnt(0)
	global_store_dwordx4 v[73:74], v[75:78], off
	buffer_load_dword v73, off, s[20:23], 0 offset:552 ; 4-byte Folded Reload
	s_nop 0
	buffer_load_dword v74, off, s[20:23], 0 offset:556 ; 4-byte Folded Reload
	buffer_load_dword v75, off, s[20:23], 0 offset:176 ; 4-byte Folded Reload
	;; [unrolled: 1-line block ×5, first 2 shown]
	s_waitcnt vmcnt(0)
	global_store_dwordx4 v[73:74], v[75:78], off
	buffer_load_dword v81, off, s[20:23], 0 offset:504 ; 4-byte Folded Reload
	buffer_load_dword v82, off, s[20:23], 0 offset:508 ; 4-byte Folded Reload
	s_nop 0
	buffer_load_dword v73, off, s[20:23], 0 offset:160 ; 4-byte Folded Reload
	buffer_load_dword v74, off, s[20:23], 0 offset:164 ; 4-byte Folded Reload
	buffer_load_dword v75, off, s[20:23], 0 offset:168 ; 4-byte Folded Reload
	buffer_load_dword v76, off, s[20:23], 0 offset:172 ; 4-byte Folded Reload
	s_waitcnt vmcnt(0)
	global_store_dwordx4 v[81:82], v[73:76], off
	buffer_load_dword v87, off, s[20:23], 0 offset:208 ; 4-byte Folded Reload
	buffer_load_dword v88, off, s[20:23], 0 offset:212 ; 4-byte Folded Reload
	s_nop 0
	buffer_load_dword v73, off, s[20:23], 0 offset:144 ; 4-byte Folded Reload
	buffer_load_dword v74, off, s[20:23], 0 offset:148 ; 4-byte Folded Reload
	buffer_load_dword v75, off, s[20:23], 0 offset:152 ; 4-byte Folded Reload
	buffer_load_dword v76, off, s[20:23], 0 offset:156 ; 4-byte Folded Reload
	;; [unrolled: 9-line block ×4, first 2 shown]
	s_waitcnt vmcnt(0)
	global_store_dwordx4 v[85:86], v[73:76], off
	buffer_load_dword v85, off, s[20:23], 0 offset:224 ; 4-byte Folded Reload
	s_nop 0
	buffer_load_dword v86, off, s[20:23], 0 offset:228 ; 4-byte Folded Reload
	buffer_load_dword v73, off, s[20:23], 0 offset:96 ; 4-byte Folded Reload
	buffer_load_dword v74, off, s[20:23], 0 offset:100 ; 4-byte Folded Reload
	buffer_load_dword v75, off, s[20:23], 0 offset:104 ; 4-byte Folded Reload
	buffer_load_dword v76, off, s[20:23], 0 offset:108 ; 4-byte Folded Reload
	s_waitcnt vmcnt(0)
	global_store_dwordx4 v[85:86], v[73:76], off
	buffer_load_dword v85, off, s[20:23], 0 offset:232 ; 4-byte Folded Reload
	s_nop 0
	buffer_load_dword v86, off, s[20:23], 0 offset:236 ; 4-byte Folded Reload
	buffer_load_dword v73, off, s[20:23], 0 offset:80 ; 4-byte Folded Reload
	buffer_load_dword v74, off, s[20:23], 0 offset:84 ; 4-byte Folded Reload
	buffer_load_dword v75, off, s[20:23], 0 offset:88 ; 4-byte Folded Reload
	buffer_load_dword v76, off, s[20:23], 0 offset:92 ; 4-byte Folded Reload
	s_waitcnt vmcnt(0)
	global_store_dwordx4 v[85:86], v[73:76], off
	buffer_load_dword v85, off, s[20:23], 0 offset:240 ; 4-byte Folded Reload
	s_nop 0
	buffer_load_dword v86, off, s[20:23], 0 offset:244 ; 4-byte Folded Reload
	buffer_load_dword v77, off, s[20:23], 0 offset:528 ; 4-byte Folded Reload
	buffer_load_dword v78, off, s[20:23], 0 offset:532 ; 4-byte Folded Reload
	buffer_load_dword v79, off, s[20:23], 0 offset:536 ; 4-byte Folded Reload
	buffer_load_dword v80, off, s[20:23], 0 offset:540 ; 4-byte Folded Reload
	s_waitcnt vmcnt(0)
	global_store_dwordx4 v[85:86], v[77:80], off
	buffer_load_dword v85, off, s[20:23], 0 offset:248 ; 4-byte Folded Reload
	s_nop 0
	buffer_load_dword v86, off, s[20:23], 0 offset:252 ; 4-byte Folded Reload
	buffer_load_dword v81, off, s[20:23], 0 offset:512 ; 4-byte Folded Reload
	buffer_load_dword v82, off, s[20:23], 0 offset:516 ; 4-byte Folded Reload
	buffer_load_dword v83, off, s[20:23], 0 offset:520 ; 4-byte Folded Reload
	buffer_load_dword v84, off, s[20:23], 0 offset:524 ; 4-byte Folded Reload
	s_waitcnt vmcnt(0)
	global_store_dwordx4 v[85:86], v[81:84], off
	buffer_load_dword v85, off, s[20:23], 0 offset:256 ; 4-byte Folded Reload
	s_nop 0
	buffer_load_dword v86, off, s[20:23], 0 offset:260 ; 4-byte Folded Reload
	buffer_load_dword v73, off, s[20:23], 0 offset:64 ; 4-byte Folded Reload
	buffer_load_dword v74, off, s[20:23], 0 offset:68 ; 4-byte Folded Reload
	buffer_load_dword v75, off, s[20:23], 0 offset:72 ; 4-byte Folded Reload
	buffer_load_dword v76, off, s[20:23], 0 offset:76 ; 4-byte Folded Reload
	s_waitcnt vmcnt(0)
	global_store_dwordx4 v[85:86], v[73:76], off
	buffer_load_dword v85, off, s[20:23], 0 offset:264 ; 4-byte Folded Reload
	s_nop 0
	buffer_load_dword v86, off, s[20:23], 0 offset:268 ; 4-byte Folded Reload
	buffer_load_dword v81, off, s[20:23], 0 offset:488 ; 4-byte Folded Reload
	buffer_load_dword v82, off, s[20:23], 0 offset:492 ; 4-byte Folded Reload
	buffer_load_dword v83, off, s[20:23], 0 offset:496 ; 4-byte Folded Reload
	buffer_load_dword v84, off, s[20:23], 0 offset:500 ; 4-byte Folded Reload
	s_waitcnt vmcnt(0)
	global_store_dwordx4 v[85:86], v[81:84], off
	buffer_load_dword v85, off, s[20:23], 0 offset:272 ; 4-byte Folded Reload
	s_nop 0
	buffer_load_dword v86, off, s[20:23], 0 offset:276 ; 4-byte Folded Reload
	buffer_load_dword v73, off, s[20:23], 0 offset:48 ; 4-byte Folded Reload
	buffer_load_dword v74, off, s[20:23], 0 offset:52 ; 4-byte Folded Reload
	buffer_load_dword v75, off, s[20:23], 0 offset:56 ; 4-byte Folded Reload
	buffer_load_dword v76, off, s[20:23], 0 offset:60 ; 4-byte Folded Reload
	s_waitcnt vmcnt(0)
	global_store_dwordx4 v[85:86], v[73:76], off
	buffer_load_dword v85, off, s[20:23], 0 offset:280 ; 4-byte Folded Reload
	s_nop 0
	buffer_load_dword v86, off, s[20:23], 0 offset:284 ; 4-byte Folded Reload
	s_waitcnt vmcnt(0)
	global_store_dwordx4 v[85:86], v[117:120], off
	buffer_load_dword v85, off, s[20:23], 0 offset:288 ; 4-byte Folded Reload
	s_nop 0
	buffer_load_dword v86, off, s[20:23], 0 offset:292 ; 4-byte Folded Reload
	;; [unrolled: 5-line block ×3, first 2 shown]
	buffer_load_dword v81, off, s[20:23], 0 offset:32 ; 4-byte Folded Reload
	buffer_load_dword v82, off, s[20:23], 0 offset:36 ; 4-byte Folded Reload
	;; [unrolled: 1-line block ×4, first 2 shown]
	s_waitcnt vmcnt(0)
	global_store_dwordx4 v[85:86], v[81:84], off
	buffer_load_dword v85, off, s[20:23], 0 offset:304 ; 4-byte Folded Reload
	s_nop 0
	buffer_load_dword v86, off, s[20:23], 0 offset:308 ; 4-byte Folded Reload
	s_waitcnt vmcnt(0)
	global_store_dwordx4 v[85:86], v[93:96], off
	buffer_load_dword v81, off, s[20:23], 0 offset:312 ; 4-byte Folded Reload
	buffer_load_dword v82, off, s[20:23], 0 offset:316 ; 4-byte Folded Reload
	;; [unrolled: 1-line block ×6, first 2 shown]
	s_waitcnt vmcnt(0)
	global_store_dwordx4 v[81:82], v[77:80], off
	buffer_load_dword v77, off, s[20:23], 0 offset:320 ; 4-byte Folded Reload
	s_nop 0
	buffer_load_dword v78, off, s[20:23], 0 offset:324 ; 4-byte Folded Reload
	buffer_load_dword v73, off, s[20:23], 0 ; 4-byte Folded Reload
	buffer_load_dword v74, off, s[20:23], 0 offset:4 ; 4-byte Folded Reload
	buffer_load_dword v75, off, s[20:23], 0 offset:8 ; 4-byte Folded Reload
	;; [unrolled: 1-line block ×3, first 2 shown]
	s_waitcnt vmcnt(0)
	global_store_dwordx4 v[77:78], v[73:76], off
	buffer_load_dword v73, off, s[20:23], 0 offset:328 ; 4-byte Folded Reload
	s_nop 0
	buffer_load_dword v74, off, s[20:23], 0 offset:332 ; 4-byte Folded Reload
	s_waitcnt vmcnt(0)
	global_store_dwordx4 v[73:74], v[69:72], off
	buffer_load_dword v69, off, s[20:23], 0 offset:336 ; 4-byte Folded Reload
	s_nop 0
	buffer_load_dword v70, off, s[20:23], 0 offset:340 ; 4-byte Folded Reload
	;; [unrolled: 5-line block ×19, first 2 shown]
	s_waitcnt vmcnt(0)
	global_store_dwordx4 v[0:1], v[97:100], off
.LBB75_345:
	s_endpgm
	.section	.rodata,"a",@progbits
	.p2align	6, 0x0
	.amdhsa_kernel _ZN9rocsolver6v33100L23getf2_npvt_small_kernelILi38E19rocblas_complex_numIdEiiPS3_EEvT1_T3_lS5_lPT2_S5_S5_
		.amdhsa_group_segment_fixed_size 0
		.amdhsa_private_segment_fixed_size 1068
		.amdhsa_kernarg_size 312
		.amdhsa_user_sgpr_count 6
		.amdhsa_user_sgpr_private_segment_buffer 1
		.amdhsa_user_sgpr_dispatch_ptr 0
		.amdhsa_user_sgpr_queue_ptr 0
		.amdhsa_user_sgpr_kernarg_segment_ptr 1
		.amdhsa_user_sgpr_dispatch_id 0
		.amdhsa_user_sgpr_flat_scratch_init 0
		.amdhsa_user_sgpr_private_segment_size 0
		.amdhsa_uses_dynamic_stack 0
		.amdhsa_system_sgpr_private_segment_wavefront_offset 1
		.amdhsa_system_sgpr_workgroup_id_x 1
		.amdhsa_system_sgpr_workgroup_id_y 1
		.amdhsa_system_sgpr_workgroup_id_z 0
		.amdhsa_system_sgpr_workgroup_info 0
		.amdhsa_system_vgpr_workitem_id 1
		.amdhsa_next_free_vgpr 128
		.amdhsa_next_free_sgpr 24
		.amdhsa_reserve_vcc 1
		.amdhsa_reserve_flat_scratch 0
		.amdhsa_float_round_mode_32 0
		.amdhsa_float_round_mode_16_64 0
		.amdhsa_float_denorm_mode_32 3
		.amdhsa_float_denorm_mode_16_64 3
		.amdhsa_dx10_clamp 1
		.amdhsa_ieee_mode 1
		.amdhsa_fp16_overflow 0
		.amdhsa_exception_fp_ieee_invalid_op 0
		.amdhsa_exception_fp_denorm_src 0
		.amdhsa_exception_fp_ieee_div_zero 0
		.amdhsa_exception_fp_ieee_overflow 0
		.amdhsa_exception_fp_ieee_underflow 0
		.amdhsa_exception_fp_ieee_inexact 0
		.amdhsa_exception_int_div_zero 0
	.end_amdhsa_kernel
	.section	.text._ZN9rocsolver6v33100L23getf2_npvt_small_kernelILi38E19rocblas_complex_numIdEiiPS3_EEvT1_T3_lS5_lPT2_S5_S5_,"axG",@progbits,_ZN9rocsolver6v33100L23getf2_npvt_small_kernelILi38E19rocblas_complex_numIdEiiPS3_EEvT1_T3_lS5_lPT2_S5_S5_,comdat
.Lfunc_end75:
	.size	_ZN9rocsolver6v33100L23getf2_npvt_small_kernelILi38E19rocblas_complex_numIdEiiPS3_EEvT1_T3_lS5_lPT2_S5_S5_, .Lfunc_end75-_ZN9rocsolver6v33100L23getf2_npvt_small_kernelILi38E19rocblas_complex_numIdEiiPS3_EEvT1_T3_lS5_lPT2_S5_S5_
                                        ; -- End function
	.set _ZN9rocsolver6v33100L23getf2_npvt_small_kernelILi38E19rocblas_complex_numIdEiiPS3_EEvT1_T3_lS5_lPT2_S5_S5_.num_vgpr, 128
	.set _ZN9rocsolver6v33100L23getf2_npvt_small_kernelILi38E19rocblas_complex_numIdEiiPS3_EEvT1_T3_lS5_lPT2_S5_S5_.num_agpr, 0
	.set _ZN9rocsolver6v33100L23getf2_npvt_small_kernelILi38E19rocblas_complex_numIdEiiPS3_EEvT1_T3_lS5_lPT2_S5_S5_.numbered_sgpr, 24
	.set _ZN9rocsolver6v33100L23getf2_npvt_small_kernelILi38E19rocblas_complex_numIdEiiPS3_EEvT1_T3_lS5_lPT2_S5_S5_.num_named_barrier, 0
	.set _ZN9rocsolver6v33100L23getf2_npvt_small_kernelILi38E19rocblas_complex_numIdEiiPS3_EEvT1_T3_lS5_lPT2_S5_S5_.private_seg_size, 1068
	.set _ZN9rocsolver6v33100L23getf2_npvt_small_kernelILi38E19rocblas_complex_numIdEiiPS3_EEvT1_T3_lS5_lPT2_S5_S5_.uses_vcc, 1
	.set _ZN9rocsolver6v33100L23getf2_npvt_small_kernelILi38E19rocblas_complex_numIdEiiPS3_EEvT1_T3_lS5_lPT2_S5_S5_.uses_flat_scratch, 0
	.set _ZN9rocsolver6v33100L23getf2_npvt_small_kernelILi38E19rocblas_complex_numIdEiiPS3_EEvT1_T3_lS5_lPT2_S5_S5_.has_dyn_sized_stack, 0
	.set _ZN9rocsolver6v33100L23getf2_npvt_small_kernelILi38E19rocblas_complex_numIdEiiPS3_EEvT1_T3_lS5_lPT2_S5_S5_.has_recursion, 0
	.set _ZN9rocsolver6v33100L23getf2_npvt_small_kernelILi38E19rocblas_complex_numIdEiiPS3_EEvT1_T3_lS5_lPT2_S5_S5_.has_indirect_call, 0
	.section	.AMDGPU.csdata,"",@progbits
; Kernel info:
; codeLenInByte = 92784
; TotalNumSgprs: 28
; NumVgprs: 128
; ScratchSize: 1068
; MemoryBound: 1
; FloatMode: 240
; IeeeMode: 1
; LDSByteSize: 0 bytes/workgroup (compile time only)
; SGPRBlocks: 3
; VGPRBlocks: 31
; NumSGPRsForWavesPerEU: 28
; NumVGPRsForWavesPerEU: 128
; Occupancy: 2
; WaveLimiterHint : 0
; COMPUTE_PGM_RSRC2:SCRATCH_EN: 1
; COMPUTE_PGM_RSRC2:USER_SGPR: 6
; COMPUTE_PGM_RSRC2:TRAP_HANDLER: 0
; COMPUTE_PGM_RSRC2:TGID_X_EN: 1
; COMPUTE_PGM_RSRC2:TGID_Y_EN: 1
; COMPUTE_PGM_RSRC2:TGID_Z_EN: 0
; COMPUTE_PGM_RSRC2:TIDIG_COMP_CNT: 1
	.section	.text._ZN9rocsolver6v33100L18getf2_small_kernelILi39E19rocblas_complex_numIdEiiPS3_EEvT1_T3_lS5_lPS5_llPT2_S5_S5_S7_l,"axG",@progbits,_ZN9rocsolver6v33100L18getf2_small_kernelILi39E19rocblas_complex_numIdEiiPS3_EEvT1_T3_lS5_lPS5_llPT2_S5_S5_S7_l,comdat
	.globl	_ZN9rocsolver6v33100L18getf2_small_kernelILi39E19rocblas_complex_numIdEiiPS3_EEvT1_T3_lS5_lPS5_llPT2_S5_S5_S7_l ; -- Begin function _ZN9rocsolver6v33100L18getf2_small_kernelILi39E19rocblas_complex_numIdEiiPS3_EEvT1_T3_lS5_lPS5_llPT2_S5_S5_S7_l
	.p2align	8
	.type	_ZN9rocsolver6v33100L18getf2_small_kernelILi39E19rocblas_complex_numIdEiiPS3_EEvT1_T3_lS5_lPS5_llPT2_S5_S5_S7_l,@function
_ZN9rocsolver6v33100L18getf2_small_kernelILi39E19rocblas_complex_numIdEiiPS3_EEvT1_T3_lS5_lPS5_llPT2_S5_S5_S7_l: ; @_ZN9rocsolver6v33100L18getf2_small_kernelILi39E19rocblas_complex_numIdEiiPS3_EEvT1_T3_lS5_lPS5_llPT2_S5_S5_S7_l
; %bb.0:
	s_mov_b64 s[26:27], s[2:3]
	s_mov_b64 s[24:25], s[0:1]
	s_load_dword s0, s[4:5], 0x6c
	s_load_dwordx2 s[16:17], s[4:5], 0x48
	s_add_u32 s24, s24, s8
	s_addc_u32 s25, s25, 0
	s_waitcnt lgkmcnt(0)
	s_lshr_b32 s0, s0, 16
	s_mul_i32 s7, s7, s0
	v_add_u32_e32 v6, s7, v1
	v_cmp_gt_i32_e32 vcc, s16, v6
	s_and_saveexec_b64 s[0:1], vcc
	s_cbranch_execz .LBB76_820
; %bb.1:
	s_load_dwordx4 s[0:3], s[4:5], 0x50
	v_mov_b32_e32 v2, 0
	v_ashrrev_i32_e32 v7, 31, v6
	v_mov_b32_e32 v3, 0
	s_waitcnt lgkmcnt(0)
	s_cmp_eq_u64 s[0:1], 0
	s_cselect_b64 s[6:7], -1, 0
	s_and_b64 vcc, exec, s[6:7]
	s_cbranch_vccnz .LBB76_3
; %bb.2:
	v_mul_lo_u32 v4, s3, v6
	v_mul_lo_u32 v5, s2, v7
	v_mad_u64_u32 v[2:3], s[2:3], s2, v6, 0
	v_add3_u32 v3, v3, v5, v4
	v_lshlrev_b64 v[2:3], 2, v[2:3]
	v_mov_b32_e32 v4, s1
	v_add_co_u32_e32 v2, vcc, s0, v2
	v_addc_co_u32_e32 v3, vcc, v4, v3, vcc
.LBB76_3:
	buffer_store_dword v2, off, s[24:27], 0 offset:208 ; 4-byte Folded Spill
	s_nop 0
	buffer_store_dword v3, off, s[24:27], 0 offset:212 ; 4-byte Folded Spill
	s_load_dwordx8 s[8:15], s[4:5], 0x20
	s_load_dwordx4 s[20:23], s[4:5], 0x8
	s_load_dword s2, s[4:5], 0x18
	v_lshlrev_b32_e32 v54, 4, v0
	s_waitcnt lgkmcnt(0)
	v_mul_lo_u32 v4, s9, v6
	v_mul_lo_u32 v5, s8, v7
	buffer_store_dword v6, off, s[24:27], 0 offset:232 ; 4-byte Folded Spill
	s_nop 0
	buffer_store_dword v7, off, s[24:27], 0 offset:236 ; 4-byte Folded Spill
	s_add_i32 s16, s2, s2
	s_ashr_i32 s3, s2, 31
	v_mad_u64_u32 v[2:3], s[0:1], s8, v6, 0
	v_mov_b32_e32 v6, s21
	s_lshl_b64 s[0:1], s[22:23], 4
	v_add3_u32 v3, v3, v5, v4
	v_lshlrev_b64 v[2:3], 4, v[2:3]
	v_mov_b32_e32 v4, s1
	v_add_co_u32_e32 v2, vcc, s20, v2
	v_addc_co_u32_e32 v3, vcc, v6, v3, vcc
	v_add_co_u32_e32 v127, vcc, s0, v2
	v_addc_co_u32_e32 v97, vcc, v3, v4, vcc
	v_add_u32_e32 v4, s16, v0
	v_ashrrev_i32_e32 v5, 31, v4
	v_lshlrev_b64 v[2:3], 4, v[4:5]
	v_add_u32_e32 v6, s2, v4
	v_ashrrev_i32_e32 v7, 31, v6
	v_add_co_u32_e32 v2, vcc, v127, v2
	v_lshlrev_b64 v[4:5], 4, v[6:7]
	v_add_u32_e32 v8, s2, v6
	v_addc_co_u32_e32 v3, vcc, v97, v3, vcc
	v_ashrrev_i32_e32 v9, 31, v8
	v_add_co_u32_e32 v4, vcc, v127, v4
	v_lshlrev_b64 v[6:7], 4, v[8:9]
	v_add_u32_e32 v10, s2, v8
	v_addc_co_u32_e32 v5, vcc, v97, v5, vcc
	;; [unrolled: 5-line block ×23, first 2 shown]
	v_ashrrev_i32_e32 v51, 31, v50
	v_add_co_u32_e32 v48, vcc, v127, v48
	v_lshlrev_b64 v[51:52], 4, v[50:51]
	v_addc_co_u32_e32 v49, vcc, v97, v49, vcc
	v_add_u32_e32 v50, s2, v50
	v_add_co_u32_e32 v113, vcc, v127, v51
	v_ashrrev_i32_e32 v51, 31, v50
	v_addc_co_u32_e32 v114, vcc, v97, v52, vcc
	v_lshlrev_b64 v[51:52], 4, v[50:51]
	v_add_u32_e32 v50, s2, v50
	v_add_co_u32_e32 v115, vcc, v127, v51
	v_ashrrev_i32_e32 v51, 31, v50
	v_addc_co_u32_e32 v116, vcc, v97, v52, vcc
	v_lshlrev_b64 v[51:52], 4, v[50:51]
	;; [unrolled: 5-line block ×10, first 2 shown]
	v_add_u32_e32 v50, s2, v50
	v_add_co_u32_e32 v107, vcc, v127, v51
	v_ashrrev_i32_e32 v51, 31, v50
	s_lshl_b64 s[8:9], s[2:3], 4
	s_load_dword s3, s[4:5], 0x0
	v_addc_co_u32_e32 v108, vcc, v97, v52, vcc
	v_lshlrev_b64 v[51:52], 4, v[50:51]
	v_add_u32_e32 v50, s2, v50
	v_add_co_u32_e32 v101, vcc, v127, v51
	v_ashrrev_i32_e32 v51, 31, v50
	v_lshlrev_b64 v[50:51], 4, v[50:51]
	v_addc_co_u32_e32 v102, vcc, v97, v52, vcc
	s_waitcnt lgkmcnt(0)
	s_max_i32 s0, s3, 39
	v_add_co_u32_e32 v103, vcc, v127, v50
	v_mul_lo_u32 v99, s0, v1
	v_addc_co_u32_e32 v104, vcc, v97, v51, vcc
	v_add_co_u32_e32 v52, vcc, v127, v54
	v_addc_co_u32_e32 v53, vcc, 0, v97, vcc
	v_mov_b32_e32 v51, s9
	v_add_co_u32_e32 v50, vcc, s8, v52
	v_lshl_add_u32 v98, v99, 4, 0
	v_addc_co_u32_e32 v51, vcc, v53, v51, vcc
	v_add_u32_e32 v1, v98, v54
	global_load_dwordx4 v[52:55], v[52:53], off
	s_nop 0
	global_load_dwordx4 v[56:59], v[50:51], off
	s_waitcnt vmcnt(0)
	buffer_store_dword v56, off, s[24:27], 0 offset:192 ; 4-byte Folded Spill
	s_nop 0
	buffer_store_dword v57, off, s[24:27], 0 offset:196 ; 4-byte Folded Spill
	buffer_store_dword v58, off, s[24:27], 0 offset:200 ; 4-byte Folded Spill
	;; [unrolled: 1-line block ×4, first 2 shown]
	s_nop 0
	buffer_store_dword v53, off, s[24:27], 0 offset:220 ; 4-byte Folded Spill
	buffer_store_dword v54, off, s[24:27], 0 offset:224 ; 4-byte Folded Spill
	buffer_store_dword v55, off, s[24:27], 0 offset:228 ; 4-byte Folded Spill
	s_load_dwordx2 s[4:5], s[4:5], 0x40
	s_cmp_lt_i32 s3, 2
	ds_write2_b64 v1, v[52:53], v[54:55] offset1:1
	global_load_dwordx4 v[50:53], v[2:3], off
	s_waitcnt vmcnt(0)
	buffer_store_dword v50, off, s[24:27], 0 offset:176 ; 4-byte Folded Spill
	s_nop 0
	buffer_store_dword v51, off, s[24:27], 0 offset:180 ; 4-byte Folded Spill
	buffer_store_dword v52, off, s[24:27], 0 offset:184 ; 4-byte Folded Spill
	buffer_store_dword v53, off, s[24:27], 0 offset:188 ; 4-byte Folded Spill
	global_load_dwordx4 v[1:4], v[4:5], off
	s_waitcnt vmcnt(0)
	buffer_store_dword v1, off, s[24:27], 0 offset:160 ; 4-byte Folded Spill
	s_nop 0
	buffer_store_dword v2, off, s[24:27], 0 offset:164 ; 4-byte Folded Spill
	buffer_store_dword v3, off, s[24:27], 0 offset:168 ; 4-byte Folded Spill
	buffer_store_dword v4, off, s[24:27], 0 offset:172 ; 4-byte Folded Spill
	;; [unrolled: 7-line block ×11, first 2 shown]
	global_load_dwordx4 v[1:4], v[24:25], off
	s_waitcnt vmcnt(0)
	buffer_store_dword v1, off, s[24:27], 0 ; 4-byte Folded Spill
	s_nop 0
	buffer_store_dword v2, off, s[24:27], 0 offset:4 ; 4-byte Folded Spill
	buffer_store_dword v3, off, s[24:27], 0 offset:8 ; 4-byte Folded Spill
	;; [unrolled: 1-line block ×3, first 2 shown]
	global_load_dwordx4 v[93:96], v[26:27], off
	global_load_dwordx4 v[89:92], v[28:29], off
	;; [unrolled: 1-line block ×11, first 2 shown]
	s_nop 0
	global_load_dwordx4 v[49:52], v[48:49], off
	s_nop 0
	global_load_dwordx4 v[45:48], v[113:114], off
	global_load_dwordx4 v[41:44], v[115:116], off
	;; [unrolled: 1-line block ×13, first 2 shown]
	s_waitcnt vmcnt(0) lgkmcnt(0)
	s_barrier
	ds_read2_b64 v[121:124], v98 offset1:1
	v_lshlrev_b32_e32 v103, 4, v99
	v_mov_b32_e32 v101, 0
	s_cbranch_scc1 .LBB76_6
; %bb.4:
	v_add3_u32 v99, v103, 0, 16
	s_mov_b32 s0, 1
	v_mov_b32_e32 v101, 0
.LBB76_5:                               ; =>This Inner Loop Header: Depth=1
	s_waitcnt lgkmcnt(0)
	v_cmp_gt_f64_e32 vcc, 0, v[121:122]
	v_xor_b32_e32 v100, 0x80000000, v122
	ds_read2_b64 v[104:107], v99 offset1:1
	v_mov_b32_e32 v108, v121
	v_mov_b32_e32 v110, v123
	v_add_u32_e32 v99, 16, v99
	s_waitcnt lgkmcnt(0)
	v_mov_b32_e32 v117, v106
	v_cndmask_b32_e32 v109, v122, v100, vcc
	v_cmp_gt_f64_e32 vcc, 0, v[123:124]
	v_xor_b32_e32 v100, 0x80000000, v124
	v_cndmask_b32_e32 v111, v124, v100, vcc
	v_cmp_gt_f64_e32 vcc, 0, v[104:105]
	v_xor_b32_e32 v100, 0x80000000, v105
	v_add_f64 v[108:109], v[108:109], v[110:111]
	v_mov_b32_e32 v110, v104
	v_cndmask_b32_e32 v111, v105, v100, vcc
	v_cmp_gt_f64_e32 vcc, 0, v[106:107]
	v_xor_b32_e32 v100, 0x80000000, v107
	v_cndmask_b32_e32 v118, v107, v100, vcc
	v_add_f64 v[110:111], v[110:111], v[117:118]
	v_mov_b32_e32 v100, s0
	s_add_i32 s0, s0, 1
	s_cmp_eq_u32 s3, s0
	v_cmp_lt_f64_e32 vcc, v[108:109], v[110:111]
	v_cndmask_b32_e32 v122, v122, v105, vcc
	v_cndmask_b32_e32 v121, v121, v104, vcc
	;; [unrolled: 1-line block ×5, first 2 shown]
	s_cbranch_scc0 .LBB76_5
.LBB76_6:
	buffer_load_dword v119, off, s[24:27], 0 offset:208 ; 4-byte Folded Reload
	buffer_load_dword v120, off, s[24:27], 0 offset:212 ; 4-byte Folded Reload
	s_waitcnt lgkmcnt(0)
	v_cmp_neq_f64_e32 vcc, 0, v[121:122]
	v_cmp_neq_f64_e64 s[0:1], 0, v[123:124]
	v_mov_b32_e32 v99, 1
	v_mov_b32_e32 v104, 1
	s_or_b64 s[18:19], vcc, s[0:1]
	s_and_saveexec_b64 s[0:1], s[18:19]
	s_cbranch_execz .LBB76_12
; %bb.7:
	v_cmp_ngt_f64_e64 s[18:19], |v[121:122]|, |v[123:124]|
	s_and_saveexec_b64 s[20:21], s[18:19]
	s_xor_b64 s[18:19], exec, s[20:21]
	s_cbranch_execz .LBB76_9
; %bb.8:
	v_div_scale_f64 v[99:100], s[20:21], v[123:124], v[123:124], v[121:122]
	v_rcp_f64_e32 v[104:105], v[99:100]
	v_fma_f64 v[106:107], -v[99:100], v[104:105], 1.0
	v_fma_f64 v[104:105], v[104:105], v[106:107], v[104:105]
	v_div_scale_f64 v[106:107], vcc, v[121:122], v[123:124], v[121:122]
	v_fma_f64 v[108:109], -v[99:100], v[104:105], 1.0
	v_fma_f64 v[104:105], v[104:105], v[108:109], v[104:105]
	v_mul_f64 v[108:109], v[106:107], v[104:105]
	v_fma_f64 v[99:100], -v[99:100], v[108:109], v[106:107]
	v_div_fmas_f64 v[99:100], v[99:100], v[104:105], v[108:109]
	v_div_fixup_f64 v[99:100], v[99:100], v[123:124], v[121:122]
	v_fma_f64 v[104:105], v[121:122], v[99:100], v[123:124]
	v_div_scale_f64 v[106:107], s[20:21], v[104:105], v[104:105], 1.0
	v_div_scale_f64 v[117:118], vcc, 1.0, v[104:105], 1.0
	v_rcp_f64_e32 v[108:109], v[106:107]
	v_fma_f64 v[110:111], -v[106:107], v[108:109], 1.0
	v_fma_f64 v[108:109], v[108:109], v[110:111], v[108:109]
	v_fma_f64 v[110:111], -v[106:107], v[108:109], 1.0
	v_fma_f64 v[108:109], v[108:109], v[110:111], v[108:109]
	v_mul_f64 v[110:111], v[117:118], v[108:109]
	v_fma_f64 v[106:107], -v[106:107], v[110:111], v[117:118]
	v_div_fmas_f64 v[106:107], v[106:107], v[108:109], v[110:111]
	v_div_fixup_f64 v[123:124], v[106:107], v[104:105], 1.0
	v_mul_f64 v[121:122], v[99:100], v[123:124]
	v_xor_b32_e32 v124, 0x80000000, v124
.LBB76_9:
	s_andn2_saveexec_b64 s[18:19], s[18:19]
	s_cbranch_execz .LBB76_11
; %bb.10:
	v_div_scale_f64 v[99:100], s[20:21], v[121:122], v[121:122], v[123:124]
	v_rcp_f64_e32 v[104:105], v[99:100]
	v_fma_f64 v[106:107], -v[99:100], v[104:105], 1.0
	v_fma_f64 v[104:105], v[104:105], v[106:107], v[104:105]
	v_div_scale_f64 v[106:107], vcc, v[123:124], v[121:122], v[123:124]
	v_fma_f64 v[108:109], -v[99:100], v[104:105], 1.0
	v_fma_f64 v[104:105], v[104:105], v[108:109], v[104:105]
	v_mul_f64 v[108:109], v[106:107], v[104:105]
	v_fma_f64 v[99:100], -v[99:100], v[108:109], v[106:107]
	v_div_fmas_f64 v[99:100], v[99:100], v[104:105], v[108:109]
	v_div_fixup_f64 v[99:100], v[99:100], v[121:122], v[123:124]
	v_fma_f64 v[104:105], v[123:124], v[99:100], v[121:122]
	v_div_scale_f64 v[106:107], s[20:21], v[104:105], v[104:105], 1.0
	v_div_scale_f64 v[117:118], vcc, 1.0, v[104:105], 1.0
	v_rcp_f64_e32 v[108:109], v[106:107]
	v_fma_f64 v[110:111], -v[106:107], v[108:109], 1.0
	v_fma_f64 v[108:109], v[108:109], v[110:111], v[108:109]
	v_fma_f64 v[110:111], -v[106:107], v[108:109], 1.0
	v_fma_f64 v[108:109], v[108:109], v[110:111], v[108:109]
	v_mul_f64 v[110:111], v[117:118], v[108:109]
	v_fma_f64 v[106:107], -v[106:107], v[110:111], v[117:118]
	v_div_fmas_f64 v[106:107], v[106:107], v[108:109], v[110:111]
	v_div_fixup_f64 v[121:122], v[106:107], v[104:105], 1.0
	v_mul_f64 v[123:124], v[99:100], -v[121:122]
.LBB76_11:
	s_or_b64 exec, exec, s[18:19]
	v_mov_b32_e32 v104, 0
	v_mov_b32_e32 v99, 2
.LBB76_12:
	s_or_b64 exec, exec, s[0:1]
	v_cmp_ne_u32_e32 vcc, v0, v101
	s_and_saveexec_b64 s[0:1], vcc
	s_xor_b64 s[0:1], exec, s[0:1]
	s_cbranch_execz .LBB76_18
; %bb.13:
	v_cmp_eq_u32_e32 vcc, 0, v0
	s_and_saveexec_b64 s[18:19], vcc
	s_cbranch_execz .LBB76_17
; %bb.14:
	v_cmp_ne_u32_e32 vcc, 0, v101
	s_xor_b64 s[20:21], s[6:7], -1
	s_and_b64 s[22:23], s[20:21], vcc
	s_and_saveexec_b64 s[20:21], s[22:23]
	s_cbranch_execz .LBB76_16
; %bb.15:
	v_ashrrev_i32_e32 v102, 31, v101
	v_lshlrev_b64 v[105:106], 2, v[101:102]
	s_waitcnt vmcnt(1)
	v_add_co_u32_e32 v105, vcc, v119, v105
	s_waitcnt vmcnt(0)
	v_addc_co_u32_e32 v106, vcc, v120, v106, vcc
	global_load_dword v0, v[105:106], off
	global_load_dword v100, v[119:120], off
	s_waitcnt vmcnt(1)
	global_store_dword v[119:120], v0, off
	s_waitcnt vmcnt(1)
	global_store_dword v[105:106], v100, off
.LBB76_16:
	s_or_b64 exec, exec, s[20:21]
	v_mov_b32_e32 v0, v101
.LBB76_17:
	s_or_b64 exec, exec, s[18:19]
.LBB76_18:
	s_or_saveexec_b64 s[0:1], s[0:1]
	v_mov_b32_e32 v100, v0
	s_xor_b64 exec, exec, s[0:1]
	s_cbranch_execz .LBB76_20
; %bb.19:
	buffer_load_dword v105, off, s[24:27], 0 offset:192 ; 4-byte Folded Reload
	buffer_load_dword v106, off, s[24:27], 0 offset:196 ; 4-byte Folded Reload
	;; [unrolled: 1-line block ×4, first 2 shown]
	v_mov_b32_e32 v100, 0
	s_waitcnt vmcnt(0)
	ds_write2_b64 v98, v[105:106], v[107:108] offset0:2 offset1:3
	buffer_load_dword v105, off, s[24:27], 0 offset:176 ; 4-byte Folded Reload
	buffer_load_dword v106, off, s[24:27], 0 offset:180 ; 4-byte Folded Reload
	buffer_load_dword v107, off, s[24:27], 0 offset:184 ; 4-byte Folded Reload
	buffer_load_dword v108, off, s[24:27], 0 offset:188 ; 4-byte Folded Reload
	s_waitcnt vmcnt(0)
	ds_write2_b64 v98, v[105:106], v[107:108] offset0:4 offset1:5
	buffer_load_dword v105, off, s[24:27], 0 offset:160 ; 4-byte Folded Reload
	buffer_load_dword v106, off, s[24:27], 0 offset:164 ; 4-byte Folded Reload
	buffer_load_dword v107, off, s[24:27], 0 offset:168 ; 4-byte Folded Reload
	buffer_load_dword v108, off, s[24:27], 0 offset:172 ; 4-byte Folded Reload
	;; [unrolled: 6-line block ×11, first 2 shown]
	s_waitcnt vmcnt(0)
	ds_write2_b64 v98, v[105:106], v[107:108] offset0:24 offset1:25
	buffer_load_dword v105, off, s[24:27], 0 ; 4-byte Folded Reload
	buffer_load_dword v106, off, s[24:27], 0 offset:4 ; 4-byte Folded Reload
	buffer_load_dword v107, off, s[24:27], 0 offset:8 ; 4-byte Folded Reload
	;; [unrolled: 1-line block ×3, first 2 shown]
	s_waitcnt vmcnt(0)
	ds_write2_b64 v98, v[105:106], v[107:108] offset0:26 offset1:27
	ds_write2_b64 v98, v[93:94], v[95:96] offset0:28 offset1:29
	;; [unrolled: 1-line block ×26, first 2 shown]
.LBB76_20:
	s_or_b64 exec, exec, s[0:1]
	v_cmp_lt_i32_e32 vcc, 0, v100
	s_waitcnt vmcnt(0) lgkmcnt(0)
	s_barrier
	s_and_saveexec_b64 s[0:1], vcc
	s_cbranch_execz .LBB76_22
; %bb.21:
	buffer_load_dword v109, off, s[24:27], 0 offset:216 ; 4-byte Folded Reload
	buffer_load_dword v110, off, s[24:27], 0 offset:220 ; 4-byte Folded Reload
	;; [unrolled: 1-line block ×4, first 2 shown]
	ds_read2_b64 v[105:108], v98 offset0:2 offset1:3
	s_waitcnt vmcnt(0)
	v_mul_f64 v[101:102], v[123:124], v[111:112]
	v_fma_f64 v[125:126], v[121:122], v[109:110], -v[101:102]
	v_mul_f64 v[101:102], v[121:122], v[111:112]
	v_fma_f64 v[111:112], v[123:124], v[109:110], v[101:102]
	s_waitcnt lgkmcnt(0)
	v_mul_f64 v[101:102], v[107:108], v[111:112]
	v_fma_f64 v[101:102], v[105:106], v[125:126], -v[101:102]
	v_mul_f64 v[105:106], v[105:106], v[111:112]
	v_fma_f64 v[105:106], v[107:108], v[125:126], v[105:106]
	buffer_load_dword v107, off, s[24:27], 0 offset:192 ; 4-byte Folded Reload
	buffer_load_dword v108, off, s[24:27], 0 offset:196 ; 4-byte Folded Reload
	buffer_load_dword v109, off, s[24:27], 0 offset:200 ; 4-byte Folded Reload
	buffer_load_dword v110, off, s[24:27], 0 offset:204 ; 4-byte Folded Reload
	s_waitcnt vmcnt(2)
	v_add_f64 v[107:108], v[107:108], -v[101:102]
	s_waitcnt vmcnt(0)
	v_add_f64 v[109:110], v[109:110], -v[105:106]
	buffer_store_dword v107, off, s[24:27], 0 offset:192 ; 4-byte Folded Spill
	s_nop 0
	buffer_store_dword v108, off, s[24:27], 0 offset:196 ; 4-byte Folded Spill
	buffer_store_dword v109, off, s[24:27], 0 offset:200 ; 4-byte Folded Spill
	buffer_store_dword v110, off, s[24:27], 0 offset:204 ; 4-byte Folded Spill
	ds_read2_b64 v[105:108], v98 offset0:4 offset1:5
	s_waitcnt lgkmcnt(0)
	v_mul_f64 v[101:102], v[107:108], v[111:112]
	v_fma_f64 v[101:102], v[105:106], v[125:126], -v[101:102]
	v_mul_f64 v[105:106], v[105:106], v[111:112]
	v_fma_f64 v[105:106], v[107:108], v[125:126], v[105:106]
	buffer_load_dword v107, off, s[24:27], 0 offset:176 ; 4-byte Folded Reload
	buffer_load_dword v108, off, s[24:27], 0 offset:180 ; 4-byte Folded Reload
	buffer_load_dword v109, off, s[24:27], 0 offset:184 ; 4-byte Folded Reload
	buffer_load_dword v110, off, s[24:27], 0 offset:188 ; 4-byte Folded Reload
	s_waitcnt vmcnt(2)
	v_add_f64 v[107:108], v[107:108], -v[101:102]
	s_waitcnt vmcnt(0)
	v_add_f64 v[109:110], v[109:110], -v[105:106]
	buffer_store_dword v107, off, s[24:27], 0 offset:176 ; 4-byte Folded Spill
	s_nop 0
	buffer_store_dword v108, off, s[24:27], 0 offset:180 ; 4-byte Folded Spill
	buffer_store_dword v109, off, s[24:27], 0 offset:184 ; 4-byte Folded Spill
	buffer_store_dword v110, off, s[24:27], 0 offset:188 ; 4-byte Folded Spill
	ds_read2_b64 v[105:108], v98 offset0:6 offset1:7
	;; [unrolled: 19-line block ×12, first 2 shown]
	s_waitcnt lgkmcnt(0)
	v_mul_f64 v[101:102], v[107:108], v[111:112]
	v_fma_f64 v[101:102], v[105:106], v[125:126], -v[101:102]
	v_mul_f64 v[105:106], v[105:106], v[111:112]
	v_fma_f64 v[105:106], v[107:108], v[125:126], v[105:106]
	buffer_load_dword v107, off, s[24:27], 0 ; 4-byte Folded Reload
	buffer_load_dword v108, off, s[24:27], 0 offset:4 ; 4-byte Folded Reload
	buffer_load_dword v109, off, s[24:27], 0 offset:8 ; 4-byte Folded Reload
	;; [unrolled: 1-line block ×3, first 2 shown]
	s_waitcnt vmcnt(2)
	v_add_f64 v[107:108], v[107:108], -v[101:102]
	s_waitcnt vmcnt(0)
	v_add_f64 v[109:110], v[109:110], -v[105:106]
	buffer_store_dword v107, off, s[24:27], 0 ; 4-byte Folded Spill
	s_nop 0
	buffer_store_dword v108, off, s[24:27], 0 offset:4 ; 4-byte Folded Spill
	buffer_store_dword v109, off, s[24:27], 0 offset:8 ; 4-byte Folded Spill
	;; [unrolled: 1-line block ×3, first 2 shown]
	ds_read2_b64 v[105:108], v98 offset0:28 offset1:29
	v_mov_b32_e32 v109, v125
	v_mov_b32_e32 v110, v126
	s_waitcnt lgkmcnt(0)
	v_mul_f64 v[101:102], v[107:108], v[111:112]
	v_fma_f64 v[101:102], v[105:106], v[125:126], -v[101:102]
	v_mul_f64 v[105:106], v[105:106], v[111:112]
	v_add_f64 v[93:94], v[93:94], -v[101:102]
	v_fma_f64 v[105:106], v[107:108], v[125:126], v[105:106]
	v_add_f64 v[95:96], v[95:96], -v[105:106]
	ds_read2_b64 v[105:108], v98 offset0:30 offset1:31
	s_waitcnt lgkmcnt(0)
	v_mul_f64 v[101:102], v[107:108], v[111:112]
	v_fma_f64 v[101:102], v[105:106], v[125:126], -v[101:102]
	v_mul_f64 v[105:106], v[105:106], v[111:112]
	v_add_f64 v[89:90], v[89:90], -v[101:102]
	v_fma_f64 v[105:106], v[107:108], v[125:126], v[105:106]
	v_add_f64 v[91:92], v[91:92], -v[105:106]
	ds_read2_b64 v[105:108], v98 offset0:32 offset1:33
	;; [unrolled: 8-line block ×24, first 2 shown]
	s_waitcnt lgkmcnt(0)
	v_mul_f64 v[101:102], v[107:108], v[111:112]
	v_fma_f64 v[101:102], v[105:106], v[125:126], -v[101:102]
	v_mul_f64 v[105:106], v[105:106], v[111:112]
	buffer_store_dword v109, off, s[24:27], 0 offset:216 ; 4-byte Folded Spill
	s_nop 0
	buffer_store_dword v110, off, s[24:27], 0 offset:220 ; 4-byte Folded Spill
	buffer_store_dword v111, off, s[24:27], 0 offset:224 ; 4-byte Folded Spill
	;; [unrolled: 1-line block ×3, first 2 shown]
	v_add_f64 v[113:114], v[113:114], -v[101:102]
	v_fma_f64 v[105:106], v[107:108], v[125:126], v[105:106]
	v_add_f64 v[115:116], v[115:116], -v[105:106]
.LBB76_22:
	s_or_b64 exec, exec, s[0:1]
	s_waitcnt vmcnt(0)
	s_barrier
	buffer_load_dword v105, off, s[24:27], 0 offset:192 ; 4-byte Folded Reload
	buffer_load_dword v106, off, s[24:27], 0 offset:196 ; 4-byte Folded Reload
	;; [unrolled: 1-line block ×4, first 2 shown]
	v_lshl_add_u32 v101, v100, 4, v98
	s_cmp_lt_i32 s3, 3
	s_waitcnt vmcnt(0)
	ds_write2_b64 v101, v[105:106], v[107:108] offset1:1
	s_waitcnt lgkmcnt(0)
	s_barrier
	ds_read2_b64 v[121:124], v98 offset0:2 offset1:3
	v_mov_b32_e32 v101, 1
	s_cbranch_scc1 .LBB76_25
; %bb.23:
	v_add3_u32 v102, v103, 0, 32
	s_mov_b32 s0, 2
	v_mov_b32_e32 v101, 1
.LBB76_24:                              ; =>This Inner Loop Header: Depth=1
	s_waitcnt lgkmcnt(0)
	v_cmp_gt_f64_e32 vcc, 0, v[121:122]
	v_xor_b32_e32 v109, 0x80000000, v122
	ds_read2_b64 v[105:108], v102 offset1:1
	v_xor_b32_e32 v111, 0x80000000, v124
	v_add_u32_e32 v102, 16, v102
	s_waitcnt lgkmcnt(0)
	v_xor_b32_e32 v117, 0x80000000, v108
	v_cndmask_b32_e32 v110, v122, v109, vcc
	v_cmp_gt_f64_e32 vcc, 0, v[123:124]
	v_mov_b32_e32 v109, v121
	v_cndmask_b32_e32 v112, v124, v111, vcc
	v_cmp_gt_f64_e32 vcc, 0, v[105:106]
	v_mov_b32_e32 v111, v123
	v_add_f64 v[109:110], v[109:110], v[111:112]
	v_xor_b32_e32 v111, 0x80000000, v106
	v_cndmask_b32_e32 v112, v106, v111, vcc
	v_cmp_gt_f64_e32 vcc, 0, v[107:108]
	v_mov_b32_e32 v111, v105
	v_cndmask_b32_e32 v118, v108, v117, vcc
	v_mov_b32_e32 v117, v107
	v_add_f64 v[111:112], v[111:112], v[117:118]
	v_cmp_lt_f64_e32 vcc, v[109:110], v[111:112]
	v_cndmask_b32_e32 v121, v121, v105, vcc
	v_mov_b32_e32 v105, s0
	s_add_i32 s0, s0, 1
	v_cndmask_b32_e32 v122, v122, v106, vcc
	v_cndmask_b32_e32 v124, v124, v108, vcc
	;; [unrolled: 1-line block ×4, first 2 shown]
	s_cmp_lg_u32 s3, s0
	s_cbranch_scc1 .LBB76_24
.LBB76_25:
	s_waitcnt lgkmcnt(0)
	v_cmp_neq_f64_e32 vcc, 0, v[121:122]
	v_cmp_neq_f64_e64 s[0:1], 0, v[123:124]
	s_or_b64 s[18:19], vcc, s[0:1]
	s_and_saveexec_b64 s[0:1], s[18:19]
	s_cbranch_execz .LBB76_31
; %bb.26:
	v_cmp_ngt_f64_e64 s[18:19], |v[121:122]|, |v[123:124]|
	s_and_saveexec_b64 s[20:21], s[18:19]
	s_xor_b64 s[18:19], exec, s[20:21]
	s_cbranch_execz .LBB76_28
; %bb.27:
	v_div_scale_f64 v[105:106], s[20:21], v[123:124], v[123:124], v[121:122]
	v_rcp_f64_e32 v[107:108], v[105:106]
	v_fma_f64 v[109:110], -v[105:106], v[107:108], 1.0
	v_fma_f64 v[107:108], v[107:108], v[109:110], v[107:108]
	v_div_scale_f64 v[109:110], vcc, v[121:122], v[123:124], v[121:122]
	v_fma_f64 v[111:112], -v[105:106], v[107:108], 1.0
	v_fma_f64 v[107:108], v[107:108], v[111:112], v[107:108]
	v_mul_f64 v[111:112], v[109:110], v[107:108]
	v_fma_f64 v[105:106], -v[105:106], v[111:112], v[109:110]
	v_div_fmas_f64 v[105:106], v[105:106], v[107:108], v[111:112]
	v_div_fixup_f64 v[105:106], v[105:106], v[123:124], v[121:122]
	v_fma_f64 v[107:108], v[121:122], v[105:106], v[123:124]
	v_div_scale_f64 v[109:110], s[20:21], v[107:108], v[107:108], 1.0
	v_div_scale_f64 v[119:120], vcc, 1.0, v[107:108], 1.0
	v_rcp_f64_e32 v[111:112], v[109:110]
	v_fma_f64 v[117:118], -v[109:110], v[111:112], 1.0
	v_fma_f64 v[111:112], v[111:112], v[117:118], v[111:112]
	v_fma_f64 v[117:118], -v[109:110], v[111:112], 1.0
	v_fma_f64 v[111:112], v[111:112], v[117:118], v[111:112]
	v_mul_f64 v[117:118], v[119:120], v[111:112]
	v_fma_f64 v[109:110], -v[109:110], v[117:118], v[119:120]
	buffer_load_dword v119, off, s[24:27], 0 offset:208 ; 4-byte Folded Reload
	buffer_load_dword v120, off, s[24:27], 0 offset:212 ; 4-byte Folded Reload
	v_div_fmas_f64 v[109:110], v[109:110], v[111:112], v[117:118]
	v_div_fixup_f64 v[123:124], v[109:110], v[107:108], 1.0
	v_mul_f64 v[121:122], v[105:106], v[123:124]
	v_xor_b32_e32 v124, 0x80000000, v124
.LBB76_28:
	s_andn2_saveexec_b64 s[18:19], s[18:19]
	s_cbranch_execz .LBB76_30
; %bb.29:
	v_div_scale_f64 v[105:106], s[20:21], v[121:122], v[121:122], v[123:124]
	v_rcp_f64_e32 v[107:108], v[105:106]
	v_fma_f64 v[109:110], -v[105:106], v[107:108], 1.0
	v_fma_f64 v[107:108], v[107:108], v[109:110], v[107:108]
	v_div_scale_f64 v[109:110], vcc, v[123:124], v[121:122], v[123:124]
	v_fma_f64 v[111:112], -v[105:106], v[107:108], 1.0
	v_fma_f64 v[107:108], v[107:108], v[111:112], v[107:108]
	v_mul_f64 v[111:112], v[109:110], v[107:108]
	v_fma_f64 v[105:106], -v[105:106], v[111:112], v[109:110]
	v_div_fmas_f64 v[105:106], v[105:106], v[107:108], v[111:112]
	v_div_fixup_f64 v[105:106], v[105:106], v[121:122], v[123:124]
	v_fma_f64 v[107:108], v[123:124], v[105:106], v[121:122]
	v_div_scale_f64 v[109:110], s[20:21], v[107:108], v[107:108], 1.0
	s_waitcnt vmcnt(0)
	v_div_scale_f64 v[119:120], vcc, 1.0, v[107:108], 1.0
	v_rcp_f64_e32 v[111:112], v[109:110]
	v_fma_f64 v[117:118], -v[109:110], v[111:112], 1.0
	v_fma_f64 v[111:112], v[111:112], v[117:118], v[111:112]
	v_fma_f64 v[117:118], -v[109:110], v[111:112], 1.0
	v_fma_f64 v[111:112], v[111:112], v[117:118], v[111:112]
	v_mul_f64 v[117:118], v[119:120], v[111:112]
	v_fma_f64 v[109:110], -v[109:110], v[117:118], v[119:120]
	buffer_load_dword v119, off, s[24:27], 0 offset:208 ; 4-byte Folded Reload
	buffer_load_dword v120, off, s[24:27], 0 offset:212 ; 4-byte Folded Reload
	v_div_fmas_f64 v[109:110], v[109:110], v[111:112], v[117:118]
	v_div_fixup_f64 v[121:122], v[109:110], v[107:108], 1.0
	v_mul_f64 v[123:124], v[105:106], -v[121:122]
.LBB76_30:
	s_or_b64 exec, exec, s[18:19]
	v_mov_b32_e32 v99, v104
.LBB76_31:
	s_or_b64 exec, exec, s[0:1]
	v_cmp_ne_u32_e32 vcc, v100, v101
	s_and_saveexec_b64 s[0:1], vcc
	s_xor_b64 s[0:1], exec, s[0:1]
	s_cbranch_execz .LBB76_37
; %bb.32:
	v_cmp_eq_u32_e32 vcc, 1, v100
	s_and_saveexec_b64 s[18:19], vcc
	s_cbranch_execz .LBB76_36
; %bb.33:
	v_cmp_ne_u32_e32 vcc, 1, v101
	s_xor_b64 s[20:21], s[6:7], -1
	s_and_b64 s[22:23], s[20:21], vcc
	s_and_saveexec_b64 s[20:21], s[22:23]
	s_cbranch_execz .LBB76_35
; %bb.34:
	v_ashrrev_i32_e32 v102, 31, v101
	v_lshlrev_b64 v[104:105], 2, v[101:102]
	s_waitcnt vmcnt(1)
	v_add_co_u32_e32 v104, vcc, v119, v104
	s_waitcnt vmcnt(0)
	v_addc_co_u32_e32 v105, vcc, v120, v105, vcc
	global_load_dword v0, v[104:105], off
	global_load_dword v100, v[119:120], off offset:4
	s_waitcnt vmcnt(1)
	global_store_dword v[119:120], v0, off offset:4
	s_waitcnt vmcnt(1)
	global_store_dword v[104:105], v100, off
.LBB76_35:
	s_or_b64 exec, exec, s[20:21]
	v_mov_b32_e32 v100, v101
	v_mov_b32_e32 v0, v101
.LBB76_36:
	s_or_b64 exec, exec, s[18:19]
.LBB76_37:
	s_andn2_saveexec_b64 s[0:1], s[0:1]
	s_cbranch_execz .LBB76_39
; %bb.38:
	buffer_load_dword v104, off, s[24:27], 0 offset:176 ; 4-byte Folded Reload
	buffer_load_dword v105, off, s[24:27], 0 offset:180 ; 4-byte Folded Reload
	;; [unrolled: 1-line block ×4, first 2 shown]
	v_mov_b32_e32 v100, 1
	s_waitcnt vmcnt(0)
	ds_write2_b64 v98, v[104:105], v[106:107] offset0:4 offset1:5
	buffer_load_dword v104, off, s[24:27], 0 offset:160 ; 4-byte Folded Reload
	buffer_load_dword v105, off, s[24:27], 0 offset:164 ; 4-byte Folded Reload
	buffer_load_dword v106, off, s[24:27], 0 offset:168 ; 4-byte Folded Reload
	buffer_load_dword v107, off, s[24:27], 0 offset:172 ; 4-byte Folded Reload
	s_waitcnt vmcnt(0)
	ds_write2_b64 v98, v[104:105], v[106:107] offset0:6 offset1:7
	buffer_load_dword v104, off, s[24:27], 0 offset:144 ; 4-byte Folded Reload
	buffer_load_dword v105, off, s[24:27], 0 offset:148 ; 4-byte Folded Reload
	buffer_load_dword v106, off, s[24:27], 0 offset:152 ; 4-byte Folded Reload
	buffer_load_dword v107, off, s[24:27], 0 offset:156 ; 4-byte Folded Reload
	s_waitcnt vmcnt(0)
	ds_write2_b64 v98, v[104:105], v[106:107] offset0:8 offset1:9
	buffer_load_dword v104, off, s[24:27], 0 offset:128 ; 4-byte Folded Reload
	buffer_load_dword v105, off, s[24:27], 0 offset:132 ; 4-byte Folded Reload
	buffer_load_dword v106, off, s[24:27], 0 offset:136 ; 4-byte Folded Reload
	buffer_load_dword v107, off, s[24:27], 0 offset:140 ; 4-byte Folded Reload
	s_waitcnt vmcnt(0)
	ds_write2_b64 v98, v[104:105], v[106:107] offset0:10 offset1:11
	buffer_load_dword v104, off, s[24:27], 0 offset:112 ; 4-byte Folded Reload
	buffer_load_dword v105, off, s[24:27], 0 offset:116 ; 4-byte Folded Reload
	buffer_load_dword v106, off, s[24:27], 0 offset:120 ; 4-byte Folded Reload
	buffer_load_dword v107, off, s[24:27], 0 offset:124 ; 4-byte Folded Reload
	s_waitcnt vmcnt(0)
	ds_write2_b64 v98, v[104:105], v[106:107] offset0:12 offset1:13
	buffer_load_dword v104, off, s[24:27], 0 offset:96 ; 4-byte Folded Reload
	buffer_load_dword v105, off, s[24:27], 0 offset:100 ; 4-byte Folded Reload
	buffer_load_dword v106, off, s[24:27], 0 offset:104 ; 4-byte Folded Reload
	buffer_load_dword v107, off, s[24:27], 0 offset:108 ; 4-byte Folded Reload
	s_waitcnt vmcnt(0)
	ds_write2_b64 v98, v[104:105], v[106:107] offset0:14 offset1:15
	buffer_load_dword v104, off, s[24:27], 0 offset:80 ; 4-byte Folded Reload
	buffer_load_dword v105, off, s[24:27], 0 offset:84 ; 4-byte Folded Reload
	buffer_load_dword v106, off, s[24:27], 0 offset:88 ; 4-byte Folded Reload
	buffer_load_dword v107, off, s[24:27], 0 offset:92 ; 4-byte Folded Reload
	s_waitcnt vmcnt(0)
	ds_write2_b64 v98, v[104:105], v[106:107] offset0:16 offset1:17
	buffer_load_dword v104, off, s[24:27], 0 offset:64 ; 4-byte Folded Reload
	buffer_load_dword v105, off, s[24:27], 0 offset:68 ; 4-byte Folded Reload
	buffer_load_dword v106, off, s[24:27], 0 offset:72 ; 4-byte Folded Reload
	buffer_load_dword v107, off, s[24:27], 0 offset:76 ; 4-byte Folded Reload
	s_waitcnt vmcnt(0)
	ds_write2_b64 v98, v[104:105], v[106:107] offset0:18 offset1:19
	buffer_load_dword v104, off, s[24:27], 0 offset:48 ; 4-byte Folded Reload
	buffer_load_dword v105, off, s[24:27], 0 offset:52 ; 4-byte Folded Reload
	buffer_load_dword v106, off, s[24:27], 0 offset:56 ; 4-byte Folded Reload
	buffer_load_dword v107, off, s[24:27], 0 offset:60 ; 4-byte Folded Reload
	s_waitcnt vmcnt(0)
	ds_write2_b64 v98, v[104:105], v[106:107] offset0:20 offset1:21
	buffer_load_dword v104, off, s[24:27], 0 offset:32 ; 4-byte Folded Reload
	buffer_load_dword v105, off, s[24:27], 0 offset:36 ; 4-byte Folded Reload
	buffer_load_dword v106, off, s[24:27], 0 offset:40 ; 4-byte Folded Reload
	buffer_load_dword v107, off, s[24:27], 0 offset:44 ; 4-byte Folded Reload
	s_waitcnt vmcnt(0)
	ds_write2_b64 v98, v[104:105], v[106:107] offset0:22 offset1:23
	buffer_load_dword v104, off, s[24:27], 0 offset:16 ; 4-byte Folded Reload
	buffer_load_dword v105, off, s[24:27], 0 offset:20 ; 4-byte Folded Reload
	buffer_load_dword v106, off, s[24:27], 0 offset:24 ; 4-byte Folded Reload
	buffer_load_dword v107, off, s[24:27], 0 offset:28 ; 4-byte Folded Reload
	s_waitcnt vmcnt(0)
	ds_write2_b64 v98, v[104:105], v[106:107] offset0:24 offset1:25
	buffer_load_dword v104, off, s[24:27], 0 ; 4-byte Folded Reload
	buffer_load_dword v105, off, s[24:27], 0 offset:4 ; 4-byte Folded Reload
	buffer_load_dword v106, off, s[24:27], 0 offset:8 ; 4-byte Folded Reload
	;; [unrolled: 1-line block ×3, first 2 shown]
	s_waitcnt vmcnt(0)
	ds_write2_b64 v98, v[104:105], v[106:107] offset0:26 offset1:27
	ds_write2_b64 v98, v[93:94], v[95:96] offset0:28 offset1:29
	;; [unrolled: 1-line block ×26, first 2 shown]
.LBB76_39:
	s_or_b64 exec, exec, s[0:1]
	v_cmp_lt_i32_e32 vcc, 1, v100
	s_waitcnt vmcnt(0) lgkmcnt(0)
	s_barrier
	s_and_saveexec_b64 s[0:1], vcc
	s_cbranch_execz .LBB76_41
; %bb.40:
	buffer_load_dword v108, off, s[24:27], 0 offset:192 ; 4-byte Folded Reload
	buffer_load_dword v109, off, s[24:27], 0 offset:196 ; 4-byte Folded Reload
	;; [unrolled: 1-line block ×4, first 2 shown]
	ds_read2_b64 v[104:107], v98 offset0:4 offset1:5
	s_waitcnt vmcnt(0)
	v_mul_f64 v[101:102], v[123:124], v[110:111]
	v_fma_f64 v[125:126], v[121:122], v[108:109], -v[101:102]
	v_mul_f64 v[101:102], v[121:122], v[110:111]
	v_fma_f64 v[110:111], v[123:124], v[108:109], v[101:102]
	s_waitcnt lgkmcnt(0)
	v_mul_f64 v[101:102], v[106:107], v[110:111]
	v_fma_f64 v[101:102], v[104:105], v[125:126], -v[101:102]
	v_mul_f64 v[104:105], v[104:105], v[110:111]
	v_fma_f64 v[104:105], v[106:107], v[125:126], v[104:105]
	buffer_load_dword v106, off, s[24:27], 0 offset:176 ; 4-byte Folded Reload
	buffer_load_dword v107, off, s[24:27], 0 offset:180 ; 4-byte Folded Reload
	buffer_load_dword v108, off, s[24:27], 0 offset:184 ; 4-byte Folded Reload
	buffer_load_dword v109, off, s[24:27], 0 offset:188 ; 4-byte Folded Reload
	s_waitcnt vmcnt(2)
	v_add_f64 v[106:107], v[106:107], -v[101:102]
	s_waitcnt vmcnt(0)
	v_add_f64 v[108:109], v[108:109], -v[104:105]
	buffer_store_dword v106, off, s[24:27], 0 offset:176 ; 4-byte Folded Spill
	s_nop 0
	buffer_store_dword v107, off, s[24:27], 0 offset:180 ; 4-byte Folded Spill
	buffer_store_dword v108, off, s[24:27], 0 offset:184 ; 4-byte Folded Spill
	buffer_store_dword v109, off, s[24:27], 0 offset:188 ; 4-byte Folded Spill
	ds_read2_b64 v[104:107], v98 offset0:6 offset1:7
	s_waitcnt lgkmcnt(0)
	v_mul_f64 v[101:102], v[106:107], v[110:111]
	v_fma_f64 v[101:102], v[104:105], v[125:126], -v[101:102]
	v_mul_f64 v[104:105], v[104:105], v[110:111]
	v_fma_f64 v[104:105], v[106:107], v[125:126], v[104:105]
	buffer_load_dword v106, off, s[24:27], 0 offset:160 ; 4-byte Folded Reload
	buffer_load_dword v107, off, s[24:27], 0 offset:164 ; 4-byte Folded Reload
	buffer_load_dword v108, off, s[24:27], 0 offset:168 ; 4-byte Folded Reload
	buffer_load_dword v109, off, s[24:27], 0 offset:172 ; 4-byte Folded Reload
	s_waitcnt vmcnt(2)
	v_add_f64 v[106:107], v[106:107], -v[101:102]
	s_waitcnt vmcnt(0)
	v_add_f64 v[108:109], v[108:109], -v[104:105]
	buffer_store_dword v106, off, s[24:27], 0 offset:160 ; 4-byte Folded Spill
	s_nop 0
	buffer_store_dword v107, off, s[24:27], 0 offset:164 ; 4-byte Folded Spill
	buffer_store_dword v108, off, s[24:27], 0 offset:168 ; 4-byte Folded Spill
	buffer_store_dword v109, off, s[24:27], 0 offset:172 ; 4-byte Folded Spill
	ds_read2_b64 v[104:107], v98 offset0:8 offset1:9
	;; [unrolled: 19-line block ×11, first 2 shown]
	s_waitcnt lgkmcnt(0)
	v_mul_f64 v[101:102], v[106:107], v[110:111]
	v_fma_f64 v[101:102], v[104:105], v[125:126], -v[101:102]
	v_mul_f64 v[104:105], v[104:105], v[110:111]
	v_fma_f64 v[104:105], v[106:107], v[125:126], v[104:105]
	buffer_load_dword v106, off, s[24:27], 0 ; 4-byte Folded Reload
	buffer_load_dword v107, off, s[24:27], 0 offset:4 ; 4-byte Folded Reload
	buffer_load_dword v108, off, s[24:27], 0 offset:8 ; 4-byte Folded Reload
	;; [unrolled: 1-line block ×3, first 2 shown]
	s_waitcnt vmcnt(2)
	v_add_f64 v[106:107], v[106:107], -v[101:102]
	s_waitcnt vmcnt(0)
	v_add_f64 v[108:109], v[108:109], -v[104:105]
	buffer_store_dword v106, off, s[24:27], 0 ; 4-byte Folded Spill
	s_nop 0
	buffer_store_dword v107, off, s[24:27], 0 offset:4 ; 4-byte Folded Spill
	buffer_store_dword v108, off, s[24:27], 0 offset:8 ; 4-byte Folded Spill
	;; [unrolled: 1-line block ×3, first 2 shown]
	ds_read2_b64 v[104:107], v98 offset0:28 offset1:29
	v_mov_b32_e32 v108, v125
	v_mov_b32_e32 v109, v126
	s_waitcnt lgkmcnt(0)
	v_mul_f64 v[101:102], v[106:107], v[110:111]
	v_fma_f64 v[101:102], v[104:105], v[125:126], -v[101:102]
	v_mul_f64 v[104:105], v[104:105], v[110:111]
	v_add_f64 v[93:94], v[93:94], -v[101:102]
	v_fma_f64 v[104:105], v[106:107], v[125:126], v[104:105]
	v_add_f64 v[95:96], v[95:96], -v[104:105]
	ds_read2_b64 v[104:107], v98 offset0:30 offset1:31
	s_waitcnt lgkmcnt(0)
	v_mul_f64 v[101:102], v[106:107], v[110:111]
	v_fma_f64 v[101:102], v[104:105], v[125:126], -v[101:102]
	v_mul_f64 v[104:105], v[104:105], v[110:111]
	v_add_f64 v[89:90], v[89:90], -v[101:102]
	v_fma_f64 v[104:105], v[106:107], v[125:126], v[104:105]
	v_add_f64 v[91:92], v[91:92], -v[104:105]
	ds_read2_b64 v[104:107], v98 offset0:32 offset1:33
	;; [unrolled: 8-line block ×24, first 2 shown]
	s_waitcnt lgkmcnt(0)
	v_mul_f64 v[101:102], v[106:107], v[110:111]
	v_fma_f64 v[101:102], v[104:105], v[125:126], -v[101:102]
	v_mul_f64 v[104:105], v[104:105], v[110:111]
	buffer_store_dword v108, off, s[24:27], 0 offset:192 ; 4-byte Folded Spill
	s_nop 0
	buffer_store_dword v109, off, s[24:27], 0 offset:196 ; 4-byte Folded Spill
	buffer_store_dword v110, off, s[24:27], 0 offset:200 ; 4-byte Folded Spill
	;; [unrolled: 1-line block ×3, first 2 shown]
	v_add_f64 v[113:114], v[113:114], -v[101:102]
	v_fma_f64 v[104:105], v[106:107], v[125:126], v[104:105]
	v_add_f64 v[115:116], v[115:116], -v[104:105]
.LBB76_41:
	s_or_b64 exec, exec, s[0:1]
	s_waitcnt vmcnt(0)
	s_barrier
	buffer_load_dword v104, off, s[24:27], 0 offset:176 ; 4-byte Folded Reload
	buffer_load_dword v105, off, s[24:27], 0 offset:180 ; 4-byte Folded Reload
	;; [unrolled: 1-line block ×4, first 2 shown]
	v_lshl_add_u32 v101, v100, 4, v98
	s_cmp_lt_i32 s3, 4
	s_waitcnt vmcnt(0)
	ds_write2_b64 v101, v[104:105], v[106:107] offset1:1
	s_waitcnt lgkmcnt(0)
	s_barrier
	ds_read2_b64 v[121:124], v98 offset0:4 offset1:5
	v_mov_b32_e32 v101, 2
	s_cbranch_scc1 .LBB76_44
; %bb.42:
	v_add3_u32 v102, v103, 0, 48
	s_mov_b32 s0, 3
	v_mov_b32_e32 v101, 2
.LBB76_43:                              ; =>This Inner Loop Header: Depth=1
	s_waitcnt lgkmcnt(0)
	v_cmp_gt_f64_e32 vcc, 0, v[121:122]
	v_xor_b32_e32 v108, 0x80000000, v122
	ds_read2_b64 v[104:107], v102 offset1:1
	v_xor_b32_e32 v110, 0x80000000, v124
	v_add_u32_e32 v102, 16, v102
	s_waitcnt lgkmcnt(0)
	v_xor_b32_e32 v112, 0x80000000, v107
	v_cndmask_b32_e32 v109, v122, v108, vcc
	v_cmp_gt_f64_e32 vcc, 0, v[123:124]
	v_mov_b32_e32 v108, v121
	v_mov_b32_e32 v117, v106
	v_cndmask_b32_e32 v111, v124, v110, vcc
	v_cmp_gt_f64_e32 vcc, 0, v[104:105]
	v_mov_b32_e32 v110, v123
	v_add_f64 v[108:109], v[108:109], v[110:111]
	v_xor_b32_e32 v110, 0x80000000, v105
	v_cndmask_b32_e32 v111, v105, v110, vcc
	v_cmp_gt_f64_e32 vcc, 0, v[106:107]
	v_mov_b32_e32 v110, v104
	v_cndmask_b32_e32 v118, v107, v112, vcc
	v_add_f64 v[110:111], v[110:111], v[117:118]
	v_cmp_lt_f64_e32 vcc, v[108:109], v[110:111]
	v_cndmask_b32_e32 v121, v121, v104, vcc
	v_mov_b32_e32 v104, s0
	s_add_i32 s0, s0, 1
	v_cndmask_b32_e32 v122, v122, v105, vcc
	v_cndmask_b32_e32 v124, v124, v107, vcc
	;; [unrolled: 1-line block ×4, first 2 shown]
	s_cmp_lg_u32 s3, s0
	s_cbranch_scc1 .LBB76_43
.LBB76_44:
	s_waitcnt lgkmcnt(0)
	v_cmp_eq_f64_e32 vcc, 0, v[121:122]
	v_cmp_eq_f64_e64 s[0:1], 0, v[123:124]
	s_and_b64 s[0:1], vcc, s[0:1]
	s_and_saveexec_b64 s[18:19], s[0:1]
	s_xor_b64 s[0:1], exec, s[18:19]
; %bb.45:
	v_cmp_ne_u32_e32 vcc, 0, v99
	v_cndmask_b32_e32 v99, 3, v99, vcc
; %bb.46:
	s_andn2_saveexec_b64 s[0:1], s[0:1]
	s_cbranch_execz .LBB76_52
; %bb.47:
	v_cmp_ngt_f64_e64 s[18:19], |v[121:122]|, |v[123:124]|
	s_and_saveexec_b64 s[20:21], s[18:19]
	s_xor_b64 s[18:19], exec, s[20:21]
	s_cbranch_execz .LBB76_49
; %bb.48:
	v_div_scale_f64 v[104:105], s[20:21], v[123:124], v[123:124], v[121:122]
	v_rcp_f64_e32 v[106:107], v[104:105]
	v_fma_f64 v[108:109], -v[104:105], v[106:107], 1.0
	v_fma_f64 v[106:107], v[106:107], v[108:109], v[106:107]
	v_div_scale_f64 v[108:109], vcc, v[121:122], v[123:124], v[121:122]
	v_fma_f64 v[110:111], -v[104:105], v[106:107], 1.0
	v_fma_f64 v[106:107], v[106:107], v[110:111], v[106:107]
	v_mul_f64 v[110:111], v[108:109], v[106:107]
	v_fma_f64 v[104:105], -v[104:105], v[110:111], v[108:109]
	v_div_fmas_f64 v[104:105], v[104:105], v[106:107], v[110:111]
	v_div_fixup_f64 v[104:105], v[104:105], v[123:124], v[121:122]
	v_fma_f64 v[106:107], v[121:122], v[104:105], v[123:124]
	v_div_scale_f64 v[108:109], s[20:21], v[106:107], v[106:107], 1.0
	v_div_scale_f64 v[119:120], vcc, 1.0, v[106:107], 1.0
	v_rcp_f64_e32 v[110:111], v[108:109]
	v_fma_f64 v[117:118], -v[108:109], v[110:111], 1.0
	v_fma_f64 v[110:111], v[110:111], v[117:118], v[110:111]
	v_fma_f64 v[117:118], -v[108:109], v[110:111], 1.0
	v_fma_f64 v[110:111], v[110:111], v[117:118], v[110:111]
	v_mul_f64 v[117:118], v[119:120], v[110:111]
	v_fma_f64 v[108:109], -v[108:109], v[117:118], v[119:120]
	buffer_load_dword v119, off, s[24:27], 0 offset:208 ; 4-byte Folded Reload
	buffer_load_dword v120, off, s[24:27], 0 offset:212 ; 4-byte Folded Reload
	v_div_fmas_f64 v[108:109], v[108:109], v[110:111], v[117:118]
	v_div_fixup_f64 v[123:124], v[108:109], v[106:107], 1.0
	v_mul_f64 v[121:122], v[104:105], v[123:124]
	v_xor_b32_e32 v124, 0x80000000, v124
.LBB76_49:
	s_andn2_saveexec_b64 s[18:19], s[18:19]
	s_cbranch_execz .LBB76_51
; %bb.50:
	v_div_scale_f64 v[104:105], s[20:21], v[121:122], v[121:122], v[123:124]
	v_rcp_f64_e32 v[106:107], v[104:105]
	v_fma_f64 v[108:109], -v[104:105], v[106:107], 1.0
	v_fma_f64 v[106:107], v[106:107], v[108:109], v[106:107]
	v_div_scale_f64 v[108:109], vcc, v[123:124], v[121:122], v[123:124]
	v_fma_f64 v[110:111], -v[104:105], v[106:107], 1.0
	v_fma_f64 v[106:107], v[106:107], v[110:111], v[106:107]
	v_mul_f64 v[110:111], v[108:109], v[106:107]
	v_fma_f64 v[104:105], -v[104:105], v[110:111], v[108:109]
	v_div_fmas_f64 v[104:105], v[104:105], v[106:107], v[110:111]
	v_div_fixup_f64 v[104:105], v[104:105], v[121:122], v[123:124]
	v_fma_f64 v[106:107], v[123:124], v[104:105], v[121:122]
	v_div_scale_f64 v[108:109], s[20:21], v[106:107], v[106:107], 1.0
	s_waitcnt vmcnt(0)
	v_div_scale_f64 v[119:120], vcc, 1.0, v[106:107], 1.0
	v_rcp_f64_e32 v[110:111], v[108:109]
	v_fma_f64 v[117:118], -v[108:109], v[110:111], 1.0
	v_fma_f64 v[110:111], v[110:111], v[117:118], v[110:111]
	v_fma_f64 v[117:118], -v[108:109], v[110:111], 1.0
	v_fma_f64 v[110:111], v[110:111], v[117:118], v[110:111]
	v_mul_f64 v[117:118], v[119:120], v[110:111]
	v_fma_f64 v[108:109], -v[108:109], v[117:118], v[119:120]
	buffer_load_dword v119, off, s[24:27], 0 offset:208 ; 4-byte Folded Reload
	buffer_load_dword v120, off, s[24:27], 0 offset:212 ; 4-byte Folded Reload
	v_div_fmas_f64 v[108:109], v[108:109], v[110:111], v[117:118]
	v_div_fixup_f64 v[121:122], v[108:109], v[106:107], 1.0
	v_mul_f64 v[123:124], v[104:105], -v[121:122]
.LBB76_51:
	s_or_b64 exec, exec, s[18:19]
.LBB76_52:
	s_or_b64 exec, exec, s[0:1]
	v_cmp_ne_u32_e32 vcc, v100, v101
	s_and_saveexec_b64 s[0:1], vcc
	s_xor_b64 s[0:1], exec, s[0:1]
	s_cbranch_execz .LBB76_58
; %bb.53:
	v_cmp_eq_u32_e32 vcc, 2, v100
	s_and_saveexec_b64 s[18:19], vcc
	s_cbranch_execz .LBB76_57
; %bb.54:
	v_cmp_ne_u32_e32 vcc, 2, v101
	s_xor_b64 s[20:21], s[6:7], -1
	s_and_b64 s[22:23], s[20:21], vcc
	s_and_saveexec_b64 s[20:21], s[22:23]
	s_cbranch_execz .LBB76_56
; %bb.55:
	v_ashrrev_i32_e32 v102, 31, v101
	v_lshlrev_b64 v[104:105], 2, v[101:102]
	s_waitcnt vmcnt(1)
	v_add_co_u32_e32 v104, vcc, v119, v104
	s_waitcnt vmcnt(0)
	v_addc_co_u32_e32 v105, vcc, v120, v105, vcc
	global_load_dword v0, v[104:105], off
	global_load_dword v100, v[119:120], off offset:8
	s_waitcnt vmcnt(1)
	global_store_dword v[119:120], v0, off offset:8
	s_waitcnt vmcnt(1)
	global_store_dword v[104:105], v100, off
.LBB76_56:
	s_or_b64 exec, exec, s[20:21]
	v_mov_b32_e32 v100, v101
	v_mov_b32_e32 v0, v101
.LBB76_57:
	s_or_b64 exec, exec, s[18:19]
.LBB76_58:
	s_andn2_saveexec_b64 s[0:1], s[0:1]
	s_cbranch_execz .LBB76_60
; %bb.59:
	buffer_load_dword v104, off, s[24:27], 0 offset:160 ; 4-byte Folded Reload
	buffer_load_dword v105, off, s[24:27], 0 offset:164 ; 4-byte Folded Reload
	;; [unrolled: 1-line block ×4, first 2 shown]
	v_mov_b32_e32 v100, 2
	s_waitcnt vmcnt(0)
	ds_write2_b64 v98, v[104:105], v[106:107] offset0:6 offset1:7
	buffer_load_dword v104, off, s[24:27], 0 offset:144 ; 4-byte Folded Reload
	buffer_load_dword v105, off, s[24:27], 0 offset:148 ; 4-byte Folded Reload
	buffer_load_dword v106, off, s[24:27], 0 offset:152 ; 4-byte Folded Reload
	buffer_load_dword v107, off, s[24:27], 0 offset:156 ; 4-byte Folded Reload
	s_waitcnt vmcnt(0)
	ds_write2_b64 v98, v[104:105], v[106:107] offset0:8 offset1:9
	buffer_load_dword v104, off, s[24:27], 0 offset:128 ; 4-byte Folded Reload
	buffer_load_dword v105, off, s[24:27], 0 offset:132 ; 4-byte Folded Reload
	buffer_load_dword v106, off, s[24:27], 0 offset:136 ; 4-byte Folded Reload
	buffer_load_dword v107, off, s[24:27], 0 offset:140 ; 4-byte Folded Reload
	;; [unrolled: 6-line block ×9, first 2 shown]
	s_waitcnt vmcnt(0)
	ds_write2_b64 v98, v[104:105], v[106:107] offset0:24 offset1:25
	buffer_load_dword v104, off, s[24:27], 0 ; 4-byte Folded Reload
	buffer_load_dword v105, off, s[24:27], 0 offset:4 ; 4-byte Folded Reload
	buffer_load_dword v106, off, s[24:27], 0 offset:8 ; 4-byte Folded Reload
	;; [unrolled: 1-line block ×3, first 2 shown]
	s_waitcnt vmcnt(0)
	ds_write2_b64 v98, v[104:105], v[106:107] offset0:26 offset1:27
	ds_write2_b64 v98, v[93:94], v[95:96] offset0:28 offset1:29
	;; [unrolled: 1-line block ×26, first 2 shown]
.LBB76_60:
	s_or_b64 exec, exec, s[0:1]
	v_cmp_lt_i32_e32 vcc, 2, v100
	s_waitcnt vmcnt(0) lgkmcnt(0)
	s_barrier
	s_and_saveexec_b64 s[0:1], vcc
	s_cbranch_execz .LBB76_62
; %bb.61:
	buffer_load_dword v108, off, s[24:27], 0 offset:176 ; 4-byte Folded Reload
	buffer_load_dword v109, off, s[24:27], 0 offset:180 ; 4-byte Folded Reload
	;; [unrolled: 1-line block ×4, first 2 shown]
	ds_read2_b64 v[104:107], v98 offset0:6 offset1:7
	s_waitcnt vmcnt(0)
	v_mul_f64 v[101:102], v[123:124], v[110:111]
	v_fma_f64 v[125:126], v[121:122], v[108:109], -v[101:102]
	v_mul_f64 v[101:102], v[121:122], v[110:111]
	v_fma_f64 v[110:111], v[123:124], v[108:109], v[101:102]
	s_waitcnt lgkmcnt(0)
	v_mul_f64 v[101:102], v[106:107], v[110:111]
	v_fma_f64 v[101:102], v[104:105], v[125:126], -v[101:102]
	v_mul_f64 v[104:105], v[104:105], v[110:111]
	v_fma_f64 v[104:105], v[106:107], v[125:126], v[104:105]
	buffer_load_dword v106, off, s[24:27], 0 offset:160 ; 4-byte Folded Reload
	buffer_load_dword v107, off, s[24:27], 0 offset:164 ; 4-byte Folded Reload
	buffer_load_dword v108, off, s[24:27], 0 offset:168 ; 4-byte Folded Reload
	buffer_load_dword v109, off, s[24:27], 0 offset:172 ; 4-byte Folded Reload
	s_waitcnt vmcnt(2)
	v_add_f64 v[106:107], v[106:107], -v[101:102]
	s_waitcnt vmcnt(0)
	v_add_f64 v[108:109], v[108:109], -v[104:105]
	buffer_store_dword v106, off, s[24:27], 0 offset:160 ; 4-byte Folded Spill
	s_nop 0
	buffer_store_dword v107, off, s[24:27], 0 offset:164 ; 4-byte Folded Spill
	buffer_store_dword v108, off, s[24:27], 0 offset:168 ; 4-byte Folded Spill
	buffer_store_dword v109, off, s[24:27], 0 offset:172 ; 4-byte Folded Spill
	ds_read2_b64 v[104:107], v98 offset0:8 offset1:9
	s_waitcnt lgkmcnt(0)
	v_mul_f64 v[101:102], v[106:107], v[110:111]
	v_fma_f64 v[101:102], v[104:105], v[125:126], -v[101:102]
	v_mul_f64 v[104:105], v[104:105], v[110:111]
	v_fma_f64 v[104:105], v[106:107], v[125:126], v[104:105]
	buffer_load_dword v106, off, s[24:27], 0 offset:144 ; 4-byte Folded Reload
	buffer_load_dword v107, off, s[24:27], 0 offset:148 ; 4-byte Folded Reload
	buffer_load_dword v108, off, s[24:27], 0 offset:152 ; 4-byte Folded Reload
	buffer_load_dword v109, off, s[24:27], 0 offset:156 ; 4-byte Folded Reload
	s_waitcnt vmcnt(2)
	v_add_f64 v[106:107], v[106:107], -v[101:102]
	s_waitcnt vmcnt(0)
	v_add_f64 v[108:109], v[108:109], -v[104:105]
	buffer_store_dword v106, off, s[24:27], 0 offset:144 ; 4-byte Folded Spill
	s_nop 0
	buffer_store_dword v107, off, s[24:27], 0 offset:148 ; 4-byte Folded Spill
	buffer_store_dword v108, off, s[24:27], 0 offset:152 ; 4-byte Folded Spill
	buffer_store_dword v109, off, s[24:27], 0 offset:156 ; 4-byte Folded Spill
	ds_read2_b64 v[104:107], v98 offset0:10 offset1:11
	;; [unrolled: 19-line block ×10, first 2 shown]
	s_waitcnt lgkmcnt(0)
	v_mul_f64 v[101:102], v[106:107], v[110:111]
	v_fma_f64 v[101:102], v[104:105], v[125:126], -v[101:102]
	v_mul_f64 v[104:105], v[104:105], v[110:111]
	v_fma_f64 v[104:105], v[106:107], v[125:126], v[104:105]
	buffer_load_dword v106, off, s[24:27], 0 ; 4-byte Folded Reload
	buffer_load_dword v107, off, s[24:27], 0 offset:4 ; 4-byte Folded Reload
	buffer_load_dword v108, off, s[24:27], 0 offset:8 ; 4-byte Folded Reload
	;; [unrolled: 1-line block ×3, first 2 shown]
	s_waitcnt vmcnt(2)
	v_add_f64 v[106:107], v[106:107], -v[101:102]
	s_waitcnt vmcnt(0)
	v_add_f64 v[108:109], v[108:109], -v[104:105]
	buffer_store_dword v106, off, s[24:27], 0 ; 4-byte Folded Spill
	s_nop 0
	buffer_store_dword v107, off, s[24:27], 0 offset:4 ; 4-byte Folded Spill
	buffer_store_dword v108, off, s[24:27], 0 offset:8 ; 4-byte Folded Spill
	;; [unrolled: 1-line block ×3, first 2 shown]
	ds_read2_b64 v[104:107], v98 offset0:28 offset1:29
	v_mov_b32_e32 v108, v125
	v_mov_b32_e32 v109, v126
	s_waitcnt lgkmcnt(0)
	v_mul_f64 v[101:102], v[106:107], v[110:111]
	v_fma_f64 v[101:102], v[104:105], v[125:126], -v[101:102]
	v_mul_f64 v[104:105], v[104:105], v[110:111]
	v_add_f64 v[93:94], v[93:94], -v[101:102]
	v_fma_f64 v[104:105], v[106:107], v[125:126], v[104:105]
	v_add_f64 v[95:96], v[95:96], -v[104:105]
	ds_read2_b64 v[104:107], v98 offset0:30 offset1:31
	s_waitcnt lgkmcnt(0)
	v_mul_f64 v[101:102], v[106:107], v[110:111]
	v_fma_f64 v[101:102], v[104:105], v[125:126], -v[101:102]
	v_mul_f64 v[104:105], v[104:105], v[110:111]
	v_add_f64 v[89:90], v[89:90], -v[101:102]
	v_fma_f64 v[104:105], v[106:107], v[125:126], v[104:105]
	v_add_f64 v[91:92], v[91:92], -v[104:105]
	ds_read2_b64 v[104:107], v98 offset0:32 offset1:33
	;; [unrolled: 8-line block ×24, first 2 shown]
	s_waitcnt lgkmcnt(0)
	v_mul_f64 v[101:102], v[106:107], v[110:111]
	v_fma_f64 v[101:102], v[104:105], v[125:126], -v[101:102]
	v_mul_f64 v[104:105], v[104:105], v[110:111]
	buffer_store_dword v108, off, s[24:27], 0 offset:176 ; 4-byte Folded Spill
	s_nop 0
	buffer_store_dword v109, off, s[24:27], 0 offset:180 ; 4-byte Folded Spill
	buffer_store_dword v110, off, s[24:27], 0 offset:184 ; 4-byte Folded Spill
	;; [unrolled: 1-line block ×3, first 2 shown]
	v_add_f64 v[113:114], v[113:114], -v[101:102]
	v_fma_f64 v[104:105], v[106:107], v[125:126], v[104:105]
	v_add_f64 v[115:116], v[115:116], -v[104:105]
.LBB76_62:
	s_or_b64 exec, exec, s[0:1]
	s_waitcnt vmcnt(0)
	s_barrier
	buffer_load_dword v104, off, s[24:27], 0 offset:160 ; 4-byte Folded Reload
	buffer_load_dword v105, off, s[24:27], 0 offset:164 ; 4-byte Folded Reload
	;; [unrolled: 1-line block ×4, first 2 shown]
	v_lshl_add_u32 v101, v100, 4, v98
	s_mov_b32 s0, 4
	s_cmp_lt_i32 s3, 5
	s_waitcnt vmcnt(0)
	ds_write2_b64 v101, v[104:105], v[106:107] offset1:1
	s_waitcnt lgkmcnt(0)
	s_barrier
	ds_read2_b64 v[121:124], v98 offset0:6 offset1:7
	v_mov_b32_e32 v101, 3
	s_cbranch_scc1 .LBB76_65
; %bb.63:
	v_add3_u32 v102, v103, 0, 64
	v_mov_b32_e32 v101, 3
.LBB76_64:                              ; =>This Inner Loop Header: Depth=1
	s_waitcnt lgkmcnt(0)
	v_cmp_gt_f64_e32 vcc, 0, v[121:122]
	v_xor_b32_e32 v107, 0x80000000, v122
	ds_read2_b64 v[103:106], v102 offset1:1
	v_xor_b32_e32 v109, 0x80000000, v124
	v_add_u32_e32 v102, 16, v102
	s_waitcnt lgkmcnt(0)
	v_xor_b32_e32 v111, 0x80000000, v106
	v_cndmask_b32_e32 v108, v122, v107, vcc
	v_cmp_gt_f64_e32 vcc, 0, v[123:124]
	v_mov_b32_e32 v107, v121
	v_cndmask_b32_e32 v110, v124, v109, vcc
	v_cmp_gt_f64_e32 vcc, 0, v[103:104]
	v_mov_b32_e32 v109, v123
	v_add_f64 v[107:108], v[107:108], v[109:110]
	v_xor_b32_e32 v109, 0x80000000, v104
	v_cndmask_b32_e32 v110, v104, v109, vcc
	v_cmp_gt_f64_e32 vcc, 0, v[105:106]
	v_mov_b32_e32 v109, v103
	v_cndmask_b32_e32 v112, v106, v111, vcc
	v_mov_b32_e32 v111, v105
	v_add_f64 v[109:110], v[109:110], v[111:112]
	v_cmp_lt_f64_e32 vcc, v[107:108], v[109:110]
	v_cndmask_b32_e32 v121, v121, v103, vcc
	v_mov_b32_e32 v103, s0
	s_add_i32 s0, s0, 1
	v_cndmask_b32_e32 v122, v122, v104, vcc
	v_cndmask_b32_e32 v124, v124, v106, vcc
	;; [unrolled: 1-line block ×4, first 2 shown]
	s_cmp_lg_u32 s3, s0
	s_cbranch_scc1 .LBB76_64
.LBB76_65:
	s_waitcnt lgkmcnt(0)
	v_cmp_eq_f64_e32 vcc, 0, v[121:122]
	v_cmp_eq_f64_e64 s[0:1], 0, v[123:124]
	s_and_b64 s[0:1], vcc, s[0:1]
	s_and_saveexec_b64 s[18:19], s[0:1]
	s_xor_b64 s[0:1], exec, s[18:19]
; %bb.66:
	v_cmp_ne_u32_e32 vcc, 0, v99
	v_cndmask_b32_e32 v99, 4, v99, vcc
; %bb.67:
	s_andn2_saveexec_b64 s[0:1], s[0:1]
	s_cbranch_execz .LBB76_73
; %bb.68:
	v_cmp_ngt_f64_e64 s[18:19], |v[121:122]|, |v[123:124]|
	s_and_saveexec_b64 s[20:21], s[18:19]
	s_xor_b64 s[18:19], exec, s[20:21]
	s_cbranch_execz .LBB76_70
; %bb.69:
	v_div_scale_f64 v[102:103], s[20:21], v[123:124], v[123:124], v[121:122]
	v_rcp_f64_e32 v[104:105], v[102:103]
	v_fma_f64 v[106:107], -v[102:103], v[104:105], 1.0
	v_fma_f64 v[104:105], v[104:105], v[106:107], v[104:105]
	v_div_scale_f64 v[106:107], vcc, v[121:122], v[123:124], v[121:122]
	v_fma_f64 v[108:109], -v[102:103], v[104:105], 1.0
	v_fma_f64 v[104:105], v[104:105], v[108:109], v[104:105]
	v_mul_f64 v[108:109], v[106:107], v[104:105]
	v_fma_f64 v[102:103], -v[102:103], v[108:109], v[106:107]
	v_div_fmas_f64 v[102:103], v[102:103], v[104:105], v[108:109]
	v_div_fixup_f64 v[102:103], v[102:103], v[123:124], v[121:122]
	v_fma_f64 v[104:105], v[121:122], v[102:103], v[123:124]
	v_div_scale_f64 v[106:107], s[20:21], v[104:105], v[104:105], 1.0
	v_div_scale_f64 v[117:118], vcc, 1.0, v[104:105], 1.0
	v_rcp_f64_e32 v[108:109], v[106:107]
	v_fma_f64 v[110:111], -v[106:107], v[108:109], 1.0
	v_fma_f64 v[108:109], v[108:109], v[110:111], v[108:109]
	v_fma_f64 v[110:111], -v[106:107], v[108:109], 1.0
	v_fma_f64 v[108:109], v[108:109], v[110:111], v[108:109]
	v_mul_f64 v[110:111], v[117:118], v[108:109]
	v_fma_f64 v[106:107], -v[106:107], v[110:111], v[117:118]
	v_div_fmas_f64 v[106:107], v[106:107], v[108:109], v[110:111]
	v_div_fixup_f64 v[123:124], v[106:107], v[104:105], 1.0
	v_mul_f64 v[121:122], v[102:103], v[123:124]
	v_xor_b32_e32 v124, 0x80000000, v124
.LBB76_70:
	s_andn2_saveexec_b64 s[18:19], s[18:19]
	s_cbranch_execz .LBB76_72
; %bb.71:
	v_div_scale_f64 v[102:103], s[20:21], v[121:122], v[121:122], v[123:124]
	v_rcp_f64_e32 v[104:105], v[102:103]
	v_fma_f64 v[106:107], -v[102:103], v[104:105], 1.0
	v_fma_f64 v[104:105], v[104:105], v[106:107], v[104:105]
	v_div_scale_f64 v[106:107], vcc, v[123:124], v[121:122], v[123:124]
	v_fma_f64 v[108:109], -v[102:103], v[104:105], 1.0
	v_fma_f64 v[104:105], v[104:105], v[108:109], v[104:105]
	v_mul_f64 v[108:109], v[106:107], v[104:105]
	v_fma_f64 v[102:103], -v[102:103], v[108:109], v[106:107]
	v_div_fmas_f64 v[102:103], v[102:103], v[104:105], v[108:109]
	v_div_fixup_f64 v[102:103], v[102:103], v[121:122], v[123:124]
	v_fma_f64 v[104:105], v[123:124], v[102:103], v[121:122]
	v_div_scale_f64 v[106:107], s[20:21], v[104:105], v[104:105], 1.0
	v_div_scale_f64 v[117:118], vcc, 1.0, v[104:105], 1.0
	v_rcp_f64_e32 v[108:109], v[106:107]
	v_fma_f64 v[110:111], -v[106:107], v[108:109], 1.0
	v_fma_f64 v[108:109], v[108:109], v[110:111], v[108:109]
	v_fma_f64 v[110:111], -v[106:107], v[108:109], 1.0
	v_fma_f64 v[108:109], v[108:109], v[110:111], v[108:109]
	v_mul_f64 v[110:111], v[117:118], v[108:109]
	v_fma_f64 v[106:107], -v[106:107], v[110:111], v[117:118]
	v_div_fmas_f64 v[106:107], v[106:107], v[108:109], v[110:111]
	v_div_fixup_f64 v[121:122], v[106:107], v[104:105], 1.0
	v_mul_f64 v[123:124], v[102:103], -v[121:122]
.LBB76_72:
	s_or_b64 exec, exec, s[18:19]
.LBB76_73:
	s_or_b64 exec, exec, s[0:1]
	v_cmp_ne_u32_e32 vcc, v100, v101
	s_and_saveexec_b64 s[0:1], vcc
	s_xor_b64 s[0:1], exec, s[0:1]
	s_cbranch_execz .LBB76_79
; %bb.74:
	v_cmp_eq_u32_e32 vcc, 3, v100
	s_and_saveexec_b64 s[18:19], vcc
	s_cbranch_execz .LBB76_78
; %bb.75:
	v_cmp_ne_u32_e32 vcc, 3, v101
	s_xor_b64 s[20:21], s[6:7], -1
	s_and_b64 s[22:23], s[20:21], vcc
	s_and_saveexec_b64 s[20:21], s[22:23]
	s_cbranch_execz .LBB76_77
; %bb.76:
	v_ashrrev_i32_e32 v102, 31, v101
	v_lshlrev_b64 v[102:103], 2, v[101:102]
	v_add_co_u32_e32 v102, vcc, v119, v102
	v_addc_co_u32_e32 v103, vcc, v120, v103, vcc
	global_load_dword v0, v[102:103], off
	global_load_dword v100, v[119:120], off offset:12
	s_waitcnt vmcnt(1)
	global_store_dword v[119:120], v0, off offset:12
	s_waitcnt vmcnt(1)
	global_store_dword v[102:103], v100, off
.LBB76_77:
	s_or_b64 exec, exec, s[20:21]
	v_mov_b32_e32 v100, v101
	v_mov_b32_e32 v0, v101
.LBB76_78:
	s_or_b64 exec, exec, s[18:19]
.LBB76_79:
	s_andn2_saveexec_b64 s[0:1], s[0:1]
	s_cbranch_execz .LBB76_81
; %bb.80:
	buffer_load_dword v100, off, s[24:27], 0 offset:144 ; 4-byte Folded Reload
	buffer_load_dword v101, off, s[24:27], 0 offset:148 ; 4-byte Folded Reload
	buffer_load_dword v102, off, s[24:27], 0 offset:152 ; 4-byte Folded Reload
	buffer_load_dword v103, off, s[24:27], 0 offset:156 ; 4-byte Folded Reload
	s_waitcnt vmcnt(0)
	ds_write2_b64 v98, v[100:101], v[102:103] offset0:8 offset1:9
	buffer_load_dword v100, off, s[24:27], 0 offset:128 ; 4-byte Folded Reload
	buffer_load_dword v101, off, s[24:27], 0 offset:132 ; 4-byte Folded Reload
	buffer_load_dword v102, off, s[24:27], 0 offset:136 ; 4-byte Folded Reload
	buffer_load_dword v103, off, s[24:27], 0 offset:140 ; 4-byte Folded Reload
	s_waitcnt vmcnt(0)
	ds_write2_b64 v98, v[100:101], v[102:103] offset0:10 offset1:11
	;; [unrolled: 6-line block ×9, first 2 shown]
	buffer_load_dword v100, off, s[24:27], 0 ; 4-byte Folded Reload
	buffer_load_dword v101, off, s[24:27], 0 offset:4 ; 4-byte Folded Reload
	buffer_load_dword v102, off, s[24:27], 0 offset:8 ; 4-byte Folded Reload
	;; [unrolled: 1-line block ×3, first 2 shown]
	s_waitcnt vmcnt(0)
	ds_write2_b64 v98, v[100:101], v[102:103] offset0:26 offset1:27
	ds_write2_b64 v98, v[93:94], v[95:96] offset0:28 offset1:29
	ds_write2_b64 v98, v[89:90], v[91:92] offset0:30 offset1:31
	ds_write2_b64 v98, v[85:86], v[87:88] offset0:32 offset1:33
	ds_write2_b64 v98, v[81:82], v[83:84] offset0:34 offset1:35
	ds_write2_b64 v98, v[77:78], v[79:80] offset0:36 offset1:37
	ds_write2_b64 v98, v[73:74], v[75:76] offset0:38 offset1:39
	ds_write2_b64 v98, v[69:70], v[71:72] offset0:40 offset1:41
	ds_write2_b64 v98, v[65:66], v[67:68] offset0:42 offset1:43
	ds_write2_b64 v98, v[61:62], v[63:64] offset0:44 offset1:45
	ds_write2_b64 v98, v[57:58], v[59:60] offset0:46 offset1:47
	ds_write2_b64 v98, v[53:54], v[55:56] offset0:48 offset1:49
	ds_write2_b64 v98, v[49:50], v[51:52] offset0:50 offset1:51
	ds_write2_b64 v98, v[45:46], v[47:48] offset0:52 offset1:53
	ds_write2_b64 v98, v[41:42], v[43:44] offset0:54 offset1:55
	ds_write2_b64 v98, v[37:38], v[39:40] offset0:56 offset1:57
	ds_write2_b64 v98, v[33:34], v[35:36] offset0:58 offset1:59
	ds_write2_b64 v98, v[29:30], v[31:32] offset0:60 offset1:61
	ds_write2_b64 v98, v[25:26], v[27:28] offset0:62 offset1:63
	ds_write2_b64 v98, v[21:22], v[23:24] offset0:64 offset1:65
	ds_write2_b64 v98, v[17:18], v[19:20] offset0:66 offset1:67
	ds_write2_b64 v98, v[13:14], v[15:16] offset0:68 offset1:69
	ds_write2_b64 v98, v[9:10], v[11:12] offset0:70 offset1:71
	ds_write2_b64 v98, v[5:6], v[7:8] offset0:72 offset1:73
	ds_write2_b64 v98, v[1:2], v[3:4] offset0:74 offset1:75
	ds_write2_b64 v98, v[113:114], v[115:116] offset0:76 offset1:77
	v_mov_b32_e32 v100, 3
.LBB76_81:
	s_or_b64 exec, exec, s[0:1]
	v_cmp_lt_i32_e32 vcc, 3, v100
	s_waitcnt vmcnt(0) lgkmcnt(0)
	s_barrier
	s_and_saveexec_b64 s[0:1], vcc
	s_cbranch_execz .LBB76_83
; %bb.82:
	buffer_load_dword v109, off, s[24:27], 0 offset:160 ; 4-byte Folded Reload
	buffer_load_dword v110, off, s[24:27], 0 offset:164 ; 4-byte Folded Reload
	;; [unrolled: 1-line block ×4, first 2 shown]
	s_waitcnt vmcnt(0)
	v_mul_f64 v[101:102], v[123:124], v[111:112]
	v_fma_f64 v[125:126], v[121:122], v[109:110], -v[101:102]
	v_mul_f64 v[101:102], v[121:122], v[111:112]
	v_fma_f64 v[111:112], v[123:124], v[109:110], v[101:102]
	ds_read2_b64 v[101:104], v98 offset0:8 offset1:9
	buffer_load_dword v107, off, s[24:27], 0 offset:144 ; 4-byte Folded Reload
	buffer_load_dword v108, off, s[24:27], 0 offset:148 ; 4-byte Folded Reload
	buffer_load_dword v109, off, s[24:27], 0 offset:152 ; 4-byte Folded Reload
	buffer_load_dword v110, off, s[24:27], 0 offset:156 ; 4-byte Folded Reload
	s_waitcnt lgkmcnt(0)
	v_mul_f64 v[105:106], v[103:104], v[111:112]
	v_fma_f64 v[105:106], v[101:102], v[125:126], -v[105:106]
	v_mul_f64 v[101:102], v[101:102], v[111:112]
	v_fma_f64 v[101:102], v[103:104], v[125:126], v[101:102]
	s_waitcnt vmcnt(2)
	v_add_f64 v[107:108], v[107:108], -v[105:106]
	s_waitcnt vmcnt(0)
	v_add_f64 v[109:110], v[109:110], -v[101:102]
	buffer_store_dword v107, off, s[24:27], 0 offset:144 ; 4-byte Folded Spill
	s_nop 0
	buffer_store_dword v108, off, s[24:27], 0 offset:148 ; 4-byte Folded Spill
	buffer_store_dword v109, off, s[24:27], 0 offset:152 ; 4-byte Folded Spill
	buffer_store_dword v110, off, s[24:27], 0 offset:156 ; 4-byte Folded Spill
	ds_read2_b64 v[101:104], v98 offset0:10 offset1:11
	buffer_load_dword v107, off, s[24:27], 0 offset:128 ; 4-byte Folded Reload
	buffer_load_dword v108, off, s[24:27], 0 offset:132 ; 4-byte Folded Reload
	buffer_load_dword v109, off, s[24:27], 0 offset:136 ; 4-byte Folded Reload
	buffer_load_dword v110, off, s[24:27], 0 offset:140 ; 4-byte Folded Reload
	s_waitcnt lgkmcnt(0)
	v_mul_f64 v[105:106], v[103:104], v[111:112]
	v_fma_f64 v[105:106], v[101:102], v[125:126], -v[105:106]
	v_mul_f64 v[101:102], v[101:102], v[111:112]
	v_fma_f64 v[101:102], v[103:104], v[125:126], v[101:102]
	s_waitcnt vmcnt(2)
	v_add_f64 v[107:108], v[107:108], -v[105:106]
	s_waitcnt vmcnt(0)
	v_add_f64 v[109:110], v[109:110], -v[101:102]
	buffer_store_dword v107, off, s[24:27], 0 offset:128 ; 4-byte Folded Spill
	s_nop 0
	buffer_store_dword v108, off, s[24:27], 0 offset:132 ; 4-byte Folded Spill
	buffer_store_dword v109, off, s[24:27], 0 offset:136 ; 4-byte Folded Spill
	buffer_store_dword v110, off, s[24:27], 0 offset:140 ; 4-byte Folded Spill
	ds_read2_b64 v[101:104], v98 offset0:12 offset1:13
	buffer_load_dword v107, off, s[24:27], 0 offset:112 ; 4-byte Folded Reload
	buffer_load_dword v108, off, s[24:27], 0 offset:116 ; 4-byte Folded Reload
	buffer_load_dword v109, off, s[24:27], 0 offset:120 ; 4-byte Folded Reload
	buffer_load_dword v110, off, s[24:27], 0 offset:124 ; 4-byte Folded Reload
	s_waitcnt lgkmcnt(0)
	v_mul_f64 v[105:106], v[103:104], v[111:112]
	v_fma_f64 v[105:106], v[101:102], v[125:126], -v[105:106]
	v_mul_f64 v[101:102], v[101:102], v[111:112]
	v_fma_f64 v[101:102], v[103:104], v[125:126], v[101:102]
	s_waitcnt vmcnt(2)
	v_add_f64 v[107:108], v[107:108], -v[105:106]
	s_waitcnt vmcnt(0)
	v_add_f64 v[109:110], v[109:110], -v[101:102]
	buffer_store_dword v107, off, s[24:27], 0 offset:112 ; 4-byte Folded Spill
	s_nop 0
	buffer_store_dword v108, off, s[24:27], 0 offset:116 ; 4-byte Folded Spill
	buffer_store_dword v109, off, s[24:27], 0 offset:120 ; 4-byte Folded Spill
	buffer_store_dword v110, off, s[24:27], 0 offset:124 ; 4-byte Folded Spill
	ds_read2_b64 v[101:104], v98 offset0:14 offset1:15
	buffer_load_dword v107, off, s[24:27], 0 offset:96 ; 4-byte Folded Reload
	buffer_load_dword v108, off, s[24:27], 0 offset:100 ; 4-byte Folded Reload
	buffer_load_dword v109, off, s[24:27], 0 offset:104 ; 4-byte Folded Reload
	buffer_load_dword v110, off, s[24:27], 0 offset:108 ; 4-byte Folded Reload
	s_waitcnt lgkmcnt(0)
	v_mul_f64 v[105:106], v[103:104], v[111:112]
	v_fma_f64 v[105:106], v[101:102], v[125:126], -v[105:106]
	v_mul_f64 v[101:102], v[101:102], v[111:112]
	v_fma_f64 v[101:102], v[103:104], v[125:126], v[101:102]
	s_waitcnt vmcnt(2)
	v_add_f64 v[107:108], v[107:108], -v[105:106]
	s_waitcnt vmcnt(0)
	v_add_f64 v[109:110], v[109:110], -v[101:102]
	buffer_store_dword v107, off, s[24:27], 0 offset:96 ; 4-byte Folded Spill
	s_nop 0
	buffer_store_dword v108, off, s[24:27], 0 offset:100 ; 4-byte Folded Spill
	buffer_store_dword v109, off, s[24:27], 0 offset:104 ; 4-byte Folded Spill
	buffer_store_dword v110, off, s[24:27], 0 offset:108 ; 4-byte Folded Spill
	ds_read2_b64 v[101:104], v98 offset0:16 offset1:17
	buffer_load_dword v107, off, s[24:27], 0 offset:80 ; 4-byte Folded Reload
	buffer_load_dword v108, off, s[24:27], 0 offset:84 ; 4-byte Folded Reload
	buffer_load_dword v109, off, s[24:27], 0 offset:88 ; 4-byte Folded Reload
	buffer_load_dword v110, off, s[24:27], 0 offset:92 ; 4-byte Folded Reload
	s_waitcnt lgkmcnt(0)
	v_mul_f64 v[105:106], v[103:104], v[111:112]
	v_fma_f64 v[105:106], v[101:102], v[125:126], -v[105:106]
	v_mul_f64 v[101:102], v[101:102], v[111:112]
	v_fma_f64 v[101:102], v[103:104], v[125:126], v[101:102]
	s_waitcnt vmcnt(2)
	v_add_f64 v[107:108], v[107:108], -v[105:106]
	s_waitcnt vmcnt(0)
	v_add_f64 v[109:110], v[109:110], -v[101:102]
	buffer_store_dword v107, off, s[24:27], 0 offset:80 ; 4-byte Folded Spill
	s_nop 0
	buffer_store_dword v108, off, s[24:27], 0 offset:84 ; 4-byte Folded Spill
	buffer_store_dword v109, off, s[24:27], 0 offset:88 ; 4-byte Folded Spill
	buffer_store_dword v110, off, s[24:27], 0 offset:92 ; 4-byte Folded Spill
	ds_read2_b64 v[101:104], v98 offset0:18 offset1:19
	buffer_load_dword v107, off, s[24:27], 0 offset:64 ; 4-byte Folded Reload
	buffer_load_dword v108, off, s[24:27], 0 offset:68 ; 4-byte Folded Reload
	buffer_load_dword v109, off, s[24:27], 0 offset:72 ; 4-byte Folded Reload
	buffer_load_dword v110, off, s[24:27], 0 offset:76 ; 4-byte Folded Reload
	s_waitcnt lgkmcnt(0)
	v_mul_f64 v[105:106], v[103:104], v[111:112]
	v_fma_f64 v[105:106], v[101:102], v[125:126], -v[105:106]
	v_mul_f64 v[101:102], v[101:102], v[111:112]
	v_fma_f64 v[101:102], v[103:104], v[125:126], v[101:102]
	s_waitcnt vmcnt(2)
	v_add_f64 v[107:108], v[107:108], -v[105:106]
	s_waitcnt vmcnt(0)
	v_add_f64 v[109:110], v[109:110], -v[101:102]
	buffer_store_dword v107, off, s[24:27], 0 offset:64 ; 4-byte Folded Spill
	s_nop 0
	buffer_store_dword v108, off, s[24:27], 0 offset:68 ; 4-byte Folded Spill
	buffer_store_dword v109, off, s[24:27], 0 offset:72 ; 4-byte Folded Spill
	buffer_store_dword v110, off, s[24:27], 0 offset:76 ; 4-byte Folded Spill
	ds_read2_b64 v[101:104], v98 offset0:20 offset1:21
	buffer_load_dword v107, off, s[24:27], 0 offset:48 ; 4-byte Folded Reload
	buffer_load_dword v108, off, s[24:27], 0 offset:52 ; 4-byte Folded Reload
	buffer_load_dword v109, off, s[24:27], 0 offset:56 ; 4-byte Folded Reload
	buffer_load_dword v110, off, s[24:27], 0 offset:60 ; 4-byte Folded Reload
	s_waitcnt lgkmcnt(0)
	v_mul_f64 v[105:106], v[103:104], v[111:112]
	v_fma_f64 v[105:106], v[101:102], v[125:126], -v[105:106]
	v_mul_f64 v[101:102], v[101:102], v[111:112]
	v_fma_f64 v[101:102], v[103:104], v[125:126], v[101:102]
	s_waitcnt vmcnt(2)
	v_add_f64 v[107:108], v[107:108], -v[105:106]
	s_waitcnt vmcnt(0)
	v_add_f64 v[109:110], v[109:110], -v[101:102]
	buffer_store_dword v107, off, s[24:27], 0 offset:48 ; 4-byte Folded Spill
	s_nop 0
	buffer_store_dword v108, off, s[24:27], 0 offset:52 ; 4-byte Folded Spill
	buffer_store_dword v109, off, s[24:27], 0 offset:56 ; 4-byte Folded Spill
	buffer_store_dword v110, off, s[24:27], 0 offset:60 ; 4-byte Folded Spill
	ds_read2_b64 v[101:104], v98 offset0:22 offset1:23
	buffer_load_dword v107, off, s[24:27], 0 offset:32 ; 4-byte Folded Reload
	buffer_load_dword v108, off, s[24:27], 0 offset:36 ; 4-byte Folded Reload
	buffer_load_dword v109, off, s[24:27], 0 offset:40 ; 4-byte Folded Reload
	buffer_load_dword v110, off, s[24:27], 0 offset:44 ; 4-byte Folded Reload
	s_waitcnt lgkmcnt(0)
	v_mul_f64 v[105:106], v[103:104], v[111:112]
	v_fma_f64 v[105:106], v[101:102], v[125:126], -v[105:106]
	v_mul_f64 v[101:102], v[101:102], v[111:112]
	v_fma_f64 v[101:102], v[103:104], v[125:126], v[101:102]
	s_waitcnt vmcnt(2)
	v_add_f64 v[107:108], v[107:108], -v[105:106]
	s_waitcnt vmcnt(0)
	v_add_f64 v[109:110], v[109:110], -v[101:102]
	buffer_store_dword v107, off, s[24:27], 0 offset:32 ; 4-byte Folded Spill
	s_nop 0
	buffer_store_dword v108, off, s[24:27], 0 offset:36 ; 4-byte Folded Spill
	buffer_store_dword v109, off, s[24:27], 0 offset:40 ; 4-byte Folded Spill
	buffer_store_dword v110, off, s[24:27], 0 offset:44 ; 4-byte Folded Spill
	ds_read2_b64 v[101:104], v98 offset0:24 offset1:25
	buffer_load_dword v107, off, s[24:27], 0 offset:16 ; 4-byte Folded Reload
	buffer_load_dword v108, off, s[24:27], 0 offset:20 ; 4-byte Folded Reload
	buffer_load_dword v109, off, s[24:27], 0 offset:24 ; 4-byte Folded Reload
	buffer_load_dword v110, off, s[24:27], 0 offset:28 ; 4-byte Folded Reload
	s_waitcnt lgkmcnt(0)
	v_mul_f64 v[105:106], v[103:104], v[111:112]
	v_fma_f64 v[105:106], v[101:102], v[125:126], -v[105:106]
	v_mul_f64 v[101:102], v[101:102], v[111:112]
	v_fma_f64 v[101:102], v[103:104], v[125:126], v[101:102]
	s_waitcnt vmcnt(2)
	v_add_f64 v[107:108], v[107:108], -v[105:106]
	s_waitcnt vmcnt(0)
	v_add_f64 v[109:110], v[109:110], -v[101:102]
	buffer_store_dword v107, off, s[24:27], 0 offset:16 ; 4-byte Folded Spill
	s_nop 0
	buffer_store_dword v108, off, s[24:27], 0 offset:20 ; 4-byte Folded Spill
	buffer_store_dword v109, off, s[24:27], 0 offset:24 ; 4-byte Folded Spill
	buffer_store_dword v110, off, s[24:27], 0 offset:28 ; 4-byte Folded Spill
	ds_read2_b64 v[101:104], v98 offset0:26 offset1:27
	buffer_load_dword v107, off, s[24:27], 0 ; 4-byte Folded Reload
	buffer_load_dword v108, off, s[24:27], 0 offset:4 ; 4-byte Folded Reload
	buffer_load_dword v109, off, s[24:27], 0 offset:8 ; 4-byte Folded Reload
	;; [unrolled: 1-line block ×3, first 2 shown]
	s_waitcnt lgkmcnt(0)
	v_mul_f64 v[105:106], v[103:104], v[111:112]
	v_fma_f64 v[105:106], v[101:102], v[125:126], -v[105:106]
	v_mul_f64 v[101:102], v[101:102], v[111:112]
	v_fma_f64 v[101:102], v[103:104], v[125:126], v[101:102]
	s_waitcnt vmcnt(2)
	v_add_f64 v[107:108], v[107:108], -v[105:106]
	s_waitcnt vmcnt(0)
	v_add_f64 v[109:110], v[109:110], -v[101:102]
	buffer_store_dword v107, off, s[24:27], 0 ; 4-byte Folded Spill
	s_nop 0
	buffer_store_dword v108, off, s[24:27], 0 offset:4 ; 4-byte Folded Spill
	buffer_store_dword v109, off, s[24:27], 0 offset:8 ; 4-byte Folded Spill
	;; [unrolled: 1-line block ×3, first 2 shown]
	ds_read2_b64 v[101:104], v98 offset0:28 offset1:29
	v_mov_b32_e32 v109, v125
	v_mov_b32_e32 v110, v126
	s_waitcnt lgkmcnt(0)
	v_mul_f64 v[105:106], v[103:104], v[111:112]
	v_fma_f64 v[105:106], v[101:102], v[125:126], -v[105:106]
	v_mul_f64 v[101:102], v[101:102], v[111:112]
	v_add_f64 v[93:94], v[93:94], -v[105:106]
	v_fma_f64 v[101:102], v[103:104], v[125:126], v[101:102]
	v_add_f64 v[95:96], v[95:96], -v[101:102]
	ds_read2_b64 v[101:104], v98 offset0:30 offset1:31
	s_waitcnt lgkmcnt(0)
	v_mul_f64 v[105:106], v[103:104], v[111:112]
	v_fma_f64 v[105:106], v[101:102], v[125:126], -v[105:106]
	v_mul_f64 v[101:102], v[101:102], v[111:112]
	v_add_f64 v[89:90], v[89:90], -v[105:106]
	v_fma_f64 v[101:102], v[103:104], v[125:126], v[101:102]
	v_add_f64 v[91:92], v[91:92], -v[101:102]
	ds_read2_b64 v[101:104], v98 offset0:32 offset1:33
	;; [unrolled: 8-line block ×24, first 2 shown]
	s_waitcnt lgkmcnt(0)
	v_mul_f64 v[105:106], v[103:104], v[111:112]
	v_fma_f64 v[105:106], v[101:102], v[125:126], -v[105:106]
	v_mul_f64 v[101:102], v[101:102], v[111:112]
	buffer_store_dword v109, off, s[24:27], 0 offset:160 ; 4-byte Folded Spill
	s_nop 0
	buffer_store_dword v110, off, s[24:27], 0 offset:164 ; 4-byte Folded Spill
	buffer_store_dword v111, off, s[24:27], 0 offset:168 ; 4-byte Folded Spill
	;; [unrolled: 1-line block ×3, first 2 shown]
	v_add_f64 v[113:114], v[113:114], -v[105:106]
	v_fma_f64 v[101:102], v[103:104], v[125:126], v[101:102]
	v_add_f64 v[115:116], v[115:116], -v[101:102]
.LBB76_83:
	s_or_b64 exec, exec, s[0:1]
	s_waitcnt vmcnt(0)
	s_barrier
	buffer_load_dword v102, off, s[24:27], 0 offset:144 ; 4-byte Folded Reload
	buffer_load_dword v103, off, s[24:27], 0 offset:148 ; 4-byte Folded Reload
	;; [unrolled: 1-line block ×4, first 2 shown]
	v_lshl_add_u32 v101, v100, 4, v98
	s_cmp_lt_i32 s3, 6
	s_waitcnt vmcnt(0)
	ds_write2_b64 v101, v[102:103], v[104:105] offset1:1
	s_waitcnt lgkmcnt(0)
	s_barrier
	ds_read2_b64 v[121:124], v98 offset0:8 offset1:9
	v_mov_b32_e32 v101, 4
	s_cbranch_scc1 .LBB76_86
; %bb.84:
	v_mov_b32_e32 v101, 4
	v_add_u32_e32 v102, 0x50, v98
	s_mov_b32 s0, 5
.LBB76_85:                              ; =>This Inner Loop Header: Depth=1
	s_waitcnt lgkmcnt(0)
	v_cmp_gt_f64_e32 vcc, 0, v[121:122]
	v_xor_b32_e32 v107, 0x80000000, v122
	ds_read2_b64 v[103:106], v102 offset1:1
	v_xor_b32_e32 v109, 0x80000000, v124
	v_add_u32_e32 v102, 16, v102
	s_waitcnt lgkmcnt(0)
	v_xor_b32_e32 v111, 0x80000000, v106
	v_cndmask_b32_e32 v108, v122, v107, vcc
	v_cmp_gt_f64_e32 vcc, 0, v[123:124]
	v_mov_b32_e32 v107, v121
	v_cndmask_b32_e32 v110, v124, v109, vcc
	v_cmp_gt_f64_e32 vcc, 0, v[103:104]
	v_mov_b32_e32 v109, v123
	v_add_f64 v[107:108], v[107:108], v[109:110]
	v_xor_b32_e32 v109, 0x80000000, v104
	v_cndmask_b32_e32 v110, v104, v109, vcc
	v_cmp_gt_f64_e32 vcc, 0, v[105:106]
	v_mov_b32_e32 v109, v103
	v_cndmask_b32_e32 v112, v106, v111, vcc
	v_mov_b32_e32 v111, v105
	v_add_f64 v[109:110], v[109:110], v[111:112]
	v_cmp_lt_f64_e32 vcc, v[107:108], v[109:110]
	v_cndmask_b32_e32 v121, v121, v103, vcc
	v_mov_b32_e32 v103, s0
	s_add_i32 s0, s0, 1
	v_cndmask_b32_e32 v122, v122, v104, vcc
	v_cndmask_b32_e32 v124, v124, v106, vcc
	;; [unrolled: 1-line block ×4, first 2 shown]
	s_cmp_lg_u32 s3, s0
	s_cbranch_scc1 .LBB76_85
.LBB76_86:
	s_waitcnt lgkmcnt(0)
	v_cmp_eq_f64_e32 vcc, 0, v[121:122]
	v_cmp_eq_f64_e64 s[0:1], 0, v[123:124]
	s_and_b64 s[0:1], vcc, s[0:1]
	s_and_saveexec_b64 s[18:19], s[0:1]
	s_xor_b64 s[0:1], exec, s[18:19]
; %bb.87:
	v_cmp_ne_u32_e32 vcc, 0, v99
	v_cndmask_b32_e32 v99, 5, v99, vcc
; %bb.88:
	s_andn2_saveexec_b64 s[0:1], s[0:1]
	s_cbranch_execz .LBB76_94
; %bb.89:
	v_cmp_ngt_f64_e64 s[18:19], |v[121:122]|, |v[123:124]|
	s_and_saveexec_b64 s[20:21], s[18:19]
	s_xor_b64 s[18:19], exec, s[20:21]
	s_cbranch_execz .LBB76_91
; %bb.90:
	v_div_scale_f64 v[102:103], s[20:21], v[123:124], v[123:124], v[121:122]
	v_rcp_f64_e32 v[104:105], v[102:103]
	v_fma_f64 v[106:107], -v[102:103], v[104:105], 1.0
	v_fma_f64 v[104:105], v[104:105], v[106:107], v[104:105]
	v_div_scale_f64 v[106:107], vcc, v[121:122], v[123:124], v[121:122]
	v_fma_f64 v[108:109], -v[102:103], v[104:105], 1.0
	v_fma_f64 v[104:105], v[104:105], v[108:109], v[104:105]
	v_mul_f64 v[108:109], v[106:107], v[104:105]
	v_fma_f64 v[102:103], -v[102:103], v[108:109], v[106:107]
	v_div_fmas_f64 v[102:103], v[102:103], v[104:105], v[108:109]
	v_div_fixup_f64 v[102:103], v[102:103], v[123:124], v[121:122]
	v_fma_f64 v[104:105], v[121:122], v[102:103], v[123:124]
	v_div_scale_f64 v[106:107], s[20:21], v[104:105], v[104:105], 1.0
	v_div_scale_f64 v[117:118], vcc, 1.0, v[104:105], 1.0
	v_rcp_f64_e32 v[108:109], v[106:107]
	v_fma_f64 v[110:111], -v[106:107], v[108:109], 1.0
	v_fma_f64 v[108:109], v[108:109], v[110:111], v[108:109]
	v_fma_f64 v[110:111], -v[106:107], v[108:109], 1.0
	v_fma_f64 v[108:109], v[108:109], v[110:111], v[108:109]
	v_mul_f64 v[110:111], v[117:118], v[108:109]
	v_fma_f64 v[106:107], -v[106:107], v[110:111], v[117:118]
	v_div_fmas_f64 v[106:107], v[106:107], v[108:109], v[110:111]
	v_div_fixup_f64 v[123:124], v[106:107], v[104:105], 1.0
	v_mul_f64 v[121:122], v[102:103], v[123:124]
	v_xor_b32_e32 v124, 0x80000000, v124
.LBB76_91:
	s_andn2_saveexec_b64 s[18:19], s[18:19]
	s_cbranch_execz .LBB76_93
; %bb.92:
	v_div_scale_f64 v[102:103], s[20:21], v[121:122], v[121:122], v[123:124]
	v_rcp_f64_e32 v[104:105], v[102:103]
	v_fma_f64 v[106:107], -v[102:103], v[104:105], 1.0
	v_fma_f64 v[104:105], v[104:105], v[106:107], v[104:105]
	v_div_scale_f64 v[106:107], vcc, v[123:124], v[121:122], v[123:124]
	v_fma_f64 v[108:109], -v[102:103], v[104:105], 1.0
	v_fma_f64 v[104:105], v[104:105], v[108:109], v[104:105]
	v_mul_f64 v[108:109], v[106:107], v[104:105]
	v_fma_f64 v[102:103], -v[102:103], v[108:109], v[106:107]
	v_div_fmas_f64 v[102:103], v[102:103], v[104:105], v[108:109]
	v_div_fixup_f64 v[102:103], v[102:103], v[121:122], v[123:124]
	v_fma_f64 v[104:105], v[123:124], v[102:103], v[121:122]
	v_div_scale_f64 v[106:107], s[20:21], v[104:105], v[104:105], 1.0
	v_div_scale_f64 v[117:118], vcc, 1.0, v[104:105], 1.0
	v_rcp_f64_e32 v[108:109], v[106:107]
	v_fma_f64 v[110:111], -v[106:107], v[108:109], 1.0
	v_fma_f64 v[108:109], v[108:109], v[110:111], v[108:109]
	v_fma_f64 v[110:111], -v[106:107], v[108:109], 1.0
	v_fma_f64 v[108:109], v[108:109], v[110:111], v[108:109]
	v_mul_f64 v[110:111], v[117:118], v[108:109]
	v_fma_f64 v[106:107], -v[106:107], v[110:111], v[117:118]
	v_div_fmas_f64 v[106:107], v[106:107], v[108:109], v[110:111]
	v_div_fixup_f64 v[121:122], v[106:107], v[104:105], 1.0
	v_mul_f64 v[123:124], v[102:103], -v[121:122]
.LBB76_93:
	s_or_b64 exec, exec, s[18:19]
.LBB76_94:
	s_or_b64 exec, exec, s[0:1]
	v_cmp_ne_u32_e32 vcc, v100, v101
	s_and_saveexec_b64 s[0:1], vcc
	s_xor_b64 s[0:1], exec, s[0:1]
	s_cbranch_execz .LBB76_100
; %bb.95:
	v_cmp_eq_u32_e32 vcc, 4, v100
	s_and_saveexec_b64 s[18:19], vcc
	s_cbranch_execz .LBB76_99
; %bb.96:
	v_cmp_ne_u32_e32 vcc, 4, v101
	s_xor_b64 s[20:21], s[6:7], -1
	s_and_b64 s[22:23], s[20:21], vcc
	s_and_saveexec_b64 s[20:21], s[22:23]
	s_cbranch_execz .LBB76_98
; %bb.97:
	v_ashrrev_i32_e32 v102, 31, v101
	v_lshlrev_b64 v[102:103], 2, v[101:102]
	v_add_co_u32_e32 v102, vcc, v119, v102
	v_addc_co_u32_e32 v103, vcc, v120, v103, vcc
	global_load_dword v0, v[102:103], off
	global_load_dword v100, v[119:120], off offset:16
	s_waitcnt vmcnt(1)
	global_store_dword v[119:120], v0, off offset:16
	s_waitcnt vmcnt(1)
	global_store_dword v[102:103], v100, off
.LBB76_98:
	s_or_b64 exec, exec, s[20:21]
	v_mov_b32_e32 v100, v101
	v_mov_b32_e32 v0, v101
.LBB76_99:
	s_or_b64 exec, exec, s[18:19]
.LBB76_100:
	s_andn2_saveexec_b64 s[0:1], s[0:1]
	s_cbranch_execz .LBB76_102
; %bb.101:
	buffer_load_dword v100, off, s[24:27], 0 offset:128 ; 4-byte Folded Reload
	buffer_load_dword v101, off, s[24:27], 0 offset:132 ; 4-byte Folded Reload
	buffer_load_dword v102, off, s[24:27], 0 offset:136 ; 4-byte Folded Reload
	buffer_load_dword v103, off, s[24:27], 0 offset:140 ; 4-byte Folded Reload
	s_waitcnt vmcnt(0)
	ds_write2_b64 v98, v[100:101], v[102:103] offset0:10 offset1:11
	buffer_load_dword v100, off, s[24:27], 0 offset:112 ; 4-byte Folded Reload
	buffer_load_dword v101, off, s[24:27], 0 offset:116 ; 4-byte Folded Reload
	buffer_load_dword v102, off, s[24:27], 0 offset:120 ; 4-byte Folded Reload
	buffer_load_dword v103, off, s[24:27], 0 offset:124 ; 4-byte Folded Reload
	s_waitcnt vmcnt(0)
	ds_write2_b64 v98, v[100:101], v[102:103] offset0:12 offset1:13
	;; [unrolled: 6-line block ×8, first 2 shown]
	buffer_load_dword v100, off, s[24:27], 0 ; 4-byte Folded Reload
	buffer_load_dword v101, off, s[24:27], 0 offset:4 ; 4-byte Folded Reload
	buffer_load_dword v102, off, s[24:27], 0 offset:8 ; 4-byte Folded Reload
	;; [unrolled: 1-line block ×3, first 2 shown]
	s_waitcnt vmcnt(0)
	ds_write2_b64 v98, v[100:101], v[102:103] offset0:26 offset1:27
	ds_write2_b64 v98, v[93:94], v[95:96] offset0:28 offset1:29
	;; [unrolled: 1-line block ×26, first 2 shown]
	v_mov_b32_e32 v100, 4
.LBB76_102:
	s_or_b64 exec, exec, s[0:1]
	v_cmp_lt_i32_e32 vcc, 4, v100
	s_waitcnt vmcnt(0) lgkmcnt(0)
	s_barrier
	s_and_saveexec_b64 s[0:1], vcc
	s_cbranch_execz .LBB76_104
; %bb.103:
	buffer_load_dword v109, off, s[24:27], 0 offset:144 ; 4-byte Folded Reload
	buffer_load_dword v110, off, s[24:27], 0 offset:148 ; 4-byte Folded Reload
	;; [unrolled: 1-line block ×4, first 2 shown]
	s_waitcnt vmcnt(0)
	v_mul_f64 v[101:102], v[123:124], v[111:112]
	v_fma_f64 v[125:126], v[121:122], v[109:110], -v[101:102]
	v_mul_f64 v[101:102], v[121:122], v[111:112]
	v_fma_f64 v[111:112], v[123:124], v[109:110], v[101:102]
	ds_read2_b64 v[101:104], v98 offset0:10 offset1:11
	buffer_load_dword v107, off, s[24:27], 0 offset:128 ; 4-byte Folded Reload
	buffer_load_dword v108, off, s[24:27], 0 offset:132 ; 4-byte Folded Reload
	buffer_load_dword v109, off, s[24:27], 0 offset:136 ; 4-byte Folded Reload
	buffer_load_dword v110, off, s[24:27], 0 offset:140 ; 4-byte Folded Reload
	s_waitcnt lgkmcnt(0)
	v_mul_f64 v[105:106], v[103:104], v[111:112]
	v_fma_f64 v[105:106], v[101:102], v[125:126], -v[105:106]
	v_mul_f64 v[101:102], v[101:102], v[111:112]
	v_fma_f64 v[101:102], v[103:104], v[125:126], v[101:102]
	s_waitcnt vmcnt(2)
	v_add_f64 v[107:108], v[107:108], -v[105:106]
	s_waitcnt vmcnt(0)
	v_add_f64 v[109:110], v[109:110], -v[101:102]
	buffer_store_dword v107, off, s[24:27], 0 offset:128 ; 4-byte Folded Spill
	s_nop 0
	buffer_store_dword v108, off, s[24:27], 0 offset:132 ; 4-byte Folded Spill
	buffer_store_dword v109, off, s[24:27], 0 offset:136 ; 4-byte Folded Spill
	buffer_store_dword v110, off, s[24:27], 0 offset:140 ; 4-byte Folded Spill
	ds_read2_b64 v[101:104], v98 offset0:12 offset1:13
	buffer_load_dword v107, off, s[24:27], 0 offset:112 ; 4-byte Folded Reload
	buffer_load_dword v108, off, s[24:27], 0 offset:116 ; 4-byte Folded Reload
	buffer_load_dword v109, off, s[24:27], 0 offset:120 ; 4-byte Folded Reload
	buffer_load_dword v110, off, s[24:27], 0 offset:124 ; 4-byte Folded Reload
	s_waitcnt lgkmcnt(0)
	v_mul_f64 v[105:106], v[103:104], v[111:112]
	v_fma_f64 v[105:106], v[101:102], v[125:126], -v[105:106]
	v_mul_f64 v[101:102], v[101:102], v[111:112]
	v_fma_f64 v[101:102], v[103:104], v[125:126], v[101:102]
	s_waitcnt vmcnt(2)
	v_add_f64 v[107:108], v[107:108], -v[105:106]
	s_waitcnt vmcnt(0)
	v_add_f64 v[109:110], v[109:110], -v[101:102]
	buffer_store_dword v107, off, s[24:27], 0 offset:112 ; 4-byte Folded Spill
	s_nop 0
	buffer_store_dword v108, off, s[24:27], 0 offset:116 ; 4-byte Folded Spill
	buffer_store_dword v109, off, s[24:27], 0 offset:120 ; 4-byte Folded Spill
	buffer_store_dword v110, off, s[24:27], 0 offset:124 ; 4-byte Folded Spill
	;; [unrolled: 19-line block ×8, first 2 shown]
	ds_read2_b64 v[101:104], v98 offset0:26 offset1:27
	buffer_load_dword v107, off, s[24:27], 0 ; 4-byte Folded Reload
	buffer_load_dword v108, off, s[24:27], 0 offset:4 ; 4-byte Folded Reload
	buffer_load_dword v109, off, s[24:27], 0 offset:8 ; 4-byte Folded Reload
	buffer_load_dword v110, off, s[24:27], 0 offset:12 ; 4-byte Folded Reload
	s_waitcnt lgkmcnt(0)
	v_mul_f64 v[105:106], v[103:104], v[111:112]
	v_fma_f64 v[105:106], v[101:102], v[125:126], -v[105:106]
	v_mul_f64 v[101:102], v[101:102], v[111:112]
	v_fma_f64 v[101:102], v[103:104], v[125:126], v[101:102]
	s_waitcnt vmcnt(2)
	v_add_f64 v[107:108], v[107:108], -v[105:106]
	s_waitcnt vmcnt(0)
	v_add_f64 v[109:110], v[109:110], -v[101:102]
	buffer_store_dword v107, off, s[24:27], 0 ; 4-byte Folded Spill
	s_nop 0
	buffer_store_dword v108, off, s[24:27], 0 offset:4 ; 4-byte Folded Spill
	buffer_store_dword v109, off, s[24:27], 0 offset:8 ; 4-byte Folded Spill
	;; [unrolled: 1-line block ×3, first 2 shown]
	ds_read2_b64 v[101:104], v98 offset0:28 offset1:29
	v_mov_b32_e32 v109, v125
	v_mov_b32_e32 v110, v126
	s_waitcnt lgkmcnt(0)
	v_mul_f64 v[105:106], v[103:104], v[111:112]
	v_fma_f64 v[105:106], v[101:102], v[125:126], -v[105:106]
	v_mul_f64 v[101:102], v[101:102], v[111:112]
	v_add_f64 v[93:94], v[93:94], -v[105:106]
	v_fma_f64 v[101:102], v[103:104], v[125:126], v[101:102]
	v_add_f64 v[95:96], v[95:96], -v[101:102]
	ds_read2_b64 v[101:104], v98 offset0:30 offset1:31
	s_waitcnt lgkmcnt(0)
	v_mul_f64 v[105:106], v[103:104], v[111:112]
	v_fma_f64 v[105:106], v[101:102], v[125:126], -v[105:106]
	v_mul_f64 v[101:102], v[101:102], v[111:112]
	v_add_f64 v[89:90], v[89:90], -v[105:106]
	v_fma_f64 v[101:102], v[103:104], v[125:126], v[101:102]
	v_add_f64 v[91:92], v[91:92], -v[101:102]
	ds_read2_b64 v[101:104], v98 offset0:32 offset1:33
	;; [unrolled: 8-line block ×24, first 2 shown]
	s_waitcnt lgkmcnt(0)
	v_mul_f64 v[105:106], v[103:104], v[111:112]
	v_fma_f64 v[105:106], v[101:102], v[125:126], -v[105:106]
	v_mul_f64 v[101:102], v[101:102], v[111:112]
	buffer_store_dword v109, off, s[24:27], 0 offset:144 ; 4-byte Folded Spill
	s_nop 0
	buffer_store_dword v110, off, s[24:27], 0 offset:148 ; 4-byte Folded Spill
	buffer_store_dword v111, off, s[24:27], 0 offset:152 ; 4-byte Folded Spill
	;; [unrolled: 1-line block ×3, first 2 shown]
	v_add_f64 v[113:114], v[113:114], -v[105:106]
	v_fma_f64 v[101:102], v[103:104], v[125:126], v[101:102]
	v_add_f64 v[115:116], v[115:116], -v[101:102]
.LBB76_104:
	s_or_b64 exec, exec, s[0:1]
	s_waitcnt vmcnt(0)
	s_barrier
	buffer_load_dword v102, off, s[24:27], 0 offset:128 ; 4-byte Folded Reload
	buffer_load_dword v103, off, s[24:27], 0 offset:132 ; 4-byte Folded Reload
	;; [unrolled: 1-line block ×4, first 2 shown]
	v_lshl_add_u32 v101, v100, 4, v98
	s_cmp_lt_i32 s3, 7
	s_waitcnt vmcnt(0)
	ds_write2_b64 v101, v[102:103], v[104:105] offset1:1
	s_waitcnt lgkmcnt(0)
	s_barrier
	ds_read2_b64 v[121:124], v98 offset0:10 offset1:11
	v_mov_b32_e32 v101, 5
	s_cbranch_scc1 .LBB76_107
; %bb.105:
	v_add_u32_e32 v102, 0x60, v98
	s_mov_b32 s0, 6
	v_mov_b32_e32 v101, 5
.LBB76_106:                             ; =>This Inner Loop Header: Depth=1
	s_waitcnt lgkmcnt(0)
	v_cmp_gt_f64_e32 vcc, 0, v[121:122]
	v_xor_b32_e32 v107, 0x80000000, v122
	ds_read2_b64 v[103:106], v102 offset1:1
	v_xor_b32_e32 v109, 0x80000000, v124
	v_add_u32_e32 v102, 16, v102
	s_waitcnt lgkmcnt(0)
	v_xor_b32_e32 v111, 0x80000000, v106
	v_cndmask_b32_e32 v108, v122, v107, vcc
	v_cmp_gt_f64_e32 vcc, 0, v[123:124]
	v_mov_b32_e32 v107, v121
	v_cndmask_b32_e32 v110, v124, v109, vcc
	v_cmp_gt_f64_e32 vcc, 0, v[103:104]
	v_mov_b32_e32 v109, v123
	v_add_f64 v[107:108], v[107:108], v[109:110]
	v_xor_b32_e32 v109, 0x80000000, v104
	v_cndmask_b32_e32 v110, v104, v109, vcc
	v_cmp_gt_f64_e32 vcc, 0, v[105:106]
	v_mov_b32_e32 v109, v103
	v_cndmask_b32_e32 v112, v106, v111, vcc
	v_mov_b32_e32 v111, v105
	v_add_f64 v[109:110], v[109:110], v[111:112]
	v_cmp_lt_f64_e32 vcc, v[107:108], v[109:110]
	v_cndmask_b32_e32 v121, v121, v103, vcc
	v_mov_b32_e32 v103, s0
	s_add_i32 s0, s0, 1
	v_cndmask_b32_e32 v122, v122, v104, vcc
	v_cndmask_b32_e32 v124, v124, v106, vcc
	v_cndmask_b32_e32 v123, v123, v105, vcc
	v_cndmask_b32_e32 v101, v101, v103, vcc
	s_cmp_lg_u32 s3, s0
	s_cbranch_scc1 .LBB76_106
.LBB76_107:
	s_waitcnt lgkmcnt(0)
	v_cmp_eq_f64_e32 vcc, 0, v[121:122]
	v_cmp_eq_f64_e64 s[0:1], 0, v[123:124]
	s_and_b64 s[0:1], vcc, s[0:1]
	s_and_saveexec_b64 s[18:19], s[0:1]
	s_xor_b64 s[0:1], exec, s[18:19]
; %bb.108:
	v_cmp_ne_u32_e32 vcc, 0, v99
	v_cndmask_b32_e32 v99, 6, v99, vcc
; %bb.109:
	s_andn2_saveexec_b64 s[0:1], s[0:1]
	s_cbranch_execz .LBB76_115
; %bb.110:
	v_cmp_ngt_f64_e64 s[18:19], |v[121:122]|, |v[123:124]|
	s_and_saveexec_b64 s[20:21], s[18:19]
	s_xor_b64 s[18:19], exec, s[20:21]
	s_cbranch_execz .LBB76_112
; %bb.111:
	v_div_scale_f64 v[102:103], s[20:21], v[123:124], v[123:124], v[121:122]
	v_rcp_f64_e32 v[104:105], v[102:103]
	v_fma_f64 v[106:107], -v[102:103], v[104:105], 1.0
	v_fma_f64 v[104:105], v[104:105], v[106:107], v[104:105]
	v_div_scale_f64 v[106:107], vcc, v[121:122], v[123:124], v[121:122]
	v_fma_f64 v[108:109], -v[102:103], v[104:105], 1.0
	v_fma_f64 v[104:105], v[104:105], v[108:109], v[104:105]
	v_mul_f64 v[108:109], v[106:107], v[104:105]
	v_fma_f64 v[102:103], -v[102:103], v[108:109], v[106:107]
	v_div_fmas_f64 v[102:103], v[102:103], v[104:105], v[108:109]
	v_div_fixup_f64 v[102:103], v[102:103], v[123:124], v[121:122]
	v_fma_f64 v[104:105], v[121:122], v[102:103], v[123:124]
	v_div_scale_f64 v[106:107], s[20:21], v[104:105], v[104:105], 1.0
	v_div_scale_f64 v[117:118], vcc, 1.0, v[104:105], 1.0
	v_rcp_f64_e32 v[108:109], v[106:107]
	v_fma_f64 v[110:111], -v[106:107], v[108:109], 1.0
	v_fma_f64 v[108:109], v[108:109], v[110:111], v[108:109]
	v_fma_f64 v[110:111], -v[106:107], v[108:109], 1.0
	v_fma_f64 v[108:109], v[108:109], v[110:111], v[108:109]
	v_mul_f64 v[110:111], v[117:118], v[108:109]
	v_fma_f64 v[106:107], -v[106:107], v[110:111], v[117:118]
	v_div_fmas_f64 v[106:107], v[106:107], v[108:109], v[110:111]
	v_div_fixup_f64 v[123:124], v[106:107], v[104:105], 1.0
	v_mul_f64 v[121:122], v[102:103], v[123:124]
	v_xor_b32_e32 v124, 0x80000000, v124
.LBB76_112:
	s_andn2_saveexec_b64 s[18:19], s[18:19]
	s_cbranch_execz .LBB76_114
; %bb.113:
	v_div_scale_f64 v[102:103], s[20:21], v[121:122], v[121:122], v[123:124]
	v_rcp_f64_e32 v[104:105], v[102:103]
	v_fma_f64 v[106:107], -v[102:103], v[104:105], 1.0
	v_fma_f64 v[104:105], v[104:105], v[106:107], v[104:105]
	v_div_scale_f64 v[106:107], vcc, v[123:124], v[121:122], v[123:124]
	v_fma_f64 v[108:109], -v[102:103], v[104:105], 1.0
	v_fma_f64 v[104:105], v[104:105], v[108:109], v[104:105]
	v_mul_f64 v[108:109], v[106:107], v[104:105]
	v_fma_f64 v[102:103], -v[102:103], v[108:109], v[106:107]
	v_div_fmas_f64 v[102:103], v[102:103], v[104:105], v[108:109]
	v_div_fixup_f64 v[102:103], v[102:103], v[121:122], v[123:124]
	v_fma_f64 v[104:105], v[123:124], v[102:103], v[121:122]
	v_div_scale_f64 v[106:107], s[20:21], v[104:105], v[104:105], 1.0
	v_div_scale_f64 v[117:118], vcc, 1.0, v[104:105], 1.0
	v_rcp_f64_e32 v[108:109], v[106:107]
	v_fma_f64 v[110:111], -v[106:107], v[108:109], 1.0
	v_fma_f64 v[108:109], v[108:109], v[110:111], v[108:109]
	v_fma_f64 v[110:111], -v[106:107], v[108:109], 1.0
	v_fma_f64 v[108:109], v[108:109], v[110:111], v[108:109]
	v_mul_f64 v[110:111], v[117:118], v[108:109]
	v_fma_f64 v[106:107], -v[106:107], v[110:111], v[117:118]
	v_div_fmas_f64 v[106:107], v[106:107], v[108:109], v[110:111]
	v_div_fixup_f64 v[121:122], v[106:107], v[104:105], 1.0
	v_mul_f64 v[123:124], v[102:103], -v[121:122]
.LBB76_114:
	s_or_b64 exec, exec, s[18:19]
.LBB76_115:
	s_or_b64 exec, exec, s[0:1]
	v_cmp_ne_u32_e32 vcc, v100, v101
	s_and_saveexec_b64 s[0:1], vcc
	s_xor_b64 s[0:1], exec, s[0:1]
	s_cbranch_execz .LBB76_121
; %bb.116:
	v_cmp_eq_u32_e32 vcc, 5, v100
	s_and_saveexec_b64 s[18:19], vcc
	s_cbranch_execz .LBB76_120
; %bb.117:
	v_cmp_ne_u32_e32 vcc, 5, v101
	s_xor_b64 s[20:21], s[6:7], -1
	s_and_b64 s[22:23], s[20:21], vcc
	s_and_saveexec_b64 s[20:21], s[22:23]
	s_cbranch_execz .LBB76_119
; %bb.118:
	v_ashrrev_i32_e32 v102, 31, v101
	v_lshlrev_b64 v[102:103], 2, v[101:102]
	v_add_co_u32_e32 v102, vcc, v119, v102
	v_addc_co_u32_e32 v103, vcc, v120, v103, vcc
	global_load_dword v0, v[102:103], off
	global_load_dword v100, v[119:120], off offset:20
	s_waitcnt vmcnt(1)
	global_store_dword v[119:120], v0, off offset:20
	s_waitcnt vmcnt(1)
	global_store_dword v[102:103], v100, off
.LBB76_119:
	s_or_b64 exec, exec, s[20:21]
	v_mov_b32_e32 v100, v101
	v_mov_b32_e32 v0, v101
.LBB76_120:
	s_or_b64 exec, exec, s[18:19]
.LBB76_121:
	s_andn2_saveexec_b64 s[0:1], s[0:1]
	s_cbranch_execz .LBB76_123
; %bb.122:
	buffer_load_dword v100, off, s[24:27], 0 offset:112 ; 4-byte Folded Reload
	buffer_load_dword v101, off, s[24:27], 0 offset:116 ; 4-byte Folded Reload
	buffer_load_dword v102, off, s[24:27], 0 offset:120 ; 4-byte Folded Reload
	buffer_load_dword v103, off, s[24:27], 0 offset:124 ; 4-byte Folded Reload
	s_waitcnt vmcnt(0)
	ds_write2_b64 v98, v[100:101], v[102:103] offset0:12 offset1:13
	buffer_load_dword v100, off, s[24:27], 0 offset:96 ; 4-byte Folded Reload
	buffer_load_dword v101, off, s[24:27], 0 offset:100 ; 4-byte Folded Reload
	buffer_load_dword v102, off, s[24:27], 0 offset:104 ; 4-byte Folded Reload
	buffer_load_dword v103, off, s[24:27], 0 offset:108 ; 4-byte Folded Reload
	s_waitcnt vmcnt(0)
	ds_write2_b64 v98, v[100:101], v[102:103] offset0:14 offset1:15
	buffer_load_dword v100, off, s[24:27], 0 offset:80 ; 4-byte Folded Reload
	buffer_load_dword v101, off, s[24:27], 0 offset:84 ; 4-byte Folded Reload
	buffer_load_dword v102, off, s[24:27], 0 offset:88 ; 4-byte Folded Reload
	buffer_load_dword v103, off, s[24:27], 0 offset:92 ; 4-byte Folded Reload
	s_waitcnt vmcnt(0)
	ds_write2_b64 v98, v[100:101], v[102:103] offset0:16 offset1:17
	buffer_load_dword v100, off, s[24:27], 0 offset:64 ; 4-byte Folded Reload
	buffer_load_dword v101, off, s[24:27], 0 offset:68 ; 4-byte Folded Reload
	buffer_load_dword v102, off, s[24:27], 0 offset:72 ; 4-byte Folded Reload
	buffer_load_dword v103, off, s[24:27], 0 offset:76 ; 4-byte Folded Reload
	s_waitcnt vmcnt(0)
	ds_write2_b64 v98, v[100:101], v[102:103] offset0:18 offset1:19
	buffer_load_dword v100, off, s[24:27], 0 offset:48 ; 4-byte Folded Reload
	buffer_load_dword v101, off, s[24:27], 0 offset:52 ; 4-byte Folded Reload
	buffer_load_dword v102, off, s[24:27], 0 offset:56 ; 4-byte Folded Reload
	buffer_load_dword v103, off, s[24:27], 0 offset:60 ; 4-byte Folded Reload
	s_waitcnt vmcnt(0)
	ds_write2_b64 v98, v[100:101], v[102:103] offset0:20 offset1:21
	buffer_load_dword v100, off, s[24:27], 0 offset:32 ; 4-byte Folded Reload
	buffer_load_dword v101, off, s[24:27], 0 offset:36 ; 4-byte Folded Reload
	buffer_load_dword v102, off, s[24:27], 0 offset:40 ; 4-byte Folded Reload
	buffer_load_dword v103, off, s[24:27], 0 offset:44 ; 4-byte Folded Reload
	s_waitcnt vmcnt(0)
	ds_write2_b64 v98, v[100:101], v[102:103] offset0:22 offset1:23
	buffer_load_dword v100, off, s[24:27], 0 offset:16 ; 4-byte Folded Reload
	buffer_load_dword v101, off, s[24:27], 0 offset:20 ; 4-byte Folded Reload
	buffer_load_dword v102, off, s[24:27], 0 offset:24 ; 4-byte Folded Reload
	buffer_load_dword v103, off, s[24:27], 0 offset:28 ; 4-byte Folded Reload
	s_waitcnt vmcnt(0)
	ds_write2_b64 v98, v[100:101], v[102:103] offset0:24 offset1:25
	buffer_load_dword v100, off, s[24:27], 0 ; 4-byte Folded Reload
	buffer_load_dword v101, off, s[24:27], 0 offset:4 ; 4-byte Folded Reload
	buffer_load_dword v102, off, s[24:27], 0 offset:8 ; 4-byte Folded Reload
	;; [unrolled: 1-line block ×3, first 2 shown]
	s_waitcnt vmcnt(0)
	ds_write2_b64 v98, v[100:101], v[102:103] offset0:26 offset1:27
	ds_write2_b64 v98, v[93:94], v[95:96] offset0:28 offset1:29
	;; [unrolled: 1-line block ×26, first 2 shown]
	v_mov_b32_e32 v100, 5
.LBB76_123:
	s_or_b64 exec, exec, s[0:1]
	v_cmp_lt_i32_e32 vcc, 5, v100
	s_waitcnt vmcnt(0) lgkmcnt(0)
	s_barrier
	s_and_saveexec_b64 s[0:1], vcc
	s_cbranch_execz .LBB76_125
; %bb.124:
	buffer_load_dword v109, off, s[24:27], 0 offset:128 ; 4-byte Folded Reload
	buffer_load_dword v110, off, s[24:27], 0 offset:132 ; 4-byte Folded Reload
	;; [unrolled: 1-line block ×4, first 2 shown]
	s_waitcnt vmcnt(0)
	v_mul_f64 v[101:102], v[123:124], v[111:112]
	v_fma_f64 v[125:126], v[121:122], v[109:110], -v[101:102]
	v_mul_f64 v[101:102], v[121:122], v[111:112]
	v_fma_f64 v[111:112], v[123:124], v[109:110], v[101:102]
	ds_read2_b64 v[101:104], v98 offset0:12 offset1:13
	buffer_load_dword v107, off, s[24:27], 0 offset:112 ; 4-byte Folded Reload
	buffer_load_dword v108, off, s[24:27], 0 offset:116 ; 4-byte Folded Reload
	buffer_load_dword v109, off, s[24:27], 0 offset:120 ; 4-byte Folded Reload
	buffer_load_dword v110, off, s[24:27], 0 offset:124 ; 4-byte Folded Reload
	s_waitcnt lgkmcnt(0)
	v_mul_f64 v[105:106], v[103:104], v[111:112]
	v_fma_f64 v[105:106], v[101:102], v[125:126], -v[105:106]
	v_mul_f64 v[101:102], v[101:102], v[111:112]
	v_fma_f64 v[101:102], v[103:104], v[125:126], v[101:102]
	s_waitcnt vmcnt(2)
	v_add_f64 v[107:108], v[107:108], -v[105:106]
	s_waitcnt vmcnt(0)
	v_add_f64 v[109:110], v[109:110], -v[101:102]
	buffer_store_dword v107, off, s[24:27], 0 offset:112 ; 4-byte Folded Spill
	s_nop 0
	buffer_store_dword v108, off, s[24:27], 0 offset:116 ; 4-byte Folded Spill
	buffer_store_dword v109, off, s[24:27], 0 offset:120 ; 4-byte Folded Spill
	buffer_store_dword v110, off, s[24:27], 0 offset:124 ; 4-byte Folded Spill
	ds_read2_b64 v[101:104], v98 offset0:14 offset1:15
	buffer_load_dword v107, off, s[24:27], 0 offset:96 ; 4-byte Folded Reload
	buffer_load_dword v108, off, s[24:27], 0 offset:100 ; 4-byte Folded Reload
	buffer_load_dword v109, off, s[24:27], 0 offset:104 ; 4-byte Folded Reload
	buffer_load_dword v110, off, s[24:27], 0 offset:108 ; 4-byte Folded Reload
	s_waitcnt lgkmcnt(0)
	v_mul_f64 v[105:106], v[103:104], v[111:112]
	v_fma_f64 v[105:106], v[101:102], v[125:126], -v[105:106]
	v_mul_f64 v[101:102], v[101:102], v[111:112]
	v_fma_f64 v[101:102], v[103:104], v[125:126], v[101:102]
	s_waitcnt vmcnt(2)
	v_add_f64 v[107:108], v[107:108], -v[105:106]
	s_waitcnt vmcnt(0)
	v_add_f64 v[109:110], v[109:110], -v[101:102]
	buffer_store_dword v107, off, s[24:27], 0 offset:96 ; 4-byte Folded Spill
	s_nop 0
	buffer_store_dword v108, off, s[24:27], 0 offset:100 ; 4-byte Folded Spill
	buffer_store_dword v109, off, s[24:27], 0 offset:104 ; 4-byte Folded Spill
	buffer_store_dword v110, off, s[24:27], 0 offset:108 ; 4-byte Folded Spill
	;; [unrolled: 19-line block ×7, first 2 shown]
	ds_read2_b64 v[101:104], v98 offset0:26 offset1:27
	buffer_load_dword v107, off, s[24:27], 0 ; 4-byte Folded Reload
	buffer_load_dword v108, off, s[24:27], 0 offset:4 ; 4-byte Folded Reload
	buffer_load_dword v109, off, s[24:27], 0 offset:8 ; 4-byte Folded Reload
	;; [unrolled: 1-line block ×3, first 2 shown]
	s_waitcnt lgkmcnt(0)
	v_mul_f64 v[105:106], v[103:104], v[111:112]
	v_fma_f64 v[105:106], v[101:102], v[125:126], -v[105:106]
	v_mul_f64 v[101:102], v[101:102], v[111:112]
	v_fma_f64 v[101:102], v[103:104], v[125:126], v[101:102]
	s_waitcnt vmcnt(2)
	v_add_f64 v[107:108], v[107:108], -v[105:106]
	s_waitcnt vmcnt(0)
	v_add_f64 v[109:110], v[109:110], -v[101:102]
	buffer_store_dword v107, off, s[24:27], 0 ; 4-byte Folded Spill
	s_nop 0
	buffer_store_dword v108, off, s[24:27], 0 offset:4 ; 4-byte Folded Spill
	buffer_store_dword v109, off, s[24:27], 0 offset:8 ; 4-byte Folded Spill
	;; [unrolled: 1-line block ×3, first 2 shown]
	ds_read2_b64 v[101:104], v98 offset0:28 offset1:29
	v_mov_b32_e32 v109, v125
	v_mov_b32_e32 v110, v126
	s_waitcnt lgkmcnt(0)
	v_mul_f64 v[105:106], v[103:104], v[111:112]
	v_fma_f64 v[105:106], v[101:102], v[125:126], -v[105:106]
	v_mul_f64 v[101:102], v[101:102], v[111:112]
	v_add_f64 v[93:94], v[93:94], -v[105:106]
	v_fma_f64 v[101:102], v[103:104], v[125:126], v[101:102]
	v_add_f64 v[95:96], v[95:96], -v[101:102]
	ds_read2_b64 v[101:104], v98 offset0:30 offset1:31
	s_waitcnt lgkmcnt(0)
	v_mul_f64 v[105:106], v[103:104], v[111:112]
	v_fma_f64 v[105:106], v[101:102], v[125:126], -v[105:106]
	v_mul_f64 v[101:102], v[101:102], v[111:112]
	v_add_f64 v[89:90], v[89:90], -v[105:106]
	v_fma_f64 v[101:102], v[103:104], v[125:126], v[101:102]
	v_add_f64 v[91:92], v[91:92], -v[101:102]
	ds_read2_b64 v[101:104], v98 offset0:32 offset1:33
	;; [unrolled: 8-line block ×24, first 2 shown]
	s_waitcnt lgkmcnt(0)
	v_mul_f64 v[105:106], v[103:104], v[111:112]
	v_fma_f64 v[105:106], v[101:102], v[125:126], -v[105:106]
	v_mul_f64 v[101:102], v[101:102], v[111:112]
	buffer_store_dword v109, off, s[24:27], 0 offset:128 ; 4-byte Folded Spill
	s_nop 0
	buffer_store_dword v110, off, s[24:27], 0 offset:132 ; 4-byte Folded Spill
	buffer_store_dword v111, off, s[24:27], 0 offset:136 ; 4-byte Folded Spill
	;; [unrolled: 1-line block ×3, first 2 shown]
	v_add_f64 v[113:114], v[113:114], -v[105:106]
	v_fma_f64 v[101:102], v[103:104], v[125:126], v[101:102]
	v_add_f64 v[115:116], v[115:116], -v[101:102]
.LBB76_125:
	s_or_b64 exec, exec, s[0:1]
	s_waitcnt vmcnt(0)
	s_barrier
	buffer_load_dword v102, off, s[24:27], 0 offset:112 ; 4-byte Folded Reload
	buffer_load_dword v103, off, s[24:27], 0 offset:116 ; 4-byte Folded Reload
	;; [unrolled: 1-line block ×4, first 2 shown]
	v_lshl_add_u32 v101, v100, 4, v98
	s_cmp_lt_i32 s3, 8
	s_waitcnt vmcnt(0)
	ds_write2_b64 v101, v[102:103], v[104:105] offset1:1
	s_waitcnt lgkmcnt(0)
	s_barrier
	ds_read2_b64 v[121:124], v98 offset0:12 offset1:13
	v_mov_b32_e32 v101, 6
	s_cbranch_scc1 .LBB76_128
; %bb.126:
	v_add_u32_e32 v102, 0x70, v98
	s_mov_b32 s0, 7
	v_mov_b32_e32 v101, 6
.LBB76_127:                             ; =>This Inner Loop Header: Depth=1
	s_waitcnt lgkmcnt(0)
	v_cmp_gt_f64_e32 vcc, 0, v[121:122]
	v_xor_b32_e32 v107, 0x80000000, v122
	ds_read2_b64 v[103:106], v102 offset1:1
	v_xor_b32_e32 v109, 0x80000000, v124
	v_add_u32_e32 v102, 16, v102
	s_waitcnt lgkmcnt(0)
	v_xor_b32_e32 v111, 0x80000000, v106
	v_cndmask_b32_e32 v108, v122, v107, vcc
	v_cmp_gt_f64_e32 vcc, 0, v[123:124]
	v_mov_b32_e32 v107, v121
	v_cndmask_b32_e32 v110, v124, v109, vcc
	v_cmp_gt_f64_e32 vcc, 0, v[103:104]
	v_mov_b32_e32 v109, v123
	v_add_f64 v[107:108], v[107:108], v[109:110]
	v_xor_b32_e32 v109, 0x80000000, v104
	v_cndmask_b32_e32 v110, v104, v109, vcc
	v_cmp_gt_f64_e32 vcc, 0, v[105:106]
	v_mov_b32_e32 v109, v103
	v_cndmask_b32_e32 v112, v106, v111, vcc
	v_mov_b32_e32 v111, v105
	v_add_f64 v[109:110], v[109:110], v[111:112]
	v_cmp_lt_f64_e32 vcc, v[107:108], v[109:110]
	v_cndmask_b32_e32 v121, v121, v103, vcc
	v_mov_b32_e32 v103, s0
	s_add_i32 s0, s0, 1
	v_cndmask_b32_e32 v122, v122, v104, vcc
	v_cndmask_b32_e32 v124, v124, v106, vcc
	;; [unrolled: 1-line block ×4, first 2 shown]
	s_cmp_lg_u32 s3, s0
	s_cbranch_scc1 .LBB76_127
.LBB76_128:
	s_waitcnt lgkmcnt(0)
	v_cmp_eq_f64_e32 vcc, 0, v[121:122]
	v_cmp_eq_f64_e64 s[0:1], 0, v[123:124]
	s_and_b64 s[0:1], vcc, s[0:1]
	s_and_saveexec_b64 s[18:19], s[0:1]
	s_xor_b64 s[0:1], exec, s[18:19]
; %bb.129:
	v_cmp_ne_u32_e32 vcc, 0, v99
	v_cndmask_b32_e32 v99, 7, v99, vcc
; %bb.130:
	s_andn2_saveexec_b64 s[0:1], s[0:1]
	s_cbranch_execz .LBB76_136
; %bb.131:
	v_cmp_ngt_f64_e64 s[18:19], |v[121:122]|, |v[123:124]|
	s_and_saveexec_b64 s[20:21], s[18:19]
	s_xor_b64 s[18:19], exec, s[20:21]
	s_cbranch_execz .LBB76_133
; %bb.132:
	v_div_scale_f64 v[102:103], s[20:21], v[123:124], v[123:124], v[121:122]
	v_rcp_f64_e32 v[104:105], v[102:103]
	v_fma_f64 v[106:107], -v[102:103], v[104:105], 1.0
	v_fma_f64 v[104:105], v[104:105], v[106:107], v[104:105]
	v_div_scale_f64 v[106:107], vcc, v[121:122], v[123:124], v[121:122]
	v_fma_f64 v[108:109], -v[102:103], v[104:105], 1.0
	v_fma_f64 v[104:105], v[104:105], v[108:109], v[104:105]
	v_mul_f64 v[108:109], v[106:107], v[104:105]
	v_fma_f64 v[102:103], -v[102:103], v[108:109], v[106:107]
	v_div_fmas_f64 v[102:103], v[102:103], v[104:105], v[108:109]
	v_div_fixup_f64 v[102:103], v[102:103], v[123:124], v[121:122]
	v_fma_f64 v[104:105], v[121:122], v[102:103], v[123:124]
	v_div_scale_f64 v[106:107], s[20:21], v[104:105], v[104:105], 1.0
	v_div_scale_f64 v[117:118], vcc, 1.0, v[104:105], 1.0
	v_rcp_f64_e32 v[108:109], v[106:107]
	v_fma_f64 v[110:111], -v[106:107], v[108:109], 1.0
	v_fma_f64 v[108:109], v[108:109], v[110:111], v[108:109]
	v_fma_f64 v[110:111], -v[106:107], v[108:109], 1.0
	v_fma_f64 v[108:109], v[108:109], v[110:111], v[108:109]
	v_mul_f64 v[110:111], v[117:118], v[108:109]
	v_fma_f64 v[106:107], -v[106:107], v[110:111], v[117:118]
	v_div_fmas_f64 v[106:107], v[106:107], v[108:109], v[110:111]
	v_div_fixup_f64 v[123:124], v[106:107], v[104:105], 1.0
	v_mul_f64 v[121:122], v[102:103], v[123:124]
	v_xor_b32_e32 v124, 0x80000000, v124
.LBB76_133:
	s_andn2_saveexec_b64 s[18:19], s[18:19]
	s_cbranch_execz .LBB76_135
; %bb.134:
	v_div_scale_f64 v[102:103], s[20:21], v[121:122], v[121:122], v[123:124]
	v_rcp_f64_e32 v[104:105], v[102:103]
	v_fma_f64 v[106:107], -v[102:103], v[104:105], 1.0
	v_fma_f64 v[104:105], v[104:105], v[106:107], v[104:105]
	v_div_scale_f64 v[106:107], vcc, v[123:124], v[121:122], v[123:124]
	v_fma_f64 v[108:109], -v[102:103], v[104:105], 1.0
	v_fma_f64 v[104:105], v[104:105], v[108:109], v[104:105]
	v_mul_f64 v[108:109], v[106:107], v[104:105]
	v_fma_f64 v[102:103], -v[102:103], v[108:109], v[106:107]
	v_div_fmas_f64 v[102:103], v[102:103], v[104:105], v[108:109]
	v_div_fixup_f64 v[102:103], v[102:103], v[121:122], v[123:124]
	v_fma_f64 v[104:105], v[123:124], v[102:103], v[121:122]
	v_div_scale_f64 v[106:107], s[20:21], v[104:105], v[104:105], 1.0
	v_div_scale_f64 v[117:118], vcc, 1.0, v[104:105], 1.0
	v_rcp_f64_e32 v[108:109], v[106:107]
	v_fma_f64 v[110:111], -v[106:107], v[108:109], 1.0
	v_fma_f64 v[108:109], v[108:109], v[110:111], v[108:109]
	v_fma_f64 v[110:111], -v[106:107], v[108:109], 1.0
	v_fma_f64 v[108:109], v[108:109], v[110:111], v[108:109]
	v_mul_f64 v[110:111], v[117:118], v[108:109]
	v_fma_f64 v[106:107], -v[106:107], v[110:111], v[117:118]
	v_div_fmas_f64 v[106:107], v[106:107], v[108:109], v[110:111]
	v_div_fixup_f64 v[121:122], v[106:107], v[104:105], 1.0
	v_mul_f64 v[123:124], v[102:103], -v[121:122]
.LBB76_135:
	s_or_b64 exec, exec, s[18:19]
.LBB76_136:
	s_or_b64 exec, exec, s[0:1]
	v_cmp_ne_u32_e32 vcc, v100, v101
	s_and_saveexec_b64 s[0:1], vcc
	s_xor_b64 s[0:1], exec, s[0:1]
	s_cbranch_execz .LBB76_142
; %bb.137:
	v_cmp_eq_u32_e32 vcc, 6, v100
	s_and_saveexec_b64 s[18:19], vcc
	s_cbranch_execz .LBB76_141
; %bb.138:
	v_cmp_ne_u32_e32 vcc, 6, v101
	s_xor_b64 s[20:21], s[6:7], -1
	s_and_b64 s[22:23], s[20:21], vcc
	s_and_saveexec_b64 s[20:21], s[22:23]
	s_cbranch_execz .LBB76_140
; %bb.139:
	v_ashrrev_i32_e32 v102, 31, v101
	v_lshlrev_b64 v[102:103], 2, v[101:102]
	v_add_co_u32_e32 v102, vcc, v119, v102
	v_addc_co_u32_e32 v103, vcc, v120, v103, vcc
	global_load_dword v0, v[102:103], off
	global_load_dword v100, v[119:120], off offset:24
	s_waitcnt vmcnt(1)
	global_store_dword v[119:120], v0, off offset:24
	s_waitcnt vmcnt(1)
	global_store_dword v[102:103], v100, off
.LBB76_140:
	s_or_b64 exec, exec, s[20:21]
	v_mov_b32_e32 v100, v101
	v_mov_b32_e32 v0, v101
.LBB76_141:
	s_or_b64 exec, exec, s[18:19]
.LBB76_142:
	s_andn2_saveexec_b64 s[0:1], s[0:1]
	s_cbranch_execz .LBB76_144
; %bb.143:
	buffer_load_dword v100, off, s[24:27], 0 offset:96 ; 4-byte Folded Reload
	buffer_load_dword v101, off, s[24:27], 0 offset:100 ; 4-byte Folded Reload
	buffer_load_dword v102, off, s[24:27], 0 offset:104 ; 4-byte Folded Reload
	buffer_load_dword v103, off, s[24:27], 0 offset:108 ; 4-byte Folded Reload
	s_waitcnt vmcnt(0)
	ds_write2_b64 v98, v[100:101], v[102:103] offset0:14 offset1:15
	buffer_load_dword v100, off, s[24:27], 0 offset:80 ; 4-byte Folded Reload
	buffer_load_dword v101, off, s[24:27], 0 offset:84 ; 4-byte Folded Reload
	buffer_load_dword v102, off, s[24:27], 0 offset:88 ; 4-byte Folded Reload
	buffer_load_dword v103, off, s[24:27], 0 offset:92 ; 4-byte Folded Reload
	s_waitcnt vmcnt(0)
	ds_write2_b64 v98, v[100:101], v[102:103] offset0:16 offset1:17
	buffer_load_dword v100, off, s[24:27], 0 offset:64 ; 4-byte Folded Reload
	buffer_load_dword v101, off, s[24:27], 0 offset:68 ; 4-byte Folded Reload
	buffer_load_dword v102, off, s[24:27], 0 offset:72 ; 4-byte Folded Reload
	buffer_load_dword v103, off, s[24:27], 0 offset:76 ; 4-byte Folded Reload
	s_waitcnt vmcnt(0)
	ds_write2_b64 v98, v[100:101], v[102:103] offset0:18 offset1:19
	buffer_load_dword v100, off, s[24:27], 0 offset:48 ; 4-byte Folded Reload
	buffer_load_dword v101, off, s[24:27], 0 offset:52 ; 4-byte Folded Reload
	buffer_load_dword v102, off, s[24:27], 0 offset:56 ; 4-byte Folded Reload
	buffer_load_dword v103, off, s[24:27], 0 offset:60 ; 4-byte Folded Reload
	s_waitcnt vmcnt(0)
	ds_write2_b64 v98, v[100:101], v[102:103] offset0:20 offset1:21
	buffer_load_dword v100, off, s[24:27], 0 offset:32 ; 4-byte Folded Reload
	buffer_load_dword v101, off, s[24:27], 0 offset:36 ; 4-byte Folded Reload
	buffer_load_dword v102, off, s[24:27], 0 offset:40 ; 4-byte Folded Reload
	buffer_load_dword v103, off, s[24:27], 0 offset:44 ; 4-byte Folded Reload
	s_waitcnt vmcnt(0)
	ds_write2_b64 v98, v[100:101], v[102:103] offset0:22 offset1:23
	buffer_load_dword v100, off, s[24:27], 0 offset:16 ; 4-byte Folded Reload
	buffer_load_dword v101, off, s[24:27], 0 offset:20 ; 4-byte Folded Reload
	buffer_load_dword v102, off, s[24:27], 0 offset:24 ; 4-byte Folded Reload
	buffer_load_dword v103, off, s[24:27], 0 offset:28 ; 4-byte Folded Reload
	s_waitcnt vmcnt(0)
	ds_write2_b64 v98, v[100:101], v[102:103] offset0:24 offset1:25
	buffer_load_dword v100, off, s[24:27], 0 ; 4-byte Folded Reload
	buffer_load_dword v101, off, s[24:27], 0 offset:4 ; 4-byte Folded Reload
	buffer_load_dword v102, off, s[24:27], 0 offset:8 ; 4-byte Folded Reload
	buffer_load_dword v103, off, s[24:27], 0 offset:12 ; 4-byte Folded Reload
	s_waitcnt vmcnt(0)
	ds_write2_b64 v98, v[100:101], v[102:103] offset0:26 offset1:27
	ds_write2_b64 v98, v[93:94], v[95:96] offset0:28 offset1:29
	;; [unrolled: 1-line block ×26, first 2 shown]
	v_mov_b32_e32 v100, 6
.LBB76_144:
	s_or_b64 exec, exec, s[0:1]
	v_cmp_lt_i32_e32 vcc, 6, v100
	s_waitcnt vmcnt(0) lgkmcnt(0)
	s_barrier
	s_and_saveexec_b64 s[0:1], vcc
	s_cbranch_execz .LBB76_146
; %bb.145:
	buffer_load_dword v109, off, s[24:27], 0 offset:112 ; 4-byte Folded Reload
	buffer_load_dword v110, off, s[24:27], 0 offset:116 ; 4-byte Folded Reload
	;; [unrolled: 1-line block ×4, first 2 shown]
	s_waitcnt vmcnt(0)
	v_mul_f64 v[101:102], v[123:124], v[111:112]
	v_fma_f64 v[125:126], v[121:122], v[109:110], -v[101:102]
	v_mul_f64 v[101:102], v[121:122], v[111:112]
	v_fma_f64 v[111:112], v[123:124], v[109:110], v[101:102]
	ds_read2_b64 v[101:104], v98 offset0:14 offset1:15
	buffer_load_dword v107, off, s[24:27], 0 offset:96 ; 4-byte Folded Reload
	buffer_load_dword v108, off, s[24:27], 0 offset:100 ; 4-byte Folded Reload
	buffer_load_dword v109, off, s[24:27], 0 offset:104 ; 4-byte Folded Reload
	buffer_load_dword v110, off, s[24:27], 0 offset:108 ; 4-byte Folded Reload
	s_waitcnt lgkmcnt(0)
	v_mul_f64 v[105:106], v[103:104], v[111:112]
	v_fma_f64 v[105:106], v[101:102], v[125:126], -v[105:106]
	v_mul_f64 v[101:102], v[101:102], v[111:112]
	v_fma_f64 v[101:102], v[103:104], v[125:126], v[101:102]
	s_waitcnt vmcnt(2)
	v_add_f64 v[107:108], v[107:108], -v[105:106]
	s_waitcnt vmcnt(0)
	v_add_f64 v[109:110], v[109:110], -v[101:102]
	buffer_store_dword v107, off, s[24:27], 0 offset:96 ; 4-byte Folded Spill
	s_nop 0
	buffer_store_dword v108, off, s[24:27], 0 offset:100 ; 4-byte Folded Spill
	buffer_store_dword v109, off, s[24:27], 0 offset:104 ; 4-byte Folded Spill
	buffer_store_dword v110, off, s[24:27], 0 offset:108 ; 4-byte Folded Spill
	ds_read2_b64 v[101:104], v98 offset0:16 offset1:17
	buffer_load_dword v107, off, s[24:27], 0 offset:80 ; 4-byte Folded Reload
	buffer_load_dword v108, off, s[24:27], 0 offset:84 ; 4-byte Folded Reload
	buffer_load_dword v109, off, s[24:27], 0 offset:88 ; 4-byte Folded Reload
	buffer_load_dword v110, off, s[24:27], 0 offset:92 ; 4-byte Folded Reload
	s_waitcnt lgkmcnt(0)
	v_mul_f64 v[105:106], v[103:104], v[111:112]
	v_fma_f64 v[105:106], v[101:102], v[125:126], -v[105:106]
	v_mul_f64 v[101:102], v[101:102], v[111:112]
	v_fma_f64 v[101:102], v[103:104], v[125:126], v[101:102]
	s_waitcnt vmcnt(2)
	v_add_f64 v[107:108], v[107:108], -v[105:106]
	s_waitcnt vmcnt(0)
	v_add_f64 v[109:110], v[109:110], -v[101:102]
	buffer_store_dword v107, off, s[24:27], 0 offset:80 ; 4-byte Folded Spill
	s_nop 0
	buffer_store_dword v108, off, s[24:27], 0 offset:84 ; 4-byte Folded Spill
	buffer_store_dword v109, off, s[24:27], 0 offset:88 ; 4-byte Folded Spill
	buffer_store_dword v110, off, s[24:27], 0 offset:92 ; 4-byte Folded Spill
	;; [unrolled: 19-line block ×6, first 2 shown]
	ds_read2_b64 v[101:104], v98 offset0:26 offset1:27
	buffer_load_dword v107, off, s[24:27], 0 ; 4-byte Folded Reload
	buffer_load_dword v108, off, s[24:27], 0 offset:4 ; 4-byte Folded Reload
	buffer_load_dword v109, off, s[24:27], 0 offset:8 ; 4-byte Folded Reload
	;; [unrolled: 1-line block ×3, first 2 shown]
	s_waitcnt lgkmcnt(0)
	v_mul_f64 v[105:106], v[103:104], v[111:112]
	v_fma_f64 v[105:106], v[101:102], v[125:126], -v[105:106]
	v_mul_f64 v[101:102], v[101:102], v[111:112]
	v_fma_f64 v[101:102], v[103:104], v[125:126], v[101:102]
	s_waitcnt vmcnt(2)
	v_add_f64 v[107:108], v[107:108], -v[105:106]
	s_waitcnt vmcnt(0)
	v_add_f64 v[109:110], v[109:110], -v[101:102]
	buffer_store_dword v107, off, s[24:27], 0 ; 4-byte Folded Spill
	s_nop 0
	buffer_store_dword v108, off, s[24:27], 0 offset:4 ; 4-byte Folded Spill
	buffer_store_dword v109, off, s[24:27], 0 offset:8 ; 4-byte Folded Spill
	;; [unrolled: 1-line block ×3, first 2 shown]
	ds_read2_b64 v[101:104], v98 offset0:28 offset1:29
	v_mov_b32_e32 v109, v125
	v_mov_b32_e32 v110, v126
	s_waitcnt lgkmcnt(0)
	v_mul_f64 v[105:106], v[103:104], v[111:112]
	v_fma_f64 v[105:106], v[101:102], v[125:126], -v[105:106]
	v_mul_f64 v[101:102], v[101:102], v[111:112]
	v_add_f64 v[93:94], v[93:94], -v[105:106]
	v_fma_f64 v[101:102], v[103:104], v[125:126], v[101:102]
	v_add_f64 v[95:96], v[95:96], -v[101:102]
	ds_read2_b64 v[101:104], v98 offset0:30 offset1:31
	s_waitcnt lgkmcnt(0)
	v_mul_f64 v[105:106], v[103:104], v[111:112]
	v_fma_f64 v[105:106], v[101:102], v[125:126], -v[105:106]
	v_mul_f64 v[101:102], v[101:102], v[111:112]
	v_add_f64 v[89:90], v[89:90], -v[105:106]
	v_fma_f64 v[101:102], v[103:104], v[125:126], v[101:102]
	v_add_f64 v[91:92], v[91:92], -v[101:102]
	ds_read2_b64 v[101:104], v98 offset0:32 offset1:33
	;; [unrolled: 8-line block ×24, first 2 shown]
	s_waitcnt lgkmcnt(0)
	v_mul_f64 v[105:106], v[103:104], v[111:112]
	v_fma_f64 v[105:106], v[101:102], v[125:126], -v[105:106]
	v_mul_f64 v[101:102], v[101:102], v[111:112]
	buffer_store_dword v109, off, s[24:27], 0 offset:112 ; 4-byte Folded Spill
	s_nop 0
	buffer_store_dword v110, off, s[24:27], 0 offset:116 ; 4-byte Folded Spill
	buffer_store_dword v111, off, s[24:27], 0 offset:120 ; 4-byte Folded Spill
	buffer_store_dword v112, off, s[24:27], 0 offset:124 ; 4-byte Folded Spill
	v_add_f64 v[113:114], v[113:114], -v[105:106]
	v_fma_f64 v[101:102], v[103:104], v[125:126], v[101:102]
	v_add_f64 v[115:116], v[115:116], -v[101:102]
.LBB76_146:
	s_or_b64 exec, exec, s[0:1]
	s_waitcnt vmcnt(0)
	s_barrier
	buffer_load_dword v102, off, s[24:27], 0 offset:96 ; 4-byte Folded Reload
	buffer_load_dword v103, off, s[24:27], 0 offset:100 ; 4-byte Folded Reload
	;; [unrolled: 1-line block ×4, first 2 shown]
	v_lshl_add_u32 v101, v100, 4, v98
	s_cmp_lt_i32 s3, 9
	s_waitcnt vmcnt(0)
	ds_write2_b64 v101, v[102:103], v[104:105] offset1:1
	s_waitcnt lgkmcnt(0)
	s_barrier
	ds_read2_b64 v[121:124], v98 offset0:14 offset1:15
	v_mov_b32_e32 v101, 7
	s_cbranch_scc1 .LBB76_149
; %bb.147:
	v_add_u32_e32 v102, 0x80, v98
	s_mov_b32 s0, 8
	v_mov_b32_e32 v101, 7
.LBB76_148:                             ; =>This Inner Loop Header: Depth=1
	s_waitcnt lgkmcnt(0)
	v_cmp_gt_f64_e32 vcc, 0, v[121:122]
	v_xor_b32_e32 v107, 0x80000000, v122
	ds_read2_b64 v[103:106], v102 offset1:1
	v_xor_b32_e32 v109, 0x80000000, v124
	v_add_u32_e32 v102, 16, v102
	s_waitcnt lgkmcnt(0)
	v_xor_b32_e32 v111, 0x80000000, v106
	v_cndmask_b32_e32 v108, v122, v107, vcc
	v_cmp_gt_f64_e32 vcc, 0, v[123:124]
	v_mov_b32_e32 v107, v121
	v_cndmask_b32_e32 v110, v124, v109, vcc
	v_cmp_gt_f64_e32 vcc, 0, v[103:104]
	v_mov_b32_e32 v109, v123
	v_add_f64 v[107:108], v[107:108], v[109:110]
	v_xor_b32_e32 v109, 0x80000000, v104
	v_cndmask_b32_e32 v110, v104, v109, vcc
	v_cmp_gt_f64_e32 vcc, 0, v[105:106]
	v_mov_b32_e32 v109, v103
	v_cndmask_b32_e32 v112, v106, v111, vcc
	v_mov_b32_e32 v111, v105
	v_add_f64 v[109:110], v[109:110], v[111:112]
	v_cmp_lt_f64_e32 vcc, v[107:108], v[109:110]
	v_cndmask_b32_e32 v121, v121, v103, vcc
	v_mov_b32_e32 v103, s0
	s_add_i32 s0, s0, 1
	v_cndmask_b32_e32 v122, v122, v104, vcc
	v_cndmask_b32_e32 v124, v124, v106, vcc
	;; [unrolled: 1-line block ×4, first 2 shown]
	s_cmp_lg_u32 s3, s0
	s_cbranch_scc1 .LBB76_148
.LBB76_149:
	s_waitcnt lgkmcnt(0)
	v_cmp_eq_f64_e32 vcc, 0, v[121:122]
	v_cmp_eq_f64_e64 s[0:1], 0, v[123:124]
	s_and_b64 s[0:1], vcc, s[0:1]
	s_and_saveexec_b64 s[18:19], s[0:1]
	s_xor_b64 s[0:1], exec, s[18:19]
; %bb.150:
	v_cmp_ne_u32_e32 vcc, 0, v99
	v_cndmask_b32_e32 v99, 8, v99, vcc
; %bb.151:
	s_andn2_saveexec_b64 s[0:1], s[0:1]
	s_cbranch_execz .LBB76_157
; %bb.152:
	v_cmp_ngt_f64_e64 s[18:19], |v[121:122]|, |v[123:124]|
	s_and_saveexec_b64 s[20:21], s[18:19]
	s_xor_b64 s[18:19], exec, s[20:21]
	s_cbranch_execz .LBB76_154
; %bb.153:
	v_div_scale_f64 v[102:103], s[20:21], v[123:124], v[123:124], v[121:122]
	v_rcp_f64_e32 v[104:105], v[102:103]
	v_fma_f64 v[106:107], -v[102:103], v[104:105], 1.0
	v_fma_f64 v[104:105], v[104:105], v[106:107], v[104:105]
	v_div_scale_f64 v[106:107], vcc, v[121:122], v[123:124], v[121:122]
	v_fma_f64 v[108:109], -v[102:103], v[104:105], 1.0
	v_fma_f64 v[104:105], v[104:105], v[108:109], v[104:105]
	v_mul_f64 v[108:109], v[106:107], v[104:105]
	v_fma_f64 v[102:103], -v[102:103], v[108:109], v[106:107]
	v_div_fmas_f64 v[102:103], v[102:103], v[104:105], v[108:109]
	v_div_fixup_f64 v[102:103], v[102:103], v[123:124], v[121:122]
	v_fma_f64 v[104:105], v[121:122], v[102:103], v[123:124]
	v_div_scale_f64 v[106:107], s[20:21], v[104:105], v[104:105], 1.0
	v_div_scale_f64 v[117:118], vcc, 1.0, v[104:105], 1.0
	v_rcp_f64_e32 v[108:109], v[106:107]
	v_fma_f64 v[110:111], -v[106:107], v[108:109], 1.0
	v_fma_f64 v[108:109], v[108:109], v[110:111], v[108:109]
	v_fma_f64 v[110:111], -v[106:107], v[108:109], 1.0
	v_fma_f64 v[108:109], v[108:109], v[110:111], v[108:109]
	v_mul_f64 v[110:111], v[117:118], v[108:109]
	v_fma_f64 v[106:107], -v[106:107], v[110:111], v[117:118]
	v_div_fmas_f64 v[106:107], v[106:107], v[108:109], v[110:111]
	v_div_fixup_f64 v[123:124], v[106:107], v[104:105], 1.0
	v_mul_f64 v[121:122], v[102:103], v[123:124]
	v_xor_b32_e32 v124, 0x80000000, v124
.LBB76_154:
	s_andn2_saveexec_b64 s[18:19], s[18:19]
	s_cbranch_execz .LBB76_156
; %bb.155:
	v_div_scale_f64 v[102:103], s[20:21], v[121:122], v[121:122], v[123:124]
	v_rcp_f64_e32 v[104:105], v[102:103]
	v_fma_f64 v[106:107], -v[102:103], v[104:105], 1.0
	v_fma_f64 v[104:105], v[104:105], v[106:107], v[104:105]
	v_div_scale_f64 v[106:107], vcc, v[123:124], v[121:122], v[123:124]
	v_fma_f64 v[108:109], -v[102:103], v[104:105], 1.0
	v_fma_f64 v[104:105], v[104:105], v[108:109], v[104:105]
	v_mul_f64 v[108:109], v[106:107], v[104:105]
	v_fma_f64 v[102:103], -v[102:103], v[108:109], v[106:107]
	v_div_fmas_f64 v[102:103], v[102:103], v[104:105], v[108:109]
	v_div_fixup_f64 v[102:103], v[102:103], v[121:122], v[123:124]
	v_fma_f64 v[104:105], v[123:124], v[102:103], v[121:122]
	v_div_scale_f64 v[106:107], s[20:21], v[104:105], v[104:105], 1.0
	v_div_scale_f64 v[117:118], vcc, 1.0, v[104:105], 1.0
	v_rcp_f64_e32 v[108:109], v[106:107]
	v_fma_f64 v[110:111], -v[106:107], v[108:109], 1.0
	v_fma_f64 v[108:109], v[108:109], v[110:111], v[108:109]
	v_fma_f64 v[110:111], -v[106:107], v[108:109], 1.0
	v_fma_f64 v[108:109], v[108:109], v[110:111], v[108:109]
	v_mul_f64 v[110:111], v[117:118], v[108:109]
	v_fma_f64 v[106:107], -v[106:107], v[110:111], v[117:118]
	v_div_fmas_f64 v[106:107], v[106:107], v[108:109], v[110:111]
	v_div_fixup_f64 v[121:122], v[106:107], v[104:105], 1.0
	v_mul_f64 v[123:124], v[102:103], -v[121:122]
.LBB76_156:
	s_or_b64 exec, exec, s[18:19]
.LBB76_157:
	s_or_b64 exec, exec, s[0:1]
	v_cmp_ne_u32_e32 vcc, v100, v101
	s_and_saveexec_b64 s[0:1], vcc
	s_xor_b64 s[0:1], exec, s[0:1]
	s_cbranch_execz .LBB76_163
; %bb.158:
	v_cmp_eq_u32_e32 vcc, 7, v100
	s_and_saveexec_b64 s[18:19], vcc
	s_cbranch_execz .LBB76_162
; %bb.159:
	v_cmp_ne_u32_e32 vcc, 7, v101
	s_xor_b64 s[20:21], s[6:7], -1
	s_and_b64 s[22:23], s[20:21], vcc
	s_and_saveexec_b64 s[20:21], s[22:23]
	s_cbranch_execz .LBB76_161
; %bb.160:
	v_ashrrev_i32_e32 v102, 31, v101
	v_lshlrev_b64 v[102:103], 2, v[101:102]
	v_add_co_u32_e32 v102, vcc, v119, v102
	v_addc_co_u32_e32 v103, vcc, v120, v103, vcc
	global_load_dword v0, v[102:103], off
	global_load_dword v100, v[119:120], off offset:28
	s_waitcnt vmcnt(1)
	global_store_dword v[119:120], v0, off offset:28
	s_waitcnt vmcnt(1)
	global_store_dword v[102:103], v100, off
.LBB76_161:
	s_or_b64 exec, exec, s[20:21]
	v_mov_b32_e32 v100, v101
	v_mov_b32_e32 v0, v101
.LBB76_162:
	s_or_b64 exec, exec, s[18:19]
.LBB76_163:
	s_andn2_saveexec_b64 s[0:1], s[0:1]
	s_cbranch_execz .LBB76_165
; %bb.164:
	buffer_load_dword v100, off, s[24:27], 0 offset:80 ; 4-byte Folded Reload
	buffer_load_dword v101, off, s[24:27], 0 offset:84 ; 4-byte Folded Reload
	buffer_load_dword v102, off, s[24:27], 0 offset:88 ; 4-byte Folded Reload
	buffer_load_dword v103, off, s[24:27], 0 offset:92 ; 4-byte Folded Reload
	s_waitcnt vmcnt(0)
	ds_write2_b64 v98, v[100:101], v[102:103] offset0:16 offset1:17
	buffer_load_dword v100, off, s[24:27], 0 offset:64 ; 4-byte Folded Reload
	buffer_load_dword v101, off, s[24:27], 0 offset:68 ; 4-byte Folded Reload
	buffer_load_dword v102, off, s[24:27], 0 offset:72 ; 4-byte Folded Reload
	buffer_load_dword v103, off, s[24:27], 0 offset:76 ; 4-byte Folded Reload
	s_waitcnt vmcnt(0)
	ds_write2_b64 v98, v[100:101], v[102:103] offset0:18 offset1:19
	;; [unrolled: 6-line block ×5, first 2 shown]
	buffer_load_dword v100, off, s[24:27], 0 ; 4-byte Folded Reload
	buffer_load_dword v101, off, s[24:27], 0 offset:4 ; 4-byte Folded Reload
	buffer_load_dword v102, off, s[24:27], 0 offset:8 ; 4-byte Folded Reload
	;; [unrolled: 1-line block ×3, first 2 shown]
	s_waitcnt vmcnt(0)
	ds_write2_b64 v98, v[100:101], v[102:103] offset0:26 offset1:27
	ds_write2_b64 v98, v[93:94], v[95:96] offset0:28 offset1:29
	ds_write2_b64 v98, v[89:90], v[91:92] offset0:30 offset1:31
	ds_write2_b64 v98, v[85:86], v[87:88] offset0:32 offset1:33
	ds_write2_b64 v98, v[81:82], v[83:84] offset0:34 offset1:35
	ds_write2_b64 v98, v[77:78], v[79:80] offset0:36 offset1:37
	ds_write2_b64 v98, v[73:74], v[75:76] offset0:38 offset1:39
	ds_write2_b64 v98, v[69:70], v[71:72] offset0:40 offset1:41
	ds_write2_b64 v98, v[65:66], v[67:68] offset0:42 offset1:43
	ds_write2_b64 v98, v[61:62], v[63:64] offset0:44 offset1:45
	ds_write2_b64 v98, v[57:58], v[59:60] offset0:46 offset1:47
	ds_write2_b64 v98, v[53:54], v[55:56] offset0:48 offset1:49
	ds_write2_b64 v98, v[49:50], v[51:52] offset0:50 offset1:51
	ds_write2_b64 v98, v[45:46], v[47:48] offset0:52 offset1:53
	ds_write2_b64 v98, v[41:42], v[43:44] offset0:54 offset1:55
	ds_write2_b64 v98, v[37:38], v[39:40] offset0:56 offset1:57
	ds_write2_b64 v98, v[33:34], v[35:36] offset0:58 offset1:59
	ds_write2_b64 v98, v[29:30], v[31:32] offset0:60 offset1:61
	ds_write2_b64 v98, v[25:26], v[27:28] offset0:62 offset1:63
	ds_write2_b64 v98, v[21:22], v[23:24] offset0:64 offset1:65
	ds_write2_b64 v98, v[17:18], v[19:20] offset0:66 offset1:67
	ds_write2_b64 v98, v[13:14], v[15:16] offset0:68 offset1:69
	ds_write2_b64 v98, v[9:10], v[11:12] offset0:70 offset1:71
	ds_write2_b64 v98, v[5:6], v[7:8] offset0:72 offset1:73
	ds_write2_b64 v98, v[1:2], v[3:4] offset0:74 offset1:75
	ds_write2_b64 v98, v[113:114], v[115:116] offset0:76 offset1:77
	v_mov_b32_e32 v100, 7
.LBB76_165:
	s_or_b64 exec, exec, s[0:1]
	v_cmp_lt_i32_e32 vcc, 7, v100
	s_waitcnt vmcnt(0) lgkmcnt(0)
	s_barrier
	s_and_saveexec_b64 s[0:1], vcc
	s_cbranch_execz .LBB76_167
; %bb.166:
	buffer_load_dword v109, off, s[24:27], 0 offset:96 ; 4-byte Folded Reload
	buffer_load_dword v110, off, s[24:27], 0 offset:100 ; 4-byte Folded Reload
	;; [unrolled: 1-line block ×4, first 2 shown]
	s_waitcnt vmcnt(0)
	v_mul_f64 v[101:102], v[123:124], v[111:112]
	v_fma_f64 v[125:126], v[121:122], v[109:110], -v[101:102]
	v_mul_f64 v[101:102], v[121:122], v[111:112]
	v_fma_f64 v[111:112], v[123:124], v[109:110], v[101:102]
	ds_read2_b64 v[101:104], v98 offset0:16 offset1:17
	buffer_load_dword v107, off, s[24:27], 0 offset:80 ; 4-byte Folded Reload
	buffer_load_dword v108, off, s[24:27], 0 offset:84 ; 4-byte Folded Reload
	buffer_load_dword v109, off, s[24:27], 0 offset:88 ; 4-byte Folded Reload
	buffer_load_dword v110, off, s[24:27], 0 offset:92 ; 4-byte Folded Reload
	s_waitcnt lgkmcnt(0)
	v_mul_f64 v[105:106], v[103:104], v[111:112]
	v_fma_f64 v[105:106], v[101:102], v[125:126], -v[105:106]
	v_mul_f64 v[101:102], v[101:102], v[111:112]
	v_fma_f64 v[101:102], v[103:104], v[125:126], v[101:102]
	s_waitcnt vmcnt(2)
	v_add_f64 v[107:108], v[107:108], -v[105:106]
	s_waitcnt vmcnt(0)
	v_add_f64 v[109:110], v[109:110], -v[101:102]
	buffer_store_dword v107, off, s[24:27], 0 offset:80 ; 4-byte Folded Spill
	s_nop 0
	buffer_store_dword v108, off, s[24:27], 0 offset:84 ; 4-byte Folded Spill
	buffer_store_dword v109, off, s[24:27], 0 offset:88 ; 4-byte Folded Spill
	buffer_store_dword v110, off, s[24:27], 0 offset:92 ; 4-byte Folded Spill
	ds_read2_b64 v[101:104], v98 offset0:18 offset1:19
	buffer_load_dword v107, off, s[24:27], 0 offset:64 ; 4-byte Folded Reload
	buffer_load_dword v108, off, s[24:27], 0 offset:68 ; 4-byte Folded Reload
	buffer_load_dword v109, off, s[24:27], 0 offset:72 ; 4-byte Folded Reload
	buffer_load_dword v110, off, s[24:27], 0 offset:76 ; 4-byte Folded Reload
	s_waitcnt lgkmcnt(0)
	v_mul_f64 v[105:106], v[103:104], v[111:112]
	v_fma_f64 v[105:106], v[101:102], v[125:126], -v[105:106]
	v_mul_f64 v[101:102], v[101:102], v[111:112]
	v_fma_f64 v[101:102], v[103:104], v[125:126], v[101:102]
	s_waitcnt vmcnt(2)
	v_add_f64 v[107:108], v[107:108], -v[105:106]
	s_waitcnt vmcnt(0)
	v_add_f64 v[109:110], v[109:110], -v[101:102]
	buffer_store_dword v107, off, s[24:27], 0 offset:64 ; 4-byte Folded Spill
	s_nop 0
	buffer_store_dword v108, off, s[24:27], 0 offset:68 ; 4-byte Folded Spill
	buffer_store_dword v109, off, s[24:27], 0 offset:72 ; 4-byte Folded Spill
	buffer_store_dword v110, off, s[24:27], 0 offset:76 ; 4-byte Folded Spill
	;; [unrolled: 19-line block ×5, first 2 shown]
	ds_read2_b64 v[101:104], v98 offset0:26 offset1:27
	buffer_load_dword v107, off, s[24:27], 0 ; 4-byte Folded Reload
	buffer_load_dword v108, off, s[24:27], 0 offset:4 ; 4-byte Folded Reload
	buffer_load_dword v109, off, s[24:27], 0 offset:8 ; 4-byte Folded Reload
	;; [unrolled: 1-line block ×3, first 2 shown]
	s_waitcnt lgkmcnt(0)
	v_mul_f64 v[105:106], v[103:104], v[111:112]
	v_fma_f64 v[105:106], v[101:102], v[125:126], -v[105:106]
	v_mul_f64 v[101:102], v[101:102], v[111:112]
	v_fma_f64 v[101:102], v[103:104], v[125:126], v[101:102]
	s_waitcnt vmcnt(2)
	v_add_f64 v[107:108], v[107:108], -v[105:106]
	s_waitcnt vmcnt(0)
	v_add_f64 v[109:110], v[109:110], -v[101:102]
	buffer_store_dword v107, off, s[24:27], 0 ; 4-byte Folded Spill
	s_nop 0
	buffer_store_dword v108, off, s[24:27], 0 offset:4 ; 4-byte Folded Spill
	buffer_store_dword v109, off, s[24:27], 0 offset:8 ; 4-byte Folded Spill
	;; [unrolled: 1-line block ×3, first 2 shown]
	ds_read2_b64 v[101:104], v98 offset0:28 offset1:29
	v_mov_b32_e32 v109, v125
	v_mov_b32_e32 v110, v126
	s_waitcnt lgkmcnt(0)
	v_mul_f64 v[105:106], v[103:104], v[111:112]
	v_fma_f64 v[105:106], v[101:102], v[125:126], -v[105:106]
	v_mul_f64 v[101:102], v[101:102], v[111:112]
	v_add_f64 v[93:94], v[93:94], -v[105:106]
	v_fma_f64 v[101:102], v[103:104], v[125:126], v[101:102]
	v_add_f64 v[95:96], v[95:96], -v[101:102]
	ds_read2_b64 v[101:104], v98 offset0:30 offset1:31
	s_waitcnt lgkmcnt(0)
	v_mul_f64 v[105:106], v[103:104], v[111:112]
	v_fma_f64 v[105:106], v[101:102], v[125:126], -v[105:106]
	v_mul_f64 v[101:102], v[101:102], v[111:112]
	v_add_f64 v[89:90], v[89:90], -v[105:106]
	v_fma_f64 v[101:102], v[103:104], v[125:126], v[101:102]
	v_add_f64 v[91:92], v[91:92], -v[101:102]
	ds_read2_b64 v[101:104], v98 offset0:32 offset1:33
	s_waitcnt lgkmcnt(0)
	v_mul_f64 v[105:106], v[103:104], v[111:112]
	v_fma_f64 v[105:106], v[101:102], v[125:126], -v[105:106]
	v_mul_f64 v[101:102], v[101:102], v[111:112]
	v_add_f64 v[85:86], v[85:86], -v[105:106]
	v_fma_f64 v[101:102], v[103:104], v[125:126], v[101:102]
	v_add_f64 v[87:88], v[87:88], -v[101:102]
	ds_read2_b64 v[101:104], v98 offset0:34 offset1:35
	s_waitcnt lgkmcnt(0)
	v_mul_f64 v[105:106], v[103:104], v[111:112]
	v_fma_f64 v[105:106], v[101:102], v[125:126], -v[105:106]
	v_mul_f64 v[101:102], v[101:102], v[111:112]
	v_add_f64 v[81:82], v[81:82], -v[105:106]
	v_fma_f64 v[101:102], v[103:104], v[125:126], v[101:102]
	v_add_f64 v[83:84], v[83:84], -v[101:102]
	ds_read2_b64 v[101:104], v98 offset0:36 offset1:37
	s_waitcnt lgkmcnt(0)
	v_mul_f64 v[105:106], v[103:104], v[111:112]
	v_fma_f64 v[105:106], v[101:102], v[125:126], -v[105:106]
	v_mul_f64 v[101:102], v[101:102], v[111:112]
	v_add_f64 v[77:78], v[77:78], -v[105:106]
	v_fma_f64 v[101:102], v[103:104], v[125:126], v[101:102]
	v_add_f64 v[79:80], v[79:80], -v[101:102]
	ds_read2_b64 v[101:104], v98 offset0:38 offset1:39
	s_waitcnt lgkmcnt(0)
	v_mul_f64 v[105:106], v[103:104], v[111:112]
	v_fma_f64 v[105:106], v[101:102], v[125:126], -v[105:106]
	v_mul_f64 v[101:102], v[101:102], v[111:112]
	v_add_f64 v[73:74], v[73:74], -v[105:106]
	v_fma_f64 v[101:102], v[103:104], v[125:126], v[101:102]
	v_add_f64 v[75:76], v[75:76], -v[101:102]
	ds_read2_b64 v[101:104], v98 offset0:40 offset1:41
	s_waitcnt lgkmcnt(0)
	v_mul_f64 v[105:106], v[103:104], v[111:112]
	v_fma_f64 v[105:106], v[101:102], v[125:126], -v[105:106]
	v_mul_f64 v[101:102], v[101:102], v[111:112]
	v_add_f64 v[69:70], v[69:70], -v[105:106]
	v_fma_f64 v[101:102], v[103:104], v[125:126], v[101:102]
	v_add_f64 v[71:72], v[71:72], -v[101:102]
	ds_read2_b64 v[101:104], v98 offset0:42 offset1:43
	s_waitcnt lgkmcnt(0)
	v_mul_f64 v[105:106], v[103:104], v[111:112]
	v_fma_f64 v[105:106], v[101:102], v[125:126], -v[105:106]
	v_mul_f64 v[101:102], v[101:102], v[111:112]
	v_add_f64 v[65:66], v[65:66], -v[105:106]
	v_fma_f64 v[101:102], v[103:104], v[125:126], v[101:102]
	v_add_f64 v[67:68], v[67:68], -v[101:102]
	ds_read2_b64 v[101:104], v98 offset0:44 offset1:45
	s_waitcnt lgkmcnt(0)
	v_mul_f64 v[105:106], v[103:104], v[111:112]
	v_fma_f64 v[105:106], v[101:102], v[125:126], -v[105:106]
	v_mul_f64 v[101:102], v[101:102], v[111:112]
	v_add_f64 v[61:62], v[61:62], -v[105:106]
	v_fma_f64 v[101:102], v[103:104], v[125:126], v[101:102]
	v_add_f64 v[63:64], v[63:64], -v[101:102]
	ds_read2_b64 v[101:104], v98 offset0:46 offset1:47
	s_waitcnt lgkmcnt(0)
	v_mul_f64 v[105:106], v[103:104], v[111:112]
	v_fma_f64 v[105:106], v[101:102], v[125:126], -v[105:106]
	v_mul_f64 v[101:102], v[101:102], v[111:112]
	v_add_f64 v[57:58], v[57:58], -v[105:106]
	v_fma_f64 v[101:102], v[103:104], v[125:126], v[101:102]
	v_add_f64 v[59:60], v[59:60], -v[101:102]
	ds_read2_b64 v[101:104], v98 offset0:48 offset1:49
	s_waitcnt lgkmcnt(0)
	v_mul_f64 v[105:106], v[103:104], v[111:112]
	v_fma_f64 v[105:106], v[101:102], v[125:126], -v[105:106]
	v_mul_f64 v[101:102], v[101:102], v[111:112]
	v_add_f64 v[53:54], v[53:54], -v[105:106]
	v_fma_f64 v[101:102], v[103:104], v[125:126], v[101:102]
	v_add_f64 v[55:56], v[55:56], -v[101:102]
	ds_read2_b64 v[101:104], v98 offset0:50 offset1:51
	s_waitcnt lgkmcnt(0)
	v_mul_f64 v[105:106], v[103:104], v[111:112]
	v_fma_f64 v[105:106], v[101:102], v[125:126], -v[105:106]
	v_mul_f64 v[101:102], v[101:102], v[111:112]
	v_add_f64 v[49:50], v[49:50], -v[105:106]
	v_fma_f64 v[101:102], v[103:104], v[125:126], v[101:102]
	v_add_f64 v[51:52], v[51:52], -v[101:102]
	ds_read2_b64 v[101:104], v98 offset0:52 offset1:53
	s_waitcnt lgkmcnt(0)
	v_mul_f64 v[105:106], v[103:104], v[111:112]
	v_fma_f64 v[105:106], v[101:102], v[125:126], -v[105:106]
	v_mul_f64 v[101:102], v[101:102], v[111:112]
	v_add_f64 v[45:46], v[45:46], -v[105:106]
	v_fma_f64 v[101:102], v[103:104], v[125:126], v[101:102]
	v_add_f64 v[47:48], v[47:48], -v[101:102]
	ds_read2_b64 v[101:104], v98 offset0:54 offset1:55
	s_waitcnt lgkmcnt(0)
	v_mul_f64 v[105:106], v[103:104], v[111:112]
	v_fma_f64 v[105:106], v[101:102], v[125:126], -v[105:106]
	v_mul_f64 v[101:102], v[101:102], v[111:112]
	v_add_f64 v[41:42], v[41:42], -v[105:106]
	v_fma_f64 v[101:102], v[103:104], v[125:126], v[101:102]
	v_add_f64 v[43:44], v[43:44], -v[101:102]
	ds_read2_b64 v[101:104], v98 offset0:56 offset1:57
	s_waitcnt lgkmcnt(0)
	v_mul_f64 v[105:106], v[103:104], v[111:112]
	v_fma_f64 v[105:106], v[101:102], v[125:126], -v[105:106]
	v_mul_f64 v[101:102], v[101:102], v[111:112]
	v_add_f64 v[37:38], v[37:38], -v[105:106]
	v_fma_f64 v[101:102], v[103:104], v[125:126], v[101:102]
	v_add_f64 v[39:40], v[39:40], -v[101:102]
	ds_read2_b64 v[101:104], v98 offset0:58 offset1:59
	s_waitcnt lgkmcnt(0)
	v_mul_f64 v[105:106], v[103:104], v[111:112]
	v_fma_f64 v[105:106], v[101:102], v[125:126], -v[105:106]
	v_mul_f64 v[101:102], v[101:102], v[111:112]
	v_add_f64 v[33:34], v[33:34], -v[105:106]
	v_fma_f64 v[101:102], v[103:104], v[125:126], v[101:102]
	v_add_f64 v[35:36], v[35:36], -v[101:102]
	ds_read2_b64 v[101:104], v98 offset0:60 offset1:61
	s_waitcnt lgkmcnt(0)
	v_mul_f64 v[105:106], v[103:104], v[111:112]
	v_fma_f64 v[105:106], v[101:102], v[125:126], -v[105:106]
	v_mul_f64 v[101:102], v[101:102], v[111:112]
	v_add_f64 v[29:30], v[29:30], -v[105:106]
	v_fma_f64 v[101:102], v[103:104], v[125:126], v[101:102]
	v_add_f64 v[31:32], v[31:32], -v[101:102]
	ds_read2_b64 v[101:104], v98 offset0:62 offset1:63
	s_waitcnt lgkmcnt(0)
	v_mul_f64 v[105:106], v[103:104], v[111:112]
	v_fma_f64 v[105:106], v[101:102], v[125:126], -v[105:106]
	v_mul_f64 v[101:102], v[101:102], v[111:112]
	v_add_f64 v[25:26], v[25:26], -v[105:106]
	v_fma_f64 v[101:102], v[103:104], v[125:126], v[101:102]
	v_add_f64 v[27:28], v[27:28], -v[101:102]
	ds_read2_b64 v[101:104], v98 offset0:64 offset1:65
	s_waitcnt lgkmcnt(0)
	v_mul_f64 v[105:106], v[103:104], v[111:112]
	v_fma_f64 v[105:106], v[101:102], v[125:126], -v[105:106]
	v_mul_f64 v[101:102], v[101:102], v[111:112]
	v_add_f64 v[21:22], v[21:22], -v[105:106]
	v_fma_f64 v[101:102], v[103:104], v[125:126], v[101:102]
	v_add_f64 v[23:24], v[23:24], -v[101:102]
	ds_read2_b64 v[101:104], v98 offset0:66 offset1:67
	s_waitcnt lgkmcnt(0)
	v_mul_f64 v[105:106], v[103:104], v[111:112]
	v_fma_f64 v[105:106], v[101:102], v[125:126], -v[105:106]
	v_mul_f64 v[101:102], v[101:102], v[111:112]
	v_add_f64 v[17:18], v[17:18], -v[105:106]
	v_fma_f64 v[101:102], v[103:104], v[125:126], v[101:102]
	v_add_f64 v[19:20], v[19:20], -v[101:102]
	ds_read2_b64 v[101:104], v98 offset0:68 offset1:69
	s_waitcnt lgkmcnt(0)
	v_mul_f64 v[105:106], v[103:104], v[111:112]
	v_fma_f64 v[105:106], v[101:102], v[125:126], -v[105:106]
	v_mul_f64 v[101:102], v[101:102], v[111:112]
	v_add_f64 v[13:14], v[13:14], -v[105:106]
	v_fma_f64 v[101:102], v[103:104], v[125:126], v[101:102]
	v_add_f64 v[15:16], v[15:16], -v[101:102]
	ds_read2_b64 v[101:104], v98 offset0:70 offset1:71
	s_waitcnt lgkmcnt(0)
	v_mul_f64 v[105:106], v[103:104], v[111:112]
	v_fma_f64 v[105:106], v[101:102], v[125:126], -v[105:106]
	v_mul_f64 v[101:102], v[101:102], v[111:112]
	v_add_f64 v[9:10], v[9:10], -v[105:106]
	v_fma_f64 v[101:102], v[103:104], v[125:126], v[101:102]
	v_add_f64 v[11:12], v[11:12], -v[101:102]
	ds_read2_b64 v[101:104], v98 offset0:72 offset1:73
	s_waitcnt lgkmcnt(0)
	v_mul_f64 v[105:106], v[103:104], v[111:112]
	v_fma_f64 v[105:106], v[101:102], v[125:126], -v[105:106]
	v_mul_f64 v[101:102], v[101:102], v[111:112]
	v_add_f64 v[5:6], v[5:6], -v[105:106]
	v_fma_f64 v[101:102], v[103:104], v[125:126], v[101:102]
	v_add_f64 v[7:8], v[7:8], -v[101:102]
	ds_read2_b64 v[101:104], v98 offset0:74 offset1:75
	s_waitcnt lgkmcnt(0)
	v_mul_f64 v[105:106], v[103:104], v[111:112]
	v_fma_f64 v[105:106], v[101:102], v[125:126], -v[105:106]
	v_mul_f64 v[101:102], v[101:102], v[111:112]
	v_add_f64 v[1:2], v[1:2], -v[105:106]
	v_fma_f64 v[101:102], v[103:104], v[125:126], v[101:102]
	v_add_f64 v[3:4], v[3:4], -v[101:102]
	ds_read2_b64 v[101:104], v98 offset0:76 offset1:77
	s_waitcnt lgkmcnt(0)
	v_mul_f64 v[105:106], v[103:104], v[111:112]
	v_fma_f64 v[105:106], v[101:102], v[125:126], -v[105:106]
	v_mul_f64 v[101:102], v[101:102], v[111:112]
	buffer_store_dword v109, off, s[24:27], 0 offset:96 ; 4-byte Folded Spill
	s_nop 0
	buffer_store_dword v110, off, s[24:27], 0 offset:100 ; 4-byte Folded Spill
	buffer_store_dword v111, off, s[24:27], 0 offset:104 ; 4-byte Folded Spill
	;; [unrolled: 1-line block ×3, first 2 shown]
	v_add_f64 v[113:114], v[113:114], -v[105:106]
	v_fma_f64 v[101:102], v[103:104], v[125:126], v[101:102]
	v_add_f64 v[115:116], v[115:116], -v[101:102]
.LBB76_167:
	s_or_b64 exec, exec, s[0:1]
	s_waitcnt vmcnt(0)
	s_barrier
	buffer_load_dword v102, off, s[24:27], 0 offset:80 ; 4-byte Folded Reload
	buffer_load_dword v103, off, s[24:27], 0 offset:84 ; 4-byte Folded Reload
	;; [unrolled: 1-line block ×4, first 2 shown]
	v_lshl_add_u32 v101, v100, 4, v98
	s_cmp_lt_i32 s3, 10
	s_waitcnt vmcnt(0)
	ds_write2_b64 v101, v[102:103], v[104:105] offset1:1
	s_waitcnt lgkmcnt(0)
	s_barrier
	ds_read2_b64 v[121:124], v98 offset0:16 offset1:17
	v_mov_b32_e32 v101, 8
	s_cbranch_scc1 .LBB76_170
; %bb.168:
	v_add_u32_e32 v102, 0x90, v98
	s_mov_b32 s0, 9
	v_mov_b32_e32 v101, 8
.LBB76_169:                             ; =>This Inner Loop Header: Depth=1
	s_waitcnt lgkmcnt(0)
	v_cmp_gt_f64_e32 vcc, 0, v[121:122]
	v_xor_b32_e32 v107, 0x80000000, v122
	ds_read2_b64 v[103:106], v102 offset1:1
	v_xor_b32_e32 v109, 0x80000000, v124
	v_add_u32_e32 v102, 16, v102
	s_waitcnt lgkmcnt(0)
	v_xor_b32_e32 v111, 0x80000000, v106
	v_cndmask_b32_e32 v108, v122, v107, vcc
	v_cmp_gt_f64_e32 vcc, 0, v[123:124]
	v_mov_b32_e32 v107, v121
	v_cndmask_b32_e32 v110, v124, v109, vcc
	v_cmp_gt_f64_e32 vcc, 0, v[103:104]
	v_mov_b32_e32 v109, v123
	v_add_f64 v[107:108], v[107:108], v[109:110]
	v_xor_b32_e32 v109, 0x80000000, v104
	v_cndmask_b32_e32 v110, v104, v109, vcc
	v_cmp_gt_f64_e32 vcc, 0, v[105:106]
	v_mov_b32_e32 v109, v103
	v_cndmask_b32_e32 v112, v106, v111, vcc
	v_mov_b32_e32 v111, v105
	v_add_f64 v[109:110], v[109:110], v[111:112]
	v_cmp_lt_f64_e32 vcc, v[107:108], v[109:110]
	v_cndmask_b32_e32 v121, v121, v103, vcc
	v_mov_b32_e32 v103, s0
	s_add_i32 s0, s0, 1
	v_cndmask_b32_e32 v122, v122, v104, vcc
	v_cndmask_b32_e32 v124, v124, v106, vcc
	;; [unrolled: 1-line block ×4, first 2 shown]
	s_cmp_lg_u32 s3, s0
	s_cbranch_scc1 .LBB76_169
.LBB76_170:
	s_waitcnt lgkmcnt(0)
	v_cmp_eq_f64_e32 vcc, 0, v[121:122]
	v_cmp_eq_f64_e64 s[0:1], 0, v[123:124]
	s_and_b64 s[0:1], vcc, s[0:1]
	s_and_saveexec_b64 s[18:19], s[0:1]
	s_xor_b64 s[0:1], exec, s[18:19]
; %bb.171:
	v_cmp_ne_u32_e32 vcc, 0, v99
	v_cndmask_b32_e32 v99, 9, v99, vcc
; %bb.172:
	s_andn2_saveexec_b64 s[0:1], s[0:1]
	s_cbranch_execz .LBB76_178
; %bb.173:
	v_cmp_ngt_f64_e64 s[18:19], |v[121:122]|, |v[123:124]|
	s_and_saveexec_b64 s[20:21], s[18:19]
	s_xor_b64 s[18:19], exec, s[20:21]
	s_cbranch_execz .LBB76_175
; %bb.174:
	v_div_scale_f64 v[102:103], s[20:21], v[123:124], v[123:124], v[121:122]
	v_rcp_f64_e32 v[104:105], v[102:103]
	v_fma_f64 v[106:107], -v[102:103], v[104:105], 1.0
	v_fma_f64 v[104:105], v[104:105], v[106:107], v[104:105]
	v_div_scale_f64 v[106:107], vcc, v[121:122], v[123:124], v[121:122]
	v_fma_f64 v[108:109], -v[102:103], v[104:105], 1.0
	v_fma_f64 v[104:105], v[104:105], v[108:109], v[104:105]
	v_mul_f64 v[108:109], v[106:107], v[104:105]
	v_fma_f64 v[102:103], -v[102:103], v[108:109], v[106:107]
	v_div_fmas_f64 v[102:103], v[102:103], v[104:105], v[108:109]
	v_div_fixup_f64 v[102:103], v[102:103], v[123:124], v[121:122]
	v_fma_f64 v[104:105], v[121:122], v[102:103], v[123:124]
	v_div_scale_f64 v[106:107], s[20:21], v[104:105], v[104:105], 1.0
	v_div_scale_f64 v[117:118], vcc, 1.0, v[104:105], 1.0
	v_rcp_f64_e32 v[108:109], v[106:107]
	v_fma_f64 v[110:111], -v[106:107], v[108:109], 1.0
	v_fma_f64 v[108:109], v[108:109], v[110:111], v[108:109]
	v_fma_f64 v[110:111], -v[106:107], v[108:109], 1.0
	v_fma_f64 v[108:109], v[108:109], v[110:111], v[108:109]
	v_mul_f64 v[110:111], v[117:118], v[108:109]
	v_fma_f64 v[106:107], -v[106:107], v[110:111], v[117:118]
	v_div_fmas_f64 v[106:107], v[106:107], v[108:109], v[110:111]
	v_div_fixup_f64 v[123:124], v[106:107], v[104:105], 1.0
	v_mul_f64 v[121:122], v[102:103], v[123:124]
	v_xor_b32_e32 v124, 0x80000000, v124
.LBB76_175:
	s_andn2_saveexec_b64 s[18:19], s[18:19]
	s_cbranch_execz .LBB76_177
; %bb.176:
	v_div_scale_f64 v[102:103], s[20:21], v[121:122], v[121:122], v[123:124]
	v_rcp_f64_e32 v[104:105], v[102:103]
	v_fma_f64 v[106:107], -v[102:103], v[104:105], 1.0
	v_fma_f64 v[104:105], v[104:105], v[106:107], v[104:105]
	v_div_scale_f64 v[106:107], vcc, v[123:124], v[121:122], v[123:124]
	v_fma_f64 v[108:109], -v[102:103], v[104:105], 1.0
	v_fma_f64 v[104:105], v[104:105], v[108:109], v[104:105]
	v_mul_f64 v[108:109], v[106:107], v[104:105]
	v_fma_f64 v[102:103], -v[102:103], v[108:109], v[106:107]
	v_div_fmas_f64 v[102:103], v[102:103], v[104:105], v[108:109]
	v_div_fixup_f64 v[102:103], v[102:103], v[121:122], v[123:124]
	v_fma_f64 v[104:105], v[123:124], v[102:103], v[121:122]
	v_div_scale_f64 v[106:107], s[20:21], v[104:105], v[104:105], 1.0
	v_div_scale_f64 v[117:118], vcc, 1.0, v[104:105], 1.0
	v_rcp_f64_e32 v[108:109], v[106:107]
	v_fma_f64 v[110:111], -v[106:107], v[108:109], 1.0
	v_fma_f64 v[108:109], v[108:109], v[110:111], v[108:109]
	v_fma_f64 v[110:111], -v[106:107], v[108:109], 1.0
	v_fma_f64 v[108:109], v[108:109], v[110:111], v[108:109]
	v_mul_f64 v[110:111], v[117:118], v[108:109]
	v_fma_f64 v[106:107], -v[106:107], v[110:111], v[117:118]
	v_div_fmas_f64 v[106:107], v[106:107], v[108:109], v[110:111]
	v_div_fixup_f64 v[121:122], v[106:107], v[104:105], 1.0
	v_mul_f64 v[123:124], v[102:103], -v[121:122]
.LBB76_177:
	s_or_b64 exec, exec, s[18:19]
.LBB76_178:
	s_or_b64 exec, exec, s[0:1]
	v_cmp_ne_u32_e32 vcc, v100, v101
	s_and_saveexec_b64 s[0:1], vcc
	s_xor_b64 s[0:1], exec, s[0:1]
	s_cbranch_execz .LBB76_184
; %bb.179:
	v_cmp_eq_u32_e32 vcc, 8, v100
	s_and_saveexec_b64 s[18:19], vcc
	s_cbranch_execz .LBB76_183
; %bb.180:
	v_cmp_ne_u32_e32 vcc, 8, v101
	s_xor_b64 s[20:21], s[6:7], -1
	s_and_b64 s[22:23], s[20:21], vcc
	s_and_saveexec_b64 s[20:21], s[22:23]
	s_cbranch_execz .LBB76_182
; %bb.181:
	v_ashrrev_i32_e32 v102, 31, v101
	v_lshlrev_b64 v[102:103], 2, v[101:102]
	v_add_co_u32_e32 v102, vcc, v119, v102
	v_addc_co_u32_e32 v103, vcc, v120, v103, vcc
	global_load_dword v0, v[102:103], off
	global_load_dword v100, v[119:120], off offset:32
	s_waitcnt vmcnt(1)
	global_store_dword v[119:120], v0, off offset:32
	s_waitcnt vmcnt(1)
	global_store_dword v[102:103], v100, off
.LBB76_182:
	s_or_b64 exec, exec, s[20:21]
	v_mov_b32_e32 v100, v101
	v_mov_b32_e32 v0, v101
.LBB76_183:
	s_or_b64 exec, exec, s[18:19]
.LBB76_184:
	s_andn2_saveexec_b64 s[0:1], s[0:1]
	s_cbranch_execz .LBB76_186
; %bb.185:
	buffer_load_dword v100, off, s[24:27], 0 offset:64 ; 4-byte Folded Reload
	buffer_load_dword v101, off, s[24:27], 0 offset:68 ; 4-byte Folded Reload
	buffer_load_dword v102, off, s[24:27], 0 offset:72 ; 4-byte Folded Reload
	buffer_load_dword v103, off, s[24:27], 0 offset:76 ; 4-byte Folded Reload
	s_waitcnt vmcnt(0)
	ds_write2_b64 v98, v[100:101], v[102:103] offset0:18 offset1:19
	buffer_load_dword v100, off, s[24:27], 0 offset:48 ; 4-byte Folded Reload
	buffer_load_dword v101, off, s[24:27], 0 offset:52 ; 4-byte Folded Reload
	buffer_load_dword v102, off, s[24:27], 0 offset:56 ; 4-byte Folded Reload
	buffer_load_dword v103, off, s[24:27], 0 offset:60 ; 4-byte Folded Reload
	s_waitcnt vmcnt(0)
	ds_write2_b64 v98, v[100:101], v[102:103] offset0:20 offset1:21
	;; [unrolled: 6-line block ×4, first 2 shown]
	buffer_load_dword v100, off, s[24:27], 0 ; 4-byte Folded Reload
	buffer_load_dword v101, off, s[24:27], 0 offset:4 ; 4-byte Folded Reload
	buffer_load_dword v102, off, s[24:27], 0 offset:8 ; 4-byte Folded Reload
	;; [unrolled: 1-line block ×3, first 2 shown]
	s_waitcnt vmcnt(0)
	ds_write2_b64 v98, v[100:101], v[102:103] offset0:26 offset1:27
	ds_write2_b64 v98, v[93:94], v[95:96] offset0:28 offset1:29
	;; [unrolled: 1-line block ×26, first 2 shown]
	v_mov_b32_e32 v100, 8
.LBB76_186:
	s_or_b64 exec, exec, s[0:1]
	v_cmp_lt_i32_e32 vcc, 8, v100
	s_waitcnt vmcnt(0) lgkmcnt(0)
	s_barrier
	s_and_saveexec_b64 s[0:1], vcc
	s_cbranch_execz .LBB76_188
; %bb.187:
	buffer_load_dword v109, off, s[24:27], 0 offset:80 ; 4-byte Folded Reload
	buffer_load_dword v110, off, s[24:27], 0 offset:84 ; 4-byte Folded Reload
	;; [unrolled: 1-line block ×4, first 2 shown]
	s_waitcnt vmcnt(0)
	v_mul_f64 v[101:102], v[123:124], v[111:112]
	v_fma_f64 v[125:126], v[121:122], v[109:110], -v[101:102]
	v_mul_f64 v[101:102], v[121:122], v[111:112]
	v_fma_f64 v[111:112], v[123:124], v[109:110], v[101:102]
	ds_read2_b64 v[101:104], v98 offset0:18 offset1:19
	buffer_load_dword v107, off, s[24:27], 0 offset:64 ; 4-byte Folded Reload
	buffer_load_dword v108, off, s[24:27], 0 offset:68 ; 4-byte Folded Reload
	buffer_load_dword v109, off, s[24:27], 0 offset:72 ; 4-byte Folded Reload
	buffer_load_dword v110, off, s[24:27], 0 offset:76 ; 4-byte Folded Reload
	s_waitcnt lgkmcnt(0)
	v_mul_f64 v[105:106], v[103:104], v[111:112]
	v_fma_f64 v[105:106], v[101:102], v[125:126], -v[105:106]
	v_mul_f64 v[101:102], v[101:102], v[111:112]
	v_fma_f64 v[101:102], v[103:104], v[125:126], v[101:102]
	s_waitcnt vmcnt(2)
	v_add_f64 v[107:108], v[107:108], -v[105:106]
	s_waitcnt vmcnt(0)
	v_add_f64 v[109:110], v[109:110], -v[101:102]
	buffer_store_dword v107, off, s[24:27], 0 offset:64 ; 4-byte Folded Spill
	s_nop 0
	buffer_store_dword v108, off, s[24:27], 0 offset:68 ; 4-byte Folded Spill
	buffer_store_dword v109, off, s[24:27], 0 offset:72 ; 4-byte Folded Spill
	buffer_store_dword v110, off, s[24:27], 0 offset:76 ; 4-byte Folded Spill
	ds_read2_b64 v[101:104], v98 offset0:20 offset1:21
	buffer_load_dword v107, off, s[24:27], 0 offset:48 ; 4-byte Folded Reload
	buffer_load_dword v108, off, s[24:27], 0 offset:52 ; 4-byte Folded Reload
	buffer_load_dword v109, off, s[24:27], 0 offset:56 ; 4-byte Folded Reload
	buffer_load_dword v110, off, s[24:27], 0 offset:60 ; 4-byte Folded Reload
	s_waitcnt lgkmcnt(0)
	v_mul_f64 v[105:106], v[103:104], v[111:112]
	v_fma_f64 v[105:106], v[101:102], v[125:126], -v[105:106]
	v_mul_f64 v[101:102], v[101:102], v[111:112]
	v_fma_f64 v[101:102], v[103:104], v[125:126], v[101:102]
	s_waitcnt vmcnt(2)
	v_add_f64 v[107:108], v[107:108], -v[105:106]
	s_waitcnt vmcnt(0)
	v_add_f64 v[109:110], v[109:110], -v[101:102]
	buffer_store_dword v107, off, s[24:27], 0 offset:48 ; 4-byte Folded Spill
	s_nop 0
	buffer_store_dword v108, off, s[24:27], 0 offset:52 ; 4-byte Folded Spill
	buffer_store_dword v109, off, s[24:27], 0 offset:56 ; 4-byte Folded Spill
	buffer_store_dword v110, off, s[24:27], 0 offset:60 ; 4-byte Folded Spill
	;; [unrolled: 19-line block ×4, first 2 shown]
	ds_read2_b64 v[101:104], v98 offset0:26 offset1:27
	buffer_load_dword v107, off, s[24:27], 0 ; 4-byte Folded Reload
	buffer_load_dword v108, off, s[24:27], 0 offset:4 ; 4-byte Folded Reload
	buffer_load_dword v109, off, s[24:27], 0 offset:8 ; 4-byte Folded Reload
	;; [unrolled: 1-line block ×3, first 2 shown]
	s_waitcnt lgkmcnt(0)
	v_mul_f64 v[105:106], v[103:104], v[111:112]
	v_fma_f64 v[105:106], v[101:102], v[125:126], -v[105:106]
	v_mul_f64 v[101:102], v[101:102], v[111:112]
	v_fma_f64 v[101:102], v[103:104], v[125:126], v[101:102]
	s_waitcnt vmcnt(2)
	v_add_f64 v[107:108], v[107:108], -v[105:106]
	s_waitcnt vmcnt(0)
	v_add_f64 v[109:110], v[109:110], -v[101:102]
	buffer_store_dword v107, off, s[24:27], 0 ; 4-byte Folded Spill
	s_nop 0
	buffer_store_dword v108, off, s[24:27], 0 offset:4 ; 4-byte Folded Spill
	buffer_store_dword v109, off, s[24:27], 0 offset:8 ; 4-byte Folded Spill
	;; [unrolled: 1-line block ×3, first 2 shown]
	ds_read2_b64 v[101:104], v98 offset0:28 offset1:29
	v_mov_b32_e32 v109, v125
	v_mov_b32_e32 v110, v126
	s_waitcnt lgkmcnt(0)
	v_mul_f64 v[105:106], v[103:104], v[111:112]
	v_fma_f64 v[105:106], v[101:102], v[125:126], -v[105:106]
	v_mul_f64 v[101:102], v[101:102], v[111:112]
	v_add_f64 v[93:94], v[93:94], -v[105:106]
	v_fma_f64 v[101:102], v[103:104], v[125:126], v[101:102]
	v_add_f64 v[95:96], v[95:96], -v[101:102]
	ds_read2_b64 v[101:104], v98 offset0:30 offset1:31
	s_waitcnt lgkmcnt(0)
	v_mul_f64 v[105:106], v[103:104], v[111:112]
	v_fma_f64 v[105:106], v[101:102], v[125:126], -v[105:106]
	v_mul_f64 v[101:102], v[101:102], v[111:112]
	v_add_f64 v[89:90], v[89:90], -v[105:106]
	v_fma_f64 v[101:102], v[103:104], v[125:126], v[101:102]
	v_add_f64 v[91:92], v[91:92], -v[101:102]
	ds_read2_b64 v[101:104], v98 offset0:32 offset1:33
	;; [unrolled: 8-line block ×24, first 2 shown]
	s_waitcnt lgkmcnt(0)
	v_mul_f64 v[105:106], v[103:104], v[111:112]
	v_fma_f64 v[105:106], v[101:102], v[125:126], -v[105:106]
	v_mul_f64 v[101:102], v[101:102], v[111:112]
	buffer_store_dword v109, off, s[24:27], 0 offset:80 ; 4-byte Folded Spill
	s_nop 0
	buffer_store_dword v110, off, s[24:27], 0 offset:84 ; 4-byte Folded Spill
	buffer_store_dword v111, off, s[24:27], 0 offset:88 ; 4-byte Folded Spill
	;; [unrolled: 1-line block ×3, first 2 shown]
	v_add_f64 v[113:114], v[113:114], -v[105:106]
	v_fma_f64 v[101:102], v[103:104], v[125:126], v[101:102]
	v_add_f64 v[115:116], v[115:116], -v[101:102]
.LBB76_188:
	s_or_b64 exec, exec, s[0:1]
	s_waitcnt vmcnt(0)
	s_barrier
	buffer_load_dword v102, off, s[24:27], 0 offset:64 ; 4-byte Folded Reload
	buffer_load_dword v103, off, s[24:27], 0 offset:68 ; 4-byte Folded Reload
	;; [unrolled: 1-line block ×4, first 2 shown]
	v_lshl_add_u32 v101, v100, 4, v98
	s_cmp_lt_i32 s3, 11
	s_waitcnt vmcnt(0)
	ds_write2_b64 v101, v[102:103], v[104:105] offset1:1
	s_waitcnt lgkmcnt(0)
	s_barrier
	ds_read2_b64 v[121:124], v98 offset0:18 offset1:19
	v_mov_b32_e32 v101, 9
	s_cbranch_scc1 .LBB76_191
; %bb.189:
	v_add_u32_e32 v102, 0xa0, v98
	s_mov_b32 s0, 10
	v_mov_b32_e32 v101, 9
.LBB76_190:                             ; =>This Inner Loop Header: Depth=1
	s_waitcnt lgkmcnt(0)
	v_cmp_gt_f64_e32 vcc, 0, v[121:122]
	v_xor_b32_e32 v107, 0x80000000, v122
	ds_read2_b64 v[103:106], v102 offset1:1
	v_xor_b32_e32 v109, 0x80000000, v124
	v_add_u32_e32 v102, 16, v102
	s_waitcnt lgkmcnt(0)
	v_xor_b32_e32 v111, 0x80000000, v106
	v_cndmask_b32_e32 v108, v122, v107, vcc
	v_cmp_gt_f64_e32 vcc, 0, v[123:124]
	v_mov_b32_e32 v107, v121
	v_cndmask_b32_e32 v110, v124, v109, vcc
	v_cmp_gt_f64_e32 vcc, 0, v[103:104]
	v_mov_b32_e32 v109, v123
	v_add_f64 v[107:108], v[107:108], v[109:110]
	v_xor_b32_e32 v109, 0x80000000, v104
	v_cndmask_b32_e32 v110, v104, v109, vcc
	v_cmp_gt_f64_e32 vcc, 0, v[105:106]
	v_mov_b32_e32 v109, v103
	v_cndmask_b32_e32 v112, v106, v111, vcc
	v_mov_b32_e32 v111, v105
	v_add_f64 v[109:110], v[109:110], v[111:112]
	v_cmp_lt_f64_e32 vcc, v[107:108], v[109:110]
	v_cndmask_b32_e32 v121, v121, v103, vcc
	v_mov_b32_e32 v103, s0
	s_add_i32 s0, s0, 1
	v_cndmask_b32_e32 v122, v122, v104, vcc
	v_cndmask_b32_e32 v124, v124, v106, vcc
	v_cndmask_b32_e32 v123, v123, v105, vcc
	v_cndmask_b32_e32 v101, v101, v103, vcc
	s_cmp_lg_u32 s3, s0
	s_cbranch_scc1 .LBB76_190
.LBB76_191:
	s_waitcnt lgkmcnt(0)
	v_cmp_eq_f64_e32 vcc, 0, v[121:122]
	v_cmp_eq_f64_e64 s[0:1], 0, v[123:124]
	s_and_b64 s[0:1], vcc, s[0:1]
	s_and_saveexec_b64 s[18:19], s[0:1]
	s_xor_b64 s[0:1], exec, s[18:19]
; %bb.192:
	v_cmp_ne_u32_e32 vcc, 0, v99
	v_cndmask_b32_e32 v99, 10, v99, vcc
; %bb.193:
	s_andn2_saveexec_b64 s[0:1], s[0:1]
	s_cbranch_execz .LBB76_199
; %bb.194:
	v_cmp_ngt_f64_e64 s[18:19], |v[121:122]|, |v[123:124]|
	s_and_saveexec_b64 s[20:21], s[18:19]
	s_xor_b64 s[18:19], exec, s[20:21]
	s_cbranch_execz .LBB76_196
; %bb.195:
	v_div_scale_f64 v[102:103], s[20:21], v[123:124], v[123:124], v[121:122]
	v_rcp_f64_e32 v[104:105], v[102:103]
	v_fma_f64 v[106:107], -v[102:103], v[104:105], 1.0
	v_fma_f64 v[104:105], v[104:105], v[106:107], v[104:105]
	v_div_scale_f64 v[106:107], vcc, v[121:122], v[123:124], v[121:122]
	v_fma_f64 v[108:109], -v[102:103], v[104:105], 1.0
	v_fma_f64 v[104:105], v[104:105], v[108:109], v[104:105]
	v_mul_f64 v[108:109], v[106:107], v[104:105]
	v_fma_f64 v[102:103], -v[102:103], v[108:109], v[106:107]
	v_div_fmas_f64 v[102:103], v[102:103], v[104:105], v[108:109]
	v_div_fixup_f64 v[102:103], v[102:103], v[123:124], v[121:122]
	v_fma_f64 v[104:105], v[121:122], v[102:103], v[123:124]
	v_div_scale_f64 v[106:107], s[20:21], v[104:105], v[104:105], 1.0
	v_div_scale_f64 v[117:118], vcc, 1.0, v[104:105], 1.0
	v_rcp_f64_e32 v[108:109], v[106:107]
	v_fma_f64 v[110:111], -v[106:107], v[108:109], 1.0
	v_fma_f64 v[108:109], v[108:109], v[110:111], v[108:109]
	v_fma_f64 v[110:111], -v[106:107], v[108:109], 1.0
	v_fma_f64 v[108:109], v[108:109], v[110:111], v[108:109]
	v_mul_f64 v[110:111], v[117:118], v[108:109]
	v_fma_f64 v[106:107], -v[106:107], v[110:111], v[117:118]
	v_div_fmas_f64 v[106:107], v[106:107], v[108:109], v[110:111]
	v_div_fixup_f64 v[123:124], v[106:107], v[104:105], 1.0
	v_mul_f64 v[121:122], v[102:103], v[123:124]
	v_xor_b32_e32 v124, 0x80000000, v124
.LBB76_196:
	s_andn2_saveexec_b64 s[18:19], s[18:19]
	s_cbranch_execz .LBB76_198
; %bb.197:
	v_div_scale_f64 v[102:103], s[20:21], v[121:122], v[121:122], v[123:124]
	v_rcp_f64_e32 v[104:105], v[102:103]
	v_fma_f64 v[106:107], -v[102:103], v[104:105], 1.0
	v_fma_f64 v[104:105], v[104:105], v[106:107], v[104:105]
	v_div_scale_f64 v[106:107], vcc, v[123:124], v[121:122], v[123:124]
	v_fma_f64 v[108:109], -v[102:103], v[104:105], 1.0
	v_fma_f64 v[104:105], v[104:105], v[108:109], v[104:105]
	v_mul_f64 v[108:109], v[106:107], v[104:105]
	v_fma_f64 v[102:103], -v[102:103], v[108:109], v[106:107]
	v_div_fmas_f64 v[102:103], v[102:103], v[104:105], v[108:109]
	v_div_fixup_f64 v[102:103], v[102:103], v[121:122], v[123:124]
	v_fma_f64 v[104:105], v[123:124], v[102:103], v[121:122]
	v_div_scale_f64 v[106:107], s[20:21], v[104:105], v[104:105], 1.0
	v_div_scale_f64 v[117:118], vcc, 1.0, v[104:105], 1.0
	v_rcp_f64_e32 v[108:109], v[106:107]
	v_fma_f64 v[110:111], -v[106:107], v[108:109], 1.0
	v_fma_f64 v[108:109], v[108:109], v[110:111], v[108:109]
	v_fma_f64 v[110:111], -v[106:107], v[108:109], 1.0
	v_fma_f64 v[108:109], v[108:109], v[110:111], v[108:109]
	v_mul_f64 v[110:111], v[117:118], v[108:109]
	v_fma_f64 v[106:107], -v[106:107], v[110:111], v[117:118]
	v_div_fmas_f64 v[106:107], v[106:107], v[108:109], v[110:111]
	v_div_fixup_f64 v[121:122], v[106:107], v[104:105], 1.0
	v_mul_f64 v[123:124], v[102:103], -v[121:122]
.LBB76_198:
	s_or_b64 exec, exec, s[18:19]
.LBB76_199:
	s_or_b64 exec, exec, s[0:1]
	v_cmp_ne_u32_e32 vcc, v100, v101
	s_and_saveexec_b64 s[0:1], vcc
	s_xor_b64 s[0:1], exec, s[0:1]
	s_cbranch_execz .LBB76_205
; %bb.200:
	v_cmp_eq_u32_e32 vcc, 9, v100
	s_and_saveexec_b64 s[18:19], vcc
	s_cbranch_execz .LBB76_204
; %bb.201:
	v_cmp_ne_u32_e32 vcc, 9, v101
	s_xor_b64 s[20:21], s[6:7], -1
	s_and_b64 s[22:23], s[20:21], vcc
	s_and_saveexec_b64 s[20:21], s[22:23]
	s_cbranch_execz .LBB76_203
; %bb.202:
	v_ashrrev_i32_e32 v102, 31, v101
	v_lshlrev_b64 v[102:103], 2, v[101:102]
	v_add_co_u32_e32 v102, vcc, v119, v102
	v_addc_co_u32_e32 v103, vcc, v120, v103, vcc
	global_load_dword v0, v[102:103], off
	global_load_dword v100, v[119:120], off offset:36
	s_waitcnt vmcnt(1)
	global_store_dword v[119:120], v0, off offset:36
	s_waitcnt vmcnt(1)
	global_store_dword v[102:103], v100, off
.LBB76_203:
	s_or_b64 exec, exec, s[20:21]
	v_mov_b32_e32 v100, v101
	v_mov_b32_e32 v0, v101
.LBB76_204:
	s_or_b64 exec, exec, s[18:19]
.LBB76_205:
	s_andn2_saveexec_b64 s[0:1], s[0:1]
	s_cbranch_execz .LBB76_207
; %bb.206:
	buffer_load_dword v100, off, s[24:27], 0 offset:48 ; 4-byte Folded Reload
	buffer_load_dword v101, off, s[24:27], 0 offset:52 ; 4-byte Folded Reload
	buffer_load_dword v102, off, s[24:27], 0 offset:56 ; 4-byte Folded Reload
	buffer_load_dword v103, off, s[24:27], 0 offset:60 ; 4-byte Folded Reload
	s_waitcnt vmcnt(0)
	ds_write2_b64 v98, v[100:101], v[102:103] offset0:20 offset1:21
	buffer_load_dword v100, off, s[24:27], 0 offset:32 ; 4-byte Folded Reload
	buffer_load_dword v101, off, s[24:27], 0 offset:36 ; 4-byte Folded Reload
	buffer_load_dword v102, off, s[24:27], 0 offset:40 ; 4-byte Folded Reload
	buffer_load_dword v103, off, s[24:27], 0 offset:44 ; 4-byte Folded Reload
	s_waitcnt vmcnt(0)
	ds_write2_b64 v98, v[100:101], v[102:103] offset0:22 offset1:23
	;; [unrolled: 6-line block ×3, first 2 shown]
	buffer_load_dword v100, off, s[24:27], 0 ; 4-byte Folded Reload
	buffer_load_dword v101, off, s[24:27], 0 offset:4 ; 4-byte Folded Reload
	buffer_load_dword v102, off, s[24:27], 0 offset:8 ; 4-byte Folded Reload
	;; [unrolled: 1-line block ×3, first 2 shown]
	s_waitcnt vmcnt(0)
	ds_write2_b64 v98, v[100:101], v[102:103] offset0:26 offset1:27
	ds_write2_b64 v98, v[93:94], v[95:96] offset0:28 offset1:29
	;; [unrolled: 1-line block ×26, first 2 shown]
	v_mov_b32_e32 v100, 9
.LBB76_207:
	s_or_b64 exec, exec, s[0:1]
	v_cmp_lt_i32_e32 vcc, 9, v100
	s_waitcnt vmcnt(0) lgkmcnt(0)
	s_barrier
	s_and_saveexec_b64 s[0:1], vcc
	s_cbranch_execz .LBB76_209
; %bb.208:
	buffer_load_dword v109, off, s[24:27], 0 offset:64 ; 4-byte Folded Reload
	buffer_load_dword v110, off, s[24:27], 0 offset:68 ; 4-byte Folded Reload
	;; [unrolled: 1-line block ×4, first 2 shown]
	s_waitcnt vmcnt(0)
	v_mul_f64 v[101:102], v[123:124], v[111:112]
	v_fma_f64 v[125:126], v[121:122], v[109:110], -v[101:102]
	v_mul_f64 v[101:102], v[121:122], v[111:112]
	v_fma_f64 v[111:112], v[123:124], v[109:110], v[101:102]
	ds_read2_b64 v[101:104], v98 offset0:20 offset1:21
	buffer_load_dword v107, off, s[24:27], 0 offset:48 ; 4-byte Folded Reload
	buffer_load_dword v108, off, s[24:27], 0 offset:52 ; 4-byte Folded Reload
	buffer_load_dword v109, off, s[24:27], 0 offset:56 ; 4-byte Folded Reload
	buffer_load_dword v110, off, s[24:27], 0 offset:60 ; 4-byte Folded Reload
	s_waitcnt lgkmcnt(0)
	v_mul_f64 v[105:106], v[103:104], v[111:112]
	v_fma_f64 v[105:106], v[101:102], v[125:126], -v[105:106]
	v_mul_f64 v[101:102], v[101:102], v[111:112]
	v_fma_f64 v[101:102], v[103:104], v[125:126], v[101:102]
	s_waitcnt vmcnt(2)
	v_add_f64 v[107:108], v[107:108], -v[105:106]
	s_waitcnt vmcnt(0)
	v_add_f64 v[109:110], v[109:110], -v[101:102]
	buffer_store_dword v107, off, s[24:27], 0 offset:48 ; 4-byte Folded Spill
	s_nop 0
	buffer_store_dword v108, off, s[24:27], 0 offset:52 ; 4-byte Folded Spill
	buffer_store_dword v109, off, s[24:27], 0 offset:56 ; 4-byte Folded Spill
	buffer_store_dword v110, off, s[24:27], 0 offset:60 ; 4-byte Folded Spill
	ds_read2_b64 v[101:104], v98 offset0:22 offset1:23
	buffer_load_dword v107, off, s[24:27], 0 offset:32 ; 4-byte Folded Reload
	buffer_load_dword v108, off, s[24:27], 0 offset:36 ; 4-byte Folded Reload
	buffer_load_dword v109, off, s[24:27], 0 offset:40 ; 4-byte Folded Reload
	buffer_load_dword v110, off, s[24:27], 0 offset:44 ; 4-byte Folded Reload
	s_waitcnt lgkmcnt(0)
	v_mul_f64 v[105:106], v[103:104], v[111:112]
	v_fma_f64 v[105:106], v[101:102], v[125:126], -v[105:106]
	v_mul_f64 v[101:102], v[101:102], v[111:112]
	v_fma_f64 v[101:102], v[103:104], v[125:126], v[101:102]
	s_waitcnt vmcnt(2)
	v_add_f64 v[107:108], v[107:108], -v[105:106]
	s_waitcnt vmcnt(0)
	v_add_f64 v[109:110], v[109:110], -v[101:102]
	buffer_store_dword v107, off, s[24:27], 0 offset:32 ; 4-byte Folded Spill
	s_nop 0
	buffer_store_dword v108, off, s[24:27], 0 offset:36 ; 4-byte Folded Spill
	buffer_store_dword v109, off, s[24:27], 0 offset:40 ; 4-byte Folded Spill
	buffer_store_dword v110, off, s[24:27], 0 offset:44 ; 4-byte Folded Spill
	ds_read2_b64 v[101:104], v98 offset0:24 offset1:25
	buffer_load_dword v107, off, s[24:27], 0 offset:16 ; 4-byte Folded Reload
	buffer_load_dword v108, off, s[24:27], 0 offset:20 ; 4-byte Folded Reload
	buffer_load_dword v109, off, s[24:27], 0 offset:24 ; 4-byte Folded Reload
	buffer_load_dword v110, off, s[24:27], 0 offset:28 ; 4-byte Folded Reload
	s_waitcnt lgkmcnt(0)
	v_mul_f64 v[105:106], v[103:104], v[111:112]
	v_fma_f64 v[105:106], v[101:102], v[125:126], -v[105:106]
	v_mul_f64 v[101:102], v[101:102], v[111:112]
	v_fma_f64 v[101:102], v[103:104], v[125:126], v[101:102]
	s_waitcnt vmcnt(2)
	v_add_f64 v[107:108], v[107:108], -v[105:106]
	s_waitcnt vmcnt(0)
	v_add_f64 v[109:110], v[109:110], -v[101:102]
	buffer_store_dword v107, off, s[24:27], 0 offset:16 ; 4-byte Folded Spill
	s_nop 0
	buffer_store_dword v108, off, s[24:27], 0 offset:20 ; 4-byte Folded Spill
	buffer_store_dword v109, off, s[24:27], 0 offset:24 ; 4-byte Folded Spill
	buffer_store_dword v110, off, s[24:27], 0 offset:28 ; 4-byte Folded Spill
	ds_read2_b64 v[101:104], v98 offset0:26 offset1:27
	buffer_load_dword v107, off, s[24:27], 0 ; 4-byte Folded Reload
	buffer_load_dword v108, off, s[24:27], 0 offset:4 ; 4-byte Folded Reload
	buffer_load_dword v109, off, s[24:27], 0 offset:8 ; 4-byte Folded Reload
	;; [unrolled: 1-line block ×3, first 2 shown]
	s_waitcnt lgkmcnt(0)
	v_mul_f64 v[105:106], v[103:104], v[111:112]
	v_fma_f64 v[105:106], v[101:102], v[125:126], -v[105:106]
	v_mul_f64 v[101:102], v[101:102], v[111:112]
	v_fma_f64 v[101:102], v[103:104], v[125:126], v[101:102]
	s_waitcnt vmcnt(2)
	v_add_f64 v[107:108], v[107:108], -v[105:106]
	s_waitcnt vmcnt(0)
	v_add_f64 v[109:110], v[109:110], -v[101:102]
	buffer_store_dword v107, off, s[24:27], 0 ; 4-byte Folded Spill
	s_nop 0
	buffer_store_dword v108, off, s[24:27], 0 offset:4 ; 4-byte Folded Spill
	buffer_store_dword v109, off, s[24:27], 0 offset:8 ; 4-byte Folded Spill
	;; [unrolled: 1-line block ×3, first 2 shown]
	ds_read2_b64 v[101:104], v98 offset0:28 offset1:29
	v_mov_b32_e32 v109, v125
	v_mov_b32_e32 v110, v126
	s_waitcnt lgkmcnt(0)
	v_mul_f64 v[105:106], v[103:104], v[111:112]
	v_fma_f64 v[105:106], v[101:102], v[125:126], -v[105:106]
	v_mul_f64 v[101:102], v[101:102], v[111:112]
	v_add_f64 v[93:94], v[93:94], -v[105:106]
	v_fma_f64 v[101:102], v[103:104], v[125:126], v[101:102]
	v_add_f64 v[95:96], v[95:96], -v[101:102]
	ds_read2_b64 v[101:104], v98 offset0:30 offset1:31
	s_waitcnt lgkmcnt(0)
	v_mul_f64 v[105:106], v[103:104], v[111:112]
	v_fma_f64 v[105:106], v[101:102], v[125:126], -v[105:106]
	v_mul_f64 v[101:102], v[101:102], v[111:112]
	v_add_f64 v[89:90], v[89:90], -v[105:106]
	v_fma_f64 v[101:102], v[103:104], v[125:126], v[101:102]
	v_add_f64 v[91:92], v[91:92], -v[101:102]
	ds_read2_b64 v[101:104], v98 offset0:32 offset1:33
	;; [unrolled: 8-line block ×24, first 2 shown]
	s_waitcnt lgkmcnt(0)
	v_mul_f64 v[105:106], v[103:104], v[111:112]
	v_fma_f64 v[105:106], v[101:102], v[125:126], -v[105:106]
	v_mul_f64 v[101:102], v[101:102], v[111:112]
	buffer_store_dword v109, off, s[24:27], 0 offset:64 ; 4-byte Folded Spill
	s_nop 0
	buffer_store_dword v110, off, s[24:27], 0 offset:68 ; 4-byte Folded Spill
	buffer_store_dword v111, off, s[24:27], 0 offset:72 ; 4-byte Folded Spill
	;; [unrolled: 1-line block ×3, first 2 shown]
	v_add_f64 v[113:114], v[113:114], -v[105:106]
	v_fma_f64 v[101:102], v[103:104], v[125:126], v[101:102]
	v_add_f64 v[115:116], v[115:116], -v[101:102]
.LBB76_209:
	s_or_b64 exec, exec, s[0:1]
	s_waitcnt vmcnt(0)
	s_barrier
	buffer_load_dword v102, off, s[24:27], 0 offset:48 ; 4-byte Folded Reload
	buffer_load_dword v103, off, s[24:27], 0 offset:52 ; 4-byte Folded Reload
	buffer_load_dword v104, off, s[24:27], 0 offset:56 ; 4-byte Folded Reload
	buffer_load_dword v105, off, s[24:27], 0 offset:60 ; 4-byte Folded Reload
	v_lshl_add_u32 v101, v100, 4, v98
	s_cmp_lt_i32 s3, 12
	s_waitcnt vmcnt(0)
	ds_write2_b64 v101, v[102:103], v[104:105] offset1:1
	s_waitcnt lgkmcnt(0)
	s_barrier
	ds_read2_b64 v[121:124], v98 offset0:20 offset1:21
	v_mov_b32_e32 v101, 10
	s_cbranch_scc1 .LBB76_212
; %bb.210:
	v_add_u32_e32 v102, 0xb0, v98
	s_mov_b32 s0, 11
	v_mov_b32_e32 v101, 10
.LBB76_211:                             ; =>This Inner Loop Header: Depth=1
	s_waitcnt lgkmcnt(0)
	v_cmp_gt_f64_e32 vcc, 0, v[121:122]
	v_xor_b32_e32 v107, 0x80000000, v122
	ds_read2_b64 v[103:106], v102 offset1:1
	v_xor_b32_e32 v109, 0x80000000, v124
	v_add_u32_e32 v102, 16, v102
	s_waitcnt lgkmcnt(0)
	v_xor_b32_e32 v111, 0x80000000, v106
	v_cndmask_b32_e32 v108, v122, v107, vcc
	v_cmp_gt_f64_e32 vcc, 0, v[123:124]
	v_mov_b32_e32 v107, v121
	v_cndmask_b32_e32 v110, v124, v109, vcc
	v_cmp_gt_f64_e32 vcc, 0, v[103:104]
	v_mov_b32_e32 v109, v123
	v_add_f64 v[107:108], v[107:108], v[109:110]
	v_xor_b32_e32 v109, 0x80000000, v104
	v_cndmask_b32_e32 v110, v104, v109, vcc
	v_cmp_gt_f64_e32 vcc, 0, v[105:106]
	v_mov_b32_e32 v109, v103
	v_cndmask_b32_e32 v112, v106, v111, vcc
	v_mov_b32_e32 v111, v105
	v_add_f64 v[109:110], v[109:110], v[111:112]
	v_cmp_lt_f64_e32 vcc, v[107:108], v[109:110]
	v_cndmask_b32_e32 v121, v121, v103, vcc
	v_mov_b32_e32 v103, s0
	s_add_i32 s0, s0, 1
	v_cndmask_b32_e32 v122, v122, v104, vcc
	v_cndmask_b32_e32 v124, v124, v106, vcc
	;; [unrolled: 1-line block ×4, first 2 shown]
	s_cmp_lg_u32 s3, s0
	s_cbranch_scc1 .LBB76_211
.LBB76_212:
	s_waitcnt lgkmcnt(0)
	v_cmp_eq_f64_e32 vcc, 0, v[121:122]
	v_cmp_eq_f64_e64 s[0:1], 0, v[123:124]
	s_and_b64 s[0:1], vcc, s[0:1]
	s_and_saveexec_b64 s[18:19], s[0:1]
	s_xor_b64 s[0:1], exec, s[18:19]
; %bb.213:
	v_cmp_ne_u32_e32 vcc, 0, v99
	v_cndmask_b32_e32 v99, 11, v99, vcc
; %bb.214:
	s_andn2_saveexec_b64 s[0:1], s[0:1]
	s_cbranch_execz .LBB76_220
; %bb.215:
	v_cmp_ngt_f64_e64 s[18:19], |v[121:122]|, |v[123:124]|
	s_and_saveexec_b64 s[20:21], s[18:19]
	s_xor_b64 s[18:19], exec, s[20:21]
	s_cbranch_execz .LBB76_217
; %bb.216:
	v_div_scale_f64 v[102:103], s[20:21], v[123:124], v[123:124], v[121:122]
	v_rcp_f64_e32 v[104:105], v[102:103]
	v_fma_f64 v[106:107], -v[102:103], v[104:105], 1.0
	v_fma_f64 v[104:105], v[104:105], v[106:107], v[104:105]
	v_div_scale_f64 v[106:107], vcc, v[121:122], v[123:124], v[121:122]
	v_fma_f64 v[108:109], -v[102:103], v[104:105], 1.0
	v_fma_f64 v[104:105], v[104:105], v[108:109], v[104:105]
	v_mul_f64 v[108:109], v[106:107], v[104:105]
	v_fma_f64 v[102:103], -v[102:103], v[108:109], v[106:107]
	v_div_fmas_f64 v[102:103], v[102:103], v[104:105], v[108:109]
	v_div_fixup_f64 v[102:103], v[102:103], v[123:124], v[121:122]
	v_fma_f64 v[104:105], v[121:122], v[102:103], v[123:124]
	v_div_scale_f64 v[106:107], s[20:21], v[104:105], v[104:105], 1.0
	v_div_scale_f64 v[117:118], vcc, 1.0, v[104:105], 1.0
	v_rcp_f64_e32 v[108:109], v[106:107]
	v_fma_f64 v[110:111], -v[106:107], v[108:109], 1.0
	v_fma_f64 v[108:109], v[108:109], v[110:111], v[108:109]
	v_fma_f64 v[110:111], -v[106:107], v[108:109], 1.0
	v_fma_f64 v[108:109], v[108:109], v[110:111], v[108:109]
	v_mul_f64 v[110:111], v[117:118], v[108:109]
	v_fma_f64 v[106:107], -v[106:107], v[110:111], v[117:118]
	v_div_fmas_f64 v[106:107], v[106:107], v[108:109], v[110:111]
	v_div_fixup_f64 v[123:124], v[106:107], v[104:105], 1.0
	v_mul_f64 v[121:122], v[102:103], v[123:124]
	v_xor_b32_e32 v124, 0x80000000, v124
.LBB76_217:
	s_andn2_saveexec_b64 s[18:19], s[18:19]
	s_cbranch_execz .LBB76_219
; %bb.218:
	v_div_scale_f64 v[102:103], s[20:21], v[121:122], v[121:122], v[123:124]
	v_rcp_f64_e32 v[104:105], v[102:103]
	v_fma_f64 v[106:107], -v[102:103], v[104:105], 1.0
	v_fma_f64 v[104:105], v[104:105], v[106:107], v[104:105]
	v_div_scale_f64 v[106:107], vcc, v[123:124], v[121:122], v[123:124]
	v_fma_f64 v[108:109], -v[102:103], v[104:105], 1.0
	v_fma_f64 v[104:105], v[104:105], v[108:109], v[104:105]
	v_mul_f64 v[108:109], v[106:107], v[104:105]
	v_fma_f64 v[102:103], -v[102:103], v[108:109], v[106:107]
	v_div_fmas_f64 v[102:103], v[102:103], v[104:105], v[108:109]
	v_div_fixup_f64 v[102:103], v[102:103], v[121:122], v[123:124]
	v_fma_f64 v[104:105], v[123:124], v[102:103], v[121:122]
	v_div_scale_f64 v[106:107], s[20:21], v[104:105], v[104:105], 1.0
	v_div_scale_f64 v[117:118], vcc, 1.0, v[104:105], 1.0
	v_rcp_f64_e32 v[108:109], v[106:107]
	v_fma_f64 v[110:111], -v[106:107], v[108:109], 1.0
	v_fma_f64 v[108:109], v[108:109], v[110:111], v[108:109]
	v_fma_f64 v[110:111], -v[106:107], v[108:109], 1.0
	v_fma_f64 v[108:109], v[108:109], v[110:111], v[108:109]
	v_mul_f64 v[110:111], v[117:118], v[108:109]
	v_fma_f64 v[106:107], -v[106:107], v[110:111], v[117:118]
	v_div_fmas_f64 v[106:107], v[106:107], v[108:109], v[110:111]
	v_div_fixup_f64 v[121:122], v[106:107], v[104:105], 1.0
	v_mul_f64 v[123:124], v[102:103], -v[121:122]
.LBB76_219:
	s_or_b64 exec, exec, s[18:19]
.LBB76_220:
	s_or_b64 exec, exec, s[0:1]
	v_cmp_ne_u32_e32 vcc, v100, v101
	s_and_saveexec_b64 s[0:1], vcc
	s_xor_b64 s[0:1], exec, s[0:1]
	s_cbranch_execz .LBB76_226
; %bb.221:
	v_cmp_eq_u32_e32 vcc, 10, v100
	s_and_saveexec_b64 s[18:19], vcc
	s_cbranch_execz .LBB76_225
; %bb.222:
	v_cmp_ne_u32_e32 vcc, 10, v101
	s_xor_b64 s[20:21], s[6:7], -1
	s_and_b64 s[22:23], s[20:21], vcc
	s_and_saveexec_b64 s[20:21], s[22:23]
	s_cbranch_execz .LBB76_224
; %bb.223:
	v_ashrrev_i32_e32 v102, 31, v101
	v_lshlrev_b64 v[102:103], 2, v[101:102]
	v_add_co_u32_e32 v102, vcc, v119, v102
	v_addc_co_u32_e32 v103, vcc, v120, v103, vcc
	global_load_dword v0, v[102:103], off
	global_load_dword v100, v[119:120], off offset:40
	s_waitcnt vmcnt(1)
	global_store_dword v[119:120], v0, off offset:40
	s_waitcnt vmcnt(1)
	global_store_dword v[102:103], v100, off
.LBB76_224:
	s_or_b64 exec, exec, s[20:21]
	v_mov_b32_e32 v100, v101
	v_mov_b32_e32 v0, v101
.LBB76_225:
	s_or_b64 exec, exec, s[18:19]
.LBB76_226:
	s_andn2_saveexec_b64 s[0:1], s[0:1]
	s_cbranch_execz .LBB76_228
; %bb.227:
	buffer_load_dword v100, off, s[24:27], 0 offset:32 ; 4-byte Folded Reload
	buffer_load_dword v101, off, s[24:27], 0 offset:36 ; 4-byte Folded Reload
	;; [unrolled: 1-line block ×4, first 2 shown]
	s_waitcnt vmcnt(0)
	ds_write2_b64 v98, v[100:101], v[102:103] offset0:22 offset1:23
	buffer_load_dword v100, off, s[24:27], 0 offset:16 ; 4-byte Folded Reload
	buffer_load_dword v101, off, s[24:27], 0 offset:20 ; 4-byte Folded Reload
	;; [unrolled: 1-line block ×4, first 2 shown]
	s_waitcnt vmcnt(0)
	ds_write2_b64 v98, v[100:101], v[102:103] offset0:24 offset1:25
	buffer_load_dword v100, off, s[24:27], 0 ; 4-byte Folded Reload
	buffer_load_dword v101, off, s[24:27], 0 offset:4 ; 4-byte Folded Reload
	buffer_load_dword v102, off, s[24:27], 0 offset:8 ; 4-byte Folded Reload
	;; [unrolled: 1-line block ×3, first 2 shown]
	s_waitcnt vmcnt(0)
	ds_write2_b64 v98, v[100:101], v[102:103] offset0:26 offset1:27
	ds_write2_b64 v98, v[93:94], v[95:96] offset0:28 offset1:29
	ds_write2_b64 v98, v[89:90], v[91:92] offset0:30 offset1:31
	ds_write2_b64 v98, v[85:86], v[87:88] offset0:32 offset1:33
	ds_write2_b64 v98, v[81:82], v[83:84] offset0:34 offset1:35
	ds_write2_b64 v98, v[77:78], v[79:80] offset0:36 offset1:37
	ds_write2_b64 v98, v[73:74], v[75:76] offset0:38 offset1:39
	ds_write2_b64 v98, v[69:70], v[71:72] offset0:40 offset1:41
	ds_write2_b64 v98, v[65:66], v[67:68] offset0:42 offset1:43
	ds_write2_b64 v98, v[61:62], v[63:64] offset0:44 offset1:45
	ds_write2_b64 v98, v[57:58], v[59:60] offset0:46 offset1:47
	ds_write2_b64 v98, v[53:54], v[55:56] offset0:48 offset1:49
	ds_write2_b64 v98, v[49:50], v[51:52] offset0:50 offset1:51
	ds_write2_b64 v98, v[45:46], v[47:48] offset0:52 offset1:53
	ds_write2_b64 v98, v[41:42], v[43:44] offset0:54 offset1:55
	ds_write2_b64 v98, v[37:38], v[39:40] offset0:56 offset1:57
	ds_write2_b64 v98, v[33:34], v[35:36] offset0:58 offset1:59
	ds_write2_b64 v98, v[29:30], v[31:32] offset0:60 offset1:61
	ds_write2_b64 v98, v[25:26], v[27:28] offset0:62 offset1:63
	ds_write2_b64 v98, v[21:22], v[23:24] offset0:64 offset1:65
	ds_write2_b64 v98, v[17:18], v[19:20] offset0:66 offset1:67
	ds_write2_b64 v98, v[13:14], v[15:16] offset0:68 offset1:69
	ds_write2_b64 v98, v[9:10], v[11:12] offset0:70 offset1:71
	ds_write2_b64 v98, v[5:6], v[7:8] offset0:72 offset1:73
	ds_write2_b64 v98, v[1:2], v[3:4] offset0:74 offset1:75
	ds_write2_b64 v98, v[113:114], v[115:116] offset0:76 offset1:77
	v_mov_b32_e32 v100, 10
.LBB76_228:
	s_or_b64 exec, exec, s[0:1]
	v_cmp_lt_i32_e32 vcc, 10, v100
	s_waitcnt vmcnt(0) lgkmcnt(0)
	s_barrier
	s_and_saveexec_b64 s[0:1], vcc
	s_cbranch_execz .LBB76_230
; %bb.229:
	buffer_load_dword v109, off, s[24:27], 0 offset:48 ; 4-byte Folded Reload
	buffer_load_dword v110, off, s[24:27], 0 offset:52 ; 4-byte Folded Reload
	;; [unrolled: 1-line block ×4, first 2 shown]
	s_waitcnt vmcnt(0)
	v_mul_f64 v[101:102], v[123:124], v[111:112]
	v_fma_f64 v[125:126], v[121:122], v[109:110], -v[101:102]
	v_mul_f64 v[101:102], v[121:122], v[111:112]
	v_fma_f64 v[111:112], v[123:124], v[109:110], v[101:102]
	ds_read2_b64 v[101:104], v98 offset0:22 offset1:23
	buffer_load_dword v107, off, s[24:27], 0 offset:32 ; 4-byte Folded Reload
	buffer_load_dword v108, off, s[24:27], 0 offset:36 ; 4-byte Folded Reload
	;; [unrolled: 1-line block ×4, first 2 shown]
	s_waitcnt lgkmcnt(0)
	v_mul_f64 v[105:106], v[103:104], v[111:112]
	v_fma_f64 v[105:106], v[101:102], v[125:126], -v[105:106]
	v_mul_f64 v[101:102], v[101:102], v[111:112]
	v_fma_f64 v[101:102], v[103:104], v[125:126], v[101:102]
	s_waitcnt vmcnt(2)
	v_add_f64 v[107:108], v[107:108], -v[105:106]
	s_waitcnt vmcnt(0)
	v_add_f64 v[109:110], v[109:110], -v[101:102]
	buffer_store_dword v107, off, s[24:27], 0 offset:32 ; 4-byte Folded Spill
	s_nop 0
	buffer_store_dword v108, off, s[24:27], 0 offset:36 ; 4-byte Folded Spill
	buffer_store_dword v109, off, s[24:27], 0 offset:40 ; 4-byte Folded Spill
	;; [unrolled: 1-line block ×3, first 2 shown]
	ds_read2_b64 v[101:104], v98 offset0:24 offset1:25
	buffer_load_dword v107, off, s[24:27], 0 offset:16 ; 4-byte Folded Reload
	buffer_load_dword v108, off, s[24:27], 0 offset:20 ; 4-byte Folded Reload
	;; [unrolled: 1-line block ×4, first 2 shown]
	s_waitcnt lgkmcnt(0)
	v_mul_f64 v[105:106], v[103:104], v[111:112]
	v_fma_f64 v[105:106], v[101:102], v[125:126], -v[105:106]
	v_mul_f64 v[101:102], v[101:102], v[111:112]
	v_fma_f64 v[101:102], v[103:104], v[125:126], v[101:102]
	s_waitcnt vmcnt(2)
	v_add_f64 v[107:108], v[107:108], -v[105:106]
	s_waitcnt vmcnt(0)
	v_add_f64 v[109:110], v[109:110], -v[101:102]
	buffer_store_dword v107, off, s[24:27], 0 offset:16 ; 4-byte Folded Spill
	s_nop 0
	buffer_store_dword v108, off, s[24:27], 0 offset:20 ; 4-byte Folded Spill
	buffer_store_dword v109, off, s[24:27], 0 offset:24 ; 4-byte Folded Spill
	;; [unrolled: 1-line block ×3, first 2 shown]
	ds_read2_b64 v[101:104], v98 offset0:26 offset1:27
	buffer_load_dword v107, off, s[24:27], 0 ; 4-byte Folded Reload
	buffer_load_dword v108, off, s[24:27], 0 offset:4 ; 4-byte Folded Reload
	buffer_load_dword v109, off, s[24:27], 0 offset:8 ; 4-byte Folded Reload
	;; [unrolled: 1-line block ×3, first 2 shown]
	s_waitcnt lgkmcnt(0)
	v_mul_f64 v[105:106], v[103:104], v[111:112]
	v_fma_f64 v[105:106], v[101:102], v[125:126], -v[105:106]
	v_mul_f64 v[101:102], v[101:102], v[111:112]
	v_fma_f64 v[101:102], v[103:104], v[125:126], v[101:102]
	s_waitcnt vmcnt(2)
	v_add_f64 v[107:108], v[107:108], -v[105:106]
	s_waitcnt vmcnt(0)
	v_add_f64 v[109:110], v[109:110], -v[101:102]
	buffer_store_dword v107, off, s[24:27], 0 ; 4-byte Folded Spill
	s_nop 0
	buffer_store_dword v108, off, s[24:27], 0 offset:4 ; 4-byte Folded Spill
	buffer_store_dword v109, off, s[24:27], 0 offset:8 ; 4-byte Folded Spill
	;; [unrolled: 1-line block ×3, first 2 shown]
	ds_read2_b64 v[101:104], v98 offset0:28 offset1:29
	v_mov_b32_e32 v109, v125
	v_mov_b32_e32 v110, v126
	s_waitcnt lgkmcnt(0)
	v_mul_f64 v[105:106], v[103:104], v[111:112]
	v_fma_f64 v[105:106], v[101:102], v[125:126], -v[105:106]
	v_mul_f64 v[101:102], v[101:102], v[111:112]
	v_add_f64 v[93:94], v[93:94], -v[105:106]
	v_fma_f64 v[101:102], v[103:104], v[125:126], v[101:102]
	v_add_f64 v[95:96], v[95:96], -v[101:102]
	ds_read2_b64 v[101:104], v98 offset0:30 offset1:31
	s_waitcnt lgkmcnt(0)
	v_mul_f64 v[105:106], v[103:104], v[111:112]
	v_fma_f64 v[105:106], v[101:102], v[125:126], -v[105:106]
	v_mul_f64 v[101:102], v[101:102], v[111:112]
	v_add_f64 v[89:90], v[89:90], -v[105:106]
	v_fma_f64 v[101:102], v[103:104], v[125:126], v[101:102]
	v_add_f64 v[91:92], v[91:92], -v[101:102]
	ds_read2_b64 v[101:104], v98 offset0:32 offset1:33
	;; [unrolled: 8-line block ×24, first 2 shown]
	s_waitcnt lgkmcnt(0)
	v_mul_f64 v[105:106], v[103:104], v[111:112]
	v_fma_f64 v[105:106], v[101:102], v[125:126], -v[105:106]
	v_mul_f64 v[101:102], v[101:102], v[111:112]
	buffer_store_dword v109, off, s[24:27], 0 offset:48 ; 4-byte Folded Spill
	s_nop 0
	buffer_store_dword v110, off, s[24:27], 0 offset:52 ; 4-byte Folded Spill
	buffer_store_dword v111, off, s[24:27], 0 offset:56 ; 4-byte Folded Spill
	;; [unrolled: 1-line block ×3, first 2 shown]
	v_add_f64 v[113:114], v[113:114], -v[105:106]
	v_fma_f64 v[101:102], v[103:104], v[125:126], v[101:102]
	v_add_f64 v[115:116], v[115:116], -v[101:102]
.LBB76_230:
	s_or_b64 exec, exec, s[0:1]
	s_waitcnt vmcnt(0)
	s_barrier
	buffer_load_dword v102, off, s[24:27], 0 offset:32 ; 4-byte Folded Reload
	buffer_load_dword v103, off, s[24:27], 0 offset:36 ; 4-byte Folded Reload
	;; [unrolled: 1-line block ×4, first 2 shown]
	v_lshl_add_u32 v101, v100, 4, v98
	s_cmp_lt_i32 s3, 13
	s_waitcnt vmcnt(0)
	ds_write2_b64 v101, v[102:103], v[104:105] offset1:1
	s_waitcnt lgkmcnt(0)
	s_barrier
	ds_read2_b64 v[121:124], v98 offset0:22 offset1:23
	v_mov_b32_e32 v101, 11
	s_cbranch_scc1 .LBB76_233
; %bb.231:
	v_add_u32_e32 v102, 0xc0, v98
	s_mov_b32 s0, 12
	v_mov_b32_e32 v101, 11
.LBB76_232:                             ; =>This Inner Loop Header: Depth=1
	s_waitcnt lgkmcnt(0)
	v_cmp_gt_f64_e32 vcc, 0, v[121:122]
	v_xor_b32_e32 v107, 0x80000000, v122
	ds_read2_b64 v[103:106], v102 offset1:1
	v_xor_b32_e32 v109, 0x80000000, v124
	v_add_u32_e32 v102, 16, v102
	s_waitcnt lgkmcnt(0)
	v_xor_b32_e32 v111, 0x80000000, v106
	v_cndmask_b32_e32 v108, v122, v107, vcc
	v_cmp_gt_f64_e32 vcc, 0, v[123:124]
	v_mov_b32_e32 v107, v121
	v_cndmask_b32_e32 v110, v124, v109, vcc
	v_cmp_gt_f64_e32 vcc, 0, v[103:104]
	v_mov_b32_e32 v109, v123
	v_add_f64 v[107:108], v[107:108], v[109:110]
	v_xor_b32_e32 v109, 0x80000000, v104
	v_cndmask_b32_e32 v110, v104, v109, vcc
	v_cmp_gt_f64_e32 vcc, 0, v[105:106]
	v_mov_b32_e32 v109, v103
	v_cndmask_b32_e32 v112, v106, v111, vcc
	v_mov_b32_e32 v111, v105
	v_add_f64 v[109:110], v[109:110], v[111:112]
	v_cmp_lt_f64_e32 vcc, v[107:108], v[109:110]
	v_cndmask_b32_e32 v121, v121, v103, vcc
	v_mov_b32_e32 v103, s0
	s_add_i32 s0, s0, 1
	v_cndmask_b32_e32 v122, v122, v104, vcc
	v_cndmask_b32_e32 v124, v124, v106, vcc
	;; [unrolled: 1-line block ×4, first 2 shown]
	s_cmp_lg_u32 s3, s0
	s_cbranch_scc1 .LBB76_232
.LBB76_233:
	s_waitcnt lgkmcnt(0)
	v_cmp_eq_f64_e32 vcc, 0, v[121:122]
	v_cmp_eq_f64_e64 s[0:1], 0, v[123:124]
	s_and_b64 s[0:1], vcc, s[0:1]
	s_and_saveexec_b64 s[18:19], s[0:1]
	s_xor_b64 s[0:1], exec, s[18:19]
; %bb.234:
	v_cmp_ne_u32_e32 vcc, 0, v99
	v_cndmask_b32_e32 v99, 12, v99, vcc
; %bb.235:
	s_andn2_saveexec_b64 s[0:1], s[0:1]
	s_cbranch_execz .LBB76_241
; %bb.236:
	v_cmp_ngt_f64_e64 s[18:19], |v[121:122]|, |v[123:124]|
	s_and_saveexec_b64 s[20:21], s[18:19]
	s_xor_b64 s[18:19], exec, s[20:21]
	s_cbranch_execz .LBB76_238
; %bb.237:
	v_div_scale_f64 v[102:103], s[20:21], v[123:124], v[123:124], v[121:122]
	v_rcp_f64_e32 v[104:105], v[102:103]
	v_fma_f64 v[106:107], -v[102:103], v[104:105], 1.0
	v_fma_f64 v[104:105], v[104:105], v[106:107], v[104:105]
	v_div_scale_f64 v[106:107], vcc, v[121:122], v[123:124], v[121:122]
	v_fma_f64 v[108:109], -v[102:103], v[104:105], 1.0
	v_fma_f64 v[104:105], v[104:105], v[108:109], v[104:105]
	v_mul_f64 v[108:109], v[106:107], v[104:105]
	v_fma_f64 v[102:103], -v[102:103], v[108:109], v[106:107]
	v_div_fmas_f64 v[102:103], v[102:103], v[104:105], v[108:109]
	v_div_fixup_f64 v[102:103], v[102:103], v[123:124], v[121:122]
	v_fma_f64 v[104:105], v[121:122], v[102:103], v[123:124]
	v_div_scale_f64 v[106:107], s[20:21], v[104:105], v[104:105], 1.0
	v_div_scale_f64 v[117:118], vcc, 1.0, v[104:105], 1.0
	v_rcp_f64_e32 v[108:109], v[106:107]
	v_fma_f64 v[110:111], -v[106:107], v[108:109], 1.0
	v_fma_f64 v[108:109], v[108:109], v[110:111], v[108:109]
	v_fma_f64 v[110:111], -v[106:107], v[108:109], 1.0
	v_fma_f64 v[108:109], v[108:109], v[110:111], v[108:109]
	v_mul_f64 v[110:111], v[117:118], v[108:109]
	v_fma_f64 v[106:107], -v[106:107], v[110:111], v[117:118]
	v_div_fmas_f64 v[106:107], v[106:107], v[108:109], v[110:111]
	v_div_fixup_f64 v[123:124], v[106:107], v[104:105], 1.0
	v_mul_f64 v[121:122], v[102:103], v[123:124]
	v_xor_b32_e32 v124, 0x80000000, v124
.LBB76_238:
	s_andn2_saveexec_b64 s[18:19], s[18:19]
	s_cbranch_execz .LBB76_240
; %bb.239:
	v_div_scale_f64 v[102:103], s[20:21], v[121:122], v[121:122], v[123:124]
	v_rcp_f64_e32 v[104:105], v[102:103]
	v_fma_f64 v[106:107], -v[102:103], v[104:105], 1.0
	v_fma_f64 v[104:105], v[104:105], v[106:107], v[104:105]
	v_div_scale_f64 v[106:107], vcc, v[123:124], v[121:122], v[123:124]
	v_fma_f64 v[108:109], -v[102:103], v[104:105], 1.0
	v_fma_f64 v[104:105], v[104:105], v[108:109], v[104:105]
	v_mul_f64 v[108:109], v[106:107], v[104:105]
	v_fma_f64 v[102:103], -v[102:103], v[108:109], v[106:107]
	v_div_fmas_f64 v[102:103], v[102:103], v[104:105], v[108:109]
	v_div_fixup_f64 v[102:103], v[102:103], v[121:122], v[123:124]
	v_fma_f64 v[104:105], v[123:124], v[102:103], v[121:122]
	v_div_scale_f64 v[106:107], s[20:21], v[104:105], v[104:105], 1.0
	v_div_scale_f64 v[117:118], vcc, 1.0, v[104:105], 1.0
	v_rcp_f64_e32 v[108:109], v[106:107]
	v_fma_f64 v[110:111], -v[106:107], v[108:109], 1.0
	v_fma_f64 v[108:109], v[108:109], v[110:111], v[108:109]
	v_fma_f64 v[110:111], -v[106:107], v[108:109], 1.0
	v_fma_f64 v[108:109], v[108:109], v[110:111], v[108:109]
	v_mul_f64 v[110:111], v[117:118], v[108:109]
	v_fma_f64 v[106:107], -v[106:107], v[110:111], v[117:118]
	v_div_fmas_f64 v[106:107], v[106:107], v[108:109], v[110:111]
	v_div_fixup_f64 v[121:122], v[106:107], v[104:105], 1.0
	v_mul_f64 v[123:124], v[102:103], -v[121:122]
.LBB76_240:
	s_or_b64 exec, exec, s[18:19]
.LBB76_241:
	s_or_b64 exec, exec, s[0:1]
	v_cmp_ne_u32_e32 vcc, v100, v101
	s_and_saveexec_b64 s[0:1], vcc
	s_xor_b64 s[0:1], exec, s[0:1]
	s_cbranch_execz .LBB76_247
; %bb.242:
	v_cmp_eq_u32_e32 vcc, 11, v100
	s_and_saveexec_b64 s[18:19], vcc
	s_cbranch_execz .LBB76_246
; %bb.243:
	v_cmp_ne_u32_e32 vcc, 11, v101
	s_xor_b64 s[20:21], s[6:7], -1
	s_and_b64 s[22:23], s[20:21], vcc
	s_and_saveexec_b64 s[20:21], s[22:23]
	s_cbranch_execz .LBB76_245
; %bb.244:
	v_ashrrev_i32_e32 v102, 31, v101
	v_lshlrev_b64 v[102:103], 2, v[101:102]
	v_add_co_u32_e32 v102, vcc, v119, v102
	v_addc_co_u32_e32 v103, vcc, v120, v103, vcc
	global_load_dword v0, v[102:103], off
	global_load_dword v100, v[119:120], off offset:44
	s_waitcnt vmcnt(1)
	global_store_dword v[119:120], v0, off offset:44
	s_waitcnt vmcnt(1)
	global_store_dword v[102:103], v100, off
.LBB76_245:
	s_or_b64 exec, exec, s[20:21]
	v_mov_b32_e32 v100, v101
	v_mov_b32_e32 v0, v101
.LBB76_246:
	s_or_b64 exec, exec, s[18:19]
.LBB76_247:
	s_andn2_saveexec_b64 s[0:1], s[0:1]
	s_cbranch_execz .LBB76_249
; %bb.248:
	buffer_load_dword v100, off, s[24:27], 0 offset:16 ; 4-byte Folded Reload
	buffer_load_dword v101, off, s[24:27], 0 offset:20 ; 4-byte Folded Reload
	buffer_load_dword v102, off, s[24:27], 0 offset:24 ; 4-byte Folded Reload
	buffer_load_dword v103, off, s[24:27], 0 offset:28 ; 4-byte Folded Reload
	s_waitcnt vmcnt(0)
	ds_write2_b64 v98, v[100:101], v[102:103] offset0:24 offset1:25
	buffer_load_dword v100, off, s[24:27], 0 ; 4-byte Folded Reload
	buffer_load_dword v101, off, s[24:27], 0 offset:4 ; 4-byte Folded Reload
	buffer_load_dword v102, off, s[24:27], 0 offset:8 ; 4-byte Folded Reload
	;; [unrolled: 1-line block ×3, first 2 shown]
	s_waitcnt vmcnt(0)
	ds_write2_b64 v98, v[100:101], v[102:103] offset0:26 offset1:27
	ds_write2_b64 v98, v[93:94], v[95:96] offset0:28 offset1:29
	;; [unrolled: 1-line block ×26, first 2 shown]
	v_mov_b32_e32 v100, 11
.LBB76_249:
	s_or_b64 exec, exec, s[0:1]
	v_cmp_lt_i32_e32 vcc, 11, v100
	s_waitcnt vmcnt(0) lgkmcnt(0)
	s_barrier
	s_and_saveexec_b64 s[0:1], vcc
	s_cbranch_execz .LBB76_251
; %bb.250:
	buffer_load_dword v109, off, s[24:27], 0 offset:32 ; 4-byte Folded Reload
	buffer_load_dword v110, off, s[24:27], 0 offset:36 ; 4-byte Folded Reload
	;; [unrolled: 1-line block ×4, first 2 shown]
	s_waitcnt vmcnt(0)
	v_mul_f64 v[101:102], v[123:124], v[111:112]
	v_fma_f64 v[125:126], v[121:122], v[109:110], -v[101:102]
	v_mul_f64 v[101:102], v[121:122], v[111:112]
	v_fma_f64 v[111:112], v[123:124], v[109:110], v[101:102]
	ds_read2_b64 v[101:104], v98 offset0:24 offset1:25
	buffer_load_dword v107, off, s[24:27], 0 offset:16 ; 4-byte Folded Reload
	buffer_load_dword v108, off, s[24:27], 0 offset:20 ; 4-byte Folded Reload
	buffer_load_dword v109, off, s[24:27], 0 offset:24 ; 4-byte Folded Reload
	buffer_load_dword v110, off, s[24:27], 0 offset:28 ; 4-byte Folded Reload
	s_waitcnt lgkmcnt(0)
	v_mul_f64 v[105:106], v[103:104], v[111:112]
	v_fma_f64 v[105:106], v[101:102], v[125:126], -v[105:106]
	v_mul_f64 v[101:102], v[101:102], v[111:112]
	v_fma_f64 v[101:102], v[103:104], v[125:126], v[101:102]
	s_waitcnt vmcnt(2)
	v_add_f64 v[107:108], v[107:108], -v[105:106]
	s_waitcnt vmcnt(0)
	v_add_f64 v[109:110], v[109:110], -v[101:102]
	buffer_store_dword v107, off, s[24:27], 0 offset:16 ; 4-byte Folded Spill
	s_nop 0
	buffer_store_dword v108, off, s[24:27], 0 offset:20 ; 4-byte Folded Spill
	buffer_store_dword v109, off, s[24:27], 0 offset:24 ; 4-byte Folded Spill
	;; [unrolled: 1-line block ×3, first 2 shown]
	ds_read2_b64 v[101:104], v98 offset0:26 offset1:27
	buffer_load_dword v107, off, s[24:27], 0 ; 4-byte Folded Reload
	buffer_load_dword v108, off, s[24:27], 0 offset:4 ; 4-byte Folded Reload
	buffer_load_dword v109, off, s[24:27], 0 offset:8 ; 4-byte Folded Reload
	;; [unrolled: 1-line block ×3, first 2 shown]
	s_waitcnt lgkmcnt(0)
	v_mul_f64 v[105:106], v[103:104], v[111:112]
	v_fma_f64 v[105:106], v[101:102], v[125:126], -v[105:106]
	v_mul_f64 v[101:102], v[101:102], v[111:112]
	v_fma_f64 v[101:102], v[103:104], v[125:126], v[101:102]
	s_waitcnt vmcnt(2)
	v_add_f64 v[107:108], v[107:108], -v[105:106]
	s_waitcnt vmcnt(0)
	v_add_f64 v[109:110], v[109:110], -v[101:102]
	buffer_store_dword v107, off, s[24:27], 0 ; 4-byte Folded Spill
	s_nop 0
	buffer_store_dword v108, off, s[24:27], 0 offset:4 ; 4-byte Folded Spill
	buffer_store_dword v109, off, s[24:27], 0 offset:8 ; 4-byte Folded Spill
	;; [unrolled: 1-line block ×3, first 2 shown]
	ds_read2_b64 v[101:104], v98 offset0:28 offset1:29
	v_mov_b32_e32 v109, v125
	v_mov_b32_e32 v110, v126
	s_waitcnt lgkmcnt(0)
	v_mul_f64 v[105:106], v[103:104], v[111:112]
	v_fma_f64 v[105:106], v[101:102], v[125:126], -v[105:106]
	v_mul_f64 v[101:102], v[101:102], v[111:112]
	v_add_f64 v[93:94], v[93:94], -v[105:106]
	v_fma_f64 v[101:102], v[103:104], v[125:126], v[101:102]
	v_add_f64 v[95:96], v[95:96], -v[101:102]
	ds_read2_b64 v[101:104], v98 offset0:30 offset1:31
	s_waitcnt lgkmcnt(0)
	v_mul_f64 v[105:106], v[103:104], v[111:112]
	v_fma_f64 v[105:106], v[101:102], v[125:126], -v[105:106]
	v_mul_f64 v[101:102], v[101:102], v[111:112]
	v_add_f64 v[89:90], v[89:90], -v[105:106]
	v_fma_f64 v[101:102], v[103:104], v[125:126], v[101:102]
	v_add_f64 v[91:92], v[91:92], -v[101:102]
	ds_read2_b64 v[101:104], v98 offset0:32 offset1:33
	;; [unrolled: 8-line block ×24, first 2 shown]
	s_waitcnt lgkmcnt(0)
	v_mul_f64 v[105:106], v[103:104], v[111:112]
	v_fma_f64 v[105:106], v[101:102], v[125:126], -v[105:106]
	v_mul_f64 v[101:102], v[101:102], v[111:112]
	buffer_store_dword v109, off, s[24:27], 0 offset:32 ; 4-byte Folded Spill
	s_nop 0
	buffer_store_dword v110, off, s[24:27], 0 offset:36 ; 4-byte Folded Spill
	buffer_store_dword v111, off, s[24:27], 0 offset:40 ; 4-byte Folded Spill
	;; [unrolled: 1-line block ×3, first 2 shown]
	v_add_f64 v[113:114], v[113:114], -v[105:106]
	v_fma_f64 v[101:102], v[103:104], v[125:126], v[101:102]
	v_add_f64 v[115:116], v[115:116], -v[101:102]
.LBB76_251:
	s_or_b64 exec, exec, s[0:1]
	s_waitcnt vmcnt(0)
	s_barrier
	buffer_load_dword v102, off, s[24:27], 0 offset:16 ; 4-byte Folded Reload
	buffer_load_dword v103, off, s[24:27], 0 offset:20 ; 4-byte Folded Reload
	;; [unrolled: 1-line block ×4, first 2 shown]
	v_lshl_add_u32 v101, v100, 4, v98
	s_cmp_lt_i32 s3, 14
	s_waitcnt vmcnt(0)
	ds_write2_b64 v101, v[102:103], v[104:105] offset1:1
	s_waitcnt lgkmcnt(0)
	s_barrier
	ds_read2_b64 v[121:124], v98 offset0:24 offset1:25
	v_mov_b32_e32 v101, 12
	s_cbranch_scc1 .LBB76_254
; %bb.252:
	v_add_u32_e32 v102, 0xd0, v98
	s_mov_b32 s0, 13
	v_mov_b32_e32 v101, 12
.LBB76_253:                             ; =>This Inner Loop Header: Depth=1
	s_waitcnt lgkmcnt(0)
	v_cmp_gt_f64_e32 vcc, 0, v[121:122]
	v_xor_b32_e32 v107, 0x80000000, v122
	ds_read2_b64 v[103:106], v102 offset1:1
	v_xor_b32_e32 v109, 0x80000000, v124
	v_add_u32_e32 v102, 16, v102
	s_waitcnt lgkmcnt(0)
	v_xor_b32_e32 v111, 0x80000000, v106
	v_cndmask_b32_e32 v108, v122, v107, vcc
	v_cmp_gt_f64_e32 vcc, 0, v[123:124]
	v_mov_b32_e32 v107, v121
	v_cndmask_b32_e32 v110, v124, v109, vcc
	v_cmp_gt_f64_e32 vcc, 0, v[103:104]
	v_mov_b32_e32 v109, v123
	v_add_f64 v[107:108], v[107:108], v[109:110]
	v_xor_b32_e32 v109, 0x80000000, v104
	v_cndmask_b32_e32 v110, v104, v109, vcc
	v_cmp_gt_f64_e32 vcc, 0, v[105:106]
	v_mov_b32_e32 v109, v103
	v_cndmask_b32_e32 v112, v106, v111, vcc
	v_mov_b32_e32 v111, v105
	v_add_f64 v[109:110], v[109:110], v[111:112]
	v_cmp_lt_f64_e32 vcc, v[107:108], v[109:110]
	v_cndmask_b32_e32 v121, v121, v103, vcc
	v_mov_b32_e32 v103, s0
	s_add_i32 s0, s0, 1
	v_cndmask_b32_e32 v122, v122, v104, vcc
	v_cndmask_b32_e32 v124, v124, v106, vcc
	;; [unrolled: 1-line block ×4, first 2 shown]
	s_cmp_lg_u32 s3, s0
	s_cbranch_scc1 .LBB76_253
.LBB76_254:
	s_waitcnt lgkmcnt(0)
	v_cmp_eq_f64_e32 vcc, 0, v[121:122]
	v_cmp_eq_f64_e64 s[0:1], 0, v[123:124]
	s_and_b64 s[0:1], vcc, s[0:1]
	s_and_saveexec_b64 s[18:19], s[0:1]
	s_xor_b64 s[0:1], exec, s[18:19]
; %bb.255:
	v_cmp_ne_u32_e32 vcc, 0, v99
	v_cndmask_b32_e32 v99, 13, v99, vcc
; %bb.256:
	s_andn2_saveexec_b64 s[0:1], s[0:1]
	s_cbranch_execz .LBB76_262
; %bb.257:
	v_cmp_ngt_f64_e64 s[18:19], |v[121:122]|, |v[123:124]|
	s_and_saveexec_b64 s[20:21], s[18:19]
	s_xor_b64 s[18:19], exec, s[20:21]
	s_cbranch_execz .LBB76_259
; %bb.258:
	v_div_scale_f64 v[102:103], s[20:21], v[123:124], v[123:124], v[121:122]
	v_rcp_f64_e32 v[104:105], v[102:103]
	v_fma_f64 v[106:107], -v[102:103], v[104:105], 1.0
	v_fma_f64 v[104:105], v[104:105], v[106:107], v[104:105]
	v_div_scale_f64 v[106:107], vcc, v[121:122], v[123:124], v[121:122]
	v_fma_f64 v[108:109], -v[102:103], v[104:105], 1.0
	v_fma_f64 v[104:105], v[104:105], v[108:109], v[104:105]
	v_mul_f64 v[108:109], v[106:107], v[104:105]
	v_fma_f64 v[102:103], -v[102:103], v[108:109], v[106:107]
	v_div_fmas_f64 v[102:103], v[102:103], v[104:105], v[108:109]
	v_div_fixup_f64 v[102:103], v[102:103], v[123:124], v[121:122]
	v_fma_f64 v[104:105], v[121:122], v[102:103], v[123:124]
	v_div_scale_f64 v[106:107], s[20:21], v[104:105], v[104:105], 1.0
	v_div_scale_f64 v[117:118], vcc, 1.0, v[104:105], 1.0
	v_rcp_f64_e32 v[108:109], v[106:107]
	v_fma_f64 v[110:111], -v[106:107], v[108:109], 1.0
	v_fma_f64 v[108:109], v[108:109], v[110:111], v[108:109]
	v_fma_f64 v[110:111], -v[106:107], v[108:109], 1.0
	v_fma_f64 v[108:109], v[108:109], v[110:111], v[108:109]
	v_mul_f64 v[110:111], v[117:118], v[108:109]
	v_fma_f64 v[106:107], -v[106:107], v[110:111], v[117:118]
	v_div_fmas_f64 v[106:107], v[106:107], v[108:109], v[110:111]
	v_div_fixup_f64 v[123:124], v[106:107], v[104:105], 1.0
	v_mul_f64 v[121:122], v[102:103], v[123:124]
	v_xor_b32_e32 v124, 0x80000000, v124
.LBB76_259:
	s_andn2_saveexec_b64 s[18:19], s[18:19]
	s_cbranch_execz .LBB76_261
; %bb.260:
	v_div_scale_f64 v[102:103], s[20:21], v[121:122], v[121:122], v[123:124]
	v_rcp_f64_e32 v[104:105], v[102:103]
	v_fma_f64 v[106:107], -v[102:103], v[104:105], 1.0
	v_fma_f64 v[104:105], v[104:105], v[106:107], v[104:105]
	v_div_scale_f64 v[106:107], vcc, v[123:124], v[121:122], v[123:124]
	v_fma_f64 v[108:109], -v[102:103], v[104:105], 1.0
	v_fma_f64 v[104:105], v[104:105], v[108:109], v[104:105]
	v_mul_f64 v[108:109], v[106:107], v[104:105]
	v_fma_f64 v[102:103], -v[102:103], v[108:109], v[106:107]
	v_div_fmas_f64 v[102:103], v[102:103], v[104:105], v[108:109]
	v_div_fixup_f64 v[102:103], v[102:103], v[121:122], v[123:124]
	v_fma_f64 v[104:105], v[123:124], v[102:103], v[121:122]
	v_div_scale_f64 v[106:107], s[20:21], v[104:105], v[104:105], 1.0
	v_div_scale_f64 v[117:118], vcc, 1.0, v[104:105], 1.0
	v_rcp_f64_e32 v[108:109], v[106:107]
	v_fma_f64 v[110:111], -v[106:107], v[108:109], 1.0
	v_fma_f64 v[108:109], v[108:109], v[110:111], v[108:109]
	v_fma_f64 v[110:111], -v[106:107], v[108:109], 1.0
	v_fma_f64 v[108:109], v[108:109], v[110:111], v[108:109]
	v_mul_f64 v[110:111], v[117:118], v[108:109]
	v_fma_f64 v[106:107], -v[106:107], v[110:111], v[117:118]
	v_div_fmas_f64 v[106:107], v[106:107], v[108:109], v[110:111]
	v_div_fixup_f64 v[121:122], v[106:107], v[104:105], 1.0
	v_mul_f64 v[123:124], v[102:103], -v[121:122]
.LBB76_261:
	s_or_b64 exec, exec, s[18:19]
.LBB76_262:
	s_or_b64 exec, exec, s[0:1]
	v_cmp_ne_u32_e32 vcc, v100, v101
	s_and_saveexec_b64 s[0:1], vcc
	s_xor_b64 s[0:1], exec, s[0:1]
	s_cbranch_execz .LBB76_268
; %bb.263:
	v_cmp_eq_u32_e32 vcc, 12, v100
	s_and_saveexec_b64 s[18:19], vcc
	s_cbranch_execz .LBB76_267
; %bb.264:
	v_cmp_ne_u32_e32 vcc, 12, v101
	s_xor_b64 s[20:21], s[6:7], -1
	s_and_b64 s[22:23], s[20:21], vcc
	s_and_saveexec_b64 s[20:21], s[22:23]
	s_cbranch_execz .LBB76_266
; %bb.265:
	v_ashrrev_i32_e32 v102, 31, v101
	v_lshlrev_b64 v[102:103], 2, v[101:102]
	v_add_co_u32_e32 v102, vcc, v119, v102
	v_addc_co_u32_e32 v103, vcc, v120, v103, vcc
	global_load_dword v0, v[102:103], off
	global_load_dword v100, v[119:120], off offset:48
	s_waitcnt vmcnt(1)
	global_store_dword v[119:120], v0, off offset:48
	s_waitcnt vmcnt(1)
	global_store_dword v[102:103], v100, off
.LBB76_266:
	s_or_b64 exec, exec, s[20:21]
	v_mov_b32_e32 v100, v101
	v_mov_b32_e32 v0, v101
.LBB76_267:
	s_or_b64 exec, exec, s[18:19]
.LBB76_268:
	s_andn2_saveexec_b64 s[0:1], s[0:1]
	s_cbranch_execz .LBB76_270
; %bb.269:
	buffer_load_dword v100, off, s[24:27], 0 ; 4-byte Folded Reload
	buffer_load_dword v101, off, s[24:27], 0 offset:4 ; 4-byte Folded Reload
	buffer_load_dword v102, off, s[24:27], 0 offset:8 ; 4-byte Folded Reload
	buffer_load_dword v103, off, s[24:27], 0 offset:12 ; 4-byte Folded Reload
	s_waitcnt vmcnt(0)
	ds_write2_b64 v98, v[100:101], v[102:103] offset0:26 offset1:27
	ds_write2_b64 v98, v[93:94], v[95:96] offset0:28 offset1:29
	;; [unrolled: 1-line block ×26, first 2 shown]
	v_mov_b32_e32 v100, 12
.LBB76_270:
	s_or_b64 exec, exec, s[0:1]
	v_cmp_lt_i32_e32 vcc, 12, v100
	s_waitcnt vmcnt(0) lgkmcnt(0)
	s_barrier
	s_and_saveexec_b64 s[0:1], vcc
	s_cbranch_execz .LBB76_272
; %bb.271:
	buffer_load_dword v109, off, s[24:27], 0 offset:16 ; 4-byte Folded Reload
	buffer_load_dword v110, off, s[24:27], 0 offset:20 ; 4-byte Folded Reload
	;; [unrolled: 1-line block ×4, first 2 shown]
	s_waitcnt vmcnt(0)
	v_mul_f64 v[101:102], v[123:124], v[111:112]
	v_fma_f64 v[125:126], v[121:122], v[109:110], -v[101:102]
	v_mul_f64 v[101:102], v[121:122], v[111:112]
	v_fma_f64 v[111:112], v[123:124], v[109:110], v[101:102]
	ds_read2_b64 v[101:104], v98 offset0:26 offset1:27
	buffer_load_dword v107, off, s[24:27], 0 ; 4-byte Folded Reload
	buffer_load_dword v108, off, s[24:27], 0 offset:4 ; 4-byte Folded Reload
	buffer_load_dword v109, off, s[24:27], 0 offset:8 ; 4-byte Folded Reload
	;; [unrolled: 1-line block ×3, first 2 shown]
	s_waitcnt lgkmcnt(0)
	v_mul_f64 v[105:106], v[103:104], v[111:112]
	v_fma_f64 v[105:106], v[101:102], v[125:126], -v[105:106]
	v_mul_f64 v[101:102], v[101:102], v[111:112]
	v_fma_f64 v[101:102], v[103:104], v[125:126], v[101:102]
	s_waitcnt vmcnt(2)
	v_add_f64 v[107:108], v[107:108], -v[105:106]
	s_waitcnt vmcnt(0)
	v_add_f64 v[109:110], v[109:110], -v[101:102]
	buffer_store_dword v107, off, s[24:27], 0 ; 4-byte Folded Spill
	s_nop 0
	buffer_store_dword v108, off, s[24:27], 0 offset:4 ; 4-byte Folded Spill
	buffer_store_dword v109, off, s[24:27], 0 offset:8 ; 4-byte Folded Spill
	;; [unrolled: 1-line block ×3, first 2 shown]
	ds_read2_b64 v[101:104], v98 offset0:28 offset1:29
	v_mov_b32_e32 v109, v125
	v_mov_b32_e32 v110, v126
	s_waitcnt lgkmcnt(0)
	v_mul_f64 v[105:106], v[103:104], v[111:112]
	v_fma_f64 v[105:106], v[101:102], v[125:126], -v[105:106]
	v_mul_f64 v[101:102], v[101:102], v[111:112]
	v_add_f64 v[93:94], v[93:94], -v[105:106]
	v_fma_f64 v[101:102], v[103:104], v[125:126], v[101:102]
	v_add_f64 v[95:96], v[95:96], -v[101:102]
	ds_read2_b64 v[101:104], v98 offset0:30 offset1:31
	s_waitcnt lgkmcnt(0)
	v_mul_f64 v[105:106], v[103:104], v[111:112]
	v_fma_f64 v[105:106], v[101:102], v[125:126], -v[105:106]
	v_mul_f64 v[101:102], v[101:102], v[111:112]
	v_add_f64 v[89:90], v[89:90], -v[105:106]
	v_fma_f64 v[101:102], v[103:104], v[125:126], v[101:102]
	v_add_f64 v[91:92], v[91:92], -v[101:102]
	ds_read2_b64 v[101:104], v98 offset0:32 offset1:33
	;; [unrolled: 8-line block ×24, first 2 shown]
	s_waitcnt lgkmcnt(0)
	v_mul_f64 v[105:106], v[103:104], v[111:112]
	v_fma_f64 v[105:106], v[101:102], v[125:126], -v[105:106]
	v_mul_f64 v[101:102], v[101:102], v[111:112]
	buffer_store_dword v109, off, s[24:27], 0 offset:16 ; 4-byte Folded Spill
	s_nop 0
	buffer_store_dword v110, off, s[24:27], 0 offset:20 ; 4-byte Folded Spill
	buffer_store_dword v111, off, s[24:27], 0 offset:24 ; 4-byte Folded Spill
	buffer_store_dword v112, off, s[24:27], 0 offset:28 ; 4-byte Folded Spill
	v_add_f64 v[113:114], v[113:114], -v[105:106]
	v_fma_f64 v[101:102], v[103:104], v[125:126], v[101:102]
	v_add_f64 v[115:116], v[115:116], -v[101:102]
.LBB76_272:
	s_or_b64 exec, exec, s[0:1]
	s_waitcnt vmcnt(0)
	s_barrier
	buffer_load_dword v102, off, s[24:27], 0 ; 4-byte Folded Reload
	buffer_load_dword v103, off, s[24:27], 0 offset:4 ; 4-byte Folded Reload
	buffer_load_dword v104, off, s[24:27], 0 offset:8 ; 4-byte Folded Reload
	;; [unrolled: 1-line block ×3, first 2 shown]
	v_lshl_add_u32 v101, v100, 4, v98
	s_cmp_lt_i32 s3, 15
	s_waitcnt vmcnt(0)
	ds_write2_b64 v101, v[102:103], v[104:105] offset1:1
	s_waitcnt lgkmcnt(0)
	s_barrier
	ds_read2_b64 v[121:124], v98 offset0:26 offset1:27
	v_mov_b32_e32 v101, 13
	s_cbranch_scc1 .LBB76_275
; %bb.273:
	v_add_u32_e32 v102, 0xe0, v98
	s_mov_b32 s0, 14
	v_mov_b32_e32 v101, 13
.LBB76_274:                             ; =>This Inner Loop Header: Depth=1
	s_waitcnt lgkmcnt(0)
	v_cmp_gt_f64_e32 vcc, 0, v[121:122]
	v_xor_b32_e32 v107, 0x80000000, v122
	ds_read2_b64 v[103:106], v102 offset1:1
	v_xor_b32_e32 v109, 0x80000000, v124
	v_add_u32_e32 v102, 16, v102
	s_waitcnt lgkmcnt(0)
	v_xor_b32_e32 v111, 0x80000000, v106
	v_cndmask_b32_e32 v108, v122, v107, vcc
	v_cmp_gt_f64_e32 vcc, 0, v[123:124]
	v_mov_b32_e32 v107, v121
	v_cndmask_b32_e32 v110, v124, v109, vcc
	v_cmp_gt_f64_e32 vcc, 0, v[103:104]
	v_mov_b32_e32 v109, v123
	v_add_f64 v[107:108], v[107:108], v[109:110]
	v_xor_b32_e32 v109, 0x80000000, v104
	v_cndmask_b32_e32 v110, v104, v109, vcc
	v_cmp_gt_f64_e32 vcc, 0, v[105:106]
	v_mov_b32_e32 v109, v103
	v_cndmask_b32_e32 v112, v106, v111, vcc
	v_mov_b32_e32 v111, v105
	v_add_f64 v[109:110], v[109:110], v[111:112]
	v_cmp_lt_f64_e32 vcc, v[107:108], v[109:110]
	v_cndmask_b32_e32 v121, v121, v103, vcc
	v_mov_b32_e32 v103, s0
	s_add_i32 s0, s0, 1
	v_cndmask_b32_e32 v122, v122, v104, vcc
	v_cndmask_b32_e32 v124, v124, v106, vcc
	;; [unrolled: 1-line block ×4, first 2 shown]
	s_cmp_lg_u32 s3, s0
	s_cbranch_scc1 .LBB76_274
.LBB76_275:
	s_waitcnt lgkmcnt(0)
	v_cmp_eq_f64_e32 vcc, 0, v[121:122]
	v_cmp_eq_f64_e64 s[0:1], 0, v[123:124]
	s_and_b64 s[0:1], vcc, s[0:1]
	s_and_saveexec_b64 s[18:19], s[0:1]
	s_xor_b64 s[0:1], exec, s[18:19]
; %bb.276:
	v_cmp_ne_u32_e32 vcc, 0, v99
	v_cndmask_b32_e32 v99, 14, v99, vcc
; %bb.277:
	s_andn2_saveexec_b64 s[0:1], s[0:1]
	s_cbranch_execz .LBB76_283
; %bb.278:
	v_cmp_ngt_f64_e64 s[18:19], |v[121:122]|, |v[123:124]|
	s_and_saveexec_b64 s[20:21], s[18:19]
	s_xor_b64 s[18:19], exec, s[20:21]
	s_cbranch_execz .LBB76_280
; %bb.279:
	v_div_scale_f64 v[102:103], s[20:21], v[123:124], v[123:124], v[121:122]
	v_rcp_f64_e32 v[104:105], v[102:103]
	v_fma_f64 v[106:107], -v[102:103], v[104:105], 1.0
	v_fma_f64 v[104:105], v[104:105], v[106:107], v[104:105]
	v_div_scale_f64 v[106:107], vcc, v[121:122], v[123:124], v[121:122]
	v_fma_f64 v[108:109], -v[102:103], v[104:105], 1.0
	v_fma_f64 v[104:105], v[104:105], v[108:109], v[104:105]
	v_mul_f64 v[108:109], v[106:107], v[104:105]
	v_fma_f64 v[102:103], -v[102:103], v[108:109], v[106:107]
	v_div_fmas_f64 v[102:103], v[102:103], v[104:105], v[108:109]
	v_div_fixup_f64 v[102:103], v[102:103], v[123:124], v[121:122]
	v_fma_f64 v[104:105], v[121:122], v[102:103], v[123:124]
	v_div_scale_f64 v[106:107], s[20:21], v[104:105], v[104:105], 1.0
	v_div_scale_f64 v[117:118], vcc, 1.0, v[104:105], 1.0
	v_rcp_f64_e32 v[108:109], v[106:107]
	v_fma_f64 v[110:111], -v[106:107], v[108:109], 1.0
	v_fma_f64 v[108:109], v[108:109], v[110:111], v[108:109]
	v_fma_f64 v[110:111], -v[106:107], v[108:109], 1.0
	v_fma_f64 v[108:109], v[108:109], v[110:111], v[108:109]
	v_mul_f64 v[110:111], v[117:118], v[108:109]
	v_fma_f64 v[106:107], -v[106:107], v[110:111], v[117:118]
	v_div_fmas_f64 v[106:107], v[106:107], v[108:109], v[110:111]
	v_div_fixup_f64 v[123:124], v[106:107], v[104:105], 1.0
	v_mul_f64 v[121:122], v[102:103], v[123:124]
	v_xor_b32_e32 v124, 0x80000000, v124
.LBB76_280:
	s_andn2_saveexec_b64 s[18:19], s[18:19]
	s_cbranch_execz .LBB76_282
; %bb.281:
	v_div_scale_f64 v[102:103], s[20:21], v[121:122], v[121:122], v[123:124]
	v_rcp_f64_e32 v[104:105], v[102:103]
	v_fma_f64 v[106:107], -v[102:103], v[104:105], 1.0
	v_fma_f64 v[104:105], v[104:105], v[106:107], v[104:105]
	v_div_scale_f64 v[106:107], vcc, v[123:124], v[121:122], v[123:124]
	v_fma_f64 v[108:109], -v[102:103], v[104:105], 1.0
	v_fma_f64 v[104:105], v[104:105], v[108:109], v[104:105]
	v_mul_f64 v[108:109], v[106:107], v[104:105]
	v_fma_f64 v[102:103], -v[102:103], v[108:109], v[106:107]
	v_div_fmas_f64 v[102:103], v[102:103], v[104:105], v[108:109]
	v_div_fixup_f64 v[102:103], v[102:103], v[121:122], v[123:124]
	v_fma_f64 v[104:105], v[123:124], v[102:103], v[121:122]
	v_div_scale_f64 v[106:107], s[20:21], v[104:105], v[104:105], 1.0
	v_div_scale_f64 v[117:118], vcc, 1.0, v[104:105], 1.0
	v_rcp_f64_e32 v[108:109], v[106:107]
	v_fma_f64 v[110:111], -v[106:107], v[108:109], 1.0
	v_fma_f64 v[108:109], v[108:109], v[110:111], v[108:109]
	v_fma_f64 v[110:111], -v[106:107], v[108:109], 1.0
	v_fma_f64 v[108:109], v[108:109], v[110:111], v[108:109]
	v_mul_f64 v[110:111], v[117:118], v[108:109]
	v_fma_f64 v[106:107], -v[106:107], v[110:111], v[117:118]
	v_div_fmas_f64 v[106:107], v[106:107], v[108:109], v[110:111]
	v_div_fixup_f64 v[121:122], v[106:107], v[104:105], 1.0
	v_mul_f64 v[123:124], v[102:103], -v[121:122]
.LBB76_282:
	s_or_b64 exec, exec, s[18:19]
.LBB76_283:
	s_or_b64 exec, exec, s[0:1]
	v_cmp_ne_u32_e32 vcc, v100, v101
	s_and_saveexec_b64 s[0:1], vcc
	s_xor_b64 s[0:1], exec, s[0:1]
	s_cbranch_execz .LBB76_289
; %bb.284:
	v_cmp_eq_u32_e32 vcc, 13, v100
	s_and_saveexec_b64 s[18:19], vcc
	s_cbranch_execz .LBB76_288
; %bb.285:
	v_cmp_ne_u32_e32 vcc, 13, v101
	s_xor_b64 s[20:21], s[6:7], -1
	s_and_b64 s[22:23], s[20:21], vcc
	s_and_saveexec_b64 s[20:21], s[22:23]
	s_cbranch_execz .LBB76_287
; %bb.286:
	v_ashrrev_i32_e32 v102, 31, v101
	v_lshlrev_b64 v[102:103], 2, v[101:102]
	v_add_co_u32_e32 v102, vcc, v119, v102
	v_addc_co_u32_e32 v103, vcc, v120, v103, vcc
	global_load_dword v0, v[102:103], off
	global_load_dword v100, v[119:120], off offset:52
	s_waitcnt vmcnt(1)
	global_store_dword v[119:120], v0, off offset:52
	s_waitcnt vmcnt(1)
	global_store_dword v[102:103], v100, off
.LBB76_287:
	s_or_b64 exec, exec, s[20:21]
	v_mov_b32_e32 v100, v101
	v_mov_b32_e32 v0, v101
.LBB76_288:
	s_or_b64 exec, exec, s[18:19]
.LBB76_289:
	s_andn2_saveexec_b64 s[0:1], s[0:1]
	s_cbranch_execz .LBB76_291
; %bb.290:
	v_mov_b32_e32 v100, 13
	ds_write2_b64 v98, v[93:94], v[95:96] offset0:28 offset1:29
	ds_write2_b64 v98, v[89:90], v[91:92] offset0:30 offset1:31
	;; [unrolled: 1-line block ×25, first 2 shown]
.LBB76_291:
	s_or_b64 exec, exec, s[0:1]
	v_cmp_lt_i32_e32 vcc, 13, v100
	s_waitcnt vmcnt(0) lgkmcnt(0)
	s_barrier
	s_and_saveexec_b64 s[0:1], vcc
	s_cbranch_execz .LBB76_293
; %bb.292:
	buffer_load_dword v105, off, s[24:27], 0 ; 4-byte Folded Reload
	buffer_load_dword v106, off, s[24:27], 0 offset:4 ; 4-byte Folded Reload
	buffer_load_dword v107, off, s[24:27], 0 offset:8 ; 4-byte Folded Reload
	buffer_load_dword v108, off, s[24:27], 0 offset:12 ; 4-byte Folded Reload
	s_waitcnt vmcnt(0)
	v_mul_f64 v[101:102], v[123:124], v[107:108]
	v_fma_f64 v[125:126], v[121:122], v[105:106], -v[101:102]
	v_mul_f64 v[101:102], v[121:122], v[107:108]
	v_fma_f64 v[107:108], v[123:124], v[105:106], v[101:102]
	ds_read2_b64 v[101:104], v98 offset0:28 offset1:29
	s_waitcnt lgkmcnt(0)
	v_mul_f64 v[105:106], v[103:104], v[107:108]
	v_fma_f64 v[105:106], v[101:102], v[125:126], -v[105:106]
	v_mul_f64 v[101:102], v[101:102], v[107:108]
	v_add_f64 v[93:94], v[93:94], -v[105:106]
	v_fma_f64 v[101:102], v[103:104], v[125:126], v[101:102]
	v_add_f64 v[95:96], v[95:96], -v[101:102]
	ds_read2_b64 v[101:104], v98 offset0:30 offset1:31
	s_waitcnt lgkmcnt(0)
	v_mul_f64 v[105:106], v[103:104], v[107:108]
	v_fma_f64 v[105:106], v[101:102], v[125:126], -v[105:106]
	v_mul_f64 v[101:102], v[101:102], v[107:108]
	v_add_f64 v[89:90], v[89:90], -v[105:106]
	v_fma_f64 v[101:102], v[103:104], v[125:126], v[101:102]
	v_add_f64 v[91:92], v[91:92], -v[101:102]
	;; [unrolled: 8-line block ×24, first 2 shown]
	ds_read2_b64 v[101:104], v98 offset0:76 offset1:77
	s_waitcnt lgkmcnt(0)
	v_mul_f64 v[105:106], v[103:104], v[107:108]
	v_fma_f64 v[105:106], v[101:102], v[125:126], -v[105:106]
	v_mul_f64 v[101:102], v[101:102], v[107:108]
	v_add_f64 v[113:114], v[113:114], -v[105:106]
	v_fma_f64 v[101:102], v[103:104], v[125:126], v[101:102]
	v_mov_b32_e32 v105, v125
	v_mov_b32_e32 v106, v126
	buffer_store_dword v105, off, s[24:27], 0 ; 4-byte Folded Spill
	s_nop 0
	buffer_store_dword v106, off, s[24:27], 0 offset:4 ; 4-byte Folded Spill
	buffer_store_dword v107, off, s[24:27], 0 offset:8 ; 4-byte Folded Spill
	;; [unrolled: 1-line block ×3, first 2 shown]
	v_add_f64 v[115:116], v[115:116], -v[101:102]
.LBB76_293:
	s_or_b64 exec, exec, s[0:1]
	v_lshl_add_u32 v101, v100, 4, v98
	s_waitcnt vmcnt(0)
	s_barrier
	ds_write2_b64 v101, v[93:94], v[95:96] offset1:1
	s_waitcnt lgkmcnt(0)
	s_barrier
	ds_read2_b64 v[121:124], v98 offset0:28 offset1:29
	s_cmp_lt_i32 s3, 16
	v_mov_b32_e32 v101, 14
	s_cbranch_scc1 .LBB76_296
; %bb.294:
	v_add_u32_e32 v102, 0xf0, v98
	s_mov_b32 s0, 15
	v_mov_b32_e32 v101, 14
.LBB76_295:                             ; =>This Inner Loop Header: Depth=1
	s_waitcnt lgkmcnt(0)
	v_cmp_gt_f64_e32 vcc, 0, v[121:122]
	v_xor_b32_e32 v107, 0x80000000, v122
	ds_read2_b64 v[103:106], v102 offset1:1
	v_xor_b32_e32 v109, 0x80000000, v124
	v_add_u32_e32 v102, 16, v102
	s_waitcnt lgkmcnt(0)
	v_xor_b32_e32 v111, 0x80000000, v106
	v_cndmask_b32_e32 v108, v122, v107, vcc
	v_cmp_gt_f64_e32 vcc, 0, v[123:124]
	v_mov_b32_e32 v107, v121
	v_cndmask_b32_e32 v110, v124, v109, vcc
	v_cmp_gt_f64_e32 vcc, 0, v[103:104]
	v_mov_b32_e32 v109, v123
	v_add_f64 v[107:108], v[107:108], v[109:110]
	v_xor_b32_e32 v109, 0x80000000, v104
	v_cndmask_b32_e32 v110, v104, v109, vcc
	v_cmp_gt_f64_e32 vcc, 0, v[105:106]
	v_mov_b32_e32 v109, v103
	v_cndmask_b32_e32 v112, v106, v111, vcc
	v_mov_b32_e32 v111, v105
	v_add_f64 v[109:110], v[109:110], v[111:112]
	v_cmp_lt_f64_e32 vcc, v[107:108], v[109:110]
	v_cndmask_b32_e32 v121, v121, v103, vcc
	v_mov_b32_e32 v103, s0
	s_add_i32 s0, s0, 1
	v_cndmask_b32_e32 v122, v122, v104, vcc
	v_cndmask_b32_e32 v124, v124, v106, vcc
	;; [unrolled: 1-line block ×4, first 2 shown]
	s_cmp_lg_u32 s3, s0
	s_cbranch_scc1 .LBB76_295
.LBB76_296:
	s_waitcnt lgkmcnt(0)
	v_cmp_eq_f64_e32 vcc, 0, v[121:122]
	v_cmp_eq_f64_e64 s[0:1], 0, v[123:124]
	s_and_b64 s[0:1], vcc, s[0:1]
	s_and_saveexec_b64 s[18:19], s[0:1]
	s_xor_b64 s[0:1], exec, s[18:19]
; %bb.297:
	v_cmp_ne_u32_e32 vcc, 0, v99
	v_cndmask_b32_e32 v99, 15, v99, vcc
; %bb.298:
	s_andn2_saveexec_b64 s[0:1], s[0:1]
	s_cbranch_execz .LBB76_304
; %bb.299:
	v_cmp_ngt_f64_e64 s[18:19], |v[121:122]|, |v[123:124]|
	s_and_saveexec_b64 s[20:21], s[18:19]
	s_xor_b64 s[18:19], exec, s[20:21]
	s_cbranch_execz .LBB76_301
; %bb.300:
	v_div_scale_f64 v[102:103], s[20:21], v[123:124], v[123:124], v[121:122]
	v_rcp_f64_e32 v[104:105], v[102:103]
	v_fma_f64 v[106:107], -v[102:103], v[104:105], 1.0
	v_fma_f64 v[104:105], v[104:105], v[106:107], v[104:105]
	v_div_scale_f64 v[106:107], vcc, v[121:122], v[123:124], v[121:122]
	v_fma_f64 v[108:109], -v[102:103], v[104:105], 1.0
	v_fma_f64 v[104:105], v[104:105], v[108:109], v[104:105]
	v_mul_f64 v[108:109], v[106:107], v[104:105]
	v_fma_f64 v[102:103], -v[102:103], v[108:109], v[106:107]
	v_div_fmas_f64 v[102:103], v[102:103], v[104:105], v[108:109]
	v_div_fixup_f64 v[102:103], v[102:103], v[123:124], v[121:122]
	v_fma_f64 v[104:105], v[121:122], v[102:103], v[123:124]
	v_div_scale_f64 v[106:107], s[20:21], v[104:105], v[104:105], 1.0
	v_div_scale_f64 v[117:118], vcc, 1.0, v[104:105], 1.0
	v_rcp_f64_e32 v[108:109], v[106:107]
	v_fma_f64 v[110:111], -v[106:107], v[108:109], 1.0
	v_fma_f64 v[108:109], v[108:109], v[110:111], v[108:109]
	v_fma_f64 v[110:111], -v[106:107], v[108:109], 1.0
	v_fma_f64 v[108:109], v[108:109], v[110:111], v[108:109]
	v_mul_f64 v[110:111], v[117:118], v[108:109]
	v_fma_f64 v[106:107], -v[106:107], v[110:111], v[117:118]
	v_div_fmas_f64 v[106:107], v[106:107], v[108:109], v[110:111]
	v_div_fixup_f64 v[123:124], v[106:107], v[104:105], 1.0
	v_mul_f64 v[121:122], v[102:103], v[123:124]
	v_xor_b32_e32 v124, 0x80000000, v124
.LBB76_301:
	s_andn2_saveexec_b64 s[18:19], s[18:19]
	s_cbranch_execz .LBB76_303
; %bb.302:
	v_div_scale_f64 v[102:103], s[20:21], v[121:122], v[121:122], v[123:124]
	v_rcp_f64_e32 v[104:105], v[102:103]
	v_fma_f64 v[106:107], -v[102:103], v[104:105], 1.0
	v_fma_f64 v[104:105], v[104:105], v[106:107], v[104:105]
	v_div_scale_f64 v[106:107], vcc, v[123:124], v[121:122], v[123:124]
	v_fma_f64 v[108:109], -v[102:103], v[104:105], 1.0
	v_fma_f64 v[104:105], v[104:105], v[108:109], v[104:105]
	v_mul_f64 v[108:109], v[106:107], v[104:105]
	v_fma_f64 v[102:103], -v[102:103], v[108:109], v[106:107]
	v_div_fmas_f64 v[102:103], v[102:103], v[104:105], v[108:109]
	v_div_fixup_f64 v[102:103], v[102:103], v[121:122], v[123:124]
	v_fma_f64 v[104:105], v[123:124], v[102:103], v[121:122]
	v_div_scale_f64 v[106:107], s[20:21], v[104:105], v[104:105], 1.0
	v_div_scale_f64 v[117:118], vcc, 1.0, v[104:105], 1.0
	v_rcp_f64_e32 v[108:109], v[106:107]
	v_fma_f64 v[110:111], -v[106:107], v[108:109], 1.0
	v_fma_f64 v[108:109], v[108:109], v[110:111], v[108:109]
	v_fma_f64 v[110:111], -v[106:107], v[108:109], 1.0
	v_fma_f64 v[108:109], v[108:109], v[110:111], v[108:109]
	v_mul_f64 v[110:111], v[117:118], v[108:109]
	v_fma_f64 v[106:107], -v[106:107], v[110:111], v[117:118]
	v_div_fmas_f64 v[106:107], v[106:107], v[108:109], v[110:111]
	v_div_fixup_f64 v[121:122], v[106:107], v[104:105], 1.0
	v_mul_f64 v[123:124], v[102:103], -v[121:122]
.LBB76_303:
	s_or_b64 exec, exec, s[18:19]
.LBB76_304:
	s_or_b64 exec, exec, s[0:1]
	v_cmp_ne_u32_e32 vcc, v100, v101
	s_and_saveexec_b64 s[0:1], vcc
	s_xor_b64 s[0:1], exec, s[0:1]
	s_cbranch_execz .LBB76_310
; %bb.305:
	v_cmp_eq_u32_e32 vcc, 14, v100
	s_and_saveexec_b64 s[18:19], vcc
	s_cbranch_execz .LBB76_309
; %bb.306:
	v_cmp_ne_u32_e32 vcc, 14, v101
	s_xor_b64 s[20:21], s[6:7], -1
	s_and_b64 s[22:23], s[20:21], vcc
	s_and_saveexec_b64 s[20:21], s[22:23]
	s_cbranch_execz .LBB76_308
; %bb.307:
	v_ashrrev_i32_e32 v102, 31, v101
	v_lshlrev_b64 v[102:103], 2, v[101:102]
	v_add_co_u32_e32 v102, vcc, v119, v102
	v_addc_co_u32_e32 v103, vcc, v120, v103, vcc
	global_load_dword v0, v[102:103], off
	global_load_dword v100, v[119:120], off offset:56
	s_waitcnt vmcnt(1)
	global_store_dword v[119:120], v0, off offset:56
	s_waitcnt vmcnt(1)
	global_store_dword v[102:103], v100, off
.LBB76_308:
	s_or_b64 exec, exec, s[20:21]
	v_mov_b32_e32 v100, v101
	v_mov_b32_e32 v0, v101
.LBB76_309:
	s_or_b64 exec, exec, s[18:19]
.LBB76_310:
	s_andn2_saveexec_b64 s[0:1], s[0:1]
	s_cbranch_execz .LBB76_312
; %bb.311:
	v_mov_b32_e32 v100, 14
	ds_write2_b64 v98, v[89:90], v[91:92] offset0:30 offset1:31
	ds_write2_b64 v98, v[85:86], v[87:88] offset0:32 offset1:33
	ds_write2_b64 v98, v[81:82], v[83:84] offset0:34 offset1:35
	ds_write2_b64 v98, v[77:78], v[79:80] offset0:36 offset1:37
	ds_write2_b64 v98, v[73:74], v[75:76] offset0:38 offset1:39
	ds_write2_b64 v98, v[69:70], v[71:72] offset0:40 offset1:41
	ds_write2_b64 v98, v[65:66], v[67:68] offset0:42 offset1:43
	ds_write2_b64 v98, v[61:62], v[63:64] offset0:44 offset1:45
	ds_write2_b64 v98, v[57:58], v[59:60] offset0:46 offset1:47
	ds_write2_b64 v98, v[53:54], v[55:56] offset0:48 offset1:49
	ds_write2_b64 v98, v[49:50], v[51:52] offset0:50 offset1:51
	ds_write2_b64 v98, v[45:46], v[47:48] offset0:52 offset1:53
	ds_write2_b64 v98, v[41:42], v[43:44] offset0:54 offset1:55
	ds_write2_b64 v98, v[37:38], v[39:40] offset0:56 offset1:57
	ds_write2_b64 v98, v[33:34], v[35:36] offset0:58 offset1:59
	ds_write2_b64 v98, v[29:30], v[31:32] offset0:60 offset1:61
	ds_write2_b64 v98, v[25:26], v[27:28] offset0:62 offset1:63
	ds_write2_b64 v98, v[21:22], v[23:24] offset0:64 offset1:65
	ds_write2_b64 v98, v[17:18], v[19:20] offset0:66 offset1:67
	ds_write2_b64 v98, v[13:14], v[15:16] offset0:68 offset1:69
	ds_write2_b64 v98, v[9:10], v[11:12] offset0:70 offset1:71
	ds_write2_b64 v98, v[5:6], v[7:8] offset0:72 offset1:73
	ds_write2_b64 v98, v[1:2], v[3:4] offset0:74 offset1:75
	ds_write2_b64 v98, v[113:114], v[115:116] offset0:76 offset1:77
.LBB76_312:
	s_or_b64 exec, exec, s[0:1]
	v_cmp_lt_i32_e32 vcc, 14, v100
	s_waitcnt vmcnt(0) lgkmcnt(0)
	s_barrier
	s_and_saveexec_b64 s[0:1], vcc
	s_cbranch_execz .LBB76_314
; %bb.313:
	v_mul_f64 v[101:102], v[123:124], v[95:96]
	v_mul_f64 v[95:96], v[121:122], v[95:96]
	v_fma_f64 v[125:126], v[121:122], v[93:94], -v[101:102]
	v_fma_f64 v[95:96], v[123:124], v[93:94], v[95:96]
	ds_read2_b64 v[101:104], v98 offset0:30 offset1:31
	s_waitcnt lgkmcnt(0)
	v_mul_f64 v[93:94], v[103:104], v[95:96]
	v_fma_f64 v[93:94], v[101:102], v[125:126], -v[93:94]
	v_mul_f64 v[101:102], v[101:102], v[95:96]
	v_add_f64 v[89:90], v[89:90], -v[93:94]
	v_fma_f64 v[101:102], v[103:104], v[125:126], v[101:102]
	v_add_f64 v[91:92], v[91:92], -v[101:102]
	ds_read2_b64 v[101:104], v98 offset0:32 offset1:33
	s_waitcnt lgkmcnt(0)
	v_mul_f64 v[93:94], v[103:104], v[95:96]
	v_fma_f64 v[93:94], v[101:102], v[125:126], -v[93:94]
	v_mul_f64 v[101:102], v[101:102], v[95:96]
	v_add_f64 v[85:86], v[85:86], -v[93:94]
	v_fma_f64 v[101:102], v[103:104], v[125:126], v[101:102]
	v_add_f64 v[87:88], v[87:88], -v[101:102]
	;; [unrolled: 8-line block ×23, first 2 shown]
	ds_read2_b64 v[101:104], v98 offset0:76 offset1:77
	s_waitcnt lgkmcnt(0)
	v_mul_f64 v[93:94], v[103:104], v[95:96]
	v_fma_f64 v[93:94], v[101:102], v[125:126], -v[93:94]
	v_mul_f64 v[101:102], v[101:102], v[95:96]
	v_add_f64 v[113:114], v[113:114], -v[93:94]
	v_fma_f64 v[101:102], v[103:104], v[125:126], v[101:102]
	v_mov_b32_e32 v93, v125
	v_mov_b32_e32 v94, v126
	v_add_f64 v[115:116], v[115:116], -v[101:102]
.LBB76_314:
	s_or_b64 exec, exec, s[0:1]
	v_lshl_add_u32 v101, v100, 4, v98
	s_barrier
	ds_write2_b64 v101, v[89:90], v[91:92] offset1:1
	s_waitcnt lgkmcnt(0)
	s_barrier
	ds_read2_b64 v[121:124], v98 offset0:30 offset1:31
	s_cmp_lt_i32 s3, 17
	v_mov_b32_e32 v101, 15
	s_cbranch_scc1 .LBB76_317
; %bb.315:
	v_add_u32_e32 v102, 0x100, v98
	s_mov_b32 s0, 16
	v_mov_b32_e32 v101, 15
.LBB76_316:                             ; =>This Inner Loop Header: Depth=1
	s_waitcnt lgkmcnt(0)
	v_cmp_gt_f64_e32 vcc, 0, v[121:122]
	v_xor_b32_e32 v107, 0x80000000, v122
	ds_read2_b64 v[103:106], v102 offset1:1
	v_xor_b32_e32 v109, 0x80000000, v124
	v_add_u32_e32 v102, 16, v102
	s_waitcnt lgkmcnt(0)
	v_xor_b32_e32 v111, 0x80000000, v106
	v_cndmask_b32_e32 v108, v122, v107, vcc
	v_cmp_gt_f64_e32 vcc, 0, v[123:124]
	v_mov_b32_e32 v107, v121
	v_cndmask_b32_e32 v110, v124, v109, vcc
	v_cmp_gt_f64_e32 vcc, 0, v[103:104]
	v_mov_b32_e32 v109, v123
	v_add_f64 v[107:108], v[107:108], v[109:110]
	v_xor_b32_e32 v109, 0x80000000, v104
	v_cndmask_b32_e32 v110, v104, v109, vcc
	v_cmp_gt_f64_e32 vcc, 0, v[105:106]
	v_mov_b32_e32 v109, v103
	v_cndmask_b32_e32 v112, v106, v111, vcc
	v_mov_b32_e32 v111, v105
	v_add_f64 v[109:110], v[109:110], v[111:112]
	v_cmp_lt_f64_e32 vcc, v[107:108], v[109:110]
	v_cndmask_b32_e32 v121, v121, v103, vcc
	v_mov_b32_e32 v103, s0
	s_add_i32 s0, s0, 1
	v_cndmask_b32_e32 v122, v122, v104, vcc
	v_cndmask_b32_e32 v124, v124, v106, vcc
	;; [unrolled: 1-line block ×4, first 2 shown]
	s_cmp_lg_u32 s3, s0
	s_cbranch_scc1 .LBB76_316
.LBB76_317:
	s_waitcnt lgkmcnt(0)
	v_cmp_eq_f64_e32 vcc, 0, v[121:122]
	v_cmp_eq_f64_e64 s[0:1], 0, v[123:124]
	s_and_b64 s[0:1], vcc, s[0:1]
	s_and_saveexec_b64 s[18:19], s[0:1]
	s_xor_b64 s[0:1], exec, s[18:19]
; %bb.318:
	v_cmp_ne_u32_e32 vcc, 0, v99
	v_cndmask_b32_e32 v99, 16, v99, vcc
; %bb.319:
	s_andn2_saveexec_b64 s[0:1], s[0:1]
	s_cbranch_execz .LBB76_325
; %bb.320:
	v_cmp_ngt_f64_e64 s[18:19], |v[121:122]|, |v[123:124]|
	s_and_saveexec_b64 s[20:21], s[18:19]
	s_xor_b64 s[18:19], exec, s[20:21]
	s_cbranch_execz .LBB76_322
; %bb.321:
	v_div_scale_f64 v[102:103], s[20:21], v[123:124], v[123:124], v[121:122]
	v_rcp_f64_e32 v[104:105], v[102:103]
	v_fma_f64 v[106:107], -v[102:103], v[104:105], 1.0
	v_fma_f64 v[104:105], v[104:105], v[106:107], v[104:105]
	v_div_scale_f64 v[106:107], vcc, v[121:122], v[123:124], v[121:122]
	v_fma_f64 v[108:109], -v[102:103], v[104:105], 1.0
	v_fma_f64 v[104:105], v[104:105], v[108:109], v[104:105]
	v_mul_f64 v[108:109], v[106:107], v[104:105]
	v_fma_f64 v[102:103], -v[102:103], v[108:109], v[106:107]
	v_div_fmas_f64 v[102:103], v[102:103], v[104:105], v[108:109]
	v_div_fixup_f64 v[102:103], v[102:103], v[123:124], v[121:122]
	v_fma_f64 v[104:105], v[121:122], v[102:103], v[123:124]
	v_div_scale_f64 v[106:107], s[20:21], v[104:105], v[104:105], 1.0
	v_div_scale_f64 v[117:118], vcc, 1.0, v[104:105], 1.0
	v_rcp_f64_e32 v[108:109], v[106:107]
	v_fma_f64 v[110:111], -v[106:107], v[108:109], 1.0
	v_fma_f64 v[108:109], v[108:109], v[110:111], v[108:109]
	v_fma_f64 v[110:111], -v[106:107], v[108:109], 1.0
	v_fma_f64 v[108:109], v[108:109], v[110:111], v[108:109]
	v_mul_f64 v[110:111], v[117:118], v[108:109]
	v_fma_f64 v[106:107], -v[106:107], v[110:111], v[117:118]
	v_div_fmas_f64 v[106:107], v[106:107], v[108:109], v[110:111]
	v_div_fixup_f64 v[123:124], v[106:107], v[104:105], 1.0
	v_mul_f64 v[121:122], v[102:103], v[123:124]
	v_xor_b32_e32 v124, 0x80000000, v124
.LBB76_322:
	s_andn2_saveexec_b64 s[18:19], s[18:19]
	s_cbranch_execz .LBB76_324
; %bb.323:
	v_div_scale_f64 v[102:103], s[20:21], v[121:122], v[121:122], v[123:124]
	v_rcp_f64_e32 v[104:105], v[102:103]
	v_fma_f64 v[106:107], -v[102:103], v[104:105], 1.0
	v_fma_f64 v[104:105], v[104:105], v[106:107], v[104:105]
	v_div_scale_f64 v[106:107], vcc, v[123:124], v[121:122], v[123:124]
	v_fma_f64 v[108:109], -v[102:103], v[104:105], 1.0
	v_fma_f64 v[104:105], v[104:105], v[108:109], v[104:105]
	v_mul_f64 v[108:109], v[106:107], v[104:105]
	v_fma_f64 v[102:103], -v[102:103], v[108:109], v[106:107]
	v_div_fmas_f64 v[102:103], v[102:103], v[104:105], v[108:109]
	v_div_fixup_f64 v[102:103], v[102:103], v[121:122], v[123:124]
	v_fma_f64 v[104:105], v[123:124], v[102:103], v[121:122]
	v_div_scale_f64 v[106:107], s[20:21], v[104:105], v[104:105], 1.0
	v_div_scale_f64 v[117:118], vcc, 1.0, v[104:105], 1.0
	v_rcp_f64_e32 v[108:109], v[106:107]
	v_fma_f64 v[110:111], -v[106:107], v[108:109], 1.0
	v_fma_f64 v[108:109], v[108:109], v[110:111], v[108:109]
	v_fma_f64 v[110:111], -v[106:107], v[108:109], 1.0
	v_fma_f64 v[108:109], v[108:109], v[110:111], v[108:109]
	v_mul_f64 v[110:111], v[117:118], v[108:109]
	v_fma_f64 v[106:107], -v[106:107], v[110:111], v[117:118]
	v_div_fmas_f64 v[106:107], v[106:107], v[108:109], v[110:111]
	v_div_fixup_f64 v[121:122], v[106:107], v[104:105], 1.0
	v_mul_f64 v[123:124], v[102:103], -v[121:122]
.LBB76_324:
	s_or_b64 exec, exec, s[18:19]
.LBB76_325:
	s_or_b64 exec, exec, s[0:1]
	v_cmp_ne_u32_e32 vcc, v100, v101
	s_and_saveexec_b64 s[0:1], vcc
	s_xor_b64 s[0:1], exec, s[0:1]
	s_cbranch_execz .LBB76_331
; %bb.326:
	v_cmp_eq_u32_e32 vcc, 15, v100
	s_and_saveexec_b64 s[18:19], vcc
	s_cbranch_execz .LBB76_330
; %bb.327:
	v_cmp_ne_u32_e32 vcc, 15, v101
	s_xor_b64 s[20:21], s[6:7], -1
	s_and_b64 s[22:23], s[20:21], vcc
	s_and_saveexec_b64 s[20:21], s[22:23]
	s_cbranch_execz .LBB76_329
; %bb.328:
	v_ashrrev_i32_e32 v102, 31, v101
	v_lshlrev_b64 v[102:103], 2, v[101:102]
	v_add_co_u32_e32 v102, vcc, v119, v102
	v_addc_co_u32_e32 v103, vcc, v120, v103, vcc
	global_load_dword v0, v[102:103], off
	global_load_dword v100, v[119:120], off offset:60
	s_waitcnt vmcnt(1)
	global_store_dword v[119:120], v0, off offset:60
	s_waitcnt vmcnt(1)
	global_store_dword v[102:103], v100, off
.LBB76_329:
	s_or_b64 exec, exec, s[20:21]
	v_mov_b32_e32 v100, v101
	v_mov_b32_e32 v0, v101
.LBB76_330:
	s_or_b64 exec, exec, s[18:19]
.LBB76_331:
	s_andn2_saveexec_b64 s[0:1], s[0:1]
	s_cbranch_execz .LBB76_333
; %bb.332:
	v_mov_b32_e32 v100, 15
	ds_write2_b64 v98, v[85:86], v[87:88] offset0:32 offset1:33
	ds_write2_b64 v98, v[81:82], v[83:84] offset0:34 offset1:35
	;; [unrolled: 1-line block ×23, first 2 shown]
.LBB76_333:
	s_or_b64 exec, exec, s[0:1]
	v_cmp_lt_i32_e32 vcc, 15, v100
	s_waitcnt vmcnt(0) lgkmcnt(0)
	s_barrier
	s_and_saveexec_b64 s[0:1], vcc
	s_cbranch_execz .LBB76_335
; %bb.334:
	v_mul_f64 v[101:102], v[123:124], v[91:92]
	v_mul_f64 v[91:92], v[121:122], v[91:92]
	v_fma_f64 v[125:126], v[121:122], v[89:90], -v[101:102]
	v_fma_f64 v[91:92], v[123:124], v[89:90], v[91:92]
	ds_read2_b64 v[101:104], v98 offset0:32 offset1:33
	s_waitcnt lgkmcnt(0)
	v_mul_f64 v[89:90], v[103:104], v[91:92]
	v_fma_f64 v[89:90], v[101:102], v[125:126], -v[89:90]
	v_mul_f64 v[101:102], v[101:102], v[91:92]
	v_add_f64 v[85:86], v[85:86], -v[89:90]
	v_fma_f64 v[101:102], v[103:104], v[125:126], v[101:102]
	v_add_f64 v[87:88], v[87:88], -v[101:102]
	ds_read2_b64 v[101:104], v98 offset0:34 offset1:35
	s_waitcnt lgkmcnt(0)
	v_mul_f64 v[89:90], v[103:104], v[91:92]
	v_fma_f64 v[89:90], v[101:102], v[125:126], -v[89:90]
	v_mul_f64 v[101:102], v[101:102], v[91:92]
	v_add_f64 v[81:82], v[81:82], -v[89:90]
	v_fma_f64 v[101:102], v[103:104], v[125:126], v[101:102]
	v_add_f64 v[83:84], v[83:84], -v[101:102]
	;; [unrolled: 8-line block ×22, first 2 shown]
	ds_read2_b64 v[101:104], v98 offset0:76 offset1:77
	s_waitcnt lgkmcnt(0)
	v_mul_f64 v[89:90], v[103:104], v[91:92]
	v_fma_f64 v[89:90], v[101:102], v[125:126], -v[89:90]
	v_mul_f64 v[101:102], v[101:102], v[91:92]
	v_add_f64 v[113:114], v[113:114], -v[89:90]
	v_fma_f64 v[101:102], v[103:104], v[125:126], v[101:102]
	v_mov_b32_e32 v89, v125
	v_mov_b32_e32 v90, v126
	v_add_f64 v[115:116], v[115:116], -v[101:102]
.LBB76_335:
	s_or_b64 exec, exec, s[0:1]
	v_lshl_add_u32 v101, v100, 4, v98
	s_barrier
	ds_write2_b64 v101, v[85:86], v[87:88] offset1:1
	s_waitcnt lgkmcnt(0)
	s_barrier
	ds_read2_b64 v[121:124], v98 offset0:32 offset1:33
	s_cmp_lt_i32 s3, 18
	v_mov_b32_e32 v101, 16
	s_cbranch_scc1 .LBB76_338
; %bb.336:
	v_add_u32_e32 v102, 0x110, v98
	s_mov_b32 s0, 17
	v_mov_b32_e32 v101, 16
.LBB76_337:                             ; =>This Inner Loop Header: Depth=1
	s_waitcnt lgkmcnt(0)
	v_cmp_gt_f64_e32 vcc, 0, v[121:122]
	v_xor_b32_e32 v107, 0x80000000, v122
	ds_read2_b64 v[103:106], v102 offset1:1
	v_xor_b32_e32 v109, 0x80000000, v124
	v_add_u32_e32 v102, 16, v102
	s_waitcnt lgkmcnt(0)
	v_xor_b32_e32 v111, 0x80000000, v106
	v_cndmask_b32_e32 v108, v122, v107, vcc
	v_cmp_gt_f64_e32 vcc, 0, v[123:124]
	v_mov_b32_e32 v107, v121
	v_cndmask_b32_e32 v110, v124, v109, vcc
	v_cmp_gt_f64_e32 vcc, 0, v[103:104]
	v_mov_b32_e32 v109, v123
	v_add_f64 v[107:108], v[107:108], v[109:110]
	v_xor_b32_e32 v109, 0x80000000, v104
	v_cndmask_b32_e32 v110, v104, v109, vcc
	v_cmp_gt_f64_e32 vcc, 0, v[105:106]
	v_mov_b32_e32 v109, v103
	v_cndmask_b32_e32 v112, v106, v111, vcc
	v_mov_b32_e32 v111, v105
	v_add_f64 v[109:110], v[109:110], v[111:112]
	v_cmp_lt_f64_e32 vcc, v[107:108], v[109:110]
	v_cndmask_b32_e32 v121, v121, v103, vcc
	v_mov_b32_e32 v103, s0
	s_add_i32 s0, s0, 1
	v_cndmask_b32_e32 v122, v122, v104, vcc
	v_cndmask_b32_e32 v124, v124, v106, vcc
	;; [unrolled: 1-line block ×4, first 2 shown]
	s_cmp_lg_u32 s3, s0
	s_cbranch_scc1 .LBB76_337
.LBB76_338:
	s_waitcnt lgkmcnt(0)
	v_cmp_eq_f64_e32 vcc, 0, v[121:122]
	v_cmp_eq_f64_e64 s[0:1], 0, v[123:124]
	s_and_b64 s[0:1], vcc, s[0:1]
	s_and_saveexec_b64 s[18:19], s[0:1]
	s_xor_b64 s[0:1], exec, s[18:19]
; %bb.339:
	v_cmp_ne_u32_e32 vcc, 0, v99
	v_cndmask_b32_e32 v99, 17, v99, vcc
; %bb.340:
	s_andn2_saveexec_b64 s[0:1], s[0:1]
	s_cbranch_execz .LBB76_346
; %bb.341:
	v_cmp_ngt_f64_e64 s[18:19], |v[121:122]|, |v[123:124]|
	s_and_saveexec_b64 s[20:21], s[18:19]
	s_xor_b64 s[18:19], exec, s[20:21]
	s_cbranch_execz .LBB76_343
; %bb.342:
	v_div_scale_f64 v[102:103], s[20:21], v[123:124], v[123:124], v[121:122]
	v_rcp_f64_e32 v[104:105], v[102:103]
	v_fma_f64 v[106:107], -v[102:103], v[104:105], 1.0
	v_fma_f64 v[104:105], v[104:105], v[106:107], v[104:105]
	v_div_scale_f64 v[106:107], vcc, v[121:122], v[123:124], v[121:122]
	v_fma_f64 v[108:109], -v[102:103], v[104:105], 1.0
	v_fma_f64 v[104:105], v[104:105], v[108:109], v[104:105]
	v_mul_f64 v[108:109], v[106:107], v[104:105]
	v_fma_f64 v[102:103], -v[102:103], v[108:109], v[106:107]
	v_div_fmas_f64 v[102:103], v[102:103], v[104:105], v[108:109]
	v_div_fixup_f64 v[102:103], v[102:103], v[123:124], v[121:122]
	v_fma_f64 v[104:105], v[121:122], v[102:103], v[123:124]
	v_div_scale_f64 v[106:107], s[20:21], v[104:105], v[104:105], 1.0
	v_div_scale_f64 v[117:118], vcc, 1.0, v[104:105], 1.0
	v_rcp_f64_e32 v[108:109], v[106:107]
	v_fma_f64 v[110:111], -v[106:107], v[108:109], 1.0
	v_fma_f64 v[108:109], v[108:109], v[110:111], v[108:109]
	v_fma_f64 v[110:111], -v[106:107], v[108:109], 1.0
	v_fma_f64 v[108:109], v[108:109], v[110:111], v[108:109]
	v_mul_f64 v[110:111], v[117:118], v[108:109]
	v_fma_f64 v[106:107], -v[106:107], v[110:111], v[117:118]
	v_div_fmas_f64 v[106:107], v[106:107], v[108:109], v[110:111]
	v_div_fixup_f64 v[123:124], v[106:107], v[104:105], 1.0
	v_mul_f64 v[121:122], v[102:103], v[123:124]
	v_xor_b32_e32 v124, 0x80000000, v124
.LBB76_343:
	s_andn2_saveexec_b64 s[18:19], s[18:19]
	s_cbranch_execz .LBB76_345
; %bb.344:
	v_div_scale_f64 v[102:103], s[20:21], v[121:122], v[121:122], v[123:124]
	v_rcp_f64_e32 v[104:105], v[102:103]
	v_fma_f64 v[106:107], -v[102:103], v[104:105], 1.0
	v_fma_f64 v[104:105], v[104:105], v[106:107], v[104:105]
	v_div_scale_f64 v[106:107], vcc, v[123:124], v[121:122], v[123:124]
	v_fma_f64 v[108:109], -v[102:103], v[104:105], 1.0
	v_fma_f64 v[104:105], v[104:105], v[108:109], v[104:105]
	v_mul_f64 v[108:109], v[106:107], v[104:105]
	v_fma_f64 v[102:103], -v[102:103], v[108:109], v[106:107]
	v_div_fmas_f64 v[102:103], v[102:103], v[104:105], v[108:109]
	v_div_fixup_f64 v[102:103], v[102:103], v[121:122], v[123:124]
	v_fma_f64 v[104:105], v[123:124], v[102:103], v[121:122]
	v_div_scale_f64 v[106:107], s[20:21], v[104:105], v[104:105], 1.0
	v_div_scale_f64 v[117:118], vcc, 1.0, v[104:105], 1.0
	v_rcp_f64_e32 v[108:109], v[106:107]
	v_fma_f64 v[110:111], -v[106:107], v[108:109], 1.0
	v_fma_f64 v[108:109], v[108:109], v[110:111], v[108:109]
	v_fma_f64 v[110:111], -v[106:107], v[108:109], 1.0
	v_fma_f64 v[108:109], v[108:109], v[110:111], v[108:109]
	v_mul_f64 v[110:111], v[117:118], v[108:109]
	v_fma_f64 v[106:107], -v[106:107], v[110:111], v[117:118]
	v_div_fmas_f64 v[106:107], v[106:107], v[108:109], v[110:111]
	v_div_fixup_f64 v[121:122], v[106:107], v[104:105], 1.0
	v_mul_f64 v[123:124], v[102:103], -v[121:122]
.LBB76_345:
	s_or_b64 exec, exec, s[18:19]
.LBB76_346:
	s_or_b64 exec, exec, s[0:1]
	v_cmp_ne_u32_e32 vcc, v100, v101
	s_and_saveexec_b64 s[0:1], vcc
	s_xor_b64 s[0:1], exec, s[0:1]
	s_cbranch_execz .LBB76_352
; %bb.347:
	v_cmp_eq_u32_e32 vcc, 16, v100
	s_and_saveexec_b64 s[18:19], vcc
	s_cbranch_execz .LBB76_351
; %bb.348:
	v_cmp_ne_u32_e32 vcc, 16, v101
	s_xor_b64 s[20:21], s[6:7], -1
	s_and_b64 s[22:23], s[20:21], vcc
	s_and_saveexec_b64 s[20:21], s[22:23]
	s_cbranch_execz .LBB76_350
; %bb.349:
	v_ashrrev_i32_e32 v102, 31, v101
	v_lshlrev_b64 v[102:103], 2, v[101:102]
	v_add_co_u32_e32 v102, vcc, v119, v102
	v_addc_co_u32_e32 v103, vcc, v120, v103, vcc
	global_load_dword v0, v[102:103], off
	global_load_dword v100, v[119:120], off offset:64
	s_waitcnt vmcnt(1)
	global_store_dword v[119:120], v0, off offset:64
	s_waitcnt vmcnt(1)
	global_store_dword v[102:103], v100, off
.LBB76_350:
	s_or_b64 exec, exec, s[20:21]
	v_mov_b32_e32 v100, v101
	v_mov_b32_e32 v0, v101
.LBB76_351:
	s_or_b64 exec, exec, s[18:19]
.LBB76_352:
	s_andn2_saveexec_b64 s[0:1], s[0:1]
	s_cbranch_execz .LBB76_354
; %bb.353:
	v_mov_b32_e32 v100, 16
	ds_write2_b64 v98, v[81:82], v[83:84] offset0:34 offset1:35
	ds_write2_b64 v98, v[77:78], v[79:80] offset0:36 offset1:37
	;; [unrolled: 1-line block ×22, first 2 shown]
.LBB76_354:
	s_or_b64 exec, exec, s[0:1]
	v_cmp_lt_i32_e32 vcc, 16, v100
	s_waitcnt vmcnt(0) lgkmcnt(0)
	s_barrier
	s_and_saveexec_b64 s[0:1], vcc
	s_cbranch_execz .LBB76_356
; %bb.355:
	v_mul_f64 v[101:102], v[123:124], v[87:88]
	v_mul_f64 v[87:88], v[121:122], v[87:88]
	v_fma_f64 v[125:126], v[121:122], v[85:86], -v[101:102]
	v_fma_f64 v[87:88], v[123:124], v[85:86], v[87:88]
	ds_read2_b64 v[101:104], v98 offset0:34 offset1:35
	s_waitcnt lgkmcnt(0)
	v_mul_f64 v[85:86], v[103:104], v[87:88]
	v_fma_f64 v[85:86], v[101:102], v[125:126], -v[85:86]
	v_mul_f64 v[101:102], v[101:102], v[87:88]
	v_add_f64 v[81:82], v[81:82], -v[85:86]
	v_fma_f64 v[101:102], v[103:104], v[125:126], v[101:102]
	v_add_f64 v[83:84], v[83:84], -v[101:102]
	ds_read2_b64 v[101:104], v98 offset0:36 offset1:37
	s_waitcnt lgkmcnt(0)
	v_mul_f64 v[85:86], v[103:104], v[87:88]
	v_fma_f64 v[85:86], v[101:102], v[125:126], -v[85:86]
	v_mul_f64 v[101:102], v[101:102], v[87:88]
	v_add_f64 v[77:78], v[77:78], -v[85:86]
	v_fma_f64 v[101:102], v[103:104], v[125:126], v[101:102]
	v_add_f64 v[79:80], v[79:80], -v[101:102]
	ds_read2_b64 v[101:104], v98 offset0:38 offset1:39
	s_waitcnt lgkmcnt(0)
	v_mul_f64 v[85:86], v[103:104], v[87:88]
	v_fma_f64 v[85:86], v[101:102], v[125:126], -v[85:86]
	v_mul_f64 v[101:102], v[101:102], v[87:88]
	v_add_f64 v[73:74], v[73:74], -v[85:86]
	v_fma_f64 v[101:102], v[103:104], v[125:126], v[101:102]
	v_add_f64 v[75:76], v[75:76], -v[101:102]
	ds_read2_b64 v[101:104], v98 offset0:40 offset1:41
	s_waitcnt lgkmcnt(0)
	v_mul_f64 v[85:86], v[103:104], v[87:88]
	v_fma_f64 v[85:86], v[101:102], v[125:126], -v[85:86]
	v_mul_f64 v[101:102], v[101:102], v[87:88]
	v_add_f64 v[69:70], v[69:70], -v[85:86]
	v_fma_f64 v[101:102], v[103:104], v[125:126], v[101:102]
	v_add_f64 v[71:72], v[71:72], -v[101:102]
	ds_read2_b64 v[101:104], v98 offset0:42 offset1:43
	s_waitcnt lgkmcnt(0)
	v_mul_f64 v[85:86], v[103:104], v[87:88]
	v_fma_f64 v[85:86], v[101:102], v[125:126], -v[85:86]
	v_mul_f64 v[101:102], v[101:102], v[87:88]
	v_add_f64 v[65:66], v[65:66], -v[85:86]
	v_fma_f64 v[101:102], v[103:104], v[125:126], v[101:102]
	v_add_f64 v[67:68], v[67:68], -v[101:102]
	ds_read2_b64 v[101:104], v98 offset0:44 offset1:45
	s_waitcnt lgkmcnt(0)
	v_mul_f64 v[85:86], v[103:104], v[87:88]
	v_fma_f64 v[85:86], v[101:102], v[125:126], -v[85:86]
	v_mul_f64 v[101:102], v[101:102], v[87:88]
	v_add_f64 v[61:62], v[61:62], -v[85:86]
	v_fma_f64 v[101:102], v[103:104], v[125:126], v[101:102]
	v_add_f64 v[63:64], v[63:64], -v[101:102]
	ds_read2_b64 v[101:104], v98 offset0:46 offset1:47
	s_waitcnt lgkmcnt(0)
	v_mul_f64 v[85:86], v[103:104], v[87:88]
	v_fma_f64 v[85:86], v[101:102], v[125:126], -v[85:86]
	v_mul_f64 v[101:102], v[101:102], v[87:88]
	v_add_f64 v[57:58], v[57:58], -v[85:86]
	v_fma_f64 v[101:102], v[103:104], v[125:126], v[101:102]
	v_add_f64 v[59:60], v[59:60], -v[101:102]
	ds_read2_b64 v[101:104], v98 offset0:48 offset1:49
	s_waitcnt lgkmcnt(0)
	v_mul_f64 v[85:86], v[103:104], v[87:88]
	v_fma_f64 v[85:86], v[101:102], v[125:126], -v[85:86]
	v_mul_f64 v[101:102], v[101:102], v[87:88]
	v_add_f64 v[53:54], v[53:54], -v[85:86]
	v_fma_f64 v[101:102], v[103:104], v[125:126], v[101:102]
	v_add_f64 v[55:56], v[55:56], -v[101:102]
	ds_read2_b64 v[101:104], v98 offset0:50 offset1:51
	s_waitcnt lgkmcnt(0)
	v_mul_f64 v[85:86], v[103:104], v[87:88]
	v_fma_f64 v[85:86], v[101:102], v[125:126], -v[85:86]
	v_mul_f64 v[101:102], v[101:102], v[87:88]
	v_add_f64 v[49:50], v[49:50], -v[85:86]
	v_fma_f64 v[101:102], v[103:104], v[125:126], v[101:102]
	v_add_f64 v[51:52], v[51:52], -v[101:102]
	ds_read2_b64 v[101:104], v98 offset0:52 offset1:53
	s_waitcnt lgkmcnt(0)
	v_mul_f64 v[85:86], v[103:104], v[87:88]
	v_fma_f64 v[85:86], v[101:102], v[125:126], -v[85:86]
	v_mul_f64 v[101:102], v[101:102], v[87:88]
	v_add_f64 v[45:46], v[45:46], -v[85:86]
	v_fma_f64 v[101:102], v[103:104], v[125:126], v[101:102]
	v_add_f64 v[47:48], v[47:48], -v[101:102]
	ds_read2_b64 v[101:104], v98 offset0:54 offset1:55
	s_waitcnt lgkmcnt(0)
	v_mul_f64 v[85:86], v[103:104], v[87:88]
	v_fma_f64 v[85:86], v[101:102], v[125:126], -v[85:86]
	v_mul_f64 v[101:102], v[101:102], v[87:88]
	v_add_f64 v[41:42], v[41:42], -v[85:86]
	v_fma_f64 v[101:102], v[103:104], v[125:126], v[101:102]
	v_add_f64 v[43:44], v[43:44], -v[101:102]
	ds_read2_b64 v[101:104], v98 offset0:56 offset1:57
	s_waitcnt lgkmcnt(0)
	v_mul_f64 v[85:86], v[103:104], v[87:88]
	v_fma_f64 v[85:86], v[101:102], v[125:126], -v[85:86]
	v_mul_f64 v[101:102], v[101:102], v[87:88]
	v_add_f64 v[37:38], v[37:38], -v[85:86]
	v_fma_f64 v[101:102], v[103:104], v[125:126], v[101:102]
	v_add_f64 v[39:40], v[39:40], -v[101:102]
	ds_read2_b64 v[101:104], v98 offset0:58 offset1:59
	s_waitcnt lgkmcnt(0)
	v_mul_f64 v[85:86], v[103:104], v[87:88]
	v_fma_f64 v[85:86], v[101:102], v[125:126], -v[85:86]
	v_mul_f64 v[101:102], v[101:102], v[87:88]
	v_add_f64 v[33:34], v[33:34], -v[85:86]
	v_fma_f64 v[101:102], v[103:104], v[125:126], v[101:102]
	v_add_f64 v[35:36], v[35:36], -v[101:102]
	ds_read2_b64 v[101:104], v98 offset0:60 offset1:61
	s_waitcnt lgkmcnt(0)
	v_mul_f64 v[85:86], v[103:104], v[87:88]
	v_fma_f64 v[85:86], v[101:102], v[125:126], -v[85:86]
	v_mul_f64 v[101:102], v[101:102], v[87:88]
	v_add_f64 v[29:30], v[29:30], -v[85:86]
	v_fma_f64 v[101:102], v[103:104], v[125:126], v[101:102]
	v_add_f64 v[31:32], v[31:32], -v[101:102]
	ds_read2_b64 v[101:104], v98 offset0:62 offset1:63
	s_waitcnt lgkmcnt(0)
	v_mul_f64 v[85:86], v[103:104], v[87:88]
	v_fma_f64 v[85:86], v[101:102], v[125:126], -v[85:86]
	v_mul_f64 v[101:102], v[101:102], v[87:88]
	v_add_f64 v[25:26], v[25:26], -v[85:86]
	v_fma_f64 v[101:102], v[103:104], v[125:126], v[101:102]
	v_add_f64 v[27:28], v[27:28], -v[101:102]
	ds_read2_b64 v[101:104], v98 offset0:64 offset1:65
	s_waitcnt lgkmcnt(0)
	v_mul_f64 v[85:86], v[103:104], v[87:88]
	v_fma_f64 v[85:86], v[101:102], v[125:126], -v[85:86]
	v_mul_f64 v[101:102], v[101:102], v[87:88]
	v_add_f64 v[21:22], v[21:22], -v[85:86]
	v_fma_f64 v[101:102], v[103:104], v[125:126], v[101:102]
	v_add_f64 v[23:24], v[23:24], -v[101:102]
	ds_read2_b64 v[101:104], v98 offset0:66 offset1:67
	s_waitcnt lgkmcnt(0)
	v_mul_f64 v[85:86], v[103:104], v[87:88]
	v_fma_f64 v[85:86], v[101:102], v[125:126], -v[85:86]
	v_mul_f64 v[101:102], v[101:102], v[87:88]
	v_add_f64 v[17:18], v[17:18], -v[85:86]
	v_fma_f64 v[101:102], v[103:104], v[125:126], v[101:102]
	v_add_f64 v[19:20], v[19:20], -v[101:102]
	ds_read2_b64 v[101:104], v98 offset0:68 offset1:69
	s_waitcnt lgkmcnt(0)
	v_mul_f64 v[85:86], v[103:104], v[87:88]
	v_fma_f64 v[85:86], v[101:102], v[125:126], -v[85:86]
	v_mul_f64 v[101:102], v[101:102], v[87:88]
	v_add_f64 v[13:14], v[13:14], -v[85:86]
	v_fma_f64 v[101:102], v[103:104], v[125:126], v[101:102]
	v_add_f64 v[15:16], v[15:16], -v[101:102]
	ds_read2_b64 v[101:104], v98 offset0:70 offset1:71
	s_waitcnt lgkmcnt(0)
	v_mul_f64 v[85:86], v[103:104], v[87:88]
	v_fma_f64 v[85:86], v[101:102], v[125:126], -v[85:86]
	v_mul_f64 v[101:102], v[101:102], v[87:88]
	v_add_f64 v[9:10], v[9:10], -v[85:86]
	v_fma_f64 v[101:102], v[103:104], v[125:126], v[101:102]
	v_add_f64 v[11:12], v[11:12], -v[101:102]
	ds_read2_b64 v[101:104], v98 offset0:72 offset1:73
	s_waitcnt lgkmcnt(0)
	v_mul_f64 v[85:86], v[103:104], v[87:88]
	v_fma_f64 v[85:86], v[101:102], v[125:126], -v[85:86]
	v_mul_f64 v[101:102], v[101:102], v[87:88]
	v_add_f64 v[5:6], v[5:6], -v[85:86]
	v_fma_f64 v[101:102], v[103:104], v[125:126], v[101:102]
	v_add_f64 v[7:8], v[7:8], -v[101:102]
	ds_read2_b64 v[101:104], v98 offset0:74 offset1:75
	s_waitcnt lgkmcnt(0)
	v_mul_f64 v[85:86], v[103:104], v[87:88]
	v_fma_f64 v[85:86], v[101:102], v[125:126], -v[85:86]
	v_mul_f64 v[101:102], v[101:102], v[87:88]
	v_add_f64 v[1:2], v[1:2], -v[85:86]
	v_fma_f64 v[101:102], v[103:104], v[125:126], v[101:102]
	v_add_f64 v[3:4], v[3:4], -v[101:102]
	ds_read2_b64 v[101:104], v98 offset0:76 offset1:77
	s_waitcnt lgkmcnt(0)
	v_mul_f64 v[85:86], v[103:104], v[87:88]
	v_fma_f64 v[85:86], v[101:102], v[125:126], -v[85:86]
	v_mul_f64 v[101:102], v[101:102], v[87:88]
	v_add_f64 v[113:114], v[113:114], -v[85:86]
	v_fma_f64 v[101:102], v[103:104], v[125:126], v[101:102]
	v_mov_b32_e32 v85, v125
	v_mov_b32_e32 v86, v126
	v_add_f64 v[115:116], v[115:116], -v[101:102]
.LBB76_356:
	s_or_b64 exec, exec, s[0:1]
	v_lshl_add_u32 v101, v100, 4, v98
	s_barrier
	ds_write2_b64 v101, v[81:82], v[83:84] offset1:1
	s_waitcnt lgkmcnt(0)
	s_barrier
	ds_read2_b64 v[121:124], v98 offset0:34 offset1:35
	s_cmp_lt_i32 s3, 19
	v_mov_b32_e32 v101, 17
	s_cbranch_scc1 .LBB76_359
; %bb.357:
	v_add_u32_e32 v102, 0x120, v98
	s_mov_b32 s0, 18
	v_mov_b32_e32 v101, 17
.LBB76_358:                             ; =>This Inner Loop Header: Depth=1
	s_waitcnt lgkmcnt(0)
	v_cmp_gt_f64_e32 vcc, 0, v[121:122]
	v_xor_b32_e32 v107, 0x80000000, v122
	ds_read2_b64 v[103:106], v102 offset1:1
	v_xor_b32_e32 v109, 0x80000000, v124
	v_add_u32_e32 v102, 16, v102
	s_waitcnt lgkmcnt(0)
	v_xor_b32_e32 v111, 0x80000000, v106
	v_cndmask_b32_e32 v108, v122, v107, vcc
	v_cmp_gt_f64_e32 vcc, 0, v[123:124]
	v_mov_b32_e32 v107, v121
	v_cndmask_b32_e32 v110, v124, v109, vcc
	v_cmp_gt_f64_e32 vcc, 0, v[103:104]
	v_mov_b32_e32 v109, v123
	v_add_f64 v[107:108], v[107:108], v[109:110]
	v_xor_b32_e32 v109, 0x80000000, v104
	v_cndmask_b32_e32 v110, v104, v109, vcc
	v_cmp_gt_f64_e32 vcc, 0, v[105:106]
	v_mov_b32_e32 v109, v103
	v_cndmask_b32_e32 v112, v106, v111, vcc
	v_mov_b32_e32 v111, v105
	v_add_f64 v[109:110], v[109:110], v[111:112]
	v_cmp_lt_f64_e32 vcc, v[107:108], v[109:110]
	v_cndmask_b32_e32 v121, v121, v103, vcc
	v_mov_b32_e32 v103, s0
	s_add_i32 s0, s0, 1
	v_cndmask_b32_e32 v122, v122, v104, vcc
	v_cndmask_b32_e32 v124, v124, v106, vcc
	;; [unrolled: 1-line block ×4, first 2 shown]
	s_cmp_lg_u32 s3, s0
	s_cbranch_scc1 .LBB76_358
.LBB76_359:
	s_waitcnt lgkmcnt(0)
	v_cmp_eq_f64_e32 vcc, 0, v[121:122]
	v_cmp_eq_f64_e64 s[0:1], 0, v[123:124]
	s_and_b64 s[0:1], vcc, s[0:1]
	s_and_saveexec_b64 s[18:19], s[0:1]
	s_xor_b64 s[0:1], exec, s[18:19]
; %bb.360:
	v_cmp_ne_u32_e32 vcc, 0, v99
	v_cndmask_b32_e32 v99, 18, v99, vcc
; %bb.361:
	s_andn2_saveexec_b64 s[0:1], s[0:1]
	s_cbranch_execz .LBB76_367
; %bb.362:
	v_cmp_ngt_f64_e64 s[18:19], |v[121:122]|, |v[123:124]|
	s_and_saveexec_b64 s[20:21], s[18:19]
	s_xor_b64 s[18:19], exec, s[20:21]
	s_cbranch_execz .LBB76_364
; %bb.363:
	v_div_scale_f64 v[102:103], s[20:21], v[123:124], v[123:124], v[121:122]
	v_rcp_f64_e32 v[104:105], v[102:103]
	v_fma_f64 v[106:107], -v[102:103], v[104:105], 1.0
	v_fma_f64 v[104:105], v[104:105], v[106:107], v[104:105]
	v_div_scale_f64 v[106:107], vcc, v[121:122], v[123:124], v[121:122]
	v_fma_f64 v[108:109], -v[102:103], v[104:105], 1.0
	v_fma_f64 v[104:105], v[104:105], v[108:109], v[104:105]
	v_mul_f64 v[108:109], v[106:107], v[104:105]
	v_fma_f64 v[102:103], -v[102:103], v[108:109], v[106:107]
	v_div_fmas_f64 v[102:103], v[102:103], v[104:105], v[108:109]
	v_div_fixup_f64 v[102:103], v[102:103], v[123:124], v[121:122]
	v_fma_f64 v[104:105], v[121:122], v[102:103], v[123:124]
	v_div_scale_f64 v[106:107], s[20:21], v[104:105], v[104:105], 1.0
	v_div_scale_f64 v[117:118], vcc, 1.0, v[104:105], 1.0
	v_rcp_f64_e32 v[108:109], v[106:107]
	v_fma_f64 v[110:111], -v[106:107], v[108:109], 1.0
	v_fma_f64 v[108:109], v[108:109], v[110:111], v[108:109]
	v_fma_f64 v[110:111], -v[106:107], v[108:109], 1.0
	v_fma_f64 v[108:109], v[108:109], v[110:111], v[108:109]
	v_mul_f64 v[110:111], v[117:118], v[108:109]
	v_fma_f64 v[106:107], -v[106:107], v[110:111], v[117:118]
	v_div_fmas_f64 v[106:107], v[106:107], v[108:109], v[110:111]
	v_div_fixup_f64 v[123:124], v[106:107], v[104:105], 1.0
	v_mul_f64 v[121:122], v[102:103], v[123:124]
	v_xor_b32_e32 v124, 0x80000000, v124
.LBB76_364:
	s_andn2_saveexec_b64 s[18:19], s[18:19]
	s_cbranch_execz .LBB76_366
; %bb.365:
	v_div_scale_f64 v[102:103], s[20:21], v[121:122], v[121:122], v[123:124]
	v_rcp_f64_e32 v[104:105], v[102:103]
	v_fma_f64 v[106:107], -v[102:103], v[104:105], 1.0
	v_fma_f64 v[104:105], v[104:105], v[106:107], v[104:105]
	v_div_scale_f64 v[106:107], vcc, v[123:124], v[121:122], v[123:124]
	v_fma_f64 v[108:109], -v[102:103], v[104:105], 1.0
	v_fma_f64 v[104:105], v[104:105], v[108:109], v[104:105]
	v_mul_f64 v[108:109], v[106:107], v[104:105]
	v_fma_f64 v[102:103], -v[102:103], v[108:109], v[106:107]
	v_div_fmas_f64 v[102:103], v[102:103], v[104:105], v[108:109]
	v_div_fixup_f64 v[102:103], v[102:103], v[121:122], v[123:124]
	v_fma_f64 v[104:105], v[123:124], v[102:103], v[121:122]
	v_div_scale_f64 v[106:107], s[20:21], v[104:105], v[104:105], 1.0
	v_div_scale_f64 v[117:118], vcc, 1.0, v[104:105], 1.0
	v_rcp_f64_e32 v[108:109], v[106:107]
	v_fma_f64 v[110:111], -v[106:107], v[108:109], 1.0
	v_fma_f64 v[108:109], v[108:109], v[110:111], v[108:109]
	v_fma_f64 v[110:111], -v[106:107], v[108:109], 1.0
	v_fma_f64 v[108:109], v[108:109], v[110:111], v[108:109]
	v_mul_f64 v[110:111], v[117:118], v[108:109]
	v_fma_f64 v[106:107], -v[106:107], v[110:111], v[117:118]
	v_div_fmas_f64 v[106:107], v[106:107], v[108:109], v[110:111]
	v_div_fixup_f64 v[121:122], v[106:107], v[104:105], 1.0
	v_mul_f64 v[123:124], v[102:103], -v[121:122]
.LBB76_366:
	s_or_b64 exec, exec, s[18:19]
.LBB76_367:
	s_or_b64 exec, exec, s[0:1]
	v_cmp_ne_u32_e32 vcc, v100, v101
	s_and_saveexec_b64 s[0:1], vcc
	s_xor_b64 s[0:1], exec, s[0:1]
	s_cbranch_execz .LBB76_373
; %bb.368:
	v_cmp_eq_u32_e32 vcc, 17, v100
	s_and_saveexec_b64 s[18:19], vcc
	s_cbranch_execz .LBB76_372
; %bb.369:
	v_cmp_ne_u32_e32 vcc, 17, v101
	s_xor_b64 s[20:21], s[6:7], -1
	s_and_b64 s[22:23], s[20:21], vcc
	s_and_saveexec_b64 s[20:21], s[22:23]
	s_cbranch_execz .LBB76_371
; %bb.370:
	v_ashrrev_i32_e32 v102, 31, v101
	v_lshlrev_b64 v[102:103], 2, v[101:102]
	v_add_co_u32_e32 v102, vcc, v119, v102
	v_addc_co_u32_e32 v103, vcc, v120, v103, vcc
	global_load_dword v0, v[102:103], off
	global_load_dword v100, v[119:120], off offset:68
	s_waitcnt vmcnt(1)
	global_store_dword v[119:120], v0, off offset:68
	s_waitcnt vmcnt(1)
	global_store_dword v[102:103], v100, off
.LBB76_371:
	s_or_b64 exec, exec, s[20:21]
	v_mov_b32_e32 v100, v101
	v_mov_b32_e32 v0, v101
.LBB76_372:
	s_or_b64 exec, exec, s[18:19]
.LBB76_373:
	s_andn2_saveexec_b64 s[0:1], s[0:1]
	s_cbranch_execz .LBB76_375
; %bb.374:
	v_mov_b32_e32 v100, 17
	ds_write2_b64 v98, v[77:78], v[79:80] offset0:36 offset1:37
	ds_write2_b64 v98, v[73:74], v[75:76] offset0:38 offset1:39
	;; [unrolled: 1-line block ×21, first 2 shown]
.LBB76_375:
	s_or_b64 exec, exec, s[0:1]
	v_cmp_lt_i32_e32 vcc, 17, v100
	s_waitcnt vmcnt(0) lgkmcnt(0)
	s_barrier
	s_and_saveexec_b64 s[0:1], vcc
	s_cbranch_execz .LBB76_377
; %bb.376:
	v_mul_f64 v[101:102], v[123:124], v[83:84]
	v_mul_f64 v[83:84], v[121:122], v[83:84]
	v_fma_f64 v[125:126], v[121:122], v[81:82], -v[101:102]
	v_fma_f64 v[83:84], v[123:124], v[81:82], v[83:84]
	ds_read2_b64 v[101:104], v98 offset0:36 offset1:37
	s_waitcnt lgkmcnt(0)
	v_mul_f64 v[81:82], v[103:104], v[83:84]
	v_fma_f64 v[81:82], v[101:102], v[125:126], -v[81:82]
	v_mul_f64 v[101:102], v[101:102], v[83:84]
	v_add_f64 v[77:78], v[77:78], -v[81:82]
	v_fma_f64 v[101:102], v[103:104], v[125:126], v[101:102]
	v_add_f64 v[79:80], v[79:80], -v[101:102]
	ds_read2_b64 v[101:104], v98 offset0:38 offset1:39
	s_waitcnt lgkmcnt(0)
	v_mul_f64 v[81:82], v[103:104], v[83:84]
	v_fma_f64 v[81:82], v[101:102], v[125:126], -v[81:82]
	v_mul_f64 v[101:102], v[101:102], v[83:84]
	v_add_f64 v[73:74], v[73:74], -v[81:82]
	v_fma_f64 v[101:102], v[103:104], v[125:126], v[101:102]
	v_add_f64 v[75:76], v[75:76], -v[101:102]
	;; [unrolled: 8-line block ×20, first 2 shown]
	ds_read2_b64 v[101:104], v98 offset0:76 offset1:77
	s_waitcnt lgkmcnt(0)
	v_mul_f64 v[81:82], v[103:104], v[83:84]
	v_fma_f64 v[81:82], v[101:102], v[125:126], -v[81:82]
	v_mul_f64 v[101:102], v[101:102], v[83:84]
	v_add_f64 v[113:114], v[113:114], -v[81:82]
	v_fma_f64 v[101:102], v[103:104], v[125:126], v[101:102]
	v_mov_b32_e32 v81, v125
	v_mov_b32_e32 v82, v126
	v_add_f64 v[115:116], v[115:116], -v[101:102]
.LBB76_377:
	s_or_b64 exec, exec, s[0:1]
	v_lshl_add_u32 v101, v100, 4, v98
	s_barrier
	ds_write2_b64 v101, v[77:78], v[79:80] offset1:1
	s_waitcnt lgkmcnt(0)
	s_barrier
	ds_read2_b64 v[121:124], v98 offset0:36 offset1:37
	s_cmp_lt_i32 s3, 20
	v_mov_b32_e32 v101, 18
	s_cbranch_scc1 .LBB76_380
; %bb.378:
	v_add_u32_e32 v102, 0x130, v98
	s_mov_b32 s0, 19
	v_mov_b32_e32 v101, 18
.LBB76_379:                             ; =>This Inner Loop Header: Depth=1
	s_waitcnt lgkmcnt(0)
	v_cmp_gt_f64_e32 vcc, 0, v[121:122]
	v_xor_b32_e32 v107, 0x80000000, v122
	ds_read2_b64 v[103:106], v102 offset1:1
	v_xor_b32_e32 v109, 0x80000000, v124
	v_add_u32_e32 v102, 16, v102
	s_waitcnt lgkmcnt(0)
	v_xor_b32_e32 v111, 0x80000000, v106
	v_cndmask_b32_e32 v108, v122, v107, vcc
	v_cmp_gt_f64_e32 vcc, 0, v[123:124]
	v_mov_b32_e32 v107, v121
	v_cndmask_b32_e32 v110, v124, v109, vcc
	v_cmp_gt_f64_e32 vcc, 0, v[103:104]
	v_mov_b32_e32 v109, v123
	v_add_f64 v[107:108], v[107:108], v[109:110]
	v_xor_b32_e32 v109, 0x80000000, v104
	v_cndmask_b32_e32 v110, v104, v109, vcc
	v_cmp_gt_f64_e32 vcc, 0, v[105:106]
	v_mov_b32_e32 v109, v103
	v_cndmask_b32_e32 v112, v106, v111, vcc
	v_mov_b32_e32 v111, v105
	v_add_f64 v[109:110], v[109:110], v[111:112]
	v_cmp_lt_f64_e32 vcc, v[107:108], v[109:110]
	v_cndmask_b32_e32 v121, v121, v103, vcc
	v_mov_b32_e32 v103, s0
	s_add_i32 s0, s0, 1
	v_cndmask_b32_e32 v122, v122, v104, vcc
	v_cndmask_b32_e32 v124, v124, v106, vcc
	;; [unrolled: 1-line block ×4, first 2 shown]
	s_cmp_lg_u32 s3, s0
	s_cbranch_scc1 .LBB76_379
.LBB76_380:
	s_waitcnt lgkmcnt(0)
	v_cmp_eq_f64_e32 vcc, 0, v[121:122]
	v_cmp_eq_f64_e64 s[0:1], 0, v[123:124]
	s_and_b64 s[0:1], vcc, s[0:1]
	s_and_saveexec_b64 s[18:19], s[0:1]
	s_xor_b64 s[0:1], exec, s[18:19]
; %bb.381:
	v_cmp_ne_u32_e32 vcc, 0, v99
	v_cndmask_b32_e32 v99, 19, v99, vcc
; %bb.382:
	s_andn2_saveexec_b64 s[0:1], s[0:1]
	s_cbranch_execz .LBB76_388
; %bb.383:
	v_cmp_ngt_f64_e64 s[18:19], |v[121:122]|, |v[123:124]|
	s_and_saveexec_b64 s[20:21], s[18:19]
	s_xor_b64 s[18:19], exec, s[20:21]
	s_cbranch_execz .LBB76_385
; %bb.384:
	v_div_scale_f64 v[102:103], s[20:21], v[123:124], v[123:124], v[121:122]
	v_rcp_f64_e32 v[104:105], v[102:103]
	v_fma_f64 v[106:107], -v[102:103], v[104:105], 1.0
	v_fma_f64 v[104:105], v[104:105], v[106:107], v[104:105]
	v_div_scale_f64 v[106:107], vcc, v[121:122], v[123:124], v[121:122]
	v_fma_f64 v[108:109], -v[102:103], v[104:105], 1.0
	v_fma_f64 v[104:105], v[104:105], v[108:109], v[104:105]
	v_mul_f64 v[108:109], v[106:107], v[104:105]
	v_fma_f64 v[102:103], -v[102:103], v[108:109], v[106:107]
	v_div_fmas_f64 v[102:103], v[102:103], v[104:105], v[108:109]
	v_div_fixup_f64 v[102:103], v[102:103], v[123:124], v[121:122]
	v_fma_f64 v[104:105], v[121:122], v[102:103], v[123:124]
	v_div_scale_f64 v[106:107], s[20:21], v[104:105], v[104:105], 1.0
	v_div_scale_f64 v[117:118], vcc, 1.0, v[104:105], 1.0
	v_rcp_f64_e32 v[108:109], v[106:107]
	v_fma_f64 v[110:111], -v[106:107], v[108:109], 1.0
	v_fma_f64 v[108:109], v[108:109], v[110:111], v[108:109]
	v_fma_f64 v[110:111], -v[106:107], v[108:109], 1.0
	v_fma_f64 v[108:109], v[108:109], v[110:111], v[108:109]
	v_mul_f64 v[110:111], v[117:118], v[108:109]
	v_fma_f64 v[106:107], -v[106:107], v[110:111], v[117:118]
	v_div_fmas_f64 v[106:107], v[106:107], v[108:109], v[110:111]
	v_div_fixup_f64 v[123:124], v[106:107], v[104:105], 1.0
	v_mul_f64 v[121:122], v[102:103], v[123:124]
	v_xor_b32_e32 v124, 0x80000000, v124
.LBB76_385:
	s_andn2_saveexec_b64 s[18:19], s[18:19]
	s_cbranch_execz .LBB76_387
; %bb.386:
	v_div_scale_f64 v[102:103], s[20:21], v[121:122], v[121:122], v[123:124]
	v_rcp_f64_e32 v[104:105], v[102:103]
	v_fma_f64 v[106:107], -v[102:103], v[104:105], 1.0
	v_fma_f64 v[104:105], v[104:105], v[106:107], v[104:105]
	v_div_scale_f64 v[106:107], vcc, v[123:124], v[121:122], v[123:124]
	v_fma_f64 v[108:109], -v[102:103], v[104:105], 1.0
	v_fma_f64 v[104:105], v[104:105], v[108:109], v[104:105]
	v_mul_f64 v[108:109], v[106:107], v[104:105]
	v_fma_f64 v[102:103], -v[102:103], v[108:109], v[106:107]
	v_div_fmas_f64 v[102:103], v[102:103], v[104:105], v[108:109]
	v_div_fixup_f64 v[102:103], v[102:103], v[121:122], v[123:124]
	v_fma_f64 v[104:105], v[123:124], v[102:103], v[121:122]
	v_div_scale_f64 v[106:107], s[20:21], v[104:105], v[104:105], 1.0
	v_div_scale_f64 v[117:118], vcc, 1.0, v[104:105], 1.0
	v_rcp_f64_e32 v[108:109], v[106:107]
	v_fma_f64 v[110:111], -v[106:107], v[108:109], 1.0
	v_fma_f64 v[108:109], v[108:109], v[110:111], v[108:109]
	v_fma_f64 v[110:111], -v[106:107], v[108:109], 1.0
	v_fma_f64 v[108:109], v[108:109], v[110:111], v[108:109]
	v_mul_f64 v[110:111], v[117:118], v[108:109]
	v_fma_f64 v[106:107], -v[106:107], v[110:111], v[117:118]
	v_div_fmas_f64 v[106:107], v[106:107], v[108:109], v[110:111]
	v_div_fixup_f64 v[121:122], v[106:107], v[104:105], 1.0
	v_mul_f64 v[123:124], v[102:103], -v[121:122]
.LBB76_387:
	s_or_b64 exec, exec, s[18:19]
.LBB76_388:
	s_or_b64 exec, exec, s[0:1]
	v_cmp_ne_u32_e32 vcc, v100, v101
	s_and_saveexec_b64 s[0:1], vcc
	s_xor_b64 s[0:1], exec, s[0:1]
	s_cbranch_execz .LBB76_394
; %bb.389:
	v_cmp_eq_u32_e32 vcc, 18, v100
	s_and_saveexec_b64 s[18:19], vcc
	s_cbranch_execz .LBB76_393
; %bb.390:
	v_cmp_ne_u32_e32 vcc, 18, v101
	s_xor_b64 s[20:21], s[6:7], -1
	s_and_b64 s[22:23], s[20:21], vcc
	s_and_saveexec_b64 s[20:21], s[22:23]
	s_cbranch_execz .LBB76_392
; %bb.391:
	v_ashrrev_i32_e32 v102, 31, v101
	v_lshlrev_b64 v[102:103], 2, v[101:102]
	v_add_co_u32_e32 v102, vcc, v119, v102
	v_addc_co_u32_e32 v103, vcc, v120, v103, vcc
	global_load_dword v0, v[102:103], off
	global_load_dword v100, v[119:120], off offset:72
	s_waitcnt vmcnt(1)
	global_store_dword v[119:120], v0, off offset:72
	s_waitcnt vmcnt(1)
	global_store_dword v[102:103], v100, off
.LBB76_392:
	s_or_b64 exec, exec, s[20:21]
	v_mov_b32_e32 v100, v101
	v_mov_b32_e32 v0, v101
.LBB76_393:
	s_or_b64 exec, exec, s[18:19]
.LBB76_394:
	s_andn2_saveexec_b64 s[0:1], s[0:1]
	s_cbranch_execz .LBB76_396
; %bb.395:
	v_mov_b32_e32 v100, 18
	ds_write2_b64 v98, v[73:74], v[75:76] offset0:38 offset1:39
	ds_write2_b64 v98, v[69:70], v[71:72] offset0:40 offset1:41
	;; [unrolled: 1-line block ×20, first 2 shown]
.LBB76_396:
	s_or_b64 exec, exec, s[0:1]
	v_cmp_lt_i32_e32 vcc, 18, v100
	s_waitcnt vmcnt(0) lgkmcnt(0)
	s_barrier
	s_and_saveexec_b64 s[0:1], vcc
	s_cbranch_execz .LBB76_398
; %bb.397:
	v_mul_f64 v[101:102], v[123:124], v[79:80]
	v_mul_f64 v[79:80], v[121:122], v[79:80]
	v_fma_f64 v[125:126], v[121:122], v[77:78], -v[101:102]
	v_fma_f64 v[79:80], v[123:124], v[77:78], v[79:80]
	ds_read2_b64 v[101:104], v98 offset0:38 offset1:39
	s_waitcnt lgkmcnt(0)
	v_mul_f64 v[77:78], v[103:104], v[79:80]
	v_fma_f64 v[77:78], v[101:102], v[125:126], -v[77:78]
	v_mul_f64 v[101:102], v[101:102], v[79:80]
	v_add_f64 v[73:74], v[73:74], -v[77:78]
	v_fma_f64 v[101:102], v[103:104], v[125:126], v[101:102]
	v_add_f64 v[75:76], v[75:76], -v[101:102]
	ds_read2_b64 v[101:104], v98 offset0:40 offset1:41
	s_waitcnt lgkmcnt(0)
	v_mul_f64 v[77:78], v[103:104], v[79:80]
	v_fma_f64 v[77:78], v[101:102], v[125:126], -v[77:78]
	v_mul_f64 v[101:102], v[101:102], v[79:80]
	v_add_f64 v[69:70], v[69:70], -v[77:78]
	v_fma_f64 v[101:102], v[103:104], v[125:126], v[101:102]
	v_add_f64 v[71:72], v[71:72], -v[101:102]
	ds_read2_b64 v[101:104], v98 offset0:42 offset1:43
	s_waitcnt lgkmcnt(0)
	v_mul_f64 v[77:78], v[103:104], v[79:80]
	v_fma_f64 v[77:78], v[101:102], v[125:126], -v[77:78]
	v_mul_f64 v[101:102], v[101:102], v[79:80]
	v_add_f64 v[65:66], v[65:66], -v[77:78]
	v_fma_f64 v[101:102], v[103:104], v[125:126], v[101:102]
	v_add_f64 v[67:68], v[67:68], -v[101:102]
	ds_read2_b64 v[101:104], v98 offset0:44 offset1:45
	s_waitcnt lgkmcnt(0)
	v_mul_f64 v[77:78], v[103:104], v[79:80]
	v_fma_f64 v[77:78], v[101:102], v[125:126], -v[77:78]
	v_mul_f64 v[101:102], v[101:102], v[79:80]
	v_add_f64 v[61:62], v[61:62], -v[77:78]
	v_fma_f64 v[101:102], v[103:104], v[125:126], v[101:102]
	v_add_f64 v[63:64], v[63:64], -v[101:102]
	ds_read2_b64 v[101:104], v98 offset0:46 offset1:47
	s_waitcnt lgkmcnt(0)
	v_mul_f64 v[77:78], v[103:104], v[79:80]
	v_fma_f64 v[77:78], v[101:102], v[125:126], -v[77:78]
	v_mul_f64 v[101:102], v[101:102], v[79:80]
	v_add_f64 v[57:58], v[57:58], -v[77:78]
	v_fma_f64 v[101:102], v[103:104], v[125:126], v[101:102]
	v_add_f64 v[59:60], v[59:60], -v[101:102]
	ds_read2_b64 v[101:104], v98 offset0:48 offset1:49
	s_waitcnt lgkmcnt(0)
	v_mul_f64 v[77:78], v[103:104], v[79:80]
	v_fma_f64 v[77:78], v[101:102], v[125:126], -v[77:78]
	v_mul_f64 v[101:102], v[101:102], v[79:80]
	v_add_f64 v[53:54], v[53:54], -v[77:78]
	v_fma_f64 v[101:102], v[103:104], v[125:126], v[101:102]
	v_add_f64 v[55:56], v[55:56], -v[101:102]
	ds_read2_b64 v[101:104], v98 offset0:50 offset1:51
	s_waitcnt lgkmcnt(0)
	v_mul_f64 v[77:78], v[103:104], v[79:80]
	v_fma_f64 v[77:78], v[101:102], v[125:126], -v[77:78]
	v_mul_f64 v[101:102], v[101:102], v[79:80]
	v_add_f64 v[49:50], v[49:50], -v[77:78]
	v_fma_f64 v[101:102], v[103:104], v[125:126], v[101:102]
	v_add_f64 v[51:52], v[51:52], -v[101:102]
	ds_read2_b64 v[101:104], v98 offset0:52 offset1:53
	s_waitcnt lgkmcnt(0)
	v_mul_f64 v[77:78], v[103:104], v[79:80]
	v_fma_f64 v[77:78], v[101:102], v[125:126], -v[77:78]
	v_mul_f64 v[101:102], v[101:102], v[79:80]
	v_add_f64 v[45:46], v[45:46], -v[77:78]
	v_fma_f64 v[101:102], v[103:104], v[125:126], v[101:102]
	v_add_f64 v[47:48], v[47:48], -v[101:102]
	ds_read2_b64 v[101:104], v98 offset0:54 offset1:55
	s_waitcnt lgkmcnt(0)
	v_mul_f64 v[77:78], v[103:104], v[79:80]
	v_fma_f64 v[77:78], v[101:102], v[125:126], -v[77:78]
	v_mul_f64 v[101:102], v[101:102], v[79:80]
	v_add_f64 v[41:42], v[41:42], -v[77:78]
	v_fma_f64 v[101:102], v[103:104], v[125:126], v[101:102]
	v_add_f64 v[43:44], v[43:44], -v[101:102]
	ds_read2_b64 v[101:104], v98 offset0:56 offset1:57
	s_waitcnt lgkmcnt(0)
	v_mul_f64 v[77:78], v[103:104], v[79:80]
	v_fma_f64 v[77:78], v[101:102], v[125:126], -v[77:78]
	v_mul_f64 v[101:102], v[101:102], v[79:80]
	v_add_f64 v[37:38], v[37:38], -v[77:78]
	v_fma_f64 v[101:102], v[103:104], v[125:126], v[101:102]
	v_add_f64 v[39:40], v[39:40], -v[101:102]
	ds_read2_b64 v[101:104], v98 offset0:58 offset1:59
	s_waitcnt lgkmcnt(0)
	v_mul_f64 v[77:78], v[103:104], v[79:80]
	v_fma_f64 v[77:78], v[101:102], v[125:126], -v[77:78]
	v_mul_f64 v[101:102], v[101:102], v[79:80]
	v_add_f64 v[33:34], v[33:34], -v[77:78]
	v_fma_f64 v[101:102], v[103:104], v[125:126], v[101:102]
	v_add_f64 v[35:36], v[35:36], -v[101:102]
	ds_read2_b64 v[101:104], v98 offset0:60 offset1:61
	s_waitcnt lgkmcnt(0)
	v_mul_f64 v[77:78], v[103:104], v[79:80]
	v_fma_f64 v[77:78], v[101:102], v[125:126], -v[77:78]
	v_mul_f64 v[101:102], v[101:102], v[79:80]
	v_add_f64 v[29:30], v[29:30], -v[77:78]
	v_fma_f64 v[101:102], v[103:104], v[125:126], v[101:102]
	v_add_f64 v[31:32], v[31:32], -v[101:102]
	ds_read2_b64 v[101:104], v98 offset0:62 offset1:63
	s_waitcnt lgkmcnt(0)
	v_mul_f64 v[77:78], v[103:104], v[79:80]
	v_fma_f64 v[77:78], v[101:102], v[125:126], -v[77:78]
	v_mul_f64 v[101:102], v[101:102], v[79:80]
	v_add_f64 v[25:26], v[25:26], -v[77:78]
	v_fma_f64 v[101:102], v[103:104], v[125:126], v[101:102]
	v_add_f64 v[27:28], v[27:28], -v[101:102]
	ds_read2_b64 v[101:104], v98 offset0:64 offset1:65
	s_waitcnt lgkmcnt(0)
	v_mul_f64 v[77:78], v[103:104], v[79:80]
	v_fma_f64 v[77:78], v[101:102], v[125:126], -v[77:78]
	v_mul_f64 v[101:102], v[101:102], v[79:80]
	v_add_f64 v[21:22], v[21:22], -v[77:78]
	v_fma_f64 v[101:102], v[103:104], v[125:126], v[101:102]
	v_add_f64 v[23:24], v[23:24], -v[101:102]
	ds_read2_b64 v[101:104], v98 offset0:66 offset1:67
	s_waitcnt lgkmcnt(0)
	v_mul_f64 v[77:78], v[103:104], v[79:80]
	v_fma_f64 v[77:78], v[101:102], v[125:126], -v[77:78]
	v_mul_f64 v[101:102], v[101:102], v[79:80]
	v_add_f64 v[17:18], v[17:18], -v[77:78]
	v_fma_f64 v[101:102], v[103:104], v[125:126], v[101:102]
	v_add_f64 v[19:20], v[19:20], -v[101:102]
	ds_read2_b64 v[101:104], v98 offset0:68 offset1:69
	s_waitcnt lgkmcnt(0)
	v_mul_f64 v[77:78], v[103:104], v[79:80]
	v_fma_f64 v[77:78], v[101:102], v[125:126], -v[77:78]
	v_mul_f64 v[101:102], v[101:102], v[79:80]
	v_add_f64 v[13:14], v[13:14], -v[77:78]
	v_fma_f64 v[101:102], v[103:104], v[125:126], v[101:102]
	v_add_f64 v[15:16], v[15:16], -v[101:102]
	ds_read2_b64 v[101:104], v98 offset0:70 offset1:71
	s_waitcnt lgkmcnt(0)
	v_mul_f64 v[77:78], v[103:104], v[79:80]
	v_fma_f64 v[77:78], v[101:102], v[125:126], -v[77:78]
	v_mul_f64 v[101:102], v[101:102], v[79:80]
	v_add_f64 v[9:10], v[9:10], -v[77:78]
	v_fma_f64 v[101:102], v[103:104], v[125:126], v[101:102]
	v_add_f64 v[11:12], v[11:12], -v[101:102]
	ds_read2_b64 v[101:104], v98 offset0:72 offset1:73
	s_waitcnt lgkmcnt(0)
	v_mul_f64 v[77:78], v[103:104], v[79:80]
	v_fma_f64 v[77:78], v[101:102], v[125:126], -v[77:78]
	v_mul_f64 v[101:102], v[101:102], v[79:80]
	v_add_f64 v[5:6], v[5:6], -v[77:78]
	v_fma_f64 v[101:102], v[103:104], v[125:126], v[101:102]
	v_add_f64 v[7:8], v[7:8], -v[101:102]
	ds_read2_b64 v[101:104], v98 offset0:74 offset1:75
	s_waitcnt lgkmcnt(0)
	v_mul_f64 v[77:78], v[103:104], v[79:80]
	v_fma_f64 v[77:78], v[101:102], v[125:126], -v[77:78]
	v_mul_f64 v[101:102], v[101:102], v[79:80]
	v_add_f64 v[1:2], v[1:2], -v[77:78]
	v_fma_f64 v[101:102], v[103:104], v[125:126], v[101:102]
	v_add_f64 v[3:4], v[3:4], -v[101:102]
	ds_read2_b64 v[101:104], v98 offset0:76 offset1:77
	s_waitcnt lgkmcnt(0)
	v_mul_f64 v[77:78], v[103:104], v[79:80]
	v_fma_f64 v[77:78], v[101:102], v[125:126], -v[77:78]
	v_mul_f64 v[101:102], v[101:102], v[79:80]
	v_add_f64 v[113:114], v[113:114], -v[77:78]
	v_fma_f64 v[101:102], v[103:104], v[125:126], v[101:102]
	v_mov_b32_e32 v77, v125
	v_mov_b32_e32 v78, v126
	v_add_f64 v[115:116], v[115:116], -v[101:102]
.LBB76_398:
	s_or_b64 exec, exec, s[0:1]
	v_lshl_add_u32 v101, v100, 4, v98
	s_barrier
	ds_write2_b64 v101, v[73:74], v[75:76] offset1:1
	s_waitcnt lgkmcnt(0)
	s_barrier
	ds_read2_b64 v[121:124], v98 offset0:38 offset1:39
	s_cmp_lt_i32 s3, 21
	v_mov_b32_e32 v101, 19
	s_cbranch_scc1 .LBB76_401
; %bb.399:
	v_add_u32_e32 v102, 0x140, v98
	s_mov_b32 s0, 20
	v_mov_b32_e32 v101, 19
.LBB76_400:                             ; =>This Inner Loop Header: Depth=1
	s_waitcnt lgkmcnt(0)
	v_cmp_gt_f64_e32 vcc, 0, v[121:122]
	v_xor_b32_e32 v107, 0x80000000, v122
	ds_read2_b64 v[103:106], v102 offset1:1
	v_xor_b32_e32 v109, 0x80000000, v124
	v_add_u32_e32 v102, 16, v102
	s_waitcnt lgkmcnt(0)
	v_xor_b32_e32 v111, 0x80000000, v106
	v_cndmask_b32_e32 v108, v122, v107, vcc
	v_cmp_gt_f64_e32 vcc, 0, v[123:124]
	v_mov_b32_e32 v107, v121
	v_cndmask_b32_e32 v110, v124, v109, vcc
	v_cmp_gt_f64_e32 vcc, 0, v[103:104]
	v_mov_b32_e32 v109, v123
	v_add_f64 v[107:108], v[107:108], v[109:110]
	v_xor_b32_e32 v109, 0x80000000, v104
	v_cndmask_b32_e32 v110, v104, v109, vcc
	v_cmp_gt_f64_e32 vcc, 0, v[105:106]
	v_mov_b32_e32 v109, v103
	v_cndmask_b32_e32 v112, v106, v111, vcc
	v_mov_b32_e32 v111, v105
	v_add_f64 v[109:110], v[109:110], v[111:112]
	v_cmp_lt_f64_e32 vcc, v[107:108], v[109:110]
	v_cndmask_b32_e32 v121, v121, v103, vcc
	v_mov_b32_e32 v103, s0
	s_add_i32 s0, s0, 1
	v_cndmask_b32_e32 v122, v122, v104, vcc
	v_cndmask_b32_e32 v124, v124, v106, vcc
	;; [unrolled: 1-line block ×4, first 2 shown]
	s_cmp_lg_u32 s3, s0
	s_cbranch_scc1 .LBB76_400
.LBB76_401:
	s_waitcnt lgkmcnt(0)
	v_cmp_eq_f64_e32 vcc, 0, v[121:122]
	v_cmp_eq_f64_e64 s[0:1], 0, v[123:124]
	s_and_b64 s[0:1], vcc, s[0:1]
	s_and_saveexec_b64 s[18:19], s[0:1]
	s_xor_b64 s[0:1], exec, s[18:19]
; %bb.402:
	v_cmp_ne_u32_e32 vcc, 0, v99
	v_cndmask_b32_e32 v99, 20, v99, vcc
; %bb.403:
	s_andn2_saveexec_b64 s[0:1], s[0:1]
	s_cbranch_execz .LBB76_409
; %bb.404:
	v_cmp_ngt_f64_e64 s[18:19], |v[121:122]|, |v[123:124]|
	s_and_saveexec_b64 s[20:21], s[18:19]
	s_xor_b64 s[18:19], exec, s[20:21]
	s_cbranch_execz .LBB76_406
; %bb.405:
	v_div_scale_f64 v[102:103], s[20:21], v[123:124], v[123:124], v[121:122]
	v_rcp_f64_e32 v[104:105], v[102:103]
	v_fma_f64 v[106:107], -v[102:103], v[104:105], 1.0
	v_fma_f64 v[104:105], v[104:105], v[106:107], v[104:105]
	v_div_scale_f64 v[106:107], vcc, v[121:122], v[123:124], v[121:122]
	v_fma_f64 v[108:109], -v[102:103], v[104:105], 1.0
	v_fma_f64 v[104:105], v[104:105], v[108:109], v[104:105]
	v_mul_f64 v[108:109], v[106:107], v[104:105]
	v_fma_f64 v[102:103], -v[102:103], v[108:109], v[106:107]
	v_div_fmas_f64 v[102:103], v[102:103], v[104:105], v[108:109]
	v_div_fixup_f64 v[102:103], v[102:103], v[123:124], v[121:122]
	v_fma_f64 v[104:105], v[121:122], v[102:103], v[123:124]
	v_div_scale_f64 v[106:107], s[20:21], v[104:105], v[104:105], 1.0
	v_div_scale_f64 v[117:118], vcc, 1.0, v[104:105], 1.0
	v_rcp_f64_e32 v[108:109], v[106:107]
	v_fma_f64 v[110:111], -v[106:107], v[108:109], 1.0
	v_fma_f64 v[108:109], v[108:109], v[110:111], v[108:109]
	v_fma_f64 v[110:111], -v[106:107], v[108:109], 1.0
	v_fma_f64 v[108:109], v[108:109], v[110:111], v[108:109]
	v_mul_f64 v[110:111], v[117:118], v[108:109]
	v_fma_f64 v[106:107], -v[106:107], v[110:111], v[117:118]
	v_div_fmas_f64 v[106:107], v[106:107], v[108:109], v[110:111]
	v_div_fixup_f64 v[123:124], v[106:107], v[104:105], 1.0
	v_mul_f64 v[121:122], v[102:103], v[123:124]
	v_xor_b32_e32 v124, 0x80000000, v124
.LBB76_406:
	s_andn2_saveexec_b64 s[18:19], s[18:19]
	s_cbranch_execz .LBB76_408
; %bb.407:
	v_div_scale_f64 v[102:103], s[20:21], v[121:122], v[121:122], v[123:124]
	v_rcp_f64_e32 v[104:105], v[102:103]
	v_fma_f64 v[106:107], -v[102:103], v[104:105], 1.0
	v_fma_f64 v[104:105], v[104:105], v[106:107], v[104:105]
	v_div_scale_f64 v[106:107], vcc, v[123:124], v[121:122], v[123:124]
	v_fma_f64 v[108:109], -v[102:103], v[104:105], 1.0
	v_fma_f64 v[104:105], v[104:105], v[108:109], v[104:105]
	v_mul_f64 v[108:109], v[106:107], v[104:105]
	v_fma_f64 v[102:103], -v[102:103], v[108:109], v[106:107]
	v_div_fmas_f64 v[102:103], v[102:103], v[104:105], v[108:109]
	v_div_fixup_f64 v[102:103], v[102:103], v[121:122], v[123:124]
	v_fma_f64 v[104:105], v[123:124], v[102:103], v[121:122]
	v_div_scale_f64 v[106:107], s[20:21], v[104:105], v[104:105], 1.0
	v_div_scale_f64 v[117:118], vcc, 1.0, v[104:105], 1.0
	v_rcp_f64_e32 v[108:109], v[106:107]
	v_fma_f64 v[110:111], -v[106:107], v[108:109], 1.0
	v_fma_f64 v[108:109], v[108:109], v[110:111], v[108:109]
	v_fma_f64 v[110:111], -v[106:107], v[108:109], 1.0
	v_fma_f64 v[108:109], v[108:109], v[110:111], v[108:109]
	v_mul_f64 v[110:111], v[117:118], v[108:109]
	v_fma_f64 v[106:107], -v[106:107], v[110:111], v[117:118]
	v_div_fmas_f64 v[106:107], v[106:107], v[108:109], v[110:111]
	v_div_fixup_f64 v[121:122], v[106:107], v[104:105], 1.0
	v_mul_f64 v[123:124], v[102:103], -v[121:122]
.LBB76_408:
	s_or_b64 exec, exec, s[18:19]
.LBB76_409:
	s_or_b64 exec, exec, s[0:1]
	v_cmp_ne_u32_e32 vcc, v100, v101
	s_and_saveexec_b64 s[0:1], vcc
	s_xor_b64 s[0:1], exec, s[0:1]
	s_cbranch_execz .LBB76_415
; %bb.410:
	v_cmp_eq_u32_e32 vcc, 19, v100
	s_and_saveexec_b64 s[18:19], vcc
	s_cbranch_execz .LBB76_414
; %bb.411:
	v_cmp_ne_u32_e32 vcc, 19, v101
	s_xor_b64 s[20:21], s[6:7], -1
	s_and_b64 s[22:23], s[20:21], vcc
	s_and_saveexec_b64 s[20:21], s[22:23]
	s_cbranch_execz .LBB76_413
; %bb.412:
	v_ashrrev_i32_e32 v102, 31, v101
	v_lshlrev_b64 v[102:103], 2, v[101:102]
	v_add_co_u32_e32 v102, vcc, v119, v102
	v_addc_co_u32_e32 v103, vcc, v120, v103, vcc
	global_load_dword v0, v[102:103], off
	global_load_dword v100, v[119:120], off offset:76
	s_waitcnt vmcnt(1)
	global_store_dword v[119:120], v0, off offset:76
	s_waitcnt vmcnt(1)
	global_store_dword v[102:103], v100, off
.LBB76_413:
	s_or_b64 exec, exec, s[20:21]
	v_mov_b32_e32 v100, v101
	v_mov_b32_e32 v0, v101
.LBB76_414:
	s_or_b64 exec, exec, s[18:19]
.LBB76_415:
	s_andn2_saveexec_b64 s[0:1], s[0:1]
	s_cbranch_execz .LBB76_417
; %bb.416:
	v_mov_b32_e32 v100, 19
	ds_write2_b64 v98, v[69:70], v[71:72] offset0:40 offset1:41
	ds_write2_b64 v98, v[65:66], v[67:68] offset0:42 offset1:43
	;; [unrolled: 1-line block ×19, first 2 shown]
.LBB76_417:
	s_or_b64 exec, exec, s[0:1]
	v_cmp_lt_i32_e32 vcc, 19, v100
	s_waitcnt vmcnt(0) lgkmcnt(0)
	s_barrier
	s_and_saveexec_b64 s[0:1], vcc
	s_cbranch_execz .LBB76_419
; %bb.418:
	v_mul_f64 v[101:102], v[123:124], v[75:76]
	v_mul_f64 v[75:76], v[121:122], v[75:76]
	v_fma_f64 v[125:126], v[121:122], v[73:74], -v[101:102]
	v_fma_f64 v[75:76], v[123:124], v[73:74], v[75:76]
	ds_read2_b64 v[101:104], v98 offset0:40 offset1:41
	s_waitcnt lgkmcnt(0)
	v_mul_f64 v[73:74], v[103:104], v[75:76]
	v_fma_f64 v[73:74], v[101:102], v[125:126], -v[73:74]
	v_mul_f64 v[101:102], v[101:102], v[75:76]
	v_add_f64 v[69:70], v[69:70], -v[73:74]
	v_fma_f64 v[101:102], v[103:104], v[125:126], v[101:102]
	v_add_f64 v[71:72], v[71:72], -v[101:102]
	ds_read2_b64 v[101:104], v98 offset0:42 offset1:43
	s_waitcnt lgkmcnt(0)
	v_mul_f64 v[73:74], v[103:104], v[75:76]
	v_fma_f64 v[73:74], v[101:102], v[125:126], -v[73:74]
	v_mul_f64 v[101:102], v[101:102], v[75:76]
	v_add_f64 v[65:66], v[65:66], -v[73:74]
	v_fma_f64 v[101:102], v[103:104], v[125:126], v[101:102]
	v_add_f64 v[67:68], v[67:68], -v[101:102]
	;; [unrolled: 8-line block ×18, first 2 shown]
	ds_read2_b64 v[101:104], v98 offset0:76 offset1:77
	s_waitcnt lgkmcnt(0)
	v_mul_f64 v[73:74], v[103:104], v[75:76]
	v_fma_f64 v[73:74], v[101:102], v[125:126], -v[73:74]
	v_mul_f64 v[101:102], v[101:102], v[75:76]
	v_add_f64 v[113:114], v[113:114], -v[73:74]
	v_fma_f64 v[101:102], v[103:104], v[125:126], v[101:102]
	v_mov_b32_e32 v73, v125
	v_mov_b32_e32 v74, v126
	v_add_f64 v[115:116], v[115:116], -v[101:102]
.LBB76_419:
	s_or_b64 exec, exec, s[0:1]
	v_lshl_add_u32 v101, v100, 4, v98
	s_barrier
	ds_write2_b64 v101, v[69:70], v[71:72] offset1:1
	s_waitcnt lgkmcnt(0)
	s_barrier
	ds_read2_b64 v[121:124], v98 offset0:40 offset1:41
	s_cmp_lt_i32 s3, 22
	v_mov_b32_e32 v101, 20
	s_cbranch_scc1 .LBB76_422
; %bb.420:
	v_add_u32_e32 v102, 0x150, v98
	s_mov_b32 s0, 21
	v_mov_b32_e32 v101, 20
.LBB76_421:                             ; =>This Inner Loop Header: Depth=1
	s_waitcnt lgkmcnt(0)
	v_cmp_gt_f64_e32 vcc, 0, v[121:122]
	v_xor_b32_e32 v107, 0x80000000, v122
	ds_read2_b64 v[103:106], v102 offset1:1
	v_xor_b32_e32 v109, 0x80000000, v124
	v_add_u32_e32 v102, 16, v102
	s_waitcnt lgkmcnt(0)
	v_xor_b32_e32 v111, 0x80000000, v106
	v_cndmask_b32_e32 v108, v122, v107, vcc
	v_cmp_gt_f64_e32 vcc, 0, v[123:124]
	v_mov_b32_e32 v107, v121
	v_cndmask_b32_e32 v110, v124, v109, vcc
	v_cmp_gt_f64_e32 vcc, 0, v[103:104]
	v_mov_b32_e32 v109, v123
	v_add_f64 v[107:108], v[107:108], v[109:110]
	v_xor_b32_e32 v109, 0x80000000, v104
	v_cndmask_b32_e32 v110, v104, v109, vcc
	v_cmp_gt_f64_e32 vcc, 0, v[105:106]
	v_mov_b32_e32 v109, v103
	v_cndmask_b32_e32 v112, v106, v111, vcc
	v_mov_b32_e32 v111, v105
	v_add_f64 v[109:110], v[109:110], v[111:112]
	v_cmp_lt_f64_e32 vcc, v[107:108], v[109:110]
	v_cndmask_b32_e32 v121, v121, v103, vcc
	v_mov_b32_e32 v103, s0
	s_add_i32 s0, s0, 1
	v_cndmask_b32_e32 v122, v122, v104, vcc
	v_cndmask_b32_e32 v124, v124, v106, vcc
	;; [unrolled: 1-line block ×4, first 2 shown]
	s_cmp_lg_u32 s3, s0
	s_cbranch_scc1 .LBB76_421
.LBB76_422:
	s_waitcnt lgkmcnt(0)
	v_cmp_eq_f64_e32 vcc, 0, v[121:122]
	v_cmp_eq_f64_e64 s[0:1], 0, v[123:124]
	s_and_b64 s[0:1], vcc, s[0:1]
	s_and_saveexec_b64 s[18:19], s[0:1]
	s_xor_b64 s[0:1], exec, s[18:19]
; %bb.423:
	v_cmp_ne_u32_e32 vcc, 0, v99
	v_cndmask_b32_e32 v99, 21, v99, vcc
; %bb.424:
	s_andn2_saveexec_b64 s[0:1], s[0:1]
	s_cbranch_execz .LBB76_430
; %bb.425:
	v_cmp_ngt_f64_e64 s[18:19], |v[121:122]|, |v[123:124]|
	s_and_saveexec_b64 s[20:21], s[18:19]
	s_xor_b64 s[18:19], exec, s[20:21]
	s_cbranch_execz .LBB76_427
; %bb.426:
	v_div_scale_f64 v[102:103], s[20:21], v[123:124], v[123:124], v[121:122]
	v_rcp_f64_e32 v[104:105], v[102:103]
	v_fma_f64 v[106:107], -v[102:103], v[104:105], 1.0
	v_fma_f64 v[104:105], v[104:105], v[106:107], v[104:105]
	v_div_scale_f64 v[106:107], vcc, v[121:122], v[123:124], v[121:122]
	v_fma_f64 v[108:109], -v[102:103], v[104:105], 1.0
	v_fma_f64 v[104:105], v[104:105], v[108:109], v[104:105]
	v_mul_f64 v[108:109], v[106:107], v[104:105]
	v_fma_f64 v[102:103], -v[102:103], v[108:109], v[106:107]
	v_div_fmas_f64 v[102:103], v[102:103], v[104:105], v[108:109]
	v_div_fixup_f64 v[102:103], v[102:103], v[123:124], v[121:122]
	v_fma_f64 v[104:105], v[121:122], v[102:103], v[123:124]
	v_div_scale_f64 v[106:107], s[20:21], v[104:105], v[104:105], 1.0
	v_div_scale_f64 v[117:118], vcc, 1.0, v[104:105], 1.0
	v_rcp_f64_e32 v[108:109], v[106:107]
	v_fma_f64 v[110:111], -v[106:107], v[108:109], 1.0
	v_fma_f64 v[108:109], v[108:109], v[110:111], v[108:109]
	v_fma_f64 v[110:111], -v[106:107], v[108:109], 1.0
	v_fma_f64 v[108:109], v[108:109], v[110:111], v[108:109]
	v_mul_f64 v[110:111], v[117:118], v[108:109]
	v_fma_f64 v[106:107], -v[106:107], v[110:111], v[117:118]
	v_div_fmas_f64 v[106:107], v[106:107], v[108:109], v[110:111]
	v_div_fixup_f64 v[123:124], v[106:107], v[104:105], 1.0
	v_mul_f64 v[121:122], v[102:103], v[123:124]
	v_xor_b32_e32 v124, 0x80000000, v124
.LBB76_427:
	s_andn2_saveexec_b64 s[18:19], s[18:19]
	s_cbranch_execz .LBB76_429
; %bb.428:
	v_div_scale_f64 v[102:103], s[20:21], v[121:122], v[121:122], v[123:124]
	v_rcp_f64_e32 v[104:105], v[102:103]
	v_fma_f64 v[106:107], -v[102:103], v[104:105], 1.0
	v_fma_f64 v[104:105], v[104:105], v[106:107], v[104:105]
	v_div_scale_f64 v[106:107], vcc, v[123:124], v[121:122], v[123:124]
	v_fma_f64 v[108:109], -v[102:103], v[104:105], 1.0
	v_fma_f64 v[104:105], v[104:105], v[108:109], v[104:105]
	v_mul_f64 v[108:109], v[106:107], v[104:105]
	v_fma_f64 v[102:103], -v[102:103], v[108:109], v[106:107]
	v_div_fmas_f64 v[102:103], v[102:103], v[104:105], v[108:109]
	v_div_fixup_f64 v[102:103], v[102:103], v[121:122], v[123:124]
	v_fma_f64 v[104:105], v[123:124], v[102:103], v[121:122]
	v_div_scale_f64 v[106:107], s[20:21], v[104:105], v[104:105], 1.0
	v_div_scale_f64 v[117:118], vcc, 1.0, v[104:105], 1.0
	v_rcp_f64_e32 v[108:109], v[106:107]
	v_fma_f64 v[110:111], -v[106:107], v[108:109], 1.0
	v_fma_f64 v[108:109], v[108:109], v[110:111], v[108:109]
	v_fma_f64 v[110:111], -v[106:107], v[108:109], 1.0
	v_fma_f64 v[108:109], v[108:109], v[110:111], v[108:109]
	v_mul_f64 v[110:111], v[117:118], v[108:109]
	v_fma_f64 v[106:107], -v[106:107], v[110:111], v[117:118]
	v_div_fmas_f64 v[106:107], v[106:107], v[108:109], v[110:111]
	v_div_fixup_f64 v[121:122], v[106:107], v[104:105], 1.0
	v_mul_f64 v[123:124], v[102:103], -v[121:122]
.LBB76_429:
	s_or_b64 exec, exec, s[18:19]
.LBB76_430:
	s_or_b64 exec, exec, s[0:1]
	v_cmp_ne_u32_e32 vcc, v100, v101
	s_and_saveexec_b64 s[0:1], vcc
	s_xor_b64 s[0:1], exec, s[0:1]
	s_cbranch_execz .LBB76_436
; %bb.431:
	v_cmp_eq_u32_e32 vcc, 20, v100
	s_and_saveexec_b64 s[18:19], vcc
	s_cbranch_execz .LBB76_435
; %bb.432:
	v_cmp_ne_u32_e32 vcc, 20, v101
	s_xor_b64 s[20:21], s[6:7], -1
	s_and_b64 s[22:23], s[20:21], vcc
	s_and_saveexec_b64 s[20:21], s[22:23]
	s_cbranch_execz .LBB76_434
; %bb.433:
	v_ashrrev_i32_e32 v102, 31, v101
	v_lshlrev_b64 v[102:103], 2, v[101:102]
	v_add_co_u32_e32 v102, vcc, v119, v102
	v_addc_co_u32_e32 v103, vcc, v120, v103, vcc
	global_load_dword v0, v[102:103], off
	global_load_dword v100, v[119:120], off offset:80
	s_waitcnt vmcnt(1)
	global_store_dword v[119:120], v0, off offset:80
	s_waitcnt vmcnt(1)
	global_store_dword v[102:103], v100, off
.LBB76_434:
	s_or_b64 exec, exec, s[20:21]
	v_mov_b32_e32 v100, v101
	v_mov_b32_e32 v0, v101
.LBB76_435:
	s_or_b64 exec, exec, s[18:19]
.LBB76_436:
	s_andn2_saveexec_b64 s[0:1], s[0:1]
	s_cbranch_execz .LBB76_438
; %bb.437:
	v_mov_b32_e32 v100, 20
	ds_write2_b64 v98, v[65:66], v[67:68] offset0:42 offset1:43
	ds_write2_b64 v98, v[61:62], v[63:64] offset0:44 offset1:45
	;; [unrolled: 1-line block ×18, first 2 shown]
.LBB76_438:
	s_or_b64 exec, exec, s[0:1]
	v_cmp_lt_i32_e32 vcc, 20, v100
	s_waitcnt vmcnt(0) lgkmcnt(0)
	s_barrier
	s_and_saveexec_b64 s[0:1], vcc
	s_cbranch_execz .LBB76_440
; %bb.439:
	v_mul_f64 v[101:102], v[123:124], v[71:72]
	v_mul_f64 v[71:72], v[121:122], v[71:72]
	v_fma_f64 v[109:110], v[121:122], v[69:70], -v[101:102]
	v_fma_f64 v[71:72], v[123:124], v[69:70], v[71:72]
	ds_read2_b64 v[101:104], v98 offset0:42 offset1:43
	s_waitcnt lgkmcnt(0)
	v_mul_f64 v[69:70], v[103:104], v[71:72]
	v_fma_f64 v[69:70], v[101:102], v[109:110], -v[69:70]
	v_mul_f64 v[101:102], v[101:102], v[71:72]
	v_add_f64 v[65:66], v[65:66], -v[69:70]
	v_fma_f64 v[101:102], v[103:104], v[109:110], v[101:102]
	v_add_f64 v[67:68], v[67:68], -v[101:102]
	ds_read2_b64 v[101:104], v98 offset0:44 offset1:45
	s_waitcnt lgkmcnt(0)
	v_mul_f64 v[69:70], v[103:104], v[71:72]
	v_fma_f64 v[69:70], v[101:102], v[109:110], -v[69:70]
	v_mul_f64 v[101:102], v[101:102], v[71:72]
	v_add_f64 v[61:62], v[61:62], -v[69:70]
	v_fma_f64 v[101:102], v[103:104], v[109:110], v[101:102]
	v_add_f64 v[63:64], v[63:64], -v[101:102]
	;; [unrolled: 8-line block ×17, first 2 shown]
	ds_read2_b64 v[101:104], v98 offset0:76 offset1:77
	s_waitcnt lgkmcnt(0)
	v_mul_f64 v[69:70], v[103:104], v[71:72]
	v_fma_f64 v[69:70], v[101:102], v[109:110], -v[69:70]
	v_mul_f64 v[101:102], v[101:102], v[71:72]
	v_add_f64 v[113:114], v[113:114], -v[69:70]
	v_fma_f64 v[101:102], v[103:104], v[109:110], v[101:102]
	v_mov_b32_e32 v69, v109
	v_mov_b32_e32 v70, v110
	v_add_f64 v[115:116], v[115:116], -v[101:102]
.LBB76_440:
	s_or_b64 exec, exec, s[0:1]
	v_lshl_add_u32 v101, v100, 4, v98
	s_barrier
	ds_write2_b64 v101, v[65:66], v[67:68] offset1:1
	s_waitcnt lgkmcnt(0)
	s_barrier
	ds_read2_b64 v[121:124], v98 offset0:42 offset1:43
	s_cmp_lt_i32 s3, 23
	v_mov_b32_e32 v101, 21
	s_cbranch_scc1 .LBB76_443
; %bb.441:
	v_add_u32_e32 v102, 0x160, v98
	s_mov_b32 s0, 22
	v_mov_b32_e32 v101, 21
.LBB76_442:                             ; =>This Inner Loop Header: Depth=1
	s_waitcnt lgkmcnt(0)
	v_cmp_gt_f64_e32 vcc, 0, v[121:122]
	v_xor_b32_e32 v107, 0x80000000, v122
	ds_read2_b64 v[103:106], v102 offset1:1
	v_xor_b32_e32 v109, 0x80000000, v124
	v_add_u32_e32 v102, 16, v102
	s_waitcnt lgkmcnt(0)
	v_xor_b32_e32 v111, 0x80000000, v106
	v_cndmask_b32_e32 v108, v122, v107, vcc
	v_cmp_gt_f64_e32 vcc, 0, v[123:124]
	v_mov_b32_e32 v107, v121
	v_cndmask_b32_e32 v110, v124, v109, vcc
	v_cmp_gt_f64_e32 vcc, 0, v[103:104]
	v_mov_b32_e32 v109, v123
	v_add_f64 v[107:108], v[107:108], v[109:110]
	v_xor_b32_e32 v109, 0x80000000, v104
	v_cndmask_b32_e32 v110, v104, v109, vcc
	v_cmp_gt_f64_e32 vcc, 0, v[105:106]
	v_mov_b32_e32 v109, v103
	v_cndmask_b32_e32 v112, v106, v111, vcc
	v_mov_b32_e32 v111, v105
	v_add_f64 v[109:110], v[109:110], v[111:112]
	v_cmp_lt_f64_e32 vcc, v[107:108], v[109:110]
	v_cndmask_b32_e32 v121, v121, v103, vcc
	v_mov_b32_e32 v103, s0
	s_add_i32 s0, s0, 1
	v_cndmask_b32_e32 v122, v122, v104, vcc
	v_cndmask_b32_e32 v124, v124, v106, vcc
	;; [unrolled: 1-line block ×4, first 2 shown]
	s_cmp_lg_u32 s3, s0
	s_cbranch_scc1 .LBB76_442
.LBB76_443:
	s_waitcnt lgkmcnt(0)
	v_cmp_eq_f64_e32 vcc, 0, v[121:122]
	v_cmp_eq_f64_e64 s[0:1], 0, v[123:124]
	s_and_b64 s[0:1], vcc, s[0:1]
	s_and_saveexec_b64 s[18:19], s[0:1]
	s_xor_b64 s[0:1], exec, s[18:19]
; %bb.444:
	v_cmp_ne_u32_e32 vcc, 0, v99
	v_cndmask_b32_e32 v99, 22, v99, vcc
; %bb.445:
	s_andn2_saveexec_b64 s[0:1], s[0:1]
	s_cbranch_execz .LBB76_451
; %bb.446:
	v_cmp_ngt_f64_e64 s[18:19], |v[121:122]|, |v[123:124]|
	s_and_saveexec_b64 s[20:21], s[18:19]
	s_xor_b64 s[18:19], exec, s[20:21]
	s_cbranch_execz .LBB76_448
; %bb.447:
	v_div_scale_f64 v[102:103], s[20:21], v[123:124], v[123:124], v[121:122]
	v_rcp_f64_e32 v[104:105], v[102:103]
	v_fma_f64 v[106:107], -v[102:103], v[104:105], 1.0
	v_fma_f64 v[104:105], v[104:105], v[106:107], v[104:105]
	v_div_scale_f64 v[106:107], vcc, v[121:122], v[123:124], v[121:122]
	v_fma_f64 v[108:109], -v[102:103], v[104:105], 1.0
	v_fma_f64 v[104:105], v[104:105], v[108:109], v[104:105]
	v_mul_f64 v[108:109], v[106:107], v[104:105]
	v_fma_f64 v[102:103], -v[102:103], v[108:109], v[106:107]
	v_div_fmas_f64 v[102:103], v[102:103], v[104:105], v[108:109]
	v_div_fixup_f64 v[102:103], v[102:103], v[123:124], v[121:122]
	v_fma_f64 v[104:105], v[121:122], v[102:103], v[123:124]
	v_div_scale_f64 v[106:107], s[20:21], v[104:105], v[104:105], 1.0
	v_div_scale_f64 v[117:118], vcc, 1.0, v[104:105], 1.0
	v_rcp_f64_e32 v[108:109], v[106:107]
	v_fma_f64 v[110:111], -v[106:107], v[108:109], 1.0
	v_fma_f64 v[108:109], v[108:109], v[110:111], v[108:109]
	v_fma_f64 v[110:111], -v[106:107], v[108:109], 1.0
	v_fma_f64 v[108:109], v[108:109], v[110:111], v[108:109]
	v_mul_f64 v[110:111], v[117:118], v[108:109]
	v_fma_f64 v[106:107], -v[106:107], v[110:111], v[117:118]
	v_div_fmas_f64 v[106:107], v[106:107], v[108:109], v[110:111]
	v_div_fixup_f64 v[123:124], v[106:107], v[104:105], 1.0
	v_mul_f64 v[121:122], v[102:103], v[123:124]
	v_xor_b32_e32 v124, 0x80000000, v124
.LBB76_448:
	s_andn2_saveexec_b64 s[18:19], s[18:19]
	s_cbranch_execz .LBB76_450
; %bb.449:
	v_div_scale_f64 v[102:103], s[20:21], v[121:122], v[121:122], v[123:124]
	v_rcp_f64_e32 v[104:105], v[102:103]
	v_fma_f64 v[106:107], -v[102:103], v[104:105], 1.0
	v_fma_f64 v[104:105], v[104:105], v[106:107], v[104:105]
	v_div_scale_f64 v[106:107], vcc, v[123:124], v[121:122], v[123:124]
	v_fma_f64 v[108:109], -v[102:103], v[104:105], 1.0
	v_fma_f64 v[104:105], v[104:105], v[108:109], v[104:105]
	v_mul_f64 v[108:109], v[106:107], v[104:105]
	v_fma_f64 v[102:103], -v[102:103], v[108:109], v[106:107]
	v_div_fmas_f64 v[102:103], v[102:103], v[104:105], v[108:109]
	v_div_fixup_f64 v[102:103], v[102:103], v[121:122], v[123:124]
	v_fma_f64 v[104:105], v[123:124], v[102:103], v[121:122]
	v_div_scale_f64 v[106:107], s[20:21], v[104:105], v[104:105], 1.0
	v_div_scale_f64 v[117:118], vcc, 1.0, v[104:105], 1.0
	v_rcp_f64_e32 v[108:109], v[106:107]
	v_fma_f64 v[110:111], -v[106:107], v[108:109], 1.0
	v_fma_f64 v[108:109], v[108:109], v[110:111], v[108:109]
	v_fma_f64 v[110:111], -v[106:107], v[108:109], 1.0
	v_fma_f64 v[108:109], v[108:109], v[110:111], v[108:109]
	v_mul_f64 v[110:111], v[117:118], v[108:109]
	v_fma_f64 v[106:107], -v[106:107], v[110:111], v[117:118]
	v_div_fmas_f64 v[106:107], v[106:107], v[108:109], v[110:111]
	v_div_fixup_f64 v[121:122], v[106:107], v[104:105], 1.0
	v_mul_f64 v[123:124], v[102:103], -v[121:122]
.LBB76_450:
	s_or_b64 exec, exec, s[18:19]
.LBB76_451:
	s_or_b64 exec, exec, s[0:1]
	v_cmp_ne_u32_e32 vcc, v100, v101
	s_and_saveexec_b64 s[0:1], vcc
	s_xor_b64 s[0:1], exec, s[0:1]
	s_cbranch_execz .LBB76_457
; %bb.452:
	v_cmp_eq_u32_e32 vcc, 21, v100
	s_and_saveexec_b64 s[18:19], vcc
	s_cbranch_execz .LBB76_456
; %bb.453:
	v_cmp_ne_u32_e32 vcc, 21, v101
	s_xor_b64 s[20:21], s[6:7], -1
	s_and_b64 s[22:23], s[20:21], vcc
	s_and_saveexec_b64 s[20:21], s[22:23]
	s_cbranch_execz .LBB76_455
; %bb.454:
	v_ashrrev_i32_e32 v102, 31, v101
	v_lshlrev_b64 v[102:103], 2, v[101:102]
	v_add_co_u32_e32 v102, vcc, v119, v102
	v_addc_co_u32_e32 v103, vcc, v120, v103, vcc
	global_load_dword v0, v[102:103], off
	global_load_dword v100, v[119:120], off offset:84
	s_waitcnt vmcnt(1)
	global_store_dword v[119:120], v0, off offset:84
	s_waitcnt vmcnt(1)
	global_store_dword v[102:103], v100, off
.LBB76_455:
	s_or_b64 exec, exec, s[20:21]
	v_mov_b32_e32 v100, v101
	v_mov_b32_e32 v0, v101
.LBB76_456:
	s_or_b64 exec, exec, s[18:19]
.LBB76_457:
	s_andn2_saveexec_b64 s[0:1], s[0:1]
	s_cbranch_execz .LBB76_459
; %bb.458:
	v_mov_b32_e32 v100, 21
	ds_write2_b64 v98, v[61:62], v[63:64] offset0:44 offset1:45
	ds_write2_b64 v98, v[57:58], v[59:60] offset0:46 offset1:47
	ds_write2_b64 v98, v[53:54], v[55:56] offset0:48 offset1:49
	ds_write2_b64 v98, v[49:50], v[51:52] offset0:50 offset1:51
	ds_write2_b64 v98, v[45:46], v[47:48] offset0:52 offset1:53
	ds_write2_b64 v98, v[41:42], v[43:44] offset0:54 offset1:55
	ds_write2_b64 v98, v[37:38], v[39:40] offset0:56 offset1:57
	ds_write2_b64 v98, v[33:34], v[35:36] offset0:58 offset1:59
	ds_write2_b64 v98, v[29:30], v[31:32] offset0:60 offset1:61
	ds_write2_b64 v98, v[25:26], v[27:28] offset0:62 offset1:63
	ds_write2_b64 v98, v[21:22], v[23:24] offset0:64 offset1:65
	ds_write2_b64 v98, v[17:18], v[19:20] offset0:66 offset1:67
	ds_write2_b64 v98, v[13:14], v[15:16] offset0:68 offset1:69
	ds_write2_b64 v98, v[9:10], v[11:12] offset0:70 offset1:71
	ds_write2_b64 v98, v[5:6], v[7:8] offset0:72 offset1:73
	ds_write2_b64 v98, v[1:2], v[3:4] offset0:74 offset1:75
	ds_write2_b64 v98, v[113:114], v[115:116] offset0:76 offset1:77
.LBB76_459:
	s_or_b64 exec, exec, s[0:1]
	v_cmp_lt_i32_e32 vcc, 21, v100
	s_waitcnt vmcnt(0) lgkmcnt(0)
	s_barrier
	s_and_saveexec_b64 s[0:1], vcc
	s_cbranch_execz .LBB76_461
; %bb.460:
	v_mul_f64 v[101:102], v[123:124], v[67:68]
	v_mul_f64 v[67:68], v[121:122], v[67:68]
	ds_read2_b64 v[103:106], v98 offset0:44 offset1:45
	v_fma_f64 v[101:102], v[121:122], v[65:66], -v[101:102]
	v_fma_f64 v[67:68], v[123:124], v[65:66], v[67:68]
	s_waitcnt lgkmcnt(0)
	v_mul_f64 v[65:66], v[105:106], v[67:68]
	v_fma_f64 v[65:66], v[103:104], v[101:102], -v[65:66]
	v_mul_f64 v[103:104], v[103:104], v[67:68]
	v_add_f64 v[61:62], v[61:62], -v[65:66]
	v_fma_f64 v[103:104], v[105:106], v[101:102], v[103:104]
	v_add_f64 v[63:64], v[63:64], -v[103:104]
	ds_read2_b64 v[103:106], v98 offset0:46 offset1:47
	s_waitcnt lgkmcnt(0)
	v_mul_f64 v[65:66], v[105:106], v[67:68]
	v_fma_f64 v[65:66], v[103:104], v[101:102], -v[65:66]
	v_mul_f64 v[103:104], v[103:104], v[67:68]
	v_add_f64 v[57:58], v[57:58], -v[65:66]
	v_fma_f64 v[103:104], v[105:106], v[101:102], v[103:104]
	v_add_f64 v[59:60], v[59:60], -v[103:104]
	ds_read2_b64 v[103:106], v98 offset0:48 offset1:49
	;; [unrolled: 8-line block ×16, first 2 shown]
	s_waitcnt lgkmcnt(0)
	v_mul_f64 v[65:66], v[105:106], v[67:68]
	v_fma_f64 v[65:66], v[103:104], v[101:102], -v[65:66]
	v_mul_f64 v[103:104], v[103:104], v[67:68]
	v_add_f64 v[113:114], v[113:114], -v[65:66]
	v_fma_f64 v[103:104], v[105:106], v[101:102], v[103:104]
	v_mov_b32_e32 v65, v101
	v_mov_b32_e32 v66, v102
	v_add_f64 v[115:116], v[115:116], -v[103:104]
.LBB76_461:
	s_or_b64 exec, exec, s[0:1]
	v_lshl_add_u32 v101, v100, 4, v98
	s_barrier
	ds_write2_b64 v101, v[61:62], v[63:64] offset1:1
	s_waitcnt lgkmcnt(0)
	s_barrier
	ds_read2_b64 v[121:124], v98 offset0:44 offset1:45
	s_cmp_lt_i32 s3, 24
	v_mov_b32_e32 v101, 22
	s_cbranch_scc1 .LBB76_464
; %bb.462:
	v_add_u32_e32 v102, 0x170, v98
	s_mov_b32 s0, 23
	v_mov_b32_e32 v101, 22
.LBB76_463:                             ; =>This Inner Loop Header: Depth=1
	s_waitcnt lgkmcnt(0)
	v_cmp_gt_f64_e32 vcc, 0, v[121:122]
	v_xor_b32_e32 v107, 0x80000000, v122
	ds_read2_b64 v[103:106], v102 offset1:1
	v_xor_b32_e32 v109, 0x80000000, v124
	v_add_u32_e32 v102, 16, v102
	s_waitcnt lgkmcnt(0)
	v_xor_b32_e32 v111, 0x80000000, v106
	v_cndmask_b32_e32 v108, v122, v107, vcc
	v_cmp_gt_f64_e32 vcc, 0, v[123:124]
	v_mov_b32_e32 v107, v121
	v_cndmask_b32_e32 v110, v124, v109, vcc
	v_cmp_gt_f64_e32 vcc, 0, v[103:104]
	v_mov_b32_e32 v109, v123
	v_add_f64 v[107:108], v[107:108], v[109:110]
	v_xor_b32_e32 v109, 0x80000000, v104
	v_cndmask_b32_e32 v110, v104, v109, vcc
	v_cmp_gt_f64_e32 vcc, 0, v[105:106]
	v_mov_b32_e32 v109, v103
	v_cndmask_b32_e32 v112, v106, v111, vcc
	v_mov_b32_e32 v111, v105
	v_add_f64 v[109:110], v[109:110], v[111:112]
	v_cmp_lt_f64_e32 vcc, v[107:108], v[109:110]
	v_cndmask_b32_e32 v121, v121, v103, vcc
	v_mov_b32_e32 v103, s0
	s_add_i32 s0, s0, 1
	v_cndmask_b32_e32 v122, v122, v104, vcc
	v_cndmask_b32_e32 v124, v124, v106, vcc
	;; [unrolled: 1-line block ×4, first 2 shown]
	s_cmp_lg_u32 s3, s0
	s_cbranch_scc1 .LBB76_463
.LBB76_464:
	s_waitcnt lgkmcnt(0)
	v_cmp_eq_f64_e32 vcc, 0, v[121:122]
	v_cmp_eq_f64_e64 s[0:1], 0, v[123:124]
	s_and_b64 s[0:1], vcc, s[0:1]
	s_and_saveexec_b64 s[18:19], s[0:1]
	s_xor_b64 s[0:1], exec, s[18:19]
; %bb.465:
	v_cmp_ne_u32_e32 vcc, 0, v99
	v_cndmask_b32_e32 v99, 23, v99, vcc
; %bb.466:
	s_andn2_saveexec_b64 s[0:1], s[0:1]
	s_cbranch_execz .LBB76_472
; %bb.467:
	v_cmp_ngt_f64_e64 s[18:19], |v[121:122]|, |v[123:124]|
	s_and_saveexec_b64 s[20:21], s[18:19]
	s_xor_b64 s[18:19], exec, s[20:21]
	s_cbranch_execz .LBB76_469
; %bb.468:
	v_div_scale_f64 v[102:103], s[20:21], v[123:124], v[123:124], v[121:122]
	v_rcp_f64_e32 v[104:105], v[102:103]
	v_fma_f64 v[106:107], -v[102:103], v[104:105], 1.0
	v_fma_f64 v[104:105], v[104:105], v[106:107], v[104:105]
	v_div_scale_f64 v[106:107], vcc, v[121:122], v[123:124], v[121:122]
	v_fma_f64 v[108:109], -v[102:103], v[104:105], 1.0
	v_fma_f64 v[104:105], v[104:105], v[108:109], v[104:105]
	v_mul_f64 v[108:109], v[106:107], v[104:105]
	v_fma_f64 v[102:103], -v[102:103], v[108:109], v[106:107]
	v_div_fmas_f64 v[102:103], v[102:103], v[104:105], v[108:109]
	v_div_fixup_f64 v[102:103], v[102:103], v[123:124], v[121:122]
	v_fma_f64 v[104:105], v[121:122], v[102:103], v[123:124]
	v_div_scale_f64 v[106:107], s[20:21], v[104:105], v[104:105], 1.0
	v_div_scale_f64 v[117:118], vcc, 1.0, v[104:105], 1.0
	v_rcp_f64_e32 v[108:109], v[106:107]
	v_fma_f64 v[110:111], -v[106:107], v[108:109], 1.0
	v_fma_f64 v[108:109], v[108:109], v[110:111], v[108:109]
	v_fma_f64 v[110:111], -v[106:107], v[108:109], 1.0
	v_fma_f64 v[108:109], v[108:109], v[110:111], v[108:109]
	v_mul_f64 v[110:111], v[117:118], v[108:109]
	v_fma_f64 v[106:107], -v[106:107], v[110:111], v[117:118]
	v_div_fmas_f64 v[106:107], v[106:107], v[108:109], v[110:111]
	v_div_fixup_f64 v[123:124], v[106:107], v[104:105], 1.0
	v_mul_f64 v[121:122], v[102:103], v[123:124]
	v_xor_b32_e32 v124, 0x80000000, v124
.LBB76_469:
	s_andn2_saveexec_b64 s[18:19], s[18:19]
	s_cbranch_execz .LBB76_471
; %bb.470:
	v_div_scale_f64 v[102:103], s[20:21], v[121:122], v[121:122], v[123:124]
	v_rcp_f64_e32 v[104:105], v[102:103]
	v_fma_f64 v[106:107], -v[102:103], v[104:105], 1.0
	v_fma_f64 v[104:105], v[104:105], v[106:107], v[104:105]
	v_div_scale_f64 v[106:107], vcc, v[123:124], v[121:122], v[123:124]
	v_fma_f64 v[108:109], -v[102:103], v[104:105], 1.0
	v_fma_f64 v[104:105], v[104:105], v[108:109], v[104:105]
	v_mul_f64 v[108:109], v[106:107], v[104:105]
	v_fma_f64 v[102:103], -v[102:103], v[108:109], v[106:107]
	v_div_fmas_f64 v[102:103], v[102:103], v[104:105], v[108:109]
	v_div_fixup_f64 v[102:103], v[102:103], v[121:122], v[123:124]
	v_fma_f64 v[104:105], v[123:124], v[102:103], v[121:122]
	v_div_scale_f64 v[106:107], s[20:21], v[104:105], v[104:105], 1.0
	v_div_scale_f64 v[117:118], vcc, 1.0, v[104:105], 1.0
	v_rcp_f64_e32 v[108:109], v[106:107]
	v_fma_f64 v[110:111], -v[106:107], v[108:109], 1.0
	v_fma_f64 v[108:109], v[108:109], v[110:111], v[108:109]
	v_fma_f64 v[110:111], -v[106:107], v[108:109], 1.0
	v_fma_f64 v[108:109], v[108:109], v[110:111], v[108:109]
	v_mul_f64 v[110:111], v[117:118], v[108:109]
	v_fma_f64 v[106:107], -v[106:107], v[110:111], v[117:118]
	v_div_fmas_f64 v[106:107], v[106:107], v[108:109], v[110:111]
	v_div_fixup_f64 v[121:122], v[106:107], v[104:105], 1.0
	v_mul_f64 v[123:124], v[102:103], -v[121:122]
.LBB76_471:
	s_or_b64 exec, exec, s[18:19]
.LBB76_472:
	s_or_b64 exec, exec, s[0:1]
	v_cmp_ne_u32_e32 vcc, v100, v101
	s_and_saveexec_b64 s[0:1], vcc
	s_xor_b64 s[0:1], exec, s[0:1]
	s_cbranch_execz .LBB76_478
; %bb.473:
	v_cmp_eq_u32_e32 vcc, 22, v100
	s_and_saveexec_b64 s[18:19], vcc
	s_cbranch_execz .LBB76_477
; %bb.474:
	v_cmp_ne_u32_e32 vcc, 22, v101
	s_xor_b64 s[20:21], s[6:7], -1
	s_and_b64 s[22:23], s[20:21], vcc
	s_and_saveexec_b64 s[20:21], s[22:23]
	s_cbranch_execz .LBB76_476
; %bb.475:
	v_ashrrev_i32_e32 v102, 31, v101
	v_lshlrev_b64 v[102:103], 2, v[101:102]
	v_add_co_u32_e32 v102, vcc, v119, v102
	v_addc_co_u32_e32 v103, vcc, v120, v103, vcc
	global_load_dword v0, v[102:103], off
	global_load_dword v100, v[119:120], off offset:88
	s_waitcnt vmcnt(1)
	global_store_dword v[119:120], v0, off offset:88
	s_waitcnt vmcnt(1)
	global_store_dword v[102:103], v100, off
.LBB76_476:
	s_or_b64 exec, exec, s[20:21]
	v_mov_b32_e32 v100, v101
	v_mov_b32_e32 v0, v101
.LBB76_477:
	s_or_b64 exec, exec, s[18:19]
.LBB76_478:
	s_andn2_saveexec_b64 s[0:1], s[0:1]
	s_cbranch_execz .LBB76_480
; %bb.479:
	v_mov_b32_e32 v100, 22
	ds_write2_b64 v98, v[57:58], v[59:60] offset0:46 offset1:47
	ds_write2_b64 v98, v[53:54], v[55:56] offset0:48 offset1:49
	ds_write2_b64 v98, v[49:50], v[51:52] offset0:50 offset1:51
	ds_write2_b64 v98, v[45:46], v[47:48] offset0:52 offset1:53
	ds_write2_b64 v98, v[41:42], v[43:44] offset0:54 offset1:55
	ds_write2_b64 v98, v[37:38], v[39:40] offset0:56 offset1:57
	ds_write2_b64 v98, v[33:34], v[35:36] offset0:58 offset1:59
	ds_write2_b64 v98, v[29:30], v[31:32] offset0:60 offset1:61
	ds_write2_b64 v98, v[25:26], v[27:28] offset0:62 offset1:63
	ds_write2_b64 v98, v[21:22], v[23:24] offset0:64 offset1:65
	ds_write2_b64 v98, v[17:18], v[19:20] offset0:66 offset1:67
	ds_write2_b64 v98, v[13:14], v[15:16] offset0:68 offset1:69
	ds_write2_b64 v98, v[9:10], v[11:12] offset0:70 offset1:71
	ds_write2_b64 v98, v[5:6], v[7:8] offset0:72 offset1:73
	ds_write2_b64 v98, v[1:2], v[3:4] offset0:74 offset1:75
	ds_write2_b64 v98, v[113:114], v[115:116] offset0:76 offset1:77
.LBB76_480:
	s_or_b64 exec, exec, s[0:1]
	v_cmp_lt_i32_e32 vcc, 22, v100
	s_waitcnt vmcnt(0) lgkmcnt(0)
	s_barrier
	s_and_saveexec_b64 s[0:1], vcc
	s_cbranch_execz .LBB76_482
; %bb.481:
	v_mul_f64 v[101:102], v[121:122], v[63:64]
	v_mul_f64 v[63:64], v[123:124], v[63:64]
	ds_read2_b64 v[103:106], v98 offset0:46 offset1:47
	v_fma_f64 v[101:102], v[123:124], v[61:62], v[101:102]
	v_fma_f64 v[61:62], v[121:122], v[61:62], -v[63:64]
	s_waitcnt lgkmcnt(0)
	v_mul_f64 v[63:64], v[105:106], v[101:102]
	v_fma_f64 v[63:64], v[103:104], v[61:62], -v[63:64]
	v_mul_f64 v[103:104], v[103:104], v[101:102]
	v_add_f64 v[57:58], v[57:58], -v[63:64]
	v_fma_f64 v[103:104], v[105:106], v[61:62], v[103:104]
	v_add_f64 v[59:60], v[59:60], -v[103:104]
	ds_read2_b64 v[103:106], v98 offset0:48 offset1:49
	s_waitcnt lgkmcnt(0)
	v_mul_f64 v[63:64], v[105:106], v[101:102]
	v_fma_f64 v[63:64], v[103:104], v[61:62], -v[63:64]
	v_mul_f64 v[103:104], v[103:104], v[101:102]
	v_add_f64 v[53:54], v[53:54], -v[63:64]
	v_fma_f64 v[103:104], v[105:106], v[61:62], v[103:104]
	v_add_f64 v[55:56], v[55:56], -v[103:104]
	ds_read2_b64 v[103:106], v98 offset0:50 offset1:51
	;; [unrolled: 8-line block ×15, first 2 shown]
	s_waitcnt lgkmcnt(0)
	v_mul_f64 v[63:64], v[105:106], v[101:102]
	v_fma_f64 v[63:64], v[103:104], v[61:62], -v[63:64]
	v_mul_f64 v[103:104], v[103:104], v[101:102]
	v_add_f64 v[113:114], v[113:114], -v[63:64]
	v_fma_f64 v[103:104], v[105:106], v[61:62], v[103:104]
	v_mov_b32_e32 v63, v101
	v_mov_b32_e32 v64, v102
	v_add_f64 v[115:116], v[115:116], -v[103:104]
.LBB76_482:
	s_or_b64 exec, exec, s[0:1]
	v_lshl_add_u32 v101, v100, 4, v98
	s_barrier
	ds_write2_b64 v101, v[57:58], v[59:60] offset1:1
	s_waitcnt lgkmcnt(0)
	s_barrier
	ds_read2_b64 v[121:124], v98 offset0:46 offset1:47
	s_cmp_lt_i32 s3, 25
	v_mov_b32_e32 v101, 23
	s_cbranch_scc1 .LBB76_485
; %bb.483:
	v_add_u32_e32 v102, 0x180, v98
	s_mov_b32 s0, 24
	v_mov_b32_e32 v101, 23
.LBB76_484:                             ; =>This Inner Loop Header: Depth=1
	s_waitcnt lgkmcnt(0)
	v_cmp_gt_f64_e32 vcc, 0, v[121:122]
	v_xor_b32_e32 v107, 0x80000000, v122
	ds_read2_b64 v[103:106], v102 offset1:1
	v_xor_b32_e32 v109, 0x80000000, v124
	v_add_u32_e32 v102, 16, v102
	s_waitcnt lgkmcnt(0)
	v_xor_b32_e32 v111, 0x80000000, v106
	v_cndmask_b32_e32 v108, v122, v107, vcc
	v_cmp_gt_f64_e32 vcc, 0, v[123:124]
	v_mov_b32_e32 v107, v121
	v_cndmask_b32_e32 v110, v124, v109, vcc
	v_cmp_gt_f64_e32 vcc, 0, v[103:104]
	v_mov_b32_e32 v109, v123
	v_add_f64 v[107:108], v[107:108], v[109:110]
	v_xor_b32_e32 v109, 0x80000000, v104
	v_cndmask_b32_e32 v110, v104, v109, vcc
	v_cmp_gt_f64_e32 vcc, 0, v[105:106]
	v_mov_b32_e32 v109, v103
	v_cndmask_b32_e32 v112, v106, v111, vcc
	v_mov_b32_e32 v111, v105
	v_add_f64 v[109:110], v[109:110], v[111:112]
	v_cmp_lt_f64_e32 vcc, v[107:108], v[109:110]
	v_cndmask_b32_e32 v121, v121, v103, vcc
	v_mov_b32_e32 v103, s0
	s_add_i32 s0, s0, 1
	v_cndmask_b32_e32 v122, v122, v104, vcc
	v_cndmask_b32_e32 v124, v124, v106, vcc
	;; [unrolled: 1-line block ×4, first 2 shown]
	s_cmp_lg_u32 s3, s0
	s_cbranch_scc1 .LBB76_484
.LBB76_485:
	s_waitcnt lgkmcnt(0)
	v_cmp_eq_f64_e32 vcc, 0, v[121:122]
	v_cmp_eq_f64_e64 s[0:1], 0, v[123:124]
	s_and_b64 s[0:1], vcc, s[0:1]
	s_and_saveexec_b64 s[18:19], s[0:1]
	s_xor_b64 s[0:1], exec, s[18:19]
; %bb.486:
	v_cmp_ne_u32_e32 vcc, 0, v99
	v_cndmask_b32_e32 v99, 24, v99, vcc
; %bb.487:
	s_andn2_saveexec_b64 s[0:1], s[0:1]
	s_cbranch_execz .LBB76_493
; %bb.488:
	v_cmp_ngt_f64_e64 s[18:19], |v[121:122]|, |v[123:124]|
	s_and_saveexec_b64 s[20:21], s[18:19]
	s_xor_b64 s[18:19], exec, s[20:21]
	s_cbranch_execz .LBB76_490
; %bb.489:
	v_div_scale_f64 v[102:103], s[20:21], v[123:124], v[123:124], v[121:122]
	v_rcp_f64_e32 v[104:105], v[102:103]
	v_fma_f64 v[106:107], -v[102:103], v[104:105], 1.0
	v_fma_f64 v[104:105], v[104:105], v[106:107], v[104:105]
	v_div_scale_f64 v[106:107], vcc, v[121:122], v[123:124], v[121:122]
	v_fma_f64 v[108:109], -v[102:103], v[104:105], 1.0
	v_fma_f64 v[104:105], v[104:105], v[108:109], v[104:105]
	v_mul_f64 v[108:109], v[106:107], v[104:105]
	v_fma_f64 v[102:103], -v[102:103], v[108:109], v[106:107]
	v_div_fmas_f64 v[102:103], v[102:103], v[104:105], v[108:109]
	v_div_fixup_f64 v[102:103], v[102:103], v[123:124], v[121:122]
	v_fma_f64 v[104:105], v[121:122], v[102:103], v[123:124]
	v_div_scale_f64 v[106:107], s[20:21], v[104:105], v[104:105], 1.0
	v_div_scale_f64 v[117:118], vcc, 1.0, v[104:105], 1.0
	v_rcp_f64_e32 v[108:109], v[106:107]
	v_fma_f64 v[110:111], -v[106:107], v[108:109], 1.0
	v_fma_f64 v[108:109], v[108:109], v[110:111], v[108:109]
	v_fma_f64 v[110:111], -v[106:107], v[108:109], 1.0
	v_fma_f64 v[108:109], v[108:109], v[110:111], v[108:109]
	v_mul_f64 v[110:111], v[117:118], v[108:109]
	v_fma_f64 v[106:107], -v[106:107], v[110:111], v[117:118]
	v_div_fmas_f64 v[106:107], v[106:107], v[108:109], v[110:111]
	v_div_fixup_f64 v[123:124], v[106:107], v[104:105], 1.0
	v_mul_f64 v[121:122], v[102:103], v[123:124]
	v_xor_b32_e32 v124, 0x80000000, v124
.LBB76_490:
	s_andn2_saveexec_b64 s[18:19], s[18:19]
	s_cbranch_execz .LBB76_492
; %bb.491:
	v_div_scale_f64 v[102:103], s[20:21], v[121:122], v[121:122], v[123:124]
	v_rcp_f64_e32 v[104:105], v[102:103]
	v_fma_f64 v[106:107], -v[102:103], v[104:105], 1.0
	v_fma_f64 v[104:105], v[104:105], v[106:107], v[104:105]
	v_div_scale_f64 v[106:107], vcc, v[123:124], v[121:122], v[123:124]
	v_fma_f64 v[108:109], -v[102:103], v[104:105], 1.0
	v_fma_f64 v[104:105], v[104:105], v[108:109], v[104:105]
	v_mul_f64 v[108:109], v[106:107], v[104:105]
	v_fma_f64 v[102:103], -v[102:103], v[108:109], v[106:107]
	v_div_fmas_f64 v[102:103], v[102:103], v[104:105], v[108:109]
	v_div_fixup_f64 v[102:103], v[102:103], v[121:122], v[123:124]
	v_fma_f64 v[104:105], v[123:124], v[102:103], v[121:122]
	v_div_scale_f64 v[106:107], s[20:21], v[104:105], v[104:105], 1.0
	v_div_scale_f64 v[117:118], vcc, 1.0, v[104:105], 1.0
	v_rcp_f64_e32 v[108:109], v[106:107]
	v_fma_f64 v[110:111], -v[106:107], v[108:109], 1.0
	v_fma_f64 v[108:109], v[108:109], v[110:111], v[108:109]
	v_fma_f64 v[110:111], -v[106:107], v[108:109], 1.0
	v_fma_f64 v[108:109], v[108:109], v[110:111], v[108:109]
	v_mul_f64 v[110:111], v[117:118], v[108:109]
	v_fma_f64 v[106:107], -v[106:107], v[110:111], v[117:118]
	v_div_fmas_f64 v[106:107], v[106:107], v[108:109], v[110:111]
	v_div_fixup_f64 v[121:122], v[106:107], v[104:105], 1.0
	v_mul_f64 v[123:124], v[102:103], -v[121:122]
.LBB76_492:
	s_or_b64 exec, exec, s[18:19]
.LBB76_493:
	s_or_b64 exec, exec, s[0:1]
	v_cmp_ne_u32_e32 vcc, v100, v101
	s_and_saveexec_b64 s[0:1], vcc
	s_xor_b64 s[0:1], exec, s[0:1]
	s_cbranch_execz .LBB76_499
; %bb.494:
	v_cmp_eq_u32_e32 vcc, 23, v100
	s_and_saveexec_b64 s[18:19], vcc
	s_cbranch_execz .LBB76_498
; %bb.495:
	v_cmp_ne_u32_e32 vcc, 23, v101
	s_xor_b64 s[20:21], s[6:7], -1
	s_and_b64 s[22:23], s[20:21], vcc
	s_and_saveexec_b64 s[20:21], s[22:23]
	s_cbranch_execz .LBB76_497
; %bb.496:
	v_ashrrev_i32_e32 v102, 31, v101
	v_lshlrev_b64 v[102:103], 2, v[101:102]
	v_add_co_u32_e32 v102, vcc, v119, v102
	v_addc_co_u32_e32 v103, vcc, v120, v103, vcc
	global_load_dword v0, v[102:103], off
	global_load_dword v100, v[119:120], off offset:92
	s_waitcnt vmcnt(1)
	global_store_dword v[119:120], v0, off offset:92
	s_waitcnt vmcnt(1)
	global_store_dword v[102:103], v100, off
.LBB76_497:
	s_or_b64 exec, exec, s[20:21]
	v_mov_b32_e32 v100, v101
	v_mov_b32_e32 v0, v101
.LBB76_498:
	s_or_b64 exec, exec, s[18:19]
.LBB76_499:
	s_andn2_saveexec_b64 s[0:1], s[0:1]
	s_cbranch_execz .LBB76_501
; %bb.500:
	v_mov_b32_e32 v100, 23
	ds_write2_b64 v98, v[53:54], v[55:56] offset0:48 offset1:49
	ds_write2_b64 v98, v[49:50], v[51:52] offset0:50 offset1:51
	;; [unrolled: 1-line block ×15, first 2 shown]
.LBB76_501:
	s_or_b64 exec, exec, s[0:1]
	v_cmp_lt_i32_e32 vcc, 23, v100
	s_waitcnt vmcnt(0) lgkmcnt(0)
	s_barrier
	s_and_saveexec_b64 s[0:1], vcc
	s_cbranch_execz .LBB76_503
; %bb.502:
	v_mul_f64 v[101:102], v[121:122], v[59:60]
	v_mul_f64 v[59:60], v[123:124], v[59:60]
	ds_read2_b64 v[103:106], v98 offset0:48 offset1:49
	v_fma_f64 v[101:102], v[123:124], v[57:58], v[101:102]
	v_fma_f64 v[57:58], v[121:122], v[57:58], -v[59:60]
	s_waitcnt lgkmcnt(0)
	v_mul_f64 v[59:60], v[105:106], v[101:102]
	v_fma_f64 v[59:60], v[103:104], v[57:58], -v[59:60]
	v_mul_f64 v[103:104], v[103:104], v[101:102]
	v_add_f64 v[53:54], v[53:54], -v[59:60]
	v_fma_f64 v[103:104], v[105:106], v[57:58], v[103:104]
	v_add_f64 v[55:56], v[55:56], -v[103:104]
	ds_read2_b64 v[103:106], v98 offset0:50 offset1:51
	s_waitcnt lgkmcnt(0)
	v_mul_f64 v[59:60], v[105:106], v[101:102]
	v_fma_f64 v[59:60], v[103:104], v[57:58], -v[59:60]
	v_mul_f64 v[103:104], v[103:104], v[101:102]
	v_add_f64 v[49:50], v[49:50], -v[59:60]
	v_fma_f64 v[103:104], v[105:106], v[57:58], v[103:104]
	v_add_f64 v[51:52], v[51:52], -v[103:104]
	ds_read2_b64 v[103:106], v98 offset0:52 offset1:53
	;; [unrolled: 8-line block ×14, first 2 shown]
	s_waitcnt lgkmcnt(0)
	v_mul_f64 v[59:60], v[105:106], v[101:102]
	v_fma_f64 v[59:60], v[103:104], v[57:58], -v[59:60]
	v_mul_f64 v[103:104], v[103:104], v[101:102]
	v_add_f64 v[113:114], v[113:114], -v[59:60]
	v_fma_f64 v[103:104], v[105:106], v[57:58], v[103:104]
	v_mov_b32_e32 v59, v101
	v_mov_b32_e32 v60, v102
	v_add_f64 v[115:116], v[115:116], -v[103:104]
.LBB76_503:
	s_or_b64 exec, exec, s[0:1]
	v_lshl_add_u32 v101, v100, 4, v98
	s_barrier
	ds_write2_b64 v101, v[53:54], v[55:56] offset1:1
	s_waitcnt lgkmcnt(0)
	s_barrier
	ds_read2_b64 v[121:124], v98 offset0:48 offset1:49
	s_cmp_lt_i32 s3, 26
	v_mov_b32_e32 v101, 24
	s_cbranch_scc1 .LBB76_506
; %bb.504:
	v_add_u32_e32 v102, 0x190, v98
	s_mov_b32 s0, 25
	v_mov_b32_e32 v101, 24
.LBB76_505:                             ; =>This Inner Loop Header: Depth=1
	s_waitcnt lgkmcnt(0)
	v_cmp_gt_f64_e32 vcc, 0, v[121:122]
	v_xor_b32_e32 v107, 0x80000000, v122
	ds_read2_b64 v[103:106], v102 offset1:1
	v_xor_b32_e32 v109, 0x80000000, v124
	v_add_u32_e32 v102, 16, v102
	s_waitcnt lgkmcnt(0)
	v_xor_b32_e32 v111, 0x80000000, v106
	v_cndmask_b32_e32 v108, v122, v107, vcc
	v_cmp_gt_f64_e32 vcc, 0, v[123:124]
	v_mov_b32_e32 v107, v121
	v_cndmask_b32_e32 v110, v124, v109, vcc
	v_cmp_gt_f64_e32 vcc, 0, v[103:104]
	v_mov_b32_e32 v109, v123
	v_add_f64 v[107:108], v[107:108], v[109:110]
	v_xor_b32_e32 v109, 0x80000000, v104
	v_cndmask_b32_e32 v110, v104, v109, vcc
	v_cmp_gt_f64_e32 vcc, 0, v[105:106]
	v_mov_b32_e32 v109, v103
	v_cndmask_b32_e32 v112, v106, v111, vcc
	v_mov_b32_e32 v111, v105
	v_add_f64 v[109:110], v[109:110], v[111:112]
	v_cmp_lt_f64_e32 vcc, v[107:108], v[109:110]
	v_cndmask_b32_e32 v121, v121, v103, vcc
	v_mov_b32_e32 v103, s0
	s_add_i32 s0, s0, 1
	v_cndmask_b32_e32 v122, v122, v104, vcc
	v_cndmask_b32_e32 v124, v124, v106, vcc
	;; [unrolled: 1-line block ×4, first 2 shown]
	s_cmp_lg_u32 s3, s0
	s_cbranch_scc1 .LBB76_505
.LBB76_506:
	s_waitcnt lgkmcnt(0)
	v_cmp_eq_f64_e32 vcc, 0, v[121:122]
	v_cmp_eq_f64_e64 s[0:1], 0, v[123:124]
	s_and_b64 s[0:1], vcc, s[0:1]
	s_and_saveexec_b64 s[18:19], s[0:1]
	s_xor_b64 s[0:1], exec, s[18:19]
; %bb.507:
	v_cmp_ne_u32_e32 vcc, 0, v99
	v_cndmask_b32_e32 v99, 25, v99, vcc
; %bb.508:
	s_andn2_saveexec_b64 s[0:1], s[0:1]
	s_cbranch_execz .LBB76_514
; %bb.509:
	v_cmp_ngt_f64_e64 s[18:19], |v[121:122]|, |v[123:124]|
	s_and_saveexec_b64 s[20:21], s[18:19]
	s_xor_b64 s[18:19], exec, s[20:21]
	s_cbranch_execz .LBB76_511
; %bb.510:
	v_div_scale_f64 v[102:103], s[20:21], v[123:124], v[123:124], v[121:122]
	v_rcp_f64_e32 v[104:105], v[102:103]
	v_fma_f64 v[106:107], -v[102:103], v[104:105], 1.0
	v_fma_f64 v[104:105], v[104:105], v[106:107], v[104:105]
	v_div_scale_f64 v[106:107], vcc, v[121:122], v[123:124], v[121:122]
	v_fma_f64 v[108:109], -v[102:103], v[104:105], 1.0
	v_fma_f64 v[104:105], v[104:105], v[108:109], v[104:105]
	v_mul_f64 v[108:109], v[106:107], v[104:105]
	v_fma_f64 v[102:103], -v[102:103], v[108:109], v[106:107]
	v_div_fmas_f64 v[102:103], v[102:103], v[104:105], v[108:109]
	v_div_fixup_f64 v[102:103], v[102:103], v[123:124], v[121:122]
	v_fma_f64 v[104:105], v[121:122], v[102:103], v[123:124]
	v_div_scale_f64 v[106:107], s[20:21], v[104:105], v[104:105], 1.0
	v_div_scale_f64 v[117:118], vcc, 1.0, v[104:105], 1.0
	v_rcp_f64_e32 v[108:109], v[106:107]
	v_fma_f64 v[110:111], -v[106:107], v[108:109], 1.0
	v_fma_f64 v[108:109], v[108:109], v[110:111], v[108:109]
	v_fma_f64 v[110:111], -v[106:107], v[108:109], 1.0
	v_fma_f64 v[108:109], v[108:109], v[110:111], v[108:109]
	v_mul_f64 v[110:111], v[117:118], v[108:109]
	v_fma_f64 v[106:107], -v[106:107], v[110:111], v[117:118]
	v_div_fmas_f64 v[106:107], v[106:107], v[108:109], v[110:111]
	v_div_fixup_f64 v[123:124], v[106:107], v[104:105], 1.0
	v_mul_f64 v[121:122], v[102:103], v[123:124]
	v_xor_b32_e32 v124, 0x80000000, v124
.LBB76_511:
	s_andn2_saveexec_b64 s[18:19], s[18:19]
	s_cbranch_execz .LBB76_513
; %bb.512:
	v_div_scale_f64 v[102:103], s[20:21], v[121:122], v[121:122], v[123:124]
	v_rcp_f64_e32 v[104:105], v[102:103]
	v_fma_f64 v[106:107], -v[102:103], v[104:105], 1.0
	v_fma_f64 v[104:105], v[104:105], v[106:107], v[104:105]
	v_div_scale_f64 v[106:107], vcc, v[123:124], v[121:122], v[123:124]
	v_fma_f64 v[108:109], -v[102:103], v[104:105], 1.0
	v_fma_f64 v[104:105], v[104:105], v[108:109], v[104:105]
	v_mul_f64 v[108:109], v[106:107], v[104:105]
	v_fma_f64 v[102:103], -v[102:103], v[108:109], v[106:107]
	v_div_fmas_f64 v[102:103], v[102:103], v[104:105], v[108:109]
	v_div_fixup_f64 v[102:103], v[102:103], v[121:122], v[123:124]
	v_fma_f64 v[104:105], v[123:124], v[102:103], v[121:122]
	v_div_scale_f64 v[106:107], s[20:21], v[104:105], v[104:105], 1.0
	v_div_scale_f64 v[117:118], vcc, 1.0, v[104:105], 1.0
	v_rcp_f64_e32 v[108:109], v[106:107]
	v_fma_f64 v[110:111], -v[106:107], v[108:109], 1.0
	v_fma_f64 v[108:109], v[108:109], v[110:111], v[108:109]
	v_fma_f64 v[110:111], -v[106:107], v[108:109], 1.0
	v_fma_f64 v[108:109], v[108:109], v[110:111], v[108:109]
	v_mul_f64 v[110:111], v[117:118], v[108:109]
	v_fma_f64 v[106:107], -v[106:107], v[110:111], v[117:118]
	v_div_fmas_f64 v[106:107], v[106:107], v[108:109], v[110:111]
	v_div_fixup_f64 v[121:122], v[106:107], v[104:105], 1.0
	v_mul_f64 v[123:124], v[102:103], -v[121:122]
.LBB76_513:
	s_or_b64 exec, exec, s[18:19]
.LBB76_514:
	s_or_b64 exec, exec, s[0:1]
	v_cmp_ne_u32_e32 vcc, v100, v101
	s_and_saveexec_b64 s[0:1], vcc
	s_xor_b64 s[0:1], exec, s[0:1]
	s_cbranch_execz .LBB76_520
; %bb.515:
	v_cmp_eq_u32_e32 vcc, 24, v100
	s_and_saveexec_b64 s[18:19], vcc
	s_cbranch_execz .LBB76_519
; %bb.516:
	v_cmp_ne_u32_e32 vcc, 24, v101
	s_xor_b64 s[20:21], s[6:7], -1
	s_and_b64 s[22:23], s[20:21], vcc
	s_and_saveexec_b64 s[20:21], s[22:23]
	s_cbranch_execz .LBB76_518
; %bb.517:
	v_ashrrev_i32_e32 v102, 31, v101
	v_lshlrev_b64 v[102:103], 2, v[101:102]
	v_add_co_u32_e32 v102, vcc, v119, v102
	v_addc_co_u32_e32 v103, vcc, v120, v103, vcc
	global_load_dword v0, v[102:103], off
	global_load_dword v100, v[119:120], off offset:96
	s_waitcnt vmcnt(1)
	global_store_dword v[119:120], v0, off offset:96
	s_waitcnt vmcnt(1)
	global_store_dword v[102:103], v100, off
.LBB76_518:
	s_or_b64 exec, exec, s[20:21]
	v_mov_b32_e32 v100, v101
	v_mov_b32_e32 v0, v101
.LBB76_519:
	s_or_b64 exec, exec, s[18:19]
.LBB76_520:
	s_andn2_saveexec_b64 s[0:1], s[0:1]
	s_cbranch_execz .LBB76_522
; %bb.521:
	v_mov_b32_e32 v100, 24
	ds_write2_b64 v98, v[49:50], v[51:52] offset0:50 offset1:51
	ds_write2_b64 v98, v[45:46], v[47:48] offset0:52 offset1:53
	ds_write2_b64 v98, v[41:42], v[43:44] offset0:54 offset1:55
	ds_write2_b64 v98, v[37:38], v[39:40] offset0:56 offset1:57
	ds_write2_b64 v98, v[33:34], v[35:36] offset0:58 offset1:59
	ds_write2_b64 v98, v[29:30], v[31:32] offset0:60 offset1:61
	ds_write2_b64 v98, v[25:26], v[27:28] offset0:62 offset1:63
	ds_write2_b64 v98, v[21:22], v[23:24] offset0:64 offset1:65
	ds_write2_b64 v98, v[17:18], v[19:20] offset0:66 offset1:67
	ds_write2_b64 v98, v[13:14], v[15:16] offset0:68 offset1:69
	ds_write2_b64 v98, v[9:10], v[11:12] offset0:70 offset1:71
	ds_write2_b64 v98, v[5:6], v[7:8] offset0:72 offset1:73
	ds_write2_b64 v98, v[1:2], v[3:4] offset0:74 offset1:75
	ds_write2_b64 v98, v[113:114], v[115:116] offset0:76 offset1:77
.LBB76_522:
	s_or_b64 exec, exec, s[0:1]
	v_cmp_lt_i32_e32 vcc, 24, v100
	s_waitcnt vmcnt(0) lgkmcnt(0)
	s_barrier
	s_and_saveexec_b64 s[0:1], vcc
	s_cbranch_execz .LBB76_524
; %bb.523:
	v_mul_f64 v[101:102], v[121:122], v[55:56]
	v_mul_f64 v[55:56], v[123:124], v[55:56]
	ds_read2_b64 v[103:106], v98 offset0:50 offset1:51
	v_fma_f64 v[101:102], v[123:124], v[53:54], v[101:102]
	v_fma_f64 v[53:54], v[121:122], v[53:54], -v[55:56]
	s_waitcnt lgkmcnt(0)
	v_mul_f64 v[55:56], v[105:106], v[101:102]
	v_fma_f64 v[55:56], v[103:104], v[53:54], -v[55:56]
	v_mul_f64 v[103:104], v[103:104], v[101:102]
	v_add_f64 v[49:50], v[49:50], -v[55:56]
	v_fma_f64 v[103:104], v[105:106], v[53:54], v[103:104]
	v_add_f64 v[51:52], v[51:52], -v[103:104]
	ds_read2_b64 v[103:106], v98 offset0:52 offset1:53
	s_waitcnt lgkmcnt(0)
	v_mul_f64 v[55:56], v[105:106], v[101:102]
	v_fma_f64 v[55:56], v[103:104], v[53:54], -v[55:56]
	v_mul_f64 v[103:104], v[103:104], v[101:102]
	v_add_f64 v[45:46], v[45:46], -v[55:56]
	v_fma_f64 v[103:104], v[105:106], v[53:54], v[103:104]
	v_add_f64 v[47:48], v[47:48], -v[103:104]
	ds_read2_b64 v[103:106], v98 offset0:54 offset1:55
	;; [unrolled: 8-line block ×13, first 2 shown]
	s_waitcnt lgkmcnt(0)
	v_mul_f64 v[55:56], v[105:106], v[101:102]
	v_fma_f64 v[55:56], v[103:104], v[53:54], -v[55:56]
	v_mul_f64 v[103:104], v[103:104], v[101:102]
	v_add_f64 v[113:114], v[113:114], -v[55:56]
	v_fma_f64 v[103:104], v[105:106], v[53:54], v[103:104]
	v_mov_b32_e32 v55, v101
	v_mov_b32_e32 v56, v102
	v_add_f64 v[115:116], v[115:116], -v[103:104]
.LBB76_524:
	s_or_b64 exec, exec, s[0:1]
	v_lshl_add_u32 v101, v100, 4, v98
	s_barrier
	ds_write2_b64 v101, v[49:50], v[51:52] offset1:1
	s_waitcnt lgkmcnt(0)
	s_barrier
	ds_read2_b64 v[121:124], v98 offset0:50 offset1:51
	s_cmp_lt_i32 s3, 27
	v_mov_b32_e32 v101, 25
	s_cbranch_scc1 .LBB76_527
; %bb.525:
	v_add_u32_e32 v102, 0x1a0, v98
	s_mov_b32 s0, 26
	v_mov_b32_e32 v101, 25
.LBB76_526:                             ; =>This Inner Loop Header: Depth=1
	s_waitcnt lgkmcnt(0)
	v_cmp_gt_f64_e32 vcc, 0, v[121:122]
	v_xor_b32_e32 v107, 0x80000000, v122
	ds_read2_b64 v[103:106], v102 offset1:1
	v_xor_b32_e32 v109, 0x80000000, v124
	v_add_u32_e32 v102, 16, v102
	s_waitcnt lgkmcnt(0)
	v_xor_b32_e32 v111, 0x80000000, v106
	v_cndmask_b32_e32 v108, v122, v107, vcc
	v_cmp_gt_f64_e32 vcc, 0, v[123:124]
	v_mov_b32_e32 v107, v121
	v_cndmask_b32_e32 v110, v124, v109, vcc
	v_cmp_gt_f64_e32 vcc, 0, v[103:104]
	v_mov_b32_e32 v109, v123
	v_add_f64 v[107:108], v[107:108], v[109:110]
	v_xor_b32_e32 v109, 0x80000000, v104
	v_cndmask_b32_e32 v110, v104, v109, vcc
	v_cmp_gt_f64_e32 vcc, 0, v[105:106]
	v_mov_b32_e32 v109, v103
	v_cndmask_b32_e32 v112, v106, v111, vcc
	v_mov_b32_e32 v111, v105
	v_add_f64 v[109:110], v[109:110], v[111:112]
	v_cmp_lt_f64_e32 vcc, v[107:108], v[109:110]
	v_cndmask_b32_e32 v121, v121, v103, vcc
	v_mov_b32_e32 v103, s0
	s_add_i32 s0, s0, 1
	v_cndmask_b32_e32 v122, v122, v104, vcc
	v_cndmask_b32_e32 v124, v124, v106, vcc
	;; [unrolled: 1-line block ×4, first 2 shown]
	s_cmp_lg_u32 s3, s0
	s_cbranch_scc1 .LBB76_526
.LBB76_527:
	s_waitcnt lgkmcnt(0)
	v_cmp_eq_f64_e32 vcc, 0, v[121:122]
	v_cmp_eq_f64_e64 s[0:1], 0, v[123:124]
	s_and_b64 s[0:1], vcc, s[0:1]
	s_and_saveexec_b64 s[18:19], s[0:1]
	s_xor_b64 s[0:1], exec, s[18:19]
; %bb.528:
	v_cmp_ne_u32_e32 vcc, 0, v99
	v_cndmask_b32_e32 v99, 26, v99, vcc
; %bb.529:
	s_andn2_saveexec_b64 s[0:1], s[0:1]
	s_cbranch_execz .LBB76_535
; %bb.530:
	v_cmp_ngt_f64_e64 s[18:19], |v[121:122]|, |v[123:124]|
	s_and_saveexec_b64 s[20:21], s[18:19]
	s_xor_b64 s[18:19], exec, s[20:21]
	s_cbranch_execz .LBB76_532
; %bb.531:
	v_div_scale_f64 v[102:103], s[20:21], v[123:124], v[123:124], v[121:122]
	v_rcp_f64_e32 v[104:105], v[102:103]
	v_fma_f64 v[106:107], -v[102:103], v[104:105], 1.0
	v_fma_f64 v[104:105], v[104:105], v[106:107], v[104:105]
	v_div_scale_f64 v[106:107], vcc, v[121:122], v[123:124], v[121:122]
	v_fma_f64 v[108:109], -v[102:103], v[104:105], 1.0
	v_fma_f64 v[104:105], v[104:105], v[108:109], v[104:105]
	v_mul_f64 v[108:109], v[106:107], v[104:105]
	v_fma_f64 v[102:103], -v[102:103], v[108:109], v[106:107]
	v_div_fmas_f64 v[102:103], v[102:103], v[104:105], v[108:109]
	v_div_fixup_f64 v[102:103], v[102:103], v[123:124], v[121:122]
	v_fma_f64 v[104:105], v[121:122], v[102:103], v[123:124]
	v_div_scale_f64 v[106:107], s[20:21], v[104:105], v[104:105], 1.0
	v_div_scale_f64 v[117:118], vcc, 1.0, v[104:105], 1.0
	v_rcp_f64_e32 v[108:109], v[106:107]
	v_fma_f64 v[110:111], -v[106:107], v[108:109], 1.0
	v_fma_f64 v[108:109], v[108:109], v[110:111], v[108:109]
	v_fma_f64 v[110:111], -v[106:107], v[108:109], 1.0
	v_fma_f64 v[108:109], v[108:109], v[110:111], v[108:109]
	v_mul_f64 v[110:111], v[117:118], v[108:109]
	v_fma_f64 v[106:107], -v[106:107], v[110:111], v[117:118]
	v_div_fmas_f64 v[106:107], v[106:107], v[108:109], v[110:111]
	v_div_fixup_f64 v[123:124], v[106:107], v[104:105], 1.0
	v_mul_f64 v[121:122], v[102:103], v[123:124]
	v_xor_b32_e32 v124, 0x80000000, v124
.LBB76_532:
	s_andn2_saveexec_b64 s[18:19], s[18:19]
	s_cbranch_execz .LBB76_534
; %bb.533:
	v_div_scale_f64 v[102:103], s[20:21], v[121:122], v[121:122], v[123:124]
	v_rcp_f64_e32 v[104:105], v[102:103]
	v_fma_f64 v[106:107], -v[102:103], v[104:105], 1.0
	v_fma_f64 v[104:105], v[104:105], v[106:107], v[104:105]
	v_div_scale_f64 v[106:107], vcc, v[123:124], v[121:122], v[123:124]
	v_fma_f64 v[108:109], -v[102:103], v[104:105], 1.0
	v_fma_f64 v[104:105], v[104:105], v[108:109], v[104:105]
	v_mul_f64 v[108:109], v[106:107], v[104:105]
	v_fma_f64 v[102:103], -v[102:103], v[108:109], v[106:107]
	v_div_fmas_f64 v[102:103], v[102:103], v[104:105], v[108:109]
	v_div_fixup_f64 v[102:103], v[102:103], v[121:122], v[123:124]
	v_fma_f64 v[104:105], v[123:124], v[102:103], v[121:122]
	v_div_scale_f64 v[106:107], s[20:21], v[104:105], v[104:105], 1.0
	v_div_scale_f64 v[117:118], vcc, 1.0, v[104:105], 1.0
	v_rcp_f64_e32 v[108:109], v[106:107]
	v_fma_f64 v[110:111], -v[106:107], v[108:109], 1.0
	v_fma_f64 v[108:109], v[108:109], v[110:111], v[108:109]
	v_fma_f64 v[110:111], -v[106:107], v[108:109], 1.0
	v_fma_f64 v[108:109], v[108:109], v[110:111], v[108:109]
	v_mul_f64 v[110:111], v[117:118], v[108:109]
	v_fma_f64 v[106:107], -v[106:107], v[110:111], v[117:118]
	v_div_fmas_f64 v[106:107], v[106:107], v[108:109], v[110:111]
	v_div_fixup_f64 v[121:122], v[106:107], v[104:105], 1.0
	v_mul_f64 v[123:124], v[102:103], -v[121:122]
.LBB76_534:
	s_or_b64 exec, exec, s[18:19]
.LBB76_535:
	s_or_b64 exec, exec, s[0:1]
	v_cmp_ne_u32_e32 vcc, v100, v101
	s_and_saveexec_b64 s[0:1], vcc
	s_xor_b64 s[0:1], exec, s[0:1]
	s_cbranch_execz .LBB76_541
; %bb.536:
	v_cmp_eq_u32_e32 vcc, 25, v100
	s_and_saveexec_b64 s[18:19], vcc
	s_cbranch_execz .LBB76_540
; %bb.537:
	v_cmp_ne_u32_e32 vcc, 25, v101
	s_xor_b64 s[20:21], s[6:7], -1
	s_and_b64 s[22:23], s[20:21], vcc
	s_and_saveexec_b64 s[20:21], s[22:23]
	s_cbranch_execz .LBB76_539
; %bb.538:
	v_ashrrev_i32_e32 v102, 31, v101
	v_lshlrev_b64 v[102:103], 2, v[101:102]
	v_add_co_u32_e32 v102, vcc, v119, v102
	v_addc_co_u32_e32 v103, vcc, v120, v103, vcc
	global_load_dword v0, v[102:103], off
	global_load_dword v100, v[119:120], off offset:100
	s_waitcnt vmcnt(1)
	global_store_dword v[119:120], v0, off offset:100
	s_waitcnt vmcnt(1)
	global_store_dword v[102:103], v100, off
.LBB76_539:
	s_or_b64 exec, exec, s[20:21]
	v_mov_b32_e32 v100, v101
	v_mov_b32_e32 v0, v101
.LBB76_540:
	s_or_b64 exec, exec, s[18:19]
.LBB76_541:
	s_andn2_saveexec_b64 s[0:1], s[0:1]
	s_cbranch_execz .LBB76_543
; %bb.542:
	v_mov_b32_e32 v100, 25
	ds_write2_b64 v98, v[45:46], v[47:48] offset0:52 offset1:53
	ds_write2_b64 v98, v[41:42], v[43:44] offset0:54 offset1:55
	;; [unrolled: 1-line block ×13, first 2 shown]
.LBB76_543:
	s_or_b64 exec, exec, s[0:1]
	v_cmp_lt_i32_e32 vcc, 25, v100
	s_waitcnt vmcnt(0) lgkmcnt(0)
	s_barrier
	s_and_saveexec_b64 s[0:1], vcc
	s_cbranch_execz .LBB76_545
; %bb.544:
	v_mul_f64 v[101:102], v[121:122], v[51:52]
	v_mul_f64 v[51:52], v[123:124], v[51:52]
	ds_read2_b64 v[103:106], v98 offset0:52 offset1:53
	v_fma_f64 v[101:102], v[123:124], v[49:50], v[101:102]
	v_fma_f64 v[49:50], v[121:122], v[49:50], -v[51:52]
	s_waitcnt lgkmcnt(0)
	v_mul_f64 v[51:52], v[105:106], v[101:102]
	v_fma_f64 v[51:52], v[103:104], v[49:50], -v[51:52]
	v_mul_f64 v[103:104], v[103:104], v[101:102]
	v_add_f64 v[45:46], v[45:46], -v[51:52]
	v_fma_f64 v[103:104], v[105:106], v[49:50], v[103:104]
	v_add_f64 v[47:48], v[47:48], -v[103:104]
	ds_read2_b64 v[103:106], v98 offset0:54 offset1:55
	s_waitcnt lgkmcnt(0)
	v_mul_f64 v[51:52], v[105:106], v[101:102]
	v_fma_f64 v[51:52], v[103:104], v[49:50], -v[51:52]
	v_mul_f64 v[103:104], v[103:104], v[101:102]
	v_add_f64 v[41:42], v[41:42], -v[51:52]
	v_fma_f64 v[103:104], v[105:106], v[49:50], v[103:104]
	v_add_f64 v[43:44], v[43:44], -v[103:104]
	ds_read2_b64 v[103:106], v98 offset0:56 offset1:57
	;; [unrolled: 8-line block ×12, first 2 shown]
	s_waitcnt lgkmcnt(0)
	v_mul_f64 v[51:52], v[105:106], v[101:102]
	v_fma_f64 v[51:52], v[103:104], v[49:50], -v[51:52]
	v_mul_f64 v[103:104], v[103:104], v[101:102]
	v_add_f64 v[113:114], v[113:114], -v[51:52]
	v_fma_f64 v[103:104], v[105:106], v[49:50], v[103:104]
	v_mov_b32_e32 v51, v101
	v_mov_b32_e32 v52, v102
	v_add_f64 v[115:116], v[115:116], -v[103:104]
.LBB76_545:
	s_or_b64 exec, exec, s[0:1]
	v_lshl_add_u32 v101, v100, 4, v98
	s_barrier
	ds_write2_b64 v101, v[45:46], v[47:48] offset1:1
	s_waitcnt lgkmcnt(0)
	s_barrier
	ds_read2_b64 v[121:124], v98 offset0:52 offset1:53
	s_cmp_lt_i32 s3, 28
	v_mov_b32_e32 v101, 26
	s_cbranch_scc1 .LBB76_548
; %bb.546:
	v_add_u32_e32 v102, 0x1b0, v98
	s_mov_b32 s0, 27
	v_mov_b32_e32 v101, 26
.LBB76_547:                             ; =>This Inner Loop Header: Depth=1
	s_waitcnt lgkmcnt(0)
	v_cmp_gt_f64_e32 vcc, 0, v[121:122]
	v_xor_b32_e32 v107, 0x80000000, v122
	ds_read2_b64 v[103:106], v102 offset1:1
	v_xor_b32_e32 v109, 0x80000000, v124
	v_add_u32_e32 v102, 16, v102
	s_waitcnt lgkmcnt(0)
	v_xor_b32_e32 v111, 0x80000000, v106
	v_cndmask_b32_e32 v108, v122, v107, vcc
	v_cmp_gt_f64_e32 vcc, 0, v[123:124]
	v_mov_b32_e32 v107, v121
	v_cndmask_b32_e32 v110, v124, v109, vcc
	v_cmp_gt_f64_e32 vcc, 0, v[103:104]
	v_mov_b32_e32 v109, v123
	v_add_f64 v[107:108], v[107:108], v[109:110]
	v_xor_b32_e32 v109, 0x80000000, v104
	v_cndmask_b32_e32 v110, v104, v109, vcc
	v_cmp_gt_f64_e32 vcc, 0, v[105:106]
	v_mov_b32_e32 v109, v103
	v_cndmask_b32_e32 v112, v106, v111, vcc
	v_mov_b32_e32 v111, v105
	v_add_f64 v[109:110], v[109:110], v[111:112]
	v_cmp_lt_f64_e32 vcc, v[107:108], v[109:110]
	v_cndmask_b32_e32 v121, v121, v103, vcc
	v_mov_b32_e32 v103, s0
	s_add_i32 s0, s0, 1
	v_cndmask_b32_e32 v122, v122, v104, vcc
	v_cndmask_b32_e32 v124, v124, v106, vcc
	;; [unrolled: 1-line block ×4, first 2 shown]
	s_cmp_lg_u32 s3, s0
	s_cbranch_scc1 .LBB76_547
.LBB76_548:
	s_waitcnt lgkmcnt(0)
	v_cmp_eq_f64_e32 vcc, 0, v[121:122]
	v_cmp_eq_f64_e64 s[0:1], 0, v[123:124]
	s_and_b64 s[0:1], vcc, s[0:1]
	s_and_saveexec_b64 s[18:19], s[0:1]
	s_xor_b64 s[0:1], exec, s[18:19]
; %bb.549:
	v_cmp_ne_u32_e32 vcc, 0, v99
	v_cndmask_b32_e32 v99, 27, v99, vcc
; %bb.550:
	s_andn2_saveexec_b64 s[0:1], s[0:1]
	s_cbranch_execz .LBB76_556
; %bb.551:
	v_cmp_ngt_f64_e64 s[18:19], |v[121:122]|, |v[123:124]|
	s_and_saveexec_b64 s[20:21], s[18:19]
	s_xor_b64 s[18:19], exec, s[20:21]
	s_cbranch_execz .LBB76_553
; %bb.552:
	v_div_scale_f64 v[102:103], s[20:21], v[123:124], v[123:124], v[121:122]
	v_rcp_f64_e32 v[104:105], v[102:103]
	v_fma_f64 v[106:107], -v[102:103], v[104:105], 1.0
	v_fma_f64 v[104:105], v[104:105], v[106:107], v[104:105]
	v_div_scale_f64 v[106:107], vcc, v[121:122], v[123:124], v[121:122]
	v_fma_f64 v[108:109], -v[102:103], v[104:105], 1.0
	v_fma_f64 v[104:105], v[104:105], v[108:109], v[104:105]
	v_mul_f64 v[108:109], v[106:107], v[104:105]
	v_fma_f64 v[102:103], -v[102:103], v[108:109], v[106:107]
	v_div_fmas_f64 v[102:103], v[102:103], v[104:105], v[108:109]
	v_div_fixup_f64 v[102:103], v[102:103], v[123:124], v[121:122]
	v_fma_f64 v[104:105], v[121:122], v[102:103], v[123:124]
	v_div_scale_f64 v[106:107], s[20:21], v[104:105], v[104:105], 1.0
	v_div_scale_f64 v[117:118], vcc, 1.0, v[104:105], 1.0
	v_rcp_f64_e32 v[108:109], v[106:107]
	v_fma_f64 v[110:111], -v[106:107], v[108:109], 1.0
	v_fma_f64 v[108:109], v[108:109], v[110:111], v[108:109]
	v_fma_f64 v[110:111], -v[106:107], v[108:109], 1.0
	v_fma_f64 v[108:109], v[108:109], v[110:111], v[108:109]
	v_mul_f64 v[110:111], v[117:118], v[108:109]
	v_fma_f64 v[106:107], -v[106:107], v[110:111], v[117:118]
	v_div_fmas_f64 v[106:107], v[106:107], v[108:109], v[110:111]
	v_div_fixup_f64 v[123:124], v[106:107], v[104:105], 1.0
	v_mul_f64 v[121:122], v[102:103], v[123:124]
	v_xor_b32_e32 v124, 0x80000000, v124
.LBB76_553:
	s_andn2_saveexec_b64 s[18:19], s[18:19]
	s_cbranch_execz .LBB76_555
; %bb.554:
	v_div_scale_f64 v[102:103], s[20:21], v[121:122], v[121:122], v[123:124]
	v_rcp_f64_e32 v[104:105], v[102:103]
	v_fma_f64 v[106:107], -v[102:103], v[104:105], 1.0
	v_fma_f64 v[104:105], v[104:105], v[106:107], v[104:105]
	v_div_scale_f64 v[106:107], vcc, v[123:124], v[121:122], v[123:124]
	v_fma_f64 v[108:109], -v[102:103], v[104:105], 1.0
	v_fma_f64 v[104:105], v[104:105], v[108:109], v[104:105]
	v_mul_f64 v[108:109], v[106:107], v[104:105]
	v_fma_f64 v[102:103], -v[102:103], v[108:109], v[106:107]
	v_div_fmas_f64 v[102:103], v[102:103], v[104:105], v[108:109]
	v_div_fixup_f64 v[102:103], v[102:103], v[121:122], v[123:124]
	v_fma_f64 v[104:105], v[123:124], v[102:103], v[121:122]
	v_div_scale_f64 v[106:107], s[20:21], v[104:105], v[104:105], 1.0
	v_div_scale_f64 v[117:118], vcc, 1.0, v[104:105], 1.0
	v_rcp_f64_e32 v[108:109], v[106:107]
	v_fma_f64 v[110:111], -v[106:107], v[108:109], 1.0
	v_fma_f64 v[108:109], v[108:109], v[110:111], v[108:109]
	v_fma_f64 v[110:111], -v[106:107], v[108:109], 1.0
	v_fma_f64 v[108:109], v[108:109], v[110:111], v[108:109]
	v_mul_f64 v[110:111], v[117:118], v[108:109]
	v_fma_f64 v[106:107], -v[106:107], v[110:111], v[117:118]
	v_div_fmas_f64 v[106:107], v[106:107], v[108:109], v[110:111]
	v_div_fixup_f64 v[121:122], v[106:107], v[104:105], 1.0
	v_mul_f64 v[123:124], v[102:103], -v[121:122]
.LBB76_555:
	s_or_b64 exec, exec, s[18:19]
.LBB76_556:
	s_or_b64 exec, exec, s[0:1]
	v_cmp_ne_u32_e32 vcc, v100, v101
	s_and_saveexec_b64 s[0:1], vcc
	s_xor_b64 s[0:1], exec, s[0:1]
	s_cbranch_execz .LBB76_562
; %bb.557:
	v_cmp_eq_u32_e32 vcc, 26, v100
	s_and_saveexec_b64 s[18:19], vcc
	s_cbranch_execz .LBB76_561
; %bb.558:
	v_cmp_ne_u32_e32 vcc, 26, v101
	s_xor_b64 s[20:21], s[6:7], -1
	s_and_b64 s[22:23], s[20:21], vcc
	s_and_saveexec_b64 s[20:21], s[22:23]
	s_cbranch_execz .LBB76_560
; %bb.559:
	v_ashrrev_i32_e32 v102, 31, v101
	v_lshlrev_b64 v[102:103], 2, v[101:102]
	v_add_co_u32_e32 v102, vcc, v119, v102
	v_addc_co_u32_e32 v103, vcc, v120, v103, vcc
	global_load_dword v0, v[102:103], off
	global_load_dword v100, v[119:120], off offset:104
	s_waitcnt vmcnt(1)
	global_store_dword v[119:120], v0, off offset:104
	s_waitcnt vmcnt(1)
	global_store_dword v[102:103], v100, off
.LBB76_560:
	s_or_b64 exec, exec, s[20:21]
	v_mov_b32_e32 v100, v101
	v_mov_b32_e32 v0, v101
.LBB76_561:
	s_or_b64 exec, exec, s[18:19]
.LBB76_562:
	s_andn2_saveexec_b64 s[0:1], s[0:1]
	s_cbranch_execz .LBB76_564
; %bb.563:
	v_mov_b32_e32 v100, 26
	ds_write2_b64 v98, v[41:42], v[43:44] offset0:54 offset1:55
	ds_write2_b64 v98, v[37:38], v[39:40] offset0:56 offset1:57
	;; [unrolled: 1-line block ×12, first 2 shown]
.LBB76_564:
	s_or_b64 exec, exec, s[0:1]
	v_cmp_lt_i32_e32 vcc, 26, v100
	s_waitcnt vmcnt(0) lgkmcnt(0)
	s_barrier
	s_and_saveexec_b64 s[0:1], vcc
	s_cbranch_execz .LBB76_566
; %bb.565:
	v_mul_f64 v[101:102], v[121:122], v[47:48]
	v_mul_f64 v[47:48], v[123:124], v[47:48]
	ds_read2_b64 v[103:106], v98 offset0:54 offset1:55
	v_fma_f64 v[101:102], v[123:124], v[45:46], v[101:102]
	v_fma_f64 v[45:46], v[121:122], v[45:46], -v[47:48]
	s_waitcnt lgkmcnt(0)
	v_mul_f64 v[47:48], v[105:106], v[101:102]
	v_fma_f64 v[47:48], v[103:104], v[45:46], -v[47:48]
	v_mul_f64 v[103:104], v[103:104], v[101:102]
	v_add_f64 v[41:42], v[41:42], -v[47:48]
	v_fma_f64 v[103:104], v[105:106], v[45:46], v[103:104]
	v_add_f64 v[43:44], v[43:44], -v[103:104]
	ds_read2_b64 v[103:106], v98 offset0:56 offset1:57
	s_waitcnt lgkmcnt(0)
	v_mul_f64 v[47:48], v[105:106], v[101:102]
	v_fma_f64 v[47:48], v[103:104], v[45:46], -v[47:48]
	v_mul_f64 v[103:104], v[103:104], v[101:102]
	v_add_f64 v[37:38], v[37:38], -v[47:48]
	v_fma_f64 v[103:104], v[105:106], v[45:46], v[103:104]
	v_add_f64 v[39:40], v[39:40], -v[103:104]
	ds_read2_b64 v[103:106], v98 offset0:58 offset1:59
	;; [unrolled: 8-line block ×11, first 2 shown]
	s_waitcnt lgkmcnt(0)
	v_mul_f64 v[47:48], v[105:106], v[101:102]
	v_fma_f64 v[47:48], v[103:104], v[45:46], -v[47:48]
	v_mul_f64 v[103:104], v[103:104], v[101:102]
	v_add_f64 v[113:114], v[113:114], -v[47:48]
	v_fma_f64 v[103:104], v[105:106], v[45:46], v[103:104]
	v_mov_b32_e32 v47, v101
	v_mov_b32_e32 v48, v102
	v_add_f64 v[115:116], v[115:116], -v[103:104]
.LBB76_566:
	s_or_b64 exec, exec, s[0:1]
	v_lshl_add_u32 v101, v100, 4, v98
	s_barrier
	ds_write2_b64 v101, v[41:42], v[43:44] offset1:1
	s_waitcnt lgkmcnt(0)
	s_barrier
	ds_read2_b64 v[121:124], v98 offset0:54 offset1:55
	s_cmp_lt_i32 s3, 29
	v_mov_b32_e32 v101, 27
	s_cbranch_scc1 .LBB76_569
; %bb.567:
	v_add_u32_e32 v102, 0x1c0, v98
	s_mov_b32 s0, 28
	v_mov_b32_e32 v101, 27
.LBB76_568:                             ; =>This Inner Loop Header: Depth=1
	s_waitcnt lgkmcnt(0)
	v_cmp_gt_f64_e32 vcc, 0, v[121:122]
	v_xor_b32_e32 v107, 0x80000000, v122
	ds_read2_b64 v[103:106], v102 offset1:1
	v_xor_b32_e32 v109, 0x80000000, v124
	v_add_u32_e32 v102, 16, v102
	s_waitcnt lgkmcnt(0)
	v_xor_b32_e32 v111, 0x80000000, v106
	v_cndmask_b32_e32 v108, v122, v107, vcc
	v_cmp_gt_f64_e32 vcc, 0, v[123:124]
	v_mov_b32_e32 v107, v121
	v_cndmask_b32_e32 v110, v124, v109, vcc
	v_cmp_gt_f64_e32 vcc, 0, v[103:104]
	v_mov_b32_e32 v109, v123
	v_add_f64 v[107:108], v[107:108], v[109:110]
	v_xor_b32_e32 v109, 0x80000000, v104
	v_cndmask_b32_e32 v110, v104, v109, vcc
	v_cmp_gt_f64_e32 vcc, 0, v[105:106]
	v_mov_b32_e32 v109, v103
	v_cndmask_b32_e32 v112, v106, v111, vcc
	v_mov_b32_e32 v111, v105
	v_add_f64 v[109:110], v[109:110], v[111:112]
	v_cmp_lt_f64_e32 vcc, v[107:108], v[109:110]
	v_cndmask_b32_e32 v121, v121, v103, vcc
	v_mov_b32_e32 v103, s0
	s_add_i32 s0, s0, 1
	v_cndmask_b32_e32 v122, v122, v104, vcc
	v_cndmask_b32_e32 v124, v124, v106, vcc
	;; [unrolled: 1-line block ×4, first 2 shown]
	s_cmp_lg_u32 s3, s0
	s_cbranch_scc1 .LBB76_568
.LBB76_569:
	s_waitcnt lgkmcnt(0)
	v_cmp_eq_f64_e32 vcc, 0, v[121:122]
	v_cmp_eq_f64_e64 s[0:1], 0, v[123:124]
	s_and_b64 s[0:1], vcc, s[0:1]
	s_and_saveexec_b64 s[18:19], s[0:1]
	s_xor_b64 s[0:1], exec, s[18:19]
; %bb.570:
	v_cmp_ne_u32_e32 vcc, 0, v99
	v_cndmask_b32_e32 v99, 28, v99, vcc
; %bb.571:
	s_andn2_saveexec_b64 s[0:1], s[0:1]
	s_cbranch_execz .LBB76_577
; %bb.572:
	v_cmp_ngt_f64_e64 s[18:19], |v[121:122]|, |v[123:124]|
	s_and_saveexec_b64 s[20:21], s[18:19]
	s_xor_b64 s[18:19], exec, s[20:21]
	s_cbranch_execz .LBB76_574
; %bb.573:
	v_div_scale_f64 v[102:103], s[20:21], v[123:124], v[123:124], v[121:122]
	v_rcp_f64_e32 v[104:105], v[102:103]
	v_fma_f64 v[106:107], -v[102:103], v[104:105], 1.0
	v_fma_f64 v[104:105], v[104:105], v[106:107], v[104:105]
	v_div_scale_f64 v[106:107], vcc, v[121:122], v[123:124], v[121:122]
	v_fma_f64 v[108:109], -v[102:103], v[104:105], 1.0
	v_fma_f64 v[104:105], v[104:105], v[108:109], v[104:105]
	v_mul_f64 v[108:109], v[106:107], v[104:105]
	v_fma_f64 v[102:103], -v[102:103], v[108:109], v[106:107]
	v_div_fmas_f64 v[102:103], v[102:103], v[104:105], v[108:109]
	v_div_fixup_f64 v[102:103], v[102:103], v[123:124], v[121:122]
	v_fma_f64 v[104:105], v[121:122], v[102:103], v[123:124]
	v_div_scale_f64 v[106:107], s[20:21], v[104:105], v[104:105], 1.0
	v_div_scale_f64 v[117:118], vcc, 1.0, v[104:105], 1.0
	v_rcp_f64_e32 v[108:109], v[106:107]
	v_fma_f64 v[110:111], -v[106:107], v[108:109], 1.0
	v_fma_f64 v[108:109], v[108:109], v[110:111], v[108:109]
	v_fma_f64 v[110:111], -v[106:107], v[108:109], 1.0
	v_fma_f64 v[108:109], v[108:109], v[110:111], v[108:109]
	v_mul_f64 v[110:111], v[117:118], v[108:109]
	v_fma_f64 v[106:107], -v[106:107], v[110:111], v[117:118]
	v_div_fmas_f64 v[106:107], v[106:107], v[108:109], v[110:111]
	v_div_fixup_f64 v[123:124], v[106:107], v[104:105], 1.0
	v_mul_f64 v[121:122], v[102:103], v[123:124]
	v_xor_b32_e32 v124, 0x80000000, v124
.LBB76_574:
	s_andn2_saveexec_b64 s[18:19], s[18:19]
	s_cbranch_execz .LBB76_576
; %bb.575:
	v_div_scale_f64 v[102:103], s[20:21], v[121:122], v[121:122], v[123:124]
	v_rcp_f64_e32 v[104:105], v[102:103]
	v_fma_f64 v[106:107], -v[102:103], v[104:105], 1.0
	v_fma_f64 v[104:105], v[104:105], v[106:107], v[104:105]
	v_div_scale_f64 v[106:107], vcc, v[123:124], v[121:122], v[123:124]
	v_fma_f64 v[108:109], -v[102:103], v[104:105], 1.0
	v_fma_f64 v[104:105], v[104:105], v[108:109], v[104:105]
	v_mul_f64 v[108:109], v[106:107], v[104:105]
	v_fma_f64 v[102:103], -v[102:103], v[108:109], v[106:107]
	v_div_fmas_f64 v[102:103], v[102:103], v[104:105], v[108:109]
	v_div_fixup_f64 v[102:103], v[102:103], v[121:122], v[123:124]
	v_fma_f64 v[104:105], v[123:124], v[102:103], v[121:122]
	v_div_scale_f64 v[106:107], s[20:21], v[104:105], v[104:105], 1.0
	v_div_scale_f64 v[117:118], vcc, 1.0, v[104:105], 1.0
	v_rcp_f64_e32 v[108:109], v[106:107]
	v_fma_f64 v[110:111], -v[106:107], v[108:109], 1.0
	v_fma_f64 v[108:109], v[108:109], v[110:111], v[108:109]
	v_fma_f64 v[110:111], -v[106:107], v[108:109], 1.0
	v_fma_f64 v[108:109], v[108:109], v[110:111], v[108:109]
	v_mul_f64 v[110:111], v[117:118], v[108:109]
	v_fma_f64 v[106:107], -v[106:107], v[110:111], v[117:118]
	v_div_fmas_f64 v[106:107], v[106:107], v[108:109], v[110:111]
	v_div_fixup_f64 v[121:122], v[106:107], v[104:105], 1.0
	v_mul_f64 v[123:124], v[102:103], -v[121:122]
.LBB76_576:
	s_or_b64 exec, exec, s[18:19]
.LBB76_577:
	s_or_b64 exec, exec, s[0:1]
	v_cmp_ne_u32_e32 vcc, v100, v101
	s_and_saveexec_b64 s[0:1], vcc
	s_xor_b64 s[0:1], exec, s[0:1]
	s_cbranch_execz .LBB76_583
; %bb.578:
	v_cmp_eq_u32_e32 vcc, 27, v100
	s_and_saveexec_b64 s[18:19], vcc
	s_cbranch_execz .LBB76_582
; %bb.579:
	v_cmp_ne_u32_e32 vcc, 27, v101
	s_xor_b64 s[20:21], s[6:7], -1
	s_and_b64 s[22:23], s[20:21], vcc
	s_and_saveexec_b64 s[20:21], s[22:23]
	s_cbranch_execz .LBB76_581
; %bb.580:
	v_ashrrev_i32_e32 v102, 31, v101
	v_lshlrev_b64 v[102:103], 2, v[101:102]
	v_add_co_u32_e32 v102, vcc, v119, v102
	v_addc_co_u32_e32 v103, vcc, v120, v103, vcc
	global_load_dword v0, v[102:103], off
	global_load_dword v100, v[119:120], off offset:108
	s_waitcnt vmcnt(1)
	global_store_dword v[119:120], v0, off offset:108
	s_waitcnt vmcnt(1)
	global_store_dword v[102:103], v100, off
.LBB76_581:
	s_or_b64 exec, exec, s[20:21]
	v_mov_b32_e32 v100, v101
	v_mov_b32_e32 v0, v101
.LBB76_582:
	s_or_b64 exec, exec, s[18:19]
.LBB76_583:
	s_andn2_saveexec_b64 s[0:1], s[0:1]
	s_cbranch_execz .LBB76_585
; %bb.584:
	v_mov_b32_e32 v100, 27
	ds_write2_b64 v98, v[37:38], v[39:40] offset0:56 offset1:57
	ds_write2_b64 v98, v[33:34], v[35:36] offset0:58 offset1:59
	;; [unrolled: 1-line block ×11, first 2 shown]
.LBB76_585:
	s_or_b64 exec, exec, s[0:1]
	v_cmp_lt_i32_e32 vcc, 27, v100
	s_waitcnt vmcnt(0) lgkmcnt(0)
	s_barrier
	s_and_saveexec_b64 s[0:1], vcc
	s_cbranch_execz .LBB76_587
; %bb.586:
	v_mul_f64 v[101:102], v[121:122], v[43:44]
	v_mul_f64 v[43:44], v[123:124], v[43:44]
	ds_read2_b64 v[103:106], v98 offset0:56 offset1:57
	v_fma_f64 v[101:102], v[123:124], v[41:42], v[101:102]
	v_fma_f64 v[41:42], v[121:122], v[41:42], -v[43:44]
	s_waitcnt lgkmcnt(0)
	v_mul_f64 v[43:44], v[105:106], v[101:102]
	v_fma_f64 v[43:44], v[103:104], v[41:42], -v[43:44]
	v_mul_f64 v[103:104], v[103:104], v[101:102]
	v_add_f64 v[37:38], v[37:38], -v[43:44]
	v_fma_f64 v[103:104], v[105:106], v[41:42], v[103:104]
	v_add_f64 v[39:40], v[39:40], -v[103:104]
	ds_read2_b64 v[103:106], v98 offset0:58 offset1:59
	s_waitcnt lgkmcnt(0)
	v_mul_f64 v[43:44], v[105:106], v[101:102]
	v_fma_f64 v[43:44], v[103:104], v[41:42], -v[43:44]
	v_mul_f64 v[103:104], v[103:104], v[101:102]
	v_add_f64 v[33:34], v[33:34], -v[43:44]
	v_fma_f64 v[103:104], v[105:106], v[41:42], v[103:104]
	v_add_f64 v[35:36], v[35:36], -v[103:104]
	ds_read2_b64 v[103:106], v98 offset0:60 offset1:61
	;; [unrolled: 8-line block ×10, first 2 shown]
	s_waitcnt lgkmcnt(0)
	v_mul_f64 v[43:44], v[105:106], v[101:102]
	v_fma_f64 v[43:44], v[103:104], v[41:42], -v[43:44]
	v_mul_f64 v[103:104], v[103:104], v[101:102]
	v_add_f64 v[113:114], v[113:114], -v[43:44]
	v_fma_f64 v[103:104], v[105:106], v[41:42], v[103:104]
	v_mov_b32_e32 v43, v101
	v_mov_b32_e32 v44, v102
	v_add_f64 v[115:116], v[115:116], -v[103:104]
.LBB76_587:
	s_or_b64 exec, exec, s[0:1]
	v_lshl_add_u32 v101, v100, 4, v98
	s_barrier
	ds_write2_b64 v101, v[37:38], v[39:40] offset1:1
	s_waitcnt lgkmcnt(0)
	s_barrier
	ds_read2_b64 v[121:124], v98 offset0:56 offset1:57
	s_cmp_lt_i32 s3, 30
	v_mov_b32_e32 v101, 28
	s_cbranch_scc1 .LBB76_590
; %bb.588:
	v_add_u32_e32 v102, 0x1d0, v98
	s_mov_b32 s0, 29
	v_mov_b32_e32 v101, 28
.LBB76_589:                             ; =>This Inner Loop Header: Depth=1
	s_waitcnt lgkmcnt(0)
	v_cmp_gt_f64_e32 vcc, 0, v[121:122]
	v_xor_b32_e32 v107, 0x80000000, v122
	ds_read2_b64 v[103:106], v102 offset1:1
	v_xor_b32_e32 v109, 0x80000000, v124
	v_add_u32_e32 v102, 16, v102
	s_waitcnt lgkmcnt(0)
	v_xor_b32_e32 v111, 0x80000000, v106
	v_cndmask_b32_e32 v108, v122, v107, vcc
	v_cmp_gt_f64_e32 vcc, 0, v[123:124]
	v_mov_b32_e32 v107, v121
	v_cndmask_b32_e32 v110, v124, v109, vcc
	v_cmp_gt_f64_e32 vcc, 0, v[103:104]
	v_mov_b32_e32 v109, v123
	v_add_f64 v[107:108], v[107:108], v[109:110]
	v_xor_b32_e32 v109, 0x80000000, v104
	v_cndmask_b32_e32 v110, v104, v109, vcc
	v_cmp_gt_f64_e32 vcc, 0, v[105:106]
	v_mov_b32_e32 v109, v103
	v_cndmask_b32_e32 v112, v106, v111, vcc
	v_mov_b32_e32 v111, v105
	v_add_f64 v[109:110], v[109:110], v[111:112]
	v_cmp_lt_f64_e32 vcc, v[107:108], v[109:110]
	v_cndmask_b32_e32 v121, v121, v103, vcc
	v_mov_b32_e32 v103, s0
	s_add_i32 s0, s0, 1
	v_cndmask_b32_e32 v122, v122, v104, vcc
	v_cndmask_b32_e32 v124, v124, v106, vcc
	v_cndmask_b32_e32 v123, v123, v105, vcc
	v_cndmask_b32_e32 v101, v101, v103, vcc
	s_cmp_lg_u32 s3, s0
	s_cbranch_scc1 .LBB76_589
.LBB76_590:
	s_waitcnt lgkmcnt(0)
	v_cmp_eq_f64_e32 vcc, 0, v[121:122]
	v_cmp_eq_f64_e64 s[0:1], 0, v[123:124]
	s_and_b64 s[0:1], vcc, s[0:1]
	s_and_saveexec_b64 s[18:19], s[0:1]
	s_xor_b64 s[0:1], exec, s[18:19]
; %bb.591:
	v_cmp_ne_u32_e32 vcc, 0, v99
	v_cndmask_b32_e32 v99, 29, v99, vcc
; %bb.592:
	s_andn2_saveexec_b64 s[0:1], s[0:1]
	s_cbranch_execz .LBB76_598
; %bb.593:
	v_cmp_ngt_f64_e64 s[18:19], |v[121:122]|, |v[123:124]|
	s_and_saveexec_b64 s[20:21], s[18:19]
	s_xor_b64 s[18:19], exec, s[20:21]
	s_cbranch_execz .LBB76_595
; %bb.594:
	v_div_scale_f64 v[102:103], s[20:21], v[123:124], v[123:124], v[121:122]
	v_rcp_f64_e32 v[104:105], v[102:103]
	v_fma_f64 v[106:107], -v[102:103], v[104:105], 1.0
	v_fma_f64 v[104:105], v[104:105], v[106:107], v[104:105]
	v_div_scale_f64 v[106:107], vcc, v[121:122], v[123:124], v[121:122]
	v_fma_f64 v[108:109], -v[102:103], v[104:105], 1.0
	v_fma_f64 v[104:105], v[104:105], v[108:109], v[104:105]
	v_mul_f64 v[108:109], v[106:107], v[104:105]
	v_fma_f64 v[102:103], -v[102:103], v[108:109], v[106:107]
	v_div_fmas_f64 v[102:103], v[102:103], v[104:105], v[108:109]
	v_div_fixup_f64 v[102:103], v[102:103], v[123:124], v[121:122]
	v_fma_f64 v[104:105], v[121:122], v[102:103], v[123:124]
	v_div_scale_f64 v[106:107], s[20:21], v[104:105], v[104:105], 1.0
	v_div_scale_f64 v[117:118], vcc, 1.0, v[104:105], 1.0
	v_rcp_f64_e32 v[108:109], v[106:107]
	v_fma_f64 v[110:111], -v[106:107], v[108:109], 1.0
	v_fma_f64 v[108:109], v[108:109], v[110:111], v[108:109]
	v_fma_f64 v[110:111], -v[106:107], v[108:109], 1.0
	v_fma_f64 v[108:109], v[108:109], v[110:111], v[108:109]
	v_mul_f64 v[110:111], v[117:118], v[108:109]
	v_fma_f64 v[106:107], -v[106:107], v[110:111], v[117:118]
	v_div_fmas_f64 v[106:107], v[106:107], v[108:109], v[110:111]
	v_div_fixup_f64 v[123:124], v[106:107], v[104:105], 1.0
	v_mul_f64 v[121:122], v[102:103], v[123:124]
	v_xor_b32_e32 v124, 0x80000000, v124
.LBB76_595:
	s_andn2_saveexec_b64 s[18:19], s[18:19]
	s_cbranch_execz .LBB76_597
; %bb.596:
	v_div_scale_f64 v[102:103], s[20:21], v[121:122], v[121:122], v[123:124]
	v_rcp_f64_e32 v[104:105], v[102:103]
	v_fma_f64 v[106:107], -v[102:103], v[104:105], 1.0
	v_fma_f64 v[104:105], v[104:105], v[106:107], v[104:105]
	v_div_scale_f64 v[106:107], vcc, v[123:124], v[121:122], v[123:124]
	v_fma_f64 v[108:109], -v[102:103], v[104:105], 1.0
	v_fma_f64 v[104:105], v[104:105], v[108:109], v[104:105]
	v_mul_f64 v[108:109], v[106:107], v[104:105]
	v_fma_f64 v[102:103], -v[102:103], v[108:109], v[106:107]
	v_div_fmas_f64 v[102:103], v[102:103], v[104:105], v[108:109]
	v_div_fixup_f64 v[102:103], v[102:103], v[121:122], v[123:124]
	v_fma_f64 v[104:105], v[123:124], v[102:103], v[121:122]
	v_div_scale_f64 v[106:107], s[20:21], v[104:105], v[104:105], 1.0
	v_div_scale_f64 v[117:118], vcc, 1.0, v[104:105], 1.0
	v_rcp_f64_e32 v[108:109], v[106:107]
	v_fma_f64 v[110:111], -v[106:107], v[108:109], 1.0
	v_fma_f64 v[108:109], v[108:109], v[110:111], v[108:109]
	v_fma_f64 v[110:111], -v[106:107], v[108:109], 1.0
	v_fma_f64 v[108:109], v[108:109], v[110:111], v[108:109]
	v_mul_f64 v[110:111], v[117:118], v[108:109]
	v_fma_f64 v[106:107], -v[106:107], v[110:111], v[117:118]
	v_div_fmas_f64 v[106:107], v[106:107], v[108:109], v[110:111]
	v_div_fixup_f64 v[121:122], v[106:107], v[104:105], 1.0
	v_mul_f64 v[123:124], v[102:103], -v[121:122]
.LBB76_597:
	s_or_b64 exec, exec, s[18:19]
.LBB76_598:
	s_or_b64 exec, exec, s[0:1]
	v_cmp_ne_u32_e32 vcc, v100, v101
	s_and_saveexec_b64 s[0:1], vcc
	s_xor_b64 s[0:1], exec, s[0:1]
	s_cbranch_execz .LBB76_604
; %bb.599:
	v_cmp_eq_u32_e32 vcc, 28, v100
	s_and_saveexec_b64 s[18:19], vcc
	s_cbranch_execz .LBB76_603
; %bb.600:
	v_cmp_ne_u32_e32 vcc, 28, v101
	s_xor_b64 s[20:21], s[6:7], -1
	s_and_b64 s[22:23], s[20:21], vcc
	s_and_saveexec_b64 s[20:21], s[22:23]
	s_cbranch_execz .LBB76_602
; %bb.601:
	v_ashrrev_i32_e32 v102, 31, v101
	v_lshlrev_b64 v[102:103], 2, v[101:102]
	v_add_co_u32_e32 v102, vcc, v119, v102
	v_addc_co_u32_e32 v103, vcc, v120, v103, vcc
	global_load_dword v0, v[102:103], off
	global_load_dword v100, v[119:120], off offset:112
	s_waitcnt vmcnt(1)
	global_store_dword v[119:120], v0, off offset:112
	s_waitcnt vmcnt(1)
	global_store_dword v[102:103], v100, off
.LBB76_602:
	s_or_b64 exec, exec, s[20:21]
	v_mov_b32_e32 v100, v101
	v_mov_b32_e32 v0, v101
.LBB76_603:
	s_or_b64 exec, exec, s[18:19]
.LBB76_604:
	s_andn2_saveexec_b64 s[0:1], s[0:1]
	s_cbranch_execz .LBB76_606
; %bb.605:
	v_mov_b32_e32 v100, 28
	ds_write2_b64 v98, v[33:34], v[35:36] offset0:58 offset1:59
	ds_write2_b64 v98, v[29:30], v[31:32] offset0:60 offset1:61
	;; [unrolled: 1-line block ×10, first 2 shown]
.LBB76_606:
	s_or_b64 exec, exec, s[0:1]
	v_cmp_lt_i32_e32 vcc, 28, v100
	s_waitcnt vmcnt(0) lgkmcnt(0)
	s_barrier
	s_and_saveexec_b64 s[0:1], vcc
	s_cbranch_execz .LBB76_608
; %bb.607:
	v_mul_f64 v[101:102], v[121:122], v[39:40]
	v_mul_f64 v[39:40], v[123:124], v[39:40]
	ds_read2_b64 v[103:106], v98 offset0:58 offset1:59
	v_fma_f64 v[101:102], v[123:124], v[37:38], v[101:102]
	v_fma_f64 v[37:38], v[121:122], v[37:38], -v[39:40]
	s_waitcnt lgkmcnt(0)
	v_mul_f64 v[39:40], v[105:106], v[101:102]
	v_fma_f64 v[39:40], v[103:104], v[37:38], -v[39:40]
	v_mul_f64 v[103:104], v[103:104], v[101:102]
	v_add_f64 v[33:34], v[33:34], -v[39:40]
	v_fma_f64 v[103:104], v[105:106], v[37:38], v[103:104]
	v_add_f64 v[35:36], v[35:36], -v[103:104]
	ds_read2_b64 v[103:106], v98 offset0:60 offset1:61
	s_waitcnt lgkmcnt(0)
	v_mul_f64 v[39:40], v[105:106], v[101:102]
	v_fma_f64 v[39:40], v[103:104], v[37:38], -v[39:40]
	v_mul_f64 v[103:104], v[103:104], v[101:102]
	v_add_f64 v[29:30], v[29:30], -v[39:40]
	v_fma_f64 v[103:104], v[105:106], v[37:38], v[103:104]
	v_add_f64 v[31:32], v[31:32], -v[103:104]
	ds_read2_b64 v[103:106], v98 offset0:62 offset1:63
	;; [unrolled: 8-line block ×9, first 2 shown]
	s_waitcnt lgkmcnt(0)
	v_mul_f64 v[39:40], v[105:106], v[101:102]
	v_fma_f64 v[39:40], v[103:104], v[37:38], -v[39:40]
	v_mul_f64 v[103:104], v[103:104], v[101:102]
	v_add_f64 v[113:114], v[113:114], -v[39:40]
	v_fma_f64 v[103:104], v[105:106], v[37:38], v[103:104]
	v_mov_b32_e32 v39, v101
	v_mov_b32_e32 v40, v102
	v_add_f64 v[115:116], v[115:116], -v[103:104]
.LBB76_608:
	s_or_b64 exec, exec, s[0:1]
	v_lshl_add_u32 v101, v100, 4, v98
	s_barrier
	ds_write2_b64 v101, v[33:34], v[35:36] offset1:1
	s_waitcnt lgkmcnt(0)
	s_barrier
	ds_read2_b64 v[121:124], v98 offset0:58 offset1:59
	s_cmp_lt_i32 s3, 31
	v_mov_b32_e32 v101, 29
	s_cbranch_scc1 .LBB76_611
; %bb.609:
	v_add_u32_e32 v102, 0x1e0, v98
	s_mov_b32 s0, 30
	v_mov_b32_e32 v101, 29
.LBB76_610:                             ; =>This Inner Loop Header: Depth=1
	s_waitcnt lgkmcnt(0)
	v_cmp_gt_f64_e32 vcc, 0, v[121:122]
	v_xor_b32_e32 v107, 0x80000000, v122
	ds_read2_b64 v[103:106], v102 offset1:1
	v_xor_b32_e32 v109, 0x80000000, v124
	v_add_u32_e32 v102, 16, v102
	s_waitcnt lgkmcnt(0)
	v_xor_b32_e32 v111, 0x80000000, v106
	v_cndmask_b32_e32 v108, v122, v107, vcc
	v_cmp_gt_f64_e32 vcc, 0, v[123:124]
	v_mov_b32_e32 v107, v121
	v_cndmask_b32_e32 v110, v124, v109, vcc
	v_cmp_gt_f64_e32 vcc, 0, v[103:104]
	v_mov_b32_e32 v109, v123
	v_add_f64 v[107:108], v[107:108], v[109:110]
	v_xor_b32_e32 v109, 0x80000000, v104
	v_cndmask_b32_e32 v110, v104, v109, vcc
	v_cmp_gt_f64_e32 vcc, 0, v[105:106]
	v_mov_b32_e32 v109, v103
	v_cndmask_b32_e32 v112, v106, v111, vcc
	v_mov_b32_e32 v111, v105
	v_add_f64 v[109:110], v[109:110], v[111:112]
	v_cmp_lt_f64_e32 vcc, v[107:108], v[109:110]
	v_cndmask_b32_e32 v121, v121, v103, vcc
	v_mov_b32_e32 v103, s0
	s_add_i32 s0, s0, 1
	v_cndmask_b32_e32 v122, v122, v104, vcc
	v_cndmask_b32_e32 v124, v124, v106, vcc
	;; [unrolled: 1-line block ×4, first 2 shown]
	s_cmp_lg_u32 s3, s0
	s_cbranch_scc1 .LBB76_610
.LBB76_611:
	s_waitcnt lgkmcnt(0)
	v_cmp_eq_f64_e32 vcc, 0, v[121:122]
	v_cmp_eq_f64_e64 s[0:1], 0, v[123:124]
	s_and_b64 s[0:1], vcc, s[0:1]
	s_and_saveexec_b64 s[18:19], s[0:1]
	s_xor_b64 s[0:1], exec, s[18:19]
; %bb.612:
	v_cmp_ne_u32_e32 vcc, 0, v99
	v_cndmask_b32_e32 v99, 30, v99, vcc
; %bb.613:
	s_andn2_saveexec_b64 s[0:1], s[0:1]
	s_cbranch_execz .LBB76_619
; %bb.614:
	v_cmp_ngt_f64_e64 s[18:19], |v[121:122]|, |v[123:124]|
	s_and_saveexec_b64 s[20:21], s[18:19]
	s_xor_b64 s[18:19], exec, s[20:21]
	s_cbranch_execz .LBB76_616
; %bb.615:
	v_div_scale_f64 v[102:103], s[20:21], v[123:124], v[123:124], v[121:122]
	v_rcp_f64_e32 v[104:105], v[102:103]
	v_fma_f64 v[106:107], -v[102:103], v[104:105], 1.0
	v_fma_f64 v[104:105], v[104:105], v[106:107], v[104:105]
	v_div_scale_f64 v[106:107], vcc, v[121:122], v[123:124], v[121:122]
	v_fma_f64 v[108:109], -v[102:103], v[104:105], 1.0
	v_fma_f64 v[104:105], v[104:105], v[108:109], v[104:105]
	v_mul_f64 v[108:109], v[106:107], v[104:105]
	v_fma_f64 v[102:103], -v[102:103], v[108:109], v[106:107]
	v_div_fmas_f64 v[102:103], v[102:103], v[104:105], v[108:109]
	v_div_fixup_f64 v[102:103], v[102:103], v[123:124], v[121:122]
	v_fma_f64 v[104:105], v[121:122], v[102:103], v[123:124]
	v_div_scale_f64 v[106:107], s[20:21], v[104:105], v[104:105], 1.0
	v_div_scale_f64 v[117:118], vcc, 1.0, v[104:105], 1.0
	v_rcp_f64_e32 v[108:109], v[106:107]
	v_fma_f64 v[110:111], -v[106:107], v[108:109], 1.0
	v_fma_f64 v[108:109], v[108:109], v[110:111], v[108:109]
	v_fma_f64 v[110:111], -v[106:107], v[108:109], 1.0
	v_fma_f64 v[108:109], v[108:109], v[110:111], v[108:109]
	v_mul_f64 v[110:111], v[117:118], v[108:109]
	v_fma_f64 v[106:107], -v[106:107], v[110:111], v[117:118]
	v_div_fmas_f64 v[106:107], v[106:107], v[108:109], v[110:111]
	v_div_fixup_f64 v[123:124], v[106:107], v[104:105], 1.0
	v_mul_f64 v[121:122], v[102:103], v[123:124]
	v_xor_b32_e32 v124, 0x80000000, v124
.LBB76_616:
	s_andn2_saveexec_b64 s[18:19], s[18:19]
	s_cbranch_execz .LBB76_618
; %bb.617:
	v_div_scale_f64 v[102:103], s[20:21], v[121:122], v[121:122], v[123:124]
	v_rcp_f64_e32 v[104:105], v[102:103]
	v_fma_f64 v[106:107], -v[102:103], v[104:105], 1.0
	v_fma_f64 v[104:105], v[104:105], v[106:107], v[104:105]
	v_div_scale_f64 v[106:107], vcc, v[123:124], v[121:122], v[123:124]
	v_fma_f64 v[108:109], -v[102:103], v[104:105], 1.0
	v_fma_f64 v[104:105], v[104:105], v[108:109], v[104:105]
	v_mul_f64 v[108:109], v[106:107], v[104:105]
	v_fma_f64 v[102:103], -v[102:103], v[108:109], v[106:107]
	v_div_fmas_f64 v[102:103], v[102:103], v[104:105], v[108:109]
	v_div_fixup_f64 v[102:103], v[102:103], v[121:122], v[123:124]
	v_fma_f64 v[104:105], v[123:124], v[102:103], v[121:122]
	v_div_scale_f64 v[106:107], s[20:21], v[104:105], v[104:105], 1.0
	v_div_scale_f64 v[117:118], vcc, 1.0, v[104:105], 1.0
	v_rcp_f64_e32 v[108:109], v[106:107]
	v_fma_f64 v[110:111], -v[106:107], v[108:109], 1.0
	v_fma_f64 v[108:109], v[108:109], v[110:111], v[108:109]
	v_fma_f64 v[110:111], -v[106:107], v[108:109], 1.0
	v_fma_f64 v[108:109], v[108:109], v[110:111], v[108:109]
	v_mul_f64 v[110:111], v[117:118], v[108:109]
	v_fma_f64 v[106:107], -v[106:107], v[110:111], v[117:118]
	v_div_fmas_f64 v[106:107], v[106:107], v[108:109], v[110:111]
	v_div_fixup_f64 v[121:122], v[106:107], v[104:105], 1.0
	v_mul_f64 v[123:124], v[102:103], -v[121:122]
.LBB76_618:
	s_or_b64 exec, exec, s[18:19]
.LBB76_619:
	s_or_b64 exec, exec, s[0:1]
	v_cmp_ne_u32_e32 vcc, v100, v101
	s_and_saveexec_b64 s[0:1], vcc
	s_xor_b64 s[0:1], exec, s[0:1]
	s_cbranch_execz .LBB76_625
; %bb.620:
	v_cmp_eq_u32_e32 vcc, 29, v100
	s_and_saveexec_b64 s[18:19], vcc
	s_cbranch_execz .LBB76_624
; %bb.621:
	v_cmp_ne_u32_e32 vcc, 29, v101
	s_xor_b64 s[20:21], s[6:7], -1
	s_and_b64 s[22:23], s[20:21], vcc
	s_and_saveexec_b64 s[20:21], s[22:23]
	s_cbranch_execz .LBB76_623
; %bb.622:
	v_ashrrev_i32_e32 v102, 31, v101
	v_lshlrev_b64 v[102:103], 2, v[101:102]
	v_add_co_u32_e32 v102, vcc, v119, v102
	v_addc_co_u32_e32 v103, vcc, v120, v103, vcc
	global_load_dword v0, v[102:103], off
	global_load_dword v100, v[119:120], off offset:116
	s_waitcnt vmcnt(1)
	global_store_dword v[119:120], v0, off offset:116
	s_waitcnt vmcnt(1)
	global_store_dword v[102:103], v100, off
.LBB76_623:
	s_or_b64 exec, exec, s[20:21]
	v_mov_b32_e32 v100, v101
	v_mov_b32_e32 v0, v101
.LBB76_624:
	s_or_b64 exec, exec, s[18:19]
.LBB76_625:
	s_andn2_saveexec_b64 s[0:1], s[0:1]
	s_cbranch_execz .LBB76_627
; %bb.626:
	v_mov_b32_e32 v100, 29
	ds_write2_b64 v98, v[29:30], v[31:32] offset0:60 offset1:61
	ds_write2_b64 v98, v[25:26], v[27:28] offset0:62 offset1:63
	;; [unrolled: 1-line block ×9, first 2 shown]
.LBB76_627:
	s_or_b64 exec, exec, s[0:1]
	v_cmp_lt_i32_e32 vcc, 29, v100
	s_waitcnt vmcnt(0) lgkmcnt(0)
	s_barrier
	s_and_saveexec_b64 s[0:1], vcc
	s_cbranch_execz .LBB76_629
; %bb.628:
	v_mul_f64 v[101:102], v[121:122], v[35:36]
	v_mul_f64 v[35:36], v[123:124], v[35:36]
	ds_read2_b64 v[103:106], v98 offset0:60 offset1:61
	v_fma_f64 v[101:102], v[123:124], v[33:34], v[101:102]
	v_fma_f64 v[33:34], v[121:122], v[33:34], -v[35:36]
	s_waitcnt lgkmcnt(0)
	v_mul_f64 v[35:36], v[105:106], v[101:102]
	v_fma_f64 v[35:36], v[103:104], v[33:34], -v[35:36]
	v_mul_f64 v[103:104], v[103:104], v[101:102]
	v_add_f64 v[29:30], v[29:30], -v[35:36]
	v_fma_f64 v[103:104], v[105:106], v[33:34], v[103:104]
	v_add_f64 v[31:32], v[31:32], -v[103:104]
	ds_read2_b64 v[103:106], v98 offset0:62 offset1:63
	s_waitcnt lgkmcnt(0)
	v_mul_f64 v[35:36], v[105:106], v[101:102]
	v_fma_f64 v[35:36], v[103:104], v[33:34], -v[35:36]
	v_mul_f64 v[103:104], v[103:104], v[101:102]
	v_add_f64 v[25:26], v[25:26], -v[35:36]
	v_fma_f64 v[103:104], v[105:106], v[33:34], v[103:104]
	v_add_f64 v[27:28], v[27:28], -v[103:104]
	ds_read2_b64 v[103:106], v98 offset0:64 offset1:65
	;; [unrolled: 8-line block ×8, first 2 shown]
	s_waitcnt lgkmcnt(0)
	v_mul_f64 v[35:36], v[105:106], v[101:102]
	v_fma_f64 v[35:36], v[103:104], v[33:34], -v[35:36]
	v_mul_f64 v[103:104], v[103:104], v[101:102]
	v_add_f64 v[113:114], v[113:114], -v[35:36]
	v_fma_f64 v[103:104], v[105:106], v[33:34], v[103:104]
	v_mov_b32_e32 v35, v101
	v_mov_b32_e32 v36, v102
	v_add_f64 v[115:116], v[115:116], -v[103:104]
.LBB76_629:
	s_or_b64 exec, exec, s[0:1]
	v_lshl_add_u32 v101, v100, 4, v98
	s_barrier
	ds_write2_b64 v101, v[29:30], v[31:32] offset1:1
	s_waitcnt lgkmcnt(0)
	s_barrier
	ds_read2_b64 v[121:124], v98 offset0:60 offset1:61
	s_cmp_lt_i32 s3, 32
	v_mov_b32_e32 v101, 30
	s_cbranch_scc1 .LBB76_632
; %bb.630:
	v_add_u32_e32 v102, 0x1f0, v98
	s_mov_b32 s0, 31
	v_mov_b32_e32 v101, 30
.LBB76_631:                             ; =>This Inner Loop Header: Depth=1
	s_waitcnt lgkmcnt(0)
	v_cmp_gt_f64_e32 vcc, 0, v[121:122]
	v_xor_b32_e32 v107, 0x80000000, v122
	ds_read2_b64 v[103:106], v102 offset1:1
	v_xor_b32_e32 v109, 0x80000000, v124
	v_add_u32_e32 v102, 16, v102
	s_waitcnt lgkmcnt(0)
	v_xor_b32_e32 v111, 0x80000000, v106
	v_cndmask_b32_e32 v108, v122, v107, vcc
	v_cmp_gt_f64_e32 vcc, 0, v[123:124]
	v_mov_b32_e32 v107, v121
	v_cndmask_b32_e32 v110, v124, v109, vcc
	v_cmp_gt_f64_e32 vcc, 0, v[103:104]
	v_mov_b32_e32 v109, v123
	v_add_f64 v[107:108], v[107:108], v[109:110]
	v_xor_b32_e32 v109, 0x80000000, v104
	v_cndmask_b32_e32 v110, v104, v109, vcc
	v_cmp_gt_f64_e32 vcc, 0, v[105:106]
	v_mov_b32_e32 v109, v103
	v_cndmask_b32_e32 v112, v106, v111, vcc
	v_mov_b32_e32 v111, v105
	v_add_f64 v[109:110], v[109:110], v[111:112]
	v_cmp_lt_f64_e32 vcc, v[107:108], v[109:110]
	v_cndmask_b32_e32 v121, v121, v103, vcc
	v_mov_b32_e32 v103, s0
	s_add_i32 s0, s0, 1
	v_cndmask_b32_e32 v122, v122, v104, vcc
	v_cndmask_b32_e32 v124, v124, v106, vcc
	;; [unrolled: 1-line block ×4, first 2 shown]
	s_cmp_lg_u32 s3, s0
	s_cbranch_scc1 .LBB76_631
.LBB76_632:
	s_waitcnt lgkmcnt(0)
	v_cmp_eq_f64_e32 vcc, 0, v[121:122]
	v_cmp_eq_f64_e64 s[0:1], 0, v[123:124]
	s_and_b64 s[0:1], vcc, s[0:1]
	s_and_saveexec_b64 s[18:19], s[0:1]
	s_xor_b64 s[0:1], exec, s[18:19]
; %bb.633:
	v_cmp_ne_u32_e32 vcc, 0, v99
	v_cndmask_b32_e32 v99, 31, v99, vcc
; %bb.634:
	s_andn2_saveexec_b64 s[0:1], s[0:1]
	s_cbranch_execz .LBB76_640
; %bb.635:
	v_cmp_ngt_f64_e64 s[18:19], |v[121:122]|, |v[123:124]|
	s_and_saveexec_b64 s[20:21], s[18:19]
	s_xor_b64 s[18:19], exec, s[20:21]
	s_cbranch_execz .LBB76_637
; %bb.636:
	v_div_scale_f64 v[102:103], s[20:21], v[123:124], v[123:124], v[121:122]
	v_rcp_f64_e32 v[104:105], v[102:103]
	v_fma_f64 v[106:107], -v[102:103], v[104:105], 1.0
	v_fma_f64 v[104:105], v[104:105], v[106:107], v[104:105]
	v_div_scale_f64 v[106:107], vcc, v[121:122], v[123:124], v[121:122]
	v_fma_f64 v[108:109], -v[102:103], v[104:105], 1.0
	v_fma_f64 v[104:105], v[104:105], v[108:109], v[104:105]
	v_mul_f64 v[108:109], v[106:107], v[104:105]
	v_fma_f64 v[102:103], -v[102:103], v[108:109], v[106:107]
	v_div_fmas_f64 v[102:103], v[102:103], v[104:105], v[108:109]
	v_div_fixup_f64 v[102:103], v[102:103], v[123:124], v[121:122]
	v_fma_f64 v[104:105], v[121:122], v[102:103], v[123:124]
	v_div_scale_f64 v[106:107], s[20:21], v[104:105], v[104:105], 1.0
	v_div_scale_f64 v[117:118], vcc, 1.0, v[104:105], 1.0
	v_rcp_f64_e32 v[108:109], v[106:107]
	v_fma_f64 v[110:111], -v[106:107], v[108:109], 1.0
	v_fma_f64 v[108:109], v[108:109], v[110:111], v[108:109]
	v_fma_f64 v[110:111], -v[106:107], v[108:109], 1.0
	v_fma_f64 v[108:109], v[108:109], v[110:111], v[108:109]
	v_mul_f64 v[110:111], v[117:118], v[108:109]
	v_fma_f64 v[106:107], -v[106:107], v[110:111], v[117:118]
	v_div_fmas_f64 v[106:107], v[106:107], v[108:109], v[110:111]
	v_div_fixup_f64 v[123:124], v[106:107], v[104:105], 1.0
	v_mul_f64 v[121:122], v[102:103], v[123:124]
	v_xor_b32_e32 v124, 0x80000000, v124
.LBB76_637:
	s_andn2_saveexec_b64 s[18:19], s[18:19]
	s_cbranch_execz .LBB76_639
; %bb.638:
	v_div_scale_f64 v[102:103], s[20:21], v[121:122], v[121:122], v[123:124]
	v_rcp_f64_e32 v[104:105], v[102:103]
	v_fma_f64 v[106:107], -v[102:103], v[104:105], 1.0
	v_fma_f64 v[104:105], v[104:105], v[106:107], v[104:105]
	v_div_scale_f64 v[106:107], vcc, v[123:124], v[121:122], v[123:124]
	v_fma_f64 v[108:109], -v[102:103], v[104:105], 1.0
	v_fma_f64 v[104:105], v[104:105], v[108:109], v[104:105]
	v_mul_f64 v[108:109], v[106:107], v[104:105]
	v_fma_f64 v[102:103], -v[102:103], v[108:109], v[106:107]
	v_div_fmas_f64 v[102:103], v[102:103], v[104:105], v[108:109]
	v_div_fixup_f64 v[102:103], v[102:103], v[121:122], v[123:124]
	v_fma_f64 v[104:105], v[123:124], v[102:103], v[121:122]
	v_div_scale_f64 v[106:107], s[20:21], v[104:105], v[104:105], 1.0
	v_div_scale_f64 v[117:118], vcc, 1.0, v[104:105], 1.0
	v_rcp_f64_e32 v[108:109], v[106:107]
	v_fma_f64 v[110:111], -v[106:107], v[108:109], 1.0
	v_fma_f64 v[108:109], v[108:109], v[110:111], v[108:109]
	v_fma_f64 v[110:111], -v[106:107], v[108:109], 1.0
	v_fma_f64 v[108:109], v[108:109], v[110:111], v[108:109]
	v_mul_f64 v[110:111], v[117:118], v[108:109]
	v_fma_f64 v[106:107], -v[106:107], v[110:111], v[117:118]
	v_div_fmas_f64 v[106:107], v[106:107], v[108:109], v[110:111]
	v_div_fixup_f64 v[121:122], v[106:107], v[104:105], 1.0
	v_mul_f64 v[123:124], v[102:103], -v[121:122]
.LBB76_639:
	s_or_b64 exec, exec, s[18:19]
.LBB76_640:
	s_or_b64 exec, exec, s[0:1]
	v_cmp_ne_u32_e32 vcc, v100, v101
	s_and_saveexec_b64 s[0:1], vcc
	s_xor_b64 s[0:1], exec, s[0:1]
	s_cbranch_execz .LBB76_646
; %bb.641:
	v_cmp_eq_u32_e32 vcc, 30, v100
	s_and_saveexec_b64 s[18:19], vcc
	s_cbranch_execz .LBB76_645
; %bb.642:
	v_cmp_ne_u32_e32 vcc, 30, v101
	s_xor_b64 s[20:21], s[6:7], -1
	s_and_b64 s[22:23], s[20:21], vcc
	s_and_saveexec_b64 s[20:21], s[22:23]
	s_cbranch_execz .LBB76_644
; %bb.643:
	v_ashrrev_i32_e32 v102, 31, v101
	v_lshlrev_b64 v[102:103], 2, v[101:102]
	v_add_co_u32_e32 v102, vcc, v119, v102
	v_addc_co_u32_e32 v103, vcc, v120, v103, vcc
	global_load_dword v0, v[102:103], off
	global_load_dword v100, v[119:120], off offset:120
	s_waitcnt vmcnt(1)
	global_store_dword v[119:120], v0, off offset:120
	s_waitcnt vmcnt(1)
	global_store_dword v[102:103], v100, off
.LBB76_644:
	s_or_b64 exec, exec, s[20:21]
	v_mov_b32_e32 v100, v101
	v_mov_b32_e32 v0, v101
.LBB76_645:
	s_or_b64 exec, exec, s[18:19]
.LBB76_646:
	s_andn2_saveexec_b64 s[0:1], s[0:1]
	s_cbranch_execz .LBB76_648
; %bb.647:
	v_mov_b32_e32 v100, 30
	ds_write2_b64 v98, v[25:26], v[27:28] offset0:62 offset1:63
	ds_write2_b64 v98, v[21:22], v[23:24] offset0:64 offset1:65
	;; [unrolled: 1-line block ×8, first 2 shown]
.LBB76_648:
	s_or_b64 exec, exec, s[0:1]
	v_cmp_lt_i32_e32 vcc, 30, v100
	s_waitcnt vmcnt(0) lgkmcnt(0)
	s_barrier
	s_and_saveexec_b64 s[0:1], vcc
	s_cbranch_execz .LBB76_650
; %bb.649:
	v_mul_f64 v[101:102], v[121:122], v[31:32]
	v_mul_f64 v[31:32], v[123:124], v[31:32]
	ds_read2_b64 v[103:106], v98 offset0:62 offset1:63
	v_fma_f64 v[101:102], v[123:124], v[29:30], v[101:102]
	v_fma_f64 v[29:30], v[121:122], v[29:30], -v[31:32]
	s_waitcnt lgkmcnt(0)
	v_mul_f64 v[31:32], v[105:106], v[101:102]
	v_fma_f64 v[31:32], v[103:104], v[29:30], -v[31:32]
	v_mul_f64 v[103:104], v[103:104], v[101:102]
	v_add_f64 v[25:26], v[25:26], -v[31:32]
	v_fma_f64 v[103:104], v[105:106], v[29:30], v[103:104]
	v_add_f64 v[27:28], v[27:28], -v[103:104]
	ds_read2_b64 v[103:106], v98 offset0:64 offset1:65
	s_waitcnt lgkmcnt(0)
	v_mul_f64 v[31:32], v[105:106], v[101:102]
	v_fma_f64 v[31:32], v[103:104], v[29:30], -v[31:32]
	v_mul_f64 v[103:104], v[103:104], v[101:102]
	v_add_f64 v[21:22], v[21:22], -v[31:32]
	v_fma_f64 v[103:104], v[105:106], v[29:30], v[103:104]
	v_add_f64 v[23:24], v[23:24], -v[103:104]
	ds_read2_b64 v[103:106], v98 offset0:66 offset1:67
	;; [unrolled: 8-line block ×7, first 2 shown]
	s_waitcnt lgkmcnt(0)
	v_mul_f64 v[31:32], v[105:106], v[101:102]
	v_fma_f64 v[31:32], v[103:104], v[29:30], -v[31:32]
	v_mul_f64 v[103:104], v[103:104], v[101:102]
	v_add_f64 v[113:114], v[113:114], -v[31:32]
	v_fma_f64 v[103:104], v[105:106], v[29:30], v[103:104]
	v_mov_b32_e32 v31, v101
	v_mov_b32_e32 v32, v102
	v_add_f64 v[115:116], v[115:116], -v[103:104]
.LBB76_650:
	s_or_b64 exec, exec, s[0:1]
	v_lshl_add_u32 v101, v100, 4, v98
	s_barrier
	ds_write2_b64 v101, v[25:26], v[27:28] offset1:1
	s_waitcnt lgkmcnt(0)
	s_barrier
	ds_read2_b64 v[121:124], v98 offset0:62 offset1:63
	s_cmp_lt_i32 s3, 33
	v_mov_b32_e32 v101, 31
	s_cbranch_scc1 .LBB76_653
; %bb.651:
	v_add_u32_e32 v102, 0x200, v98
	s_mov_b32 s0, 32
	v_mov_b32_e32 v101, 31
.LBB76_652:                             ; =>This Inner Loop Header: Depth=1
	s_waitcnt lgkmcnt(0)
	v_cmp_gt_f64_e32 vcc, 0, v[121:122]
	v_xor_b32_e32 v107, 0x80000000, v122
	ds_read2_b64 v[103:106], v102 offset1:1
	v_xor_b32_e32 v109, 0x80000000, v124
	v_add_u32_e32 v102, 16, v102
	s_waitcnt lgkmcnt(0)
	v_xor_b32_e32 v111, 0x80000000, v106
	v_cndmask_b32_e32 v108, v122, v107, vcc
	v_cmp_gt_f64_e32 vcc, 0, v[123:124]
	v_mov_b32_e32 v107, v121
	v_cndmask_b32_e32 v110, v124, v109, vcc
	v_cmp_gt_f64_e32 vcc, 0, v[103:104]
	v_mov_b32_e32 v109, v123
	v_add_f64 v[107:108], v[107:108], v[109:110]
	v_xor_b32_e32 v109, 0x80000000, v104
	v_cndmask_b32_e32 v110, v104, v109, vcc
	v_cmp_gt_f64_e32 vcc, 0, v[105:106]
	v_mov_b32_e32 v109, v103
	v_cndmask_b32_e32 v112, v106, v111, vcc
	v_mov_b32_e32 v111, v105
	v_add_f64 v[109:110], v[109:110], v[111:112]
	v_cmp_lt_f64_e32 vcc, v[107:108], v[109:110]
	v_cndmask_b32_e32 v121, v121, v103, vcc
	v_mov_b32_e32 v103, s0
	s_add_i32 s0, s0, 1
	v_cndmask_b32_e32 v122, v122, v104, vcc
	v_cndmask_b32_e32 v124, v124, v106, vcc
	v_cndmask_b32_e32 v123, v123, v105, vcc
	v_cndmask_b32_e32 v101, v101, v103, vcc
	s_cmp_lg_u32 s3, s0
	s_cbranch_scc1 .LBB76_652
.LBB76_653:
	s_waitcnt lgkmcnt(0)
	v_cmp_eq_f64_e32 vcc, 0, v[121:122]
	v_cmp_eq_f64_e64 s[0:1], 0, v[123:124]
	s_and_b64 s[0:1], vcc, s[0:1]
	s_and_saveexec_b64 s[18:19], s[0:1]
	s_xor_b64 s[0:1], exec, s[18:19]
; %bb.654:
	v_cmp_ne_u32_e32 vcc, 0, v99
	v_cndmask_b32_e32 v99, 32, v99, vcc
; %bb.655:
	s_andn2_saveexec_b64 s[0:1], s[0:1]
	s_cbranch_execz .LBB76_661
; %bb.656:
	v_cmp_ngt_f64_e64 s[18:19], |v[121:122]|, |v[123:124]|
	s_and_saveexec_b64 s[20:21], s[18:19]
	s_xor_b64 s[18:19], exec, s[20:21]
	s_cbranch_execz .LBB76_658
; %bb.657:
	v_div_scale_f64 v[102:103], s[20:21], v[123:124], v[123:124], v[121:122]
	v_rcp_f64_e32 v[104:105], v[102:103]
	v_fma_f64 v[106:107], -v[102:103], v[104:105], 1.0
	v_fma_f64 v[104:105], v[104:105], v[106:107], v[104:105]
	v_div_scale_f64 v[106:107], vcc, v[121:122], v[123:124], v[121:122]
	v_fma_f64 v[108:109], -v[102:103], v[104:105], 1.0
	v_fma_f64 v[104:105], v[104:105], v[108:109], v[104:105]
	v_mul_f64 v[108:109], v[106:107], v[104:105]
	v_fma_f64 v[102:103], -v[102:103], v[108:109], v[106:107]
	v_div_fmas_f64 v[102:103], v[102:103], v[104:105], v[108:109]
	v_div_fixup_f64 v[102:103], v[102:103], v[123:124], v[121:122]
	v_fma_f64 v[104:105], v[121:122], v[102:103], v[123:124]
	v_div_scale_f64 v[106:107], s[20:21], v[104:105], v[104:105], 1.0
	v_div_scale_f64 v[117:118], vcc, 1.0, v[104:105], 1.0
	v_rcp_f64_e32 v[108:109], v[106:107]
	v_fma_f64 v[110:111], -v[106:107], v[108:109], 1.0
	v_fma_f64 v[108:109], v[108:109], v[110:111], v[108:109]
	v_fma_f64 v[110:111], -v[106:107], v[108:109], 1.0
	v_fma_f64 v[108:109], v[108:109], v[110:111], v[108:109]
	v_mul_f64 v[110:111], v[117:118], v[108:109]
	v_fma_f64 v[106:107], -v[106:107], v[110:111], v[117:118]
	v_div_fmas_f64 v[106:107], v[106:107], v[108:109], v[110:111]
	v_div_fixup_f64 v[123:124], v[106:107], v[104:105], 1.0
	v_mul_f64 v[121:122], v[102:103], v[123:124]
	v_xor_b32_e32 v124, 0x80000000, v124
.LBB76_658:
	s_andn2_saveexec_b64 s[18:19], s[18:19]
	s_cbranch_execz .LBB76_660
; %bb.659:
	v_div_scale_f64 v[102:103], s[20:21], v[121:122], v[121:122], v[123:124]
	v_rcp_f64_e32 v[104:105], v[102:103]
	v_fma_f64 v[106:107], -v[102:103], v[104:105], 1.0
	v_fma_f64 v[104:105], v[104:105], v[106:107], v[104:105]
	v_div_scale_f64 v[106:107], vcc, v[123:124], v[121:122], v[123:124]
	v_fma_f64 v[108:109], -v[102:103], v[104:105], 1.0
	v_fma_f64 v[104:105], v[104:105], v[108:109], v[104:105]
	v_mul_f64 v[108:109], v[106:107], v[104:105]
	v_fma_f64 v[102:103], -v[102:103], v[108:109], v[106:107]
	v_div_fmas_f64 v[102:103], v[102:103], v[104:105], v[108:109]
	v_div_fixup_f64 v[102:103], v[102:103], v[121:122], v[123:124]
	v_fma_f64 v[104:105], v[123:124], v[102:103], v[121:122]
	v_div_scale_f64 v[106:107], s[20:21], v[104:105], v[104:105], 1.0
	v_div_scale_f64 v[117:118], vcc, 1.0, v[104:105], 1.0
	v_rcp_f64_e32 v[108:109], v[106:107]
	v_fma_f64 v[110:111], -v[106:107], v[108:109], 1.0
	v_fma_f64 v[108:109], v[108:109], v[110:111], v[108:109]
	v_fma_f64 v[110:111], -v[106:107], v[108:109], 1.0
	v_fma_f64 v[108:109], v[108:109], v[110:111], v[108:109]
	v_mul_f64 v[110:111], v[117:118], v[108:109]
	v_fma_f64 v[106:107], -v[106:107], v[110:111], v[117:118]
	v_div_fmas_f64 v[106:107], v[106:107], v[108:109], v[110:111]
	v_div_fixup_f64 v[121:122], v[106:107], v[104:105], 1.0
	v_mul_f64 v[123:124], v[102:103], -v[121:122]
.LBB76_660:
	s_or_b64 exec, exec, s[18:19]
.LBB76_661:
	s_or_b64 exec, exec, s[0:1]
	v_cmp_ne_u32_e32 vcc, v100, v101
	s_and_saveexec_b64 s[0:1], vcc
	s_xor_b64 s[0:1], exec, s[0:1]
	s_cbranch_execz .LBB76_667
; %bb.662:
	v_cmp_eq_u32_e32 vcc, 31, v100
	s_and_saveexec_b64 s[18:19], vcc
	s_cbranch_execz .LBB76_666
; %bb.663:
	v_cmp_ne_u32_e32 vcc, 31, v101
	s_xor_b64 s[20:21], s[6:7], -1
	s_and_b64 s[22:23], s[20:21], vcc
	s_and_saveexec_b64 s[20:21], s[22:23]
	s_cbranch_execz .LBB76_665
; %bb.664:
	v_ashrrev_i32_e32 v102, 31, v101
	v_lshlrev_b64 v[102:103], 2, v[101:102]
	v_add_co_u32_e32 v102, vcc, v119, v102
	v_addc_co_u32_e32 v103, vcc, v120, v103, vcc
	global_load_dword v0, v[102:103], off
	global_load_dword v100, v[119:120], off offset:124
	s_waitcnt vmcnt(1)
	global_store_dword v[119:120], v0, off offset:124
	s_waitcnt vmcnt(1)
	global_store_dword v[102:103], v100, off
.LBB76_665:
	s_or_b64 exec, exec, s[20:21]
	v_mov_b32_e32 v100, v101
	v_mov_b32_e32 v0, v101
.LBB76_666:
	s_or_b64 exec, exec, s[18:19]
.LBB76_667:
	s_andn2_saveexec_b64 s[0:1], s[0:1]
	s_cbranch_execz .LBB76_669
; %bb.668:
	v_mov_b32_e32 v100, 31
	ds_write2_b64 v98, v[21:22], v[23:24] offset0:64 offset1:65
	ds_write2_b64 v98, v[17:18], v[19:20] offset0:66 offset1:67
	;; [unrolled: 1-line block ×7, first 2 shown]
.LBB76_669:
	s_or_b64 exec, exec, s[0:1]
	v_cmp_lt_i32_e32 vcc, 31, v100
	s_waitcnt vmcnt(0) lgkmcnt(0)
	s_barrier
	s_and_saveexec_b64 s[0:1], vcc
	s_cbranch_execz .LBB76_671
; %bb.670:
	v_mul_f64 v[101:102], v[121:122], v[27:28]
	v_mul_f64 v[27:28], v[123:124], v[27:28]
	ds_read2_b64 v[103:106], v98 offset0:64 offset1:65
	v_fma_f64 v[101:102], v[123:124], v[25:26], v[101:102]
	v_fma_f64 v[25:26], v[121:122], v[25:26], -v[27:28]
	s_waitcnt lgkmcnt(0)
	v_mul_f64 v[27:28], v[105:106], v[101:102]
	v_fma_f64 v[27:28], v[103:104], v[25:26], -v[27:28]
	v_mul_f64 v[103:104], v[103:104], v[101:102]
	v_add_f64 v[21:22], v[21:22], -v[27:28]
	v_fma_f64 v[103:104], v[105:106], v[25:26], v[103:104]
	v_add_f64 v[23:24], v[23:24], -v[103:104]
	ds_read2_b64 v[103:106], v98 offset0:66 offset1:67
	s_waitcnt lgkmcnt(0)
	v_mul_f64 v[27:28], v[105:106], v[101:102]
	v_fma_f64 v[27:28], v[103:104], v[25:26], -v[27:28]
	v_mul_f64 v[103:104], v[103:104], v[101:102]
	v_add_f64 v[17:18], v[17:18], -v[27:28]
	v_fma_f64 v[103:104], v[105:106], v[25:26], v[103:104]
	v_add_f64 v[19:20], v[19:20], -v[103:104]
	ds_read2_b64 v[103:106], v98 offset0:68 offset1:69
	;; [unrolled: 8-line block ×6, first 2 shown]
	s_waitcnt lgkmcnt(0)
	v_mul_f64 v[27:28], v[105:106], v[101:102]
	v_fma_f64 v[27:28], v[103:104], v[25:26], -v[27:28]
	v_mul_f64 v[103:104], v[103:104], v[101:102]
	v_add_f64 v[113:114], v[113:114], -v[27:28]
	v_fma_f64 v[103:104], v[105:106], v[25:26], v[103:104]
	v_mov_b32_e32 v27, v101
	v_mov_b32_e32 v28, v102
	v_add_f64 v[115:116], v[115:116], -v[103:104]
.LBB76_671:
	s_or_b64 exec, exec, s[0:1]
	v_lshl_add_u32 v101, v100, 4, v98
	s_barrier
	ds_write2_b64 v101, v[21:22], v[23:24] offset1:1
	s_waitcnt lgkmcnt(0)
	s_barrier
	ds_read2_b64 v[121:124], v98 offset0:64 offset1:65
	s_cmp_lt_i32 s3, 34
	v_mov_b32_e32 v101, 32
	s_cbranch_scc1 .LBB76_674
; %bb.672:
	v_add_u32_e32 v102, 0x210, v98
	s_mov_b32 s0, 33
	v_mov_b32_e32 v101, 32
.LBB76_673:                             ; =>This Inner Loop Header: Depth=1
	s_waitcnt lgkmcnt(0)
	v_cmp_gt_f64_e32 vcc, 0, v[121:122]
	v_xor_b32_e32 v107, 0x80000000, v122
	ds_read2_b64 v[103:106], v102 offset1:1
	v_xor_b32_e32 v109, 0x80000000, v124
	v_add_u32_e32 v102, 16, v102
	s_waitcnt lgkmcnt(0)
	v_xor_b32_e32 v111, 0x80000000, v106
	v_cndmask_b32_e32 v108, v122, v107, vcc
	v_cmp_gt_f64_e32 vcc, 0, v[123:124]
	v_mov_b32_e32 v107, v121
	v_cndmask_b32_e32 v110, v124, v109, vcc
	v_cmp_gt_f64_e32 vcc, 0, v[103:104]
	v_mov_b32_e32 v109, v123
	v_add_f64 v[107:108], v[107:108], v[109:110]
	v_xor_b32_e32 v109, 0x80000000, v104
	v_cndmask_b32_e32 v110, v104, v109, vcc
	v_cmp_gt_f64_e32 vcc, 0, v[105:106]
	v_mov_b32_e32 v109, v103
	v_cndmask_b32_e32 v112, v106, v111, vcc
	v_mov_b32_e32 v111, v105
	v_add_f64 v[109:110], v[109:110], v[111:112]
	v_cmp_lt_f64_e32 vcc, v[107:108], v[109:110]
	v_cndmask_b32_e32 v121, v121, v103, vcc
	v_mov_b32_e32 v103, s0
	s_add_i32 s0, s0, 1
	v_cndmask_b32_e32 v122, v122, v104, vcc
	v_cndmask_b32_e32 v124, v124, v106, vcc
	;; [unrolled: 1-line block ×4, first 2 shown]
	s_cmp_lg_u32 s3, s0
	s_cbranch_scc1 .LBB76_673
.LBB76_674:
	s_waitcnt lgkmcnt(0)
	v_cmp_eq_f64_e32 vcc, 0, v[121:122]
	v_cmp_eq_f64_e64 s[0:1], 0, v[123:124]
	s_and_b64 s[0:1], vcc, s[0:1]
	s_and_saveexec_b64 s[18:19], s[0:1]
	s_xor_b64 s[0:1], exec, s[18:19]
; %bb.675:
	v_cmp_ne_u32_e32 vcc, 0, v99
	v_cndmask_b32_e32 v99, 33, v99, vcc
; %bb.676:
	s_andn2_saveexec_b64 s[0:1], s[0:1]
	s_cbranch_execz .LBB76_682
; %bb.677:
	v_cmp_ngt_f64_e64 s[18:19], |v[121:122]|, |v[123:124]|
	s_and_saveexec_b64 s[20:21], s[18:19]
	s_xor_b64 s[18:19], exec, s[20:21]
	s_cbranch_execz .LBB76_679
; %bb.678:
	v_div_scale_f64 v[102:103], s[20:21], v[123:124], v[123:124], v[121:122]
	v_rcp_f64_e32 v[104:105], v[102:103]
	v_fma_f64 v[106:107], -v[102:103], v[104:105], 1.0
	v_fma_f64 v[104:105], v[104:105], v[106:107], v[104:105]
	v_div_scale_f64 v[106:107], vcc, v[121:122], v[123:124], v[121:122]
	v_fma_f64 v[108:109], -v[102:103], v[104:105], 1.0
	v_fma_f64 v[104:105], v[104:105], v[108:109], v[104:105]
	v_mul_f64 v[108:109], v[106:107], v[104:105]
	v_fma_f64 v[102:103], -v[102:103], v[108:109], v[106:107]
	v_div_fmas_f64 v[102:103], v[102:103], v[104:105], v[108:109]
	v_div_fixup_f64 v[102:103], v[102:103], v[123:124], v[121:122]
	v_fma_f64 v[104:105], v[121:122], v[102:103], v[123:124]
	v_div_scale_f64 v[106:107], s[20:21], v[104:105], v[104:105], 1.0
	v_div_scale_f64 v[117:118], vcc, 1.0, v[104:105], 1.0
	v_rcp_f64_e32 v[108:109], v[106:107]
	v_fma_f64 v[110:111], -v[106:107], v[108:109], 1.0
	v_fma_f64 v[108:109], v[108:109], v[110:111], v[108:109]
	v_fma_f64 v[110:111], -v[106:107], v[108:109], 1.0
	v_fma_f64 v[108:109], v[108:109], v[110:111], v[108:109]
	v_mul_f64 v[110:111], v[117:118], v[108:109]
	v_fma_f64 v[106:107], -v[106:107], v[110:111], v[117:118]
	v_div_fmas_f64 v[106:107], v[106:107], v[108:109], v[110:111]
	v_div_fixup_f64 v[123:124], v[106:107], v[104:105], 1.0
	v_mul_f64 v[121:122], v[102:103], v[123:124]
	v_xor_b32_e32 v124, 0x80000000, v124
.LBB76_679:
	s_andn2_saveexec_b64 s[18:19], s[18:19]
	s_cbranch_execz .LBB76_681
; %bb.680:
	v_div_scale_f64 v[102:103], s[20:21], v[121:122], v[121:122], v[123:124]
	v_rcp_f64_e32 v[104:105], v[102:103]
	v_fma_f64 v[106:107], -v[102:103], v[104:105], 1.0
	v_fma_f64 v[104:105], v[104:105], v[106:107], v[104:105]
	v_div_scale_f64 v[106:107], vcc, v[123:124], v[121:122], v[123:124]
	v_fma_f64 v[108:109], -v[102:103], v[104:105], 1.0
	v_fma_f64 v[104:105], v[104:105], v[108:109], v[104:105]
	v_mul_f64 v[108:109], v[106:107], v[104:105]
	v_fma_f64 v[102:103], -v[102:103], v[108:109], v[106:107]
	v_div_fmas_f64 v[102:103], v[102:103], v[104:105], v[108:109]
	v_div_fixup_f64 v[102:103], v[102:103], v[121:122], v[123:124]
	v_fma_f64 v[104:105], v[123:124], v[102:103], v[121:122]
	v_div_scale_f64 v[106:107], s[20:21], v[104:105], v[104:105], 1.0
	v_div_scale_f64 v[117:118], vcc, 1.0, v[104:105], 1.0
	v_rcp_f64_e32 v[108:109], v[106:107]
	v_fma_f64 v[110:111], -v[106:107], v[108:109], 1.0
	v_fma_f64 v[108:109], v[108:109], v[110:111], v[108:109]
	v_fma_f64 v[110:111], -v[106:107], v[108:109], 1.0
	v_fma_f64 v[108:109], v[108:109], v[110:111], v[108:109]
	v_mul_f64 v[110:111], v[117:118], v[108:109]
	v_fma_f64 v[106:107], -v[106:107], v[110:111], v[117:118]
	v_div_fmas_f64 v[106:107], v[106:107], v[108:109], v[110:111]
	v_div_fixup_f64 v[121:122], v[106:107], v[104:105], 1.0
	v_mul_f64 v[123:124], v[102:103], -v[121:122]
.LBB76_681:
	s_or_b64 exec, exec, s[18:19]
.LBB76_682:
	s_or_b64 exec, exec, s[0:1]
	v_cmp_ne_u32_e32 vcc, v100, v101
	s_and_saveexec_b64 s[0:1], vcc
	s_xor_b64 s[0:1], exec, s[0:1]
	s_cbranch_execz .LBB76_688
; %bb.683:
	v_cmp_eq_u32_e32 vcc, 32, v100
	s_and_saveexec_b64 s[18:19], vcc
	s_cbranch_execz .LBB76_687
; %bb.684:
	v_cmp_ne_u32_e32 vcc, 32, v101
	s_xor_b64 s[20:21], s[6:7], -1
	s_and_b64 s[22:23], s[20:21], vcc
	s_and_saveexec_b64 s[20:21], s[22:23]
	s_cbranch_execz .LBB76_686
; %bb.685:
	v_ashrrev_i32_e32 v102, 31, v101
	v_lshlrev_b64 v[102:103], 2, v[101:102]
	v_add_co_u32_e32 v102, vcc, v119, v102
	v_addc_co_u32_e32 v103, vcc, v120, v103, vcc
	global_load_dword v0, v[102:103], off
	global_load_dword v100, v[119:120], off offset:128
	s_waitcnt vmcnt(1)
	global_store_dword v[119:120], v0, off offset:128
	s_waitcnt vmcnt(1)
	global_store_dword v[102:103], v100, off
.LBB76_686:
	s_or_b64 exec, exec, s[20:21]
	v_mov_b32_e32 v100, v101
	v_mov_b32_e32 v0, v101
.LBB76_687:
	s_or_b64 exec, exec, s[18:19]
.LBB76_688:
	s_andn2_saveexec_b64 s[0:1], s[0:1]
	s_cbranch_execz .LBB76_690
; %bb.689:
	v_mov_b32_e32 v100, 32
	ds_write2_b64 v98, v[17:18], v[19:20] offset0:66 offset1:67
	ds_write2_b64 v98, v[13:14], v[15:16] offset0:68 offset1:69
	;; [unrolled: 1-line block ×6, first 2 shown]
.LBB76_690:
	s_or_b64 exec, exec, s[0:1]
	v_cmp_lt_i32_e32 vcc, 32, v100
	s_waitcnt vmcnt(0) lgkmcnt(0)
	s_barrier
	s_and_saveexec_b64 s[0:1], vcc
	s_cbranch_execz .LBB76_692
; %bb.691:
	v_mul_f64 v[101:102], v[121:122], v[23:24]
	v_mul_f64 v[23:24], v[123:124], v[23:24]
	ds_read2_b64 v[103:106], v98 offset0:66 offset1:67
	v_fma_f64 v[101:102], v[123:124], v[21:22], v[101:102]
	v_fma_f64 v[21:22], v[121:122], v[21:22], -v[23:24]
	s_waitcnt lgkmcnt(0)
	v_mul_f64 v[23:24], v[105:106], v[101:102]
	v_fma_f64 v[23:24], v[103:104], v[21:22], -v[23:24]
	v_mul_f64 v[103:104], v[103:104], v[101:102]
	v_add_f64 v[17:18], v[17:18], -v[23:24]
	v_fma_f64 v[103:104], v[105:106], v[21:22], v[103:104]
	v_add_f64 v[19:20], v[19:20], -v[103:104]
	ds_read2_b64 v[103:106], v98 offset0:68 offset1:69
	s_waitcnt lgkmcnt(0)
	v_mul_f64 v[23:24], v[105:106], v[101:102]
	v_fma_f64 v[23:24], v[103:104], v[21:22], -v[23:24]
	v_mul_f64 v[103:104], v[103:104], v[101:102]
	v_add_f64 v[13:14], v[13:14], -v[23:24]
	v_fma_f64 v[103:104], v[105:106], v[21:22], v[103:104]
	v_add_f64 v[15:16], v[15:16], -v[103:104]
	ds_read2_b64 v[103:106], v98 offset0:70 offset1:71
	;; [unrolled: 8-line block ×5, first 2 shown]
	s_waitcnt lgkmcnt(0)
	v_mul_f64 v[23:24], v[105:106], v[101:102]
	v_fma_f64 v[23:24], v[103:104], v[21:22], -v[23:24]
	v_mul_f64 v[103:104], v[103:104], v[101:102]
	v_add_f64 v[113:114], v[113:114], -v[23:24]
	v_fma_f64 v[103:104], v[105:106], v[21:22], v[103:104]
	v_mov_b32_e32 v23, v101
	v_mov_b32_e32 v24, v102
	v_add_f64 v[115:116], v[115:116], -v[103:104]
.LBB76_692:
	s_or_b64 exec, exec, s[0:1]
	v_lshl_add_u32 v101, v100, 4, v98
	s_barrier
	ds_write2_b64 v101, v[17:18], v[19:20] offset1:1
	s_waitcnt lgkmcnt(0)
	s_barrier
	ds_read2_b64 v[121:124], v98 offset0:66 offset1:67
	s_cmp_lt_i32 s3, 35
	v_mov_b32_e32 v101, 33
	s_cbranch_scc1 .LBB76_695
; %bb.693:
	v_add_u32_e32 v102, 0x220, v98
	s_mov_b32 s0, 34
	v_mov_b32_e32 v101, 33
.LBB76_694:                             ; =>This Inner Loop Header: Depth=1
	s_waitcnt lgkmcnt(0)
	v_cmp_gt_f64_e32 vcc, 0, v[121:122]
	v_xor_b32_e32 v107, 0x80000000, v122
	ds_read2_b64 v[103:106], v102 offset1:1
	v_xor_b32_e32 v109, 0x80000000, v124
	v_add_u32_e32 v102, 16, v102
	s_waitcnt lgkmcnt(0)
	v_xor_b32_e32 v111, 0x80000000, v106
	v_cndmask_b32_e32 v108, v122, v107, vcc
	v_cmp_gt_f64_e32 vcc, 0, v[123:124]
	v_mov_b32_e32 v107, v121
	v_cndmask_b32_e32 v110, v124, v109, vcc
	v_cmp_gt_f64_e32 vcc, 0, v[103:104]
	v_mov_b32_e32 v109, v123
	v_add_f64 v[107:108], v[107:108], v[109:110]
	v_xor_b32_e32 v109, 0x80000000, v104
	v_cndmask_b32_e32 v110, v104, v109, vcc
	v_cmp_gt_f64_e32 vcc, 0, v[105:106]
	v_mov_b32_e32 v109, v103
	v_cndmask_b32_e32 v112, v106, v111, vcc
	v_mov_b32_e32 v111, v105
	v_add_f64 v[109:110], v[109:110], v[111:112]
	v_cmp_lt_f64_e32 vcc, v[107:108], v[109:110]
	v_cndmask_b32_e32 v121, v121, v103, vcc
	v_mov_b32_e32 v103, s0
	s_add_i32 s0, s0, 1
	v_cndmask_b32_e32 v122, v122, v104, vcc
	v_cndmask_b32_e32 v124, v124, v106, vcc
	;; [unrolled: 1-line block ×4, first 2 shown]
	s_cmp_lg_u32 s3, s0
	s_cbranch_scc1 .LBB76_694
.LBB76_695:
	s_waitcnt lgkmcnt(0)
	v_cmp_eq_f64_e32 vcc, 0, v[121:122]
	v_cmp_eq_f64_e64 s[0:1], 0, v[123:124]
	s_and_b64 s[0:1], vcc, s[0:1]
	s_and_saveexec_b64 s[18:19], s[0:1]
	s_xor_b64 s[0:1], exec, s[18:19]
; %bb.696:
	v_cmp_ne_u32_e32 vcc, 0, v99
	v_cndmask_b32_e32 v99, 34, v99, vcc
; %bb.697:
	s_andn2_saveexec_b64 s[0:1], s[0:1]
	s_cbranch_execz .LBB76_703
; %bb.698:
	v_cmp_ngt_f64_e64 s[18:19], |v[121:122]|, |v[123:124]|
	s_and_saveexec_b64 s[20:21], s[18:19]
	s_xor_b64 s[18:19], exec, s[20:21]
	s_cbranch_execz .LBB76_700
; %bb.699:
	v_div_scale_f64 v[102:103], s[20:21], v[123:124], v[123:124], v[121:122]
	v_rcp_f64_e32 v[104:105], v[102:103]
	v_fma_f64 v[106:107], -v[102:103], v[104:105], 1.0
	v_fma_f64 v[104:105], v[104:105], v[106:107], v[104:105]
	v_div_scale_f64 v[106:107], vcc, v[121:122], v[123:124], v[121:122]
	v_fma_f64 v[108:109], -v[102:103], v[104:105], 1.0
	v_fma_f64 v[104:105], v[104:105], v[108:109], v[104:105]
	v_mul_f64 v[108:109], v[106:107], v[104:105]
	v_fma_f64 v[102:103], -v[102:103], v[108:109], v[106:107]
	v_div_fmas_f64 v[102:103], v[102:103], v[104:105], v[108:109]
	v_div_fixup_f64 v[102:103], v[102:103], v[123:124], v[121:122]
	v_fma_f64 v[104:105], v[121:122], v[102:103], v[123:124]
	v_div_scale_f64 v[106:107], s[20:21], v[104:105], v[104:105], 1.0
	v_div_scale_f64 v[117:118], vcc, 1.0, v[104:105], 1.0
	v_rcp_f64_e32 v[108:109], v[106:107]
	v_fma_f64 v[110:111], -v[106:107], v[108:109], 1.0
	v_fma_f64 v[108:109], v[108:109], v[110:111], v[108:109]
	v_fma_f64 v[110:111], -v[106:107], v[108:109], 1.0
	v_fma_f64 v[108:109], v[108:109], v[110:111], v[108:109]
	v_mul_f64 v[110:111], v[117:118], v[108:109]
	v_fma_f64 v[106:107], -v[106:107], v[110:111], v[117:118]
	v_div_fmas_f64 v[106:107], v[106:107], v[108:109], v[110:111]
	v_div_fixup_f64 v[123:124], v[106:107], v[104:105], 1.0
	v_mul_f64 v[121:122], v[102:103], v[123:124]
	v_xor_b32_e32 v124, 0x80000000, v124
.LBB76_700:
	s_andn2_saveexec_b64 s[18:19], s[18:19]
	s_cbranch_execz .LBB76_702
; %bb.701:
	v_div_scale_f64 v[102:103], s[20:21], v[121:122], v[121:122], v[123:124]
	v_rcp_f64_e32 v[104:105], v[102:103]
	v_fma_f64 v[106:107], -v[102:103], v[104:105], 1.0
	v_fma_f64 v[104:105], v[104:105], v[106:107], v[104:105]
	v_div_scale_f64 v[106:107], vcc, v[123:124], v[121:122], v[123:124]
	v_fma_f64 v[108:109], -v[102:103], v[104:105], 1.0
	v_fma_f64 v[104:105], v[104:105], v[108:109], v[104:105]
	v_mul_f64 v[108:109], v[106:107], v[104:105]
	v_fma_f64 v[102:103], -v[102:103], v[108:109], v[106:107]
	v_div_fmas_f64 v[102:103], v[102:103], v[104:105], v[108:109]
	v_div_fixup_f64 v[102:103], v[102:103], v[121:122], v[123:124]
	v_fma_f64 v[104:105], v[123:124], v[102:103], v[121:122]
	v_div_scale_f64 v[106:107], s[20:21], v[104:105], v[104:105], 1.0
	v_div_scale_f64 v[117:118], vcc, 1.0, v[104:105], 1.0
	v_rcp_f64_e32 v[108:109], v[106:107]
	v_fma_f64 v[110:111], -v[106:107], v[108:109], 1.0
	v_fma_f64 v[108:109], v[108:109], v[110:111], v[108:109]
	v_fma_f64 v[110:111], -v[106:107], v[108:109], 1.0
	v_fma_f64 v[108:109], v[108:109], v[110:111], v[108:109]
	v_mul_f64 v[110:111], v[117:118], v[108:109]
	v_fma_f64 v[106:107], -v[106:107], v[110:111], v[117:118]
	v_div_fmas_f64 v[106:107], v[106:107], v[108:109], v[110:111]
	v_div_fixup_f64 v[121:122], v[106:107], v[104:105], 1.0
	v_mul_f64 v[123:124], v[102:103], -v[121:122]
.LBB76_702:
	s_or_b64 exec, exec, s[18:19]
.LBB76_703:
	s_or_b64 exec, exec, s[0:1]
	v_cmp_ne_u32_e32 vcc, v100, v101
	s_and_saveexec_b64 s[0:1], vcc
	s_xor_b64 s[0:1], exec, s[0:1]
	s_cbranch_execz .LBB76_709
; %bb.704:
	v_cmp_eq_u32_e32 vcc, 33, v100
	s_and_saveexec_b64 s[18:19], vcc
	s_cbranch_execz .LBB76_708
; %bb.705:
	v_cmp_ne_u32_e32 vcc, 33, v101
	s_xor_b64 s[20:21], s[6:7], -1
	s_and_b64 s[22:23], s[20:21], vcc
	s_and_saveexec_b64 s[20:21], s[22:23]
	s_cbranch_execz .LBB76_707
; %bb.706:
	v_ashrrev_i32_e32 v102, 31, v101
	v_lshlrev_b64 v[102:103], 2, v[101:102]
	v_add_co_u32_e32 v102, vcc, v119, v102
	v_addc_co_u32_e32 v103, vcc, v120, v103, vcc
	global_load_dword v0, v[102:103], off
	global_load_dword v100, v[119:120], off offset:132
	s_waitcnt vmcnt(1)
	global_store_dword v[119:120], v0, off offset:132
	s_waitcnt vmcnt(1)
	global_store_dword v[102:103], v100, off
.LBB76_707:
	s_or_b64 exec, exec, s[20:21]
	v_mov_b32_e32 v100, v101
	v_mov_b32_e32 v0, v101
.LBB76_708:
	s_or_b64 exec, exec, s[18:19]
.LBB76_709:
	s_andn2_saveexec_b64 s[0:1], s[0:1]
	s_cbranch_execz .LBB76_711
; %bb.710:
	v_mov_b32_e32 v100, 33
	ds_write2_b64 v98, v[13:14], v[15:16] offset0:68 offset1:69
	ds_write2_b64 v98, v[9:10], v[11:12] offset0:70 offset1:71
	;; [unrolled: 1-line block ×5, first 2 shown]
.LBB76_711:
	s_or_b64 exec, exec, s[0:1]
	v_cmp_lt_i32_e32 vcc, 33, v100
	s_waitcnt vmcnt(0) lgkmcnt(0)
	s_barrier
	s_and_saveexec_b64 s[0:1], vcc
	s_cbranch_execz .LBB76_713
; %bb.712:
	v_mul_f64 v[101:102], v[121:122], v[19:20]
	v_mul_f64 v[19:20], v[123:124], v[19:20]
	v_fma_f64 v[105:106], v[123:124], v[17:18], v[101:102]
	ds_read2_b64 v[101:104], v98 offset0:68 offset1:69
	v_fma_f64 v[17:18], v[121:122], v[17:18], -v[19:20]
	s_waitcnt lgkmcnt(0)
	v_mul_f64 v[19:20], v[103:104], v[105:106]
	v_fma_f64 v[19:20], v[101:102], v[17:18], -v[19:20]
	v_mul_f64 v[101:102], v[101:102], v[105:106]
	v_add_f64 v[13:14], v[13:14], -v[19:20]
	v_fma_f64 v[101:102], v[103:104], v[17:18], v[101:102]
	v_add_f64 v[15:16], v[15:16], -v[101:102]
	ds_read2_b64 v[101:104], v98 offset0:70 offset1:71
	s_waitcnt lgkmcnt(0)
	v_mul_f64 v[19:20], v[103:104], v[105:106]
	v_fma_f64 v[19:20], v[101:102], v[17:18], -v[19:20]
	v_mul_f64 v[101:102], v[101:102], v[105:106]
	v_add_f64 v[9:10], v[9:10], -v[19:20]
	v_fma_f64 v[101:102], v[103:104], v[17:18], v[101:102]
	v_add_f64 v[11:12], v[11:12], -v[101:102]
	ds_read2_b64 v[101:104], v98 offset0:72 offset1:73
	;; [unrolled: 8-line block ×4, first 2 shown]
	s_waitcnt lgkmcnt(0)
	v_mul_f64 v[19:20], v[103:104], v[105:106]
	v_fma_f64 v[19:20], v[101:102], v[17:18], -v[19:20]
	v_mul_f64 v[101:102], v[101:102], v[105:106]
	v_add_f64 v[113:114], v[113:114], -v[19:20]
	v_fma_f64 v[101:102], v[103:104], v[17:18], v[101:102]
	v_mov_b32_e32 v19, v105
	v_mov_b32_e32 v20, v106
	v_add_f64 v[115:116], v[115:116], -v[101:102]
.LBB76_713:
	s_or_b64 exec, exec, s[0:1]
	v_lshl_add_u32 v101, v100, 4, v98
	s_barrier
	ds_write2_b64 v101, v[13:14], v[15:16] offset1:1
	s_waitcnt lgkmcnt(0)
	s_barrier
	ds_read2_b64 v[121:124], v98 offset0:68 offset1:69
	s_cmp_lt_i32 s3, 36
	v_mov_b32_e32 v101, 34
	s_cbranch_scc1 .LBB76_716
; %bb.714:
	v_add_u32_e32 v102, 0x230, v98
	s_mov_b32 s0, 35
	v_mov_b32_e32 v101, 34
.LBB76_715:                             ; =>This Inner Loop Header: Depth=1
	s_waitcnt lgkmcnt(0)
	v_cmp_gt_f64_e32 vcc, 0, v[121:122]
	v_xor_b32_e32 v107, 0x80000000, v122
	ds_read2_b64 v[103:106], v102 offset1:1
	v_xor_b32_e32 v109, 0x80000000, v124
	v_add_u32_e32 v102, 16, v102
	s_waitcnt lgkmcnt(0)
	v_xor_b32_e32 v111, 0x80000000, v106
	v_cndmask_b32_e32 v108, v122, v107, vcc
	v_cmp_gt_f64_e32 vcc, 0, v[123:124]
	v_mov_b32_e32 v107, v121
	v_cndmask_b32_e32 v110, v124, v109, vcc
	v_cmp_gt_f64_e32 vcc, 0, v[103:104]
	v_mov_b32_e32 v109, v123
	v_add_f64 v[107:108], v[107:108], v[109:110]
	v_xor_b32_e32 v109, 0x80000000, v104
	v_cndmask_b32_e32 v110, v104, v109, vcc
	v_cmp_gt_f64_e32 vcc, 0, v[105:106]
	v_mov_b32_e32 v109, v103
	v_cndmask_b32_e32 v112, v106, v111, vcc
	v_mov_b32_e32 v111, v105
	v_add_f64 v[109:110], v[109:110], v[111:112]
	v_cmp_lt_f64_e32 vcc, v[107:108], v[109:110]
	v_cndmask_b32_e32 v121, v121, v103, vcc
	v_mov_b32_e32 v103, s0
	s_add_i32 s0, s0, 1
	v_cndmask_b32_e32 v122, v122, v104, vcc
	v_cndmask_b32_e32 v124, v124, v106, vcc
	;; [unrolled: 1-line block ×4, first 2 shown]
	s_cmp_lg_u32 s3, s0
	s_cbranch_scc1 .LBB76_715
.LBB76_716:
	s_waitcnt lgkmcnt(0)
	v_cmp_eq_f64_e32 vcc, 0, v[121:122]
	v_cmp_eq_f64_e64 s[0:1], 0, v[123:124]
	s_and_b64 s[0:1], vcc, s[0:1]
	s_and_saveexec_b64 s[18:19], s[0:1]
	s_xor_b64 s[0:1], exec, s[18:19]
; %bb.717:
	v_cmp_ne_u32_e32 vcc, 0, v99
	v_cndmask_b32_e32 v99, 35, v99, vcc
; %bb.718:
	s_andn2_saveexec_b64 s[0:1], s[0:1]
	s_cbranch_execz .LBB76_724
; %bb.719:
	v_cmp_ngt_f64_e64 s[18:19], |v[121:122]|, |v[123:124]|
	s_and_saveexec_b64 s[20:21], s[18:19]
	s_xor_b64 s[18:19], exec, s[20:21]
	s_cbranch_execz .LBB76_721
; %bb.720:
	v_div_scale_f64 v[102:103], s[20:21], v[123:124], v[123:124], v[121:122]
	v_rcp_f64_e32 v[104:105], v[102:103]
	v_fma_f64 v[106:107], -v[102:103], v[104:105], 1.0
	v_fma_f64 v[104:105], v[104:105], v[106:107], v[104:105]
	v_div_scale_f64 v[106:107], vcc, v[121:122], v[123:124], v[121:122]
	v_fma_f64 v[108:109], -v[102:103], v[104:105], 1.0
	v_fma_f64 v[104:105], v[104:105], v[108:109], v[104:105]
	v_mul_f64 v[108:109], v[106:107], v[104:105]
	v_fma_f64 v[102:103], -v[102:103], v[108:109], v[106:107]
	v_div_fmas_f64 v[102:103], v[102:103], v[104:105], v[108:109]
	v_div_fixup_f64 v[102:103], v[102:103], v[123:124], v[121:122]
	v_fma_f64 v[104:105], v[121:122], v[102:103], v[123:124]
	v_div_scale_f64 v[106:107], s[20:21], v[104:105], v[104:105], 1.0
	v_div_scale_f64 v[117:118], vcc, 1.0, v[104:105], 1.0
	v_rcp_f64_e32 v[108:109], v[106:107]
	v_fma_f64 v[110:111], -v[106:107], v[108:109], 1.0
	v_fma_f64 v[108:109], v[108:109], v[110:111], v[108:109]
	v_fma_f64 v[110:111], -v[106:107], v[108:109], 1.0
	v_fma_f64 v[108:109], v[108:109], v[110:111], v[108:109]
	v_mul_f64 v[110:111], v[117:118], v[108:109]
	v_fma_f64 v[106:107], -v[106:107], v[110:111], v[117:118]
	v_div_fmas_f64 v[106:107], v[106:107], v[108:109], v[110:111]
	v_div_fixup_f64 v[123:124], v[106:107], v[104:105], 1.0
	v_mul_f64 v[121:122], v[102:103], v[123:124]
	v_xor_b32_e32 v124, 0x80000000, v124
.LBB76_721:
	s_andn2_saveexec_b64 s[18:19], s[18:19]
	s_cbranch_execz .LBB76_723
; %bb.722:
	v_div_scale_f64 v[102:103], s[20:21], v[121:122], v[121:122], v[123:124]
	v_rcp_f64_e32 v[104:105], v[102:103]
	v_fma_f64 v[106:107], -v[102:103], v[104:105], 1.0
	v_fma_f64 v[104:105], v[104:105], v[106:107], v[104:105]
	v_div_scale_f64 v[106:107], vcc, v[123:124], v[121:122], v[123:124]
	v_fma_f64 v[108:109], -v[102:103], v[104:105], 1.0
	v_fma_f64 v[104:105], v[104:105], v[108:109], v[104:105]
	v_mul_f64 v[108:109], v[106:107], v[104:105]
	v_fma_f64 v[102:103], -v[102:103], v[108:109], v[106:107]
	v_div_fmas_f64 v[102:103], v[102:103], v[104:105], v[108:109]
	v_div_fixup_f64 v[102:103], v[102:103], v[121:122], v[123:124]
	v_fma_f64 v[104:105], v[123:124], v[102:103], v[121:122]
	v_div_scale_f64 v[106:107], s[20:21], v[104:105], v[104:105], 1.0
	v_div_scale_f64 v[117:118], vcc, 1.0, v[104:105], 1.0
	v_rcp_f64_e32 v[108:109], v[106:107]
	v_fma_f64 v[110:111], -v[106:107], v[108:109], 1.0
	v_fma_f64 v[108:109], v[108:109], v[110:111], v[108:109]
	v_fma_f64 v[110:111], -v[106:107], v[108:109], 1.0
	v_fma_f64 v[108:109], v[108:109], v[110:111], v[108:109]
	v_mul_f64 v[110:111], v[117:118], v[108:109]
	v_fma_f64 v[106:107], -v[106:107], v[110:111], v[117:118]
	v_div_fmas_f64 v[106:107], v[106:107], v[108:109], v[110:111]
	v_div_fixup_f64 v[121:122], v[106:107], v[104:105], 1.0
	v_mul_f64 v[123:124], v[102:103], -v[121:122]
.LBB76_723:
	s_or_b64 exec, exec, s[18:19]
.LBB76_724:
	s_or_b64 exec, exec, s[0:1]
	v_cmp_ne_u32_e32 vcc, v100, v101
	s_and_saveexec_b64 s[0:1], vcc
	s_xor_b64 s[0:1], exec, s[0:1]
	s_cbranch_execz .LBB76_730
; %bb.725:
	v_cmp_eq_u32_e32 vcc, 34, v100
	s_and_saveexec_b64 s[18:19], vcc
	s_cbranch_execz .LBB76_729
; %bb.726:
	v_cmp_ne_u32_e32 vcc, 34, v101
	s_xor_b64 s[20:21], s[6:7], -1
	s_and_b64 s[22:23], s[20:21], vcc
	s_and_saveexec_b64 s[20:21], s[22:23]
	s_cbranch_execz .LBB76_728
; %bb.727:
	v_ashrrev_i32_e32 v102, 31, v101
	v_lshlrev_b64 v[102:103], 2, v[101:102]
	v_add_co_u32_e32 v102, vcc, v119, v102
	v_addc_co_u32_e32 v103, vcc, v120, v103, vcc
	global_load_dword v0, v[102:103], off
	global_load_dword v100, v[119:120], off offset:136
	s_waitcnt vmcnt(1)
	global_store_dword v[119:120], v0, off offset:136
	s_waitcnt vmcnt(1)
	global_store_dword v[102:103], v100, off
.LBB76_728:
	s_or_b64 exec, exec, s[20:21]
	v_mov_b32_e32 v100, v101
	v_mov_b32_e32 v0, v101
.LBB76_729:
	s_or_b64 exec, exec, s[18:19]
.LBB76_730:
	s_andn2_saveexec_b64 s[0:1], s[0:1]
	s_cbranch_execz .LBB76_732
; %bb.731:
	v_mov_b32_e32 v100, 34
	ds_write2_b64 v98, v[9:10], v[11:12] offset0:70 offset1:71
	ds_write2_b64 v98, v[5:6], v[7:8] offset0:72 offset1:73
	;; [unrolled: 1-line block ×4, first 2 shown]
.LBB76_732:
	s_or_b64 exec, exec, s[0:1]
	v_cmp_lt_i32_e32 vcc, 34, v100
	s_waitcnt vmcnt(0) lgkmcnt(0)
	s_barrier
	s_and_saveexec_b64 s[0:1], vcc
	s_cbranch_execz .LBB76_734
; %bb.733:
	v_mul_f64 v[101:102], v[121:122], v[15:16]
	v_mul_f64 v[15:16], v[123:124], v[15:16]
	v_fma_f64 v[105:106], v[123:124], v[13:14], v[101:102]
	ds_read2_b64 v[101:104], v98 offset0:70 offset1:71
	v_fma_f64 v[13:14], v[121:122], v[13:14], -v[15:16]
	s_waitcnt lgkmcnt(0)
	v_mul_f64 v[15:16], v[103:104], v[105:106]
	v_fma_f64 v[15:16], v[101:102], v[13:14], -v[15:16]
	v_mul_f64 v[101:102], v[101:102], v[105:106]
	v_add_f64 v[9:10], v[9:10], -v[15:16]
	v_fma_f64 v[101:102], v[103:104], v[13:14], v[101:102]
	v_add_f64 v[11:12], v[11:12], -v[101:102]
	ds_read2_b64 v[101:104], v98 offset0:72 offset1:73
	s_waitcnt lgkmcnt(0)
	v_mul_f64 v[15:16], v[103:104], v[105:106]
	v_fma_f64 v[15:16], v[101:102], v[13:14], -v[15:16]
	v_mul_f64 v[101:102], v[101:102], v[105:106]
	v_add_f64 v[5:6], v[5:6], -v[15:16]
	v_fma_f64 v[101:102], v[103:104], v[13:14], v[101:102]
	v_add_f64 v[7:8], v[7:8], -v[101:102]
	ds_read2_b64 v[101:104], v98 offset0:74 offset1:75
	;; [unrolled: 8-line block ×3, first 2 shown]
	s_waitcnt lgkmcnt(0)
	v_mul_f64 v[15:16], v[103:104], v[105:106]
	v_fma_f64 v[15:16], v[101:102], v[13:14], -v[15:16]
	v_mul_f64 v[101:102], v[101:102], v[105:106]
	v_add_f64 v[113:114], v[113:114], -v[15:16]
	v_fma_f64 v[101:102], v[103:104], v[13:14], v[101:102]
	v_mov_b32_e32 v15, v105
	v_mov_b32_e32 v16, v106
	v_add_f64 v[115:116], v[115:116], -v[101:102]
.LBB76_734:
	s_or_b64 exec, exec, s[0:1]
	v_lshl_add_u32 v101, v100, 4, v98
	s_barrier
	ds_write2_b64 v101, v[9:10], v[11:12] offset1:1
	s_waitcnt lgkmcnt(0)
	s_barrier
	ds_read2_b64 v[121:124], v98 offset0:70 offset1:71
	s_cmp_lt_i32 s3, 37
	v_mov_b32_e32 v101, 35
	s_cbranch_scc1 .LBB76_737
; %bb.735:
	v_add_u32_e32 v102, 0x240, v98
	s_mov_b32 s0, 36
	v_mov_b32_e32 v101, 35
.LBB76_736:                             ; =>This Inner Loop Header: Depth=1
	s_waitcnt lgkmcnt(0)
	v_cmp_gt_f64_e32 vcc, 0, v[121:122]
	v_xor_b32_e32 v107, 0x80000000, v122
	ds_read2_b64 v[103:106], v102 offset1:1
	v_xor_b32_e32 v109, 0x80000000, v124
	v_add_u32_e32 v102, 16, v102
	s_waitcnt lgkmcnt(0)
	v_xor_b32_e32 v111, 0x80000000, v106
	v_cndmask_b32_e32 v108, v122, v107, vcc
	v_cmp_gt_f64_e32 vcc, 0, v[123:124]
	v_mov_b32_e32 v107, v121
	v_cndmask_b32_e32 v110, v124, v109, vcc
	v_cmp_gt_f64_e32 vcc, 0, v[103:104]
	v_mov_b32_e32 v109, v123
	v_add_f64 v[107:108], v[107:108], v[109:110]
	v_xor_b32_e32 v109, 0x80000000, v104
	v_cndmask_b32_e32 v110, v104, v109, vcc
	v_cmp_gt_f64_e32 vcc, 0, v[105:106]
	v_mov_b32_e32 v109, v103
	v_cndmask_b32_e32 v112, v106, v111, vcc
	v_mov_b32_e32 v111, v105
	v_add_f64 v[109:110], v[109:110], v[111:112]
	v_cmp_lt_f64_e32 vcc, v[107:108], v[109:110]
	v_cndmask_b32_e32 v121, v121, v103, vcc
	v_mov_b32_e32 v103, s0
	s_add_i32 s0, s0, 1
	v_cndmask_b32_e32 v122, v122, v104, vcc
	v_cndmask_b32_e32 v124, v124, v106, vcc
	;; [unrolled: 1-line block ×4, first 2 shown]
	s_cmp_lg_u32 s3, s0
	s_cbranch_scc1 .LBB76_736
.LBB76_737:
	s_waitcnt lgkmcnt(0)
	v_cmp_eq_f64_e32 vcc, 0, v[121:122]
	v_cmp_eq_f64_e64 s[0:1], 0, v[123:124]
	s_and_b64 s[0:1], vcc, s[0:1]
	s_and_saveexec_b64 s[18:19], s[0:1]
	s_xor_b64 s[0:1], exec, s[18:19]
; %bb.738:
	v_cmp_ne_u32_e32 vcc, 0, v99
	v_cndmask_b32_e32 v99, 36, v99, vcc
; %bb.739:
	s_andn2_saveexec_b64 s[0:1], s[0:1]
	s_cbranch_execz .LBB76_745
; %bb.740:
	v_cmp_ngt_f64_e64 s[18:19], |v[121:122]|, |v[123:124]|
	s_and_saveexec_b64 s[20:21], s[18:19]
	s_xor_b64 s[18:19], exec, s[20:21]
	s_cbranch_execz .LBB76_742
; %bb.741:
	v_div_scale_f64 v[102:103], s[20:21], v[123:124], v[123:124], v[121:122]
	v_rcp_f64_e32 v[104:105], v[102:103]
	v_fma_f64 v[106:107], -v[102:103], v[104:105], 1.0
	v_fma_f64 v[104:105], v[104:105], v[106:107], v[104:105]
	v_div_scale_f64 v[106:107], vcc, v[121:122], v[123:124], v[121:122]
	v_fma_f64 v[108:109], -v[102:103], v[104:105], 1.0
	v_fma_f64 v[104:105], v[104:105], v[108:109], v[104:105]
	v_mul_f64 v[108:109], v[106:107], v[104:105]
	v_fma_f64 v[102:103], -v[102:103], v[108:109], v[106:107]
	v_div_fmas_f64 v[102:103], v[102:103], v[104:105], v[108:109]
	v_div_fixup_f64 v[102:103], v[102:103], v[123:124], v[121:122]
	v_fma_f64 v[104:105], v[121:122], v[102:103], v[123:124]
	v_div_scale_f64 v[106:107], s[20:21], v[104:105], v[104:105], 1.0
	v_div_scale_f64 v[117:118], vcc, 1.0, v[104:105], 1.0
	v_rcp_f64_e32 v[108:109], v[106:107]
	v_fma_f64 v[110:111], -v[106:107], v[108:109], 1.0
	v_fma_f64 v[108:109], v[108:109], v[110:111], v[108:109]
	v_fma_f64 v[110:111], -v[106:107], v[108:109], 1.0
	v_fma_f64 v[108:109], v[108:109], v[110:111], v[108:109]
	v_mul_f64 v[110:111], v[117:118], v[108:109]
	v_fma_f64 v[106:107], -v[106:107], v[110:111], v[117:118]
	v_div_fmas_f64 v[106:107], v[106:107], v[108:109], v[110:111]
	v_div_fixup_f64 v[123:124], v[106:107], v[104:105], 1.0
	v_mul_f64 v[121:122], v[102:103], v[123:124]
	v_xor_b32_e32 v124, 0x80000000, v124
.LBB76_742:
	s_andn2_saveexec_b64 s[18:19], s[18:19]
	s_cbranch_execz .LBB76_744
; %bb.743:
	v_div_scale_f64 v[102:103], s[20:21], v[121:122], v[121:122], v[123:124]
	v_rcp_f64_e32 v[104:105], v[102:103]
	v_fma_f64 v[106:107], -v[102:103], v[104:105], 1.0
	v_fma_f64 v[104:105], v[104:105], v[106:107], v[104:105]
	v_div_scale_f64 v[106:107], vcc, v[123:124], v[121:122], v[123:124]
	v_fma_f64 v[108:109], -v[102:103], v[104:105], 1.0
	v_fma_f64 v[104:105], v[104:105], v[108:109], v[104:105]
	v_mul_f64 v[108:109], v[106:107], v[104:105]
	v_fma_f64 v[102:103], -v[102:103], v[108:109], v[106:107]
	v_div_fmas_f64 v[102:103], v[102:103], v[104:105], v[108:109]
	v_div_fixup_f64 v[102:103], v[102:103], v[121:122], v[123:124]
	v_fma_f64 v[104:105], v[123:124], v[102:103], v[121:122]
	v_div_scale_f64 v[106:107], s[20:21], v[104:105], v[104:105], 1.0
	v_div_scale_f64 v[117:118], vcc, 1.0, v[104:105], 1.0
	v_rcp_f64_e32 v[108:109], v[106:107]
	v_fma_f64 v[110:111], -v[106:107], v[108:109], 1.0
	v_fma_f64 v[108:109], v[108:109], v[110:111], v[108:109]
	v_fma_f64 v[110:111], -v[106:107], v[108:109], 1.0
	v_fma_f64 v[108:109], v[108:109], v[110:111], v[108:109]
	v_mul_f64 v[110:111], v[117:118], v[108:109]
	v_fma_f64 v[106:107], -v[106:107], v[110:111], v[117:118]
	v_div_fmas_f64 v[106:107], v[106:107], v[108:109], v[110:111]
	v_div_fixup_f64 v[121:122], v[106:107], v[104:105], 1.0
	v_mul_f64 v[123:124], v[102:103], -v[121:122]
.LBB76_744:
	s_or_b64 exec, exec, s[18:19]
.LBB76_745:
	s_or_b64 exec, exec, s[0:1]
	v_cmp_ne_u32_e32 vcc, v100, v101
	s_and_saveexec_b64 s[0:1], vcc
	s_xor_b64 s[0:1], exec, s[0:1]
	s_cbranch_execz .LBB76_751
; %bb.746:
	v_cmp_eq_u32_e32 vcc, 35, v100
	s_and_saveexec_b64 s[18:19], vcc
	s_cbranch_execz .LBB76_750
; %bb.747:
	v_cmp_ne_u32_e32 vcc, 35, v101
	s_xor_b64 s[20:21], s[6:7], -1
	s_and_b64 s[22:23], s[20:21], vcc
	s_and_saveexec_b64 s[20:21], s[22:23]
	s_cbranch_execz .LBB76_749
; %bb.748:
	v_ashrrev_i32_e32 v102, 31, v101
	v_lshlrev_b64 v[102:103], 2, v[101:102]
	v_add_co_u32_e32 v102, vcc, v119, v102
	v_addc_co_u32_e32 v103, vcc, v120, v103, vcc
	global_load_dword v0, v[102:103], off
	global_load_dword v100, v[119:120], off offset:140
	s_waitcnt vmcnt(1)
	global_store_dword v[119:120], v0, off offset:140
	s_waitcnt vmcnt(1)
	global_store_dword v[102:103], v100, off
.LBB76_749:
	s_or_b64 exec, exec, s[20:21]
	v_mov_b32_e32 v100, v101
	v_mov_b32_e32 v0, v101
.LBB76_750:
	s_or_b64 exec, exec, s[18:19]
.LBB76_751:
	s_andn2_saveexec_b64 s[0:1], s[0:1]
	s_cbranch_execz .LBB76_753
; %bb.752:
	v_mov_b32_e32 v100, 35
	ds_write2_b64 v98, v[5:6], v[7:8] offset0:72 offset1:73
	ds_write2_b64 v98, v[1:2], v[3:4] offset0:74 offset1:75
	;; [unrolled: 1-line block ×3, first 2 shown]
.LBB76_753:
	s_or_b64 exec, exec, s[0:1]
	v_cmp_lt_i32_e32 vcc, 35, v100
	s_waitcnt vmcnt(0) lgkmcnt(0)
	s_barrier
	s_and_saveexec_b64 s[0:1], vcc
	s_cbranch_execz .LBB76_755
; %bb.754:
	v_mul_f64 v[101:102], v[121:122], v[11:12]
	v_mul_f64 v[11:12], v[123:124], v[11:12]
	v_fma_f64 v[105:106], v[123:124], v[9:10], v[101:102]
	ds_read2_b64 v[101:104], v98 offset0:72 offset1:73
	v_fma_f64 v[9:10], v[121:122], v[9:10], -v[11:12]
	s_waitcnt lgkmcnt(0)
	v_mul_f64 v[11:12], v[103:104], v[105:106]
	v_fma_f64 v[11:12], v[101:102], v[9:10], -v[11:12]
	v_mul_f64 v[101:102], v[101:102], v[105:106]
	v_add_f64 v[5:6], v[5:6], -v[11:12]
	v_fma_f64 v[101:102], v[103:104], v[9:10], v[101:102]
	v_add_f64 v[7:8], v[7:8], -v[101:102]
	ds_read2_b64 v[101:104], v98 offset0:74 offset1:75
	s_waitcnt lgkmcnt(0)
	v_mul_f64 v[11:12], v[103:104], v[105:106]
	v_fma_f64 v[11:12], v[101:102], v[9:10], -v[11:12]
	v_mul_f64 v[101:102], v[101:102], v[105:106]
	v_add_f64 v[1:2], v[1:2], -v[11:12]
	v_fma_f64 v[101:102], v[103:104], v[9:10], v[101:102]
	v_add_f64 v[3:4], v[3:4], -v[101:102]
	ds_read2_b64 v[101:104], v98 offset0:76 offset1:77
	s_waitcnt lgkmcnt(0)
	v_mul_f64 v[11:12], v[103:104], v[105:106]
	v_fma_f64 v[11:12], v[101:102], v[9:10], -v[11:12]
	v_mul_f64 v[101:102], v[101:102], v[105:106]
	v_add_f64 v[113:114], v[113:114], -v[11:12]
	v_fma_f64 v[101:102], v[103:104], v[9:10], v[101:102]
	v_mov_b32_e32 v11, v105
	v_mov_b32_e32 v12, v106
	v_add_f64 v[115:116], v[115:116], -v[101:102]
.LBB76_755:
	s_or_b64 exec, exec, s[0:1]
	v_lshl_add_u32 v101, v100, 4, v98
	s_barrier
	ds_write2_b64 v101, v[5:6], v[7:8] offset1:1
	s_waitcnt lgkmcnt(0)
	s_barrier
	ds_read2_b64 v[121:124], v98 offset0:72 offset1:73
	s_cmp_lt_i32 s3, 38
	v_mov_b32_e32 v101, 36
	s_cbranch_scc1 .LBB76_758
; %bb.756:
	v_add_u32_e32 v102, 0x250, v98
	s_mov_b32 s0, 37
	v_mov_b32_e32 v101, 36
.LBB76_757:                             ; =>This Inner Loop Header: Depth=1
	s_waitcnt lgkmcnt(0)
	v_cmp_gt_f64_e32 vcc, 0, v[121:122]
	v_xor_b32_e32 v107, 0x80000000, v122
	ds_read2_b64 v[103:106], v102 offset1:1
	v_xor_b32_e32 v109, 0x80000000, v124
	v_add_u32_e32 v102, 16, v102
	s_waitcnt lgkmcnt(0)
	v_xor_b32_e32 v111, 0x80000000, v106
	v_cndmask_b32_e32 v108, v122, v107, vcc
	v_cmp_gt_f64_e32 vcc, 0, v[123:124]
	v_mov_b32_e32 v107, v121
	v_cndmask_b32_e32 v110, v124, v109, vcc
	v_cmp_gt_f64_e32 vcc, 0, v[103:104]
	v_mov_b32_e32 v109, v123
	v_add_f64 v[107:108], v[107:108], v[109:110]
	v_xor_b32_e32 v109, 0x80000000, v104
	v_cndmask_b32_e32 v110, v104, v109, vcc
	v_cmp_gt_f64_e32 vcc, 0, v[105:106]
	v_mov_b32_e32 v109, v103
	v_cndmask_b32_e32 v112, v106, v111, vcc
	v_mov_b32_e32 v111, v105
	v_add_f64 v[109:110], v[109:110], v[111:112]
	v_cmp_lt_f64_e32 vcc, v[107:108], v[109:110]
	v_cndmask_b32_e32 v121, v121, v103, vcc
	v_mov_b32_e32 v103, s0
	s_add_i32 s0, s0, 1
	v_cndmask_b32_e32 v122, v122, v104, vcc
	v_cndmask_b32_e32 v124, v124, v106, vcc
	;; [unrolled: 1-line block ×4, first 2 shown]
	s_cmp_lg_u32 s3, s0
	s_cbranch_scc1 .LBB76_757
.LBB76_758:
	s_waitcnt lgkmcnt(0)
	v_cmp_eq_f64_e32 vcc, 0, v[121:122]
	v_cmp_eq_f64_e64 s[0:1], 0, v[123:124]
	s_and_b64 s[0:1], vcc, s[0:1]
	s_and_saveexec_b64 s[18:19], s[0:1]
	s_xor_b64 s[0:1], exec, s[18:19]
; %bb.759:
	v_cmp_ne_u32_e32 vcc, 0, v99
	v_cndmask_b32_e32 v99, 37, v99, vcc
; %bb.760:
	s_andn2_saveexec_b64 s[0:1], s[0:1]
	s_cbranch_execz .LBB76_766
; %bb.761:
	v_cmp_ngt_f64_e64 s[18:19], |v[121:122]|, |v[123:124]|
	s_and_saveexec_b64 s[20:21], s[18:19]
	s_xor_b64 s[18:19], exec, s[20:21]
	s_cbranch_execz .LBB76_763
; %bb.762:
	v_div_scale_f64 v[102:103], s[20:21], v[123:124], v[123:124], v[121:122]
	v_rcp_f64_e32 v[104:105], v[102:103]
	v_fma_f64 v[106:107], -v[102:103], v[104:105], 1.0
	v_fma_f64 v[104:105], v[104:105], v[106:107], v[104:105]
	v_div_scale_f64 v[106:107], vcc, v[121:122], v[123:124], v[121:122]
	v_fma_f64 v[108:109], -v[102:103], v[104:105], 1.0
	v_fma_f64 v[104:105], v[104:105], v[108:109], v[104:105]
	v_mul_f64 v[108:109], v[106:107], v[104:105]
	v_fma_f64 v[102:103], -v[102:103], v[108:109], v[106:107]
	v_div_fmas_f64 v[102:103], v[102:103], v[104:105], v[108:109]
	v_div_fixup_f64 v[102:103], v[102:103], v[123:124], v[121:122]
	v_fma_f64 v[104:105], v[121:122], v[102:103], v[123:124]
	v_div_scale_f64 v[106:107], s[20:21], v[104:105], v[104:105], 1.0
	v_div_scale_f64 v[117:118], vcc, 1.0, v[104:105], 1.0
	v_rcp_f64_e32 v[108:109], v[106:107]
	v_fma_f64 v[110:111], -v[106:107], v[108:109], 1.0
	v_fma_f64 v[108:109], v[108:109], v[110:111], v[108:109]
	v_fma_f64 v[110:111], -v[106:107], v[108:109], 1.0
	v_fma_f64 v[108:109], v[108:109], v[110:111], v[108:109]
	v_mul_f64 v[110:111], v[117:118], v[108:109]
	v_fma_f64 v[106:107], -v[106:107], v[110:111], v[117:118]
	v_div_fmas_f64 v[106:107], v[106:107], v[108:109], v[110:111]
	v_div_fixup_f64 v[123:124], v[106:107], v[104:105], 1.0
	v_mul_f64 v[121:122], v[102:103], v[123:124]
	v_xor_b32_e32 v124, 0x80000000, v124
.LBB76_763:
	s_andn2_saveexec_b64 s[18:19], s[18:19]
	s_cbranch_execz .LBB76_765
; %bb.764:
	v_div_scale_f64 v[102:103], s[20:21], v[121:122], v[121:122], v[123:124]
	v_rcp_f64_e32 v[104:105], v[102:103]
	v_fma_f64 v[106:107], -v[102:103], v[104:105], 1.0
	v_fma_f64 v[104:105], v[104:105], v[106:107], v[104:105]
	v_div_scale_f64 v[106:107], vcc, v[123:124], v[121:122], v[123:124]
	v_fma_f64 v[108:109], -v[102:103], v[104:105], 1.0
	v_fma_f64 v[104:105], v[104:105], v[108:109], v[104:105]
	v_mul_f64 v[108:109], v[106:107], v[104:105]
	v_fma_f64 v[102:103], -v[102:103], v[108:109], v[106:107]
	v_div_fmas_f64 v[102:103], v[102:103], v[104:105], v[108:109]
	v_div_fixup_f64 v[102:103], v[102:103], v[121:122], v[123:124]
	v_fma_f64 v[104:105], v[123:124], v[102:103], v[121:122]
	v_div_scale_f64 v[106:107], s[20:21], v[104:105], v[104:105], 1.0
	v_div_scale_f64 v[117:118], vcc, 1.0, v[104:105], 1.0
	v_rcp_f64_e32 v[108:109], v[106:107]
	v_fma_f64 v[110:111], -v[106:107], v[108:109], 1.0
	v_fma_f64 v[108:109], v[108:109], v[110:111], v[108:109]
	v_fma_f64 v[110:111], -v[106:107], v[108:109], 1.0
	v_fma_f64 v[108:109], v[108:109], v[110:111], v[108:109]
	v_mul_f64 v[110:111], v[117:118], v[108:109]
	v_fma_f64 v[106:107], -v[106:107], v[110:111], v[117:118]
	v_div_fmas_f64 v[106:107], v[106:107], v[108:109], v[110:111]
	v_div_fixup_f64 v[121:122], v[106:107], v[104:105], 1.0
	v_mul_f64 v[123:124], v[102:103], -v[121:122]
.LBB76_765:
	s_or_b64 exec, exec, s[18:19]
.LBB76_766:
	s_or_b64 exec, exec, s[0:1]
	v_cmp_ne_u32_e32 vcc, v100, v101
	s_and_saveexec_b64 s[0:1], vcc
	s_xor_b64 s[0:1], exec, s[0:1]
	s_cbranch_execz .LBB76_772
; %bb.767:
	v_cmp_eq_u32_e32 vcc, 36, v100
	s_and_saveexec_b64 s[18:19], vcc
	s_cbranch_execz .LBB76_771
; %bb.768:
	v_cmp_ne_u32_e32 vcc, 36, v101
	s_xor_b64 s[20:21], s[6:7], -1
	s_and_b64 s[22:23], s[20:21], vcc
	s_and_saveexec_b64 s[20:21], s[22:23]
	s_cbranch_execz .LBB76_770
; %bb.769:
	v_ashrrev_i32_e32 v102, 31, v101
	v_lshlrev_b64 v[102:103], 2, v[101:102]
	v_add_co_u32_e32 v102, vcc, v119, v102
	v_addc_co_u32_e32 v103, vcc, v120, v103, vcc
	global_load_dword v0, v[102:103], off
	global_load_dword v100, v[119:120], off offset:144
	s_waitcnt vmcnt(1)
	global_store_dword v[119:120], v0, off offset:144
	s_waitcnt vmcnt(1)
	global_store_dword v[102:103], v100, off
.LBB76_770:
	s_or_b64 exec, exec, s[20:21]
	v_mov_b32_e32 v100, v101
	v_mov_b32_e32 v0, v101
.LBB76_771:
	s_or_b64 exec, exec, s[18:19]
.LBB76_772:
	s_andn2_saveexec_b64 s[0:1], s[0:1]
	s_cbranch_execz .LBB76_774
; %bb.773:
	v_mov_b32_e32 v100, 36
	ds_write2_b64 v98, v[1:2], v[3:4] offset0:74 offset1:75
	ds_write2_b64 v98, v[113:114], v[115:116] offset0:76 offset1:77
.LBB76_774:
	s_or_b64 exec, exec, s[0:1]
	v_cmp_lt_i32_e32 vcc, 36, v100
	s_waitcnt vmcnt(0) lgkmcnt(0)
	s_barrier
	s_and_saveexec_b64 s[0:1], vcc
	s_cbranch_execz .LBB76_776
; %bb.775:
	v_mul_f64 v[101:102], v[121:122], v[7:8]
	v_mul_f64 v[7:8], v[123:124], v[7:8]
	v_fma_f64 v[105:106], v[123:124], v[5:6], v[101:102]
	ds_read2_b64 v[101:104], v98 offset0:74 offset1:75
	v_fma_f64 v[5:6], v[121:122], v[5:6], -v[7:8]
	s_waitcnt lgkmcnt(0)
	v_mul_f64 v[7:8], v[103:104], v[105:106]
	v_fma_f64 v[7:8], v[101:102], v[5:6], -v[7:8]
	v_mul_f64 v[101:102], v[101:102], v[105:106]
	v_add_f64 v[1:2], v[1:2], -v[7:8]
	v_fma_f64 v[101:102], v[103:104], v[5:6], v[101:102]
	v_add_f64 v[3:4], v[3:4], -v[101:102]
	ds_read2_b64 v[101:104], v98 offset0:76 offset1:77
	s_waitcnt lgkmcnt(0)
	v_mul_f64 v[7:8], v[103:104], v[105:106]
	v_fma_f64 v[7:8], v[101:102], v[5:6], -v[7:8]
	v_mul_f64 v[101:102], v[101:102], v[105:106]
	v_add_f64 v[113:114], v[113:114], -v[7:8]
	v_fma_f64 v[101:102], v[103:104], v[5:6], v[101:102]
	v_mov_b32_e32 v7, v105
	v_mov_b32_e32 v8, v106
	v_add_f64 v[115:116], v[115:116], -v[101:102]
.LBB76_776:
	s_or_b64 exec, exec, s[0:1]
	v_lshl_add_u32 v101, v100, 4, v98
	s_barrier
	ds_write2_b64 v101, v[1:2], v[3:4] offset1:1
	s_waitcnt lgkmcnt(0)
	s_barrier
	ds_read2_b64 v[121:124], v98 offset0:74 offset1:75
	s_cmp_lt_i32 s3, 39
	v_mov_b32_e32 v101, 37
	s_cbranch_scc1 .LBB76_779
; %bb.777:
	v_add_u32_e32 v102, 0x260, v98
	s_mov_b32 s0, 38
	v_mov_b32_e32 v101, 37
.LBB76_778:                             ; =>This Inner Loop Header: Depth=1
	s_waitcnt lgkmcnt(0)
	v_cmp_gt_f64_e32 vcc, 0, v[121:122]
	v_xor_b32_e32 v107, 0x80000000, v122
	ds_read2_b64 v[103:106], v102 offset1:1
	v_xor_b32_e32 v109, 0x80000000, v124
	v_add_u32_e32 v102, 16, v102
	s_waitcnt lgkmcnt(0)
	v_xor_b32_e32 v111, 0x80000000, v106
	v_cndmask_b32_e32 v108, v122, v107, vcc
	v_cmp_gt_f64_e32 vcc, 0, v[123:124]
	v_mov_b32_e32 v107, v121
	v_cndmask_b32_e32 v110, v124, v109, vcc
	v_cmp_gt_f64_e32 vcc, 0, v[103:104]
	v_mov_b32_e32 v109, v123
	v_add_f64 v[107:108], v[107:108], v[109:110]
	v_xor_b32_e32 v109, 0x80000000, v104
	v_cndmask_b32_e32 v110, v104, v109, vcc
	v_cmp_gt_f64_e32 vcc, 0, v[105:106]
	v_mov_b32_e32 v109, v103
	v_cndmask_b32_e32 v112, v106, v111, vcc
	v_mov_b32_e32 v111, v105
	v_add_f64 v[109:110], v[109:110], v[111:112]
	v_cmp_lt_f64_e32 vcc, v[107:108], v[109:110]
	v_cndmask_b32_e32 v121, v121, v103, vcc
	v_mov_b32_e32 v103, s0
	s_add_i32 s0, s0, 1
	v_cndmask_b32_e32 v122, v122, v104, vcc
	v_cndmask_b32_e32 v124, v124, v106, vcc
	;; [unrolled: 1-line block ×4, first 2 shown]
	s_cmp_lg_u32 s3, s0
	s_cbranch_scc1 .LBB76_778
.LBB76_779:
	s_waitcnt lgkmcnt(0)
	v_cmp_eq_f64_e32 vcc, 0, v[121:122]
	v_cmp_eq_f64_e64 s[0:1], 0, v[123:124]
	s_and_b64 s[0:1], vcc, s[0:1]
	s_and_saveexec_b64 s[18:19], s[0:1]
	s_xor_b64 s[0:1], exec, s[18:19]
; %bb.780:
	v_cmp_ne_u32_e32 vcc, 0, v99
	v_cndmask_b32_e32 v99, 38, v99, vcc
; %bb.781:
	s_andn2_saveexec_b64 s[0:1], s[0:1]
	s_cbranch_execz .LBB76_787
; %bb.782:
	v_cmp_ngt_f64_e64 s[18:19], |v[121:122]|, |v[123:124]|
	s_and_saveexec_b64 s[20:21], s[18:19]
	s_xor_b64 s[18:19], exec, s[20:21]
	s_cbranch_execz .LBB76_784
; %bb.783:
	v_div_scale_f64 v[102:103], s[20:21], v[123:124], v[123:124], v[121:122]
	v_rcp_f64_e32 v[104:105], v[102:103]
	v_fma_f64 v[106:107], -v[102:103], v[104:105], 1.0
	v_fma_f64 v[104:105], v[104:105], v[106:107], v[104:105]
	v_div_scale_f64 v[106:107], vcc, v[121:122], v[123:124], v[121:122]
	v_fma_f64 v[108:109], -v[102:103], v[104:105], 1.0
	v_fma_f64 v[104:105], v[104:105], v[108:109], v[104:105]
	v_mul_f64 v[108:109], v[106:107], v[104:105]
	v_fma_f64 v[102:103], -v[102:103], v[108:109], v[106:107]
	v_div_fmas_f64 v[102:103], v[102:103], v[104:105], v[108:109]
	v_div_fixup_f64 v[102:103], v[102:103], v[123:124], v[121:122]
	v_fma_f64 v[104:105], v[121:122], v[102:103], v[123:124]
	v_div_scale_f64 v[106:107], s[20:21], v[104:105], v[104:105], 1.0
	v_div_scale_f64 v[117:118], vcc, 1.0, v[104:105], 1.0
	v_rcp_f64_e32 v[108:109], v[106:107]
	v_fma_f64 v[110:111], -v[106:107], v[108:109], 1.0
	v_fma_f64 v[108:109], v[108:109], v[110:111], v[108:109]
	v_fma_f64 v[110:111], -v[106:107], v[108:109], 1.0
	v_fma_f64 v[108:109], v[108:109], v[110:111], v[108:109]
	v_mul_f64 v[110:111], v[117:118], v[108:109]
	v_fma_f64 v[106:107], -v[106:107], v[110:111], v[117:118]
	v_div_fmas_f64 v[106:107], v[106:107], v[108:109], v[110:111]
	v_div_fixup_f64 v[123:124], v[106:107], v[104:105], 1.0
	v_mul_f64 v[121:122], v[102:103], v[123:124]
	v_xor_b32_e32 v124, 0x80000000, v124
.LBB76_784:
	s_andn2_saveexec_b64 s[18:19], s[18:19]
	s_cbranch_execz .LBB76_786
; %bb.785:
	v_div_scale_f64 v[102:103], s[20:21], v[121:122], v[121:122], v[123:124]
	v_rcp_f64_e32 v[104:105], v[102:103]
	v_fma_f64 v[106:107], -v[102:103], v[104:105], 1.0
	v_fma_f64 v[104:105], v[104:105], v[106:107], v[104:105]
	v_div_scale_f64 v[106:107], vcc, v[123:124], v[121:122], v[123:124]
	v_fma_f64 v[108:109], -v[102:103], v[104:105], 1.0
	v_fma_f64 v[104:105], v[104:105], v[108:109], v[104:105]
	v_mul_f64 v[108:109], v[106:107], v[104:105]
	v_fma_f64 v[102:103], -v[102:103], v[108:109], v[106:107]
	v_div_fmas_f64 v[102:103], v[102:103], v[104:105], v[108:109]
	v_div_fixup_f64 v[102:103], v[102:103], v[121:122], v[123:124]
	v_fma_f64 v[104:105], v[123:124], v[102:103], v[121:122]
	v_div_scale_f64 v[106:107], s[20:21], v[104:105], v[104:105], 1.0
	v_div_scale_f64 v[117:118], vcc, 1.0, v[104:105], 1.0
	v_rcp_f64_e32 v[108:109], v[106:107]
	v_fma_f64 v[110:111], -v[106:107], v[108:109], 1.0
	v_fma_f64 v[108:109], v[108:109], v[110:111], v[108:109]
	v_fma_f64 v[110:111], -v[106:107], v[108:109], 1.0
	v_fma_f64 v[108:109], v[108:109], v[110:111], v[108:109]
	v_mul_f64 v[110:111], v[117:118], v[108:109]
	v_fma_f64 v[106:107], -v[106:107], v[110:111], v[117:118]
	v_div_fmas_f64 v[106:107], v[106:107], v[108:109], v[110:111]
	v_div_fixup_f64 v[121:122], v[106:107], v[104:105], 1.0
	v_mul_f64 v[123:124], v[102:103], -v[121:122]
.LBB76_786:
	s_or_b64 exec, exec, s[18:19]
.LBB76_787:
	s_or_b64 exec, exec, s[0:1]
	v_cmp_ne_u32_e32 vcc, v100, v101
	s_and_saveexec_b64 s[0:1], vcc
	s_xor_b64 s[0:1], exec, s[0:1]
	s_cbranch_execz .LBB76_793
; %bb.788:
	v_cmp_eq_u32_e32 vcc, 37, v100
	s_and_saveexec_b64 s[18:19], vcc
	s_cbranch_execz .LBB76_792
; %bb.789:
	v_cmp_ne_u32_e32 vcc, 37, v101
	s_xor_b64 s[20:21], s[6:7], -1
	s_and_b64 s[22:23], s[20:21], vcc
	s_and_saveexec_b64 s[20:21], s[22:23]
	s_cbranch_execz .LBB76_791
; %bb.790:
	v_ashrrev_i32_e32 v102, 31, v101
	v_lshlrev_b64 v[102:103], 2, v[101:102]
	v_add_co_u32_e32 v102, vcc, v119, v102
	v_addc_co_u32_e32 v103, vcc, v120, v103, vcc
	global_load_dword v0, v[102:103], off
	global_load_dword v100, v[119:120], off offset:148
	s_waitcnt vmcnt(1)
	global_store_dword v[119:120], v0, off offset:148
	s_waitcnt vmcnt(1)
	global_store_dword v[102:103], v100, off
.LBB76_791:
	s_or_b64 exec, exec, s[20:21]
	v_mov_b32_e32 v100, v101
	v_mov_b32_e32 v0, v101
.LBB76_792:
	s_or_b64 exec, exec, s[18:19]
.LBB76_793:
	s_andn2_saveexec_b64 s[0:1], s[0:1]
; %bb.794:
	v_mov_b32_e32 v100, 37
	ds_write2_b64 v98, v[113:114], v[115:116] offset0:76 offset1:77
; %bb.795:
	s_or_b64 exec, exec, s[0:1]
	v_cmp_lt_i32_e32 vcc, 37, v100
	s_waitcnt vmcnt(0) lgkmcnt(0)
	s_barrier
	s_and_saveexec_b64 s[0:1], vcc
	s_cbranch_execz .LBB76_797
; %bb.796:
	v_mul_f64 v[101:102], v[121:122], v[3:4]
	v_mul_f64 v[3:4], v[123:124], v[3:4]
	v_fma_f64 v[105:106], v[123:124], v[1:2], v[101:102]
	ds_read2_b64 v[101:104], v98 offset0:76 offset1:77
	v_fma_f64 v[1:2], v[121:122], v[1:2], -v[3:4]
	s_waitcnt lgkmcnt(0)
	v_mul_f64 v[3:4], v[103:104], v[105:106]
	v_fma_f64 v[3:4], v[101:102], v[1:2], -v[3:4]
	v_mul_f64 v[101:102], v[101:102], v[105:106]
	v_add_f64 v[113:114], v[113:114], -v[3:4]
	v_fma_f64 v[101:102], v[103:104], v[1:2], v[101:102]
	v_mov_b32_e32 v3, v105
	v_mov_b32_e32 v4, v106
	v_add_f64 v[115:116], v[115:116], -v[101:102]
.LBB76_797:
	s_or_b64 exec, exec, s[0:1]
	v_lshl_add_u32 v101, v100, 4, v98
	s_barrier
	ds_write2_b64 v101, v[113:114], v[115:116] offset1:1
	s_waitcnt lgkmcnt(0)
	s_barrier
	ds_read2_b64 v[121:124], v98 offset0:76 offset1:77
	s_cmp_lt_i32 s3, 40
	v_mov_b32_e32 v101, 38
	s_cbranch_scc1 .LBB76_800
; %bb.798:
	v_add_u32_e32 v98, 0x270, v98
	s_mov_b32 s0, 39
	v_mov_b32_e32 v101, 38
.LBB76_799:                             ; =>This Inner Loop Header: Depth=1
	s_waitcnt lgkmcnt(0)
	v_cmp_gt_f64_e32 vcc, 0, v[121:122]
	v_xor_b32_e32 v106, 0x80000000, v122
	ds_read2_b64 v[102:105], v98 offset1:1
	v_xor_b32_e32 v108, 0x80000000, v124
	v_add_u32_e32 v98, 16, v98
	s_waitcnt lgkmcnt(0)
	v_xor_b32_e32 v110, 0x80000000, v105
	v_cndmask_b32_e32 v107, v122, v106, vcc
	v_cmp_gt_f64_e32 vcc, 0, v[123:124]
	v_mov_b32_e32 v106, v121
	v_cndmask_b32_e32 v109, v124, v108, vcc
	v_cmp_gt_f64_e32 vcc, 0, v[102:103]
	v_mov_b32_e32 v108, v123
	v_add_f64 v[106:107], v[106:107], v[108:109]
	v_xor_b32_e32 v108, 0x80000000, v103
	v_cndmask_b32_e32 v109, v103, v108, vcc
	v_cmp_gt_f64_e32 vcc, 0, v[104:105]
	v_mov_b32_e32 v108, v102
	v_cndmask_b32_e32 v111, v105, v110, vcc
	v_mov_b32_e32 v110, v104
	v_add_f64 v[108:109], v[108:109], v[110:111]
	v_cmp_lt_f64_e32 vcc, v[106:107], v[108:109]
	v_cndmask_b32_e32 v121, v121, v102, vcc
	v_mov_b32_e32 v102, s0
	s_add_i32 s0, s0, 1
	v_cndmask_b32_e32 v122, v122, v103, vcc
	v_cndmask_b32_e32 v124, v124, v105, vcc
	;; [unrolled: 1-line block ×4, first 2 shown]
	s_cmp_lg_u32 s3, s0
	s_cbranch_scc1 .LBB76_799
.LBB76_800:
	s_waitcnt lgkmcnt(0)
	v_cmp_eq_f64_e32 vcc, 0, v[121:122]
	v_cmp_eq_f64_e64 s[0:1], 0, v[123:124]
	s_and_b64 s[0:1], vcc, s[0:1]
	s_and_saveexec_b64 s[18:19], s[0:1]
	s_xor_b64 s[0:1], exec, s[18:19]
; %bb.801:
	v_cmp_ne_u32_e32 vcc, 0, v99
	v_cndmask_b32_e32 v99, 39, v99, vcc
; %bb.802:
	s_andn2_saveexec_b64 s[0:1], s[0:1]
	s_cbranch_execz .LBB76_808
; %bb.803:
	v_cmp_ngt_f64_e64 s[18:19], |v[121:122]|, |v[123:124]|
	s_and_saveexec_b64 s[20:21], s[18:19]
	s_xor_b64 s[18:19], exec, s[20:21]
	s_cbranch_execz .LBB76_805
; %bb.804:
	v_div_scale_f64 v[102:103], s[20:21], v[123:124], v[123:124], v[121:122]
	v_rcp_f64_e32 v[104:105], v[102:103]
	v_fma_f64 v[106:107], -v[102:103], v[104:105], 1.0
	v_fma_f64 v[104:105], v[104:105], v[106:107], v[104:105]
	v_div_scale_f64 v[106:107], vcc, v[121:122], v[123:124], v[121:122]
	v_fma_f64 v[108:109], -v[102:103], v[104:105], 1.0
	v_fma_f64 v[104:105], v[104:105], v[108:109], v[104:105]
	v_mul_f64 v[108:109], v[106:107], v[104:105]
	v_fma_f64 v[102:103], -v[102:103], v[108:109], v[106:107]
	v_div_fmas_f64 v[102:103], v[102:103], v[104:105], v[108:109]
	v_div_fixup_f64 v[102:103], v[102:103], v[123:124], v[121:122]
	v_fma_f64 v[104:105], v[121:122], v[102:103], v[123:124]
	v_div_scale_f64 v[106:107], s[20:21], v[104:105], v[104:105], 1.0
	v_div_scale_f64 v[117:118], vcc, 1.0, v[104:105], 1.0
	v_rcp_f64_e32 v[108:109], v[106:107]
	v_fma_f64 v[110:111], -v[106:107], v[108:109], 1.0
	v_fma_f64 v[108:109], v[108:109], v[110:111], v[108:109]
	v_fma_f64 v[110:111], -v[106:107], v[108:109], 1.0
	v_fma_f64 v[108:109], v[108:109], v[110:111], v[108:109]
	v_mul_f64 v[110:111], v[117:118], v[108:109]
	v_fma_f64 v[106:107], -v[106:107], v[110:111], v[117:118]
	v_div_fmas_f64 v[106:107], v[106:107], v[108:109], v[110:111]
	v_div_fixup_f64 v[123:124], v[106:107], v[104:105], 1.0
	v_mul_f64 v[121:122], v[102:103], v[123:124]
	v_xor_b32_e32 v124, 0x80000000, v124
.LBB76_805:
	s_andn2_saveexec_b64 s[18:19], s[18:19]
	s_cbranch_execz .LBB76_807
; %bb.806:
	v_div_scale_f64 v[102:103], s[20:21], v[121:122], v[121:122], v[123:124]
	v_rcp_f64_e32 v[104:105], v[102:103]
	v_fma_f64 v[106:107], -v[102:103], v[104:105], 1.0
	v_fma_f64 v[104:105], v[104:105], v[106:107], v[104:105]
	v_div_scale_f64 v[106:107], vcc, v[123:124], v[121:122], v[123:124]
	v_fma_f64 v[108:109], -v[102:103], v[104:105], 1.0
	v_fma_f64 v[104:105], v[104:105], v[108:109], v[104:105]
	v_mul_f64 v[108:109], v[106:107], v[104:105]
	v_fma_f64 v[102:103], -v[102:103], v[108:109], v[106:107]
	v_div_fmas_f64 v[102:103], v[102:103], v[104:105], v[108:109]
	v_div_fixup_f64 v[102:103], v[102:103], v[121:122], v[123:124]
	v_fma_f64 v[104:105], v[123:124], v[102:103], v[121:122]
	v_div_scale_f64 v[106:107], s[20:21], v[104:105], v[104:105], 1.0
	v_div_scale_f64 v[117:118], vcc, 1.0, v[104:105], 1.0
	v_rcp_f64_e32 v[108:109], v[106:107]
	v_fma_f64 v[110:111], -v[106:107], v[108:109], 1.0
	v_fma_f64 v[108:109], v[108:109], v[110:111], v[108:109]
	v_fma_f64 v[110:111], -v[106:107], v[108:109], 1.0
	v_fma_f64 v[108:109], v[108:109], v[110:111], v[108:109]
	v_mul_f64 v[110:111], v[117:118], v[108:109]
	v_fma_f64 v[106:107], -v[106:107], v[110:111], v[117:118]
	v_div_fmas_f64 v[106:107], v[106:107], v[108:109], v[110:111]
	v_div_fixup_f64 v[121:122], v[106:107], v[104:105], 1.0
	v_mul_f64 v[123:124], v[102:103], -v[121:122]
.LBB76_807:
	s_or_b64 exec, exec, s[18:19]
.LBB76_808:
	s_or_b64 exec, exec, s[0:1]
	v_cmp_ne_u32_e32 vcc, v100, v101
	v_mov_b32_e32 v102, 38
	s_and_saveexec_b64 s[0:1], vcc
	s_cbranch_execz .LBB76_814
; %bb.809:
	v_cmp_eq_u32_e32 vcc, 38, v100
	s_and_saveexec_b64 s[18:19], vcc
	s_cbranch_execz .LBB76_813
; %bb.810:
	v_cmp_ne_u32_e32 vcc, 38, v101
	s_xor_b64 s[6:7], s[6:7], -1
	s_and_b64 s[20:21], s[6:7], vcc
	s_and_saveexec_b64 s[6:7], s[20:21]
	s_cbranch_execz .LBB76_812
; %bb.811:
	v_ashrrev_i32_e32 v102, 31, v101
	v_lshlrev_b64 v[102:103], 2, v[101:102]
	v_add_co_u32_e32 v102, vcc, v119, v102
	v_addc_co_u32_e32 v103, vcc, v120, v103, vcc
	global_load_dword v0, v[102:103], off
	global_load_dword v98, v[119:120], off offset:152
	s_waitcnt vmcnt(1)
	global_store_dword v[119:120], v0, off offset:152
	s_waitcnt vmcnt(1)
	global_store_dword v[102:103], v98, off
.LBB76_812:
	s_or_b64 exec, exec, s[6:7]
	v_mov_b32_e32 v100, v101
	v_mov_b32_e32 v0, v101
.LBB76_813:
	s_or_b64 exec, exec, s[18:19]
	v_mov_b32_e32 v102, v100
.LBB76_814:
	s_or_b64 exec, exec, s[0:1]
	v_cmp_gt_i32_e32 vcc, 39, v102
	v_ashrrev_i32_e32 v103, 31, v102
	s_waitcnt vmcnt(0)
	s_barrier
	s_barrier
	s_and_saveexec_b64 s[0:1], vcc
	s_cbranch_execz .LBB76_816
; %bb.815:
	buffer_load_dword v100, off, s[24:27], 0 offset:232 ; 4-byte Folded Reload
	buffer_load_dword v101, off, s[24:27], 0 offset:236 ; 4-byte Folded Reload
	v_add3_u32 v0, v0, s17, 1
	s_waitcnt vmcnt(1)
	v_mul_lo_u32 v98, s15, v100
	s_waitcnt vmcnt(0)
	v_mul_lo_u32 v104, s14, v101
	v_mad_u64_u32 v[100:101], s[6:7], s14, v100, 0
	s_lshl_b64 s[6:7], s[12:13], 2
	v_add3_u32 v101, v101, v104, v98
	v_lshlrev_b64 v[100:101], 2, v[100:101]
	v_mov_b32_e32 v98, s11
	v_add_co_u32_e32 v100, vcc, s10, v100
	v_addc_co_u32_e32 v98, vcc, v98, v101, vcc
	v_mov_b32_e32 v101, s7
	v_add_co_u32_e32 v104, vcc, s6, v100
	v_addc_co_u32_e32 v98, vcc, v98, v101, vcc
	v_lshlrev_b64 v[100:101], 2, v[102:103]
	v_add_co_u32_e32 v100, vcc, v104, v100
	v_addc_co_u32_e32 v101, vcc, v98, v101, vcc
	global_store_dword v[100:101], v0, off
.LBB76_816:
	s_or_b64 exec, exec, s[0:1]
	v_cmp_eq_u32_e32 vcc, 0, v102
	s_and_saveexec_b64 s[6:7], vcc
	s_cbranch_execz .LBB76_819
; %bb.817:
	buffer_load_dword v100, off, s[24:27], 0 offset:232 ; 4-byte Folded Reload
	buffer_load_dword v101, off, s[24:27], 0 offset:236 ; 4-byte Folded Reload
	v_mov_b32_e32 v0, s5
	v_cmp_ne_u32_e64 s[0:1], 0, v99
	s_waitcnt vmcnt(0)
	v_lshlrev_b64 v[100:101], 2, v[100:101]
	v_add_co_u32_e32 v104, vcc, s4, v100
	v_addc_co_u32_e32 v105, vcc, v0, v101, vcc
	global_load_dword v0, v[104:105], off
	s_waitcnt vmcnt(0)
	v_cmp_eq_u32_e32 vcc, 0, v0
	s_and_b64 s[0:1], vcc, s[0:1]
	s_and_b64 exec, exec, s[0:1]
	s_cbranch_execz .LBB76_819
; %bb.818:
	v_add_u32_e32 v0, s17, v99
	global_store_dword v[104:105], v0, off
.LBB76_819:
	s_or_b64 exec, exec, s[6:7]
	v_mul_f64 v[98:99], v[121:122], v[115:116]
	v_cmp_lt_i32_e32 vcc, 38, v102
	v_mul_f64 v[100:101], v[123:124], v[115:116]
	v_mov_b32_e32 v0, s9
	v_fma_f64 v[98:99], v[123:124], v[113:114], v[98:99]
	v_fma_f64 v[100:101], v[121:122], v[113:114], -v[100:101]
	v_cndmask_b32_e32 v116, v116, v99, vcc
	v_cndmask_b32_e32 v115, v115, v98, vcc
	v_lshlrev_b64 v[98:99], 4, v[102:103]
	buffer_load_dword v103, off, s[24:27], 0 offset:216 ; 4-byte Folded Reload
	buffer_load_dword v104, off, s[24:27], 0 offset:220 ; 4-byte Folded Reload
	;; [unrolled: 1-line block ×4, first 2 shown]
	v_cndmask_b32_e32 v114, v114, v101, vcc
	v_cndmask_b32_e32 v113, v113, v100, vcc
	v_add_co_u32_e32 v98, vcc, v127, v98
	v_addc_co_u32_e32 v99, vcc, v97, v99, vcc
	s_waitcnt vmcnt(0)
	global_store_dwordx4 v[98:99], v[103:106], off
	buffer_load_dword v103, off, s[24:27], 0 offset:192 ; 4-byte Folded Reload
	s_nop 0
	buffer_load_dword v104, off, s[24:27], 0 offset:196 ; 4-byte Folded Reload
	buffer_load_dword v105, off, s[24:27], 0 offset:200 ; 4-byte Folded Reload
	;; [unrolled: 1-line block ×3, first 2 shown]
	v_add_co_u32_e32 v98, vcc, s8, v98
	v_addc_co_u32_e32 v99, vcc, v99, v0, vcc
	s_waitcnt vmcnt(0)
	global_store_dwordx4 v[98:99], v[103:106], off
	v_add_u32_e32 v98, s16, v102
	buffer_load_dword v101, off, s[24:27], 0 offset:176 ; 4-byte Folded Reload
	buffer_load_dword v102, off, s[24:27], 0 offset:180 ; 4-byte Folded Reload
	;; [unrolled: 1-line block ×4, first 2 shown]
	v_ashrrev_i32_e32 v99, 31, v98
	v_lshlrev_b64 v[99:100], 4, v[98:99]
	v_add_u32_e32 v98, s2, v98
	v_add_co_u32_e32 v99, vcc, v127, v99
	v_addc_co_u32_e32 v100, vcc, v97, v100, vcc
	s_waitcnt vmcnt(0)
	global_store_dwordx4 v[99:100], v[101:104], off
	buffer_load_dword v101, off, s[24:27], 0 offset:160 ; 4-byte Folded Reload
	s_nop 0
	buffer_load_dword v102, off, s[24:27], 0 offset:164 ; 4-byte Folded Reload
	buffer_load_dword v103, off, s[24:27], 0 offset:168 ; 4-byte Folded Reload
	buffer_load_dword v104, off, s[24:27], 0 offset:172 ; 4-byte Folded Reload
	v_ashrrev_i32_e32 v99, 31, v98
	v_lshlrev_b64 v[99:100], 4, v[98:99]
	v_add_u32_e32 v98, s2, v98
	v_add_co_u32_e32 v99, vcc, v127, v99
	v_addc_co_u32_e32 v100, vcc, v97, v100, vcc
	s_waitcnt vmcnt(0)
	global_store_dwordx4 v[99:100], v[101:104], off
	buffer_load_dword v101, off, s[24:27], 0 offset:144 ; 4-byte Folded Reload
	s_nop 0
	buffer_load_dword v102, off, s[24:27], 0 offset:148 ; 4-byte Folded Reload
	buffer_load_dword v103, off, s[24:27], 0 offset:152 ; 4-byte Folded Reload
	buffer_load_dword v104, off, s[24:27], 0 offset:156 ; 4-byte Folded Reload
	;; [unrolled: 12-line block ×10, first 2 shown]
	v_ashrrev_i32_e32 v99, 31, v98
	v_lshlrev_b64 v[99:100], 4, v[98:99]
	v_add_u32_e32 v98, s2, v98
	v_add_co_u32_e32 v99, vcc, v127, v99
	v_addc_co_u32_e32 v100, vcc, v97, v100, vcc
	s_waitcnt vmcnt(0)
	global_store_dwordx4 v[99:100], v[101:104], off
	buffer_load_dword v101, off, s[24:27], 0 ; 4-byte Folded Reload
	s_nop 0
	buffer_load_dword v102, off, s[24:27], 0 offset:4 ; 4-byte Folded Reload
	buffer_load_dword v103, off, s[24:27], 0 offset:8 ; 4-byte Folded Reload
	;; [unrolled: 1-line block ×3, first 2 shown]
	v_ashrrev_i32_e32 v99, 31, v98
	v_lshlrev_b64 v[99:100], 4, v[98:99]
	v_add_u32_e32 v98, s2, v98
	v_add_co_u32_e32 v99, vcc, v127, v99
	v_addc_co_u32_e32 v100, vcc, v97, v100, vcc
	s_waitcnt vmcnt(0)
	global_store_dwordx4 v[99:100], v[101:104], off
	v_ashrrev_i32_e32 v99, 31, v98
	v_lshlrev_b64 v[99:100], 4, v[98:99]
	v_add_co_u32_e32 v99, vcc, v127, v99
	v_addc_co_u32_e32 v100, vcc, v97, v100, vcc
	global_store_dwordx4 v[99:100], v[93:96], off
	s_nop 0
	v_add_u32_e32 v93, s2, v98
	v_ashrrev_i32_e32 v94, 31, v93
	v_lshlrev_b64 v[94:95], 4, v[93:94]
	v_add_co_u32_e32 v94, vcc, v127, v94
	v_addc_co_u32_e32 v95, vcc, v97, v95, vcc
	global_store_dwordx4 v[94:95], v[89:92], off
	s_nop 0
	v_add_u32_e32 v89, s2, v93
	;; [unrolled: 7-line block ×23, first 2 shown]
	v_ashrrev_i32_e32 v6, 31, v5
	v_lshlrev_b64 v[6:7], 4, v[5:6]
	v_add_u32_e32 v0, s2, v5
	v_add_co_u32_e32 v6, vcc, v127, v6
	v_addc_co_u32_e32 v7, vcc, v97, v7, vcc
	global_store_dwordx4 v[6:7], v[1:4], off
	s_nop 0
	v_ashrrev_i32_e32 v1, 31, v0
	v_lshlrev_b64 v[0:1], 4, v[0:1]
	v_add_co_u32_e32 v0, vcc, v127, v0
	v_addc_co_u32_e32 v1, vcc, v97, v1, vcc
	global_store_dwordx4 v[0:1], v[113:116], off
.LBB76_820:
	s_endpgm
	.section	.rodata,"a",@progbits
	.p2align	6, 0x0
	.amdhsa_kernel _ZN9rocsolver6v33100L18getf2_small_kernelILi39E19rocblas_complex_numIdEiiPS3_EEvT1_T3_lS5_lPS5_llPT2_S5_S5_S7_l
		.amdhsa_group_segment_fixed_size 0
		.amdhsa_private_segment_fixed_size 244
		.amdhsa_kernarg_size 352
		.amdhsa_user_sgpr_count 6
		.amdhsa_user_sgpr_private_segment_buffer 1
		.amdhsa_user_sgpr_dispatch_ptr 0
		.amdhsa_user_sgpr_queue_ptr 0
		.amdhsa_user_sgpr_kernarg_segment_ptr 1
		.amdhsa_user_sgpr_dispatch_id 0
		.amdhsa_user_sgpr_flat_scratch_init 0
		.amdhsa_user_sgpr_private_segment_size 0
		.amdhsa_uses_dynamic_stack 0
		.amdhsa_system_sgpr_private_segment_wavefront_offset 1
		.amdhsa_system_sgpr_workgroup_id_x 1
		.amdhsa_system_sgpr_workgroup_id_y 1
		.amdhsa_system_sgpr_workgroup_id_z 0
		.amdhsa_system_sgpr_workgroup_info 0
		.amdhsa_system_vgpr_workitem_id 1
		.amdhsa_next_free_vgpr 128
		.amdhsa_next_free_sgpr 28
		.amdhsa_reserve_vcc 1
		.amdhsa_reserve_flat_scratch 0
		.amdhsa_float_round_mode_32 0
		.amdhsa_float_round_mode_16_64 0
		.amdhsa_float_denorm_mode_32 3
		.amdhsa_float_denorm_mode_16_64 3
		.amdhsa_dx10_clamp 1
		.amdhsa_ieee_mode 1
		.amdhsa_fp16_overflow 0
		.amdhsa_exception_fp_ieee_invalid_op 0
		.amdhsa_exception_fp_denorm_src 0
		.amdhsa_exception_fp_ieee_div_zero 0
		.amdhsa_exception_fp_ieee_overflow 0
		.amdhsa_exception_fp_ieee_underflow 0
		.amdhsa_exception_fp_ieee_inexact 0
		.amdhsa_exception_int_div_zero 0
	.end_amdhsa_kernel
	.section	.text._ZN9rocsolver6v33100L18getf2_small_kernelILi39E19rocblas_complex_numIdEiiPS3_EEvT1_T3_lS5_lPS5_llPT2_S5_S5_S7_l,"axG",@progbits,_ZN9rocsolver6v33100L18getf2_small_kernelILi39E19rocblas_complex_numIdEiiPS3_EEvT1_T3_lS5_lPS5_llPT2_S5_S5_S7_l,comdat
.Lfunc_end76:
	.size	_ZN9rocsolver6v33100L18getf2_small_kernelILi39E19rocblas_complex_numIdEiiPS3_EEvT1_T3_lS5_lPS5_llPT2_S5_S5_S7_l, .Lfunc_end76-_ZN9rocsolver6v33100L18getf2_small_kernelILi39E19rocblas_complex_numIdEiiPS3_EEvT1_T3_lS5_lPS5_llPT2_S5_S5_S7_l
                                        ; -- End function
	.set _ZN9rocsolver6v33100L18getf2_small_kernelILi39E19rocblas_complex_numIdEiiPS3_EEvT1_T3_lS5_lPS5_llPT2_S5_S5_S7_l.num_vgpr, 128
	.set _ZN9rocsolver6v33100L18getf2_small_kernelILi39E19rocblas_complex_numIdEiiPS3_EEvT1_T3_lS5_lPS5_llPT2_S5_S5_S7_l.num_agpr, 0
	.set _ZN9rocsolver6v33100L18getf2_small_kernelILi39E19rocblas_complex_numIdEiiPS3_EEvT1_T3_lS5_lPS5_llPT2_S5_S5_S7_l.numbered_sgpr, 28
	.set _ZN9rocsolver6v33100L18getf2_small_kernelILi39E19rocblas_complex_numIdEiiPS3_EEvT1_T3_lS5_lPS5_llPT2_S5_S5_S7_l.num_named_barrier, 0
	.set _ZN9rocsolver6v33100L18getf2_small_kernelILi39E19rocblas_complex_numIdEiiPS3_EEvT1_T3_lS5_lPS5_llPT2_S5_S5_S7_l.private_seg_size, 244
	.set _ZN9rocsolver6v33100L18getf2_small_kernelILi39E19rocblas_complex_numIdEiiPS3_EEvT1_T3_lS5_lPS5_llPT2_S5_S5_S7_l.uses_vcc, 1
	.set _ZN9rocsolver6v33100L18getf2_small_kernelILi39E19rocblas_complex_numIdEiiPS3_EEvT1_T3_lS5_lPS5_llPT2_S5_S5_S7_l.uses_flat_scratch, 0
	.set _ZN9rocsolver6v33100L18getf2_small_kernelILi39E19rocblas_complex_numIdEiiPS3_EEvT1_T3_lS5_lPS5_llPT2_S5_S5_S7_l.has_dyn_sized_stack, 0
	.set _ZN9rocsolver6v33100L18getf2_small_kernelILi39E19rocblas_complex_numIdEiiPS3_EEvT1_T3_lS5_lPS5_llPT2_S5_S5_S7_l.has_recursion, 0
	.set _ZN9rocsolver6v33100L18getf2_small_kernelILi39E19rocblas_complex_numIdEiiPS3_EEvT1_T3_lS5_lPS5_llPT2_S5_S5_S7_l.has_indirect_call, 0
	.section	.AMDGPU.csdata,"",@progbits
; Kernel info:
; codeLenInByte = 100780
; TotalNumSgprs: 32
; NumVgprs: 128
; ScratchSize: 244
; MemoryBound: 0
; FloatMode: 240
; IeeeMode: 1
; LDSByteSize: 0 bytes/workgroup (compile time only)
; SGPRBlocks: 3
; VGPRBlocks: 31
; NumSGPRsForWavesPerEU: 32
; NumVGPRsForWavesPerEU: 128
; Occupancy: 2
; WaveLimiterHint : 0
; COMPUTE_PGM_RSRC2:SCRATCH_EN: 1
; COMPUTE_PGM_RSRC2:USER_SGPR: 6
; COMPUTE_PGM_RSRC2:TRAP_HANDLER: 0
; COMPUTE_PGM_RSRC2:TGID_X_EN: 1
; COMPUTE_PGM_RSRC2:TGID_Y_EN: 1
; COMPUTE_PGM_RSRC2:TGID_Z_EN: 0
; COMPUTE_PGM_RSRC2:TIDIG_COMP_CNT: 1
	.section	.text._ZN9rocsolver6v33100L23getf2_npvt_small_kernelILi39E19rocblas_complex_numIdEiiPS3_EEvT1_T3_lS5_lPT2_S5_S5_,"axG",@progbits,_ZN9rocsolver6v33100L23getf2_npvt_small_kernelILi39E19rocblas_complex_numIdEiiPS3_EEvT1_T3_lS5_lPT2_S5_S5_,comdat
	.globl	_ZN9rocsolver6v33100L23getf2_npvt_small_kernelILi39E19rocblas_complex_numIdEiiPS3_EEvT1_T3_lS5_lPT2_S5_S5_ ; -- Begin function _ZN9rocsolver6v33100L23getf2_npvt_small_kernelILi39E19rocblas_complex_numIdEiiPS3_EEvT1_T3_lS5_lPT2_S5_S5_
	.p2align	8
	.type	_ZN9rocsolver6v33100L23getf2_npvt_small_kernelILi39E19rocblas_complex_numIdEiiPS3_EEvT1_T3_lS5_lPT2_S5_S5_,@function
_ZN9rocsolver6v33100L23getf2_npvt_small_kernelILi39E19rocblas_complex_numIdEiiPS3_EEvT1_T3_lS5_lPT2_S5_S5_: ; @_ZN9rocsolver6v33100L23getf2_npvt_small_kernelILi39E19rocblas_complex_numIdEiiPS3_EEvT1_T3_lS5_lPT2_S5_S5_
; %bb.0:
	s_mov_b64 s[22:23], s[2:3]
	s_mov_b64 s[20:21], s[0:1]
	s_load_dword s0, s[4:5], 0x44
	s_load_dwordx2 s[12:13], s[4:5], 0x30
	s_add_u32 s20, s20, s8
	s_addc_u32 s21, s21, 0
	s_waitcnt lgkmcnt(0)
	s_lshr_b32 s2, s0, 16
	s_mul_i32 s7, s7, s2
	v_add_u32_e32 v3, s7, v1
	v_mov_b32_e32 v2, v3
	v_cmp_gt_i32_e32 vcc, s12, v3
	s_and_saveexec_b64 s[0:1], vcc
	s_cbranch_execz .LBB77_354
; %bb.1:
	s_load_dwordx4 s[8:11], s[4:5], 0x20
	s_load_dwordx4 s[16:19], s[4:5], 0x8
	v_ashrrev_i32_e32 v3, 31, v2
	v_mov_b32_e32 v55, v0
	s_mulk_i32 s2, 0x270
	s_waitcnt lgkmcnt(0)
	v_mul_lo_u32 v4, s9, v2
	v_mul_lo_u32 v5, s8, v3
	buffer_store_dword v2, off, s[20:23], 0 offset:1132 ; 4-byte Folded Spill
	s_nop 0
	buffer_store_dword v3, off, s[20:23], 0 offset:1136 ; 4-byte Folded Spill
	v_mov_b32_e32 v6, s17
	buffer_store_dword v55, off, s[20:23], 0 offset:584 ; 4-byte Folded Spill
	v_mad_u64_u32 v[2:3], s[0:1], s8, v2, 0
	s_load_dword s0, s[4:5], 0x18
	s_lshl_b64 s[4:5], s[18:19], 4
	v_add3_u32 v3, v3, v5, v4
	v_lshlrev_b64 v[2:3], 4, v[2:3]
	v_mov_b32_e32 v4, s5
	v_add_co_u32_e32 v2, vcc, s16, v2
	v_addc_co_u32_e32 v3, vcc, v6, v3, vcc
	v_add_co_u32_e32 v2, vcc, s4, v2
	s_waitcnt lgkmcnt(0)
	s_add_i32 s1, s0, s0
	v_addc_co_u32_e32 v3, vcc, v3, v4, vcc
	v_add_u32_e32 v4, s1, v0
	v_ashrrev_i32_e32 v5, 31, v4
	v_lshlrev_b64 v[5:6], 4, v[4:5]
	v_add_u32_e32 v4, s0, v4
	v_add_co_u32_e32 v53, vcc, v2, v5
	v_ashrrev_i32_e32 v5, 31, v4
	v_addc_co_u32_e32 v54, vcc, v3, v6, vcc
	v_lshlrev_b64 v[5:6], 4, v[4:5]
	v_add_u32_e32 v4, s0, v4
	v_add_co_u32_e32 v7, vcc, v2, v5
	v_ashrrev_i32_e32 v5, 31, v4
	v_addc_co_u32_e32 v8, vcc, v3, v6, vcc
	;; [unrolled: 5-line block ×35, first 2 shown]
	v_lshlrev_b64 v[5:6], 4, v[4:5]
	v_add_u32_e32 v4, s0, v4
	v_add_co_u32_e32 v111, vcc, v2, v5
	v_ashrrev_i32_e32 v5, 31, v4
	v_lshlrev_b64 v[4:5], 4, v[4:5]
	v_addc_co_u32_e32 v112, vcc, v3, v6, vcc
	v_add_co_u32_e32 v113, vcc, v2, v4
	v_addc_co_u32_e32 v114, vcc, v3, v5, vcc
	v_lshlrev_b32_e32 v4, 4, v55
	v_add_co_u32_e32 v4, vcc, v2, v4
	s_ashr_i32 s1, s0, 31
	v_addc_co_u32_e32 v5, vcc, 0, v3, vcc
	s_lshl_b64 s[0:1], s[0:1], 4
	v_mov_b32_e32 v2, s1
	v_add_co_u32_e32 v56, vcc, s0, v4
	v_addc_co_u32_e32 v57, vcc, v5, v2, vcc
	buffer_store_dword v4, off, s[20:23], 0 offset:588 ; 4-byte Folded Spill
	s_nop 0
	buffer_store_dword v5, off, s[20:23], 0 offset:592 ; 4-byte Folded Spill
	s_movk_i32 s0, 0x270
	s_add_i32 s1, s2, 0
	v_mad_u32_u24 v125, v1, s0, 0
	v_lshl_add_u32 v0, v1, 4, s1
	v_cmp_ne_u32_e64 s[2:3], 0, v55
	v_cmp_eq_u32_e64 s[0:1], 0, v55
	global_load_dwordx4 v[1:4], v[4:5], off
	s_waitcnt vmcnt(0)
	buffer_store_dword v1, off, s[20:23], 0 offset:224 ; 4-byte Folded Spill
	s_nop 0
	buffer_store_dword v2, off, s[20:23], 0 offset:228 ; 4-byte Folded Spill
	buffer_store_dword v3, off, s[20:23], 0 offset:232 ; 4-byte Folded Spill
	buffer_store_dword v4, off, s[20:23], 0 offset:236 ; 4-byte Folded Spill
	buffer_store_dword v56, off, s[20:23], 0 offset:596 ; 4-byte Folded Spill
	s_nop 0
	buffer_store_dword v57, off, s[20:23], 0 offset:600 ; 4-byte Folded Spill
	global_load_dwordx4 v[1:4], v[56:57], off
	s_waitcnt vmcnt(0)
	buffer_store_dword v1, off, s[20:23], 0 offset:208 ; 4-byte Folded Spill
	s_nop 0
	buffer_store_dword v2, off, s[20:23], 0 offset:212 ; 4-byte Folded Spill
	buffer_store_dword v3, off, s[20:23], 0 offset:216 ; 4-byte Folded Spill
	buffer_store_dword v4, off, s[20:23], 0 offset:220 ; 4-byte Folded Spill
	buffer_store_dword v53, off, s[20:23], 0 offset:560 ; 4-byte Folded Spill
	s_nop 0
	buffer_store_dword v54, off, s[20:23], 0 offset:564 ; 4-byte Folded Spill
	;; [unrolled: 10-line block ×9, first 2 shown]
	global_load_dwordx4 v[13:16], v[17:18], off
	s_nop 0
	buffer_store_dword v19, off, s[20:23], 0 offset:304 ; 4-byte Folded Spill
	s_nop 0
	buffer_store_dword v20, off, s[20:23], 0 offset:308 ; 4-byte Folded Spill
	global_load_dwordx4 v[93:96], v[19:20], off
	s_nop 0
	buffer_store_dword v21, off, s[20:23], 0 offset:312 ; 4-byte Folded Spill
	s_nop 0
	buffer_store_dword v22, off, s[20:23], 0 offset:316 ; 4-byte Folded Spill
	;; [unrolled: 5-line block ×6, first 2 shown]
	global_load_dwordx4 v[1:4], v[29:30], off
	s_waitcnt vmcnt(0)
	buffer_store_dword v1, off, s[20:23], 0 offset:80 ; 4-byte Folded Spill
	s_nop 0
	buffer_store_dword v2, off, s[20:23], 0 offset:84 ; 4-byte Folded Spill
	buffer_store_dword v3, off, s[20:23], 0 offset:88 ; 4-byte Folded Spill
	buffer_store_dword v4, off, s[20:23], 0 offset:92 ; 4-byte Folded Spill
	buffer_store_dword v31, off, s[20:23], 0 offset:352 ; 4-byte Folded Spill
	s_nop 0
	buffer_store_dword v32, off, s[20:23], 0 offset:356 ; 4-byte Folded Spill
	global_load_dwordx4 v[1:4], v[31:32], off
	s_waitcnt vmcnt(0)
	buffer_store_dword v1, off, s[20:23], 0 offset:64 ; 4-byte Folded Spill
	s_nop 0
	buffer_store_dword v2, off, s[20:23], 0 offset:68 ; 4-byte Folded Spill
	buffer_store_dword v3, off, s[20:23], 0 offset:72 ; 4-byte Folded Spill
	buffer_store_dword v4, off, s[20:23], 0 offset:76 ; 4-byte Folded Spill
	buffer_store_dword v33, off, s[20:23], 0 offset:360 ; 4-byte Folded Spill
	s_nop 0
	buffer_store_dword v34, off, s[20:23], 0 offset:364 ; 4-byte Folded Spill
	;; [unrolled: 10-line block ×4, first 2 shown]
	global_load_dwordx4 v[73:76], v[37:38], off
	s_nop 0
	buffer_store_dword v39, off, s[20:23], 0 offset:384 ; 4-byte Folded Spill
	s_nop 0
	buffer_store_dword v40, off, s[20:23], 0 offset:388 ; 4-byte Folded Spill
	global_load_dwordx4 v[65:68], v[39:40], off
	s_nop 0
	buffer_store_dword v41, off, s[20:23], 0 offset:392 ; 4-byte Folded Spill
	s_nop 0
	buffer_store_dword v42, off, s[20:23], 0 offset:396 ; 4-byte Folded Spill
	;; [unrolled: 5-line block ×3, first 2 shown]
	s_waitcnt vmcnt(5)
	v_mov_b32_e32 v72, v68
	v_mov_b32_e32 v71, v67
	v_mov_b32_e32 v70, v66
	v_mov_b32_e32 v69, v65
	global_load_dwordx4 v[57:60], v[43:44], off
	s_nop 0
	buffer_store_dword v49, off, s[20:23], 0 offset:528 ; 4-byte Folded Spill
	s_nop 0
	buffer_store_dword v50, off, s[20:23], 0 offset:532 ; 4-byte Folded Spill
	s_waitcnt vmcnt(5)
	v_mov_b32_e32 v68, v64
	v_mov_b32_e32 v67, v63
	v_mov_b32_e32 v66, v62
	v_mov_b32_e32 v65, v61
	global_load_dwordx4 v[53:56], v[49:50], off
	s_nop 0
	buffer_store_dword v45, off, s[20:23], 0 offset:408 ; 4-byte Folded Spill
	s_nop 0
	buffer_store_dword v46, off, s[20:23], 0 offset:412 ; 4-byte Folded Spill
	;; [unrolled: 10-line block ×8, first 2 shown]
	global_load_dwordx4 v[29:32], v[97:98], off
	s_nop 0
	buffer_store_dword v99, off, s[20:23], 0 offset:464 ; 4-byte Folded Spill
	s_nop 0
	buffer_store_dword v100, off, s[20:23], 0 offset:468 ; 4-byte Folded Spill
	global_load_dwordx4 v[25:28], v[99:100], off
	s_nop 0
	buffer_store_dword v101, off, s[20:23], 0 offset:472 ; 4-byte Folded Spill
	s_nop 0
	buffer_store_dword v102, off, s[20:23], 0 offset:476 ; 4-byte Folded Spill
	;; [unrolled: 5-line block ×4, first 2 shown]
	global_load_dwordx4 v[1:4], v[105:106], off
	s_waitcnt vmcnt(0)
	buffer_store_dword v1, off, s[20:23], 0 ; 4-byte Folded Spill
	s_nop 0
	buffer_store_dword v2, off, s[20:23], 0 offset:4 ; 4-byte Folded Spill
	buffer_store_dword v3, off, s[20:23], 0 offset:8 ; 4-byte Folded Spill
	;; [unrolled: 1-line block ×4, first 2 shown]
	s_nop 0
	buffer_store_dword v108, off, s[20:23], 0 offset:500 ; 4-byte Folded Spill
	global_load_dwordx4 v[9:12], v[107:108], off
	s_nop 0
	buffer_store_dword v109, off, s[20:23], 0 offset:504 ; 4-byte Folded Spill
	s_nop 0
	buffer_store_dword v110, off, s[20:23], 0 offset:508 ; 4-byte Folded Spill
	global_load_dwordx4 v[5:8], v[109:110], off
	s_nop 0
	buffer_store_dword v111, off, s[20:23], 0 offset:512 ; 4-byte Folded Spill
	;; [unrolled: 5-line block ×3, first 2 shown]
	s_nop 0
	buffer_store_dword v114, off, s[20:23], 0 offset:524 ; 4-byte Folded Spill
	v_mov_b32_e32 v109, v121
	v_mov_b32_e32 v110, v122
	;; [unrolled: 1-line block ×24, first 2 shown]
	global_load_dwordx4 v[13:16], v[113:114], off
	s_waitcnt vmcnt(0)
	buffer_store_dword v13, off, s[20:23], 0 offset:48 ; 4-byte Folded Spill
	s_nop 0
	buffer_store_dword v14, off, s[20:23], 0 offset:52 ; 4-byte Folded Spill
	buffer_store_dword v15, off, s[20:23], 0 offset:56 ; 4-byte Folded Spill
	;; [unrolled: 1-line block ×3, first 2 shown]
	s_and_saveexec_b64 s[6:7], s[0:1]
	s_cbranch_execz .LBB77_8
; %bb.2:
	buffer_load_dword v13, off, s[20:23], 0 offset:224 ; 4-byte Folded Reload
	buffer_load_dword v14, off, s[20:23], 0 offset:228 ; 4-byte Folded Reload
	buffer_load_dword v15, off, s[20:23], 0 offset:232 ; 4-byte Folded Reload
	buffer_load_dword v16, off, s[20:23], 0 offset:236 ; 4-byte Folded Reload
	s_waitcnt vmcnt(0)
	ds_write2_b64 v0, v[13:14], v[15:16] offset1:1
	buffer_load_dword v13, off, s[20:23], 0 offset:208 ; 4-byte Folded Reload
	buffer_load_dword v14, off, s[20:23], 0 offset:212 ; 4-byte Folded Reload
	buffer_load_dword v15, off, s[20:23], 0 offset:216 ; 4-byte Folded Reload
	buffer_load_dword v16, off, s[20:23], 0 offset:220 ; 4-byte Folded Reload
	s_waitcnt vmcnt(0)
	ds_write2_b64 v125, v[13:14], v[15:16] offset0:2 offset1:3
	buffer_load_dword v13, off, s[20:23], 0 offset:192 ; 4-byte Folded Reload
	buffer_load_dword v14, off, s[20:23], 0 offset:196 ; 4-byte Folded Reload
	buffer_load_dword v15, off, s[20:23], 0 offset:200 ; 4-byte Folded Reload
	buffer_load_dword v16, off, s[20:23], 0 offset:204 ; 4-byte Folded Reload
	s_waitcnt vmcnt(0)
	ds_write2_b64 v125, v[13:14], v[15:16] offset0:4 offset1:5
	;; [unrolled: 6-line block ×8, first 2 shown]
	ds_write2_b64 v125, v[93:94], v[95:96] offset0:18 offset1:19
	ds_write2_b64 v125, v[89:90], v[91:92] offset0:20 offset1:21
	;; [unrolled: 1-line block ×6, first 2 shown]
	buffer_load_dword v81, off, s[20:23], 0 offset:80 ; 4-byte Folded Reload
	buffer_load_dword v82, off, s[20:23], 0 offset:84 ; 4-byte Folded Reload
	buffer_load_dword v83, off, s[20:23], 0 offset:88 ; 4-byte Folded Reload
	buffer_load_dword v84, off, s[20:23], 0 offset:92 ; 4-byte Folded Reload
	s_waitcnt vmcnt(0)
	ds_write2_b64 v125, v[81:82], v[83:84] offset0:30 offset1:31
	buffer_load_dword v13, off, s[20:23], 0 offset:64 ; 4-byte Folded Reload
	buffer_load_dword v14, off, s[20:23], 0 offset:68 ; 4-byte Folded Reload
	buffer_load_dword v15, off, s[20:23], 0 offset:72 ; 4-byte Folded Reload
	buffer_load_dword v16, off, s[20:23], 0 offset:76 ; 4-byte Folded Reload
	s_waitcnt vmcnt(0)
	ds_write2_b64 v125, v[13:14], v[15:16] offset0:32 offset1:33
	;; [unrolled: 6-line block ×4, first 2 shown]
	ds_write2_b64 v125, v[73:74], v[75:76] offset0:38 offset1:39
	ds_write2_b64 v125, v[69:70], v[71:72] offset0:40 offset1:41
	;; [unrolled: 1-line block ×15, first 2 shown]
	buffer_load_dword v13, off, s[20:23], 0 ; 4-byte Folded Reload
	buffer_load_dword v14, off, s[20:23], 0 offset:4 ; 4-byte Folded Reload
	buffer_load_dword v15, off, s[20:23], 0 offset:8 ; 4-byte Folded Reload
	;; [unrolled: 1-line block ×3, first 2 shown]
	s_waitcnt vmcnt(0)
	ds_write2_b64 v125, v[13:14], v[15:16] offset0:68 offset1:69
	ds_write2_b64 v125, v[9:10], v[11:12] offset0:70 offset1:71
	;; [unrolled: 1-line block ×4, first 2 shown]
	buffer_load_dword v13, off, s[20:23], 0 offset:48 ; 4-byte Folded Reload
	buffer_load_dword v14, off, s[20:23], 0 offset:52 ; 4-byte Folded Reload
	;; [unrolled: 1-line block ×4, first 2 shown]
	s_waitcnt vmcnt(0)
	ds_write2_b64 v125, v[13:14], v[15:16] offset0:76 offset1:77
	ds_read2_b64 v[97:100], v0 offset1:1
	s_waitcnt lgkmcnt(0)
	v_cmp_neq_f64_e32 vcc, 0, v[97:98]
	v_cmp_neq_f64_e64 s[4:5], 0, v[99:100]
	s_or_b64 s[4:5], vcc, s[4:5]
	s_and_b64 exec, exec, s[4:5]
	s_cbranch_execz .LBB77_8
; %bb.3:
	v_cmp_ngt_f64_e64 s[4:5], |v[97:98]|, |v[99:100]|
                                        ; implicit-def: $vgpr101_vgpr102
	s_and_saveexec_b64 s[8:9], s[4:5]
	s_xor_b64 s[4:5], exec, s[8:9]
                                        ; implicit-def: $vgpr103_vgpr104
	s_cbranch_execz .LBB77_5
; %bb.4:
	v_div_scale_f64 v[101:102], s[8:9], v[99:100], v[99:100], v[97:98]
	v_rcp_f64_e32 v[103:104], v[101:102]
	v_fma_f64 v[105:106], -v[101:102], v[103:104], 1.0
	v_fma_f64 v[103:104], v[103:104], v[105:106], v[103:104]
	v_div_scale_f64 v[105:106], vcc, v[97:98], v[99:100], v[97:98]
	v_fma_f64 v[107:108], -v[101:102], v[103:104], 1.0
	v_fma_f64 v[103:104], v[103:104], v[107:108], v[103:104]
	v_mul_f64 v[107:108], v[105:106], v[103:104]
	v_fma_f64 v[101:102], -v[101:102], v[107:108], v[105:106]
	v_div_fmas_f64 v[101:102], v[101:102], v[103:104], v[107:108]
	v_div_fixup_f64 v[101:102], v[101:102], v[99:100], v[97:98]
	v_fma_f64 v[97:98], v[97:98], v[101:102], v[99:100]
	v_div_scale_f64 v[99:100], s[8:9], v[97:98], v[97:98], 1.0
	v_div_scale_f64 v[107:108], vcc, 1.0, v[97:98], 1.0
	v_rcp_f64_e32 v[103:104], v[99:100]
	v_fma_f64 v[105:106], -v[99:100], v[103:104], 1.0
	v_fma_f64 v[103:104], v[103:104], v[105:106], v[103:104]
	v_fma_f64 v[105:106], -v[99:100], v[103:104], 1.0
	v_fma_f64 v[103:104], v[103:104], v[105:106], v[103:104]
	v_mul_f64 v[105:106], v[107:108], v[103:104]
	v_fma_f64 v[99:100], -v[99:100], v[105:106], v[107:108]
	v_div_fmas_f64 v[99:100], v[99:100], v[103:104], v[105:106]
	v_div_fixup_f64 v[103:104], v[99:100], v[97:98], 1.0
                                        ; implicit-def: $vgpr97_vgpr98
	v_mul_f64 v[101:102], v[101:102], v[103:104]
	v_xor_b32_e32 v104, 0x80000000, v104
.LBB77_5:
	s_andn2_saveexec_b64 s[4:5], s[4:5]
	s_cbranch_execz .LBB77_7
; %bb.6:
	v_div_scale_f64 v[101:102], s[8:9], v[97:98], v[97:98], v[99:100]
	v_rcp_f64_e32 v[103:104], v[101:102]
	v_fma_f64 v[105:106], -v[101:102], v[103:104], 1.0
	v_fma_f64 v[103:104], v[103:104], v[105:106], v[103:104]
	v_div_scale_f64 v[105:106], vcc, v[99:100], v[97:98], v[99:100]
	v_fma_f64 v[107:108], -v[101:102], v[103:104], 1.0
	v_fma_f64 v[103:104], v[103:104], v[107:108], v[103:104]
	v_mul_f64 v[107:108], v[105:106], v[103:104]
	v_fma_f64 v[101:102], -v[101:102], v[107:108], v[105:106]
	v_div_fmas_f64 v[101:102], v[101:102], v[103:104], v[107:108]
	v_div_fixup_f64 v[103:104], v[101:102], v[97:98], v[99:100]
	v_fma_f64 v[97:98], v[99:100], v[103:104], v[97:98]
	v_div_scale_f64 v[99:100], s[8:9], v[97:98], v[97:98], 1.0
	v_div_scale_f64 v[107:108], vcc, 1.0, v[97:98], 1.0
	v_rcp_f64_e32 v[101:102], v[99:100]
	v_fma_f64 v[105:106], -v[99:100], v[101:102], 1.0
	v_fma_f64 v[101:102], v[101:102], v[105:106], v[101:102]
	v_fma_f64 v[105:106], -v[99:100], v[101:102], 1.0
	v_fma_f64 v[101:102], v[101:102], v[105:106], v[101:102]
	v_mul_f64 v[105:106], v[107:108], v[101:102]
	v_fma_f64 v[99:100], -v[99:100], v[105:106], v[107:108]
	v_div_fmas_f64 v[99:100], v[99:100], v[101:102], v[105:106]
	v_div_fixup_f64 v[101:102], v[99:100], v[97:98], 1.0
	v_mul_f64 v[103:104], v[103:104], -v[101:102]
.LBB77_7:
	s_or_b64 exec, exec, s[4:5]
	ds_write2_b64 v0, v[101:102], v[103:104] offset1:1
.LBB77_8:
	s_or_b64 exec, exec, s[6:7]
	s_waitcnt vmcnt(0) lgkmcnt(0)
	s_barrier
	ds_read2_b64 v[13:16], v0 offset1:1
	s_waitcnt lgkmcnt(0)
	buffer_store_dword v13, off, s[20:23], 0 offset:604 ; 4-byte Folded Spill
	s_nop 0
	buffer_store_dword v14, off, s[20:23], 0 offset:608 ; 4-byte Folded Spill
	buffer_store_dword v15, off, s[20:23], 0 offset:612 ; 4-byte Folded Spill
	;; [unrolled: 1-line block ×3, first 2 shown]
	s_and_saveexec_b64 s[4:5], s[2:3]
	s_cbranch_execz .LBB77_10
; %bb.9:
	buffer_load_dword v103, off, s[20:23], 0 offset:224 ; 4-byte Folded Reload
	buffer_load_dword v104, off, s[20:23], 0 offset:228 ; 4-byte Folded Reload
	;; [unrolled: 1-line block ×8, first 2 shown]
	s_waitcnt vmcnt(2)
	v_mul_f64 v[99:100], v[13:14], v[105:106]
	s_waitcnt vmcnt(0)
	v_mul_f64 v[97:98], v[15:16], v[105:106]
	v_fma_f64 v[105:106], v[15:16], v[103:104], v[99:100]
	ds_read2_b64 v[99:102], v125 offset0:2 offset1:3
	v_fma_f64 v[97:98], v[13:14], v[103:104], -v[97:98]
	buffer_load_dword v13, off, s[20:23], 0 offset:208 ; 4-byte Folded Reload
	buffer_load_dword v14, off, s[20:23], 0 offset:212 ; 4-byte Folded Reload
	buffer_load_dword v15, off, s[20:23], 0 offset:216 ; 4-byte Folded Reload
	buffer_load_dword v16, off, s[20:23], 0 offset:220 ; 4-byte Folded Reload
	s_waitcnt lgkmcnt(0)
	v_mul_f64 v[103:104], v[101:102], v[105:106]
	v_fma_f64 v[103:104], v[99:100], v[97:98], -v[103:104]
	v_mul_f64 v[99:100], v[99:100], v[105:106]
	v_fma_f64 v[99:100], v[101:102], v[97:98], v[99:100]
	s_waitcnt vmcnt(2)
	v_add_f64 v[13:14], v[13:14], -v[103:104]
	s_waitcnt vmcnt(0)
	v_add_f64 v[15:16], v[15:16], -v[99:100]
	buffer_store_dword v13, off, s[20:23], 0 offset:208 ; 4-byte Folded Spill
	s_nop 0
	buffer_store_dword v14, off, s[20:23], 0 offset:212 ; 4-byte Folded Spill
	buffer_store_dword v15, off, s[20:23], 0 offset:216 ; 4-byte Folded Spill
	buffer_store_dword v16, off, s[20:23], 0 offset:220 ; 4-byte Folded Spill
	ds_read2_b64 v[99:102], v125 offset0:4 offset1:5
	buffer_load_dword v13, off, s[20:23], 0 offset:192 ; 4-byte Folded Reload
	buffer_load_dword v14, off, s[20:23], 0 offset:196 ; 4-byte Folded Reload
	buffer_load_dword v15, off, s[20:23], 0 offset:200 ; 4-byte Folded Reload
	buffer_load_dword v16, off, s[20:23], 0 offset:204 ; 4-byte Folded Reload
	s_waitcnt lgkmcnt(0)
	v_mul_f64 v[103:104], v[101:102], v[105:106]
	v_fma_f64 v[103:104], v[99:100], v[97:98], -v[103:104]
	v_mul_f64 v[99:100], v[99:100], v[105:106]
	v_fma_f64 v[99:100], v[101:102], v[97:98], v[99:100]
	s_waitcnt vmcnt(2)
	v_add_f64 v[13:14], v[13:14], -v[103:104]
	s_waitcnt vmcnt(0)
	v_add_f64 v[15:16], v[15:16], -v[99:100]
	buffer_store_dword v13, off, s[20:23], 0 offset:192 ; 4-byte Folded Spill
	s_nop 0
	buffer_store_dword v14, off, s[20:23], 0 offset:196 ; 4-byte Folded Spill
	buffer_store_dword v15, off, s[20:23], 0 offset:200 ; 4-byte Folded Spill
	buffer_store_dword v16, off, s[20:23], 0 offset:204 ; 4-byte Folded Spill
	ds_read2_b64 v[99:102], v125 offset0:6 offset1:7
	;; [unrolled: 19-line block ×8, first 2 shown]
	s_waitcnt lgkmcnt(0)
	v_mul_f64 v[103:104], v[101:102], v[105:106]
	v_fma_f64 v[103:104], v[99:100], v[97:98], -v[103:104]
	v_mul_f64 v[99:100], v[99:100], v[105:106]
	v_add_f64 v[93:94], v[93:94], -v[103:104]
	v_fma_f64 v[99:100], v[101:102], v[97:98], v[99:100]
	v_add_f64 v[95:96], v[95:96], -v[99:100]
	ds_read2_b64 v[99:102], v125 offset0:20 offset1:21
	s_waitcnt lgkmcnt(0)
	v_mul_f64 v[103:104], v[101:102], v[105:106]
	v_fma_f64 v[103:104], v[99:100], v[97:98], -v[103:104]
	v_mul_f64 v[99:100], v[99:100], v[105:106]
	v_add_f64 v[89:90], v[89:90], -v[103:104]
	v_fma_f64 v[99:100], v[101:102], v[97:98], v[99:100]
	v_add_f64 v[91:92], v[91:92], -v[99:100]
	ds_read2_b64 v[99:102], v125 offset0:22 offset1:23
	;; [unrolled: 8-line block ×6, first 2 shown]
	buffer_load_dword v81, off, s[20:23], 0 offset:80 ; 4-byte Folded Reload
	buffer_load_dword v82, off, s[20:23], 0 offset:84 ; 4-byte Folded Reload
	buffer_load_dword v83, off, s[20:23], 0 offset:88 ; 4-byte Folded Reload
	buffer_load_dword v84, off, s[20:23], 0 offset:92 ; 4-byte Folded Reload
	s_waitcnt lgkmcnt(0)
	v_mul_f64 v[103:104], v[101:102], v[105:106]
	v_fma_f64 v[103:104], v[99:100], v[97:98], -v[103:104]
	v_mul_f64 v[99:100], v[99:100], v[105:106]
	v_fma_f64 v[99:100], v[101:102], v[97:98], v[99:100]
	s_waitcnt vmcnt(2)
	v_add_f64 v[81:82], v[81:82], -v[103:104]
	s_waitcnt vmcnt(0)
	v_add_f64 v[83:84], v[83:84], -v[99:100]
	buffer_store_dword v81, off, s[20:23], 0 offset:80 ; 4-byte Folded Spill
	s_nop 0
	buffer_store_dword v82, off, s[20:23], 0 offset:84 ; 4-byte Folded Spill
	buffer_store_dword v83, off, s[20:23], 0 offset:88 ; 4-byte Folded Spill
	buffer_store_dword v84, off, s[20:23], 0 offset:92 ; 4-byte Folded Spill
	ds_read2_b64 v[99:102], v125 offset0:32 offset1:33
	buffer_load_dword v13, off, s[20:23], 0 offset:64 ; 4-byte Folded Reload
	buffer_load_dword v14, off, s[20:23], 0 offset:68 ; 4-byte Folded Reload
	buffer_load_dword v15, off, s[20:23], 0 offset:72 ; 4-byte Folded Reload
	buffer_load_dword v16, off, s[20:23], 0 offset:76 ; 4-byte Folded Reload
	s_waitcnt lgkmcnt(0)
	v_mul_f64 v[103:104], v[101:102], v[105:106]
	v_fma_f64 v[103:104], v[99:100], v[97:98], -v[103:104]
	v_mul_f64 v[99:100], v[99:100], v[105:106]
	v_fma_f64 v[99:100], v[101:102], v[97:98], v[99:100]
	s_waitcnt vmcnt(2)
	v_add_f64 v[13:14], v[13:14], -v[103:104]
	s_waitcnt vmcnt(0)
	v_add_f64 v[15:16], v[15:16], -v[99:100]
	buffer_store_dword v13, off, s[20:23], 0 offset:64 ; 4-byte Folded Spill
	s_nop 0
	buffer_store_dword v14, off, s[20:23], 0 offset:68 ; 4-byte Folded Spill
	buffer_store_dword v15, off, s[20:23], 0 offset:72 ; 4-byte Folded Spill
	buffer_store_dword v16, off, s[20:23], 0 offset:76 ; 4-byte Folded Spill
	ds_read2_b64 v[99:102], v125 offset0:34 offset1:35
	;; [unrolled: 19-line block ×4, first 2 shown]
	s_waitcnt lgkmcnt(0)
	v_mul_f64 v[103:104], v[101:102], v[105:106]
	v_fma_f64 v[103:104], v[99:100], v[97:98], -v[103:104]
	v_mul_f64 v[99:100], v[99:100], v[105:106]
	v_add_f64 v[73:74], v[73:74], -v[103:104]
	v_fma_f64 v[99:100], v[101:102], v[97:98], v[99:100]
	v_add_f64 v[75:76], v[75:76], -v[99:100]
	ds_read2_b64 v[99:102], v125 offset0:40 offset1:41
	s_waitcnt lgkmcnt(0)
	v_mul_f64 v[103:104], v[101:102], v[105:106]
	v_fma_f64 v[103:104], v[99:100], v[97:98], -v[103:104]
	v_mul_f64 v[99:100], v[99:100], v[105:106]
	v_add_f64 v[69:70], v[69:70], -v[103:104]
	v_fma_f64 v[99:100], v[101:102], v[97:98], v[99:100]
	v_add_f64 v[71:72], v[71:72], -v[99:100]
	ds_read2_b64 v[99:102], v125 offset0:42 offset1:43
	;; [unrolled: 8-line block ×15, first 2 shown]
	buffer_load_dword v13, off, s[20:23], 0 ; 4-byte Folded Reload
	buffer_load_dword v14, off, s[20:23], 0 offset:4 ; 4-byte Folded Reload
	buffer_load_dword v15, off, s[20:23], 0 offset:8 ; 4-byte Folded Reload
	;; [unrolled: 1-line block ×3, first 2 shown]
	s_waitcnt lgkmcnt(0)
	v_mul_f64 v[103:104], v[101:102], v[105:106]
	v_fma_f64 v[103:104], v[99:100], v[97:98], -v[103:104]
	v_mul_f64 v[99:100], v[99:100], v[105:106]
	v_fma_f64 v[99:100], v[101:102], v[97:98], v[99:100]
	s_waitcnt vmcnt(2)
	v_add_f64 v[13:14], v[13:14], -v[103:104]
	s_waitcnt vmcnt(0)
	v_add_f64 v[15:16], v[15:16], -v[99:100]
	buffer_store_dword v13, off, s[20:23], 0 ; 4-byte Folded Spill
	s_nop 0
	buffer_store_dword v14, off, s[20:23], 0 offset:4 ; 4-byte Folded Spill
	buffer_store_dword v15, off, s[20:23], 0 offset:8 ; 4-byte Folded Spill
	;; [unrolled: 1-line block ×3, first 2 shown]
	ds_read2_b64 v[99:102], v125 offset0:70 offset1:71
	s_waitcnt lgkmcnt(0)
	v_mul_f64 v[103:104], v[101:102], v[105:106]
	v_fma_f64 v[103:104], v[99:100], v[97:98], -v[103:104]
	v_mul_f64 v[99:100], v[99:100], v[105:106]
	v_add_f64 v[9:10], v[9:10], -v[103:104]
	v_fma_f64 v[99:100], v[101:102], v[97:98], v[99:100]
	v_add_f64 v[11:12], v[11:12], -v[99:100]
	ds_read2_b64 v[99:102], v125 offset0:72 offset1:73
	s_waitcnt lgkmcnt(0)
	v_mul_f64 v[103:104], v[101:102], v[105:106]
	v_fma_f64 v[103:104], v[99:100], v[97:98], -v[103:104]
	v_mul_f64 v[99:100], v[99:100], v[105:106]
	v_add_f64 v[5:6], v[5:6], -v[103:104]
	v_fma_f64 v[99:100], v[101:102], v[97:98], v[99:100]
	v_add_f64 v[7:8], v[7:8], -v[99:100]
	;; [unrolled: 8-line block ×3, first 2 shown]
	ds_read2_b64 v[99:102], v125 offset0:76 offset1:77
	buffer_load_dword v13, off, s[20:23], 0 offset:48 ; 4-byte Folded Reload
	buffer_load_dword v14, off, s[20:23], 0 offset:52 ; 4-byte Folded Reload
	;; [unrolled: 1-line block ×4, first 2 shown]
	s_waitcnt lgkmcnt(0)
	v_mul_f64 v[103:104], v[101:102], v[105:106]
	v_fma_f64 v[103:104], v[99:100], v[97:98], -v[103:104]
	v_mul_f64 v[99:100], v[99:100], v[105:106]
	v_fma_f64 v[99:100], v[101:102], v[97:98], v[99:100]
	s_waitcnt vmcnt(2)
	v_add_f64 v[13:14], v[13:14], -v[103:104]
	v_mov_b32_e32 v104, v98
	s_waitcnt vmcnt(0)
	v_add_f64 v[15:16], v[15:16], -v[99:100]
	v_mov_b32_e32 v103, v97
	buffer_store_dword v13, off, s[20:23], 0 offset:48 ; 4-byte Folded Spill
	s_nop 0
	buffer_store_dword v14, off, s[20:23], 0 offset:52 ; 4-byte Folded Spill
	buffer_store_dword v15, off, s[20:23], 0 offset:56 ; 4-byte Folded Spill
	;; [unrolled: 1-line block ×4, first 2 shown]
	s_nop 0
	buffer_store_dword v104, off, s[20:23], 0 offset:228 ; 4-byte Folded Spill
	buffer_store_dword v105, off, s[20:23], 0 offset:232 ; 4-byte Folded Spill
	;; [unrolled: 1-line block ×3, first 2 shown]
.LBB77_10:
	s_or_b64 exec, exec, s[4:5]
	s_waitcnt vmcnt(0)
	s_barrier
	buffer_load_dword v127, off, s[20:23], 0 offset:584 ; 4-byte Folded Reload
	s_waitcnt vmcnt(0)
	v_cmp_eq_u32_e32 vcc, 1, v127
	s_and_saveexec_b64 s[4:5], vcc
	s_cbranch_execz .LBB77_17
; %bb.11:
	buffer_load_dword v13, off, s[20:23], 0 offset:208 ; 4-byte Folded Reload
	buffer_load_dword v14, off, s[20:23], 0 offset:212 ; 4-byte Folded Reload
	;; [unrolled: 1-line block ×4, first 2 shown]
	s_waitcnt vmcnt(0)
	ds_write2_b64 v0, v[13:14], v[15:16] offset1:1
	buffer_load_dword v13, off, s[20:23], 0 offset:192 ; 4-byte Folded Reload
	buffer_load_dword v14, off, s[20:23], 0 offset:196 ; 4-byte Folded Reload
	buffer_load_dword v15, off, s[20:23], 0 offset:200 ; 4-byte Folded Reload
	buffer_load_dword v16, off, s[20:23], 0 offset:204 ; 4-byte Folded Reload
	s_waitcnt vmcnt(0)
	ds_write2_b64 v125, v[13:14], v[15:16] offset0:4 offset1:5
	buffer_load_dword v13, off, s[20:23], 0 offset:176 ; 4-byte Folded Reload
	buffer_load_dword v14, off, s[20:23], 0 offset:180 ; 4-byte Folded Reload
	buffer_load_dword v15, off, s[20:23], 0 offset:184 ; 4-byte Folded Reload
	buffer_load_dword v16, off, s[20:23], 0 offset:188 ; 4-byte Folded Reload
	s_waitcnt vmcnt(0)
	ds_write2_b64 v125, v[13:14], v[15:16] offset0:6 offset1:7
	;; [unrolled: 6-line block ×7, first 2 shown]
	ds_write2_b64 v125, v[93:94], v[95:96] offset0:18 offset1:19
	ds_write2_b64 v125, v[89:90], v[91:92] offset0:20 offset1:21
	;; [unrolled: 1-line block ×6, first 2 shown]
	buffer_load_dword v81, off, s[20:23], 0 offset:80 ; 4-byte Folded Reload
	buffer_load_dword v82, off, s[20:23], 0 offset:84 ; 4-byte Folded Reload
	buffer_load_dword v83, off, s[20:23], 0 offset:88 ; 4-byte Folded Reload
	buffer_load_dword v84, off, s[20:23], 0 offset:92 ; 4-byte Folded Reload
	s_waitcnt vmcnt(0)
	ds_write2_b64 v125, v[81:82], v[83:84] offset0:30 offset1:31
	buffer_load_dword v13, off, s[20:23], 0 offset:64 ; 4-byte Folded Reload
	buffer_load_dword v14, off, s[20:23], 0 offset:68 ; 4-byte Folded Reload
	buffer_load_dword v15, off, s[20:23], 0 offset:72 ; 4-byte Folded Reload
	buffer_load_dword v16, off, s[20:23], 0 offset:76 ; 4-byte Folded Reload
	s_waitcnt vmcnt(0)
	ds_write2_b64 v125, v[13:14], v[15:16] offset0:32 offset1:33
	;; [unrolled: 6-line block ×4, first 2 shown]
	ds_write2_b64 v125, v[73:74], v[75:76] offset0:38 offset1:39
	ds_write2_b64 v125, v[69:70], v[71:72] offset0:40 offset1:41
	;; [unrolled: 1-line block ×15, first 2 shown]
	buffer_load_dword v13, off, s[20:23], 0 ; 4-byte Folded Reload
	buffer_load_dword v14, off, s[20:23], 0 offset:4 ; 4-byte Folded Reload
	buffer_load_dword v15, off, s[20:23], 0 offset:8 ; 4-byte Folded Reload
	buffer_load_dword v16, off, s[20:23], 0 offset:12 ; 4-byte Folded Reload
	s_waitcnt vmcnt(0)
	ds_write2_b64 v125, v[13:14], v[15:16] offset0:68 offset1:69
	ds_write2_b64 v125, v[9:10], v[11:12] offset0:70 offset1:71
	;; [unrolled: 1-line block ×4, first 2 shown]
	buffer_load_dword v13, off, s[20:23], 0 offset:48 ; 4-byte Folded Reload
	buffer_load_dword v14, off, s[20:23], 0 offset:52 ; 4-byte Folded Reload
	;; [unrolled: 1-line block ×4, first 2 shown]
	s_waitcnt vmcnt(0)
	ds_write2_b64 v125, v[13:14], v[15:16] offset0:76 offset1:77
	ds_read2_b64 v[97:100], v0 offset1:1
	s_waitcnt lgkmcnt(0)
	v_cmp_neq_f64_e32 vcc, 0, v[97:98]
	v_cmp_neq_f64_e64 s[2:3], 0, v[99:100]
	s_or_b64 s[2:3], vcc, s[2:3]
	s_and_b64 exec, exec, s[2:3]
	s_cbranch_execz .LBB77_17
; %bb.12:
	v_cmp_ngt_f64_e64 s[2:3], |v[97:98]|, |v[99:100]|
                                        ; implicit-def: $vgpr101_vgpr102
	s_and_saveexec_b64 s[6:7], s[2:3]
	s_xor_b64 s[2:3], exec, s[6:7]
                                        ; implicit-def: $vgpr103_vgpr104
	s_cbranch_execz .LBB77_14
; %bb.13:
	v_div_scale_f64 v[101:102], s[6:7], v[99:100], v[99:100], v[97:98]
	v_rcp_f64_e32 v[103:104], v[101:102]
	v_fma_f64 v[105:106], -v[101:102], v[103:104], 1.0
	v_fma_f64 v[103:104], v[103:104], v[105:106], v[103:104]
	v_div_scale_f64 v[105:106], vcc, v[97:98], v[99:100], v[97:98]
	v_fma_f64 v[107:108], -v[101:102], v[103:104], 1.0
	v_fma_f64 v[103:104], v[103:104], v[107:108], v[103:104]
	v_mul_f64 v[107:108], v[105:106], v[103:104]
	v_fma_f64 v[101:102], -v[101:102], v[107:108], v[105:106]
	v_div_fmas_f64 v[101:102], v[101:102], v[103:104], v[107:108]
	v_div_fixup_f64 v[101:102], v[101:102], v[99:100], v[97:98]
	v_fma_f64 v[97:98], v[97:98], v[101:102], v[99:100]
	v_div_scale_f64 v[99:100], s[6:7], v[97:98], v[97:98], 1.0
	v_div_scale_f64 v[107:108], vcc, 1.0, v[97:98], 1.0
	v_rcp_f64_e32 v[103:104], v[99:100]
	v_fma_f64 v[105:106], -v[99:100], v[103:104], 1.0
	v_fma_f64 v[103:104], v[103:104], v[105:106], v[103:104]
	v_fma_f64 v[105:106], -v[99:100], v[103:104], 1.0
	v_fma_f64 v[103:104], v[103:104], v[105:106], v[103:104]
	v_mul_f64 v[105:106], v[107:108], v[103:104]
	v_fma_f64 v[99:100], -v[99:100], v[105:106], v[107:108]
	v_div_fmas_f64 v[99:100], v[99:100], v[103:104], v[105:106]
	v_div_fixup_f64 v[103:104], v[99:100], v[97:98], 1.0
                                        ; implicit-def: $vgpr97_vgpr98
	v_mul_f64 v[101:102], v[101:102], v[103:104]
	v_xor_b32_e32 v104, 0x80000000, v104
.LBB77_14:
	s_andn2_saveexec_b64 s[2:3], s[2:3]
	s_cbranch_execz .LBB77_16
; %bb.15:
	v_div_scale_f64 v[101:102], s[6:7], v[97:98], v[97:98], v[99:100]
	v_rcp_f64_e32 v[103:104], v[101:102]
	v_fma_f64 v[105:106], -v[101:102], v[103:104], 1.0
	v_fma_f64 v[103:104], v[103:104], v[105:106], v[103:104]
	v_div_scale_f64 v[105:106], vcc, v[99:100], v[97:98], v[99:100]
	v_fma_f64 v[107:108], -v[101:102], v[103:104], 1.0
	v_fma_f64 v[103:104], v[103:104], v[107:108], v[103:104]
	v_mul_f64 v[107:108], v[105:106], v[103:104]
	v_fma_f64 v[101:102], -v[101:102], v[107:108], v[105:106]
	v_div_fmas_f64 v[101:102], v[101:102], v[103:104], v[107:108]
	v_div_fixup_f64 v[103:104], v[101:102], v[97:98], v[99:100]
	v_fma_f64 v[97:98], v[99:100], v[103:104], v[97:98]
	v_div_scale_f64 v[99:100], s[6:7], v[97:98], v[97:98], 1.0
	v_div_scale_f64 v[107:108], vcc, 1.0, v[97:98], 1.0
	v_rcp_f64_e32 v[101:102], v[99:100]
	v_fma_f64 v[105:106], -v[99:100], v[101:102], 1.0
	v_fma_f64 v[101:102], v[101:102], v[105:106], v[101:102]
	v_fma_f64 v[105:106], -v[99:100], v[101:102], 1.0
	v_fma_f64 v[101:102], v[101:102], v[105:106], v[101:102]
	v_mul_f64 v[105:106], v[107:108], v[101:102]
	v_fma_f64 v[99:100], -v[99:100], v[105:106], v[107:108]
	v_div_fmas_f64 v[99:100], v[99:100], v[101:102], v[105:106]
	v_div_fixup_f64 v[101:102], v[99:100], v[97:98], 1.0
	v_mul_f64 v[103:104], v[103:104], -v[101:102]
.LBB77_16:
	s_or_b64 exec, exec, s[2:3]
	ds_write2_b64 v0, v[101:102], v[103:104] offset1:1
.LBB77_17:
	s_or_b64 exec, exec, s[4:5]
	s_waitcnt lgkmcnt(0)
	s_barrier
	ds_read2_b64 v[13:16], v0 offset1:1
	v_cmp_lt_u32_e32 vcc, 1, v127
	s_waitcnt lgkmcnt(0)
	buffer_store_dword v13, off, s[20:23], 0 offset:620 ; 4-byte Folded Spill
	s_nop 0
	buffer_store_dword v14, off, s[20:23], 0 offset:624 ; 4-byte Folded Spill
	buffer_store_dword v15, off, s[20:23], 0 offset:628 ; 4-byte Folded Spill
	;; [unrolled: 1-line block ×3, first 2 shown]
	s_and_saveexec_b64 s[2:3], vcc
	s_cbranch_execz .LBB77_19
; %bb.18:
	buffer_load_dword v103, off, s[20:23], 0 offset:208 ; 4-byte Folded Reload
	buffer_load_dword v104, off, s[20:23], 0 offset:212 ; 4-byte Folded Reload
	buffer_load_dword v105, off, s[20:23], 0 offset:216 ; 4-byte Folded Reload
	buffer_load_dword v106, off, s[20:23], 0 offset:220 ; 4-byte Folded Reload
	buffer_load_dword v13, off, s[20:23], 0 offset:620 ; 4-byte Folded Reload
	buffer_load_dword v14, off, s[20:23], 0 offset:624 ; 4-byte Folded Reload
	buffer_load_dword v15, off, s[20:23], 0 offset:628 ; 4-byte Folded Reload
	buffer_load_dword v16, off, s[20:23], 0 offset:632 ; 4-byte Folded Reload
	s_waitcnt vmcnt(2)
	v_mul_f64 v[99:100], v[13:14], v[105:106]
	s_waitcnt vmcnt(0)
	v_mul_f64 v[97:98], v[15:16], v[105:106]
	v_fma_f64 v[105:106], v[15:16], v[103:104], v[99:100]
	ds_read2_b64 v[99:102], v125 offset0:4 offset1:5
	v_fma_f64 v[97:98], v[13:14], v[103:104], -v[97:98]
	buffer_load_dword v13, off, s[20:23], 0 offset:192 ; 4-byte Folded Reload
	buffer_load_dword v14, off, s[20:23], 0 offset:196 ; 4-byte Folded Reload
	buffer_load_dword v15, off, s[20:23], 0 offset:200 ; 4-byte Folded Reload
	buffer_load_dword v16, off, s[20:23], 0 offset:204 ; 4-byte Folded Reload
	s_waitcnt lgkmcnt(0)
	v_mul_f64 v[103:104], v[101:102], v[105:106]
	v_fma_f64 v[103:104], v[99:100], v[97:98], -v[103:104]
	v_mul_f64 v[99:100], v[99:100], v[105:106]
	v_fma_f64 v[99:100], v[101:102], v[97:98], v[99:100]
	s_waitcnt vmcnt(2)
	v_add_f64 v[13:14], v[13:14], -v[103:104]
	s_waitcnt vmcnt(0)
	v_add_f64 v[15:16], v[15:16], -v[99:100]
	buffer_store_dword v13, off, s[20:23], 0 offset:192 ; 4-byte Folded Spill
	s_nop 0
	buffer_store_dword v14, off, s[20:23], 0 offset:196 ; 4-byte Folded Spill
	buffer_store_dword v15, off, s[20:23], 0 offset:200 ; 4-byte Folded Spill
	buffer_store_dword v16, off, s[20:23], 0 offset:204 ; 4-byte Folded Spill
	ds_read2_b64 v[99:102], v125 offset0:6 offset1:7
	buffer_load_dword v13, off, s[20:23], 0 offset:176 ; 4-byte Folded Reload
	buffer_load_dword v14, off, s[20:23], 0 offset:180 ; 4-byte Folded Reload
	buffer_load_dword v15, off, s[20:23], 0 offset:184 ; 4-byte Folded Reload
	buffer_load_dword v16, off, s[20:23], 0 offset:188 ; 4-byte Folded Reload
	s_waitcnt lgkmcnt(0)
	v_mul_f64 v[103:104], v[101:102], v[105:106]
	v_fma_f64 v[103:104], v[99:100], v[97:98], -v[103:104]
	v_mul_f64 v[99:100], v[99:100], v[105:106]
	v_fma_f64 v[99:100], v[101:102], v[97:98], v[99:100]
	s_waitcnt vmcnt(2)
	v_add_f64 v[13:14], v[13:14], -v[103:104]
	s_waitcnt vmcnt(0)
	v_add_f64 v[15:16], v[15:16], -v[99:100]
	buffer_store_dword v13, off, s[20:23], 0 offset:176 ; 4-byte Folded Spill
	s_nop 0
	buffer_store_dword v14, off, s[20:23], 0 offset:180 ; 4-byte Folded Spill
	buffer_store_dword v15, off, s[20:23], 0 offset:184 ; 4-byte Folded Spill
	buffer_store_dword v16, off, s[20:23], 0 offset:188 ; 4-byte Folded Spill
	ds_read2_b64 v[99:102], v125 offset0:8 offset1:9
	;; [unrolled: 19-line block ×7, first 2 shown]
	s_waitcnt lgkmcnt(0)
	v_mul_f64 v[103:104], v[101:102], v[105:106]
	v_fma_f64 v[103:104], v[99:100], v[97:98], -v[103:104]
	v_mul_f64 v[99:100], v[99:100], v[105:106]
	v_add_f64 v[93:94], v[93:94], -v[103:104]
	v_fma_f64 v[99:100], v[101:102], v[97:98], v[99:100]
	v_add_f64 v[95:96], v[95:96], -v[99:100]
	ds_read2_b64 v[99:102], v125 offset0:20 offset1:21
	s_waitcnt lgkmcnt(0)
	v_mul_f64 v[103:104], v[101:102], v[105:106]
	v_fma_f64 v[103:104], v[99:100], v[97:98], -v[103:104]
	v_mul_f64 v[99:100], v[99:100], v[105:106]
	v_add_f64 v[89:90], v[89:90], -v[103:104]
	v_fma_f64 v[99:100], v[101:102], v[97:98], v[99:100]
	v_add_f64 v[91:92], v[91:92], -v[99:100]
	ds_read2_b64 v[99:102], v125 offset0:22 offset1:23
	;; [unrolled: 8-line block ×6, first 2 shown]
	buffer_load_dword v81, off, s[20:23], 0 offset:80 ; 4-byte Folded Reload
	buffer_load_dword v82, off, s[20:23], 0 offset:84 ; 4-byte Folded Reload
	buffer_load_dword v83, off, s[20:23], 0 offset:88 ; 4-byte Folded Reload
	buffer_load_dword v84, off, s[20:23], 0 offset:92 ; 4-byte Folded Reload
	s_waitcnt lgkmcnt(0)
	v_mul_f64 v[103:104], v[101:102], v[105:106]
	v_fma_f64 v[103:104], v[99:100], v[97:98], -v[103:104]
	v_mul_f64 v[99:100], v[99:100], v[105:106]
	v_fma_f64 v[99:100], v[101:102], v[97:98], v[99:100]
	s_waitcnt vmcnt(2)
	v_add_f64 v[81:82], v[81:82], -v[103:104]
	s_waitcnt vmcnt(0)
	v_add_f64 v[83:84], v[83:84], -v[99:100]
	buffer_store_dword v81, off, s[20:23], 0 offset:80 ; 4-byte Folded Spill
	s_nop 0
	buffer_store_dword v82, off, s[20:23], 0 offset:84 ; 4-byte Folded Spill
	buffer_store_dword v83, off, s[20:23], 0 offset:88 ; 4-byte Folded Spill
	buffer_store_dword v84, off, s[20:23], 0 offset:92 ; 4-byte Folded Spill
	ds_read2_b64 v[99:102], v125 offset0:32 offset1:33
	buffer_load_dword v13, off, s[20:23], 0 offset:64 ; 4-byte Folded Reload
	buffer_load_dword v14, off, s[20:23], 0 offset:68 ; 4-byte Folded Reload
	buffer_load_dword v15, off, s[20:23], 0 offset:72 ; 4-byte Folded Reload
	buffer_load_dword v16, off, s[20:23], 0 offset:76 ; 4-byte Folded Reload
	s_waitcnt lgkmcnt(0)
	v_mul_f64 v[103:104], v[101:102], v[105:106]
	v_fma_f64 v[103:104], v[99:100], v[97:98], -v[103:104]
	v_mul_f64 v[99:100], v[99:100], v[105:106]
	v_fma_f64 v[99:100], v[101:102], v[97:98], v[99:100]
	s_waitcnt vmcnt(2)
	v_add_f64 v[13:14], v[13:14], -v[103:104]
	s_waitcnt vmcnt(0)
	v_add_f64 v[15:16], v[15:16], -v[99:100]
	buffer_store_dword v13, off, s[20:23], 0 offset:64 ; 4-byte Folded Spill
	s_nop 0
	buffer_store_dword v14, off, s[20:23], 0 offset:68 ; 4-byte Folded Spill
	buffer_store_dword v15, off, s[20:23], 0 offset:72 ; 4-byte Folded Spill
	buffer_store_dword v16, off, s[20:23], 0 offset:76 ; 4-byte Folded Spill
	ds_read2_b64 v[99:102], v125 offset0:34 offset1:35
	;; [unrolled: 19-line block ×4, first 2 shown]
	s_waitcnt lgkmcnt(0)
	v_mul_f64 v[103:104], v[101:102], v[105:106]
	v_fma_f64 v[103:104], v[99:100], v[97:98], -v[103:104]
	v_mul_f64 v[99:100], v[99:100], v[105:106]
	v_add_f64 v[73:74], v[73:74], -v[103:104]
	v_fma_f64 v[99:100], v[101:102], v[97:98], v[99:100]
	v_add_f64 v[75:76], v[75:76], -v[99:100]
	ds_read2_b64 v[99:102], v125 offset0:40 offset1:41
	s_waitcnt lgkmcnt(0)
	v_mul_f64 v[103:104], v[101:102], v[105:106]
	v_fma_f64 v[103:104], v[99:100], v[97:98], -v[103:104]
	v_mul_f64 v[99:100], v[99:100], v[105:106]
	v_add_f64 v[69:70], v[69:70], -v[103:104]
	v_fma_f64 v[99:100], v[101:102], v[97:98], v[99:100]
	v_add_f64 v[71:72], v[71:72], -v[99:100]
	ds_read2_b64 v[99:102], v125 offset0:42 offset1:43
	;; [unrolled: 8-line block ×15, first 2 shown]
	buffer_load_dword v13, off, s[20:23], 0 ; 4-byte Folded Reload
	buffer_load_dword v14, off, s[20:23], 0 offset:4 ; 4-byte Folded Reload
	buffer_load_dword v15, off, s[20:23], 0 offset:8 ; 4-byte Folded Reload
	;; [unrolled: 1-line block ×3, first 2 shown]
	s_waitcnt lgkmcnt(0)
	v_mul_f64 v[103:104], v[101:102], v[105:106]
	v_fma_f64 v[103:104], v[99:100], v[97:98], -v[103:104]
	v_mul_f64 v[99:100], v[99:100], v[105:106]
	v_fma_f64 v[99:100], v[101:102], v[97:98], v[99:100]
	s_waitcnt vmcnt(2)
	v_add_f64 v[13:14], v[13:14], -v[103:104]
	s_waitcnt vmcnt(0)
	v_add_f64 v[15:16], v[15:16], -v[99:100]
	buffer_store_dword v13, off, s[20:23], 0 ; 4-byte Folded Spill
	s_nop 0
	buffer_store_dword v14, off, s[20:23], 0 offset:4 ; 4-byte Folded Spill
	buffer_store_dword v15, off, s[20:23], 0 offset:8 ; 4-byte Folded Spill
	;; [unrolled: 1-line block ×3, first 2 shown]
	ds_read2_b64 v[99:102], v125 offset0:70 offset1:71
	s_waitcnt lgkmcnt(0)
	v_mul_f64 v[103:104], v[101:102], v[105:106]
	v_fma_f64 v[103:104], v[99:100], v[97:98], -v[103:104]
	v_mul_f64 v[99:100], v[99:100], v[105:106]
	v_add_f64 v[9:10], v[9:10], -v[103:104]
	v_fma_f64 v[99:100], v[101:102], v[97:98], v[99:100]
	v_add_f64 v[11:12], v[11:12], -v[99:100]
	ds_read2_b64 v[99:102], v125 offset0:72 offset1:73
	s_waitcnt lgkmcnt(0)
	v_mul_f64 v[103:104], v[101:102], v[105:106]
	v_fma_f64 v[103:104], v[99:100], v[97:98], -v[103:104]
	v_mul_f64 v[99:100], v[99:100], v[105:106]
	v_add_f64 v[5:6], v[5:6], -v[103:104]
	v_fma_f64 v[99:100], v[101:102], v[97:98], v[99:100]
	v_add_f64 v[7:8], v[7:8], -v[99:100]
	;; [unrolled: 8-line block ×3, first 2 shown]
	ds_read2_b64 v[99:102], v125 offset0:76 offset1:77
	buffer_load_dword v13, off, s[20:23], 0 offset:48 ; 4-byte Folded Reload
	buffer_load_dword v14, off, s[20:23], 0 offset:52 ; 4-byte Folded Reload
	buffer_load_dword v15, off, s[20:23], 0 offset:56 ; 4-byte Folded Reload
	buffer_load_dword v16, off, s[20:23], 0 offset:60 ; 4-byte Folded Reload
	s_waitcnt lgkmcnt(0)
	v_mul_f64 v[103:104], v[101:102], v[105:106]
	v_fma_f64 v[103:104], v[99:100], v[97:98], -v[103:104]
	v_mul_f64 v[99:100], v[99:100], v[105:106]
	v_fma_f64 v[99:100], v[101:102], v[97:98], v[99:100]
	s_waitcnt vmcnt(2)
	v_add_f64 v[13:14], v[13:14], -v[103:104]
	v_mov_b32_e32 v104, v98
	s_waitcnt vmcnt(0)
	v_add_f64 v[15:16], v[15:16], -v[99:100]
	v_mov_b32_e32 v103, v97
	buffer_store_dword v13, off, s[20:23], 0 offset:48 ; 4-byte Folded Spill
	s_nop 0
	buffer_store_dword v14, off, s[20:23], 0 offset:52 ; 4-byte Folded Spill
	buffer_store_dword v15, off, s[20:23], 0 offset:56 ; 4-byte Folded Spill
	;; [unrolled: 1-line block ×4, first 2 shown]
	s_nop 0
	buffer_store_dword v104, off, s[20:23], 0 offset:212 ; 4-byte Folded Spill
	buffer_store_dword v105, off, s[20:23], 0 offset:216 ; 4-byte Folded Spill
	;; [unrolled: 1-line block ×3, first 2 shown]
.LBB77_19:
	s_or_b64 exec, exec, s[2:3]
	v_cmp_eq_u32_e32 vcc, 2, v127
	s_waitcnt vmcnt(0)
	s_barrier
	s_and_saveexec_b64 s[4:5], vcc
	s_cbranch_execz .LBB77_26
; %bb.20:
	buffer_load_dword v13, off, s[20:23], 0 offset:192 ; 4-byte Folded Reload
	buffer_load_dword v14, off, s[20:23], 0 offset:196 ; 4-byte Folded Reload
	;; [unrolled: 1-line block ×4, first 2 shown]
	s_waitcnt vmcnt(0)
	ds_write2_b64 v0, v[13:14], v[15:16] offset1:1
	buffer_load_dword v13, off, s[20:23], 0 offset:176 ; 4-byte Folded Reload
	buffer_load_dword v14, off, s[20:23], 0 offset:180 ; 4-byte Folded Reload
	buffer_load_dword v15, off, s[20:23], 0 offset:184 ; 4-byte Folded Reload
	buffer_load_dword v16, off, s[20:23], 0 offset:188 ; 4-byte Folded Reload
	s_waitcnt vmcnt(0)
	ds_write2_b64 v125, v[13:14], v[15:16] offset0:6 offset1:7
	buffer_load_dword v13, off, s[20:23], 0 offset:160 ; 4-byte Folded Reload
	buffer_load_dword v14, off, s[20:23], 0 offset:164 ; 4-byte Folded Reload
	buffer_load_dword v15, off, s[20:23], 0 offset:168 ; 4-byte Folded Reload
	buffer_load_dword v16, off, s[20:23], 0 offset:172 ; 4-byte Folded Reload
	s_waitcnt vmcnt(0)
	ds_write2_b64 v125, v[13:14], v[15:16] offset0:8 offset1:9
	;; [unrolled: 6-line block ×6, first 2 shown]
	ds_write2_b64 v125, v[93:94], v[95:96] offset0:18 offset1:19
	ds_write2_b64 v125, v[89:90], v[91:92] offset0:20 offset1:21
	;; [unrolled: 1-line block ×6, first 2 shown]
	buffer_load_dword v81, off, s[20:23], 0 offset:80 ; 4-byte Folded Reload
	buffer_load_dword v82, off, s[20:23], 0 offset:84 ; 4-byte Folded Reload
	buffer_load_dword v83, off, s[20:23], 0 offset:88 ; 4-byte Folded Reload
	buffer_load_dword v84, off, s[20:23], 0 offset:92 ; 4-byte Folded Reload
	s_waitcnt vmcnt(0)
	ds_write2_b64 v125, v[81:82], v[83:84] offset0:30 offset1:31
	buffer_load_dword v13, off, s[20:23], 0 offset:64 ; 4-byte Folded Reload
	buffer_load_dword v14, off, s[20:23], 0 offset:68 ; 4-byte Folded Reload
	buffer_load_dword v15, off, s[20:23], 0 offset:72 ; 4-byte Folded Reload
	buffer_load_dword v16, off, s[20:23], 0 offset:76 ; 4-byte Folded Reload
	s_waitcnt vmcnt(0)
	ds_write2_b64 v125, v[13:14], v[15:16] offset0:32 offset1:33
	;; [unrolled: 6-line block ×4, first 2 shown]
	ds_write2_b64 v125, v[73:74], v[75:76] offset0:38 offset1:39
	ds_write2_b64 v125, v[69:70], v[71:72] offset0:40 offset1:41
	;; [unrolled: 1-line block ×15, first 2 shown]
	buffer_load_dword v13, off, s[20:23], 0 ; 4-byte Folded Reload
	buffer_load_dword v14, off, s[20:23], 0 offset:4 ; 4-byte Folded Reload
	buffer_load_dword v15, off, s[20:23], 0 offset:8 ; 4-byte Folded Reload
	;; [unrolled: 1-line block ×3, first 2 shown]
	s_waitcnt vmcnt(0)
	ds_write2_b64 v125, v[13:14], v[15:16] offset0:68 offset1:69
	ds_write2_b64 v125, v[9:10], v[11:12] offset0:70 offset1:71
	;; [unrolled: 1-line block ×4, first 2 shown]
	buffer_load_dword v13, off, s[20:23], 0 offset:48 ; 4-byte Folded Reload
	buffer_load_dword v14, off, s[20:23], 0 offset:52 ; 4-byte Folded Reload
	;; [unrolled: 1-line block ×4, first 2 shown]
	s_waitcnt vmcnt(0)
	ds_write2_b64 v125, v[13:14], v[15:16] offset0:76 offset1:77
	ds_read2_b64 v[97:100], v0 offset1:1
	s_waitcnt lgkmcnt(0)
	v_cmp_neq_f64_e32 vcc, 0, v[97:98]
	v_cmp_neq_f64_e64 s[2:3], 0, v[99:100]
	s_or_b64 s[2:3], vcc, s[2:3]
	s_and_b64 exec, exec, s[2:3]
	s_cbranch_execz .LBB77_26
; %bb.21:
	v_cmp_ngt_f64_e64 s[2:3], |v[97:98]|, |v[99:100]|
                                        ; implicit-def: $vgpr101_vgpr102
	s_and_saveexec_b64 s[6:7], s[2:3]
	s_xor_b64 s[2:3], exec, s[6:7]
                                        ; implicit-def: $vgpr103_vgpr104
	s_cbranch_execz .LBB77_23
; %bb.22:
	v_div_scale_f64 v[101:102], s[6:7], v[99:100], v[99:100], v[97:98]
	v_rcp_f64_e32 v[103:104], v[101:102]
	v_fma_f64 v[105:106], -v[101:102], v[103:104], 1.0
	v_fma_f64 v[103:104], v[103:104], v[105:106], v[103:104]
	v_div_scale_f64 v[105:106], vcc, v[97:98], v[99:100], v[97:98]
	v_fma_f64 v[107:108], -v[101:102], v[103:104], 1.0
	v_fma_f64 v[103:104], v[103:104], v[107:108], v[103:104]
	v_mul_f64 v[107:108], v[105:106], v[103:104]
	v_fma_f64 v[101:102], -v[101:102], v[107:108], v[105:106]
	v_div_fmas_f64 v[101:102], v[101:102], v[103:104], v[107:108]
	v_div_fixup_f64 v[101:102], v[101:102], v[99:100], v[97:98]
	v_fma_f64 v[97:98], v[97:98], v[101:102], v[99:100]
	v_div_scale_f64 v[99:100], s[6:7], v[97:98], v[97:98], 1.0
	v_div_scale_f64 v[107:108], vcc, 1.0, v[97:98], 1.0
	v_rcp_f64_e32 v[103:104], v[99:100]
	v_fma_f64 v[105:106], -v[99:100], v[103:104], 1.0
	v_fma_f64 v[103:104], v[103:104], v[105:106], v[103:104]
	v_fma_f64 v[105:106], -v[99:100], v[103:104], 1.0
	v_fma_f64 v[103:104], v[103:104], v[105:106], v[103:104]
	v_mul_f64 v[105:106], v[107:108], v[103:104]
	v_fma_f64 v[99:100], -v[99:100], v[105:106], v[107:108]
	v_div_fmas_f64 v[99:100], v[99:100], v[103:104], v[105:106]
	v_div_fixup_f64 v[103:104], v[99:100], v[97:98], 1.0
                                        ; implicit-def: $vgpr97_vgpr98
	v_mul_f64 v[101:102], v[101:102], v[103:104]
	v_xor_b32_e32 v104, 0x80000000, v104
.LBB77_23:
	s_andn2_saveexec_b64 s[2:3], s[2:3]
	s_cbranch_execz .LBB77_25
; %bb.24:
	v_div_scale_f64 v[101:102], s[6:7], v[97:98], v[97:98], v[99:100]
	v_rcp_f64_e32 v[103:104], v[101:102]
	v_fma_f64 v[105:106], -v[101:102], v[103:104], 1.0
	v_fma_f64 v[103:104], v[103:104], v[105:106], v[103:104]
	v_div_scale_f64 v[105:106], vcc, v[99:100], v[97:98], v[99:100]
	v_fma_f64 v[107:108], -v[101:102], v[103:104], 1.0
	v_fma_f64 v[103:104], v[103:104], v[107:108], v[103:104]
	v_mul_f64 v[107:108], v[105:106], v[103:104]
	v_fma_f64 v[101:102], -v[101:102], v[107:108], v[105:106]
	v_div_fmas_f64 v[101:102], v[101:102], v[103:104], v[107:108]
	v_div_fixup_f64 v[103:104], v[101:102], v[97:98], v[99:100]
	v_fma_f64 v[97:98], v[99:100], v[103:104], v[97:98]
	v_div_scale_f64 v[99:100], s[6:7], v[97:98], v[97:98], 1.0
	v_div_scale_f64 v[107:108], vcc, 1.0, v[97:98], 1.0
	v_rcp_f64_e32 v[101:102], v[99:100]
	v_fma_f64 v[105:106], -v[99:100], v[101:102], 1.0
	v_fma_f64 v[101:102], v[101:102], v[105:106], v[101:102]
	v_fma_f64 v[105:106], -v[99:100], v[101:102], 1.0
	v_fma_f64 v[101:102], v[101:102], v[105:106], v[101:102]
	v_mul_f64 v[105:106], v[107:108], v[101:102]
	v_fma_f64 v[99:100], -v[99:100], v[105:106], v[107:108]
	v_div_fmas_f64 v[99:100], v[99:100], v[101:102], v[105:106]
	v_div_fixup_f64 v[101:102], v[99:100], v[97:98], 1.0
	v_mul_f64 v[103:104], v[103:104], -v[101:102]
.LBB77_25:
	s_or_b64 exec, exec, s[2:3]
	ds_write2_b64 v0, v[101:102], v[103:104] offset1:1
.LBB77_26:
	s_or_b64 exec, exec, s[4:5]
	s_waitcnt lgkmcnt(0)
	s_barrier
	ds_read2_b64 v[13:16], v0 offset1:1
	v_cmp_lt_u32_e32 vcc, 2, v127
	s_waitcnt lgkmcnt(0)
	buffer_store_dword v13, off, s[20:23], 0 offset:636 ; 4-byte Folded Spill
	s_nop 0
	buffer_store_dword v14, off, s[20:23], 0 offset:640 ; 4-byte Folded Spill
	buffer_store_dword v15, off, s[20:23], 0 offset:644 ; 4-byte Folded Spill
	;; [unrolled: 1-line block ×3, first 2 shown]
	s_and_saveexec_b64 s[2:3], vcc
	s_cbranch_execz .LBB77_28
; %bb.27:
	buffer_load_dword v103, off, s[20:23], 0 offset:192 ; 4-byte Folded Reload
	buffer_load_dword v104, off, s[20:23], 0 offset:196 ; 4-byte Folded Reload
	;; [unrolled: 1-line block ×8, first 2 shown]
	s_waitcnt vmcnt(2)
	v_mul_f64 v[99:100], v[13:14], v[105:106]
	s_waitcnt vmcnt(0)
	v_mul_f64 v[97:98], v[15:16], v[105:106]
	v_fma_f64 v[105:106], v[15:16], v[103:104], v[99:100]
	ds_read2_b64 v[99:102], v125 offset0:6 offset1:7
	v_fma_f64 v[97:98], v[13:14], v[103:104], -v[97:98]
	buffer_load_dword v13, off, s[20:23], 0 offset:176 ; 4-byte Folded Reload
	buffer_load_dword v14, off, s[20:23], 0 offset:180 ; 4-byte Folded Reload
	buffer_load_dword v15, off, s[20:23], 0 offset:184 ; 4-byte Folded Reload
	buffer_load_dword v16, off, s[20:23], 0 offset:188 ; 4-byte Folded Reload
	s_waitcnt lgkmcnt(0)
	v_mul_f64 v[103:104], v[101:102], v[105:106]
	v_fma_f64 v[103:104], v[99:100], v[97:98], -v[103:104]
	v_mul_f64 v[99:100], v[99:100], v[105:106]
	v_fma_f64 v[99:100], v[101:102], v[97:98], v[99:100]
	s_waitcnt vmcnt(2)
	v_add_f64 v[13:14], v[13:14], -v[103:104]
	s_waitcnt vmcnt(0)
	v_add_f64 v[15:16], v[15:16], -v[99:100]
	buffer_store_dword v13, off, s[20:23], 0 offset:176 ; 4-byte Folded Spill
	s_nop 0
	buffer_store_dword v14, off, s[20:23], 0 offset:180 ; 4-byte Folded Spill
	buffer_store_dword v15, off, s[20:23], 0 offset:184 ; 4-byte Folded Spill
	buffer_store_dword v16, off, s[20:23], 0 offset:188 ; 4-byte Folded Spill
	ds_read2_b64 v[99:102], v125 offset0:8 offset1:9
	buffer_load_dword v13, off, s[20:23], 0 offset:160 ; 4-byte Folded Reload
	buffer_load_dword v14, off, s[20:23], 0 offset:164 ; 4-byte Folded Reload
	buffer_load_dword v15, off, s[20:23], 0 offset:168 ; 4-byte Folded Reload
	buffer_load_dword v16, off, s[20:23], 0 offset:172 ; 4-byte Folded Reload
	s_waitcnt lgkmcnt(0)
	v_mul_f64 v[103:104], v[101:102], v[105:106]
	v_fma_f64 v[103:104], v[99:100], v[97:98], -v[103:104]
	v_mul_f64 v[99:100], v[99:100], v[105:106]
	v_fma_f64 v[99:100], v[101:102], v[97:98], v[99:100]
	s_waitcnt vmcnt(2)
	v_add_f64 v[13:14], v[13:14], -v[103:104]
	s_waitcnt vmcnt(0)
	v_add_f64 v[15:16], v[15:16], -v[99:100]
	buffer_store_dword v13, off, s[20:23], 0 offset:160 ; 4-byte Folded Spill
	s_nop 0
	buffer_store_dword v14, off, s[20:23], 0 offset:164 ; 4-byte Folded Spill
	buffer_store_dword v15, off, s[20:23], 0 offset:168 ; 4-byte Folded Spill
	buffer_store_dword v16, off, s[20:23], 0 offset:172 ; 4-byte Folded Spill
	ds_read2_b64 v[99:102], v125 offset0:10 offset1:11
	buffer_load_dword v13, off, s[20:23], 0 offset:144 ; 4-byte Folded Reload
	buffer_load_dword v14, off, s[20:23], 0 offset:148 ; 4-byte Folded Reload
	buffer_load_dword v15, off, s[20:23], 0 offset:152 ; 4-byte Folded Reload
	buffer_load_dword v16, off, s[20:23], 0 offset:156 ; 4-byte Folded Reload
	s_waitcnt lgkmcnt(0)
	v_mul_f64 v[103:104], v[101:102], v[105:106]
	v_fma_f64 v[103:104], v[99:100], v[97:98], -v[103:104]
	v_mul_f64 v[99:100], v[99:100], v[105:106]
	v_fma_f64 v[99:100], v[101:102], v[97:98], v[99:100]
	s_waitcnt vmcnt(2)
	v_add_f64 v[13:14], v[13:14], -v[103:104]
	s_waitcnt vmcnt(0)
	v_add_f64 v[15:16], v[15:16], -v[99:100]
	buffer_store_dword v13, off, s[20:23], 0 offset:144 ; 4-byte Folded Spill
	s_nop 0
	buffer_store_dword v14, off, s[20:23], 0 offset:148 ; 4-byte Folded Spill
	buffer_store_dword v15, off, s[20:23], 0 offset:152 ; 4-byte Folded Spill
	buffer_store_dword v16, off, s[20:23], 0 offset:156 ; 4-byte Folded Spill
	ds_read2_b64 v[99:102], v125 offset0:12 offset1:13
	buffer_load_dword v13, off, s[20:23], 0 offset:128 ; 4-byte Folded Reload
	buffer_load_dword v14, off, s[20:23], 0 offset:132 ; 4-byte Folded Reload
	buffer_load_dword v15, off, s[20:23], 0 offset:136 ; 4-byte Folded Reload
	buffer_load_dword v16, off, s[20:23], 0 offset:140 ; 4-byte Folded Reload
	s_waitcnt lgkmcnt(0)
	v_mul_f64 v[103:104], v[101:102], v[105:106]
	v_fma_f64 v[103:104], v[99:100], v[97:98], -v[103:104]
	v_mul_f64 v[99:100], v[99:100], v[105:106]
	v_fma_f64 v[99:100], v[101:102], v[97:98], v[99:100]
	s_waitcnt vmcnt(2)
	v_add_f64 v[13:14], v[13:14], -v[103:104]
	s_waitcnt vmcnt(0)
	v_add_f64 v[15:16], v[15:16], -v[99:100]
	buffer_store_dword v13, off, s[20:23], 0 offset:128 ; 4-byte Folded Spill
	s_nop 0
	buffer_store_dword v14, off, s[20:23], 0 offset:132 ; 4-byte Folded Spill
	buffer_store_dword v15, off, s[20:23], 0 offset:136 ; 4-byte Folded Spill
	buffer_store_dword v16, off, s[20:23], 0 offset:140 ; 4-byte Folded Spill
	ds_read2_b64 v[99:102], v125 offset0:14 offset1:15
	buffer_load_dword v13, off, s[20:23], 0 offset:112 ; 4-byte Folded Reload
	buffer_load_dword v14, off, s[20:23], 0 offset:116 ; 4-byte Folded Reload
	buffer_load_dword v15, off, s[20:23], 0 offset:120 ; 4-byte Folded Reload
	buffer_load_dword v16, off, s[20:23], 0 offset:124 ; 4-byte Folded Reload
	s_waitcnt lgkmcnt(0)
	v_mul_f64 v[103:104], v[101:102], v[105:106]
	v_fma_f64 v[103:104], v[99:100], v[97:98], -v[103:104]
	v_mul_f64 v[99:100], v[99:100], v[105:106]
	v_fma_f64 v[99:100], v[101:102], v[97:98], v[99:100]
	s_waitcnt vmcnt(2)
	v_add_f64 v[13:14], v[13:14], -v[103:104]
	s_waitcnt vmcnt(0)
	v_add_f64 v[15:16], v[15:16], -v[99:100]
	buffer_store_dword v13, off, s[20:23], 0 offset:112 ; 4-byte Folded Spill
	s_nop 0
	buffer_store_dword v14, off, s[20:23], 0 offset:116 ; 4-byte Folded Spill
	buffer_store_dword v15, off, s[20:23], 0 offset:120 ; 4-byte Folded Spill
	buffer_store_dword v16, off, s[20:23], 0 offset:124 ; 4-byte Folded Spill
	ds_read2_b64 v[99:102], v125 offset0:16 offset1:17
	buffer_load_dword v13, off, s[20:23], 0 offset:96 ; 4-byte Folded Reload
	buffer_load_dword v14, off, s[20:23], 0 offset:100 ; 4-byte Folded Reload
	buffer_load_dword v15, off, s[20:23], 0 offset:104 ; 4-byte Folded Reload
	buffer_load_dword v16, off, s[20:23], 0 offset:108 ; 4-byte Folded Reload
	s_waitcnt lgkmcnt(0)
	v_mul_f64 v[103:104], v[101:102], v[105:106]
	v_fma_f64 v[103:104], v[99:100], v[97:98], -v[103:104]
	v_mul_f64 v[99:100], v[99:100], v[105:106]
	v_fma_f64 v[99:100], v[101:102], v[97:98], v[99:100]
	s_waitcnt vmcnt(2)
	v_add_f64 v[13:14], v[13:14], -v[103:104]
	s_waitcnt vmcnt(0)
	v_add_f64 v[15:16], v[15:16], -v[99:100]
	buffer_store_dword v13, off, s[20:23], 0 offset:96 ; 4-byte Folded Spill
	s_nop 0
	buffer_store_dword v14, off, s[20:23], 0 offset:100 ; 4-byte Folded Spill
	buffer_store_dword v15, off, s[20:23], 0 offset:104 ; 4-byte Folded Spill
	buffer_store_dword v16, off, s[20:23], 0 offset:108 ; 4-byte Folded Spill
	ds_read2_b64 v[99:102], v125 offset0:18 offset1:19
	s_waitcnt lgkmcnt(0)
	v_mul_f64 v[103:104], v[101:102], v[105:106]
	v_fma_f64 v[103:104], v[99:100], v[97:98], -v[103:104]
	v_mul_f64 v[99:100], v[99:100], v[105:106]
	v_add_f64 v[93:94], v[93:94], -v[103:104]
	v_fma_f64 v[99:100], v[101:102], v[97:98], v[99:100]
	v_add_f64 v[95:96], v[95:96], -v[99:100]
	ds_read2_b64 v[99:102], v125 offset0:20 offset1:21
	s_waitcnt lgkmcnt(0)
	v_mul_f64 v[103:104], v[101:102], v[105:106]
	v_fma_f64 v[103:104], v[99:100], v[97:98], -v[103:104]
	v_mul_f64 v[99:100], v[99:100], v[105:106]
	v_add_f64 v[89:90], v[89:90], -v[103:104]
	v_fma_f64 v[99:100], v[101:102], v[97:98], v[99:100]
	v_add_f64 v[91:92], v[91:92], -v[99:100]
	ds_read2_b64 v[99:102], v125 offset0:22 offset1:23
	s_waitcnt lgkmcnt(0)
	v_mul_f64 v[103:104], v[101:102], v[105:106]
	v_fma_f64 v[103:104], v[99:100], v[97:98], -v[103:104]
	v_mul_f64 v[99:100], v[99:100], v[105:106]
	v_add_f64 v[117:118], v[117:118], -v[103:104]
	v_fma_f64 v[99:100], v[101:102], v[97:98], v[99:100]
	v_add_f64 v[119:120], v[119:120], -v[99:100]
	ds_read2_b64 v[99:102], v125 offset0:24 offset1:25
	s_waitcnt lgkmcnt(0)
	v_mul_f64 v[103:104], v[101:102], v[105:106]
	v_fma_f64 v[103:104], v[99:100], v[97:98], -v[103:104]
	v_mul_f64 v[99:100], v[99:100], v[105:106]
	v_add_f64 v[85:86], v[85:86], -v[103:104]
	v_fma_f64 v[99:100], v[101:102], v[97:98], v[99:100]
	v_add_f64 v[87:88], v[87:88], -v[99:100]
	ds_read2_b64 v[99:102], v125 offset0:26 offset1:27
	s_waitcnt lgkmcnt(0)
	v_mul_f64 v[103:104], v[101:102], v[105:106]
	v_fma_f64 v[103:104], v[99:100], v[97:98], -v[103:104]
	v_mul_f64 v[99:100], v[99:100], v[105:106]
	v_add_f64 v[121:122], v[121:122], -v[103:104]
	v_fma_f64 v[99:100], v[101:102], v[97:98], v[99:100]
	v_add_f64 v[123:124], v[123:124], -v[99:100]
	ds_read2_b64 v[99:102], v125 offset0:28 offset1:29
	s_waitcnt lgkmcnt(0)
	v_mul_f64 v[103:104], v[101:102], v[105:106]
	v_fma_f64 v[103:104], v[99:100], v[97:98], -v[103:104]
	v_mul_f64 v[99:100], v[99:100], v[105:106]
	v_add_f64 v[109:110], v[109:110], -v[103:104]
	v_fma_f64 v[99:100], v[101:102], v[97:98], v[99:100]
	v_add_f64 v[111:112], v[111:112], -v[99:100]
	ds_read2_b64 v[99:102], v125 offset0:30 offset1:31
	buffer_load_dword v81, off, s[20:23], 0 offset:80 ; 4-byte Folded Reload
	buffer_load_dword v82, off, s[20:23], 0 offset:84 ; 4-byte Folded Reload
	buffer_load_dword v83, off, s[20:23], 0 offset:88 ; 4-byte Folded Reload
	buffer_load_dword v84, off, s[20:23], 0 offset:92 ; 4-byte Folded Reload
	s_waitcnt lgkmcnt(0)
	v_mul_f64 v[103:104], v[101:102], v[105:106]
	v_fma_f64 v[103:104], v[99:100], v[97:98], -v[103:104]
	v_mul_f64 v[99:100], v[99:100], v[105:106]
	v_fma_f64 v[99:100], v[101:102], v[97:98], v[99:100]
	s_waitcnt vmcnt(2)
	v_add_f64 v[81:82], v[81:82], -v[103:104]
	s_waitcnt vmcnt(0)
	v_add_f64 v[83:84], v[83:84], -v[99:100]
	buffer_store_dword v81, off, s[20:23], 0 offset:80 ; 4-byte Folded Spill
	s_nop 0
	buffer_store_dword v82, off, s[20:23], 0 offset:84 ; 4-byte Folded Spill
	buffer_store_dword v83, off, s[20:23], 0 offset:88 ; 4-byte Folded Spill
	buffer_store_dword v84, off, s[20:23], 0 offset:92 ; 4-byte Folded Spill
	ds_read2_b64 v[99:102], v125 offset0:32 offset1:33
	buffer_load_dword v13, off, s[20:23], 0 offset:64 ; 4-byte Folded Reload
	buffer_load_dword v14, off, s[20:23], 0 offset:68 ; 4-byte Folded Reload
	buffer_load_dword v15, off, s[20:23], 0 offset:72 ; 4-byte Folded Reload
	buffer_load_dword v16, off, s[20:23], 0 offset:76 ; 4-byte Folded Reload
	s_waitcnt lgkmcnt(0)
	v_mul_f64 v[103:104], v[101:102], v[105:106]
	v_fma_f64 v[103:104], v[99:100], v[97:98], -v[103:104]
	v_mul_f64 v[99:100], v[99:100], v[105:106]
	v_fma_f64 v[99:100], v[101:102], v[97:98], v[99:100]
	s_waitcnt vmcnt(2)
	v_add_f64 v[13:14], v[13:14], -v[103:104]
	s_waitcnt vmcnt(0)
	v_add_f64 v[15:16], v[15:16], -v[99:100]
	buffer_store_dword v13, off, s[20:23], 0 offset:64 ; 4-byte Folded Spill
	s_nop 0
	buffer_store_dword v14, off, s[20:23], 0 offset:68 ; 4-byte Folded Spill
	buffer_store_dword v15, off, s[20:23], 0 offset:72 ; 4-byte Folded Spill
	buffer_store_dword v16, off, s[20:23], 0 offset:76 ; 4-byte Folded Spill
	ds_read2_b64 v[99:102], v125 offset0:34 offset1:35
	;; [unrolled: 19-line block ×4, first 2 shown]
	s_waitcnt lgkmcnt(0)
	v_mul_f64 v[103:104], v[101:102], v[105:106]
	v_fma_f64 v[103:104], v[99:100], v[97:98], -v[103:104]
	v_mul_f64 v[99:100], v[99:100], v[105:106]
	v_add_f64 v[73:74], v[73:74], -v[103:104]
	v_fma_f64 v[99:100], v[101:102], v[97:98], v[99:100]
	v_add_f64 v[75:76], v[75:76], -v[99:100]
	ds_read2_b64 v[99:102], v125 offset0:40 offset1:41
	s_waitcnt lgkmcnt(0)
	v_mul_f64 v[103:104], v[101:102], v[105:106]
	v_fma_f64 v[103:104], v[99:100], v[97:98], -v[103:104]
	v_mul_f64 v[99:100], v[99:100], v[105:106]
	v_add_f64 v[69:70], v[69:70], -v[103:104]
	v_fma_f64 v[99:100], v[101:102], v[97:98], v[99:100]
	v_add_f64 v[71:72], v[71:72], -v[99:100]
	ds_read2_b64 v[99:102], v125 offset0:42 offset1:43
	;; [unrolled: 8-line block ×15, first 2 shown]
	buffer_load_dword v13, off, s[20:23], 0 ; 4-byte Folded Reload
	buffer_load_dword v14, off, s[20:23], 0 offset:4 ; 4-byte Folded Reload
	buffer_load_dword v15, off, s[20:23], 0 offset:8 ; 4-byte Folded Reload
	;; [unrolled: 1-line block ×3, first 2 shown]
	s_waitcnt lgkmcnt(0)
	v_mul_f64 v[103:104], v[101:102], v[105:106]
	v_fma_f64 v[103:104], v[99:100], v[97:98], -v[103:104]
	v_mul_f64 v[99:100], v[99:100], v[105:106]
	v_fma_f64 v[99:100], v[101:102], v[97:98], v[99:100]
	s_waitcnt vmcnt(2)
	v_add_f64 v[13:14], v[13:14], -v[103:104]
	s_waitcnt vmcnt(0)
	v_add_f64 v[15:16], v[15:16], -v[99:100]
	buffer_store_dword v13, off, s[20:23], 0 ; 4-byte Folded Spill
	s_nop 0
	buffer_store_dword v14, off, s[20:23], 0 offset:4 ; 4-byte Folded Spill
	buffer_store_dword v15, off, s[20:23], 0 offset:8 ; 4-byte Folded Spill
	;; [unrolled: 1-line block ×3, first 2 shown]
	ds_read2_b64 v[99:102], v125 offset0:70 offset1:71
	s_waitcnt lgkmcnt(0)
	v_mul_f64 v[103:104], v[101:102], v[105:106]
	v_fma_f64 v[103:104], v[99:100], v[97:98], -v[103:104]
	v_mul_f64 v[99:100], v[99:100], v[105:106]
	v_add_f64 v[9:10], v[9:10], -v[103:104]
	v_fma_f64 v[99:100], v[101:102], v[97:98], v[99:100]
	v_add_f64 v[11:12], v[11:12], -v[99:100]
	ds_read2_b64 v[99:102], v125 offset0:72 offset1:73
	s_waitcnt lgkmcnt(0)
	v_mul_f64 v[103:104], v[101:102], v[105:106]
	v_fma_f64 v[103:104], v[99:100], v[97:98], -v[103:104]
	v_mul_f64 v[99:100], v[99:100], v[105:106]
	v_add_f64 v[5:6], v[5:6], -v[103:104]
	v_fma_f64 v[99:100], v[101:102], v[97:98], v[99:100]
	v_add_f64 v[7:8], v[7:8], -v[99:100]
	;; [unrolled: 8-line block ×3, first 2 shown]
	ds_read2_b64 v[99:102], v125 offset0:76 offset1:77
	buffer_load_dword v13, off, s[20:23], 0 offset:48 ; 4-byte Folded Reload
	buffer_load_dword v14, off, s[20:23], 0 offset:52 ; 4-byte Folded Reload
	;; [unrolled: 1-line block ×4, first 2 shown]
	s_waitcnt lgkmcnt(0)
	v_mul_f64 v[103:104], v[101:102], v[105:106]
	v_fma_f64 v[103:104], v[99:100], v[97:98], -v[103:104]
	v_mul_f64 v[99:100], v[99:100], v[105:106]
	v_fma_f64 v[99:100], v[101:102], v[97:98], v[99:100]
	s_waitcnt vmcnt(2)
	v_add_f64 v[13:14], v[13:14], -v[103:104]
	v_mov_b32_e32 v104, v98
	s_waitcnt vmcnt(0)
	v_add_f64 v[15:16], v[15:16], -v[99:100]
	v_mov_b32_e32 v103, v97
	buffer_store_dword v13, off, s[20:23], 0 offset:48 ; 4-byte Folded Spill
	s_nop 0
	buffer_store_dword v14, off, s[20:23], 0 offset:52 ; 4-byte Folded Spill
	buffer_store_dword v15, off, s[20:23], 0 offset:56 ; 4-byte Folded Spill
	;; [unrolled: 1-line block ×4, first 2 shown]
	s_nop 0
	buffer_store_dword v104, off, s[20:23], 0 offset:196 ; 4-byte Folded Spill
	buffer_store_dword v105, off, s[20:23], 0 offset:200 ; 4-byte Folded Spill
	;; [unrolled: 1-line block ×3, first 2 shown]
.LBB77_28:
	s_or_b64 exec, exec, s[2:3]
	v_cmp_eq_u32_e32 vcc, 3, v127
	s_waitcnt vmcnt(0)
	s_barrier
	s_and_saveexec_b64 s[4:5], vcc
	s_cbranch_execz .LBB77_35
; %bb.29:
	buffer_load_dword v13, off, s[20:23], 0 offset:176 ; 4-byte Folded Reload
	buffer_load_dword v14, off, s[20:23], 0 offset:180 ; 4-byte Folded Reload
	;; [unrolled: 1-line block ×4, first 2 shown]
	s_waitcnt vmcnt(0)
	ds_write2_b64 v0, v[13:14], v[15:16] offset1:1
	buffer_load_dword v13, off, s[20:23], 0 offset:160 ; 4-byte Folded Reload
	buffer_load_dword v14, off, s[20:23], 0 offset:164 ; 4-byte Folded Reload
	buffer_load_dword v15, off, s[20:23], 0 offset:168 ; 4-byte Folded Reload
	buffer_load_dword v16, off, s[20:23], 0 offset:172 ; 4-byte Folded Reload
	s_waitcnt vmcnt(0)
	ds_write2_b64 v125, v[13:14], v[15:16] offset0:8 offset1:9
	buffer_load_dword v13, off, s[20:23], 0 offset:144 ; 4-byte Folded Reload
	buffer_load_dword v14, off, s[20:23], 0 offset:148 ; 4-byte Folded Reload
	buffer_load_dword v15, off, s[20:23], 0 offset:152 ; 4-byte Folded Reload
	buffer_load_dword v16, off, s[20:23], 0 offset:156 ; 4-byte Folded Reload
	s_waitcnt vmcnt(0)
	ds_write2_b64 v125, v[13:14], v[15:16] offset0:10 offset1:11
	;; [unrolled: 6-line block ×5, first 2 shown]
	ds_write2_b64 v125, v[93:94], v[95:96] offset0:18 offset1:19
	ds_write2_b64 v125, v[89:90], v[91:92] offset0:20 offset1:21
	ds_write2_b64 v125, v[117:118], v[119:120] offset0:22 offset1:23
	ds_write2_b64 v125, v[85:86], v[87:88] offset0:24 offset1:25
	ds_write2_b64 v125, v[121:122], v[123:124] offset0:26 offset1:27
	ds_write2_b64 v125, v[109:110], v[111:112] offset0:28 offset1:29
	buffer_load_dword v81, off, s[20:23], 0 offset:80 ; 4-byte Folded Reload
	buffer_load_dword v82, off, s[20:23], 0 offset:84 ; 4-byte Folded Reload
	buffer_load_dword v83, off, s[20:23], 0 offset:88 ; 4-byte Folded Reload
	buffer_load_dword v84, off, s[20:23], 0 offset:92 ; 4-byte Folded Reload
	s_waitcnt vmcnt(0)
	ds_write2_b64 v125, v[81:82], v[83:84] offset0:30 offset1:31
	buffer_load_dword v13, off, s[20:23], 0 offset:64 ; 4-byte Folded Reload
	buffer_load_dword v14, off, s[20:23], 0 offset:68 ; 4-byte Folded Reload
	buffer_load_dword v15, off, s[20:23], 0 offset:72 ; 4-byte Folded Reload
	buffer_load_dword v16, off, s[20:23], 0 offset:76 ; 4-byte Folded Reload
	s_waitcnt vmcnt(0)
	ds_write2_b64 v125, v[13:14], v[15:16] offset0:32 offset1:33
	;; [unrolled: 6-line block ×4, first 2 shown]
	ds_write2_b64 v125, v[73:74], v[75:76] offset0:38 offset1:39
	ds_write2_b64 v125, v[69:70], v[71:72] offset0:40 offset1:41
	;; [unrolled: 1-line block ×15, first 2 shown]
	buffer_load_dword v13, off, s[20:23], 0 ; 4-byte Folded Reload
	buffer_load_dword v14, off, s[20:23], 0 offset:4 ; 4-byte Folded Reload
	buffer_load_dword v15, off, s[20:23], 0 offset:8 ; 4-byte Folded Reload
	;; [unrolled: 1-line block ×3, first 2 shown]
	s_waitcnt vmcnt(0)
	ds_write2_b64 v125, v[13:14], v[15:16] offset0:68 offset1:69
	ds_write2_b64 v125, v[9:10], v[11:12] offset0:70 offset1:71
	;; [unrolled: 1-line block ×4, first 2 shown]
	buffer_load_dword v13, off, s[20:23], 0 offset:48 ; 4-byte Folded Reload
	buffer_load_dword v14, off, s[20:23], 0 offset:52 ; 4-byte Folded Reload
	;; [unrolled: 1-line block ×4, first 2 shown]
	s_waitcnt vmcnt(0)
	ds_write2_b64 v125, v[13:14], v[15:16] offset0:76 offset1:77
	ds_read2_b64 v[97:100], v0 offset1:1
	s_waitcnt lgkmcnt(0)
	v_cmp_neq_f64_e32 vcc, 0, v[97:98]
	v_cmp_neq_f64_e64 s[2:3], 0, v[99:100]
	s_or_b64 s[2:3], vcc, s[2:3]
	s_and_b64 exec, exec, s[2:3]
	s_cbranch_execz .LBB77_35
; %bb.30:
	v_cmp_ngt_f64_e64 s[2:3], |v[97:98]|, |v[99:100]|
                                        ; implicit-def: $vgpr101_vgpr102
	s_and_saveexec_b64 s[6:7], s[2:3]
	s_xor_b64 s[2:3], exec, s[6:7]
                                        ; implicit-def: $vgpr103_vgpr104
	s_cbranch_execz .LBB77_32
; %bb.31:
	v_div_scale_f64 v[101:102], s[6:7], v[99:100], v[99:100], v[97:98]
	v_rcp_f64_e32 v[103:104], v[101:102]
	v_fma_f64 v[105:106], -v[101:102], v[103:104], 1.0
	v_fma_f64 v[103:104], v[103:104], v[105:106], v[103:104]
	v_div_scale_f64 v[105:106], vcc, v[97:98], v[99:100], v[97:98]
	v_fma_f64 v[107:108], -v[101:102], v[103:104], 1.0
	v_fma_f64 v[103:104], v[103:104], v[107:108], v[103:104]
	v_mul_f64 v[107:108], v[105:106], v[103:104]
	v_fma_f64 v[101:102], -v[101:102], v[107:108], v[105:106]
	v_div_fmas_f64 v[101:102], v[101:102], v[103:104], v[107:108]
	v_div_fixup_f64 v[101:102], v[101:102], v[99:100], v[97:98]
	v_fma_f64 v[97:98], v[97:98], v[101:102], v[99:100]
	v_div_scale_f64 v[99:100], s[6:7], v[97:98], v[97:98], 1.0
	v_div_scale_f64 v[107:108], vcc, 1.0, v[97:98], 1.0
	v_rcp_f64_e32 v[103:104], v[99:100]
	v_fma_f64 v[105:106], -v[99:100], v[103:104], 1.0
	v_fma_f64 v[103:104], v[103:104], v[105:106], v[103:104]
	v_fma_f64 v[105:106], -v[99:100], v[103:104], 1.0
	v_fma_f64 v[103:104], v[103:104], v[105:106], v[103:104]
	v_mul_f64 v[105:106], v[107:108], v[103:104]
	v_fma_f64 v[99:100], -v[99:100], v[105:106], v[107:108]
	v_div_fmas_f64 v[99:100], v[99:100], v[103:104], v[105:106]
	v_div_fixup_f64 v[103:104], v[99:100], v[97:98], 1.0
                                        ; implicit-def: $vgpr97_vgpr98
	v_mul_f64 v[101:102], v[101:102], v[103:104]
	v_xor_b32_e32 v104, 0x80000000, v104
.LBB77_32:
	s_andn2_saveexec_b64 s[2:3], s[2:3]
	s_cbranch_execz .LBB77_34
; %bb.33:
	v_div_scale_f64 v[101:102], s[6:7], v[97:98], v[97:98], v[99:100]
	v_rcp_f64_e32 v[103:104], v[101:102]
	v_fma_f64 v[105:106], -v[101:102], v[103:104], 1.0
	v_fma_f64 v[103:104], v[103:104], v[105:106], v[103:104]
	v_div_scale_f64 v[105:106], vcc, v[99:100], v[97:98], v[99:100]
	v_fma_f64 v[107:108], -v[101:102], v[103:104], 1.0
	v_fma_f64 v[103:104], v[103:104], v[107:108], v[103:104]
	v_mul_f64 v[107:108], v[105:106], v[103:104]
	v_fma_f64 v[101:102], -v[101:102], v[107:108], v[105:106]
	v_div_fmas_f64 v[101:102], v[101:102], v[103:104], v[107:108]
	v_div_fixup_f64 v[103:104], v[101:102], v[97:98], v[99:100]
	v_fma_f64 v[97:98], v[99:100], v[103:104], v[97:98]
	v_div_scale_f64 v[99:100], s[6:7], v[97:98], v[97:98], 1.0
	v_div_scale_f64 v[107:108], vcc, 1.0, v[97:98], 1.0
	v_rcp_f64_e32 v[101:102], v[99:100]
	v_fma_f64 v[105:106], -v[99:100], v[101:102], 1.0
	v_fma_f64 v[101:102], v[101:102], v[105:106], v[101:102]
	v_fma_f64 v[105:106], -v[99:100], v[101:102], 1.0
	v_fma_f64 v[101:102], v[101:102], v[105:106], v[101:102]
	v_mul_f64 v[105:106], v[107:108], v[101:102]
	v_fma_f64 v[99:100], -v[99:100], v[105:106], v[107:108]
	v_div_fmas_f64 v[99:100], v[99:100], v[101:102], v[105:106]
	v_div_fixup_f64 v[101:102], v[99:100], v[97:98], 1.0
	v_mul_f64 v[103:104], v[103:104], -v[101:102]
.LBB77_34:
	s_or_b64 exec, exec, s[2:3]
	ds_write2_b64 v0, v[101:102], v[103:104] offset1:1
.LBB77_35:
	s_or_b64 exec, exec, s[4:5]
	s_waitcnt lgkmcnt(0)
	s_barrier
	ds_read2_b64 v[13:16], v0 offset1:1
	v_cmp_lt_u32_e32 vcc, 3, v127
	s_waitcnt lgkmcnt(0)
	buffer_store_dword v13, off, s[20:23], 0 offset:652 ; 4-byte Folded Spill
	s_nop 0
	buffer_store_dword v14, off, s[20:23], 0 offset:656 ; 4-byte Folded Spill
	buffer_store_dword v15, off, s[20:23], 0 offset:660 ; 4-byte Folded Spill
	;; [unrolled: 1-line block ×3, first 2 shown]
	s_and_saveexec_b64 s[2:3], vcc
	s_cbranch_execz .LBB77_37
; %bb.36:
	buffer_load_dword v103, off, s[20:23], 0 offset:176 ; 4-byte Folded Reload
	buffer_load_dword v104, off, s[20:23], 0 offset:180 ; 4-byte Folded Reload
	;; [unrolled: 1-line block ×8, first 2 shown]
	s_waitcnt vmcnt(2)
	v_mul_f64 v[99:100], v[13:14], v[105:106]
	s_waitcnt vmcnt(0)
	v_mul_f64 v[97:98], v[15:16], v[105:106]
	v_fma_f64 v[105:106], v[15:16], v[103:104], v[99:100]
	ds_read2_b64 v[99:102], v125 offset0:8 offset1:9
	v_fma_f64 v[97:98], v[13:14], v[103:104], -v[97:98]
	buffer_load_dword v13, off, s[20:23], 0 offset:160 ; 4-byte Folded Reload
	buffer_load_dword v14, off, s[20:23], 0 offset:164 ; 4-byte Folded Reload
	buffer_load_dword v15, off, s[20:23], 0 offset:168 ; 4-byte Folded Reload
	buffer_load_dword v16, off, s[20:23], 0 offset:172 ; 4-byte Folded Reload
	s_waitcnt lgkmcnt(0)
	v_mul_f64 v[103:104], v[101:102], v[105:106]
	v_fma_f64 v[103:104], v[99:100], v[97:98], -v[103:104]
	v_mul_f64 v[99:100], v[99:100], v[105:106]
	v_fma_f64 v[99:100], v[101:102], v[97:98], v[99:100]
	s_waitcnt vmcnt(2)
	v_add_f64 v[13:14], v[13:14], -v[103:104]
	s_waitcnt vmcnt(0)
	v_add_f64 v[15:16], v[15:16], -v[99:100]
	buffer_store_dword v13, off, s[20:23], 0 offset:160 ; 4-byte Folded Spill
	s_nop 0
	buffer_store_dword v14, off, s[20:23], 0 offset:164 ; 4-byte Folded Spill
	buffer_store_dword v15, off, s[20:23], 0 offset:168 ; 4-byte Folded Spill
	buffer_store_dword v16, off, s[20:23], 0 offset:172 ; 4-byte Folded Spill
	ds_read2_b64 v[99:102], v125 offset0:10 offset1:11
	buffer_load_dword v13, off, s[20:23], 0 offset:144 ; 4-byte Folded Reload
	buffer_load_dword v14, off, s[20:23], 0 offset:148 ; 4-byte Folded Reload
	buffer_load_dword v15, off, s[20:23], 0 offset:152 ; 4-byte Folded Reload
	buffer_load_dword v16, off, s[20:23], 0 offset:156 ; 4-byte Folded Reload
	s_waitcnt lgkmcnt(0)
	v_mul_f64 v[103:104], v[101:102], v[105:106]
	v_fma_f64 v[103:104], v[99:100], v[97:98], -v[103:104]
	v_mul_f64 v[99:100], v[99:100], v[105:106]
	v_fma_f64 v[99:100], v[101:102], v[97:98], v[99:100]
	s_waitcnt vmcnt(2)
	v_add_f64 v[13:14], v[13:14], -v[103:104]
	s_waitcnt vmcnt(0)
	v_add_f64 v[15:16], v[15:16], -v[99:100]
	buffer_store_dword v13, off, s[20:23], 0 offset:144 ; 4-byte Folded Spill
	s_nop 0
	buffer_store_dword v14, off, s[20:23], 0 offset:148 ; 4-byte Folded Spill
	buffer_store_dword v15, off, s[20:23], 0 offset:152 ; 4-byte Folded Spill
	buffer_store_dword v16, off, s[20:23], 0 offset:156 ; 4-byte Folded Spill
	ds_read2_b64 v[99:102], v125 offset0:12 offset1:13
	;; [unrolled: 19-line block ×5, first 2 shown]
	s_waitcnt lgkmcnt(0)
	v_mul_f64 v[103:104], v[101:102], v[105:106]
	v_fma_f64 v[103:104], v[99:100], v[97:98], -v[103:104]
	v_mul_f64 v[99:100], v[99:100], v[105:106]
	v_add_f64 v[93:94], v[93:94], -v[103:104]
	v_fma_f64 v[99:100], v[101:102], v[97:98], v[99:100]
	v_add_f64 v[95:96], v[95:96], -v[99:100]
	ds_read2_b64 v[99:102], v125 offset0:20 offset1:21
	s_waitcnt lgkmcnt(0)
	v_mul_f64 v[103:104], v[101:102], v[105:106]
	v_fma_f64 v[103:104], v[99:100], v[97:98], -v[103:104]
	v_mul_f64 v[99:100], v[99:100], v[105:106]
	v_add_f64 v[89:90], v[89:90], -v[103:104]
	v_fma_f64 v[99:100], v[101:102], v[97:98], v[99:100]
	v_add_f64 v[91:92], v[91:92], -v[99:100]
	ds_read2_b64 v[99:102], v125 offset0:22 offset1:23
	;; [unrolled: 8-line block ×6, first 2 shown]
	buffer_load_dword v81, off, s[20:23], 0 offset:80 ; 4-byte Folded Reload
	buffer_load_dword v82, off, s[20:23], 0 offset:84 ; 4-byte Folded Reload
	buffer_load_dword v83, off, s[20:23], 0 offset:88 ; 4-byte Folded Reload
	buffer_load_dword v84, off, s[20:23], 0 offset:92 ; 4-byte Folded Reload
	s_waitcnt lgkmcnt(0)
	v_mul_f64 v[103:104], v[101:102], v[105:106]
	v_fma_f64 v[103:104], v[99:100], v[97:98], -v[103:104]
	v_mul_f64 v[99:100], v[99:100], v[105:106]
	v_fma_f64 v[99:100], v[101:102], v[97:98], v[99:100]
	s_waitcnt vmcnt(2)
	v_add_f64 v[81:82], v[81:82], -v[103:104]
	s_waitcnt vmcnt(0)
	v_add_f64 v[83:84], v[83:84], -v[99:100]
	buffer_store_dword v81, off, s[20:23], 0 offset:80 ; 4-byte Folded Spill
	s_nop 0
	buffer_store_dword v82, off, s[20:23], 0 offset:84 ; 4-byte Folded Spill
	buffer_store_dword v83, off, s[20:23], 0 offset:88 ; 4-byte Folded Spill
	buffer_store_dword v84, off, s[20:23], 0 offset:92 ; 4-byte Folded Spill
	ds_read2_b64 v[99:102], v125 offset0:32 offset1:33
	buffer_load_dword v13, off, s[20:23], 0 offset:64 ; 4-byte Folded Reload
	buffer_load_dword v14, off, s[20:23], 0 offset:68 ; 4-byte Folded Reload
	buffer_load_dword v15, off, s[20:23], 0 offset:72 ; 4-byte Folded Reload
	buffer_load_dword v16, off, s[20:23], 0 offset:76 ; 4-byte Folded Reload
	s_waitcnt lgkmcnt(0)
	v_mul_f64 v[103:104], v[101:102], v[105:106]
	v_fma_f64 v[103:104], v[99:100], v[97:98], -v[103:104]
	v_mul_f64 v[99:100], v[99:100], v[105:106]
	v_fma_f64 v[99:100], v[101:102], v[97:98], v[99:100]
	s_waitcnt vmcnt(2)
	v_add_f64 v[13:14], v[13:14], -v[103:104]
	s_waitcnt vmcnt(0)
	v_add_f64 v[15:16], v[15:16], -v[99:100]
	buffer_store_dword v13, off, s[20:23], 0 offset:64 ; 4-byte Folded Spill
	s_nop 0
	buffer_store_dword v14, off, s[20:23], 0 offset:68 ; 4-byte Folded Spill
	buffer_store_dword v15, off, s[20:23], 0 offset:72 ; 4-byte Folded Spill
	buffer_store_dword v16, off, s[20:23], 0 offset:76 ; 4-byte Folded Spill
	ds_read2_b64 v[99:102], v125 offset0:34 offset1:35
	buffer_load_dword v81, off, s[20:23], 0 offset:32 ; 4-byte Folded Reload
	buffer_load_dword v82, off, s[20:23], 0 offset:36 ; 4-byte Folded Reload
	buffer_load_dword v83, off, s[20:23], 0 offset:40 ; 4-byte Folded Reload
	buffer_load_dword v84, off, s[20:23], 0 offset:44 ; 4-byte Folded Reload
	s_waitcnt lgkmcnt(0)
	v_mul_f64 v[103:104], v[101:102], v[105:106]
	v_fma_f64 v[103:104], v[99:100], v[97:98], -v[103:104]
	v_mul_f64 v[99:100], v[99:100], v[105:106]
	v_fma_f64 v[99:100], v[101:102], v[97:98], v[99:100]
	s_waitcnt vmcnt(2)
	v_add_f64 v[81:82], v[81:82], -v[103:104]
	s_waitcnt vmcnt(0)
	v_add_f64 v[83:84], v[83:84], -v[99:100]
	buffer_store_dword v81, off, s[20:23], 0 offset:32 ; 4-byte Folded Spill
	s_nop 0
	buffer_store_dword v82, off, s[20:23], 0 offset:36 ; 4-byte Folded Spill
	buffer_store_dword v83, off, s[20:23], 0 offset:40 ; 4-byte Folded Spill
	buffer_store_dword v84, off, s[20:23], 0 offset:44 ; 4-byte Folded Spill
	ds_read2_b64 v[99:102], v125 offset0:36 offset1:37
	buffer_load_dword v13, off, s[20:23], 0 offset:16 ; 4-byte Folded Reload
	buffer_load_dword v14, off, s[20:23], 0 offset:20 ; 4-byte Folded Reload
	buffer_load_dword v15, off, s[20:23], 0 offset:24 ; 4-byte Folded Reload
	buffer_load_dword v16, off, s[20:23], 0 offset:28 ; 4-byte Folded Reload
	s_waitcnt lgkmcnt(0)
	v_mul_f64 v[103:104], v[101:102], v[105:106]
	v_fma_f64 v[103:104], v[99:100], v[97:98], -v[103:104]
	v_mul_f64 v[99:100], v[99:100], v[105:106]
	v_fma_f64 v[99:100], v[101:102], v[97:98], v[99:100]
	s_waitcnt vmcnt(2)
	v_add_f64 v[13:14], v[13:14], -v[103:104]
	s_waitcnt vmcnt(0)
	v_add_f64 v[15:16], v[15:16], -v[99:100]
	buffer_store_dword v13, off, s[20:23], 0 offset:16 ; 4-byte Folded Spill
	s_nop 0
	buffer_store_dword v14, off, s[20:23], 0 offset:20 ; 4-byte Folded Spill
	buffer_store_dword v15, off, s[20:23], 0 offset:24 ; 4-byte Folded Spill
	buffer_store_dword v16, off, s[20:23], 0 offset:28 ; 4-byte Folded Spill
	ds_read2_b64 v[99:102], v125 offset0:38 offset1:39
	s_waitcnt lgkmcnt(0)
	v_mul_f64 v[103:104], v[101:102], v[105:106]
	v_fma_f64 v[103:104], v[99:100], v[97:98], -v[103:104]
	v_mul_f64 v[99:100], v[99:100], v[105:106]
	v_add_f64 v[73:74], v[73:74], -v[103:104]
	v_fma_f64 v[99:100], v[101:102], v[97:98], v[99:100]
	v_add_f64 v[75:76], v[75:76], -v[99:100]
	ds_read2_b64 v[99:102], v125 offset0:40 offset1:41
	s_waitcnt lgkmcnt(0)
	v_mul_f64 v[103:104], v[101:102], v[105:106]
	v_fma_f64 v[103:104], v[99:100], v[97:98], -v[103:104]
	v_mul_f64 v[99:100], v[99:100], v[105:106]
	v_add_f64 v[69:70], v[69:70], -v[103:104]
	v_fma_f64 v[99:100], v[101:102], v[97:98], v[99:100]
	v_add_f64 v[71:72], v[71:72], -v[99:100]
	ds_read2_b64 v[99:102], v125 offset0:42 offset1:43
	s_waitcnt lgkmcnt(0)
	v_mul_f64 v[103:104], v[101:102], v[105:106]
	v_fma_f64 v[103:104], v[99:100], v[97:98], -v[103:104]
	v_mul_f64 v[99:100], v[99:100], v[105:106]
	v_add_f64 v[65:66], v[65:66], -v[103:104]
	v_fma_f64 v[99:100], v[101:102], v[97:98], v[99:100]
	v_add_f64 v[67:68], v[67:68], -v[99:100]
	ds_read2_b64 v[99:102], v125 offset0:44 offset1:45
	s_waitcnt lgkmcnt(0)
	v_mul_f64 v[103:104], v[101:102], v[105:106]
	v_fma_f64 v[103:104], v[99:100], v[97:98], -v[103:104]
	v_mul_f64 v[99:100], v[99:100], v[105:106]
	v_add_f64 v[61:62], v[61:62], -v[103:104]
	v_fma_f64 v[99:100], v[101:102], v[97:98], v[99:100]
	v_add_f64 v[63:64], v[63:64], -v[99:100]
	ds_read2_b64 v[99:102], v125 offset0:46 offset1:47
	s_waitcnt lgkmcnt(0)
	v_mul_f64 v[103:104], v[101:102], v[105:106]
	v_fma_f64 v[103:104], v[99:100], v[97:98], -v[103:104]
	v_mul_f64 v[99:100], v[99:100], v[105:106]
	v_add_f64 v[57:58], v[57:58], -v[103:104]
	v_fma_f64 v[99:100], v[101:102], v[97:98], v[99:100]
	v_add_f64 v[59:60], v[59:60], -v[99:100]
	ds_read2_b64 v[99:102], v125 offset0:48 offset1:49
	s_waitcnt lgkmcnt(0)
	v_mul_f64 v[103:104], v[101:102], v[105:106]
	v_fma_f64 v[103:104], v[99:100], v[97:98], -v[103:104]
	v_mul_f64 v[99:100], v[99:100], v[105:106]
	v_add_f64 v[53:54], v[53:54], -v[103:104]
	v_fma_f64 v[99:100], v[101:102], v[97:98], v[99:100]
	v_add_f64 v[55:56], v[55:56], -v[99:100]
	ds_read2_b64 v[99:102], v125 offset0:50 offset1:51
	s_waitcnt lgkmcnt(0)
	v_mul_f64 v[103:104], v[101:102], v[105:106]
	v_fma_f64 v[103:104], v[99:100], v[97:98], -v[103:104]
	v_mul_f64 v[99:100], v[99:100], v[105:106]
	v_add_f64 v[49:50], v[49:50], -v[103:104]
	v_fma_f64 v[99:100], v[101:102], v[97:98], v[99:100]
	v_add_f64 v[51:52], v[51:52], -v[99:100]
	ds_read2_b64 v[99:102], v125 offset0:52 offset1:53
	s_waitcnt lgkmcnt(0)
	v_mul_f64 v[103:104], v[101:102], v[105:106]
	v_fma_f64 v[103:104], v[99:100], v[97:98], -v[103:104]
	v_mul_f64 v[99:100], v[99:100], v[105:106]
	v_add_f64 v[45:46], v[45:46], -v[103:104]
	v_fma_f64 v[99:100], v[101:102], v[97:98], v[99:100]
	v_add_f64 v[47:48], v[47:48], -v[99:100]
	ds_read2_b64 v[99:102], v125 offset0:54 offset1:55
	s_waitcnt lgkmcnt(0)
	v_mul_f64 v[103:104], v[101:102], v[105:106]
	v_fma_f64 v[103:104], v[99:100], v[97:98], -v[103:104]
	v_mul_f64 v[99:100], v[99:100], v[105:106]
	v_add_f64 v[41:42], v[41:42], -v[103:104]
	v_fma_f64 v[99:100], v[101:102], v[97:98], v[99:100]
	v_add_f64 v[43:44], v[43:44], -v[99:100]
	ds_read2_b64 v[99:102], v125 offset0:56 offset1:57
	s_waitcnt lgkmcnt(0)
	v_mul_f64 v[103:104], v[101:102], v[105:106]
	v_fma_f64 v[103:104], v[99:100], v[97:98], -v[103:104]
	v_mul_f64 v[99:100], v[99:100], v[105:106]
	v_add_f64 v[37:38], v[37:38], -v[103:104]
	v_fma_f64 v[99:100], v[101:102], v[97:98], v[99:100]
	v_add_f64 v[39:40], v[39:40], -v[99:100]
	ds_read2_b64 v[99:102], v125 offset0:58 offset1:59
	s_waitcnt lgkmcnt(0)
	v_mul_f64 v[103:104], v[101:102], v[105:106]
	v_fma_f64 v[103:104], v[99:100], v[97:98], -v[103:104]
	v_mul_f64 v[99:100], v[99:100], v[105:106]
	v_add_f64 v[33:34], v[33:34], -v[103:104]
	v_fma_f64 v[99:100], v[101:102], v[97:98], v[99:100]
	v_add_f64 v[35:36], v[35:36], -v[99:100]
	ds_read2_b64 v[99:102], v125 offset0:60 offset1:61
	s_waitcnt lgkmcnt(0)
	v_mul_f64 v[103:104], v[101:102], v[105:106]
	v_fma_f64 v[103:104], v[99:100], v[97:98], -v[103:104]
	v_mul_f64 v[99:100], v[99:100], v[105:106]
	v_add_f64 v[29:30], v[29:30], -v[103:104]
	v_fma_f64 v[99:100], v[101:102], v[97:98], v[99:100]
	v_add_f64 v[31:32], v[31:32], -v[99:100]
	ds_read2_b64 v[99:102], v125 offset0:62 offset1:63
	s_waitcnt lgkmcnt(0)
	v_mul_f64 v[103:104], v[101:102], v[105:106]
	v_fma_f64 v[103:104], v[99:100], v[97:98], -v[103:104]
	v_mul_f64 v[99:100], v[99:100], v[105:106]
	v_add_f64 v[25:26], v[25:26], -v[103:104]
	v_fma_f64 v[99:100], v[101:102], v[97:98], v[99:100]
	v_add_f64 v[27:28], v[27:28], -v[99:100]
	ds_read2_b64 v[99:102], v125 offset0:64 offset1:65
	s_waitcnt lgkmcnt(0)
	v_mul_f64 v[103:104], v[101:102], v[105:106]
	v_fma_f64 v[103:104], v[99:100], v[97:98], -v[103:104]
	v_mul_f64 v[99:100], v[99:100], v[105:106]
	v_add_f64 v[21:22], v[21:22], -v[103:104]
	v_fma_f64 v[99:100], v[101:102], v[97:98], v[99:100]
	v_add_f64 v[23:24], v[23:24], -v[99:100]
	ds_read2_b64 v[99:102], v125 offset0:66 offset1:67
	s_waitcnt lgkmcnt(0)
	v_mul_f64 v[103:104], v[101:102], v[105:106]
	v_fma_f64 v[103:104], v[99:100], v[97:98], -v[103:104]
	v_mul_f64 v[99:100], v[99:100], v[105:106]
	v_add_f64 v[17:18], v[17:18], -v[103:104]
	v_fma_f64 v[99:100], v[101:102], v[97:98], v[99:100]
	v_add_f64 v[19:20], v[19:20], -v[99:100]
	ds_read2_b64 v[99:102], v125 offset0:68 offset1:69
	buffer_load_dword v13, off, s[20:23], 0 ; 4-byte Folded Reload
	buffer_load_dword v14, off, s[20:23], 0 offset:4 ; 4-byte Folded Reload
	buffer_load_dword v15, off, s[20:23], 0 offset:8 ; 4-byte Folded Reload
	buffer_load_dword v16, off, s[20:23], 0 offset:12 ; 4-byte Folded Reload
	s_waitcnt lgkmcnt(0)
	v_mul_f64 v[103:104], v[101:102], v[105:106]
	v_fma_f64 v[103:104], v[99:100], v[97:98], -v[103:104]
	v_mul_f64 v[99:100], v[99:100], v[105:106]
	v_fma_f64 v[99:100], v[101:102], v[97:98], v[99:100]
	s_waitcnt vmcnt(2)
	v_add_f64 v[13:14], v[13:14], -v[103:104]
	s_waitcnt vmcnt(0)
	v_add_f64 v[15:16], v[15:16], -v[99:100]
	buffer_store_dword v13, off, s[20:23], 0 ; 4-byte Folded Spill
	s_nop 0
	buffer_store_dword v14, off, s[20:23], 0 offset:4 ; 4-byte Folded Spill
	buffer_store_dword v15, off, s[20:23], 0 offset:8 ; 4-byte Folded Spill
	;; [unrolled: 1-line block ×3, first 2 shown]
	ds_read2_b64 v[99:102], v125 offset0:70 offset1:71
	s_waitcnt lgkmcnt(0)
	v_mul_f64 v[103:104], v[101:102], v[105:106]
	v_fma_f64 v[103:104], v[99:100], v[97:98], -v[103:104]
	v_mul_f64 v[99:100], v[99:100], v[105:106]
	v_add_f64 v[9:10], v[9:10], -v[103:104]
	v_fma_f64 v[99:100], v[101:102], v[97:98], v[99:100]
	v_add_f64 v[11:12], v[11:12], -v[99:100]
	ds_read2_b64 v[99:102], v125 offset0:72 offset1:73
	s_waitcnt lgkmcnt(0)
	v_mul_f64 v[103:104], v[101:102], v[105:106]
	v_fma_f64 v[103:104], v[99:100], v[97:98], -v[103:104]
	v_mul_f64 v[99:100], v[99:100], v[105:106]
	v_add_f64 v[5:6], v[5:6], -v[103:104]
	v_fma_f64 v[99:100], v[101:102], v[97:98], v[99:100]
	v_add_f64 v[7:8], v[7:8], -v[99:100]
	;; [unrolled: 8-line block ×3, first 2 shown]
	ds_read2_b64 v[99:102], v125 offset0:76 offset1:77
	buffer_load_dword v13, off, s[20:23], 0 offset:48 ; 4-byte Folded Reload
	buffer_load_dword v14, off, s[20:23], 0 offset:52 ; 4-byte Folded Reload
	;; [unrolled: 1-line block ×4, first 2 shown]
	s_waitcnt lgkmcnt(0)
	v_mul_f64 v[103:104], v[101:102], v[105:106]
	v_fma_f64 v[103:104], v[99:100], v[97:98], -v[103:104]
	v_mul_f64 v[99:100], v[99:100], v[105:106]
	v_fma_f64 v[99:100], v[101:102], v[97:98], v[99:100]
	s_waitcnt vmcnt(2)
	v_add_f64 v[13:14], v[13:14], -v[103:104]
	v_mov_b32_e32 v104, v98
	s_waitcnt vmcnt(0)
	v_add_f64 v[15:16], v[15:16], -v[99:100]
	v_mov_b32_e32 v103, v97
	buffer_store_dword v13, off, s[20:23], 0 offset:48 ; 4-byte Folded Spill
	s_nop 0
	buffer_store_dword v14, off, s[20:23], 0 offset:52 ; 4-byte Folded Spill
	buffer_store_dword v15, off, s[20:23], 0 offset:56 ; 4-byte Folded Spill
	;; [unrolled: 1-line block ×4, first 2 shown]
	s_nop 0
	buffer_store_dword v104, off, s[20:23], 0 offset:180 ; 4-byte Folded Spill
	buffer_store_dword v105, off, s[20:23], 0 offset:184 ; 4-byte Folded Spill
	buffer_store_dword v106, off, s[20:23], 0 offset:188 ; 4-byte Folded Spill
.LBB77_37:
	s_or_b64 exec, exec, s[2:3]
	v_cmp_eq_u32_e32 vcc, 4, v127
	s_waitcnt vmcnt(0)
	s_barrier
	s_and_saveexec_b64 s[4:5], vcc
	s_cbranch_execz .LBB77_44
; %bb.38:
	buffer_load_dword v13, off, s[20:23], 0 offset:160 ; 4-byte Folded Reload
	buffer_load_dword v14, off, s[20:23], 0 offset:164 ; 4-byte Folded Reload
	;; [unrolled: 1-line block ×4, first 2 shown]
	s_waitcnt vmcnt(0)
	ds_write2_b64 v0, v[13:14], v[15:16] offset1:1
	buffer_load_dword v13, off, s[20:23], 0 offset:144 ; 4-byte Folded Reload
	buffer_load_dword v14, off, s[20:23], 0 offset:148 ; 4-byte Folded Reload
	buffer_load_dword v15, off, s[20:23], 0 offset:152 ; 4-byte Folded Reload
	buffer_load_dword v16, off, s[20:23], 0 offset:156 ; 4-byte Folded Reload
	s_waitcnt vmcnt(0)
	ds_write2_b64 v125, v[13:14], v[15:16] offset0:10 offset1:11
	buffer_load_dword v13, off, s[20:23], 0 offset:128 ; 4-byte Folded Reload
	buffer_load_dword v14, off, s[20:23], 0 offset:132 ; 4-byte Folded Reload
	buffer_load_dword v15, off, s[20:23], 0 offset:136 ; 4-byte Folded Reload
	buffer_load_dword v16, off, s[20:23], 0 offset:140 ; 4-byte Folded Reload
	s_waitcnt vmcnt(0)
	ds_write2_b64 v125, v[13:14], v[15:16] offset0:12 offset1:13
	;; [unrolled: 6-line block ×4, first 2 shown]
	ds_write2_b64 v125, v[93:94], v[95:96] offset0:18 offset1:19
	ds_write2_b64 v125, v[89:90], v[91:92] offset0:20 offset1:21
	;; [unrolled: 1-line block ×6, first 2 shown]
	buffer_load_dword v81, off, s[20:23], 0 offset:80 ; 4-byte Folded Reload
	buffer_load_dword v82, off, s[20:23], 0 offset:84 ; 4-byte Folded Reload
	buffer_load_dword v83, off, s[20:23], 0 offset:88 ; 4-byte Folded Reload
	buffer_load_dword v84, off, s[20:23], 0 offset:92 ; 4-byte Folded Reload
	s_waitcnt vmcnt(0)
	ds_write2_b64 v125, v[81:82], v[83:84] offset0:30 offset1:31
	buffer_load_dword v13, off, s[20:23], 0 offset:64 ; 4-byte Folded Reload
	buffer_load_dword v14, off, s[20:23], 0 offset:68 ; 4-byte Folded Reload
	buffer_load_dword v15, off, s[20:23], 0 offset:72 ; 4-byte Folded Reload
	buffer_load_dword v16, off, s[20:23], 0 offset:76 ; 4-byte Folded Reload
	s_waitcnt vmcnt(0)
	ds_write2_b64 v125, v[13:14], v[15:16] offset0:32 offset1:33
	;; [unrolled: 6-line block ×4, first 2 shown]
	ds_write2_b64 v125, v[73:74], v[75:76] offset0:38 offset1:39
	ds_write2_b64 v125, v[69:70], v[71:72] offset0:40 offset1:41
	;; [unrolled: 1-line block ×15, first 2 shown]
	buffer_load_dword v13, off, s[20:23], 0 ; 4-byte Folded Reload
	buffer_load_dword v14, off, s[20:23], 0 offset:4 ; 4-byte Folded Reload
	buffer_load_dword v15, off, s[20:23], 0 offset:8 ; 4-byte Folded Reload
	;; [unrolled: 1-line block ×3, first 2 shown]
	s_waitcnt vmcnt(0)
	ds_write2_b64 v125, v[13:14], v[15:16] offset0:68 offset1:69
	ds_write2_b64 v125, v[9:10], v[11:12] offset0:70 offset1:71
	;; [unrolled: 1-line block ×4, first 2 shown]
	buffer_load_dword v13, off, s[20:23], 0 offset:48 ; 4-byte Folded Reload
	buffer_load_dword v14, off, s[20:23], 0 offset:52 ; 4-byte Folded Reload
	;; [unrolled: 1-line block ×4, first 2 shown]
	s_waitcnt vmcnt(0)
	ds_write2_b64 v125, v[13:14], v[15:16] offset0:76 offset1:77
	ds_read2_b64 v[97:100], v0 offset1:1
	s_waitcnt lgkmcnt(0)
	v_cmp_neq_f64_e32 vcc, 0, v[97:98]
	v_cmp_neq_f64_e64 s[2:3], 0, v[99:100]
	s_or_b64 s[2:3], vcc, s[2:3]
	s_and_b64 exec, exec, s[2:3]
	s_cbranch_execz .LBB77_44
; %bb.39:
	v_cmp_ngt_f64_e64 s[2:3], |v[97:98]|, |v[99:100]|
                                        ; implicit-def: $vgpr101_vgpr102
	s_and_saveexec_b64 s[6:7], s[2:3]
	s_xor_b64 s[2:3], exec, s[6:7]
                                        ; implicit-def: $vgpr103_vgpr104
	s_cbranch_execz .LBB77_41
; %bb.40:
	v_div_scale_f64 v[101:102], s[6:7], v[99:100], v[99:100], v[97:98]
	v_rcp_f64_e32 v[103:104], v[101:102]
	v_fma_f64 v[105:106], -v[101:102], v[103:104], 1.0
	v_fma_f64 v[103:104], v[103:104], v[105:106], v[103:104]
	v_div_scale_f64 v[105:106], vcc, v[97:98], v[99:100], v[97:98]
	v_fma_f64 v[107:108], -v[101:102], v[103:104], 1.0
	v_fma_f64 v[103:104], v[103:104], v[107:108], v[103:104]
	v_mul_f64 v[107:108], v[105:106], v[103:104]
	v_fma_f64 v[101:102], -v[101:102], v[107:108], v[105:106]
	v_div_fmas_f64 v[101:102], v[101:102], v[103:104], v[107:108]
	v_div_fixup_f64 v[101:102], v[101:102], v[99:100], v[97:98]
	v_fma_f64 v[97:98], v[97:98], v[101:102], v[99:100]
	v_div_scale_f64 v[99:100], s[6:7], v[97:98], v[97:98], 1.0
	v_div_scale_f64 v[107:108], vcc, 1.0, v[97:98], 1.0
	v_rcp_f64_e32 v[103:104], v[99:100]
	v_fma_f64 v[105:106], -v[99:100], v[103:104], 1.0
	v_fma_f64 v[103:104], v[103:104], v[105:106], v[103:104]
	v_fma_f64 v[105:106], -v[99:100], v[103:104], 1.0
	v_fma_f64 v[103:104], v[103:104], v[105:106], v[103:104]
	v_mul_f64 v[105:106], v[107:108], v[103:104]
	v_fma_f64 v[99:100], -v[99:100], v[105:106], v[107:108]
	v_div_fmas_f64 v[99:100], v[99:100], v[103:104], v[105:106]
	v_div_fixup_f64 v[103:104], v[99:100], v[97:98], 1.0
                                        ; implicit-def: $vgpr97_vgpr98
	v_mul_f64 v[101:102], v[101:102], v[103:104]
	v_xor_b32_e32 v104, 0x80000000, v104
.LBB77_41:
	s_andn2_saveexec_b64 s[2:3], s[2:3]
	s_cbranch_execz .LBB77_43
; %bb.42:
	v_div_scale_f64 v[101:102], s[6:7], v[97:98], v[97:98], v[99:100]
	v_rcp_f64_e32 v[103:104], v[101:102]
	v_fma_f64 v[105:106], -v[101:102], v[103:104], 1.0
	v_fma_f64 v[103:104], v[103:104], v[105:106], v[103:104]
	v_div_scale_f64 v[105:106], vcc, v[99:100], v[97:98], v[99:100]
	v_fma_f64 v[107:108], -v[101:102], v[103:104], 1.0
	v_fma_f64 v[103:104], v[103:104], v[107:108], v[103:104]
	v_mul_f64 v[107:108], v[105:106], v[103:104]
	v_fma_f64 v[101:102], -v[101:102], v[107:108], v[105:106]
	v_div_fmas_f64 v[101:102], v[101:102], v[103:104], v[107:108]
	v_div_fixup_f64 v[103:104], v[101:102], v[97:98], v[99:100]
	v_fma_f64 v[97:98], v[99:100], v[103:104], v[97:98]
	v_div_scale_f64 v[99:100], s[6:7], v[97:98], v[97:98], 1.0
	v_div_scale_f64 v[107:108], vcc, 1.0, v[97:98], 1.0
	v_rcp_f64_e32 v[101:102], v[99:100]
	v_fma_f64 v[105:106], -v[99:100], v[101:102], 1.0
	v_fma_f64 v[101:102], v[101:102], v[105:106], v[101:102]
	v_fma_f64 v[105:106], -v[99:100], v[101:102], 1.0
	v_fma_f64 v[101:102], v[101:102], v[105:106], v[101:102]
	v_mul_f64 v[105:106], v[107:108], v[101:102]
	v_fma_f64 v[99:100], -v[99:100], v[105:106], v[107:108]
	v_div_fmas_f64 v[99:100], v[99:100], v[101:102], v[105:106]
	v_div_fixup_f64 v[101:102], v[99:100], v[97:98], 1.0
	v_mul_f64 v[103:104], v[103:104], -v[101:102]
.LBB77_43:
	s_or_b64 exec, exec, s[2:3]
	ds_write2_b64 v0, v[101:102], v[103:104] offset1:1
.LBB77_44:
	s_or_b64 exec, exec, s[4:5]
	s_waitcnt lgkmcnt(0)
	s_barrier
	ds_read2_b64 v[13:16], v0 offset1:1
	v_cmp_lt_u32_e32 vcc, 4, v127
	s_waitcnt lgkmcnt(0)
	buffer_store_dword v13, off, s[20:23], 0 offset:668 ; 4-byte Folded Spill
	s_nop 0
	buffer_store_dword v14, off, s[20:23], 0 offset:672 ; 4-byte Folded Spill
	buffer_store_dword v15, off, s[20:23], 0 offset:676 ; 4-byte Folded Spill
	;; [unrolled: 1-line block ×3, first 2 shown]
	s_and_saveexec_b64 s[2:3], vcc
	s_cbranch_execz .LBB77_46
; %bb.45:
	buffer_load_dword v103, off, s[20:23], 0 offset:160 ; 4-byte Folded Reload
	buffer_load_dword v104, off, s[20:23], 0 offset:164 ; 4-byte Folded Reload
	;; [unrolled: 1-line block ×8, first 2 shown]
	s_waitcnt vmcnt(2)
	v_mul_f64 v[99:100], v[13:14], v[105:106]
	s_waitcnt vmcnt(0)
	v_mul_f64 v[97:98], v[15:16], v[105:106]
	v_fma_f64 v[105:106], v[15:16], v[103:104], v[99:100]
	ds_read2_b64 v[99:102], v125 offset0:10 offset1:11
	v_fma_f64 v[97:98], v[13:14], v[103:104], -v[97:98]
	buffer_load_dword v13, off, s[20:23], 0 offset:144 ; 4-byte Folded Reload
	buffer_load_dword v14, off, s[20:23], 0 offset:148 ; 4-byte Folded Reload
	buffer_load_dword v15, off, s[20:23], 0 offset:152 ; 4-byte Folded Reload
	buffer_load_dword v16, off, s[20:23], 0 offset:156 ; 4-byte Folded Reload
	s_waitcnt lgkmcnt(0)
	v_mul_f64 v[103:104], v[101:102], v[105:106]
	v_fma_f64 v[103:104], v[99:100], v[97:98], -v[103:104]
	v_mul_f64 v[99:100], v[99:100], v[105:106]
	v_fma_f64 v[99:100], v[101:102], v[97:98], v[99:100]
	s_waitcnt vmcnt(2)
	v_add_f64 v[13:14], v[13:14], -v[103:104]
	s_waitcnt vmcnt(0)
	v_add_f64 v[15:16], v[15:16], -v[99:100]
	buffer_store_dword v13, off, s[20:23], 0 offset:144 ; 4-byte Folded Spill
	s_nop 0
	buffer_store_dword v14, off, s[20:23], 0 offset:148 ; 4-byte Folded Spill
	buffer_store_dword v15, off, s[20:23], 0 offset:152 ; 4-byte Folded Spill
	buffer_store_dword v16, off, s[20:23], 0 offset:156 ; 4-byte Folded Spill
	ds_read2_b64 v[99:102], v125 offset0:12 offset1:13
	buffer_load_dword v13, off, s[20:23], 0 offset:128 ; 4-byte Folded Reload
	buffer_load_dword v14, off, s[20:23], 0 offset:132 ; 4-byte Folded Reload
	buffer_load_dword v15, off, s[20:23], 0 offset:136 ; 4-byte Folded Reload
	buffer_load_dword v16, off, s[20:23], 0 offset:140 ; 4-byte Folded Reload
	s_waitcnt lgkmcnt(0)
	v_mul_f64 v[103:104], v[101:102], v[105:106]
	v_fma_f64 v[103:104], v[99:100], v[97:98], -v[103:104]
	v_mul_f64 v[99:100], v[99:100], v[105:106]
	v_fma_f64 v[99:100], v[101:102], v[97:98], v[99:100]
	s_waitcnt vmcnt(2)
	v_add_f64 v[13:14], v[13:14], -v[103:104]
	s_waitcnt vmcnt(0)
	v_add_f64 v[15:16], v[15:16], -v[99:100]
	buffer_store_dword v13, off, s[20:23], 0 offset:128 ; 4-byte Folded Spill
	s_nop 0
	buffer_store_dword v14, off, s[20:23], 0 offset:132 ; 4-byte Folded Spill
	buffer_store_dword v15, off, s[20:23], 0 offset:136 ; 4-byte Folded Spill
	buffer_store_dword v16, off, s[20:23], 0 offset:140 ; 4-byte Folded Spill
	ds_read2_b64 v[99:102], v125 offset0:14 offset1:15
	;; [unrolled: 19-line block ×4, first 2 shown]
	s_waitcnt lgkmcnt(0)
	v_mul_f64 v[103:104], v[101:102], v[105:106]
	v_fma_f64 v[103:104], v[99:100], v[97:98], -v[103:104]
	v_mul_f64 v[99:100], v[99:100], v[105:106]
	v_add_f64 v[93:94], v[93:94], -v[103:104]
	v_fma_f64 v[99:100], v[101:102], v[97:98], v[99:100]
	v_add_f64 v[95:96], v[95:96], -v[99:100]
	ds_read2_b64 v[99:102], v125 offset0:20 offset1:21
	s_waitcnt lgkmcnt(0)
	v_mul_f64 v[103:104], v[101:102], v[105:106]
	v_fma_f64 v[103:104], v[99:100], v[97:98], -v[103:104]
	v_mul_f64 v[99:100], v[99:100], v[105:106]
	v_add_f64 v[89:90], v[89:90], -v[103:104]
	v_fma_f64 v[99:100], v[101:102], v[97:98], v[99:100]
	v_add_f64 v[91:92], v[91:92], -v[99:100]
	ds_read2_b64 v[99:102], v125 offset0:22 offset1:23
	;; [unrolled: 8-line block ×6, first 2 shown]
	buffer_load_dword v81, off, s[20:23], 0 offset:80 ; 4-byte Folded Reload
	buffer_load_dword v82, off, s[20:23], 0 offset:84 ; 4-byte Folded Reload
	buffer_load_dword v83, off, s[20:23], 0 offset:88 ; 4-byte Folded Reload
	buffer_load_dword v84, off, s[20:23], 0 offset:92 ; 4-byte Folded Reload
	s_waitcnt lgkmcnt(0)
	v_mul_f64 v[103:104], v[101:102], v[105:106]
	v_fma_f64 v[103:104], v[99:100], v[97:98], -v[103:104]
	v_mul_f64 v[99:100], v[99:100], v[105:106]
	v_fma_f64 v[99:100], v[101:102], v[97:98], v[99:100]
	s_waitcnt vmcnt(2)
	v_add_f64 v[81:82], v[81:82], -v[103:104]
	s_waitcnt vmcnt(0)
	v_add_f64 v[83:84], v[83:84], -v[99:100]
	buffer_store_dword v81, off, s[20:23], 0 offset:80 ; 4-byte Folded Spill
	s_nop 0
	buffer_store_dword v82, off, s[20:23], 0 offset:84 ; 4-byte Folded Spill
	buffer_store_dword v83, off, s[20:23], 0 offset:88 ; 4-byte Folded Spill
	buffer_store_dword v84, off, s[20:23], 0 offset:92 ; 4-byte Folded Spill
	ds_read2_b64 v[99:102], v125 offset0:32 offset1:33
	buffer_load_dword v13, off, s[20:23], 0 offset:64 ; 4-byte Folded Reload
	buffer_load_dword v14, off, s[20:23], 0 offset:68 ; 4-byte Folded Reload
	buffer_load_dword v15, off, s[20:23], 0 offset:72 ; 4-byte Folded Reload
	buffer_load_dword v16, off, s[20:23], 0 offset:76 ; 4-byte Folded Reload
	s_waitcnt lgkmcnt(0)
	v_mul_f64 v[103:104], v[101:102], v[105:106]
	v_fma_f64 v[103:104], v[99:100], v[97:98], -v[103:104]
	v_mul_f64 v[99:100], v[99:100], v[105:106]
	v_fma_f64 v[99:100], v[101:102], v[97:98], v[99:100]
	s_waitcnt vmcnt(2)
	v_add_f64 v[13:14], v[13:14], -v[103:104]
	s_waitcnt vmcnt(0)
	v_add_f64 v[15:16], v[15:16], -v[99:100]
	buffer_store_dword v13, off, s[20:23], 0 offset:64 ; 4-byte Folded Spill
	s_nop 0
	buffer_store_dword v14, off, s[20:23], 0 offset:68 ; 4-byte Folded Spill
	buffer_store_dword v15, off, s[20:23], 0 offset:72 ; 4-byte Folded Spill
	buffer_store_dword v16, off, s[20:23], 0 offset:76 ; 4-byte Folded Spill
	ds_read2_b64 v[99:102], v125 offset0:34 offset1:35
	;; [unrolled: 19-line block ×4, first 2 shown]
	s_waitcnt lgkmcnt(0)
	v_mul_f64 v[103:104], v[101:102], v[105:106]
	v_fma_f64 v[103:104], v[99:100], v[97:98], -v[103:104]
	v_mul_f64 v[99:100], v[99:100], v[105:106]
	v_add_f64 v[73:74], v[73:74], -v[103:104]
	v_fma_f64 v[99:100], v[101:102], v[97:98], v[99:100]
	v_add_f64 v[75:76], v[75:76], -v[99:100]
	ds_read2_b64 v[99:102], v125 offset0:40 offset1:41
	s_waitcnt lgkmcnt(0)
	v_mul_f64 v[103:104], v[101:102], v[105:106]
	v_fma_f64 v[103:104], v[99:100], v[97:98], -v[103:104]
	v_mul_f64 v[99:100], v[99:100], v[105:106]
	v_add_f64 v[69:70], v[69:70], -v[103:104]
	v_fma_f64 v[99:100], v[101:102], v[97:98], v[99:100]
	v_add_f64 v[71:72], v[71:72], -v[99:100]
	ds_read2_b64 v[99:102], v125 offset0:42 offset1:43
	;; [unrolled: 8-line block ×15, first 2 shown]
	buffer_load_dword v13, off, s[20:23], 0 ; 4-byte Folded Reload
	buffer_load_dword v14, off, s[20:23], 0 offset:4 ; 4-byte Folded Reload
	buffer_load_dword v15, off, s[20:23], 0 offset:8 ; 4-byte Folded Reload
	;; [unrolled: 1-line block ×3, first 2 shown]
	s_waitcnt lgkmcnt(0)
	v_mul_f64 v[103:104], v[101:102], v[105:106]
	v_fma_f64 v[103:104], v[99:100], v[97:98], -v[103:104]
	v_mul_f64 v[99:100], v[99:100], v[105:106]
	v_fma_f64 v[99:100], v[101:102], v[97:98], v[99:100]
	s_waitcnt vmcnt(2)
	v_add_f64 v[13:14], v[13:14], -v[103:104]
	s_waitcnt vmcnt(0)
	v_add_f64 v[15:16], v[15:16], -v[99:100]
	buffer_store_dword v13, off, s[20:23], 0 ; 4-byte Folded Spill
	s_nop 0
	buffer_store_dword v14, off, s[20:23], 0 offset:4 ; 4-byte Folded Spill
	buffer_store_dword v15, off, s[20:23], 0 offset:8 ; 4-byte Folded Spill
	;; [unrolled: 1-line block ×3, first 2 shown]
	ds_read2_b64 v[99:102], v125 offset0:70 offset1:71
	s_waitcnt lgkmcnt(0)
	v_mul_f64 v[103:104], v[101:102], v[105:106]
	v_fma_f64 v[103:104], v[99:100], v[97:98], -v[103:104]
	v_mul_f64 v[99:100], v[99:100], v[105:106]
	v_add_f64 v[9:10], v[9:10], -v[103:104]
	v_fma_f64 v[99:100], v[101:102], v[97:98], v[99:100]
	v_add_f64 v[11:12], v[11:12], -v[99:100]
	ds_read2_b64 v[99:102], v125 offset0:72 offset1:73
	s_waitcnt lgkmcnt(0)
	v_mul_f64 v[103:104], v[101:102], v[105:106]
	v_fma_f64 v[103:104], v[99:100], v[97:98], -v[103:104]
	v_mul_f64 v[99:100], v[99:100], v[105:106]
	v_add_f64 v[5:6], v[5:6], -v[103:104]
	v_fma_f64 v[99:100], v[101:102], v[97:98], v[99:100]
	v_add_f64 v[7:8], v[7:8], -v[99:100]
	;; [unrolled: 8-line block ×3, first 2 shown]
	ds_read2_b64 v[99:102], v125 offset0:76 offset1:77
	buffer_load_dword v13, off, s[20:23], 0 offset:48 ; 4-byte Folded Reload
	buffer_load_dword v14, off, s[20:23], 0 offset:52 ; 4-byte Folded Reload
	;; [unrolled: 1-line block ×4, first 2 shown]
	s_waitcnt lgkmcnt(0)
	v_mul_f64 v[103:104], v[101:102], v[105:106]
	v_fma_f64 v[103:104], v[99:100], v[97:98], -v[103:104]
	v_mul_f64 v[99:100], v[99:100], v[105:106]
	v_fma_f64 v[99:100], v[101:102], v[97:98], v[99:100]
	s_waitcnt vmcnt(2)
	v_add_f64 v[13:14], v[13:14], -v[103:104]
	v_mov_b32_e32 v104, v98
	s_waitcnt vmcnt(0)
	v_add_f64 v[15:16], v[15:16], -v[99:100]
	v_mov_b32_e32 v103, v97
	buffer_store_dword v13, off, s[20:23], 0 offset:48 ; 4-byte Folded Spill
	s_nop 0
	buffer_store_dword v14, off, s[20:23], 0 offset:52 ; 4-byte Folded Spill
	buffer_store_dword v15, off, s[20:23], 0 offset:56 ; 4-byte Folded Spill
	;; [unrolled: 1-line block ×4, first 2 shown]
	s_nop 0
	buffer_store_dword v104, off, s[20:23], 0 offset:164 ; 4-byte Folded Spill
	buffer_store_dword v105, off, s[20:23], 0 offset:168 ; 4-byte Folded Spill
	;; [unrolled: 1-line block ×3, first 2 shown]
.LBB77_46:
	s_or_b64 exec, exec, s[2:3]
	v_cmp_eq_u32_e32 vcc, 5, v127
	s_waitcnt vmcnt(0)
	s_barrier
	s_and_saveexec_b64 s[4:5], vcc
	s_cbranch_execz .LBB77_53
; %bb.47:
	buffer_load_dword v13, off, s[20:23], 0 offset:144 ; 4-byte Folded Reload
	buffer_load_dword v14, off, s[20:23], 0 offset:148 ; 4-byte Folded Reload
	;; [unrolled: 1-line block ×4, first 2 shown]
	s_waitcnt vmcnt(0)
	ds_write2_b64 v0, v[13:14], v[15:16] offset1:1
	buffer_load_dword v13, off, s[20:23], 0 offset:128 ; 4-byte Folded Reload
	buffer_load_dword v14, off, s[20:23], 0 offset:132 ; 4-byte Folded Reload
	buffer_load_dword v15, off, s[20:23], 0 offset:136 ; 4-byte Folded Reload
	buffer_load_dword v16, off, s[20:23], 0 offset:140 ; 4-byte Folded Reload
	s_waitcnt vmcnt(0)
	ds_write2_b64 v125, v[13:14], v[15:16] offset0:12 offset1:13
	buffer_load_dword v13, off, s[20:23], 0 offset:112 ; 4-byte Folded Reload
	buffer_load_dword v14, off, s[20:23], 0 offset:116 ; 4-byte Folded Reload
	buffer_load_dword v15, off, s[20:23], 0 offset:120 ; 4-byte Folded Reload
	buffer_load_dword v16, off, s[20:23], 0 offset:124 ; 4-byte Folded Reload
	s_waitcnt vmcnt(0)
	ds_write2_b64 v125, v[13:14], v[15:16] offset0:14 offset1:15
	;; [unrolled: 6-line block ×3, first 2 shown]
	ds_write2_b64 v125, v[93:94], v[95:96] offset0:18 offset1:19
	ds_write2_b64 v125, v[89:90], v[91:92] offset0:20 offset1:21
	;; [unrolled: 1-line block ×6, first 2 shown]
	buffer_load_dword v81, off, s[20:23], 0 offset:80 ; 4-byte Folded Reload
	buffer_load_dword v82, off, s[20:23], 0 offset:84 ; 4-byte Folded Reload
	buffer_load_dword v83, off, s[20:23], 0 offset:88 ; 4-byte Folded Reload
	buffer_load_dword v84, off, s[20:23], 0 offset:92 ; 4-byte Folded Reload
	s_waitcnt vmcnt(0)
	ds_write2_b64 v125, v[81:82], v[83:84] offset0:30 offset1:31
	buffer_load_dword v13, off, s[20:23], 0 offset:64 ; 4-byte Folded Reload
	buffer_load_dword v14, off, s[20:23], 0 offset:68 ; 4-byte Folded Reload
	buffer_load_dword v15, off, s[20:23], 0 offset:72 ; 4-byte Folded Reload
	buffer_load_dword v16, off, s[20:23], 0 offset:76 ; 4-byte Folded Reload
	s_waitcnt vmcnt(0)
	ds_write2_b64 v125, v[13:14], v[15:16] offset0:32 offset1:33
	;; [unrolled: 6-line block ×4, first 2 shown]
	ds_write2_b64 v125, v[73:74], v[75:76] offset0:38 offset1:39
	ds_write2_b64 v125, v[69:70], v[71:72] offset0:40 offset1:41
	;; [unrolled: 1-line block ×15, first 2 shown]
	buffer_load_dword v13, off, s[20:23], 0 ; 4-byte Folded Reload
	buffer_load_dword v14, off, s[20:23], 0 offset:4 ; 4-byte Folded Reload
	buffer_load_dword v15, off, s[20:23], 0 offset:8 ; 4-byte Folded Reload
	;; [unrolled: 1-line block ×3, first 2 shown]
	s_waitcnt vmcnt(0)
	ds_write2_b64 v125, v[13:14], v[15:16] offset0:68 offset1:69
	ds_write2_b64 v125, v[9:10], v[11:12] offset0:70 offset1:71
	;; [unrolled: 1-line block ×4, first 2 shown]
	buffer_load_dword v13, off, s[20:23], 0 offset:48 ; 4-byte Folded Reload
	buffer_load_dword v14, off, s[20:23], 0 offset:52 ; 4-byte Folded Reload
	;; [unrolled: 1-line block ×4, first 2 shown]
	s_waitcnt vmcnt(0)
	ds_write2_b64 v125, v[13:14], v[15:16] offset0:76 offset1:77
	ds_read2_b64 v[97:100], v0 offset1:1
	s_waitcnt lgkmcnt(0)
	v_cmp_neq_f64_e32 vcc, 0, v[97:98]
	v_cmp_neq_f64_e64 s[2:3], 0, v[99:100]
	s_or_b64 s[2:3], vcc, s[2:3]
	s_and_b64 exec, exec, s[2:3]
	s_cbranch_execz .LBB77_53
; %bb.48:
	v_cmp_ngt_f64_e64 s[2:3], |v[97:98]|, |v[99:100]|
                                        ; implicit-def: $vgpr101_vgpr102
	s_and_saveexec_b64 s[6:7], s[2:3]
	s_xor_b64 s[2:3], exec, s[6:7]
                                        ; implicit-def: $vgpr103_vgpr104
	s_cbranch_execz .LBB77_50
; %bb.49:
	v_div_scale_f64 v[101:102], s[6:7], v[99:100], v[99:100], v[97:98]
	v_rcp_f64_e32 v[103:104], v[101:102]
	v_fma_f64 v[105:106], -v[101:102], v[103:104], 1.0
	v_fma_f64 v[103:104], v[103:104], v[105:106], v[103:104]
	v_div_scale_f64 v[105:106], vcc, v[97:98], v[99:100], v[97:98]
	v_fma_f64 v[107:108], -v[101:102], v[103:104], 1.0
	v_fma_f64 v[103:104], v[103:104], v[107:108], v[103:104]
	v_mul_f64 v[107:108], v[105:106], v[103:104]
	v_fma_f64 v[101:102], -v[101:102], v[107:108], v[105:106]
	v_div_fmas_f64 v[101:102], v[101:102], v[103:104], v[107:108]
	v_div_fixup_f64 v[101:102], v[101:102], v[99:100], v[97:98]
	v_fma_f64 v[97:98], v[97:98], v[101:102], v[99:100]
	v_div_scale_f64 v[99:100], s[6:7], v[97:98], v[97:98], 1.0
	v_div_scale_f64 v[107:108], vcc, 1.0, v[97:98], 1.0
	v_rcp_f64_e32 v[103:104], v[99:100]
	v_fma_f64 v[105:106], -v[99:100], v[103:104], 1.0
	v_fma_f64 v[103:104], v[103:104], v[105:106], v[103:104]
	v_fma_f64 v[105:106], -v[99:100], v[103:104], 1.0
	v_fma_f64 v[103:104], v[103:104], v[105:106], v[103:104]
	v_mul_f64 v[105:106], v[107:108], v[103:104]
	v_fma_f64 v[99:100], -v[99:100], v[105:106], v[107:108]
	v_div_fmas_f64 v[99:100], v[99:100], v[103:104], v[105:106]
	v_div_fixup_f64 v[103:104], v[99:100], v[97:98], 1.0
                                        ; implicit-def: $vgpr97_vgpr98
	v_mul_f64 v[101:102], v[101:102], v[103:104]
	v_xor_b32_e32 v104, 0x80000000, v104
.LBB77_50:
	s_andn2_saveexec_b64 s[2:3], s[2:3]
	s_cbranch_execz .LBB77_52
; %bb.51:
	v_div_scale_f64 v[101:102], s[6:7], v[97:98], v[97:98], v[99:100]
	v_rcp_f64_e32 v[103:104], v[101:102]
	v_fma_f64 v[105:106], -v[101:102], v[103:104], 1.0
	v_fma_f64 v[103:104], v[103:104], v[105:106], v[103:104]
	v_div_scale_f64 v[105:106], vcc, v[99:100], v[97:98], v[99:100]
	v_fma_f64 v[107:108], -v[101:102], v[103:104], 1.0
	v_fma_f64 v[103:104], v[103:104], v[107:108], v[103:104]
	v_mul_f64 v[107:108], v[105:106], v[103:104]
	v_fma_f64 v[101:102], -v[101:102], v[107:108], v[105:106]
	v_div_fmas_f64 v[101:102], v[101:102], v[103:104], v[107:108]
	v_div_fixup_f64 v[103:104], v[101:102], v[97:98], v[99:100]
	v_fma_f64 v[97:98], v[99:100], v[103:104], v[97:98]
	v_div_scale_f64 v[99:100], s[6:7], v[97:98], v[97:98], 1.0
	v_div_scale_f64 v[107:108], vcc, 1.0, v[97:98], 1.0
	v_rcp_f64_e32 v[101:102], v[99:100]
	v_fma_f64 v[105:106], -v[99:100], v[101:102], 1.0
	v_fma_f64 v[101:102], v[101:102], v[105:106], v[101:102]
	v_fma_f64 v[105:106], -v[99:100], v[101:102], 1.0
	v_fma_f64 v[101:102], v[101:102], v[105:106], v[101:102]
	v_mul_f64 v[105:106], v[107:108], v[101:102]
	v_fma_f64 v[99:100], -v[99:100], v[105:106], v[107:108]
	v_div_fmas_f64 v[99:100], v[99:100], v[101:102], v[105:106]
	v_div_fixup_f64 v[101:102], v[99:100], v[97:98], 1.0
	v_mul_f64 v[103:104], v[103:104], -v[101:102]
.LBB77_52:
	s_or_b64 exec, exec, s[2:3]
	ds_write2_b64 v0, v[101:102], v[103:104] offset1:1
.LBB77_53:
	s_or_b64 exec, exec, s[4:5]
	s_waitcnt lgkmcnt(0)
	s_barrier
	ds_read2_b64 v[13:16], v0 offset1:1
	v_cmp_lt_u32_e32 vcc, 5, v127
	s_waitcnt lgkmcnt(0)
	buffer_store_dword v13, off, s[20:23], 0 offset:684 ; 4-byte Folded Spill
	s_nop 0
	buffer_store_dword v14, off, s[20:23], 0 offset:688 ; 4-byte Folded Spill
	buffer_store_dword v15, off, s[20:23], 0 offset:692 ; 4-byte Folded Spill
	;; [unrolled: 1-line block ×3, first 2 shown]
	s_and_saveexec_b64 s[2:3], vcc
	s_cbranch_execz .LBB77_55
; %bb.54:
	buffer_load_dword v103, off, s[20:23], 0 offset:144 ; 4-byte Folded Reload
	buffer_load_dword v104, off, s[20:23], 0 offset:148 ; 4-byte Folded Reload
	;; [unrolled: 1-line block ×8, first 2 shown]
	s_waitcnt vmcnt(2)
	v_mul_f64 v[99:100], v[13:14], v[105:106]
	s_waitcnt vmcnt(0)
	v_mul_f64 v[97:98], v[15:16], v[105:106]
	v_fma_f64 v[105:106], v[15:16], v[103:104], v[99:100]
	ds_read2_b64 v[99:102], v125 offset0:12 offset1:13
	v_fma_f64 v[97:98], v[13:14], v[103:104], -v[97:98]
	buffer_load_dword v13, off, s[20:23], 0 offset:128 ; 4-byte Folded Reload
	buffer_load_dword v14, off, s[20:23], 0 offset:132 ; 4-byte Folded Reload
	buffer_load_dword v15, off, s[20:23], 0 offset:136 ; 4-byte Folded Reload
	buffer_load_dword v16, off, s[20:23], 0 offset:140 ; 4-byte Folded Reload
	s_waitcnt lgkmcnt(0)
	v_mul_f64 v[103:104], v[101:102], v[105:106]
	v_fma_f64 v[103:104], v[99:100], v[97:98], -v[103:104]
	v_mul_f64 v[99:100], v[99:100], v[105:106]
	v_fma_f64 v[99:100], v[101:102], v[97:98], v[99:100]
	s_waitcnt vmcnt(2)
	v_add_f64 v[13:14], v[13:14], -v[103:104]
	s_waitcnt vmcnt(0)
	v_add_f64 v[15:16], v[15:16], -v[99:100]
	buffer_store_dword v13, off, s[20:23], 0 offset:128 ; 4-byte Folded Spill
	s_nop 0
	buffer_store_dword v14, off, s[20:23], 0 offset:132 ; 4-byte Folded Spill
	buffer_store_dword v15, off, s[20:23], 0 offset:136 ; 4-byte Folded Spill
	buffer_store_dword v16, off, s[20:23], 0 offset:140 ; 4-byte Folded Spill
	ds_read2_b64 v[99:102], v125 offset0:14 offset1:15
	buffer_load_dword v13, off, s[20:23], 0 offset:112 ; 4-byte Folded Reload
	buffer_load_dword v14, off, s[20:23], 0 offset:116 ; 4-byte Folded Reload
	buffer_load_dword v15, off, s[20:23], 0 offset:120 ; 4-byte Folded Reload
	buffer_load_dword v16, off, s[20:23], 0 offset:124 ; 4-byte Folded Reload
	s_waitcnt lgkmcnt(0)
	v_mul_f64 v[103:104], v[101:102], v[105:106]
	v_fma_f64 v[103:104], v[99:100], v[97:98], -v[103:104]
	v_mul_f64 v[99:100], v[99:100], v[105:106]
	v_fma_f64 v[99:100], v[101:102], v[97:98], v[99:100]
	s_waitcnt vmcnt(2)
	v_add_f64 v[13:14], v[13:14], -v[103:104]
	s_waitcnt vmcnt(0)
	v_add_f64 v[15:16], v[15:16], -v[99:100]
	buffer_store_dword v13, off, s[20:23], 0 offset:112 ; 4-byte Folded Spill
	s_nop 0
	buffer_store_dword v14, off, s[20:23], 0 offset:116 ; 4-byte Folded Spill
	buffer_store_dword v15, off, s[20:23], 0 offset:120 ; 4-byte Folded Spill
	buffer_store_dword v16, off, s[20:23], 0 offset:124 ; 4-byte Folded Spill
	ds_read2_b64 v[99:102], v125 offset0:16 offset1:17
	;; [unrolled: 19-line block ×3, first 2 shown]
	s_waitcnt lgkmcnt(0)
	v_mul_f64 v[103:104], v[101:102], v[105:106]
	v_fma_f64 v[103:104], v[99:100], v[97:98], -v[103:104]
	v_mul_f64 v[99:100], v[99:100], v[105:106]
	v_add_f64 v[93:94], v[93:94], -v[103:104]
	v_fma_f64 v[99:100], v[101:102], v[97:98], v[99:100]
	v_add_f64 v[95:96], v[95:96], -v[99:100]
	ds_read2_b64 v[99:102], v125 offset0:20 offset1:21
	s_waitcnt lgkmcnt(0)
	v_mul_f64 v[103:104], v[101:102], v[105:106]
	v_fma_f64 v[103:104], v[99:100], v[97:98], -v[103:104]
	v_mul_f64 v[99:100], v[99:100], v[105:106]
	v_add_f64 v[89:90], v[89:90], -v[103:104]
	v_fma_f64 v[99:100], v[101:102], v[97:98], v[99:100]
	v_add_f64 v[91:92], v[91:92], -v[99:100]
	ds_read2_b64 v[99:102], v125 offset0:22 offset1:23
	;; [unrolled: 8-line block ×6, first 2 shown]
	buffer_load_dword v81, off, s[20:23], 0 offset:80 ; 4-byte Folded Reload
	buffer_load_dword v82, off, s[20:23], 0 offset:84 ; 4-byte Folded Reload
	buffer_load_dword v83, off, s[20:23], 0 offset:88 ; 4-byte Folded Reload
	buffer_load_dword v84, off, s[20:23], 0 offset:92 ; 4-byte Folded Reload
	s_waitcnt lgkmcnt(0)
	v_mul_f64 v[103:104], v[101:102], v[105:106]
	v_fma_f64 v[103:104], v[99:100], v[97:98], -v[103:104]
	v_mul_f64 v[99:100], v[99:100], v[105:106]
	v_fma_f64 v[99:100], v[101:102], v[97:98], v[99:100]
	s_waitcnt vmcnt(2)
	v_add_f64 v[81:82], v[81:82], -v[103:104]
	s_waitcnt vmcnt(0)
	v_add_f64 v[83:84], v[83:84], -v[99:100]
	buffer_store_dword v81, off, s[20:23], 0 offset:80 ; 4-byte Folded Spill
	s_nop 0
	buffer_store_dword v82, off, s[20:23], 0 offset:84 ; 4-byte Folded Spill
	buffer_store_dword v83, off, s[20:23], 0 offset:88 ; 4-byte Folded Spill
	buffer_store_dword v84, off, s[20:23], 0 offset:92 ; 4-byte Folded Spill
	ds_read2_b64 v[99:102], v125 offset0:32 offset1:33
	buffer_load_dword v13, off, s[20:23], 0 offset:64 ; 4-byte Folded Reload
	buffer_load_dword v14, off, s[20:23], 0 offset:68 ; 4-byte Folded Reload
	buffer_load_dword v15, off, s[20:23], 0 offset:72 ; 4-byte Folded Reload
	buffer_load_dword v16, off, s[20:23], 0 offset:76 ; 4-byte Folded Reload
	s_waitcnt lgkmcnt(0)
	v_mul_f64 v[103:104], v[101:102], v[105:106]
	v_fma_f64 v[103:104], v[99:100], v[97:98], -v[103:104]
	v_mul_f64 v[99:100], v[99:100], v[105:106]
	v_fma_f64 v[99:100], v[101:102], v[97:98], v[99:100]
	s_waitcnt vmcnt(2)
	v_add_f64 v[13:14], v[13:14], -v[103:104]
	s_waitcnt vmcnt(0)
	v_add_f64 v[15:16], v[15:16], -v[99:100]
	buffer_store_dword v13, off, s[20:23], 0 offset:64 ; 4-byte Folded Spill
	s_nop 0
	buffer_store_dword v14, off, s[20:23], 0 offset:68 ; 4-byte Folded Spill
	buffer_store_dword v15, off, s[20:23], 0 offset:72 ; 4-byte Folded Spill
	buffer_store_dword v16, off, s[20:23], 0 offset:76 ; 4-byte Folded Spill
	ds_read2_b64 v[99:102], v125 offset0:34 offset1:35
	;; [unrolled: 19-line block ×4, first 2 shown]
	s_waitcnt lgkmcnt(0)
	v_mul_f64 v[103:104], v[101:102], v[105:106]
	v_fma_f64 v[103:104], v[99:100], v[97:98], -v[103:104]
	v_mul_f64 v[99:100], v[99:100], v[105:106]
	v_add_f64 v[73:74], v[73:74], -v[103:104]
	v_fma_f64 v[99:100], v[101:102], v[97:98], v[99:100]
	v_add_f64 v[75:76], v[75:76], -v[99:100]
	ds_read2_b64 v[99:102], v125 offset0:40 offset1:41
	s_waitcnt lgkmcnt(0)
	v_mul_f64 v[103:104], v[101:102], v[105:106]
	v_fma_f64 v[103:104], v[99:100], v[97:98], -v[103:104]
	v_mul_f64 v[99:100], v[99:100], v[105:106]
	v_add_f64 v[69:70], v[69:70], -v[103:104]
	v_fma_f64 v[99:100], v[101:102], v[97:98], v[99:100]
	v_add_f64 v[71:72], v[71:72], -v[99:100]
	ds_read2_b64 v[99:102], v125 offset0:42 offset1:43
	;; [unrolled: 8-line block ×15, first 2 shown]
	buffer_load_dword v13, off, s[20:23], 0 ; 4-byte Folded Reload
	buffer_load_dword v14, off, s[20:23], 0 offset:4 ; 4-byte Folded Reload
	buffer_load_dword v15, off, s[20:23], 0 offset:8 ; 4-byte Folded Reload
	;; [unrolled: 1-line block ×3, first 2 shown]
	s_waitcnt lgkmcnt(0)
	v_mul_f64 v[103:104], v[101:102], v[105:106]
	v_fma_f64 v[103:104], v[99:100], v[97:98], -v[103:104]
	v_mul_f64 v[99:100], v[99:100], v[105:106]
	v_fma_f64 v[99:100], v[101:102], v[97:98], v[99:100]
	s_waitcnt vmcnt(2)
	v_add_f64 v[13:14], v[13:14], -v[103:104]
	s_waitcnt vmcnt(0)
	v_add_f64 v[15:16], v[15:16], -v[99:100]
	buffer_store_dword v13, off, s[20:23], 0 ; 4-byte Folded Spill
	s_nop 0
	buffer_store_dword v14, off, s[20:23], 0 offset:4 ; 4-byte Folded Spill
	buffer_store_dword v15, off, s[20:23], 0 offset:8 ; 4-byte Folded Spill
	buffer_store_dword v16, off, s[20:23], 0 offset:12 ; 4-byte Folded Spill
	ds_read2_b64 v[99:102], v125 offset0:70 offset1:71
	s_waitcnt lgkmcnt(0)
	v_mul_f64 v[103:104], v[101:102], v[105:106]
	v_fma_f64 v[103:104], v[99:100], v[97:98], -v[103:104]
	v_mul_f64 v[99:100], v[99:100], v[105:106]
	v_add_f64 v[9:10], v[9:10], -v[103:104]
	v_fma_f64 v[99:100], v[101:102], v[97:98], v[99:100]
	v_add_f64 v[11:12], v[11:12], -v[99:100]
	ds_read2_b64 v[99:102], v125 offset0:72 offset1:73
	s_waitcnt lgkmcnt(0)
	v_mul_f64 v[103:104], v[101:102], v[105:106]
	v_fma_f64 v[103:104], v[99:100], v[97:98], -v[103:104]
	v_mul_f64 v[99:100], v[99:100], v[105:106]
	v_add_f64 v[5:6], v[5:6], -v[103:104]
	v_fma_f64 v[99:100], v[101:102], v[97:98], v[99:100]
	v_add_f64 v[7:8], v[7:8], -v[99:100]
	;; [unrolled: 8-line block ×3, first 2 shown]
	ds_read2_b64 v[99:102], v125 offset0:76 offset1:77
	buffer_load_dword v13, off, s[20:23], 0 offset:48 ; 4-byte Folded Reload
	buffer_load_dword v14, off, s[20:23], 0 offset:52 ; 4-byte Folded Reload
	;; [unrolled: 1-line block ×4, first 2 shown]
	s_waitcnt lgkmcnt(0)
	v_mul_f64 v[103:104], v[101:102], v[105:106]
	v_fma_f64 v[103:104], v[99:100], v[97:98], -v[103:104]
	v_mul_f64 v[99:100], v[99:100], v[105:106]
	v_fma_f64 v[99:100], v[101:102], v[97:98], v[99:100]
	s_waitcnt vmcnt(2)
	v_add_f64 v[13:14], v[13:14], -v[103:104]
	v_mov_b32_e32 v104, v98
	s_waitcnt vmcnt(0)
	v_add_f64 v[15:16], v[15:16], -v[99:100]
	v_mov_b32_e32 v103, v97
	buffer_store_dword v13, off, s[20:23], 0 offset:48 ; 4-byte Folded Spill
	s_nop 0
	buffer_store_dword v14, off, s[20:23], 0 offset:52 ; 4-byte Folded Spill
	buffer_store_dword v15, off, s[20:23], 0 offset:56 ; 4-byte Folded Spill
	;; [unrolled: 1-line block ×4, first 2 shown]
	s_nop 0
	buffer_store_dword v104, off, s[20:23], 0 offset:148 ; 4-byte Folded Spill
	buffer_store_dword v105, off, s[20:23], 0 offset:152 ; 4-byte Folded Spill
	;; [unrolled: 1-line block ×3, first 2 shown]
.LBB77_55:
	s_or_b64 exec, exec, s[2:3]
	v_cmp_eq_u32_e32 vcc, 6, v127
	s_waitcnt vmcnt(0)
	s_barrier
	s_and_saveexec_b64 s[4:5], vcc
	s_cbranch_execz .LBB77_62
; %bb.56:
	buffer_load_dword v13, off, s[20:23], 0 offset:128 ; 4-byte Folded Reload
	buffer_load_dword v14, off, s[20:23], 0 offset:132 ; 4-byte Folded Reload
	;; [unrolled: 1-line block ×4, first 2 shown]
	s_waitcnt vmcnt(0)
	ds_write2_b64 v0, v[13:14], v[15:16] offset1:1
	buffer_load_dword v13, off, s[20:23], 0 offset:112 ; 4-byte Folded Reload
	buffer_load_dword v14, off, s[20:23], 0 offset:116 ; 4-byte Folded Reload
	;; [unrolled: 1-line block ×4, first 2 shown]
	s_waitcnt vmcnt(0)
	ds_write2_b64 v125, v[13:14], v[15:16] offset0:14 offset1:15
	buffer_load_dword v13, off, s[20:23], 0 offset:96 ; 4-byte Folded Reload
	buffer_load_dword v14, off, s[20:23], 0 offset:100 ; 4-byte Folded Reload
	;; [unrolled: 1-line block ×4, first 2 shown]
	s_waitcnt vmcnt(0)
	ds_write2_b64 v125, v[13:14], v[15:16] offset0:16 offset1:17
	ds_write2_b64 v125, v[93:94], v[95:96] offset0:18 offset1:19
	;; [unrolled: 1-line block ×7, first 2 shown]
	buffer_load_dword v81, off, s[20:23], 0 offset:80 ; 4-byte Folded Reload
	buffer_load_dword v82, off, s[20:23], 0 offset:84 ; 4-byte Folded Reload
	buffer_load_dword v83, off, s[20:23], 0 offset:88 ; 4-byte Folded Reload
	buffer_load_dword v84, off, s[20:23], 0 offset:92 ; 4-byte Folded Reload
	s_waitcnt vmcnt(0)
	ds_write2_b64 v125, v[81:82], v[83:84] offset0:30 offset1:31
	buffer_load_dword v13, off, s[20:23], 0 offset:64 ; 4-byte Folded Reload
	buffer_load_dword v14, off, s[20:23], 0 offset:68 ; 4-byte Folded Reload
	buffer_load_dword v15, off, s[20:23], 0 offset:72 ; 4-byte Folded Reload
	buffer_load_dword v16, off, s[20:23], 0 offset:76 ; 4-byte Folded Reload
	s_waitcnt vmcnt(0)
	ds_write2_b64 v125, v[13:14], v[15:16] offset0:32 offset1:33
	buffer_load_dword v81, off, s[20:23], 0 offset:32 ; 4-byte Folded Reload
	buffer_load_dword v82, off, s[20:23], 0 offset:36 ; 4-byte Folded Reload
	buffer_load_dword v83, off, s[20:23], 0 offset:40 ; 4-byte Folded Reload
	buffer_load_dword v84, off, s[20:23], 0 offset:44 ; 4-byte Folded Reload
	s_waitcnt vmcnt(0)
	ds_write2_b64 v125, v[81:82], v[83:84] offset0:34 offset1:35
	buffer_load_dword v13, off, s[20:23], 0 offset:16 ; 4-byte Folded Reload
	buffer_load_dword v14, off, s[20:23], 0 offset:20 ; 4-byte Folded Reload
	buffer_load_dword v15, off, s[20:23], 0 offset:24 ; 4-byte Folded Reload
	buffer_load_dword v16, off, s[20:23], 0 offset:28 ; 4-byte Folded Reload
	s_waitcnt vmcnt(0)
	ds_write2_b64 v125, v[13:14], v[15:16] offset0:36 offset1:37
	ds_write2_b64 v125, v[73:74], v[75:76] offset0:38 offset1:39
	ds_write2_b64 v125, v[69:70], v[71:72] offset0:40 offset1:41
	;; [unrolled: 1-line block ×15, first 2 shown]
	buffer_load_dword v13, off, s[20:23], 0 ; 4-byte Folded Reload
	buffer_load_dword v14, off, s[20:23], 0 offset:4 ; 4-byte Folded Reload
	buffer_load_dword v15, off, s[20:23], 0 offset:8 ; 4-byte Folded Reload
	;; [unrolled: 1-line block ×3, first 2 shown]
	s_waitcnt vmcnt(0)
	ds_write2_b64 v125, v[13:14], v[15:16] offset0:68 offset1:69
	ds_write2_b64 v125, v[9:10], v[11:12] offset0:70 offset1:71
	;; [unrolled: 1-line block ×4, first 2 shown]
	buffer_load_dword v13, off, s[20:23], 0 offset:48 ; 4-byte Folded Reload
	buffer_load_dword v14, off, s[20:23], 0 offset:52 ; 4-byte Folded Reload
	;; [unrolled: 1-line block ×4, first 2 shown]
	s_waitcnt vmcnt(0)
	ds_write2_b64 v125, v[13:14], v[15:16] offset0:76 offset1:77
	ds_read2_b64 v[97:100], v0 offset1:1
	s_waitcnt lgkmcnt(0)
	v_cmp_neq_f64_e32 vcc, 0, v[97:98]
	v_cmp_neq_f64_e64 s[2:3], 0, v[99:100]
	s_or_b64 s[2:3], vcc, s[2:3]
	s_and_b64 exec, exec, s[2:3]
	s_cbranch_execz .LBB77_62
; %bb.57:
	v_cmp_ngt_f64_e64 s[2:3], |v[97:98]|, |v[99:100]|
                                        ; implicit-def: $vgpr101_vgpr102
	s_and_saveexec_b64 s[6:7], s[2:3]
	s_xor_b64 s[2:3], exec, s[6:7]
                                        ; implicit-def: $vgpr103_vgpr104
	s_cbranch_execz .LBB77_59
; %bb.58:
	v_div_scale_f64 v[101:102], s[6:7], v[99:100], v[99:100], v[97:98]
	v_rcp_f64_e32 v[103:104], v[101:102]
	v_fma_f64 v[105:106], -v[101:102], v[103:104], 1.0
	v_fma_f64 v[103:104], v[103:104], v[105:106], v[103:104]
	v_div_scale_f64 v[105:106], vcc, v[97:98], v[99:100], v[97:98]
	v_fma_f64 v[107:108], -v[101:102], v[103:104], 1.0
	v_fma_f64 v[103:104], v[103:104], v[107:108], v[103:104]
	v_mul_f64 v[107:108], v[105:106], v[103:104]
	v_fma_f64 v[101:102], -v[101:102], v[107:108], v[105:106]
	v_div_fmas_f64 v[101:102], v[101:102], v[103:104], v[107:108]
	v_div_fixup_f64 v[101:102], v[101:102], v[99:100], v[97:98]
	v_fma_f64 v[97:98], v[97:98], v[101:102], v[99:100]
	v_div_scale_f64 v[99:100], s[6:7], v[97:98], v[97:98], 1.0
	v_div_scale_f64 v[107:108], vcc, 1.0, v[97:98], 1.0
	v_rcp_f64_e32 v[103:104], v[99:100]
	v_fma_f64 v[105:106], -v[99:100], v[103:104], 1.0
	v_fma_f64 v[103:104], v[103:104], v[105:106], v[103:104]
	v_fma_f64 v[105:106], -v[99:100], v[103:104], 1.0
	v_fma_f64 v[103:104], v[103:104], v[105:106], v[103:104]
	v_mul_f64 v[105:106], v[107:108], v[103:104]
	v_fma_f64 v[99:100], -v[99:100], v[105:106], v[107:108]
	v_div_fmas_f64 v[99:100], v[99:100], v[103:104], v[105:106]
	v_div_fixup_f64 v[103:104], v[99:100], v[97:98], 1.0
                                        ; implicit-def: $vgpr97_vgpr98
	v_mul_f64 v[101:102], v[101:102], v[103:104]
	v_xor_b32_e32 v104, 0x80000000, v104
.LBB77_59:
	s_andn2_saveexec_b64 s[2:3], s[2:3]
	s_cbranch_execz .LBB77_61
; %bb.60:
	v_div_scale_f64 v[101:102], s[6:7], v[97:98], v[97:98], v[99:100]
	v_rcp_f64_e32 v[103:104], v[101:102]
	v_fma_f64 v[105:106], -v[101:102], v[103:104], 1.0
	v_fma_f64 v[103:104], v[103:104], v[105:106], v[103:104]
	v_div_scale_f64 v[105:106], vcc, v[99:100], v[97:98], v[99:100]
	v_fma_f64 v[107:108], -v[101:102], v[103:104], 1.0
	v_fma_f64 v[103:104], v[103:104], v[107:108], v[103:104]
	v_mul_f64 v[107:108], v[105:106], v[103:104]
	v_fma_f64 v[101:102], -v[101:102], v[107:108], v[105:106]
	v_div_fmas_f64 v[101:102], v[101:102], v[103:104], v[107:108]
	v_div_fixup_f64 v[103:104], v[101:102], v[97:98], v[99:100]
	v_fma_f64 v[97:98], v[99:100], v[103:104], v[97:98]
	v_div_scale_f64 v[99:100], s[6:7], v[97:98], v[97:98], 1.0
	v_div_scale_f64 v[107:108], vcc, 1.0, v[97:98], 1.0
	v_rcp_f64_e32 v[101:102], v[99:100]
	v_fma_f64 v[105:106], -v[99:100], v[101:102], 1.0
	v_fma_f64 v[101:102], v[101:102], v[105:106], v[101:102]
	v_fma_f64 v[105:106], -v[99:100], v[101:102], 1.0
	v_fma_f64 v[101:102], v[101:102], v[105:106], v[101:102]
	v_mul_f64 v[105:106], v[107:108], v[101:102]
	v_fma_f64 v[99:100], -v[99:100], v[105:106], v[107:108]
	v_div_fmas_f64 v[99:100], v[99:100], v[101:102], v[105:106]
	v_div_fixup_f64 v[101:102], v[99:100], v[97:98], 1.0
	v_mul_f64 v[103:104], v[103:104], -v[101:102]
.LBB77_61:
	s_or_b64 exec, exec, s[2:3]
	ds_write2_b64 v0, v[101:102], v[103:104] offset1:1
.LBB77_62:
	s_or_b64 exec, exec, s[4:5]
	s_waitcnt lgkmcnt(0)
	s_barrier
	ds_read2_b64 v[13:16], v0 offset1:1
	v_cmp_lt_u32_e32 vcc, 6, v127
	s_waitcnt lgkmcnt(0)
	buffer_store_dword v13, off, s[20:23], 0 offset:700 ; 4-byte Folded Spill
	s_nop 0
	buffer_store_dword v14, off, s[20:23], 0 offset:704 ; 4-byte Folded Spill
	buffer_store_dword v15, off, s[20:23], 0 offset:708 ; 4-byte Folded Spill
	;; [unrolled: 1-line block ×3, first 2 shown]
	s_and_saveexec_b64 s[2:3], vcc
	s_cbranch_execz .LBB77_64
; %bb.63:
	buffer_load_dword v103, off, s[20:23], 0 offset:128 ; 4-byte Folded Reload
	buffer_load_dword v104, off, s[20:23], 0 offset:132 ; 4-byte Folded Reload
	;; [unrolled: 1-line block ×8, first 2 shown]
	s_waitcnt vmcnt(2)
	v_mul_f64 v[99:100], v[13:14], v[105:106]
	s_waitcnt vmcnt(0)
	v_mul_f64 v[97:98], v[15:16], v[105:106]
	v_fma_f64 v[105:106], v[15:16], v[103:104], v[99:100]
	ds_read2_b64 v[99:102], v125 offset0:14 offset1:15
	v_fma_f64 v[97:98], v[13:14], v[103:104], -v[97:98]
	buffer_load_dword v13, off, s[20:23], 0 offset:112 ; 4-byte Folded Reload
	buffer_load_dword v14, off, s[20:23], 0 offset:116 ; 4-byte Folded Reload
	;; [unrolled: 1-line block ×4, first 2 shown]
	s_waitcnt lgkmcnt(0)
	v_mul_f64 v[103:104], v[101:102], v[105:106]
	v_fma_f64 v[103:104], v[99:100], v[97:98], -v[103:104]
	v_mul_f64 v[99:100], v[99:100], v[105:106]
	v_fma_f64 v[99:100], v[101:102], v[97:98], v[99:100]
	s_waitcnt vmcnt(2)
	v_add_f64 v[13:14], v[13:14], -v[103:104]
	s_waitcnt vmcnt(0)
	v_add_f64 v[15:16], v[15:16], -v[99:100]
	buffer_store_dword v13, off, s[20:23], 0 offset:112 ; 4-byte Folded Spill
	s_nop 0
	buffer_store_dword v14, off, s[20:23], 0 offset:116 ; 4-byte Folded Spill
	buffer_store_dword v15, off, s[20:23], 0 offset:120 ; 4-byte Folded Spill
	buffer_store_dword v16, off, s[20:23], 0 offset:124 ; 4-byte Folded Spill
	ds_read2_b64 v[99:102], v125 offset0:16 offset1:17
	buffer_load_dword v13, off, s[20:23], 0 offset:96 ; 4-byte Folded Reload
	buffer_load_dword v14, off, s[20:23], 0 offset:100 ; 4-byte Folded Reload
	;; [unrolled: 1-line block ×4, first 2 shown]
	s_waitcnt lgkmcnt(0)
	v_mul_f64 v[103:104], v[101:102], v[105:106]
	v_fma_f64 v[103:104], v[99:100], v[97:98], -v[103:104]
	v_mul_f64 v[99:100], v[99:100], v[105:106]
	v_fma_f64 v[99:100], v[101:102], v[97:98], v[99:100]
	s_waitcnt vmcnt(2)
	v_add_f64 v[13:14], v[13:14], -v[103:104]
	s_waitcnt vmcnt(0)
	v_add_f64 v[15:16], v[15:16], -v[99:100]
	buffer_store_dword v13, off, s[20:23], 0 offset:96 ; 4-byte Folded Spill
	s_nop 0
	buffer_store_dword v14, off, s[20:23], 0 offset:100 ; 4-byte Folded Spill
	buffer_store_dword v15, off, s[20:23], 0 offset:104 ; 4-byte Folded Spill
	;; [unrolled: 1-line block ×3, first 2 shown]
	ds_read2_b64 v[99:102], v125 offset0:18 offset1:19
	s_waitcnt lgkmcnt(0)
	v_mul_f64 v[103:104], v[101:102], v[105:106]
	v_fma_f64 v[103:104], v[99:100], v[97:98], -v[103:104]
	v_mul_f64 v[99:100], v[99:100], v[105:106]
	v_add_f64 v[93:94], v[93:94], -v[103:104]
	v_fma_f64 v[99:100], v[101:102], v[97:98], v[99:100]
	v_add_f64 v[95:96], v[95:96], -v[99:100]
	ds_read2_b64 v[99:102], v125 offset0:20 offset1:21
	s_waitcnt lgkmcnt(0)
	v_mul_f64 v[103:104], v[101:102], v[105:106]
	v_fma_f64 v[103:104], v[99:100], v[97:98], -v[103:104]
	v_mul_f64 v[99:100], v[99:100], v[105:106]
	v_add_f64 v[89:90], v[89:90], -v[103:104]
	v_fma_f64 v[99:100], v[101:102], v[97:98], v[99:100]
	v_add_f64 v[91:92], v[91:92], -v[99:100]
	;; [unrolled: 8-line block ×6, first 2 shown]
	ds_read2_b64 v[99:102], v125 offset0:30 offset1:31
	buffer_load_dword v81, off, s[20:23], 0 offset:80 ; 4-byte Folded Reload
	buffer_load_dword v82, off, s[20:23], 0 offset:84 ; 4-byte Folded Reload
	buffer_load_dword v83, off, s[20:23], 0 offset:88 ; 4-byte Folded Reload
	buffer_load_dword v84, off, s[20:23], 0 offset:92 ; 4-byte Folded Reload
	s_waitcnt lgkmcnt(0)
	v_mul_f64 v[103:104], v[101:102], v[105:106]
	v_fma_f64 v[103:104], v[99:100], v[97:98], -v[103:104]
	v_mul_f64 v[99:100], v[99:100], v[105:106]
	v_fma_f64 v[99:100], v[101:102], v[97:98], v[99:100]
	s_waitcnt vmcnt(2)
	v_add_f64 v[81:82], v[81:82], -v[103:104]
	s_waitcnt vmcnt(0)
	v_add_f64 v[83:84], v[83:84], -v[99:100]
	buffer_store_dword v81, off, s[20:23], 0 offset:80 ; 4-byte Folded Spill
	s_nop 0
	buffer_store_dword v82, off, s[20:23], 0 offset:84 ; 4-byte Folded Spill
	buffer_store_dword v83, off, s[20:23], 0 offset:88 ; 4-byte Folded Spill
	buffer_store_dword v84, off, s[20:23], 0 offset:92 ; 4-byte Folded Spill
	ds_read2_b64 v[99:102], v125 offset0:32 offset1:33
	buffer_load_dword v13, off, s[20:23], 0 offset:64 ; 4-byte Folded Reload
	buffer_load_dword v14, off, s[20:23], 0 offset:68 ; 4-byte Folded Reload
	buffer_load_dword v15, off, s[20:23], 0 offset:72 ; 4-byte Folded Reload
	buffer_load_dword v16, off, s[20:23], 0 offset:76 ; 4-byte Folded Reload
	s_waitcnt lgkmcnt(0)
	v_mul_f64 v[103:104], v[101:102], v[105:106]
	v_fma_f64 v[103:104], v[99:100], v[97:98], -v[103:104]
	v_mul_f64 v[99:100], v[99:100], v[105:106]
	v_fma_f64 v[99:100], v[101:102], v[97:98], v[99:100]
	s_waitcnt vmcnt(2)
	v_add_f64 v[13:14], v[13:14], -v[103:104]
	s_waitcnt vmcnt(0)
	v_add_f64 v[15:16], v[15:16], -v[99:100]
	buffer_store_dword v13, off, s[20:23], 0 offset:64 ; 4-byte Folded Spill
	s_nop 0
	buffer_store_dword v14, off, s[20:23], 0 offset:68 ; 4-byte Folded Spill
	buffer_store_dword v15, off, s[20:23], 0 offset:72 ; 4-byte Folded Spill
	buffer_store_dword v16, off, s[20:23], 0 offset:76 ; 4-byte Folded Spill
	;; [unrolled: 19-line block ×4, first 2 shown]
	ds_read2_b64 v[99:102], v125 offset0:38 offset1:39
	s_waitcnt lgkmcnt(0)
	v_mul_f64 v[103:104], v[101:102], v[105:106]
	v_fma_f64 v[103:104], v[99:100], v[97:98], -v[103:104]
	v_mul_f64 v[99:100], v[99:100], v[105:106]
	v_add_f64 v[73:74], v[73:74], -v[103:104]
	v_fma_f64 v[99:100], v[101:102], v[97:98], v[99:100]
	v_add_f64 v[75:76], v[75:76], -v[99:100]
	ds_read2_b64 v[99:102], v125 offset0:40 offset1:41
	s_waitcnt lgkmcnt(0)
	v_mul_f64 v[103:104], v[101:102], v[105:106]
	v_fma_f64 v[103:104], v[99:100], v[97:98], -v[103:104]
	v_mul_f64 v[99:100], v[99:100], v[105:106]
	v_add_f64 v[69:70], v[69:70], -v[103:104]
	v_fma_f64 v[99:100], v[101:102], v[97:98], v[99:100]
	v_add_f64 v[71:72], v[71:72], -v[99:100]
	;; [unrolled: 8-line block ×15, first 2 shown]
	ds_read2_b64 v[99:102], v125 offset0:68 offset1:69
	buffer_load_dword v13, off, s[20:23], 0 ; 4-byte Folded Reload
	buffer_load_dword v14, off, s[20:23], 0 offset:4 ; 4-byte Folded Reload
	buffer_load_dword v15, off, s[20:23], 0 offset:8 ; 4-byte Folded Reload
	;; [unrolled: 1-line block ×3, first 2 shown]
	s_waitcnt lgkmcnt(0)
	v_mul_f64 v[103:104], v[101:102], v[105:106]
	v_fma_f64 v[103:104], v[99:100], v[97:98], -v[103:104]
	v_mul_f64 v[99:100], v[99:100], v[105:106]
	v_fma_f64 v[99:100], v[101:102], v[97:98], v[99:100]
	s_waitcnt vmcnt(2)
	v_add_f64 v[13:14], v[13:14], -v[103:104]
	s_waitcnt vmcnt(0)
	v_add_f64 v[15:16], v[15:16], -v[99:100]
	buffer_store_dword v13, off, s[20:23], 0 ; 4-byte Folded Spill
	s_nop 0
	buffer_store_dword v14, off, s[20:23], 0 offset:4 ; 4-byte Folded Spill
	buffer_store_dword v15, off, s[20:23], 0 offset:8 ; 4-byte Folded Spill
	;; [unrolled: 1-line block ×3, first 2 shown]
	ds_read2_b64 v[99:102], v125 offset0:70 offset1:71
	s_waitcnt lgkmcnt(0)
	v_mul_f64 v[103:104], v[101:102], v[105:106]
	v_fma_f64 v[103:104], v[99:100], v[97:98], -v[103:104]
	v_mul_f64 v[99:100], v[99:100], v[105:106]
	v_add_f64 v[9:10], v[9:10], -v[103:104]
	v_fma_f64 v[99:100], v[101:102], v[97:98], v[99:100]
	v_add_f64 v[11:12], v[11:12], -v[99:100]
	ds_read2_b64 v[99:102], v125 offset0:72 offset1:73
	s_waitcnt lgkmcnt(0)
	v_mul_f64 v[103:104], v[101:102], v[105:106]
	v_fma_f64 v[103:104], v[99:100], v[97:98], -v[103:104]
	v_mul_f64 v[99:100], v[99:100], v[105:106]
	v_add_f64 v[5:6], v[5:6], -v[103:104]
	v_fma_f64 v[99:100], v[101:102], v[97:98], v[99:100]
	v_add_f64 v[7:8], v[7:8], -v[99:100]
	;; [unrolled: 8-line block ×3, first 2 shown]
	ds_read2_b64 v[99:102], v125 offset0:76 offset1:77
	buffer_load_dword v13, off, s[20:23], 0 offset:48 ; 4-byte Folded Reload
	buffer_load_dword v14, off, s[20:23], 0 offset:52 ; 4-byte Folded Reload
	;; [unrolled: 1-line block ×4, first 2 shown]
	s_waitcnt lgkmcnt(0)
	v_mul_f64 v[103:104], v[101:102], v[105:106]
	v_fma_f64 v[103:104], v[99:100], v[97:98], -v[103:104]
	v_mul_f64 v[99:100], v[99:100], v[105:106]
	v_fma_f64 v[99:100], v[101:102], v[97:98], v[99:100]
	s_waitcnt vmcnt(2)
	v_add_f64 v[13:14], v[13:14], -v[103:104]
	v_mov_b32_e32 v104, v98
	s_waitcnt vmcnt(0)
	v_add_f64 v[15:16], v[15:16], -v[99:100]
	v_mov_b32_e32 v103, v97
	buffer_store_dword v13, off, s[20:23], 0 offset:48 ; 4-byte Folded Spill
	s_nop 0
	buffer_store_dword v14, off, s[20:23], 0 offset:52 ; 4-byte Folded Spill
	buffer_store_dword v15, off, s[20:23], 0 offset:56 ; 4-byte Folded Spill
	;; [unrolled: 1-line block ×4, first 2 shown]
	s_nop 0
	buffer_store_dword v104, off, s[20:23], 0 offset:132 ; 4-byte Folded Spill
	buffer_store_dword v105, off, s[20:23], 0 offset:136 ; 4-byte Folded Spill
	;; [unrolled: 1-line block ×3, first 2 shown]
.LBB77_64:
	s_or_b64 exec, exec, s[2:3]
	v_cmp_eq_u32_e32 vcc, 7, v127
	s_waitcnt vmcnt(0)
	s_barrier
	s_and_saveexec_b64 s[4:5], vcc
	s_cbranch_execz .LBB77_71
; %bb.65:
	buffer_load_dword v13, off, s[20:23], 0 offset:112 ; 4-byte Folded Reload
	buffer_load_dword v14, off, s[20:23], 0 offset:116 ; 4-byte Folded Reload
	;; [unrolled: 1-line block ×4, first 2 shown]
	s_waitcnt vmcnt(0)
	ds_write2_b64 v0, v[13:14], v[15:16] offset1:1
	buffer_load_dword v13, off, s[20:23], 0 offset:96 ; 4-byte Folded Reload
	buffer_load_dword v14, off, s[20:23], 0 offset:100 ; 4-byte Folded Reload
	;; [unrolled: 1-line block ×4, first 2 shown]
	s_waitcnt vmcnt(0)
	ds_write2_b64 v125, v[13:14], v[15:16] offset0:16 offset1:17
	ds_write2_b64 v125, v[93:94], v[95:96] offset0:18 offset1:19
	;; [unrolled: 1-line block ×7, first 2 shown]
	buffer_load_dword v81, off, s[20:23], 0 offset:80 ; 4-byte Folded Reload
	buffer_load_dword v82, off, s[20:23], 0 offset:84 ; 4-byte Folded Reload
	buffer_load_dword v83, off, s[20:23], 0 offset:88 ; 4-byte Folded Reload
	buffer_load_dword v84, off, s[20:23], 0 offset:92 ; 4-byte Folded Reload
	s_waitcnt vmcnt(0)
	ds_write2_b64 v125, v[81:82], v[83:84] offset0:30 offset1:31
	buffer_load_dword v13, off, s[20:23], 0 offset:64 ; 4-byte Folded Reload
	buffer_load_dword v14, off, s[20:23], 0 offset:68 ; 4-byte Folded Reload
	buffer_load_dword v15, off, s[20:23], 0 offset:72 ; 4-byte Folded Reload
	buffer_load_dword v16, off, s[20:23], 0 offset:76 ; 4-byte Folded Reload
	s_waitcnt vmcnt(0)
	ds_write2_b64 v125, v[13:14], v[15:16] offset0:32 offset1:33
	;; [unrolled: 6-line block ×4, first 2 shown]
	ds_write2_b64 v125, v[73:74], v[75:76] offset0:38 offset1:39
	ds_write2_b64 v125, v[69:70], v[71:72] offset0:40 offset1:41
	;; [unrolled: 1-line block ×15, first 2 shown]
	buffer_load_dword v13, off, s[20:23], 0 ; 4-byte Folded Reload
	buffer_load_dword v14, off, s[20:23], 0 offset:4 ; 4-byte Folded Reload
	buffer_load_dword v15, off, s[20:23], 0 offset:8 ; 4-byte Folded Reload
	buffer_load_dword v16, off, s[20:23], 0 offset:12 ; 4-byte Folded Reload
	s_waitcnt vmcnt(0)
	ds_write2_b64 v125, v[13:14], v[15:16] offset0:68 offset1:69
	ds_write2_b64 v125, v[9:10], v[11:12] offset0:70 offset1:71
	;; [unrolled: 1-line block ×4, first 2 shown]
	buffer_load_dword v13, off, s[20:23], 0 offset:48 ; 4-byte Folded Reload
	buffer_load_dword v14, off, s[20:23], 0 offset:52 ; 4-byte Folded Reload
	;; [unrolled: 1-line block ×4, first 2 shown]
	s_waitcnt vmcnt(0)
	ds_write2_b64 v125, v[13:14], v[15:16] offset0:76 offset1:77
	ds_read2_b64 v[97:100], v0 offset1:1
	s_waitcnt lgkmcnt(0)
	v_cmp_neq_f64_e32 vcc, 0, v[97:98]
	v_cmp_neq_f64_e64 s[2:3], 0, v[99:100]
	s_or_b64 s[2:3], vcc, s[2:3]
	s_and_b64 exec, exec, s[2:3]
	s_cbranch_execz .LBB77_71
; %bb.66:
	v_cmp_ngt_f64_e64 s[2:3], |v[97:98]|, |v[99:100]|
                                        ; implicit-def: $vgpr101_vgpr102
	s_and_saveexec_b64 s[6:7], s[2:3]
	s_xor_b64 s[2:3], exec, s[6:7]
                                        ; implicit-def: $vgpr103_vgpr104
	s_cbranch_execz .LBB77_68
; %bb.67:
	v_div_scale_f64 v[101:102], s[6:7], v[99:100], v[99:100], v[97:98]
	v_rcp_f64_e32 v[103:104], v[101:102]
	v_fma_f64 v[105:106], -v[101:102], v[103:104], 1.0
	v_fma_f64 v[103:104], v[103:104], v[105:106], v[103:104]
	v_div_scale_f64 v[105:106], vcc, v[97:98], v[99:100], v[97:98]
	v_fma_f64 v[107:108], -v[101:102], v[103:104], 1.0
	v_fma_f64 v[103:104], v[103:104], v[107:108], v[103:104]
	v_mul_f64 v[107:108], v[105:106], v[103:104]
	v_fma_f64 v[101:102], -v[101:102], v[107:108], v[105:106]
	v_div_fmas_f64 v[101:102], v[101:102], v[103:104], v[107:108]
	v_div_fixup_f64 v[101:102], v[101:102], v[99:100], v[97:98]
	v_fma_f64 v[97:98], v[97:98], v[101:102], v[99:100]
	v_div_scale_f64 v[99:100], s[6:7], v[97:98], v[97:98], 1.0
	v_div_scale_f64 v[107:108], vcc, 1.0, v[97:98], 1.0
	v_rcp_f64_e32 v[103:104], v[99:100]
	v_fma_f64 v[105:106], -v[99:100], v[103:104], 1.0
	v_fma_f64 v[103:104], v[103:104], v[105:106], v[103:104]
	v_fma_f64 v[105:106], -v[99:100], v[103:104], 1.0
	v_fma_f64 v[103:104], v[103:104], v[105:106], v[103:104]
	v_mul_f64 v[105:106], v[107:108], v[103:104]
	v_fma_f64 v[99:100], -v[99:100], v[105:106], v[107:108]
	v_div_fmas_f64 v[99:100], v[99:100], v[103:104], v[105:106]
	v_div_fixup_f64 v[103:104], v[99:100], v[97:98], 1.0
                                        ; implicit-def: $vgpr97_vgpr98
	v_mul_f64 v[101:102], v[101:102], v[103:104]
	v_xor_b32_e32 v104, 0x80000000, v104
.LBB77_68:
	s_andn2_saveexec_b64 s[2:3], s[2:3]
	s_cbranch_execz .LBB77_70
; %bb.69:
	v_div_scale_f64 v[101:102], s[6:7], v[97:98], v[97:98], v[99:100]
	v_rcp_f64_e32 v[103:104], v[101:102]
	v_fma_f64 v[105:106], -v[101:102], v[103:104], 1.0
	v_fma_f64 v[103:104], v[103:104], v[105:106], v[103:104]
	v_div_scale_f64 v[105:106], vcc, v[99:100], v[97:98], v[99:100]
	v_fma_f64 v[107:108], -v[101:102], v[103:104], 1.0
	v_fma_f64 v[103:104], v[103:104], v[107:108], v[103:104]
	v_mul_f64 v[107:108], v[105:106], v[103:104]
	v_fma_f64 v[101:102], -v[101:102], v[107:108], v[105:106]
	v_div_fmas_f64 v[101:102], v[101:102], v[103:104], v[107:108]
	v_div_fixup_f64 v[103:104], v[101:102], v[97:98], v[99:100]
	v_fma_f64 v[97:98], v[99:100], v[103:104], v[97:98]
	v_div_scale_f64 v[99:100], s[6:7], v[97:98], v[97:98], 1.0
	v_div_scale_f64 v[107:108], vcc, 1.0, v[97:98], 1.0
	v_rcp_f64_e32 v[101:102], v[99:100]
	v_fma_f64 v[105:106], -v[99:100], v[101:102], 1.0
	v_fma_f64 v[101:102], v[101:102], v[105:106], v[101:102]
	v_fma_f64 v[105:106], -v[99:100], v[101:102], 1.0
	v_fma_f64 v[101:102], v[101:102], v[105:106], v[101:102]
	v_mul_f64 v[105:106], v[107:108], v[101:102]
	v_fma_f64 v[99:100], -v[99:100], v[105:106], v[107:108]
	v_div_fmas_f64 v[99:100], v[99:100], v[101:102], v[105:106]
	v_div_fixup_f64 v[101:102], v[99:100], v[97:98], 1.0
	v_mul_f64 v[103:104], v[103:104], -v[101:102]
.LBB77_70:
	s_or_b64 exec, exec, s[2:3]
	ds_write2_b64 v0, v[101:102], v[103:104] offset1:1
.LBB77_71:
	s_or_b64 exec, exec, s[4:5]
	s_waitcnt lgkmcnt(0)
	s_barrier
	ds_read2_b64 v[13:16], v0 offset1:1
	v_cmp_lt_u32_e32 vcc, 7, v127
	s_waitcnt lgkmcnt(0)
	buffer_store_dword v13, off, s[20:23], 0 offset:716 ; 4-byte Folded Spill
	s_nop 0
	buffer_store_dword v14, off, s[20:23], 0 offset:720 ; 4-byte Folded Spill
	buffer_store_dword v15, off, s[20:23], 0 offset:724 ; 4-byte Folded Spill
	buffer_store_dword v16, off, s[20:23], 0 offset:728 ; 4-byte Folded Spill
	s_and_saveexec_b64 s[2:3], vcc
	s_cbranch_execz .LBB77_73
; %bb.72:
	buffer_load_dword v103, off, s[20:23], 0 offset:112 ; 4-byte Folded Reload
	buffer_load_dword v104, off, s[20:23], 0 offset:116 ; 4-byte Folded Reload
	buffer_load_dword v105, off, s[20:23], 0 offset:120 ; 4-byte Folded Reload
	buffer_load_dword v106, off, s[20:23], 0 offset:124 ; 4-byte Folded Reload
	buffer_load_dword v13, off, s[20:23], 0 offset:716 ; 4-byte Folded Reload
	buffer_load_dword v14, off, s[20:23], 0 offset:720 ; 4-byte Folded Reload
	buffer_load_dword v15, off, s[20:23], 0 offset:724 ; 4-byte Folded Reload
	buffer_load_dword v16, off, s[20:23], 0 offset:728 ; 4-byte Folded Reload
	s_waitcnt vmcnt(2)
	v_mul_f64 v[99:100], v[13:14], v[105:106]
	s_waitcnt vmcnt(0)
	v_mul_f64 v[97:98], v[15:16], v[105:106]
	v_fma_f64 v[105:106], v[15:16], v[103:104], v[99:100]
	ds_read2_b64 v[99:102], v125 offset0:16 offset1:17
	v_fma_f64 v[97:98], v[13:14], v[103:104], -v[97:98]
	buffer_load_dword v13, off, s[20:23], 0 offset:96 ; 4-byte Folded Reload
	buffer_load_dword v14, off, s[20:23], 0 offset:100 ; 4-byte Folded Reload
	;; [unrolled: 1-line block ×4, first 2 shown]
	s_waitcnt lgkmcnt(0)
	v_mul_f64 v[103:104], v[101:102], v[105:106]
	v_fma_f64 v[103:104], v[99:100], v[97:98], -v[103:104]
	v_mul_f64 v[99:100], v[99:100], v[105:106]
	v_fma_f64 v[99:100], v[101:102], v[97:98], v[99:100]
	s_waitcnt vmcnt(2)
	v_add_f64 v[13:14], v[13:14], -v[103:104]
	s_waitcnt vmcnt(0)
	v_add_f64 v[15:16], v[15:16], -v[99:100]
	buffer_store_dword v13, off, s[20:23], 0 offset:96 ; 4-byte Folded Spill
	s_nop 0
	buffer_store_dword v14, off, s[20:23], 0 offset:100 ; 4-byte Folded Spill
	buffer_store_dword v15, off, s[20:23], 0 offset:104 ; 4-byte Folded Spill
	;; [unrolled: 1-line block ×3, first 2 shown]
	ds_read2_b64 v[99:102], v125 offset0:18 offset1:19
	s_waitcnt lgkmcnt(0)
	v_mul_f64 v[103:104], v[101:102], v[105:106]
	v_fma_f64 v[103:104], v[99:100], v[97:98], -v[103:104]
	v_mul_f64 v[99:100], v[99:100], v[105:106]
	v_add_f64 v[93:94], v[93:94], -v[103:104]
	v_fma_f64 v[99:100], v[101:102], v[97:98], v[99:100]
	v_add_f64 v[95:96], v[95:96], -v[99:100]
	ds_read2_b64 v[99:102], v125 offset0:20 offset1:21
	s_waitcnt lgkmcnt(0)
	v_mul_f64 v[103:104], v[101:102], v[105:106]
	v_fma_f64 v[103:104], v[99:100], v[97:98], -v[103:104]
	v_mul_f64 v[99:100], v[99:100], v[105:106]
	v_add_f64 v[89:90], v[89:90], -v[103:104]
	v_fma_f64 v[99:100], v[101:102], v[97:98], v[99:100]
	v_add_f64 v[91:92], v[91:92], -v[99:100]
	;; [unrolled: 8-line block ×6, first 2 shown]
	ds_read2_b64 v[99:102], v125 offset0:30 offset1:31
	buffer_load_dword v81, off, s[20:23], 0 offset:80 ; 4-byte Folded Reload
	buffer_load_dword v82, off, s[20:23], 0 offset:84 ; 4-byte Folded Reload
	buffer_load_dword v83, off, s[20:23], 0 offset:88 ; 4-byte Folded Reload
	buffer_load_dword v84, off, s[20:23], 0 offset:92 ; 4-byte Folded Reload
	s_waitcnt lgkmcnt(0)
	v_mul_f64 v[103:104], v[101:102], v[105:106]
	v_fma_f64 v[103:104], v[99:100], v[97:98], -v[103:104]
	v_mul_f64 v[99:100], v[99:100], v[105:106]
	v_fma_f64 v[99:100], v[101:102], v[97:98], v[99:100]
	s_waitcnt vmcnt(2)
	v_add_f64 v[81:82], v[81:82], -v[103:104]
	s_waitcnt vmcnt(0)
	v_add_f64 v[83:84], v[83:84], -v[99:100]
	buffer_store_dword v81, off, s[20:23], 0 offset:80 ; 4-byte Folded Spill
	s_nop 0
	buffer_store_dword v82, off, s[20:23], 0 offset:84 ; 4-byte Folded Spill
	buffer_store_dword v83, off, s[20:23], 0 offset:88 ; 4-byte Folded Spill
	buffer_store_dword v84, off, s[20:23], 0 offset:92 ; 4-byte Folded Spill
	ds_read2_b64 v[99:102], v125 offset0:32 offset1:33
	buffer_load_dword v13, off, s[20:23], 0 offset:64 ; 4-byte Folded Reload
	buffer_load_dword v14, off, s[20:23], 0 offset:68 ; 4-byte Folded Reload
	buffer_load_dword v15, off, s[20:23], 0 offset:72 ; 4-byte Folded Reload
	buffer_load_dword v16, off, s[20:23], 0 offset:76 ; 4-byte Folded Reload
	s_waitcnt lgkmcnt(0)
	v_mul_f64 v[103:104], v[101:102], v[105:106]
	v_fma_f64 v[103:104], v[99:100], v[97:98], -v[103:104]
	v_mul_f64 v[99:100], v[99:100], v[105:106]
	v_fma_f64 v[99:100], v[101:102], v[97:98], v[99:100]
	s_waitcnt vmcnt(2)
	v_add_f64 v[13:14], v[13:14], -v[103:104]
	s_waitcnt vmcnt(0)
	v_add_f64 v[15:16], v[15:16], -v[99:100]
	buffer_store_dword v13, off, s[20:23], 0 offset:64 ; 4-byte Folded Spill
	s_nop 0
	buffer_store_dword v14, off, s[20:23], 0 offset:68 ; 4-byte Folded Spill
	buffer_store_dword v15, off, s[20:23], 0 offset:72 ; 4-byte Folded Spill
	buffer_store_dword v16, off, s[20:23], 0 offset:76 ; 4-byte Folded Spill
	;; [unrolled: 19-line block ×4, first 2 shown]
	ds_read2_b64 v[99:102], v125 offset0:38 offset1:39
	s_waitcnt lgkmcnt(0)
	v_mul_f64 v[103:104], v[101:102], v[105:106]
	v_fma_f64 v[103:104], v[99:100], v[97:98], -v[103:104]
	v_mul_f64 v[99:100], v[99:100], v[105:106]
	v_add_f64 v[73:74], v[73:74], -v[103:104]
	v_fma_f64 v[99:100], v[101:102], v[97:98], v[99:100]
	v_add_f64 v[75:76], v[75:76], -v[99:100]
	ds_read2_b64 v[99:102], v125 offset0:40 offset1:41
	s_waitcnt lgkmcnt(0)
	v_mul_f64 v[103:104], v[101:102], v[105:106]
	v_fma_f64 v[103:104], v[99:100], v[97:98], -v[103:104]
	v_mul_f64 v[99:100], v[99:100], v[105:106]
	v_add_f64 v[69:70], v[69:70], -v[103:104]
	v_fma_f64 v[99:100], v[101:102], v[97:98], v[99:100]
	v_add_f64 v[71:72], v[71:72], -v[99:100]
	;; [unrolled: 8-line block ×15, first 2 shown]
	ds_read2_b64 v[99:102], v125 offset0:68 offset1:69
	buffer_load_dword v13, off, s[20:23], 0 ; 4-byte Folded Reload
	buffer_load_dword v14, off, s[20:23], 0 offset:4 ; 4-byte Folded Reload
	buffer_load_dword v15, off, s[20:23], 0 offset:8 ; 4-byte Folded Reload
	;; [unrolled: 1-line block ×3, first 2 shown]
	s_waitcnt lgkmcnt(0)
	v_mul_f64 v[103:104], v[101:102], v[105:106]
	v_fma_f64 v[103:104], v[99:100], v[97:98], -v[103:104]
	v_mul_f64 v[99:100], v[99:100], v[105:106]
	v_fma_f64 v[99:100], v[101:102], v[97:98], v[99:100]
	s_waitcnt vmcnt(2)
	v_add_f64 v[13:14], v[13:14], -v[103:104]
	s_waitcnt vmcnt(0)
	v_add_f64 v[15:16], v[15:16], -v[99:100]
	buffer_store_dword v13, off, s[20:23], 0 ; 4-byte Folded Spill
	s_nop 0
	buffer_store_dword v14, off, s[20:23], 0 offset:4 ; 4-byte Folded Spill
	buffer_store_dword v15, off, s[20:23], 0 offset:8 ; 4-byte Folded Spill
	;; [unrolled: 1-line block ×3, first 2 shown]
	ds_read2_b64 v[99:102], v125 offset0:70 offset1:71
	s_waitcnt lgkmcnt(0)
	v_mul_f64 v[103:104], v[101:102], v[105:106]
	v_fma_f64 v[103:104], v[99:100], v[97:98], -v[103:104]
	v_mul_f64 v[99:100], v[99:100], v[105:106]
	v_add_f64 v[9:10], v[9:10], -v[103:104]
	v_fma_f64 v[99:100], v[101:102], v[97:98], v[99:100]
	v_add_f64 v[11:12], v[11:12], -v[99:100]
	ds_read2_b64 v[99:102], v125 offset0:72 offset1:73
	s_waitcnt lgkmcnt(0)
	v_mul_f64 v[103:104], v[101:102], v[105:106]
	v_fma_f64 v[103:104], v[99:100], v[97:98], -v[103:104]
	v_mul_f64 v[99:100], v[99:100], v[105:106]
	v_add_f64 v[5:6], v[5:6], -v[103:104]
	v_fma_f64 v[99:100], v[101:102], v[97:98], v[99:100]
	v_add_f64 v[7:8], v[7:8], -v[99:100]
	;; [unrolled: 8-line block ×3, first 2 shown]
	ds_read2_b64 v[99:102], v125 offset0:76 offset1:77
	buffer_load_dword v13, off, s[20:23], 0 offset:48 ; 4-byte Folded Reload
	buffer_load_dword v14, off, s[20:23], 0 offset:52 ; 4-byte Folded Reload
	;; [unrolled: 1-line block ×4, first 2 shown]
	s_waitcnt lgkmcnt(0)
	v_mul_f64 v[103:104], v[101:102], v[105:106]
	v_fma_f64 v[103:104], v[99:100], v[97:98], -v[103:104]
	v_mul_f64 v[99:100], v[99:100], v[105:106]
	v_fma_f64 v[99:100], v[101:102], v[97:98], v[99:100]
	s_waitcnt vmcnt(2)
	v_add_f64 v[13:14], v[13:14], -v[103:104]
	v_mov_b32_e32 v104, v98
	s_waitcnt vmcnt(0)
	v_add_f64 v[15:16], v[15:16], -v[99:100]
	v_mov_b32_e32 v103, v97
	buffer_store_dword v13, off, s[20:23], 0 offset:48 ; 4-byte Folded Spill
	s_nop 0
	buffer_store_dword v14, off, s[20:23], 0 offset:52 ; 4-byte Folded Spill
	buffer_store_dword v15, off, s[20:23], 0 offset:56 ; 4-byte Folded Spill
	;; [unrolled: 1-line block ×4, first 2 shown]
	s_nop 0
	buffer_store_dword v104, off, s[20:23], 0 offset:116 ; 4-byte Folded Spill
	buffer_store_dword v105, off, s[20:23], 0 offset:120 ; 4-byte Folded Spill
	;; [unrolled: 1-line block ×3, first 2 shown]
.LBB77_73:
	s_or_b64 exec, exec, s[2:3]
	v_cmp_eq_u32_e32 vcc, 8, v127
	s_waitcnt vmcnt(0)
	s_barrier
	s_and_saveexec_b64 s[4:5], vcc
	s_cbranch_execz .LBB77_80
; %bb.74:
	buffer_load_dword v13, off, s[20:23], 0 offset:96 ; 4-byte Folded Reload
	buffer_load_dword v14, off, s[20:23], 0 offset:100 ; 4-byte Folded Reload
	;; [unrolled: 1-line block ×4, first 2 shown]
	s_waitcnt vmcnt(0)
	ds_write2_b64 v0, v[13:14], v[15:16] offset1:1
	ds_write2_b64 v125, v[93:94], v[95:96] offset0:18 offset1:19
	ds_write2_b64 v125, v[89:90], v[91:92] offset0:20 offset1:21
	;; [unrolled: 1-line block ×6, first 2 shown]
	buffer_load_dword v81, off, s[20:23], 0 offset:80 ; 4-byte Folded Reload
	buffer_load_dword v82, off, s[20:23], 0 offset:84 ; 4-byte Folded Reload
	buffer_load_dword v83, off, s[20:23], 0 offset:88 ; 4-byte Folded Reload
	buffer_load_dword v84, off, s[20:23], 0 offset:92 ; 4-byte Folded Reload
	s_waitcnt vmcnt(0)
	ds_write2_b64 v125, v[81:82], v[83:84] offset0:30 offset1:31
	buffer_load_dword v13, off, s[20:23], 0 offset:64 ; 4-byte Folded Reload
	buffer_load_dword v14, off, s[20:23], 0 offset:68 ; 4-byte Folded Reload
	buffer_load_dword v15, off, s[20:23], 0 offset:72 ; 4-byte Folded Reload
	buffer_load_dword v16, off, s[20:23], 0 offset:76 ; 4-byte Folded Reload
	s_waitcnt vmcnt(0)
	ds_write2_b64 v125, v[13:14], v[15:16] offset0:32 offset1:33
	;; [unrolled: 6-line block ×4, first 2 shown]
	ds_write2_b64 v125, v[73:74], v[75:76] offset0:38 offset1:39
	ds_write2_b64 v125, v[69:70], v[71:72] offset0:40 offset1:41
	;; [unrolled: 1-line block ×15, first 2 shown]
	buffer_load_dword v13, off, s[20:23], 0 ; 4-byte Folded Reload
	buffer_load_dword v14, off, s[20:23], 0 offset:4 ; 4-byte Folded Reload
	buffer_load_dword v15, off, s[20:23], 0 offset:8 ; 4-byte Folded Reload
	;; [unrolled: 1-line block ×3, first 2 shown]
	s_waitcnt vmcnt(0)
	ds_write2_b64 v125, v[13:14], v[15:16] offset0:68 offset1:69
	ds_write2_b64 v125, v[9:10], v[11:12] offset0:70 offset1:71
	;; [unrolled: 1-line block ×4, first 2 shown]
	buffer_load_dword v13, off, s[20:23], 0 offset:48 ; 4-byte Folded Reload
	buffer_load_dword v14, off, s[20:23], 0 offset:52 ; 4-byte Folded Reload
	;; [unrolled: 1-line block ×4, first 2 shown]
	s_waitcnt vmcnt(0)
	ds_write2_b64 v125, v[13:14], v[15:16] offset0:76 offset1:77
	ds_read2_b64 v[97:100], v0 offset1:1
	s_waitcnt lgkmcnt(0)
	v_cmp_neq_f64_e32 vcc, 0, v[97:98]
	v_cmp_neq_f64_e64 s[2:3], 0, v[99:100]
	s_or_b64 s[2:3], vcc, s[2:3]
	s_and_b64 exec, exec, s[2:3]
	s_cbranch_execz .LBB77_80
; %bb.75:
	v_cmp_ngt_f64_e64 s[2:3], |v[97:98]|, |v[99:100]|
                                        ; implicit-def: $vgpr101_vgpr102
	s_and_saveexec_b64 s[6:7], s[2:3]
	s_xor_b64 s[2:3], exec, s[6:7]
                                        ; implicit-def: $vgpr103_vgpr104
	s_cbranch_execz .LBB77_77
; %bb.76:
	v_div_scale_f64 v[101:102], s[6:7], v[99:100], v[99:100], v[97:98]
	v_rcp_f64_e32 v[103:104], v[101:102]
	v_fma_f64 v[105:106], -v[101:102], v[103:104], 1.0
	v_fma_f64 v[103:104], v[103:104], v[105:106], v[103:104]
	v_div_scale_f64 v[105:106], vcc, v[97:98], v[99:100], v[97:98]
	v_fma_f64 v[107:108], -v[101:102], v[103:104], 1.0
	v_fma_f64 v[103:104], v[103:104], v[107:108], v[103:104]
	v_mul_f64 v[107:108], v[105:106], v[103:104]
	v_fma_f64 v[101:102], -v[101:102], v[107:108], v[105:106]
	v_div_fmas_f64 v[101:102], v[101:102], v[103:104], v[107:108]
	v_div_fixup_f64 v[101:102], v[101:102], v[99:100], v[97:98]
	v_fma_f64 v[97:98], v[97:98], v[101:102], v[99:100]
	v_div_scale_f64 v[99:100], s[6:7], v[97:98], v[97:98], 1.0
	v_div_scale_f64 v[107:108], vcc, 1.0, v[97:98], 1.0
	v_rcp_f64_e32 v[103:104], v[99:100]
	v_fma_f64 v[105:106], -v[99:100], v[103:104], 1.0
	v_fma_f64 v[103:104], v[103:104], v[105:106], v[103:104]
	v_fma_f64 v[105:106], -v[99:100], v[103:104], 1.0
	v_fma_f64 v[103:104], v[103:104], v[105:106], v[103:104]
	v_mul_f64 v[105:106], v[107:108], v[103:104]
	v_fma_f64 v[99:100], -v[99:100], v[105:106], v[107:108]
	v_div_fmas_f64 v[99:100], v[99:100], v[103:104], v[105:106]
	v_div_fixup_f64 v[103:104], v[99:100], v[97:98], 1.0
                                        ; implicit-def: $vgpr97_vgpr98
	v_mul_f64 v[101:102], v[101:102], v[103:104]
	v_xor_b32_e32 v104, 0x80000000, v104
.LBB77_77:
	s_andn2_saveexec_b64 s[2:3], s[2:3]
	s_cbranch_execz .LBB77_79
; %bb.78:
	v_div_scale_f64 v[101:102], s[6:7], v[97:98], v[97:98], v[99:100]
	v_rcp_f64_e32 v[103:104], v[101:102]
	v_fma_f64 v[105:106], -v[101:102], v[103:104], 1.0
	v_fma_f64 v[103:104], v[103:104], v[105:106], v[103:104]
	v_div_scale_f64 v[105:106], vcc, v[99:100], v[97:98], v[99:100]
	v_fma_f64 v[107:108], -v[101:102], v[103:104], 1.0
	v_fma_f64 v[103:104], v[103:104], v[107:108], v[103:104]
	v_mul_f64 v[107:108], v[105:106], v[103:104]
	v_fma_f64 v[101:102], -v[101:102], v[107:108], v[105:106]
	v_div_fmas_f64 v[101:102], v[101:102], v[103:104], v[107:108]
	v_div_fixup_f64 v[103:104], v[101:102], v[97:98], v[99:100]
	v_fma_f64 v[97:98], v[99:100], v[103:104], v[97:98]
	v_div_scale_f64 v[99:100], s[6:7], v[97:98], v[97:98], 1.0
	v_div_scale_f64 v[107:108], vcc, 1.0, v[97:98], 1.0
	v_rcp_f64_e32 v[101:102], v[99:100]
	v_fma_f64 v[105:106], -v[99:100], v[101:102], 1.0
	v_fma_f64 v[101:102], v[101:102], v[105:106], v[101:102]
	v_fma_f64 v[105:106], -v[99:100], v[101:102], 1.0
	v_fma_f64 v[101:102], v[101:102], v[105:106], v[101:102]
	v_mul_f64 v[105:106], v[107:108], v[101:102]
	v_fma_f64 v[99:100], -v[99:100], v[105:106], v[107:108]
	v_div_fmas_f64 v[99:100], v[99:100], v[101:102], v[105:106]
	v_div_fixup_f64 v[101:102], v[99:100], v[97:98], 1.0
	v_mul_f64 v[103:104], v[103:104], -v[101:102]
.LBB77_79:
	s_or_b64 exec, exec, s[2:3]
	ds_write2_b64 v0, v[101:102], v[103:104] offset1:1
.LBB77_80:
	s_or_b64 exec, exec, s[4:5]
	s_waitcnt lgkmcnt(0)
	s_barrier
	ds_read2_b64 v[13:16], v0 offset1:1
	v_cmp_lt_u32_e32 vcc, 8, v127
	s_waitcnt lgkmcnt(0)
	buffer_store_dword v13, off, s[20:23], 0 offset:732 ; 4-byte Folded Spill
	s_nop 0
	buffer_store_dword v14, off, s[20:23], 0 offset:736 ; 4-byte Folded Spill
	buffer_store_dword v15, off, s[20:23], 0 offset:740 ; 4-byte Folded Spill
	;; [unrolled: 1-line block ×3, first 2 shown]
	s_and_saveexec_b64 s[2:3], vcc
	s_cbranch_execz .LBB77_82
; %bb.81:
	buffer_load_dword v103, off, s[20:23], 0 offset:96 ; 4-byte Folded Reload
	buffer_load_dword v104, off, s[20:23], 0 offset:100 ; 4-byte Folded Reload
	buffer_load_dword v105, off, s[20:23], 0 offset:104 ; 4-byte Folded Reload
	buffer_load_dword v106, off, s[20:23], 0 offset:108 ; 4-byte Folded Reload
	buffer_load_dword v13, off, s[20:23], 0 offset:732 ; 4-byte Folded Reload
	buffer_load_dword v14, off, s[20:23], 0 offset:736 ; 4-byte Folded Reload
	buffer_load_dword v15, off, s[20:23], 0 offset:740 ; 4-byte Folded Reload
	buffer_load_dword v16, off, s[20:23], 0 offset:744 ; 4-byte Folded Reload
	s_waitcnt vmcnt(2)
	v_mul_f64 v[99:100], v[13:14], v[105:106]
	s_waitcnt vmcnt(0)
	v_mul_f64 v[97:98], v[15:16], v[105:106]
	v_fma_f64 v[105:106], v[15:16], v[103:104], v[99:100]
	ds_read2_b64 v[99:102], v125 offset0:18 offset1:19
	v_fma_f64 v[97:98], v[13:14], v[103:104], -v[97:98]
	s_waitcnt lgkmcnt(0)
	v_mul_f64 v[103:104], v[101:102], v[105:106]
	v_fma_f64 v[103:104], v[99:100], v[97:98], -v[103:104]
	v_mul_f64 v[99:100], v[99:100], v[105:106]
	v_add_f64 v[93:94], v[93:94], -v[103:104]
	v_fma_f64 v[99:100], v[101:102], v[97:98], v[99:100]
	v_add_f64 v[95:96], v[95:96], -v[99:100]
	ds_read2_b64 v[99:102], v125 offset0:20 offset1:21
	s_waitcnt lgkmcnt(0)
	v_mul_f64 v[103:104], v[101:102], v[105:106]
	v_fma_f64 v[103:104], v[99:100], v[97:98], -v[103:104]
	v_mul_f64 v[99:100], v[99:100], v[105:106]
	v_add_f64 v[89:90], v[89:90], -v[103:104]
	v_fma_f64 v[99:100], v[101:102], v[97:98], v[99:100]
	v_add_f64 v[91:92], v[91:92], -v[99:100]
	ds_read2_b64 v[99:102], v125 offset0:22 offset1:23
	;; [unrolled: 8-line block ×6, first 2 shown]
	buffer_load_dword v81, off, s[20:23], 0 offset:80 ; 4-byte Folded Reload
	buffer_load_dword v82, off, s[20:23], 0 offset:84 ; 4-byte Folded Reload
	buffer_load_dword v83, off, s[20:23], 0 offset:88 ; 4-byte Folded Reload
	buffer_load_dword v84, off, s[20:23], 0 offset:92 ; 4-byte Folded Reload
	s_waitcnt lgkmcnt(0)
	v_mul_f64 v[103:104], v[101:102], v[105:106]
	v_fma_f64 v[103:104], v[99:100], v[97:98], -v[103:104]
	v_mul_f64 v[99:100], v[99:100], v[105:106]
	v_fma_f64 v[99:100], v[101:102], v[97:98], v[99:100]
	s_waitcnt vmcnt(2)
	v_add_f64 v[81:82], v[81:82], -v[103:104]
	s_waitcnt vmcnt(0)
	v_add_f64 v[83:84], v[83:84], -v[99:100]
	buffer_store_dword v81, off, s[20:23], 0 offset:80 ; 4-byte Folded Spill
	s_nop 0
	buffer_store_dword v82, off, s[20:23], 0 offset:84 ; 4-byte Folded Spill
	buffer_store_dword v83, off, s[20:23], 0 offset:88 ; 4-byte Folded Spill
	buffer_store_dword v84, off, s[20:23], 0 offset:92 ; 4-byte Folded Spill
	ds_read2_b64 v[99:102], v125 offset0:32 offset1:33
	buffer_load_dword v13, off, s[20:23], 0 offset:64 ; 4-byte Folded Reload
	buffer_load_dword v14, off, s[20:23], 0 offset:68 ; 4-byte Folded Reload
	buffer_load_dword v15, off, s[20:23], 0 offset:72 ; 4-byte Folded Reload
	buffer_load_dword v16, off, s[20:23], 0 offset:76 ; 4-byte Folded Reload
	s_waitcnt lgkmcnt(0)
	v_mul_f64 v[103:104], v[101:102], v[105:106]
	v_fma_f64 v[103:104], v[99:100], v[97:98], -v[103:104]
	v_mul_f64 v[99:100], v[99:100], v[105:106]
	v_fma_f64 v[99:100], v[101:102], v[97:98], v[99:100]
	s_waitcnt vmcnt(2)
	v_add_f64 v[13:14], v[13:14], -v[103:104]
	s_waitcnt vmcnt(0)
	v_add_f64 v[15:16], v[15:16], -v[99:100]
	buffer_store_dword v13, off, s[20:23], 0 offset:64 ; 4-byte Folded Spill
	s_nop 0
	buffer_store_dword v14, off, s[20:23], 0 offset:68 ; 4-byte Folded Spill
	buffer_store_dword v15, off, s[20:23], 0 offset:72 ; 4-byte Folded Spill
	buffer_store_dword v16, off, s[20:23], 0 offset:76 ; 4-byte Folded Spill
	ds_read2_b64 v[99:102], v125 offset0:34 offset1:35
	;; [unrolled: 19-line block ×4, first 2 shown]
	s_waitcnt lgkmcnt(0)
	v_mul_f64 v[103:104], v[101:102], v[105:106]
	v_fma_f64 v[103:104], v[99:100], v[97:98], -v[103:104]
	v_mul_f64 v[99:100], v[99:100], v[105:106]
	v_add_f64 v[73:74], v[73:74], -v[103:104]
	v_fma_f64 v[99:100], v[101:102], v[97:98], v[99:100]
	v_add_f64 v[75:76], v[75:76], -v[99:100]
	ds_read2_b64 v[99:102], v125 offset0:40 offset1:41
	s_waitcnt lgkmcnt(0)
	v_mul_f64 v[103:104], v[101:102], v[105:106]
	v_fma_f64 v[103:104], v[99:100], v[97:98], -v[103:104]
	v_mul_f64 v[99:100], v[99:100], v[105:106]
	v_add_f64 v[69:70], v[69:70], -v[103:104]
	v_fma_f64 v[99:100], v[101:102], v[97:98], v[99:100]
	v_add_f64 v[71:72], v[71:72], -v[99:100]
	ds_read2_b64 v[99:102], v125 offset0:42 offset1:43
	;; [unrolled: 8-line block ×15, first 2 shown]
	buffer_load_dword v13, off, s[20:23], 0 ; 4-byte Folded Reload
	buffer_load_dword v14, off, s[20:23], 0 offset:4 ; 4-byte Folded Reload
	buffer_load_dword v15, off, s[20:23], 0 offset:8 ; 4-byte Folded Reload
	;; [unrolled: 1-line block ×3, first 2 shown]
	s_waitcnt lgkmcnt(0)
	v_mul_f64 v[103:104], v[101:102], v[105:106]
	v_fma_f64 v[103:104], v[99:100], v[97:98], -v[103:104]
	v_mul_f64 v[99:100], v[99:100], v[105:106]
	v_fma_f64 v[99:100], v[101:102], v[97:98], v[99:100]
	s_waitcnt vmcnt(2)
	v_add_f64 v[13:14], v[13:14], -v[103:104]
	s_waitcnt vmcnt(0)
	v_add_f64 v[15:16], v[15:16], -v[99:100]
	buffer_store_dword v13, off, s[20:23], 0 ; 4-byte Folded Spill
	s_nop 0
	buffer_store_dword v14, off, s[20:23], 0 offset:4 ; 4-byte Folded Spill
	buffer_store_dword v15, off, s[20:23], 0 offset:8 ; 4-byte Folded Spill
	;; [unrolled: 1-line block ×3, first 2 shown]
	ds_read2_b64 v[99:102], v125 offset0:70 offset1:71
	s_waitcnt lgkmcnt(0)
	v_mul_f64 v[103:104], v[101:102], v[105:106]
	v_fma_f64 v[103:104], v[99:100], v[97:98], -v[103:104]
	v_mul_f64 v[99:100], v[99:100], v[105:106]
	v_add_f64 v[9:10], v[9:10], -v[103:104]
	v_fma_f64 v[99:100], v[101:102], v[97:98], v[99:100]
	v_add_f64 v[11:12], v[11:12], -v[99:100]
	ds_read2_b64 v[99:102], v125 offset0:72 offset1:73
	s_waitcnt lgkmcnt(0)
	v_mul_f64 v[103:104], v[101:102], v[105:106]
	v_fma_f64 v[103:104], v[99:100], v[97:98], -v[103:104]
	v_mul_f64 v[99:100], v[99:100], v[105:106]
	v_add_f64 v[5:6], v[5:6], -v[103:104]
	v_fma_f64 v[99:100], v[101:102], v[97:98], v[99:100]
	v_add_f64 v[7:8], v[7:8], -v[99:100]
	;; [unrolled: 8-line block ×3, first 2 shown]
	ds_read2_b64 v[99:102], v125 offset0:76 offset1:77
	buffer_load_dword v13, off, s[20:23], 0 offset:48 ; 4-byte Folded Reload
	buffer_load_dword v14, off, s[20:23], 0 offset:52 ; 4-byte Folded Reload
	;; [unrolled: 1-line block ×4, first 2 shown]
	s_waitcnt lgkmcnt(0)
	v_mul_f64 v[103:104], v[101:102], v[105:106]
	v_fma_f64 v[103:104], v[99:100], v[97:98], -v[103:104]
	v_mul_f64 v[99:100], v[99:100], v[105:106]
	v_fma_f64 v[99:100], v[101:102], v[97:98], v[99:100]
	s_waitcnt vmcnt(2)
	v_add_f64 v[13:14], v[13:14], -v[103:104]
	v_mov_b32_e32 v104, v98
	s_waitcnt vmcnt(0)
	v_add_f64 v[15:16], v[15:16], -v[99:100]
	v_mov_b32_e32 v103, v97
	buffer_store_dword v13, off, s[20:23], 0 offset:48 ; 4-byte Folded Spill
	s_nop 0
	buffer_store_dword v14, off, s[20:23], 0 offset:52 ; 4-byte Folded Spill
	buffer_store_dword v15, off, s[20:23], 0 offset:56 ; 4-byte Folded Spill
	;; [unrolled: 1-line block ×4, first 2 shown]
	s_nop 0
	buffer_store_dword v104, off, s[20:23], 0 offset:100 ; 4-byte Folded Spill
	buffer_store_dword v105, off, s[20:23], 0 offset:104 ; 4-byte Folded Spill
	;; [unrolled: 1-line block ×3, first 2 shown]
.LBB77_82:
	s_or_b64 exec, exec, s[2:3]
	v_cmp_eq_u32_e32 vcc, 9, v127
	s_waitcnt vmcnt(0)
	s_barrier
	s_and_saveexec_b64 s[4:5], vcc
	s_cbranch_execz .LBB77_89
; %bb.83:
	ds_write2_b64 v0, v[93:94], v[95:96] offset1:1
	ds_write2_b64 v125, v[89:90], v[91:92] offset0:20 offset1:21
	ds_write2_b64 v125, v[117:118], v[119:120] offset0:22 offset1:23
	;; [unrolled: 1-line block ×5, first 2 shown]
	buffer_load_dword v81, off, s[20:23], 0 offset:80 ; 4-byte Folded Reload
	buffer_load_dword v82, off, s[20:23], 0 offset:84 ; 4-byte Folded Reload
	buffer_load_dword v83, off, s[20:23], 0 offset:88 ; 4-byte Folded Reload
	buffer_load_dword v84, off, s[20:23], 0 offset:92 ; 4-byte Folded Reload
	s_waitcnt vmcnt(0)
	ds_write2_b64 v125, v[81:82], v[83:84] offset0:30 offset1:31
	buffer_load_dword v13, off, s[20:23], 0 offset:64 ; 4-byte Folded Reload
	buffer_load_dword v14, off, s[20:23], 0 offset:68 ; 4-byte Folded Reload
	buffer_load_dword v15, off, s[20:23], 0 offset:72 ; 4-byte Folded Reload
	buffer_load_dword v16, off, s[20:23], 0 offset:76 ; 4-byte Folded Reload
	s_waitcnt vmcnt(0)
	ds_write2_b64 v125, v[13:14], v[15:16] offset0:32 offset1:33
	;; [unrolled: 6-line block ×4, first 2 shown]
	ds_write2_b64 v125, v[73:74], v[75:76] offset0:38 offset1:39
	ds_write2_b64 v125, v[69:70], v[71:72] offset0:40 offset1:41
	;; [unrolled: 1-line block ×15, first 2 shown]
	buffer_load_dword v13, off, s[20:23], 0 ; 4-byte Folded Reload
	buffer_load_dword v14, off, s[20:23], 0 offset:4 ; 4-byte Folded Reload
	buffer_load_dword v15, off, s[20:23], 0 offset:8 ; 4-byte Folded Reload
	;; [unrolled: 1-line block ×3, first 2 shown]
	s_waitcnt vmcnt(0)
	ds_write2_b64 v125, v[13:14], v[15:16] offset0:68 offset1:69
	ds_write2_b64 v125, v[9:10], v[11:12] offset0:70 offset1:71
	;; [unrolled: 1-line block ×4, first 2 shown]
	buffer_load_dword v13, off, s[20:23], 0 offset:48 ; 4-byte Folded Reload
	buffer_load_dword v14, off, s[20:23], 0 offset:52 ; 4-byte Folded Reload
	;; [unrolled: 1-line block ×4, first 2 shown]
	s_waitcnt vmcnt(0)
	ds_write2_b64 v125, v[13:14], v[15:16] offset0:76 offset1:77
	ds_read2_b64 v[97:100], v0 offset1:1
	s_waitcnt lgkmcnt(0)
	v_cmp_neq_f64_e32 vcc, 0, v[97:98]
	v_cmp_neq_f64_e64 s[2:3], 0, v[99:100]
	s_or_b64 s[2:3], vcc, s[2:3]
	s_and_b64 exec, exec, s[2:3]
	s_cbranch_execz .LBB77_89
; %bb.84:
	v_cmp_ngt_f64_e64 s[2:3], |v[97:98]|, |v[99:100]|
                                        ; implicit-def: $vgpr101_vgpr102
	s_and_saveexec_b64 s[6:7], s[2:3]
	s_xor_b64 s[2:3], exec, s[6:7]
                                        ; implicit-def: $vgpr103_vgpr104
	s_cbranch_execz .LBB77_86
; %bb.85:
	v_div_scale_f64 v[101:102], s[6:7], v[99:100], v[99:100], v[97:98]
	v_rcp_f64_e32 v[103:104], v[101:102]
	v_fma_f64 v[105:106], -v[101:102], v[103:104], 1.0
	v_fma_f64 v[103:104], v[103:104], v[105:106], v[103:104]
	v_div_scale_f64 v[105:106], vcc, v[97:98], v[99:100], v[97:98]
	v_fma_f64 v[107:108], -v[101:102], v[103:104], 1.0
	v_fma_f64 v[103:104], v[103:104], v[107:108], v[103:104]
	v_mul_f64 v[107:108], v[105:106], v[103:104]
	v_fma_f64 v[101:102], -v[101:102], v[107:108], v[105:106]
	v_div_fmas_f64 v[101:102], v[101:102], v[103:104], v[107:108]
	v_div_fixup_f64 v[101:102], v[101:102], v[99:100], v[97:98]
	v_fma_f64 v[97:98], v[97:98], v[101:102], v[99:100]
	v_div_scale_f64 v[99:100], s[6:7], v[97:98], v[97:98], 1.0
	v_div_scale_f64 v[107:108], vcc, 1.0, v[97:98], 1.0
	v_rcp_f64_e32 v[103:104], v[99:100]
	v_fma_f64 v[105:106], -v[99:100], v[103:104], 1.0
	v_fma_f64 v[103:104], v[103:104], v[105:106], v[103:104]
	v_fma_f64 v[105:106], -v[99:100], v[103:104], 1.0
	v_fma_f64 v[103:104], v[103:104], v[105:106], v[103:104]
	v_mul_f64 v[105:106], v[107:108], v[103:104]
	v_fma_f64 v[99:100], -v[99:100], v[105:106], v[107:108]
	v_div_fmas_f64 v[99:100], v[99:100], v[103:104], v[105:106]
	v_div_fixup_f64 v[103:104], v[99:100], v[97:98], 1.0
                                        ; implicit-def: $vgpr97_vgpr98
	v_mul_f64 v[101:102], v[101:102], v[103:104]
	v_xor_b32_e32 v104, 0x80000000, v104
.LBB77_86:
	s_andn2_saveexec_b64 s[2:3], s[2:3]
	s_cbranch_execz .LBB77_88
; %bb.87:
	v_div_scale_f64 v[101:102], s[6:7], v[97:98], v[97:98], v[99:100]
	v_rcp_f64_e32 v[103:104], v[101:102]
	v_fma_f64 v[105:106], -v[101:102], v[103:104], 1.0
	v_fma_f64 v[103:104], v[103:104], v[105:106], v[103:104]
	v_div_scale_f64 v[105:106], vcc, v[99:100], v[97:98], v[99:100]
	v_fma_f64 v[107:108], -v[101:102], v[103:104], 1.0
	v_fma_f64 v[103:104], v[103:104], v[107:108], v[103:104]
	v_mul_f64 v[107:108], v[105:106], v[103:104]
	v_fma_f64 v[101:102], -v[101:102], v[107:108], v[105:106]
	v_div_fmas_f64 v[101:102], v[101:102], v[103:104], v[107:108]
	v_div_fixup_f64 v[103:104], v[101:102], v[97:98], v[99:100]
	v_fma_f64 v[97:98], v[99:100], v[103:104], v[97:98]
	v_div_scale_f64 v[99:100], s[6:7], v[97:98], v[97:98], 1.0
	v_div_scale_f64 v[107:108], vcc, 1.0, v[97:98], 1.0
	v_rcp_f64_e32 v[101:102], v[99:100]
	v_fma_f64 v[105:106], -v[99:100], v[101:102], 1.0
	v_fma_f64 v[101:102], v[101:102], v[105:106], v[101:102]
	v_fma_f64 v[105:106], -v[99:100], v[101:102], 1.0
	v_fma_f64 v[101:102], v[101:102], v[105:106], v[101:102]
	v_mul_f64 v[105:106], v[107:108], v[101:102]
	v_fma_f64 v[99:100], -v[99:100], v[105:106], v[107:108]
	v_div_fmas_f64 v[99:100], v[99:100], v[101:102], v[105:106]
	v_div_fixup_f64 v[101:102], v[99:100], v[97:98], 1.0
	v_mul_f64 v[103:104], v[103:104], -v[101:102]
.LBB77_88:
	s_or_b64 exec, exec, s[2:3]
	ds_write2_b64 v0, v[101:102], v[103:104] offset1:1
.LBB77_89:
	s_or_b64 exec, exec, s[4:5]
	s_waitcnt lgkmcnt(0)
	s_barrier
	ds_read2_b64 v[13:16], v0 offset1:1
	v_cmp_lt_u32_e32 vcc, 9, v127
	s_waitcnt lgkmcnt(0)
	buffer_store_dword v13, off, s[20:23], 0 offset:748 ; 4-byte Folded Spill
	s_nop 0
	buffer_store_dword v14, off, s[20:23], 0 offset:752 ; 4-byte Folded Spill
	buffer_store_dword v15, off, s[20:23], 0 offset:756 ; 4-byte Folded Spill
	;; [unrolled: 1-line block ×3, first 2 shown]
	s_and_saveexec_b64 s[2:3], vcc
	s_cbranch_execz .LBB77_91
; %bb.90:
	buffer_load_dword v13, off, s[20:23], 0 offset:748 ; 4-byte Folded Reload
	buffer_load_dword v14, off, s[20:23], 0 offset:752 ; 4-byte Folded Reload
	buffer_load_dword v15, off, s[20:23], 0 offset:756 ; 4-byte Folded Reload
	buffer_load_dword v16, off, s[20:23], 0 offset:760 ; 4-byte Folded Reload
	s_waitcnt vmcnt(2)
	v_mul_f64 v[99:100], v[13:14], v[95:96]
	s_waitcnt vmcnt(0)
	v_mul_f64 v[97:98], v[15:16], v[95:96]
	v_fma_f64 v[95:96], v[15:16], v[93:94], v[99:100]
	ds_read2_b64 v[99:102], v125 offset0:20 offset1:21
	v_fma_f64 v[97:98], v[13:14], v[93:94], -v[97:98]
	s_waitcnt lgkmcnt(0)
	v_mul_f64 v[103:104], v[101:102], v[95:96]
	v_mov_b32_e32 v93, v97
	v_mov_b32_e32 v94, v98
	v_fma_f64 v[103:104], v[99:100], v[97:98], -v[103:104]
	v_mul_f64 v[99:100], v[99:100], v[95:96]
	v_add_f64 v[89:90], v[89:90], -v[103:104]
	v_fma_f64 v[99:100], v[101:102], v[97:98], v[99:100]
	v_add_f64 v[91:92], v[91:92], -v[99:100]
	ds_read2_b64 v[99:102], v125 offset0:22 offset1:23
	s_waitcnt lgkmcnt(0)
	v_mul_f64 v[103:104], v[101:102], v[95:96]
	v_fma_f64 v[103:104], v[99:100], v[97:98], -v[103:104]
	v_mul_f64 v[99:100], v[99:100], v[95:96]
	v_add_f64 v[117:118], v[117:118], -v[103:104]
	v_fma_f64 v[99:100], v[101:102], v[97:98], v[99:100]
	v_add_f64 v[119:120], v[119:120], -v[99:100]
	ds_read2_b64 v[99:102], v125 offset0:24 offset1:25
	s_waitcnt lgkmcnt(0)
	v_mul_f64 v[103:104], v[101:102], v[95:96]
	v_fma_f64 v[103:104], v[99:100], v[97:98], -v[103:104]
	v_mul_f64 v[99:100], v[99:100], v[95:96]
	v_add_f64 v[85:86], v[85:86], -v[103:104]
	v_fma_f64 v[99:100], v[101:102], v[97:98], v[99:100]
	v_add_f64 v[87:88], v[87:88], -v[99:100]
	ds_read2_b64 v[99:102], v125 offset0:26 offset1:27
	s_waitcnt lgkmcnt(0)
	v_mul_f64 v[103:104], v[101:102], v[95:96]
	v_fma_f64 v[103:104], v[99:100], v[97:98], -v[103:104]
	v_mul_f64 v[99:100], v[99:100], v[95:96]
	v_add_f64 v[121:122], v[121:122], -v[103:104]
	v_fma_f64 v[99:100], v[101:102], v[97:98], v[99:100]
	v_add_f64 v[123:124], v[123:124], -v[99:100]
	ds_read2_b64 v[99:102], v125 offset0:28 offset1:29
	s_waitcnt lgkmcnt(0)
	v_mul_f64 v[103:104], v[101:102], v[95:96]
	v_fma_f64 v[103:104], v[99:100], v[97:98], -v[103:104]
	v_mul_f64 v[99:100], v[99:100], v[95:96]
	v_add_f64 v[109:110], v[109:110], -v[103:104]
	v_fma_f64 v[99:100], v[101:102], v[97:98], v[99:100]
	v_add_f64 v[111:112], v[111:112], -v[99:100]
	ds_read2_b64 v[99:102], v125 offset0:30 offset1:31
	buffer_load_dword v81, off, s[20:23], 0 offset:80 ; 4-byte Folded Reload
	buffer_load_dword v82, off, s[20:23], 0 offset:84 ; 4-byte Folded Reload
	buffer_load_dword v83, off, s[20:23], 0 offset:88 ; 4-byte Folded Reload
	buffer_load_dword v84, off, s[20:23], 0 offset:92 ; 4-byte Folded Reload
	s_waitcnt lgkmcnt(0)
	v_mul_f64 v[103:104], v[101:102], v[95:96]
	v_fma_f64 v[103:104], v[99:100], v[97:98], -v[103:104]
	v_mul_f64 v[99:100], v[99:100], v[95:96]
	v_fma_f64 v[99:100], v[101:102], v[97:98], v[99:100]
	s_waitcnt vmcnt(2)
	v_add_f64 v[81:82], v[81:82], -v[103:104]
	s_waitcnt vmcnt(0)
	v_add_f64 v[83:84], v[83:84], -v[99:100]
	buffer_store_dword v81, off, s[20:23], 0 offset:80 ; 4-byte Folded Spill
	s_nop 0
	buffer_store_dword v82, off, s[20:23], 0 offset:84 ; 4-byte Folded Spill
	buffer_store_dword v83, off, s[20:23], 0 offset:88 ; 4-byte Folded Spill
	buffer_store_dword v84, off, s[20:23], 0 offset:92 ; 4-byte Folded Spill
	ds_read2_b64 v[99:102], v125 offset0:32 offset1:33
	buffer_load_dword v13, off, s[20:23], 0 offset:64 ; 4-byte Folded Reload
	buffer_load_dword v14, off, s[20:23], 0 offset:68 ; 4-byte Folded Reload
	buffer_load_dword v15, off, s[20:23], 0 offset:72 ; 4-byte Folded Reload
	buffer_load_dword v16, off, s[20:23], 0 offset:76 ; 4-byte Folded Reload
	s_waitcnt lgkmcnt(0)
	v_mul_f64 v[103:104], v[101:102], v[95:96]
	v_fma_f64 v[103:104], v[99:100], v[97:98], -v[103:104]
	v_mul_f64 v[99:100], v[99:100], v[95:96]
	v_fma_f64 v[99:100], v[101:102], v[97:98], v[99:100]
	s_waitcnt vmcnt(2)
	v_add_f64 v[13:14], v[13:14], -v[103:104]
	s_waitcnt vmcnt(0)
	v_add_f64 v[15:16], v[15:16], -v[99:100]
	buffer_store_dword v13, off, s[20:23], 0 offset:64 ; 4-byte Folded Spill
	s_nop 0
	buffer_store_dword v14, off, s[20:23], 0 offset:68 ; 4-byte Folded Spill
	buffer_store_dword v15, off, s[20:23], 0 offset:72 ; 4-byte Folded Spill
	buffer_store_dword v16, off, s[20:23], 0 offset:76 ; 4-byte Folded Spill
	;; [unrolled: 19-line block ×4, first 2 shown]
	ds_read2_b64 v[99:102], v125 offset0:38 offset1:39
	s_waitcnt lgkmcnt(0)
	v_mul_f64 v[103:104], v[101:102], v[95:96]
	v_fma_f64 v[103:104], v[99:100], v[97:98], -v[103:104]
	v_mul_f64 v[99:100], v[99:100], v[95:96]
	v_add_f64 v[73:74], v[73:74], -v[103:104]
	v_fma_f64 v[99:100], v[101:102], v[97:98], v[99:100]
	v_add_f64 v[75:76], v[75:76], -v[99:100]
	ds_read2_b64 v[99:102], v125 offset0:40 offset1:41
	s_waitcnt lgkmcnt(0)
	v_mul_f64 v[103:104], v[101:102], v[95:96]
	v_fma_f64 v[103:104], v[99:100], v[97:98], -v[103:104]
	v_mul_f64 v[99:100], v[99:100], v[95:96]
	v_add_f64 v[69:70], v[69:70], -v[103:104]
	v_fma_f64 v[99:100], v[101:102], v[97:98], v[99:100]
	v_add_f64 v[71:72], v[71:72], -v[99:100]
	;; [unrolled: 8-line block ×15, first 2 shown]
	ds_read2_b64 v[99:102], v125 offset0:68 offset1:69
	buffer_load_dword v13, off, s[20:23], 0 ; 4-byte Folded Reload
	buffer_load_dword v14, off, s[20:23], 0 offset:4 ; 4-byte Folded Reload
	buffer_load_dword v15, off, s[20:23], 0 offset:8 ; 4-byte Folded Reload
	;; [unrolled: 1-line block ×3, first 2 shown]
	s_waitcnt lgkmcnt(0)
	v_mul_f64 v[103:104], v[101:102], v[95:96]
	v_fma_f64 v[103:104], v[99:100], v[97:98], -v[103:104]
	v_mul_f64 v[99:100], v[99:100], v[95:96]
	v_fma_f64 v[99:100], v[101:102], v[97:98], v[99:100]
	s_waitcnt vmcnt(2)
	v_add_f64 v[13:14], v[13:14], -v[103:104]
	s_waitcnt vmcnt(0)
	v_add_f64 v[15:16], v[15:16], -v[99:100]
	buffer_store_dword v13, off, s[20:23], 0 ; 4-byte Folded Spill
	s_nop 0
	buffer_store_dword v14, off, s[20:23], 0 offset:4 ; 4-byte Folded Spill
	buffer_store_dword v15, off, s[20:23], 0 offset:8 ; 4-byte Folded Spill
	;; [unrolled: 1-line block ×3, first 2 shown]
	ds_read2_b64 v[99:102], v125 offset0:70 offset1:71
	s_waitcnt lgkmcnt(0)
	v_mul_f64 v[103:104], v[101:102], v[95:96]
	v_fma_f64 v[103:104], v[99:100], v[97:98], -v[103:104]
	v_mul_f64 v[99:100], v[99:100], v[95:96]
	v_add_f64 v[9:10], v[9:10], -v[103:104]
	v_fma_f64 v[99:100], v[101:102], v[97:98], v[99:100]
	v_add_f64 v[11:12], v[11:12], -v[99:100]
	ds_read2_b64 v[99:102], v125 offset0:72 offset1:73
	s_waitcnt lgkmcnt(0)
	v_mul_f64 v[103:104], v[101:102], v[95:96]
	v_fma_f64 v[103:104], v[99:100], v[97:98], -v[103:104]
	v_mul_f64 v[99:100], v[99:100], v[95:96]
	v_add_f64 v[5:6], v[5:6], -v[103:104]
	v_fma_f64 v[99:100], v[101:102], v[97:98], v[99:100]
	v_add_f64 v[7:8], v[7:8], -v[99:100]
	;; [unrolled: 8-line block ×3, first 2 shown]
	ds_read2_b64 v[99:102], v125 offset0:76 offset1:77
	buffer_load_dword v13, off, s[20:23], 0 offset:48 ; 4-byte Folded Reload
	buffer_load_dword v14, off, s[20:23], 0 offset:52 ; 4-byte Folded Reload
	;; [unrolled: 1-line block ×4, first 2 shown]
	s_waitcnt lgkmcnt(0)
	v_mul_f64 v[103:104], v[101:102], v[95:96]
	v_fma_f64 v[103:104], v[99:100], v[97:98], -v[103:104]
	v_mul_f64 v[99:100], v[99:100], v[95:96]
	v_fma_f64 v[99:100], v[101:102], v[97:98], v[99:100]
	s_waitcnt vmcnt(2)
	v_add_f64 v[13:14], v[13:14], -v[103:104]
	s_waitcnt vmcnt(0)
	v_add_f64 v[15:16], v[15:16], -v[99:100]
	buffer_store_dword v13, off, s[20:23], 0 offset:48 ; 4-byte Folded Spill
	s_nop 0
	buffer_store_dword v14, off, s[20:23], 0 offset:52 ; 4-byte Folded Spill
	buffer_store_dword v15, off, s[20:23], 0 offset:56 ; 4-byte Folded Spill
	;; [unrolled: 1-line block ×3, first 2 shown]
.LBB77_91:
	s_or_b64 exec, exec, s[2:3]
	v_cmp_eq_u32_e32 vcc, 10, v127
	s_waitcnt vmcnt(0)
	s_barrier
	s_and_saveexec_b64 s[4:5], vcc
	s_cbranch_execz .LBB77_98
; %bb.92:
	ds_write2_b64 v0, v[89:90], v[91:92] offset1:1
	ds_write2_b64 v125, v[117:118], v[119:120] offset0:22 offset1:23
	ds_write2_b64 v125, v[85:86], v[87:88] offset0:24 offset1:25
	;; [unrolled: 1-line block ×4, first 2 shown]
	buffer_load_dword v81, off, s[20:23], 0 offset:80 ; 4-byte Folded Reload
	buffer_load_dword v82, off, s[20:23], 0 offset:84 ; 4-byte Folded Reload
	buffer_load_dword v83, off, s[20:23], 0 offset:88 ; 4-byte Folded Reload
	buffer_load_dword v84, off, s[20:23], 0 offset:92 ; 4-byte Folded Reload
	s_waitcnt vmcnt(0)
	ds_write2_b64 v125, v[81:82], v[83:84] offset0:30 offset1:31
	buffer_load_dword v13, off, s[20:23], 0 offset:64 ; 4-byte Folded Reload
	buffer_load_dword v14, off, s[20:23], 0 offset:68 ; 4-byte Folded Reload
	buffer_load_dword v15, off, s[20:23], 0 offset:72 ; 4-byte Folded Reload
	buffer_load_dword v16, off, s[20:23], 0 offset:76 ; 4-byte Folded Reload
	s_waitcnt vmcnt(0)
	ds_write2_b64 v125, v[13:14], v[15:16] offset0:32 offset1:33
	;; [unrolled: 6-line block ×4, first 2 shown]
	ds_write2_b64 v125, v[73:74], v[75:76] offset0:38 offset1:39
	ds_write2_b64 v125, v[69:70], v[71:72] offset0:40 offset1:41
	;; [unrolled: 1-line block ×15, first 2 shown]
	buffer_load_dword v13, off, s[20:23], 0 ; 4-byte Folded Reload
	buffer_load_dword v14, off, s[20:23], 0 offset:4 ; 4-byte Folded Reload
	buffer_load_dword v15, off, s[20:23], 0 offset:8 ; 4-byte Folded Reload
	;; [unrolled: 1-line block ×3, first 2 shown]
	s_waitcnt vmcnt(0)
	ds_write2_b64 v125, v[13:14], v[15:16] offset0:68 offset1:69
	ds_write2_b64 v125, v[9:10], v[11:12] offset0:70 offset1:71
	;; [unrolled: 1-line block ×4, first 2 shown]
	buffer_load_dword v13, off, s[20:23], 0 offset:48 ; 4-byte Folded Reload
	buffer_load_dword v14, off, s[20:23], 0 offset:52 ; 4-byte Folded Reload
	;; [unrolled: 1-line block ×4, first 2 shown]
	s_waitcnt vmcnt(0)
	ds_write2_b64 v125, v[13:14], v[15:16] offset0:76 offset1:77
	ds_read2_b64 v[97:100], v0 offset1:1
	s_waitcnt lgkmcnt(0)
	v_cmp_neq_f64_e32 vcc, 0, v[97:98]
	v_cmp_neq_f64_e64 s[2:3], 0, v[99:100]
	s_or_b64 s[2:3], vcc, s[2:3]
	s_and_b64 exec, exec, s[2:3]
	s_cbranch_execz .LBB77_98
; %bb.93:
	v_cmp_ngt_f64_e64 s[2:3], |v[97:98]|, |v[99:100]|
                                        ; implicit-def: $vgpr101_vgpr102
	s_and_saveexec_b64 s[6:7], s[2:3]
	s_xor_b64 s[2:3], exec, s[6:7]
                                        ; implicit-def: $vgpr103_vgpr104
	s_cbranch_execz .LBB77_95
; %bb.94:
	v_div_scale_f64 v[101:102], s[6:7], v[99:100], v[99:100], v[97:98]
	v_rcp_f64_e32 v[103:104], v[101:102]
	v_fma_f64 v[105:106], -v[101:102], v[103:104], 1.0
	v_fma_f64 v[103:104], v[103:104], v[105:106], v[103:104]
	v_div_scale_f64 v[105:106], vcc, v[97:98], v[99:100], v[97:98]
	v_fma_f64 v[107:108], -v[101:102], v[103:104], 1.0
	v_fma_f64 v[103:104], v[103:104], v[107:108], v[103:104]
	v_mul_f64 v[107:108], v[105:106], v[103:104]
	v_fma_f64 v[101:102], -v[101:102], v[107:108], v[105:106]
	v_div_fmas_f64 v[101:102], v[101:102], v[103:104], v[107:108]
	v_div_fixup_f64 v[101:102], v[101:102], v[99:100], v[97:98]
	v_fma_f64 v[97:98], v[97:98], v[101:102], v[99:100]
	v_div_scale_f64 v[99:100], s[6:7], v[97:98], v[97:98], 1.0
	v_div_scale_f64 v[107:108], vcc, 1.0, v[97:98], 1.0
	v_rcp_f64_e32 v[103:104], v[99:100]
	v_fma_f64 v[105:106], -v[99:100], v[103:104], 1.0
	v_fma_f64 v[103:104], v[103:104], v[105:106], v[103:104]
	v_fma_f64 v[105:106], -v[99:100], v[103:104], 1.0
	v_fma_f64 v[103:104], v[103:104], v[105:106], v[103:104]
	v_mul_f64 v[105:106], v[107:108], v[103:104]
	v_fma_f64 v[99:100], -v[99:100], v[105:106], v[107:108]
	v_div_fmas_f64 v[99:100], v[99:100], v[103:104], v[105:106]
	v_div_fixup_f64 v[103:104], v[99:100], v[97:98], 1.0
                                        ; implicit-def: $vgpr97_vgpr98
	v_mul_f64 v[101:102], v[101:102], v[103:104]
	v_xor_b32_e32 v104, 0x80000000, v104
.LBB77_95:
	s_andn2_saveexec_b64 s[2:3], s[2:3]
	s_cbranch_execz .LBB77_97
; %bb.96:
	v_div_scale_f64 v[101:102], s[6:7], v[97:98], v[97:98], v[99:100]
	v_rcp_f64_e32 v[103:104], v[101:102]
	v_fma_f64 v[105:106], -v[101:102], v[103:104], 1.0
	v_fma_f64 v[103:104], v[103:104], v[105:106], v[103:104]
	v_div_scale_f64 v[105:106], vcc, v[99:100], v[97:98], v[99:100]
	v_fma_f64 v[107:108], -v[101:102], v[103:104], 1.0
	v_fma_f64 v[103:104], v[103:104], v[107:108], v[103:104]
	v_mul_f64 v[107:108], v[105:106], v[103:104]
	v_fma_f64 v[101:102], -v[101:102], v[107:108], v[105:106]
	v_div_fmas_f64 v[101:102], v[101:102], v[103:104], v[107:108]
	v_div_fixup_f64 v[103:104], v[101:102], v[97:98], v[99:100]
	v_fma_f64 v[97:98], v[99:100], v[103:104], v[97:98]
	v_div_scale_f64 v[99:100], s[6:7], v[97:98], v[97:98], 1.0
	v_div_scale_f64 v[107:108], vcc, 1.0, v[97:98], 1.0
	v_rcp_f64_e32 v[101:102], v[99:100]
	v_fma_f64 v[105:106], -v[99:100], v[101:102], 1.0
	v_fma_f64 v[101:102], v[101:102], v[105:106], v[101:102]
	v_fma_f64 v[105:106], -v[99:100], v[101:102], 1.0
	v_fma_f64 v[101:102], v[101:102], v[105:106], v[101:102]
	v_mul_f64 v[105:106], v[107:108], v[101:102]
	v_fma_f64 v[99:100], -v[99:100], v[105:106], v[107:108]
	v_div_fmas_f64 v[99:100], v[99:100], v[101:102], v[105:106]
	v_div_fixup_f64 v[101:102], v[99:100], v[97:98], 1.0
	v_mul_f64 v[103:104], v[103:104], -v[101:102]
.LBB77_97:
	s_or_b64 exec, exec, s[2:3]
	ds_write2_b64 v0, v[101:102], v[103:104] offset1:1
.LBB77_98:
	s_or_b64 exec, exec, s[4:5]
	s_waitcnt lgkmcnt(0)
	s_barrier
	ds_read2_b64 v[13:16], v0 offset1:1
	v_cmp_lt_u32_e32 vcc, 10, v127
	s_waitcnt lgkmcnt(0)
	buffer_store_dword v13, off, s[20:23], 0 offset:764 ; 4-byte Folded Spill
	s_nop 0
	buffer_store_dword v14, off, s[20:23], 0 offset:768 ; 4-byte Folded Spill
	buffer_store_dword v15, off, s[20:23], 0 offset:772 ; 4-byte Folded Spill
	;; [unrolled: 1-line block ×3, first 2 shown]
	s_and_saveexec_b64 s[2:3], vcc
	s_cbranch_execz .LBB77_100
; %bb.99:
	buffer_load_dword v13, off, s[20:23], 0 offset:764 ; 4-byte Folded Reload
	buffer_load_dword v14, off, s[20:23], 0 offset:768 ; 4-byte Folded Reload
	;; [unrolled: 1-line block ×4, first 2 shown]
	s_waitcnt vmcnt(2)
	v_mul_f64 v[99:100], v[13:14], v[91:92]
	s_waitcnt vmcnt(0)
	v_mul_f64 v[97:98], v[15:16], v[91:92]
	v_fma_f64 v[91:92], v[15:16], v[89:90], v[99:100]
	ds_read2_b64 v[99:102], v125 offset0:22 offset1:23
	v_fma_f64 v[97:98], v[13:14], v[89:90], -v[97:98]
	s_waitcnt lgkmcnt(0)
	v_mul_f64 v[103:104], v[101:102], v[91:92]
	v_mov_b32_e32 v89, v97
	v_mov_b32_e32 v90, v98
	v_fma_f64 v[103:104], v[99:100], v[97:98], -v[103:104]
	v_mul_f64 v[99:100], v[99:100], v[91:92]
	v_add_f64 v[117:118], v[117:118], -v[103:104]
	v_fma_f64 v[99:100], v[101:102], v[97:98], v[99:100]
	v_add_f64 v[119:120], v[119:120], -v[99:100]
	ds_read2_b64 v[99:102], v125 offset0:24 offset1:25
	s_waitcnt lgkmcnt(0)
	v_mul_f64 v[103:104], v[101:102], v[91:92]
	v_fma_f64 v[103:104], v[99:100], v[97:98], -v[103:104]
	v_mul_f64 v[99:100], v[99:100], v[91:92]
	v_add_f64 v[85:86], v[85:86], -v[103:104]
	v_fma_f64 v[99:100], v[101:102], v[97:98], v[99:100]
	v_add_f64 v[87:88], v[87:88], -v[99:100]
	ds_read2_b64 v[99:102], v125 offset0:26 offset1:27
	s_waitcnt lgkmcnt(0)
	v_mul_f64 v[103:104], v[101:102], v[91:92]
	;; [unrolled: 8-line block ×3, first 2 shown]
	v_fma_f64 v[103:104], v[99:100], v[97:98], -v[103:104]
	v_mul_f64 v[99:100], v[99:100], v[91:92]
	v_add_f64 v[109:110], v[109:110], -v[103:104]
	v_fma_f64 v[99:100], v[101:102], v[97:98], v[99:100]
	v_add_f64 v[111:112], v[111:112], -v[99:100]
	ds_read2_b64 v[99:102], v125 offset0:30 offset1:31
	buffer_load_dword v81, off, s[20:23], 0 offset:80 ; 4-byte Folded Reload
	buffer_load_dword v82, off, s[20:23], 0 offset:84 ; 4-byte Folded Reload
	buffer_load_dword v83, off, s[20:23], 0 offset:88 ; 4-byte Folded Reload
	buffer_load_dword v84, off, s[20:23], 0 offset:92 ; 4-byte Folded Reload
	s_waitcnt lgkmcnt(0)
	v_mul_f64 v[103:104], v[101:102], v[91:92]
	v_fma_f64 v[103:104], v[99:100], v[97:98], -v[103:104]
	v_mul_f64 v[99:100], v[99:100], v[91:92]
	v_fma_f64 v[99:100], v[101:102], v[97:98], v[99:100]
	s_waitcnt vmcnt(2)
	v_add_f64 v[81:82], v[81:82], -v[103:104]
	s_waitcnt vmcnt(0)
	v_add_f64 v[83:84], v[83:84], -v[99:100]
	buffer_store_dword v81, off, s[20:23], 0 offset:80 ; 4-byte Folded Spill
	s_nop 0
	buffer_store_dword v82, off, s[20:23], 0 offset:84 ; 4-byte Folded Spill
	buffer_store_dword v83, off, s[20:23], 0 offset:88 ; 4-byte Folded Spill
	buffer_store_dword v84, off, s[20:23], 0 offset:92 ; 4-byte Folded Spill
	ds_read2_b64 v[99:102], v125 offset0:32 offset1:33
	buffer_load_dword v13, off, s[20:23], 0 offset:64 ; 4-byte Folded Reload
	buffer_load_dword v14, off, s[20:23], 0 offset:68 ; 4-byte Folded Reload
	buffer_load_dword v15, off, s[20:23], 0 offset:72 ; 4-byte Folded Reload
	buffer_load_dword v16, off, s[20:23], 0 offset:76 ; 4-byte Folded Reload
	s_waitcnt lgkmcnt(0)
	v_mul_f64 v[103:104], v[101:102], v[91:92]
	v_fma_f64 v[103:104], v[99:100], v[97:98], -v[103:104]
	v_mul_f64 v[99:100], v[99:100], v[91:92]
	v_fma_f64 v[99:100], v[101:102], v[97:98], v[99:100]
	s_waitcnt vmcnt(2)
	v_add_f64 v[13:14], v[13:14], -v[103:104]
	s_waitcnt vmcnt(0)
	v_add_f64 v[15:16], v[15:16], -v[99:100]
	buffer_store_dword v13, off, s[20:23], 0 offset:64 ; 4-byte Folded Spill
	s_nop 0
	buffer_store_dword v14, off, s[20:23], 0 offset:68 ; 4-byte Folded Spill
	buffer_store_dword v15, off, s[20:23], 0 offset:72 ; 4-byte Folded Spill
	buffer_store_dword v16, off, s[20:23], 0 offset:76 ; 4-byte Folded Spill
	;; [unrolled: 19-line block ×4, first 2 shown]
	ds_read2_b64 v[99:102], v125 offset0:38 offset1:39
	s_waitcnt lgkmcnt(0)
	v_mul_f64 v[103:104], v[101:102], v[91:92]
	v_fma_f64 v[103:104], v[99:100], v[97:98], -v[103:104]
	v_mul_f64 v[99:100], v[99:100], v[91:92]
	v_add_f64 v[73:74], v[73:74], -v[103:104]
	v_fma_f64 v[99:100], v[101:102], v[97:98], v[99:100]
	v_add_f64 v[75:76], v[75:76], -v[99:100]
	ds_read2_b64 v[99:102], v125 offset0:40 offset1:41
	s_waitcnt lgkmcnt(0)
	v_mul_f64 v[103:104], v[101:102], v[91:92]
	v_fma_f64 v[103:104], v[99:100], v[97:98], -v[103:104]
	v_mul_f64 v[99:100], v[99:100], v[91:92]
	v_add_f64 v[69:70], v[69:70], -v[103:104]
	v_fma_f64 v[99:100], v[101:102], v[97:98], v[99:100]
	v_add_f64 v[71:72], v[71:72], -v[99:100]
	ds_read2_b64 v[99:102], v125 offset0:42 offset1:43
	s_waitcnt lgkmcnt(0)
	v_mul_f64 v[103:104], v[101:102], v[91:92]
	v_fma_f64 v[103:104], v[99:100], v[97:98], -v[103:104]
	v_mul_f64 v[99:100], v[99:100], v[91:92]
	v_add_f64 v[65:66], v[65:66], -v[103:104]
	v_fma_f64 v[99:100], v[101:102], v[97:98], v[99:100]
	v_add_f64 v[67:68], v[67:68], -v[99:100]
	ds_read2_b64 v[99:102], v125 offset0:44 offset1:45
	s_waitcnt lgkmcnt(0)
	v_mul_f64 v[103:104], v[101:102], v[91:92]
	v_fma_f64 v[103:104], v[99:100], v[97:98], -v[103:104]
	v_mul_f64 v[99:100], v[99:100], v[91:92]
	v_add_f64 v[61:62], v[61:62], -v[103:104]
	v_fma_f64 v[99:100], v[101:102], v[97:98], v[99:100]
	v_add_f64 v[63:64], v[63:64], -v[99:100]
	ds_read2_b64 v[99:102], v125 offset0:46 offset1:47
	s_waitcnt lgkmcnt(0)
	v_mul_f64 v[103:104], v[101:102], v[91:92]
	v_fma_f64 v[103:104], v[99:100], v[97:98], -v[103:104]
	v_mul_f64 v[99:100], v[99:100], v[91:92]
	v_add_f64 v[57:58], v[57:58], -v[103:104]
	v_fma_f64 v[99:100], v[101:102], v[97:98], v[99:100]
	v_add_f64 v[59:60], v[59:60], -v[99:100]
	ds_read2_b64 v[99:102], v125 offset0:48 offset1:49
	s_waitcnt lgkmcnt(0)
	v_mul_f64 v[103:104], v[101:102], v[91:92]
	v_fma_f64 v[103:104], v[99:100], v[97:98], -v[103:104]
	v_mul_f64 v[99:100], v[99:100], v[91:92]
	v_add_f64 v[53:54], v[53:54], -v[103:104]
	v_fma_f64 v[99:100], v[101:102], v[97:98], v[99:100]
	v_add_f64 v[55:56], v[55:56], -v[99:100]
	ds_read2_b64 v[99:102], v125 offset0:50 offset1:51
	s_waitcnt lgkmcnt(0)
	v_mul_f64 v[103:104], v[101:102], v[91:92]
	v_fma_f64 v[103:104], v[99:100], v[97:98], -v[103:104]
	v_mul_f64 v[99:100], v[99:100], v[91:92]
	v_add_f64 v[49:50], v[49:50], -v[103:104]
	v_fma_f64 v[99:100], v[101:102], v[97:98], v[99:100]
	v_add_f64 v[51:52], v[51:52], -v[99:100]
	ds_read2_b64 v[99:102], v125 offset0:52 offset1:53
	s_waitcnt lgkmcnt(0)
	v_mul_f64 v[103:104], v[101:102], v[91:92]
	v_fma_f64 v[103:104], v[99:100], v[97:98], -v[103:104]
	v_mul_f64 v[99:100], v[99:100], v[91:92]
	v_add_f64 v[45:46], v[45:46], -v[103:104]
	v_fma_f64 v[99:100], v[101:102], v[97:98], v[99:100]
	v_add_f64 v[47:48], v[47:48], -v[99:100]
	ds_read2_b64 v[99:102], v125 offset0:54 offset1:55
	s_waitcnt lgkmcnt(0)
	v_mul_f64 v[103:104], v[101:102], v[91:92]
	v_fma_f64 v[103:104], v[99:100], v[97:98], -v[103:104]
	v_mul_f64 v[99:100], v[99:100], v[91:92]
	v_add_f64 v[41:42], v[41:42], -v[103:104]
	v_fma_f64 v[99:100], v[101:102], v[97:98], v[99:100]
	v_add_f64 v[43:44], v[43:44], -v[99:100]
	ds_read2_b64 v[99:102], v125 offset0:56 offset1:57
	s_waitcnt lgkmcnt(0)
	v_mul_f64 v[103:104], v[101:102], v[91:92]
	v_fma_f64 v[103:104], v[99:100], v[97:98], -v[103:104]
	v_mul_f64 v[99:100], v[99:100], v[91:92]
	v_add_f64 v[37:38], v[37:38], -v[103:104]
	v_fma_f64 v[99:100], v[101:102], v[97:98], v[99:100]
	v_add_f64 v[39:40], v[39:40], -v[99:100]
	ds_read2_b64 v[99:102], v125 offset0:58 offset1:59
	s_waitcnt lgkmcnt(0)
	v_mul_f64 v[103:104], v[101:102], v[91:92]
	v_fma_f64 v[103:104], v[99:100], v[97:98], -v[103:104]
	v_mul_f64 v[99:100], v[99:100], v[91:92]
	v_add_f64 v[33:34], v[33:34], -v[103:104]
	v_fma_f64 v[99:100], v[101:102], v[97:98], v[99:100]
	v_add_f64 v[35:36], v[35:36], -v[99:100]
	ds_read2_b64 v[99:102], v125 offset0:60 offset1:61
	s_waitcnt lgkmcnt(0)
	v_mul_f64 v[103:104], v[101:102], v[91:92]
	v_fma_f64 v[103:104], v[99:100], v[97:98], -v[103:104]
	v_mul_f64 v[99:100], v[99:100], v[91:92]
	v_add_f64 v[29:30], v[29:30], -v[103:104]
	v_fma_f64 v[99:100], v[101:102], v[97:98], v[99:100]
	v_add_f64 v[31:32], v[31:32], -v[99:100]
	ds_read2_b64 v[99:102], v125 offset0:62 offset1:63
	s_waitcnt lgkmcnt(0)
	v_mul_f64 v[103:104], v[101:102], v[91:92]
	v_fma_f64 v[103:104], v[99:100], v[97:98], -v[103:104]
	v_mul_f64 v[99:100], v[99:100], v[91:92]
	v_add_f64 v[25:26], v[25:26], -v[103:104]
	v_fma_f64 v[99:100], v[101:102], v[97:98], v[99:100]
	v_add_f64 v[27:28], v[27:28], -v[99:100]
	ds_read2_b64 v[99:102], v125 offset0:64 offset1:65
	s_waitcnt lgkmcnt(0)
	v_mul_f64 v[103:104], v[101:102], v[91:92]
	v_fma_f64 v[103:104], v[99:100], v[97:98], -v[103:104]
	v_mul_f64 v[99:100], v[99:100], v[91:92]
	v_add_f64 v[21:22], v[21:22], -v[103:104]
	v_fma_f64 v[99:100], v[101:102], v[97:98], v[99:100]
	v_add_f64 v[23:24], v[23:24], -v[99:100]
	ds_read2_b64 v[99:102], v125 offset0:66 offset1:67
	s_waitcnt lgkmcnt(0)
	v_mul_f64 v[103:104], v[101:102], v[91:92]
	v_fma_f64 v[103:104], v[99:100], v[97:98], -v[103:104]
	v_mul_f64 v[99:100], v[99:100], v[91:92]
	v_add_f64 v[17:18], v[17:18], -v[103:104]
	v_fma_f64 v[99:100], v[101:102], v[97:98], v[99:100]
	v_add_f64 v[19:20], v[19:20], -v[99:100]
	ds_read2_b64 v[99:102], v125 offset0:68 offset1:69
	buffer_load_dword v13, off, s[20:23], 0 ; 4-byte Folded Reload
	buffer_load_dword v14, off, s[20:23], 0 offset:4 ; 4-byte Folded Reload
	buffer_load_dword v15, off, s[20:23], 0 offset:8 ; 4-byte Folded Reload
	;; [unrolled: 1-line block ×3, first 2 shown]
	s_waitcnt lgkmcnt(0)
	v_mul_f64 v[103:104], v[101:102], v[91:92]
	v_fma_f64 v[103:104], v[99:100], v[97:98], -v[103:104]
	v_mul_f64 v[99:100], v[99:100], v[91:92]
	v_fma_f64 v[99:100], v[101:102], v[97:98], v[99:100]
	s_waitcnt vmcnt(2)
	v_add_f64 v[13:14], v[13:14], -v[103:104]
	s_waitcnt vmcnt(0)
	v_add_f64 v[15:16], v[15:16], -v[99:100]
	buffer_store_dword v13, off, s[20:23], 0 ; 4-byte Folded Spill
	s_nop 0
	buffer_store_dword v14, off, s[20:23], 0 offset:4 ; 4-byte Folded Spill
	buffer_store_dword v15, off, s[20:23], 0 offset:8 ; 4-byte Folded Spill
	;; [unrolled: 1-line block ×3, first 2 shown]
	ds_read2_b64 v[99:102], v125 offset0:70 offset1:71
	s_waitcnt lgkmcnt(0)
	v_mul_f64 v[103:104], v[101:102], v[91:92]
	v_fma_f64 v[103:104], v[99:100], v[97:98], -v[103:104]
	v_mul_f64 v[99:100], v[99:100], v[91:92]
	v_add_f64 v[9:10], v[9:10], -v[103:104]
	v_fma_f64 v[99:100], v[101:102], v[97:98], v[99:100]
	v_add_f64 v[11:12], v[11:12], -v[99:100]
	ds_read2_b64 v[99:102], v125 offset0:72 offset1:73
	s_waitcnt lgkmcnt(0)
	v_mul_f64 v[103:104], v[101:102], v[91:92]
	v_fma_f64 v[103:104], v[99:100], v[97:98], -v[103:104]
	v_mul_f64 v[99:100], v[99:100], v[91:92]
	v_add_f64 v[5:6], v[5:6], -v[103:104]
	v_fma_f64 v[99:100], v[101:102], v[97:98], v[99:100]
	v_add_f64 v[7:8], v[7:8], -v[99:100]
	ds_read2_b64 v[99:102], v125 offset0:74 offset1:75
	s_waitcnt lgkmcnt(0)
	v_mul_f64 v[103:104], v[101:102], v[91:92]
	v_fma_f64 v[103:104], v[99:100], v[97:98], -v[103:104]
	v_mul_f64 v[99:100], v[99:100], v[91:92]
	v_add_f64 v[1:2], v[1:2], -v[103:104]
	v_fma_f64 v[99:100], v[101:102], v[97:98], v[99:100]
	v_add_f64 v[3:4], v[3:4], -v[99:100]
	ds_read2_b64 v[99:102], v125 offset0:76 offset1:77
	buffer_load_dword v13, off, s[20:23], 0 offset:48 ; 4-byte Folded Reload
	buffer_load_dword v14, off, s[20:23], 0 offset:52 ; 4-byte Folded Reload
	;; [unrolled: 1-line block ×4, first 2 shown]
	s_waitcnt lgkmcnt(0)
	v_mul_f64 v[103:104], v[101:102], v[91:92]
	v_fma_f64 v[103:104], v[99:100], v[97:98], -v[103:104]
	v_mul_f64 v[99:100], v[99:100], v[91:92]
	v_fma_f64 v[99:100], v[101:102], v[97:98], v[99:100]
	s_waitcnt vmcnt(2)
	v_add_f64 v[13:14], v[13:14], -v[103:104]
	s_waitcnt vmcnt(0)
	v_add_f64 v[15:16], v[15:16], -v[99:100]
	buffer_store_dword v13, off, s[20:23], 0 offset:48 ; 4-byte Folded Spill
	s_nop 0
	buffer_store_dword v14, off, s[20:23], 0 offset:52 ; 4-byte Folded Spill
	buffer_store_dword v15, off, s[20:23], 0 offset:56 ; 4-byte Folded Spill
	;; [unrolled: 1-line block ×3, first 2 shown]
.LBB77_100:
	s_or_b64 exec, exec, s[2:3]
	v_cmp_eq_u32_e32 vcc, 11, v127
	s_waitcnt vmcnt(0)
	s_barrier
	s_and_saveexec_b64 s[4:5], vcc
	s_cbranch_execz .LBB77_107
; %bb.101:
	ds_write2_b64 v0, v[117:118], v[119:120] offset1:1
	ds_write2_b64 v125, v[85:86], v[87:88] offset0:24 offset1:25
	ds_write2_b64 v125, v[121:122], v[123:124] offset0:26 offset1:27
	;; [unrolled: 1-line block ×3, first 2 shown]
	buffer_load_dword v81, off, s[20:23], 0 offset:80 ; 4-byte Folded Reload
	buffer_load_dword v82, off, s[20:23], 0 offset:84 ; 4-byte Folded Reload
	buffer_load_dword v83, off, s[20:23], 0 offset:88 ; 4-byte Folded Reload
	buffer_load_dword v84, off, s[20:23], 0 offset:92 ; 4-byte Folded Reload
	s_waitcnt vmcnt(0)
	ds_write2_b64 v125, v[81:82], v[83:84] offset0:30 offset1:31
	buffer_load_dword v13, off, s[20:23], 0 offset:64 ; 4-byte Folded Reload
	buffer_load_dword v14, off, s[20:23], 0 offset:68 ; 4-byte Folded Reload
	buffer_load_dword v15, off, s[20:23], 0 offset:72 ; 4-byte Folded Reload
	buffer_load_dword v16, off, s[20:23], 0 offset:76 ; 4-byte Folded Reload
	s_waitcnt vmcnt(0)
	ds_write2_b64 v125, v[13:14], v[15:16] offset0:32 offset1:33
	;; [unrolled: 6-line block ×4, first 2 shown]
	ds_write2_b64 v125, v[73:74], v[75:76] offset0:38 offset1:39
	ds_write2_b64 v125, v[69:70], v[71:72] offset0:40 offset1:41
	;; [unrolled: 1-line block ×15, first 2 shown]
	buffer_load_dword v13, off, s[20:23], 0 ; 4-byte Folded Reload
	buffer_load_dword v14, off, s[20:23], 0 offset:4 ; 4-byte Folded Reload
	buffer_load_dword v15, off, s[20:23], 0 offset:8 ; 4-byte Folded Reload
	buffer_load_dword v16, off, s[20:23], 0 offset:12 ; 4-byte Folded Reload
	s_waitcnt vmcnt(0)
	ds_write2_b64 v125, v[13:14], v[15:16] offset0:68 offset1:69
	ds_write2_b64 v125, v[9:10], v[11:12] offset0:70 offset1:71
	;; [unrolled: 1-line block ×4, first 2 shown]
	buffer_load_dword v13, off, s[20:23], 0 offset:48 ; 4-byte Folded Reload
	buffer_load_dword v14, off, s[20:23], 0 offset:52 ; 4-byte Folded Reload
	;; [unrolled: 1-line block ×4, first 2 shown]
	s_waitcnt vmcnt(0)
	ds_write2_b64 v125, v[13:14], v[15:16] offset0:76 offset1:77
	ds_read2_b64 v[97:100], v0 offset1:1
	s_waitcnt lgkmcnt(0)
	v_cmp_neq_f64_e32 vcc, 0, v[97:98]
	v_cmp_neq_f64_e64 s[2:3], 0, v[99:100]
	s_or_b64 s[2:3], vcc, s[2:3]
	s_and_b64 exec, exec, s[2:3]
	s_cbranch_execz .LBB77_107
; %bb.102:
	v_cmp_ngt_f64_e64 s[2:3], |v[97:98]|, |v[99:100]|
                                        ; implicit-def: $vgpr101_vgpr102
	s_and_saveexec_b64 s[6:7], s[2:3]
	s_xor_b64 s[2:3], exec, s[6:7]
                                        ; implicit-def: $vgpr103_vgpr104
	s_cbranch_execz .LBB77_104
; %bb.103:
	v_div_scale_f64 v[101:102], s[6:7], v[99:100], v[99:100], v[97:98]
	v_rcp_f64_e32 v[103:104], v[101:102]
	v_fma_f64 v[105:106], -v[101:102], v[103:104], 1.0
	v_fma_f64 v[103:104], v[103:104], v[105:106], v[103:104]
	v_div_scale_f64 v[105:106], vcc, v[97:98], v[99:100], v[97:98]
	v_fma_f64 v[107:108], -v[101:102], v[103:104], 1.0
	v_fma_f64 v[103:104], v[103:104], v[107:108], v[103:104]
	v_mul_f64 v[107:108], v[105:106], v[103:104]
	v_fma_f64 v[101:102], -v[101:102], v[107:108], v[105:106]
	v_div_fmas_f64 v[101:102], v[101:102], v[103:104], v[107:108]
	v_div_fixup_f64 v[101:102], v[101:102], v[99:100], v[97:98]
	v_fma_f64 v[97:98], v[97:98], v[101:102], v[99:100]
	v_div_scale_f64 v[99:100], s[6:7], v[97:98], v[97:98], 1.0
	v_div_scale_f64 v[107:108], vcc, 1.0, v[97:98], 1.0
	v_rcp_f64_e32 v[103:104], v[99:100]
	v_fma_f64 v[105:106], -v[99:100], v[103:104], 1.0
	v_fma_f64 v[103:104], v[103:104], v[105:106], v[103:104]
	v_fma_f64 v[105:106], -v[99:100], v[103:104], 1.0
	v_fma_f64 v[103:104], v[103:104], v[105:106], v[103:104]
	v_mul_f64 v[105:106], v[107:108], v[103:104]
	v_fma_f64 v[99:100], -v[99:100], v[105:106], v[107:108]
	v_div_fmas_f64 v[99:100], v[99:100], v[103:104], v[105:106]
	v_div_fixup_f64 v[103:104], v[99:100], v[97:98], 1.0
                                        ; implicit-def: $vgpr97_vgpr98
	v_mul_f64 v[101:102], v[101:102], v[103:104]
	v_xor_b32_e32 v104, 0x80000000, v104
.LBB77_104:
	s_andn2_saveexec_b64 s[2:3], s[2:3]
	s_cbranch_execz .LBB77_106
; %bb.105:
	v_div_scale_f64 v[101:102], s[6:7], v[97:98], v[97:98], v[99:100]
	v_rcp_f64_e32 v[103:104], v[101:102]
	v_fma_f64 v[105:106], -v[101:102], v[103:104], 1.0
	v_fma_f64 v[103:104], v[103:104], v[105:106], v[103:104]
	v_div_scale_f64 v[105:106], vcc, v[99:100], v[97:98], v[99:100]
	v_fma_f64 v[107:108], -v[101:102], v[103:104], 1.0
	v_fma_f64 v[103:104], v[103:104], v[107:108], v[103:104]
	v_mul_f64 v[107:108], v[105:106], v[103:104]
	v_fma_f64 v[101:102], -v[101:102], v[107:108], v[105:106]
	v_div_fmas_f64 v[101:102], v[101:102], v[103:104], v[107:108]
	v_div_fixup_f64 v[103:104], v[101:102], v[97:98], v[99:100]
	v_fma_f64 v[97:98], v[99:100], v[103:104], v[97:98]
	v_div_scale_f64 v[99:100], s[6:7], v[97:98], v[97:98], 1.0
	v_div_scale_f64 v[107:108], vcc, 1.0, v[97:98], 1.0
	v_rcp_f64_e32 v[101:102], v[99:100]
	v_fma_f64 v[105:106], -v[99:100], v[101:102], 1.0
	v_fma_f64 v[101:102], v[101:102], v[105:106], v[101:102]
	v_fma_f64 v[105:106], -v[99:100], v[101:102], 1.0
	v_fma_f64 v[101:102], v[101:102], v[105:106], v[101:102]
	v_mul_f64 v[105:106], v[107:108], v[101:102]
	v_fma_f64 v[99:100], -v[99:100], v[105:106], v[107:108]
	v_div_fmas_f64 v[99:100], v[99:100], v[101:102], v[105:106]
	v_div_fixup_f64 v[101:102], v[99:100], v[97:98], 1.0
	v_mul_f64 v[103:104], v[103:104], -v[101:102]
.LBB77_106:
	s_or_b64 exec, exec, s[2:3]
	ds_write2_b64 v0, v[101:102], v[103:104] offset1:1
.LBB77_107:
	s_or_b64 exec, exec, s[4:5]
	s_waitcnt lgkmcnt(0)
	s_barrier
	ds_read2_b64 v[13:16], v0 offset1:1
	v_cmp_lt_u32_e32 vcc, 11, v127
	s_waitcnt lgkmcnt(0)
	buffer_store_dword v13, off, s[20:23], 0 offset:780 ; 4-byte Folded Spill
	s_nop 0
	buffer_store_dword v14, off, s[20:23], 0 offset:784 ; 4-byte Folded Spill
	buffer_store_dword v15, off, s[20:23], 0 offset:788 ; 4-byte Folded Spill
	;; [unrolled: 1-line block ×3, first 2 shown]
	s_and_saveexec_b64 s[2:3], vcc
	s_cbranch_execz .LBB77_109
; %bb.108:
	buffer_load_dword v13, off, s[20:23], 0 offset:780 ; 4-byte Folded Reload
	buffer_load_dword v14, off, s[20:23], 0 offset:784 ; 4-byte Folded Reload
	;; [unrolled: 1-line block ×4, first 2 shown]
	s_waitcnt vmcnt(2)
	v_mul_f64 v[99:100], v[13:14], v[119:120]
	s_waitcnt vmcnt(0)
	v_mul_f64 v[97:98], v[15:16], v[119:120]
	v_fma_f64 v[119:120], v[15:16], v[117:118], v[99:100]
	ds_read2_b64 v[99:102], v125 offset0:24 offset1:25
	v_fma_f64 v[97:98], v[13:14], v[117:118], -v[97:98]
	s_waitcnt lgkmcnt(0)
	v_mul_f64 v[103:104], v[101:102], v[119:120]
	v_mov_b32_e32 v118, v98
	v_mov_b32_e32 v117, v97
	v_fma_f64 v[103:104], v[99:100], v[97:98], -v[103:104]
	v_mul_f64 v[99:100], v[99:100], v[119:120]
	v_add_f64 v[85:86], v[85:86], -v[103:104]
	v_fma_f64 v[99:100], v[101:102], v[97:98], v[99:100]
	v_add_f64 v[87:88], v[87:88], -v[99:100]
	ds_read2_b64 v[99:102], v125 offset0:26 offset1:27
	s_waitcnt lgkmcnt(0)
	v_mul_f64 v[103:104], v[101:102], v[119:120]
	v_fma_f64 v[103:104], v[99:100], v[97:98], -v[103:104]
	v_mul_f64 v[99:100], v[99:100], v[119:120]
	v_add_f64 v[121:122], v[121:122], -v[103:104]
	v_fma_f64 v[99:100], v[101:102], v[97:98], v[99:100]
	v_add_f64 v[123:124], v[123:124], -v[99:100]
	ds_read2_b64 v[99:102], v125 offset0:28 offset1:29
	s_waitcnt lgkmcnt(0)
	v_mul_f64 v[103:104], v[101:102], v[119:120]
	v_fma_f64 v[103:104], v[99:100], v[97:98], -v[103:104]
	v_mul_f64 v[99:100], v[99:100], v[119:120]
	v_add_f64 v[109:110], v[109:110], -v[103:104]
	v_fma_f64 v[99:100], v[101:102], v[97:98], v[99:100]
	v_add_f64 v[111:112], v[111:112], -v[99:100]
	ds_read2_b64 v[99:102], v125 offset0:30 offset1:31
	buffer_load_dword v81, off, s[20:23], 0 offset:80 ; 4-byte Folded Reload
	buffer_load_dword v82, off, s[20:23], 0 offset:84 ; 4-byte Folded Reload
	buffer_load_dword v83, off, s[20:23], 0 offset:88 ; 4-byte Folded Reload
	buffer_load_dword v84, off, s[20:23], 0 offset:92 ; 4-byte Folded Reload
	s_waitcnt lgkmcnt(0)
	v_mul_f64 v[103:104], v[101:102], v[119:120]
	v_fma_f64 v[103:104], v[99:100], v[97:98], -v[103:104]
	v_mul_f64 v[99:100], v[99:100], v[119:120]
	v_fma_f64 v[99:100], v[101:102], v[97:98], v[99:100]
	s_waitcnt vmcnt(2)
	v_add_f64 v[81:82], v[81:82], -v[103:104]
	s_waitcnt vmcnt(0)
	v_add_f64 v[83:84], v[83:84], -v[99:100]
	buffer_store_dword v81, off, s[20:23], 0 offset:80 ; 4-byte Folded Spill
	s_nop 0
	buffer_store_dword v82, off, s[20:23], 0 offset:84 ; 4-byte Folded Spill
	buffer_store_dword v83, off, s[20:23], 0 offset:88 ; 4-byte Folded Spill
	buffer_store_dword v84, off, s[20:23], 0 offset:92 ; 4-byte Folded Spill
	ds_read2_b64 v[99:102], v125 offset0:32 offset1:33
	buffer_load_dword v13, off, s[20:23], 0 offset:64 ; 4-byte Folded Reload
	buffer_load_dword v14, off, s[20:23], 0 offset:68 ; 4-byte Folded Reload
	buffer_load_dword v15, off, s[20:23], 0 offset:72 ; 4-byte Folded Reload
	buffer_load_dword v16, off, s[20:23], 0 offset:76 ; 4-byte Folded Reload
	s_waitcnt lgkmcnt(0)
	v_mul_f64 v[103:104], v[101:102], v[119:120]
	v_fma_f64 v[103:104], v[99:100], v[97:98], -v[103:104]
	v_mul_f64 v[99:100], v[99:100], v[119:120]
	v_fma_f64 v[99:100], v[101:102], v[97:98], v[99:100]
	s_waitcnt vmcnt(2)
	v_add_f64 v[13:14], v[13:14], -v[103:104]
	s_waitcnt vmcnt(0)
	v_add_f64 v[15:16], v[15:16], -v[99:100]
	buffer_store_dword v13, off, s[20:23], 0 offset:64 ; 4-byte Folded Spill
	s_nop 0
	buffer_store_dword v14, off, s[20:23], 0 offset:68 ; 4-byte Folded Spill
	buffer_store_dword v15, off, s[20:23], 0 offset:72 ; 4-byte Folded Spill
	buffer_store_dword v16, off, s[20:23], 0 offset:76 ; 4-byte Folded Spill
	;; [unrolled: 19-line block ×4, first 2 shown]
	ds_read2_b64 v[99:102], v125 offset0:38 offset1:39
	s_waitcnt lgkmcnt(0)
	v_mul_f64 v[103:104], v[101:102], v[119:120]
	v_fma_f64 v[103:104], v[99:100], v[97:98], -v[103:104]
	v_mul_f64 v[99:100], v[99:100], v[119:120]
	v_add_f64 v[73:74], v[73:74], -v[103:104]
	v_fma_f64 v[99:100], v[101:102], v[97:98], v[99:100]
	v_add_f64 v[75:76], v[75:76], -v[99:100]
	ds_read2_b64 v[99:102], v125 offset0:40 offset1:41
	s_waitcnt lgkmcnt(0)
	v_mul_f64 v[103:104], v[101:102], v[119:120]
	v_fma_f64 v[103:104], v[99:100], v[97:98], -v[103:104]
	v_mul_f64 v[99:100], v[99:100], v[119:120]
	v_add_f64 v[69:70], v[69:70], -v[103:104]
	v_fma_f64 v[99:100], v[101:102], v[97:98], v[99:100]
	v_add_f64 v[71:72], v[71:72], -v[99:100]
	;; [unrolled: 8-line block ×15, first 2 shown]
	ds_read2_b64 v[99:102], v125 offset0:68 offset1:69
	buffer_load_dword v13, off, s[20:23], 0 ; 4-byte Folded Reload
	buffer_load_dword v14, off, s[20:23], 0 offset:4 ; 4-byte Folded Reload
	buffer_load_dword v15, off, s[20:23], 0 offset:8 ; 4-byte Folded Reload
	;; [unrolled: 1-line block ×3, first 2 shown]
	s_waitcnt lgkmcnt(0)
	v_mul_f64 v[103:104], v[101:102], v[119:120]
	v_fma_f64 v[103:104], v[99:100], v[97:98], -v[103:104]
	v_mul_f64 v[99:100], v[99:100], v[119:120]
	v_fma_f64 v[99:100], v[101:102], v[97:98], v[99:100]
	s_waitcnt vmcnt(2)
	v_add_f64 v[13:14], v[13:14], -v[103:104]
	s_waitcnt vmcnt(0)
	v_add_f64 v[15:16], v[15:16], -v[99:100]
	buffer_store_dword v13, off, s[20:23], 0 ; 4-byte Folded Spill
	s_nop 0
	buffer_store_dword v14, off, s[20:23], 0 offset:4 ; 4-byte Folded Spill
	buffer_store_dword v15, off, s[20:23], 0 offset:8 ; 4-byte Folded Spill
	;; [unrolled: 1-line block ×3, first 2 shown]
	ds_read2_b64 v[99:102], v125 offset0:70 offset1:71
	s_waitcnt lgkmcnt(0)
	v_mul_f64 v[103:104], v[101:102], v[119:120]
	v_fma_f64 v[103:104], v[99:100], v[97:98], -v[103:104]
	v_mul_f64 v[99:100], v[99:100], v[119:120]
	v_add_f64 v[9:10], v[9:10], -v[103:104]
	v_fma_f64 v[99:100], v[101:102], v[97:98], v[99:100]
	v_add_f64 v[11:12], v[11:12], -v[99:100]
	ds_read2_b64 v[99:102], v125 offset0:72 offset1:73
	s_waitcnt lgkmcnt(0)
	v_mul_f64 v[103:104], v[101:102], v[119:120]
	v_fma_f64 v[103:104], v[99:100], v[97:98], -v[103:104]
	v_mul_f64 v[99:100], v[99:100], v[119:120]
	v_add_f64 v[5:6], v[5:6], -v[103:104]
	v_fma_f64 v[99:100], v[101:102], v[97:98], v[99:100]
	v_add_f64 v[7:8], v[7:8], -v[99:100]
	;; [unrolled: 8-line block ×3, first 2 shown]
	ds_read2_b64 v[99:102], v125 offset0:76 offset1:77
	buffer_load_dword v13, off, s[20:23], 0 offset:48 ; 4-byte Folded Reload
	buffer_load_dword v14, off, s[20:23], 0 offset:52 ; 4-byte Folded Reload
	;; [unrolled: 1-line block ×4, first 2 shown]
	s_waitcnt lgkmcnt(0)
	v_mul_f64 v[103:104], v[101:102], v[119:120]
	v_fma_f64 v[103:104], v[99:100], v[97:98], -v[103:104]
	v_mul_f64 v[99:100], v[99:100], v[119:120]
	v_fma_f64 v[99:100], v[101:102], v[97:98], v[99:100]
	s_waitcnt vmcnt(2)
	v_add_f64 v[13:14], v[13:14], -v[103:104]
	s_waitcnt vmcnt(0)
	v_add_f64 v[15:16], v[15:16], -v[99:100]
	buffer_store_dword v13, off, s[20:23], 0 offset:48 ; 4-byte Folded Spill
	s_nop 0
	buffer_store_dword v14, off, s[20:23], 0 offset:52 ; 4-byte Folded Spill
	buffer_store_dword v15, off, s[20:23], 0 offset:56 ; 4-byte Folded Spill
	buffer_store_dword v16, off, s[20:23], 0 offset:60 ; 4-byte Folded Spill
.LBB77_109:
	s_or_b64 exec, exec, s[2:3]
	v_cmp_eq_u32_e32 vcc, 12, v127
	s_waitcnt vmcnt(0)
	s_barrier
	s_and_saveexec_b64 s[4:5], vcc
	s_cbranch_execz .LBB77_116
; %bb.110:
	ds_write2_b64 v0, v[85:86], v[87:88] offset1:1
	ds_write2_b64 v125, v[121:122], v[123:124] offset0:26 offset1:27
	ds_write2_b64 v125, v[109:110], v[111:112] offset0:28 offset1:29
	buffer_load_dword v81, off, s[20:23], 0 offset:80 ; 4-byte Folded Reload
	buffer_load_dword v82, off, s[20:23], 0 offset:84 ; 4-byte Folded Reload
	buffer_load_dword v83, off, s[20:23], 0 offset:88 ; 4-byte Folded Reload
	buffer_load_dword v84, off, s[20:23], 0 offset:92 ; 4-byte Folded Reload
	s_waitcnt vmcnt(0)
	ds_write2_b64 v125, v[81:82], v[83:84] offset0:30 offset1:31
	buffer_load_dword v13, off, s[20:23], 0 offset:64 ; 4-byte Folded Reload
	buffer_load_dword v14, off, s[20:23], 0 offset:68 ; 4-byte Folded Reload
	buffer_load_dword v15, off, s[20:23], 0 offset:72 ; 4-byte Folded Reload
	buffer_load_dword v16, off, s[20:23], 0 offset:76 ; 4-byte Folded Reload
	s_waitcnt vmcnt(0)
	;; [unrolled: 6-line block ×4, first 2 shown]
	ds_write2_b64 v125, v[13:14], v[15:16] offset0:36 offset1:37
	ds_write2_b64 v125, v[73:74], v[75:76] offset0:38 offset1:39
	;; [unrolled: 1-line block ×16, first 2 shown]
	buffer_load_dword v13, off, s[20:23], 0 ; 4-byte Folded Reload
	buffer_load_dword v14, off, s[20:23], 0 offset:4 ; 4-byte Folded Reload
	buffer_load_dword v15, off, s[20:23], 0 offset:8 ; 4-byte Folded Reload
	;; [unrolled: 1-line block ×3, first 2 shown]
	s_waitcnt vmcnt(0)
	ds_write2_b64 v125, v[13:14], v[15:16] offset0:68 offset1:69
	ds_write2_b64 v125, v[9:10], v[11:12] offset0:70 offset1:71
	;; [unrolled: 1-line block ×4, first 2 shown]
	buffer_load_dword v13, off, s[20:23], 0 offset:48 ; 4-byte Folded Reload
	buffer_load_dword v14, off, s[20:23], 0 offset:52 ; 4-byte Folded Reload
	;; [unrolled: 1-line block ×4, first 2 shown]
	s_waitcnt vmcnt(0)
	ds_write2_b64 v125, v[13:14], v[15:16] offset0:76 offset1:77
	ds_read2_b64 v[97:100], v0 offset1:1
	s_waitcnt lgkmcnt(0)
	v_cmp_neq_f64_e32 vcc, 0, v[97:98]
	v_cmp_neq_f64_e64 s[2:3], 0, v[99:100]
	s_or_b64 s[2:3], vcc, s[2:3]
	s_and_b64 exec, exec, s[2:3]
	s_cbranch_execz .LBB77_116
; %bb.111:
	v_cmp_ngt_f64_e64 s[2:3], |v[97:98]|, |v[99:100]|
                                        ; implicit-def: $vgpr101_vgpr102
	s_and_saveexec_b64 s[6:7], s[2:3]
	s_xor_b64 s[2:3], exec, s[6:7]
                                        ; implicit-def: $vgpr103_vgpr104
	s_cbranch_execz .LBB77_113
; %bb.112:
	v_div_scale_f64 v[101:102], s[6:7], v[99:100], v[99:100], v[97:98]
	v_rcp_f64_e32 v[103:104], v[101:102]
	v_fma_f64 v[105:106], -v[101:102], v[103:104], 1.0
	v_fma_f64 v[103:104], v[103:104], v[105:106], v[103:104]
	v_div_scale_f64 v[105:106], vcc, v[97:98], v[99:100], v[97:98]
	v_fma_f64 v[107:108], -v[101:102], v[103:104], 1.0
	v_fma_f64 v[103:104], v[103:104], v[107:108], v[103:104]
	v_mul_f64 v[107:108], v[105:106], v[103:104]
	v_fma_f64 v[101:102], -v[101:102], v[107:108], v[105:106]
	v_div_fmas_f64 v[101:102], v[101:102], v[103:104], v[107:108]
	v_div_fixup_f64 v[101:102], v[101:102], v[99:100], v[97:98]
	v_fma_f64 v[97:98], v[97:98], v[101:102], v[99:100]
	v_div_scale_f64 v[99:100], s[6:7], v[97:98], v[97:98], 1.0
	v_div_scale_f64 v[107:108], vcc, 1.0, v[97:98], 1.0
	v_rcp_f64_e32 v[103:104], v[99:100]
	v_fma_f64 v[105:106], -v[99:100], v[103:104], 1.0
	v_fma_f64 v[103:104], v[103:104], v[105:106], v[103:104]
	v_fma_f64 v[105:106], -v[99:100], v[103:104], 1.0
	v_fma_f64 v[103:104], v[103:104], v[105:106], v[103:104]
	v_mul_f64 v[105:106], v[107:108], v[103:104]
	v_fma_f64 v[99:100], -v[99:100], v[105:106], v[107:108]
	v_div_fmas_f64 v[99:100], v[99:100], v[103:104], v[105:106]
	v_div_fixup_f64 v[103:104], v[99:100], v[97:98], 1.0
                                        ; implicit-def: $vgpr97_vgpr98
	v_mul_f64 v[101:102], v[101:102], v[103:104]
	v_xor_b32_e32 v104, 0x80000000, v104
.LBB77_113:
	s_andn2_saveexec_b64 s[2:3], s[2:3]
	s_cbranch_execz .LBB77_115
; %bb.114:
	v_div_scale_f64 v[101:102], s[6:7], v[97:98], v[97:98], v[99:100]
	v_rcp_f64_e32 v[103:104], v[101:102]
	v_fma_f64 v[105:106], -v[101:102], v[103:104], 1.0
	v_fma_f64 v[103:104], v[103:104], v[105:106], v[103:104]
	v_div_scale_f64 v[105:106], vcc, v[99:100], v[97:98], v[99:100]
	v_fma_f64 v[107:108], -v[101:102], v[103:104], 1.0
	v_fma_f64 v[103:104], v[103:104], v[107:108], v[103:104]
	v_mul_f64 v[107:108], v[105:106], v[103:104]
	v_fma_f64 v[101:102], -v[101:102], v[107:108], v[105:106]
	v_div_fmas_f64 v[101:102], v[101:102], v[103:104], v[107:108]
	v_div_fixup_f64 v[103:104], v[101:102], v[97:98], v[99:100]
	v_fma_f64 v[97:98], v[99:100], v[103:104], v[97:98]
	v_div_scale_f64 v[99:100], s[6:7], v[97:98], v[97:98], 1.0
	v_div_scale_f64 v[107:108], vcc, 1.0, v[97:98], 1.0
	v_rcp_f64_e32 v[101:102], v[99:100]
	v_fma_f64 v[105:106], -v[99:100], v[101:102], 1.0
	v_fma_f64 v[101:102], v[101:102], v[105:106], v[101:102]
	v_fma_f64 v[105:106], -v[99:100], v[101:102], 1.0
	v_fma_f64 v[101:102], v[101:102], v[105:106], v[101:102]
	v_mul_f64 v[105:106], v[107:108], v[101:102]
	v_fma_f64 v[99:100], -v[99:100], v[105:106], v[107:108]
	v_div_fmas_f64 v[99:100], v[99:100], v[101:102], v[105:106]
	v_div_fixup_f64 v[101:102], v[99:100], v[97:98], 1.0
	v_mul_f64 v[103:104], v[103:104], -v[101:102]
.LBB77_115:
	s_or_b64 exec, exec, s[2:3]
	ds_write2_b64 v0, v[101:102], v[103:104] offset1:1
.LBB77_116:
	s_or_b64 exec, exec, s[4:5]
	s_waitcnt lgkmcnt(0)
	s_barrier
	ds_read2_b64 v[13:16], v0 offset1:1
	v_cmp_lt_u32_e32 vcc, 12, v127
	s_waitcnt lgkmcnt(0)
	buffer_store_dword v13, off, s[20:23], 0 offset:796 ; 4-byte Folded Spill
	s_nop 0
	buffer_store_dword v14, off, s[20:23], 0 offset:800 ; 4-byte Folded Spill
	buffer_store_dword v15, off, s[20:23], 0 offset:804 ; 4-byte Folded Spill
	;; [unrolled: 1-line block ×3, first 2 shown]
	s_and_saveexec_b64 s[2:3], vcc
	s_cbranch_execz .LBB77_118
; %bb.117:
	buffer_load_dword v13, off, s[20:23], 0 offset:796 ; 4-byte Folded Reload
	buffer_load_dword v14, off, s[20:23], 0 offset:800 ; 4-byte Folded Reload
	;; [unrolled: 1-line block ×4, first 2 shown]
	s_waitcnt vmcnt(2)
	v_mul_f64 v[99:100], v[13:14], v[87:88]
	s_waitcnt vmcnt(0)
	v_mul_f64 v[97:98], v[15:16], v[87:88]
	v_fma_f64 v[87:88], v[15:16], v[85:86], v[99:100]
	ds_read2_b64 v[99:102], v125 offset0:26 offset1:27
	v_fma_f64 v[97:98], v[13:14], v[85:86], -v[97:98]
	s_waitcnt lgkmcnt(0)
	v_mul_f64 v[103:104], v[101:102], v[87:88]
	v_mov_b32_e32 v85, v97
	v_mov_b32_e32 v86, v98
	v_fma_f64 v[103:104], v[99:100], v[97:98], -v[103:104]
	v_mul_f64 v[99:100], v[99:100], v[87:88]
	v_add_f64 v[121:122], v[121:122], -v[103:104]
	v_fma_f64 v[99:100], v[101:102], v[97:98], v[99:100]
	v_add_f64 v[123:124], v[123:124], -v[99:100]
	ds_read2_b64 v[99:102], v125 offset0:28 offset1:29
	s_waitcnt lgkmcnt(0)
	v_mul_f64 v[103:104], v[101:102], v[87:88]
	v_fma_f64 v[103:104], v[99:100], v[97:98], -v[103:104]
	v_mul_f64 v[99:100], v[99:100], v[87:88]
	v_add_f64 v[109:110], v[109:110], -v[103:104]
	v_fma_f64 v[99:100], v[101:102], v[97:98], v[99:100]
	v_add_f64 v[111:112], v[111:112], -v[99:100]
	ds_read2_b64 v[99:102], v125 offset0:30 offset1:31
	buffer_load_dword v81, off, s[20:23], 0 offset:80 ; 4-byte Folded Reload
	buffer_load_dword v82, off, s[20:23], 0 offset:84 ; 4-byte Folded Reload
	buffer_load_dword v83, off, s[20:23], 0 offset:88 ; 4-byte Folded Reload
	buffer_load_dword v84, off, s[20:23], 0 offset:92 ; 4-byte Folded Reload
	s_waitcnt lgkmcnt(0)
	v_mul_f64 v[103:104], v[101:102], v[87:88]
	v_fma_f64 v[103:104], v[99:100], v[97:98], -v[103:104]
	v_mul_f64 v[99:100], v[99:100], v[87:88]
	v_fma_f64 v[99:100], v[101:102], v[97:98], v[99:100]
	s_waitcnt vmcnt(2)
	v_add_f64 v[81:82], v[81:82], -v[103:104]
	s_waitcnt vmcnt(0)
	v_add_f64 v[83:84], v[83:84], -v[99:100]
	buffer_store_dword v81, off, s[20:23], 0 offset:80 ; 4-byte Folded Spill
	s_nop 0
	buffer_store_dword v82, off, s[20:23], 0 offset:84 ; 4-byte Folded Spill
	buffer_store_dword v83, off, s[20:23], 0 offset:88 ; 4-byte Folded Spill
	buffer_store_dword v84, off, s[20:23], 0 offset:92 ; 4-byte Folded Spill
	ds_read2_b64 v[99:102], v125 offset0:32 offset1:33
	buffer_load_dword v13, off, s[20:23], 0 offset:64 ; 4-byte Folded Reload
	buffer_load_dword v14, off, s[20:23], 0 offset:68 ; 4-byte Folded Reload
	buffer_load_dword v15, off, s[20:23], 0 offset:72 ; 4-byte Folded Reload
	buffer_load_dword v16, off, s[20:23], 0 offset:76 ; 4-byte Folded Reload
	s_waitcnt lgkmcnt(0)
	v_mul_f64 v[103:104], v[101:102], v[87:88]
	v_fma_f64 v[103:104], v[99:100], v[97:98], -v[103:104]
	v_mul_f64 v[99:100], v[99:100], v[87:88]
	v_fma_f64 v[99:100], v[101:102], v[97:98], v[99:100]
	s_waitcnt vmcnt(2)
	v_add_f64 v[13:14], v[13:14], -v[103:104]
	s_waitcnt vmcnt(0)
	v_add_f64 v[15:16], v[15:16], -v[99:100]
	buffer_store_dword v13, off, s[20:23], 0 offset:64 ; 4-byte Folded Spill
	s_nop 0
	buffer_store_dword v14, off, s[20:23], 0 offset:68 ; 4-byte Folded Spill
	buffer_store_dword v15, off, s[20:23], 0 offset:72 ; 4-byte Folded Spill
	buffer_store_dword v16, off, s[20:23], 0 offset:76 ; 4-byte Folded Spill
	;; [unrolled: 19-line block ×4, first 2 shown]
	ds_read2_b64 v[99:102], v125 offset0:38 offset1:39
	s_waitcnt lgkmcnt(0)
	v_mul_f64 v[103:104], v[101:102], v[87:88]
	v_fma_f64 v[103:104], v[99:100], v[97:98], -v[103:104]
	v_mul_f64 v[99:100], v[99:100], v[87:88]
	v_add_f64 v[73:74], v[73:74], -v[103:104]
	v_fma_f64 v[99:100], v[101:102], v[97:98], v[99:100]
	v_add_f64 v[75:76], v[75:76], -v[99:100]
	ds_read2_b64 v[99:102], v125 offset0:40 offset1:41
	s_waitcnt lgkmcnt(0)
	v_mul_f64 v[103:104], v[101:102], v[87:88]
	v_fma_f64 v[103:104], v[99:100], v[97:98], -v[103:104]
	v_mul_f64 v[99:100], v[99:100], v[87:88]
	v_add_f64 v[69:70], v[69:70], -v[103:104]
	v_fma_f64 v[99:100], v[101:102], v[97:98], v[99:100]
	v_add_f64 v[71:72], v[71:72], -v[99:100]
	;; [unrolled: 8-line block ×15, first 2 shown]
	ds_read2_b64 v[99:102], v125 offset0:68 offset1:69
	buffer_load_dword v13, off, s[20:23], 0 ; 4-byte Folded Reload
	buffer_load_dword v14, off, s[20:23], 0 offset:4 ; 4-byte Folded Reload
	buffer_load_dword v15, off, s[20:23], 0 offset:8 ; 4-byte Folded Reload
	;; [unrolled: 1-line block ×3, first 2 shown]
	s_waitcnt lgkmcnt(0)
	v_mul_f64 v[103:104], v[101:102], v[87:88]
	v_fma_f64 v[103:104], v[99:100], v[97:98], -v[103:104]
	v_mul_f64 v[99:100], v[99:100], v[87:88]
	v_fma_f64 v[99:100], v[101:102], v[97:98], v[99:100]
	s_waitcnt vmcnt(2)
	v_add_f64 v[13:14], v[13:14], -v[103:104]
	s_waitcnt vmcnt(0)
	v_add_f64 v[15:16], v[15:16], -v[99:100]
	buffer_store_dword v13, off, s[20:23], 0 ; 4-byte Folded Spill
	s_nop 0
	buffer_store_dword v14, off, s[20:23], 0 offset:4 ; 4-byte Folded Spill
	buffer_store_dword v15, off, s[20:23], 0 offset:8 ; 4-byte Folded Spill
	;; [unrolled: 1-line block ×3, first 2 shown]
	ds_read2_b64 v[99:102], v125 offset0:70 offset1:71
	s_waitcnt lgkmcnt(0)
	v_mul_f64 v[103:104], v[101:102], v[87:88]
	v_fma_f64 v[103:104], v[99:100], v[97:98], -v[103:104]
	v_mul_f64 v[99:100], v[99:100], v[87:88]
	v_add_f64 v[9:10], v[9:10], -v[103:104]
	v_fma_f64 v[99:100], v[101:102], v[97:98], v[99:100]
	v_add_f64 v[11:12], v[11:12], -v[99:100]
	ds_read2_b64 v[99:102], v125 offset0:72 offset1:73
	s_waitcnt lgkmcnt(0)
	v_mul_f64 v[103:104], v[101:102], v[87:88]
	v_fma_f64 v[103:104], v[99:100], v[97:98], -v[103:104]
	v_mul_f64 v[99:100], v[99:100], v[87:88]
	v_add_f64 v[5:6], v[5:6], -v[103:104]
	v_fma_f64 v[99:100], v[101:102], v[97:98], v[99:100]
	v_add_f64 v[7:8], v[7:8], -v[99:100]
	;; [unrolled: 8-line block ×3, first 2 shown]
	ds_read2_b64 v[99:102], v125 offset0:76 offset1:77
	buffer_load_dword v13, off, s[20:23], 0 offset:48 ; 4-byte Folded Reload
	buffer_load_dword v14, off, s[20:23], 0 offset:52 ; 4-byte Folded Reload
	;; [unrolled: 1-line block ×4, first 2 shown]
	s_waitcnt lgkmcnt(0)
	v_mul_f64 v[103:104], v[101:102], v[87:88]
	v_fma_f64 v[103:104], v[99:100], v[97:98], -v[103:104]
	v_mul_f64 v[99:100], v[99:100], v[87:88]
	v_fma_f64 v[99:100], v[101:102], v[97:98], v[99:100]
	s_waitcnt vmcnt(2)
	v_add_f64 v[13:14], v[13:14], -v[103:104]
	s_waitcnt vmcnt(0)
	v_add_f64 v[15:16], v[15:16], -v[99:100]
	buffer_store_dword v13, off, s[20:23], 0 offset:48 ; 4-byte Folded Spill
	s_nop 0
	buffer_store_dword v14, off, s[20:23], 0 offset:52 ; 4-byte Folded Spill
	buffer_store_dword v15, off, s[20:23], 0 offset:56 ; 4-byte Folded Spill
	;; [unrolled: 1-line block ×3, first 2 shown]
.LBB77_118:
	s_or_b64 exec, exec, s[2:3]
	v_cmp_eq_u32_e32 vcc, 13, v127
	s_waitcnt vmcnt(0)
	s_barrier
	s_and_saveexec_b64 s[4:5], vcc
	s_cbranch_execz .LBB77_125
; %bb.119:
	ds_write2_b64 v0, v[121:122], v[123:124] offset1:1
	ds_write2_b64 v125, v[109:110], v[111:112] offset0:28 offset1:29
	buffer_load_dword v81, off, s[20:23], 0 offset:80 ; 4-byte Folded Reload
	buffer_load_dword v82, off, s[20:23], 0 offset:84 ; 4-byte Folded Reload
	buffer_load_dword v83, off, s[20:23], 0 offset:88 ; 4-byte Folded Reload
	buffer_load_dword v84, off, s[20:23], 0 offset:92 ; 4-byte Folded Reload
	s_waitcnt vmcnt(0)
	ds_write2_b64 v125, v[81:82], v[83:84] offset0:30 offset1:31
	buffer_load_dword v13, off, s[20:23], 0 offset:64 ; 4-byte Folded Reload
	buffer_load_dword v14, off, s[20:23], 0 offset:68 ; 4-byte Folded Reload
	buffer_load_dword v15, off, s[20:23], 0 offset:72 ; 4-byte Folded Reload
	buffer_load_dword v16, off, s[20:23], 0 offset:76 ; 4-byte Folded Reload
	s_waitcnt vmcnt(0)
	;; [unrolled: 6-line block ×4, first 2 shown]
	ds_write2_b64 v125, v[13:14], v[15:16] offset0:36 offset1:37
	ds_write2_b64 v125, v[73:74], v[75:76] offset0:38 offset1:39
	;; [unrolled: 1-line block ×16, first 2 shown]
	buffer_load_dword v13, off, s[20:23], 0 ; 4-byte Folded Reload
	buffer_load_dword v14, off, s[20:23], 0 offset:4 ; 4-byte Folded Reload
	buffer_load_dword v15, off, s[20:23], 0 offset:8 ; 4-byte Folded Reload
	;; [unrolled: 1-line block ×3, first 2 shown]
	s_waitcnt vmcnt(0)
	ds_write2_b64 v125, v[13:14], v[15:16] offset0:68 offset1:69
	ds_write2_b64 v125, v[9:10], v[11:12] offset0:70 offset1:71
	;; [unrolled: 1-line block ×4, first 2 shown]
	buffer_load_dword v13, off, s[20:23], 0 offset:48 ; 4-byte Folded Reload
	buffer_load_dword v14, off, s[20:23], 0 offset:52 ; 4-byte Folded Reload
	;; [unrolled: 1-line block ×4, first 2 shown]
	s_waitcnt vmcnt(0)
	ds_write2_b64 v125, v[13:14], v[15:16] offset0:76 offset1:77
	ds_read2_b64 v[97:100], v0 offset1:1
	s_waitcnt lgkmcnt(0)
	v_cmp_neq_f64_e32 vcc, 0, v[97:98]
	v_cmp_neq_f64_e64 s[2:3], 0, v[99:100]
	s_or_b64 s[2:3], vcc, s[2:3]
	s_and_b64 exec, exec, s[2:3]
	s_cbranch_execz .LBB77_125
; %bb.120:
	v_cmp_ngt_f64_e64 s[2:3], |v[97:98]|, |v[99:100]|
                                        ; implicit-def: $vgpr101_vgpr102
	s_and_saveexec_b64 s[6:7], s[2:3]
	s_xor_b64 s[2:3], exec, s[6:7]
                                        ; implicit-def: $vgpr103_vgpr104
	s_cbranch_execz .LBB77_122
; %bb.121:
	v_div_scale_f64 v[101:102], s[6:7], v[99:100], v[99:100], v[97:98]
	v_rcp_f64_e32 v[103:104], v[101:102]
	v_fma_f64 v[105:106], -v[101:102], v[103:104], 1.0
	v_fma_f64 v[103:104], v[103:104], v[105:106], v[103:104]
	v_div_scale_f64 v[105:106], vcc, v[97:98], v[99:100], v[97:98]
	v_fma_f64 v[107:108], -v[101:102], v[103:104], 1.0
	v_fma_f64 v[103:104], v[103:104], v[107:108], v[103:104]
	v_mul_f64 v[107:108], v[105:106], v[103:104]
	v_fma_f64 v[101:102], -v[101:102], v[107:108], v[105:106]
	v_div_fmas_f64 v[101:102], v[101:102], v[103:104], v[107:108]
	v_div_fixup_f64 v[101:102], v[101:102], v[99:100], v[97:98]
	v_fma_f64 v[97:98], v[97:98], v[101:102], v[99:100]
	v_div_scale_f64 v[99:100], s[6:7], v[97:98], v[97:98], 1.0
	v_div_scale_f64 v[107:108], vcc, 1.0, v[97:98], 1.0
	v_rcp_f64_e32 v[103:104], v[99:100]
	v_fma_f64 v[105:106], -v[99:100], v[103:104], 1.0
	v_fma_f64 v[103:104], v[103:104], v[105:106], v[103:104]
	v_fma_f64 v[105:106], -v[99:100], v[103:104], 1.0
	v_fma_f64 v[103:104], v[103:104], v[105:106], v[103:104]
	v_mul_f64 v[105:106], v[107:108], v[103:104]
	v_fma_f64 v[99:100], -v[99:100], v[105:106], v[107:108]
	v_div_fmas_f64 v[99:100], v[99:100], v[103:104], v[105:106]
	v_div_fixup_f64 v[103:104], v[99:100], v[97:98], 1.0
                                        ; implicit-def: $vgpr97_vgpr98
	v_mul_f64 v[101:102], v[101:102], v[103:104]
	v_xor_b32_e32 v104, 0x80000000, v104
.LBB77_122:
	s_andn2_saveexec_b64 s[2:3], s[2:3]
	s_cbranch_execz .LBB77_124
; %bb.123:
	v_div_scale_f64 v[101:102], s[6:7], v[97:98], v[97:98], v[99:100]
	v_rcp_f64_e32 v[103:104], v[101:102]
	v_fma_f64 v[105:106], -v[101:102], v[103:104], 1.0
	v_fma_f64 v[103:104], v[103:104], v[105:106], v[103:104]
	v_div_scale_f64 v[105:106], vcc, v[99:100], v[97:98], v[99:100]
	v_fma_f64 v[107:108], -v[101:102], v[103:104], 1.0
	v_fma_f64 v[103:104], v[103:104], v[107:108], v[103:104]
	v_mul_f64 v[107:108], v[105:106], v[103:104]
	v_fma_f64 v[101:102], -v[101:102], v[107:108], v[105:106]
	v_div_fmas_f64 v[101:102], v[101:102], v[103:104], v[107:108]
	v_div_fixup_f64 v[103:104], v[101:102], v[97:98], v[99:100]
	v_fma_f64 v[97:98], v[99:100], v[103:104], v[97:98]
	v_div_scale_f64 v[99:100], s[6:7], v[97:98], v[97:98], 1.0
	v_div_scale_f64 v[107:108], vcc, 1.0, v[97:98], 1.0
	v_rcp_f64_e32 v[101:102], v[99:100]
	v_fma_f64 v[105:106], -v[99:100], v[101:102], 1.0
	v_fma_f64 v[101:102], v[101:102], v[105:106], v[101:102]
	v_fma_f64 v[105:106], -v[99:100], v[101:102], 1.0
	v_fma_f64 v[101:102], v[101:102], v[105:106], v[101:102]
	v_mul_f64 v[105:106], v[107:108], v[101:102]
	v_fma_f64 v[99:100], -v[99:100], v[105:106], v[107:108]
	v_div_fmas_f64 v[99:100], v[99:100], v[101:102], v[105:106]
	v_div_fixup_f64 v[101:102], v[99:100], v[97:98], 1.0
	v_mul_f64 v[103:104], v[103:104], -v[101:102]
.LBB77_124:
	s_or_b64 exec, exec, s[2:3]
	ds_write2_b64 v0, v[101:102], v[103:104] offset1:1
.LBB77_125:
	s_or_b64 exec, exec, s[4:5]
	s_waitcnt lgkmcnt(0)
	s_barrier
	ds_read2_b64 v[13:16], v0 offset1:1
	v_cmp_lt_u32_e32 vcc, 13, v127
	s_waitcnt lgkmcnt(0)
	buffer_store_dword v13, off, s[20:23], 0 offset:812 ; 4-byte Folded Spill
	s_nop 0
	buffer_store_dword v14, off, s[20:23], 0 offset:816 ; 4-byte Folded Spill
	buffer_store_dword v15, off, s[20:23], 0 offset:820 ; 4-byte Folded Spill
	;; [unrolled: 1-line block ×3, first 2 shown]
	s_and_saveexec_b64 s[2:3], vcc
	s_cbranch_execz .LBB77_127
; %bb.126:
	buffer_load_dword v13, off, s[20:23], 0 offset:812 ; 4-byte Folded Reload
	buffer_load_dword v14, off, s[20:23], 0 offset:816 ; 4-byte Folded Reload
	;; [unrolled: 1-line block ×4, first 2 shown]
	s_waitcnt vmcnt(2)
	v_mul_f64 v[99:100], v[13:14], v[123:124]
	s_waitcnt vmcnt(0)
	v_mul_f64 v[97:98], v[15:16], v[123:124]
	v_fma_f64 v[123:124], v[15:16], v[121:122], v[99:100]
	ds_read2_b64 v[99:102], v125 offset0:28 offset1:29
	v_fma_f64 v[97:98], v[13:14], v[121:122], -v[97:98]
	s_waitcnt lgkmcnt(0)
	v_mul_f64 v[103:104], v[101:102], v[123:124]
	v_mov_b32_e32 v122, v98
	v_mov_b32_e32 v121, v97
	v_fma_f64 v[103:104], v[99:100], v[97:98], -v[103:104]
	v_mul_f64 v[99:100], v[99:100], v[123:124]
	v_add_f64 v[109:110], v[109:110], -v[103:104]
	v_fma_f64 v[99:100], v[101:102], v[97:98], v[99:100]
	v_add_f64 v[111:112], v[111:112], -v[99:100]
	ds_read2_b64 v[99:102], v125 offset0:30 offset1:31
	buffer_load_dword v81, off, s[20:23], 0 offset:80 ; 4-byte Folded Reload
	buffer_load_dword v82, off, s[20:23], 0 offset:84 ; 4-byte Folded Reload
	buffer_load_dword v83, off, s[20:23], 0 offset:88 ; 4-byte Folded Reload
	buffer_load_dword v84, off, s[20:23], 0 offset:92 ; 4-byte Folded Reload
	s_waitcnt lgkmcnt(0)
	v_mul_f64 v[103:104], v[101:102], v[123:124]
	v_fma_f64 v[103:104], v[99:100], v[97:98], -v[103:104]
	v_mul_f64 v[99:100], v[99:100], v[123:124]
	v_fma_f64 v[99:100], v[101:102], v[97:98], v[99:100]
	s_waitcnt vmcnt(2)
	v_add_f64 v[81:82], v[81:82], -v[103:104]
	s_waitcnt vmcnt(0)
	v_add_f64 v[83:84], v[83:84], -v[99:100]
	buffer_store_dword v81, off, s[20:23], 0 offset:80 ; 4-byte Folded Spill
	s_nop 0
	buffer_store_dword v82, off, s[20:23], 0 offset:84 ; 4-byte Folded Spill
	buffer_store_dword v83, off, s[20:23], 0 offset:88 ; 4-byte Folded Spill
	buffer_store_dword v84, off, s[20:23], 0 offset:92 ; 4-byte Folded Spill
	ds_read2_b64 v[99:102], v125 offset0:32 offset1:33
	buffer_load_dword v13, off, s[20:23], 0 offset:64 ; 4-byte Folded Reload
	buffer_load_dword v14, off, s[20:23], 0 offset:68 ; 4-byte Folded Reload
	buffer_load_dword v15, off, s[20:23], 0 offset:72 ; 4-byte Folded Reload
	buffer_load_dword v16, off, s[20:23], 0 offset:76 ; 4-byte Folded Reload
	s_waitcnt lgkmcnt(0)
	v_mul_f64 v[103:104], v[101:102], v[123:124]
	v_fma_f64 v[103:104], v[99:100], v[97:98], -v[103:104]
	v_mul_f64 v[99:100], v[99:100], v[123:124]
	v_fma_f64 v[99:100], v[101:102], v[97:98], v[99:100]
	s_waitcnt vmcnt(2)
	v_add_f64 v[13:14], v[13:14], -v[103:104]
	s_waitcnt vmcnt(0)
	v_add_f64 v[15:16], v[15:16], -v[99:100]
	buffer_store_dword v13, off, s[20:23], 0 offset:64 ; 4-byte Folded Spill
	s_nop 0
	buffer_store_dword v14, off, s[20:23], 0 offset:68 ; 4-byte Folded Spill
	buffer_store_dword v15, off, s[20:23], 0 offset:72 ; 4-byte Folded Spill
	buffer_store_dword v16, off, s[20:23], 0 offset:76 ; 4-byte Folded Spill
	;; [unrolled: 19-line block ×4, first 2 shown]
	ds_read2_b64 v[99:102], v125 offset0:38 offset1:39
	s_waitcnt lgkmcnt(0)
	v_mul_f64 v[103:104], v[101:102], v[123:124]
	v_fma_f64 v[103:104], v[99:100], v[97:98], -v[103:104]
	v_mul_f64 v[99:100], v[99:100], v[123:124]
	v_add_f64 v[73:74], v[73:74], -v[103:104]
	v_fma_f64 v[99:100], v[101:102], v[97:98], v[99:100]
	v_add_f64 v[75:76], v[75:76], -v[99:100]
	ds_read2_b64 v[99:102], v125 offset0:40 offset1:41
	s_waitcnt lgkmcnt(0)
	v_mul_f64 v[103:104], v[101:102], v[123:124]
	v_fma_f64 v[103:104], v[99:100], v[97:98], -v[103:104]
	v_mul_f64 v[99:100], v[99:100], v[123:124]
	v_add_f64 v[69:70], v[69:70], -v[103:104]
	v_fma_f64 v[99:100], v[101:102], v[97:98], v[99:100]
	v_add_f64 v[71:72], v[71:72], -v[99:100]
	;; [unrolled: 8-line block ×15, first 2 shown]
	ds_read2_b64 v[99:102], v125 offset0:68 offset1:69
	buffer_load_dword v13, off, s[20:23], 0 ; 4-byte Folded Reload
	buffer_load_dword v14, off, s[20:23], 0 offset:4 ; 4-byte Folded Reload
	buffer_load_dword v15, off, s[20:23], 0 offset:8 ; 4-byte Folded Reload
	;; [unrolled: 1-line block ×3, first 2 shown]
	s_waitcnt lgkmcnt(0)
	v_mul_f64 v[103:104], v[101:102], v[123:124]
	v_fma_f64 v[103:104], v[99:100], v[97:98], -v[103:104]
	v_mul_f64 v[99:100], v[99:100], v[123:124]
	v_fma_f64 v[99:100], v[101:102], v[97:98], v[99:100]
	s_waitcnt vmcnt(2)
	v_add_f64 v[13:14], v[13:14], -v[103:104]
	s_waitcnt vmcnt(0)
	v_add_f64 v[15:16], v[15:16], -v[99:100]
	buffer_store_dword v13, off, s[20:23], 0 ; 4-byte Folded Spill
	s_nop 0
	buffer_store_dword v14, off, s[20:23], 0 offset:4 ; 4-byte Folded Spill
	buffer_store_dword v15, off, s[20:23], 0 offset:8 ; 4-byte Folded Spill
	;; [unrolled: 1-line block ×3, first 2 shown]
	ds_read2_b64 v[99:102], v125 offset0:70 offset1:71
	s_waitcnt lgkmcnt(0)
	v_mul_f64 v[103:104], v[101:102], v[123:124]
	v_fma_f64 v[103:104], v[99:100], v[97:98], -v[103:104]
	v_mul_f64 v[99:100], v[99:100], v[123:124]
	v_add_f64 v[9:10], v[9:10], -v[103:104]
	v_fma_f64 v[99:100], v[101:102], v[97:98], v[99:100]
	v_add_f64 v[11:12], v[11:12], -v[99:100]
	ds_read2_b64 v[99:102], v125 offset0:72 offset1:73
	s_waitcnt lgkmcnt(0)
	v_mul_f64 v[103:104], v[101:102], v[123:124]
	v_fma_f64 v[103:104], v[99:100], v[97:98], -v[103:104]
	v_mul_f64 v[99:100], v[99:100], v[123:124]
	v_add_f64 v[5:6], v[5:6], -v[103:104]
	v_fma_f64 v[99:100], v[101:102], v[97:98], v[99:100]
	v_add_f64 v[7:8], v[7:8], -v[99:100]
	;; [unrolled: 8-line block ×3, first 2 shown]
	ds_read2_b64 v[99:102], v125 offset0:76 offset1:77
	buffer_load_dword v13, off, s[20:23], 0 offset:48 ; 4-byte Folded Reload
	buffer_load_dword v14, off, s[20:23], 0 offset:52 ; 4-byte Folded Reload
	;; [unrolled: 1-line block ×4, first 2 shown]
	s_waitcnt lgkmcnt(0)
	v_mul_f64 v[103:104], v[101:102], v[123:124]
	v_fma_f64 v[103:104], v[99:100], v[97:98], -v[103:104]
	v_mul_f64 v[99:100], v[99:100], v[123:124]
	v_fma_f64 v[99:100], v[101:102], v[97:98], v[99:100]
	s_waitcnt vmcnt(2)
	v_add_f64 v[13:14], v[13:14], -v[103:104]
	s_waitcnt vmcnt(0)
	v_add_f64 v[15:16], v[15:16], -v[99:100]
	buffer_store_dword v13, off, s[20:23], 0 offset:48 ; 4-byte Folded Spill
	s_nop 0
	buffer_store_dword v14, off, s[20:23], 0 offset:52 ; 4-byte Folded Spill
	buffer_store_dword v15, off, s[20:23], 0 offset:56 ; 4-byte Folded Spill
	;; [unrolled: 1-line block ×3, first 2 shown]
.LBB77_127:
	s_or_b64 exec, exec, s[2:3]
	v_cmp_eq_u32_e32 vcc, 14, v127
	s_waitcnt vmcnt(0)
	s_barrier
	s_and_saveexec_b64 s[4:5], vcc
	s_cbranch_execz .LBB77_134
; %bb.128:
	ds_write2_b64 v0, v[109:110], v[111:112] offset1:1
	buffer_load_dword v81, off, s[20:23], 0 offset:80 ; 4-byte Folded Reload
	buffer_load_dword v82, off, s[20:23], 0 offset:84 ; 4-byte Folded Reload
	buffer_load_dword v83, off, s[20:23], 0 offset:88 ; 4-byte Folded Reload
	buffer_load_dword v84, off, s[20:23], 0 offset:92 ; 4-byte Folded Reload
	s_waitcnt vmcnt(0)
	ds_write2_b64 v125, v[81:82], v[83:84] offset0:30 offset1:31
	buffer_load_dword v13, off, s[20:23], 0 offset:64 ; 4-byte Folded Reload
	buffer_load_dword v14, off, s[20:23], 0 offset:68 ; 4-byte Folded Reload
	buffer_load_dword v15, off, s[20:23], 0 offset:72 ; 4-byte Folded Reload
	buffer_load_dword v16, off, s[20:23], 0 offset:76 ; 4-byte Folded Reload
	s_waitcnt vmcnt(0)
	ds_write2_b64 v125, v[13:14], v[15:16] offset0:32 offset1:33
	;; [unrolled: 6-line block ×4, first 2 shown]
	ds_write2_b64 v125, v[73:74], v[75:76] offset0:38 offset1:39
	ds_write2_b64 v125, v[69:70], v[71:72] offset0:40 offset1:41
	;; [unrolled: 1-line block ×15, first 2 shown]
	buffer_load_dword v13, off, s[20:23], 0 ; 4-byte Folded Reload
	buffer_load_dword v14, off, s[20:23], 0 offset:4 ; 4-byte Folded Reload
	buffer_load_dword v15, off, s[20:23], 0 offset:8 ; 4-byte Folded Reload
	;; [unrolled: 1-line block ×3, first 2 shown]
	s_waitcnt vmcnt(0)
	ds_write2_b64 v125, v[13:14], v[15:16] offset0:68 offset1:69
	ds_write2_b64 v125, v[9:10], v[11:12] offset0:70 offset1:71
	;; [unrolled: 1-line block ×4, first 2 shown]
	buffer_load_dword v13, off, s[20:23], 0 offset:48 ; 4-byte Folded Reload
	buffer_load_dword v14, off, s[20:23], 0 offset:52 ; 4-byte Folded Reload
	;; [unrolled: 1-line block ×4, first 2 shown]
	s_waitcnt vmcnt(0)
	ds_write2_b64 v125, v[13:14], v[15:16] offset0:76 offset1:77
	ds_read2_b64 v[97:100], v0 offset1:1
	s_waitcnt lgkmcnt(0)
	v_cmp_neq_f64_e32 vcc, 0, v[97:98]
	v_cmp_neq_f64_e64 s[2:3], 0, v[99:100]
	s_or_b64 s[2:3], vcc, s[2:3]
	s_and_b64 exec, exec, s[2:3]
	s_cbranch_execz .LBB77_134
; %bb.129:
	v_cmp_ngt_f64_e64 s[2:3], |v[97:98]|, |v[99:100]|
                                        ; implicit-def: $vgpr101_vgpr102
	s_and_saveexec_b64 s[6:7], s[2:3]
	s_xor_b64 s[2:3], exec, s[6:7]
                                        ; implicit-def: $vgpr103_vgpr104
	s_cbranch_execz .LBB77_131
; %bb.130:
	v_div_scale_f64 v[101:102], s[6:7], v[99:100], v[99:100], v[97:98]
	v_rcp_f64_e32 v[103:104], v[101:102]
	v_fma_f64 v[105:106], -v[101:102], v[103:104], 1.0
	v_fma_f64 v[103:104], v[103:104], v[105:106], v[103:104]
	v_div_scale_f64 v[105:106], vcc, v[97:98], v[99:100], v[97:98]
	v_fma_f64 v[107:108], -v[101:102], v[103:104], 1.0
	v_fma_f64 v[103:104], v[103:104], v[107:108], v[103:104]
	v_mul_f64 v[107:108], v[105:106], v[103:104]
	v_fma_f64 v[101:102], -v[101:102], v[107:108], v[105:106]
	v_div_fmas_f64 v[101:102], v[101:102], v[103:104], v[107:108]
	v_div_fixup_f64 v[101:102], v[101:102], v[99:100], v[97:98]
	v_fma_f64 v[97:98], v[97:98], v[101:102], v[99:100]
	v_div_scale_f64 v[99:100], s[6:7], v[97:98], v[97:98], 1.0
	v_div_scale_f64 v[107:108], vcc, 1.0, v[97:98], 1.0
	v_rcp_f64_e32 v[103:104], v[99:100]
	v_fma_f64 v[105:106], -v[99:100], v[103:104], 1.0
	v_fma_f64 v[103:104], v[103:104], v[105:106], v[103:104]
	v_fma_f64 v[105:106], -v[99:100], v[103:104], 1.0
	v_fma_f64 v[103:104], v[103:104], v[105:106], v[103:104]
	v_mul_f64 v[105:106], v[107:108], v[103:104]
	v_fma_f64 v[99:100], -v[99:100], v[105:106], v[107:108]
	v_div_fmas_f64 v[99:100], v[99:100], v[103:104], v[105:106]
	v_div_fixup_f64 v[103:104], v[99:100], v[97:98], 1.0
                                        ; implicit-def: $vgpr97_vgpr98
	v_mul_f64 v[101:102], v[101:102], v[103:104]
	v_xor_b32_e32 v104, 0x80000000, v104
.LBB77_131:
	s_andn2_saveexec_b64 s[2:3], s[2:3]
	s_cbranch_execz .LBB77_133
; %bb.132:
	v_div_scale_f64 v[101:102], s[6:7], v[97:98], v[97:98], v[99:100]
	v_rcp_f64_e32 v[103:104], v[101:102]
	v_fma_f64 v[105:106], -v[101:102], v[103:104], 1.0
	v_fma_f64 v[103:104], v[103:104], v[105:106], v[103:104]
	v_div_scale_f64 v[105:106], vcc, v[99:100], v[97:98], v[99:100]
	v_fma_f64 v[107:108], -v[101:102], v[103:104], 1.0
	v_fma_f64 v[103:104], v[103:104], v[107:108], v[103:104]
	v_mul_f64 v[107:108], v[105:106], v[103:104]
	v_fma_f64 v[101:102], -v[101:102], v[107:108], v[105:106]
	v_div_fmas_f64 v[101:102], v[101:102], v[103:104], v[107:108]
	v_div_fixup_f64 v[103:104], v[101:102], v[97:98], v[99:100]
	v_fma_f64 v[97:98], v[99:100], v[103:104], v[97:98]
	v_div_scale_f64 v[99:100], s[6:7], v[97:98], v[97:98], 1.0
	v_div_scale_f64 v[107:108], vcc, 1.0, v[97:98], 1.0
	v_rcp_f64_e32 v[101:102], v[99:100]
	v_fma_f64 v[105:106], -v[99:100], v[101:102], 1.0
	v_fma_f64 v[101:102], v[101:102], v[105:106], v[101:102]
	v_fma_f64 v[105:106], -v[99:100], v[101:102], 1.0
	v_fma_f64 v[101:102], v[101:102], v[105:106], v[101:102]
	v_mul_f64 v[105:106], v[107:108], v[101:102]
	v_fma_f64 v[99:100], -v[99:100], v[105:106], v[107:108]
	v_div_fmas_f64 v[99:100], v[99:100], v[101:102], v[105:106]
	v_div_fixup_f64 v[101:102], v[99:100], v[97:98], 1.0
	v_mul_f64 v[103:104], v[103:104], -v[101:102]
.LBB77_133:
	s_or_b64 exec, exec, s[2:3]
	ds_write2_b64 v0, v[101:102], v[103:104] offset1:1
.LBB77_134:
	s_or_b64 exec, exec, s[4:5]
	s_waitcnt lgkmcnt(0)
	s_barrier
	ds_read2_b64 v[13:16], v0 offset1:1
	v_cmp_lt_u32_e32 vcc, 14, v127
	s_waitcnt lgkmcnt(0)
	buffer_store_dword v13, off, s[20:23], 0 offset:828 ; 4-byte Folded Spill
	s_nop 0
	buffer_store_dword v14, off, s[20:23], 0 offset:832 ; 4-byte Folded Spill
	buffer_store_dword v15, off, s[20:23], 0 offset:836 ; 4-byte Folded Spill
	;; [unrolled: 1-line block ×3, first 2 shown]
	s_mov_b64 s[2:3], exec
	s_and_b64 s[4:5], s[2:3], vcc
	buffer_store_dword v93, off, s[20:23], 0 offset:240 ; 4-byte Folded Spill
	s_nop 0
	buffer_store_dword v94, off, s[20:23], 0 offset:244 ; 4-byte Folded Spill
	buffer_store_dword v95, off, s[20:23], 0 offset:248 ; 4-byte Folded Spill
	;; [unrolled: 1-line block ×3, first 2 shown]
	s_mov_b64 exec, s[4:5]
	s_cbranch_execz .LBB77_136
; %bb.135:
	buffer_load_dword v13, off, s[20:23], 0 offset:828 ; 4-byte Folded Reload
	buffer_load_dword v14, off, s[20:23], 0 offset:832 ; 4-byte Folded Reload
	;; [unrolled: 1-line block ×8, first 2 shown]
	ds_read2_b64 v[99:102], v125 offset0:30 offset1:31
	buffer_load_dword v81, off, s[20:23], 0 offset:80 ; 4-byte Folded Reload
	buffer_load_dword v82, off, s[20:23], 0 offset:84 ; 4-byte Folded Reload
	;; [unrolled: 1-line block ×4, first 2 shown]
	s_waitcnt vmcnt(10)
	v_mul_f64 v[95:96], v[13:14], v[111:112]
	s_waitcnt vmcnt(8)
	v_mul_f64 v[97:98], v[15:16], v[111:112]
	v_fma_f64 v[111:112], v[15:16], v[109:110], v[95:96]
	v_fma_f64 v[97:98], v[13:14], v[109:110], -v[97:98]
	s_waitcnt lgkmcnt(0)
	v_mul_f64 v[93:94], v[101:102], v[111:112]
	v_mov_b32_e32 v110, v98
	v_mov_b32_e32 v109, v97
	v_fma_f64 v[93:94], v[99:100], v[97:98], -v[93:94]
	v_mul_f64 v[99:100], v[99:100], v[111:112]
	s_waitcnt vmcnt(2)
	v_add_f64 v[81:82], v[81:82], -v[93:94]
	v_fma_f64 v[99:100], v[101:102], v[97:98], v[99:100]
	s_waitcnt vmcnt(0)
	v_add_f64 v[83:84], v[83:84], -v[99:100]
	buffer_store_dword v81, off, s[20:23], 0 offset:80 ; 4-byte Folded Spill
	s_nop 0
	buffer_store_dword v82, off, s[20:23], 0 offset:84 ; 4-byte Folded Spill
	buffer_store_dword v83, off, s[20:23], 0 offset:88 ; 4-byte Folded Spill
	;; [unrolled: 1-line block ×3, first 2 shown]
	ds_read2_b64 v[99:102], v125 offset0:32 offset1:33
	buffer_load_dword v13, off, s[20:23], 0 offset:64 ; 4-byte Folded Reload
	buffer_load_dword v14, off, s[20:23], 0 offset:68 ; 4-byte Folded Reload
	;; [unrolled: 1-line block ×4, first 2 shown]
	s_waitcnt lgkmcnt(0)
	v_mul_f64 v[93:94], v[101:102], v[111:112]
	v_fma_f64 v[93:94], v[99:100], v[97:98], -v[93:94]
	v_mul_f64 v[99:100], v[99:100], v[111:112]
	v_fma_f64 v[99:100], v[101:102], v[97:98], v[99:100]
	s_waitcnt vmcnt(2)
	v_add_f64 v[13:14], v[13:14], -v[93:94]
	s_waitcnt vmcnt(0)
	v_add_f64 v[15:16], v[15:16], -v[99:100]
	buffer_store_dword v13, off, s[20:23], 0 offset:64 ; 4-byte Folded Spill
	s_nop 0
	buffer_store_dword v14, off, s[20:23], 0 offset:68 ; 4-byte Folded Spill
	buffer_store_dword v15, off, s[20:23], 0 offset:72 ; 4-byte Folded Spill
	;; [unrolled: 1-line block ×3, first 2 shown]
	ds_read2_b64 v[99:102], v125 offset0:34 offset1:35
	s_waitcnt lgkmcnt(0)
	v_mul_f64 v[93:94], v[101:102], v[111:112]
	v_fma_f64 v[93:94], v[99:100], v[97:98], -v[93:94]
	v_mul_f64 v[99:100], v[99:100], v[111:112]
	v_add_f64 v[103:104], v[103:104], -v[93:94]
	v_fma_f64 v[99:100], v[101:102], v[97:98], v[99:100]
	v_add_f64 v[105:106], v[105:106], -v[99:100]
	buffer_store_dword v103, off, s[20:23], 0 offset:32 ; 4-byte Folded Spill
	s_nop 0
	buffer_store_dword v104, off, s[20:23], 0 offset:36 ; 4-byte Folded Spill
	buffer_store_dword v105, off, s[20:23], 0 offset:40 ; 4-byte Folded Spill
	buffer_store_dword v106, off, s[20:23], 0 offset:44 ; 4-byte Folded Spill
	ds_read2_b64 v[99:102], v125 offset0:36 offset1:37
	buffer_load_dword v13, off, s[20:23], 0 offset:16 ; 4-byte Folded Reload
	buffer_load_dword v14, off, s[20:23], 0 offset:20 ; 4-byte Folded Reload
	;; [unrolled: 1-line block ×4, first 2 shown]
	s_waitcnt lgkmcnt(0)
	v_mul_f64 v[93:94], v[101:102], v[111:112]
	v_fma_f64 v[93:94], v[99:100], v[97:98], -v[93:94]
	v_mul_f64 v[99:100], v[99:100], v[111:112]
	v_fma_f64 v[99:100], v[101:102], v[97:98], v[99:100]
	s_waitcnt vmcnt(2)
	v_add_f64 v[13:14], v[13:14], -v[93:94]
	s_waitcnt vmcnt(0)
	v_add_f64 v[15:16], v[15:16], -v[99:100]
	buffer_store_dword v13, off, s[20:23], 0 offset:16 ; 4-byte Folded Spill
	s_nop 0
	buffer_store_dword v14, off, s[20:23], 0 offset:20 ; 4-byte Folded Spill
	buffer_store_dword v15, off, s[20:23], 0 offset:24 ; 4-byte Folded Spill
	;; [unrolled: 1-line block ×3, first 2 shown]
	ds_read2_b64 v[99:102], v125 offset0:38 offset1:39
	s_waitcnt lgkmcnt(0)
	v_mul_f64 v[93:94], v[101:102], v[111:112]
	v_fma_f64 v[93:94], v[99:100], v[97:98], -v[93:94]
	v_mul_f64 v[99:100], v[99:100], v[111:112]
	v_add_f64 v[73:74], v[73:74], -v[93:94]
	v_fma_f64 v[99:100], v[101:102], v[97:98], v[99:100]
	v_add_f64 v[75:76], v[75:76], -v[99:100]
	ds_read2_b64 v[99:102], v125 offset0:40 offset1:41
	s_waitcnt lgkmcnt(0)
	v_mul_f64 v[93:94], v[101:102], v[111:112]
	v_fma_f64 v[93:94], v[99:100], v[97:98], -v[93:94]
	v_mul_f64 v[99:100], v[99:100], v[111:112]
	v_add_f64 v[69:70], v[69:70], -v[93:94]
	v_fma_f64 v[99:100], v[101:102], v[97:98], v[99:100]
	v_add_f64 v[71:72], v[71:72], -v[99:100]
	;; [unrolled: 8-line block ×15, first 2 shown]
	ds_read2_b64 v[99:102], v125 offset0:68 offset1:69
	buffer_load_dword v13, off, s[20:23], 0 ; 4-byte Folded Reload
	buffer_load_dword v14, off, s[20:23], 0 offset:4 ; 4-byte Folded Reload
	buffer_load_dword v15, off, s[20:23], 0 offset:8 ; 4-byte Folded Reload
	;; [unrolled: 1-line block ×3, first 2 shown]
	s_waitcnt lgkmcnt(0)
	v_mul_f64 v[93:94], v[101:102], v[111:112]
	v_fma_f64 v[93:94], v[99:100], v[97:98], -v[93:94]
	v_mul_f64 v[99:100], v[99:100], v[111:112]
	v_fma_f64 v[99:100], v[101:102], v[97:98], v[99:100]
	s_waitcnt vmcnt(2)
	v_add_f64 v[13:14], v[13:14], -v[93:94]
	s_waitcnt vmcnt(0)
	v_add_f64 v[15:16], v[15:16], -v[99:100]
	buffer_store_dword v13, off, s[20:23], 0 ; 4-byte Folded Spill
	s_nop 0
	buffer_store_dword v14, off, s[20:23], 0 offset:4 ; 4-byte Folded Spill
	buffer_store_dword v15, off, s[20:23], 0 offset:8 ; 4-byte Folded Spill
	buffer_store_dword v16, off, s[20:23], 0 offset:12 ; 4-byte Folded Spill
	ds_read2_b64 v[99:102], v125 offset0:70 offset1:71
	s_waitcnt lgkmcnt(0)
	v_mul_f64 v[93:94], v[101:102], v[111:112]
	v_fma_f64 v[93:94], v[99:100], v[97:98], -v[93:94]
	v_mul_f64 v[99:100], v[99:100], v[111:112]
	v_add_f64 v[9:10], v[9:10], -v[93:94]
	v_fma_f64 v[99:100], v[101:102], v[97:98], v[99:100]
	v_add_f64 v[11:12], v[11:12], -v[99:100]
	ds_read2_b64 v[99:102], v125 offset0:72 offset1:73
	s_waitcnt lgkmcnt(0)
	v_mul_f64 v[93:94], v[101:102], v[111:112]
	v_fma_f64 v[93:94], v[99:100], v[97:98], -v[93:94]
	v_mul_f64 v[99:100], v[99:100], v[111:112]
	v_add_f64 v[5:6], v[5:6], -v[93:94]
	v_fma_f64 v[99:100], v[101:102], v[97:98], v[99:100]
	v_add_f64 v[7:8], v[7:8], -v[99:100]
	;; [unrolled: 8-line block ×3, first 2 shown]
	ds_read2_b64 v[99:102], v125 offset0:76 offset1:77
	buffer_load_dword v13, off, s[20:23], 0 offset:48 ; 4-byte Folded Reload
	buffer_load_dword v14, off, s[20:23], 0 offset:52 ; 4-byte Folded Reload
	;; [unrolled: 1-line block ×4, first 2 shown]
	s_waitcnt lgkmcnt(0)
	v_mul_f64 v[93:94], v[101:102], v[111:112]
	v_fma_f64 v[93:94], v[99:100], v[97:98], -v[93:94]
	v_mul_f64 v[99:100], v[99:100], v[111:112]
	v_fma_f64 v[99:100], v[101:102], v[97:98], v[99:100]
	s_waitcnt vmcnt(2)
	v_add_f64 v[13:14], v[13:14], -v[93:94]
	buffer_load_dword v93, off, s[20:23], 0 offset:240 ; 4-byte Folded Reload
	buffer_load_dword v94, off, s[20:23], 0 offset:244 ; 4-byte Folded Reload
	;; [unrolled: 1-line block ×4, first 2 shown]
	s_waitcnt vmcnt(4)
	v_add_f64 v[15:16], v[15:16], -v[99:100]
	buffer_store_dword v13, off, s[20:23], 0 offset:48 ; 4-byte Folded Spill
	s_nop 0
	buffer_store_dword v14, off, s[20:23], 0 offset:52 ; 4-byte Folded Spill
	buffer_store_dword v15, off, s[20:23], 0 offset:56 ; 4-byte Folded Spill
	;; [unrolled: 1-line block ×3, first 2 shown]
.LBB77_136:
	s_or_b64 exec, exec, s[2:3]
	v_cmp_eq_u32_e32 vcc, 15, v127
	s_waitcnt vmcnt(0)
	s_barrier
	s_and_saveexec_b64 s[4:5], vcc
	s_cbranch_execz .LBB77_143
; %bb.137:
	buffer_load_dword v81, off, s[20:23], 0 offset:80 ; 4-byte Folded Reload
	buffer_load_dword v82, off, s[20:23], 0 offset:84 ; 4-byte Folded Reload
	;; [unrolled: 1-line block ×4, first 2 shown]
	s_waitcnt vmcnt(0)
	ds_write2_b64 v0, v[81:82], v[83:84] offset1:1
	buffer_load_dword v13, off, s[20:23], 0 offset:64 ; 4-byte Folded Reload
	buffer_load_dword v14, off, s[20:23], 0 offset:68 ; 4-byte Folded Reload
	buffer_load_dword v15, off, s[20:23], 0 offset:72 ; 4-byte Folded Reload
	buffer_load_dword v16, off, s[20:23], 0 offset:76 ; 4-byte Folded Reload
	s_waitcnt vmcnt(0)
	ds_write2_b64 v125, v[13:14], v[15:16] offset0:32 offset1:33
	buffer_load_dword v81, off, s[20:23], 0 offset:32 ; 4-byte Folded Reload
	buffer_load_dword v82, off, s[20:23], 0 offset:36 ; 4-byte Folded Reload
	buffer_load_dword v83, off, s[20:23], 0 offset:40 ; 4-byte Folded Reload
	buffer_load_dword v84, off, s[20:23], 0 offset:44 ; 4-byte Folded Reload
	s_waitcnt vmcnt(0)
	ds_write2_b64 v125, v[81:82], v[83:84] offset0:34 offset1:35
	;; [unrolled: 6-line block ×3, first 2 shown]
	ds_write2_b64 v125, v[73:74], v[75:76] offset0:38 offset1:39
	ds_write2_b64 v125, v[69:70], v[71:72] offset0:40 offset1:41
	;; [unrolled: 1-line block ×15, first 2 shown]
	buffer_load_dword v13, off, s[20:23], 0 ; 4-byte Folded Reload
	buffer_load_dword v14, off, s[20:23], 0 offset:4 ; 4-byte Folded Reload
	buffer_load_dword v15, off, s[20:23], 0 offset:8 ; 4-byte Folded Reload
	;; [unrolled: 1-line block ×3, first 2 shown]
	s_waitcnt vmcnt(0)
	ds_write2_b64 v125, v[13:14], v[15:16] offset0:68 offset1:69
	ds_write2_b64 v125, v[9:10], v[11:12] offset0:70 offset1:71
	;; [unrolled: 1-line block ×4, first 2 shown]
	buffer_load_dword v13, off, s[20:23], 0 offset:48 ; 4-byte Folded Reload
	buffer_load_dword v14, off, s[20:23], 0 offset:52 ; 4-byte Folded Reload
	buffer_load_dword v15, off, s[20:23], 0 offset:56 ; 4-byte Folded Reload
	buffer_load_dword v16, off, s[20:23], 0 offset:60 ; 4-byte Folded Reload
	s_waitcnt vmcnt(0)
	ds_write2_b64 v125, v[13:14], v[15:16] offset0:76 offset1:77
	ds_read2_b64 v[97:100], v0 offset1:1
	s_waitcnt lgkmcnt(0)
	v_cmp_neq_f64_e32 vcc, 0, v[97:98]
	v_cmp_neq_f64_e64 s[2:3], 0, v[99:100]
	s_or_b64 s[2:3], vcc, s[2:3]
	s_and_b64 exec, exec, s[2:3]
	s_cbranch_execz .LBB77_143
; %bb.138:
	v_cmp_ngt_f64_e64 s[2:3], |v[97:98]|, |v[99:100]|
                                        ; implicit-def: $vgpr101_vgpr102
	s_and_saveexec_b64 s[6:7], s[2:3]
	s_xor_b64 s[2:3], exec, s[6:7]
                                        ; implicit-def: $vgpr103_vgpr104
	s_cbranch_execz .LBB77_140
; %bb.139:
	v_div_scale_f64 v[101:102], s[6:7], v[99:100], v[99:100], v[97:98]
	v_rcp_f64_e32 v[103:104], v[101:102]
	v_fma_f64 v[105:106], -v[101:102], v[103:104], 1.0
	v_fma_f64 v[103:104], v[103:104], v[105:106], v[103:104]
	v_div_scale_f64 v[105:106], vcc, v[97:98], v[99:100], v[97:98]
	v_fma_f64 v[107:108], -v[101:102], v[103:104], 1.0
	v_fma_f64 v[103:104], v[103:104], v[107:108], v[103:104]
	v_mul_f64 v[107:108], v[105:106], v[103:104]
	v_fma_f64 v[101:102], -v[101:102], v[107:108], v[105:106]
	v_div_fmas_f64 v[101:102], v[101:102], v[103:104], v[107:108]
	v_div_fixup_f64 v[101:102], v[101:102], v[99:100], v[97:98]
	v_fma_f64 v[97:98], v[97:98], v[101:102], v[99:100]
	v_div_scale_f64 v[99:100], s[6:7], v[97:98], v[97:98], 1.0
	v_div_scale_f64 v[107:108], vcc, 1.0, v[97:98], 1.0
	v_rcp_f64_e32 v[103:104], v[99:100]
	v_fma_f64 v[105:106], -v[99:100], v[103:104], 1.0
	v_fma_f64 v[103:104], v[103:104], v[105:106], v[103:104]
	v_fma_f64 v[105:106], -v[99:100], v[103:104], 1.0
	v_fma_f64 v[103:104], v[103:104], v[105:106], v[103:104]
	v_mul_f64 v[105:106], v[107:108], v[103:104]
	v_fma_f64 v[99:100], -v[99:100], v[105:106], v[107:108]
	v_div_fmas_f64 v[99:100], v[99:100], v[103:104], v[105:106]
	v_div_fixup_f64 v[103:104], v[99:100], v[97:98], 1.0
                                        ; implicit-def: $vgpr97_vgpr98
	v_mul_f64 v[101:102], v[101:102], v[103:104]
	v_xor_b32_e32 v104, 0x80000000, v104
.LBB77_140:
	s_andn2_saveexec_b64 s[2:3], s[2:3]
	s_cbranch_execz .LBB77_142
; %bb.141:
	v_div_scale_f64 v[101:102], s[6:7], v[97:98], v[97:98], v[99:100]
	v_rcp_f64_e32 v[103:104], v[101:102]
	v_fma_f64 v[105:106], -v[101:102], v[103:104], 1.0
	v_fma_f64 v[103:104], v[103:104], v[105:106], v[103:104]
	v_div_scale_f64 v[105:106], vcc, v[99:100], v[97:98], v[99:100]
	v_fma_f64 v[107:108], -v[101:102], v[103:104], 1.0
	v_fma_f64 v[103:104], v[103:104], v[107:108], v[103:104]
	v_mul_f64 v[107:108], v[105:106], v[103:104]
	v_fma_f64 v[101:102], -v[101:102], v[107:108], v[105:106]
	v_div_fmas_f64 v[101:102], v[101:102], v[103:104], v[107:108]
	v_div_fixup_f64 v[103:104], v[101:102], v[97:98], v[99:100]
	v_fma_f64 v[97:98], v[99:100], v[103:104], v[97:98]
	v_div_scale_f64 v[99:100], s[6:7], v[97:98], v[97:98], 1.0
	v_div_scale_f64 v[107:108], vcc, 1.0, v[97:98], 1.0
	v_rcp_f64_e32 v[101:102], v[99:100]
	v_fma_f64 v[105:106], -v[99:100], v[101:102], 1.0
	v_fma_f64 v[101:102], v[101:102], v[105:106], v[101:102]
	v_fma_f64 v[105:106], -v[99:100], v[101:102], 1.0
	v_fma_f64 v[101:102], v[101:102], v[105:106], v[101:102]
	v_mul_f64 v[105:106], v[107:108], v[101:102]
	v_fma_f64 v[99:100], -v[99:100], v[105:106], v[107:108]
	v_div_fmas_f64 v[99:100], v[99:100], v[101:102], v[105:106]
	v_div_fixup_f64 v[101:102], v[99:100], v[97:98], 1.0
	v_mul_f64 v[103:104], v[103:104], -v[101:102]
.LBB77_142:
	s_or_b64 exec, exec, s[2:3]
	ds_write2_b64 v0, v[101:102], v[103:104] offset1:1
.LBB77_143:
	s_or_b64 exec, exec, s[4:5]
	s_waitcnt lgkmcnt(0)
	s_barrier
	ds_read2_b64 v[13:16], v0 offset1:1
	v_cmp_lt_u32_e32 vcc, 15, v127
	s_waitcnt lgkmcnt(0)
	buffer_store_dword v13, off, s[20:23], 0 offset:844 ; 4-byte Folded Spill
	s_nop 0
	buffer_store_dword v14, off, s[20:23], 0 offset:848 ; 4-byte Folded Spill
	buffer_store_dword v15, off, s[20:23], 0 offset:852 ; 4-byte Folded Spill
	;; [unrolled: 1-line block ×3, first 2 shown]
	s_mov_b64 s[2:3], exec
	s_and_b64 s[4:5], s[2:3], vcc
	buffer_store_dword v89, off, s[20:23], 0 offset:568 ; 4-byte Folded Spill
	s_nop 0
	buffer_store_dword v90, off, s[20:23], 0 offset:572 ; 4-byte Folded Spill
	buffer_store_dword v91, off, s[20:23], 0 offset:576 ; 4-byte Folded Spill
	buffer_store_dword v92, off, s[20:23], 0 offset:580 ; 4-byte Folded Spill
	s_mov_b64 exec, s[4:5]
	s_cbranch_execz .LBB77_145
; %bb.144:
	buffer_load_dword v81, off, s[20:23], 0 offset:80 ; 4-byte Folded Reload
	buffer_load_dword v82, off, s[20:23], 0 offset:84 ; 4-byte Folded Reload
	;; [unrolled: 1-line block ×8, first 2 shown]
	ds_read2_b64 v[99:102], v125 offset0:32 offset1:33
	s_waitcnt vmcnt(2)
	v_mul_f64 v[91:92], v[13:14], v[83:84]
	s_waitcnt vmcnt(0)
	v_mul_f64 v[97:98], v[15:16], v[83:84]
	v_fma_f64 v[83:84], v[15:16], v[81:82], v[91:92]
	v_fma_f64 v[97:98], v[13:14], v[81:82], -v[97:98]
	buffer_load_dword v13, off, s[20:23], 0 offset:64 ; 4-byte Folded Reload
	buffer_load_dword v14, off, s[20:23], 0 offset:68 ; 4-byte Folded Reload
	;; [unrolled: 1-line block ×4, first 2 shown]
	s_waitcnt lgkmcnt(0)
	v_mul_f64 v[89:90], v[101:102], v[83:84]
	v_mov_b32_e32 v81, v97
	v_mov_b32_e32 v82, v98
	v_fma_f64 v[89:90], v[99:100], v[97:98], -v[89:90]
	v_mul_f64 v[99:100], v[99:100], v[83:84]
	v_fma_f64 v[99:100], v[101:102], v[97:98], v[99:100]
	s_waitcnt vmcnt(2)
	v_add_f64 v[13:14], v[13:14], -v[89:90]
	s_waitcnt vmcnt(0)
	v_add_f64 v[15:16], v[15:16], -v[99:100]
	buffer_store_dword v13, off, s[20:23], 0 offset:64 ; 4-byte Folded Spill
	s_nop 0
	buffer_store_dword v14, off, s[20:23], 0 offset:68 ; 4-byte Folded Spill
	buffer_store_dword v15, off, s[20:23], 0 offset:72 ; 4-byte Folded Spill
	;; [unrolled: 1-line block ×3, first 2 shown]
	ds_read2_b64 v[99:102], v125 offset0:34 offset1:35
	buffer_load_dword v91, off, s[20:23], 0 offset:32 ; 4-byte Folded Reload
	buffer_load_dword v92, off, s[20:23], 0 offset:36 ; 4-byte Folded Reload
	;; [unrolled: 1-line block ×4, first 2 shown]
	s_waitcnt lgkmcnt(0)
	v_mul_f64 v[89:90], v[101:102], v[83:84]
	v_fma_f64 v[89:90], v[99:100], v[97:98], -v[89:90]
	v_mul_f64 v[99:100], v[99:100], v[83:84]
	v_fma_f64 v[99:100], v[101:102], v[97:98], v[99:100]
	s_waitcnt vmcnt(2)
	v_add_f64 v[91:92], v[91:92], -v[89:90]
	s_waitcnt vmcnt(0)
	v_add_f64 v[93:94], v[93:94], -v[99:100]
	buffer_store_dword v91, off, s[20:23], 0 offset:32 ; 4-byte Folded Spill
	s_nop 0
	buffer_store_dword v92, off, s[20:23], 0 offset:36 ; 4-byte Folded Spill
	buffer_store_dword v93, off, s[20:23], 0 offset:40 ; 4-byte Folded Spill
	;; [unrolled: 1-line block ×3, first 2 shown]
	buffer_load_dword v93, off, s[20:23], 0 offset:240 ; 4-byte Folded Reload
	s_nop 0
	buffer_load_dword v94, off, s[20:23], 0 offset:244 ; 4-byte Folded Reload
	buffer_load_dword v95, off, s[20:23], 0 offset:248 ; 4-byte Folded Reload
	;; [unrolled: 1-line block ×3, first 2 shown]
	ds_read2_b64 v[99:102], v125 offset0:36 offset1:37
	buffer_load_dword v13, off, s[20:23], 0 offset:16 ; 4-byte Folded Reload
	buffer_load_dword v14, off, s[20:23], 0 offset:20 ; 4-byte Folded Reload
	buffer_load_dword v15, off, s[20:23], 0 offset:24 ; 4-byte Folded Reload
	buffer_load_dword v16, off, s[20:23], 0 offset:28 ; 4-byte Folded Reload
	s_waitcnt lgkmcnt(0)
	v_mul_f64 v[89:90], v[101:102], v[83:84]
	v_fma_f64 v[89:90], v[99:100], v[97:98], -v[89:90]
	v_mul_f64 v[99:100], v[99:100], v[83:84]
	v_fma_f64 v[99:100], v[101:102], v[97:98], v[99:100]
	s_waitcnt vmcnt(2)
	v_add_f64 v[13:14], v[13:14], -v[89:90]
	s_waitcnt vmcnt(0)
	v_add_f64 v[15:16], v[15:16], -v[99:100]
	buffer_store_dword v13, off, s[20:23], 0 offset:16 ; 4-byte Folded Spill
	s_nop 0
	buffer_store_dword v14, off, s[20:23], 0 offset:20 ; 4-byte Folded Spill
	buffer_store_dword v15, off, s[20:23], 0 offset:24 ; 4-byte Folded Spill
	;; [unrolled: 1-line block ×3, first 2 shown]
	ds_read2_b64 v[99:102], v125 offset0:38 offset1:39
	s_waitcnt lgkmcnt(0)
	v_mul_f64 v[89:90], v[101:102], v[83:84]
	v_fma_f64 v[89:90], v[99:100], v[97:98], -v[89:90]
	v_mul_f64 v[99:100], v[99:100], v[83:84]
	v_add_f64 v[73:74], v[73:74], -v[89:90]
	v_fma_f64 v[99:100], v[101:102], v[97:98], v[99:100]
	v_add_f64 v[75:76], v[75:76], -v[99:100]
	ds_read2_b64 v[99:102], v125 offset0:40 offset1:41
	s_waitcnt lgkmcnt(0)
	v_mul_f64 v[89:90], v[101:102], v[83:84]
	v_fma_f64 v[89:90], v[99:100], v[97:98], -v[89:90]
	v_mul_f64 v[99:100], v[99:100], v[83:84]
	v_add_f64 v[69:70], v[69:70], -v[89:90]
	v_fma_f64 v[99:100], v[101:102], v[97:98], v[99:100]
	v_add_f64 v[71:72], v[71:72], -v[99:100]
	;; [unrolled: 8-line block ×15, first 2 shown]
	ds_read2_b64 v[99:102], v125 offset0:68 offset1:69
	buffer_load_dword v13, off, s[20:23], 0 ; 4-byte Folded Reload
	buffer_load_dword v14, off, s[20:23], 0 offset:4 ; 4-byte Folded Reload
	buffer_load_dword v15, off, s[20:23], 0 offset:8 ; 4-byte Folded Reload
	;; [unrolled: 1-line block ×3, first 2 shown]
	s_waitcnt lgkmcnt(0)
	v_mul_f64 v[89:90], v[101:102], v[83:84]
	v_fma_f64 v[89:90], v[99:100], v[97:98], -v[89:90]
	v_mul_f64 v[99:100], v[99:100], v[83:84]
	v_fma_f64 v[99:100], v[101:102], v[97:98], v[99:100]
	s_waitcnt vmcnt(2)
	v_add_f64 v[13:14], v[13:14], -v[89:90]
	s_waitcnt vmcnt(0)
	v_add_f64 v[15:16], v[15:16], -v[99:100]
	buffer_store_dword v13, off, s[20:23], 0 ; 4-byte Folded Spill
	s_nop 0
	buffer_store_dword v14, off, s[20:23], 0 offset:4 ; 4-byte Folded Spill
	buffer_store_dword v15, off, s[20:23], 0 offset:8 ; 4-byte Folded Spill
	;; [unrolled: 1-line block ×3, first 2 shown]
	ds_read2_b64 v[99:102], v125 offset0:70 offset1:71
	s_waitcnt lgkmcnt(0)
	v_mul_f64 v[89:90], v[101:102], v[83:84]
	v_fma_f64 v[89:90], v[99:100], v[97:98], -v[89:90]
	v_mul_f64 v[99:100], v[99:100], v[83:84]
	v_add_f64 v[9:10], v[9:10], -v[89:90]
	v_fma_f64 v[99:100], v[101:102], v[97:98], v[99:100]
	v_add_f64 v[11:12], v[11:12], -v[99:100]
	ds_read2_b64 v[99:102], v125 offset0:72 offset1:73
	s_waitcnt lgkmcnt(0)
	v_mul_f64 v[89:90], v[101:102], v[83:84]
	v_fma_f64 v[89:90], v[99:100], v[97:98], -v[89:90]
	v_mul_f64 v[99:100], v[99:100], v[83:84]
	v_add_f64 v[5:6], v[5:6], -v[89:90]
	v_fma_f64 v[99:100], v[101:102], v[97:98], v[99:100]
	v_add_f64 v[7:8], v[7:8], -v[99:100]
	;; [unrolled: 8-line block ×3, first 2 shown]
	ds_read2_b64 v[99:102], v125 offset0:76 offset1:77
	buffer_load_dword v13, off, s[20:23], 0 offset:48 ; 4-byte Folded Reload
	buffer_load_dword v14, off, s[20:23], 0 offset:52 ; 4-byte Folded Reload
	;; [unrolled: 1-line block ×4, first 2 shown]
	s_waitcnt lgkmcnt(0)
	v_mul_f64 v[89:90], v[101:102], v[83:84]
	v_fma_f64 v[89:90], v[99:100], v[97:98], -v[89:90]
	v_mul_f64 v[99:100], v[99:100], v[83:84]
	v_fma_f64 v[99:100], v[101:102], v[97:98], v[99:100]
	s_waitcnt vmcnt(2)
	v_add_f64 v[13:14], v[13:14], -v[89:90]
	s_waitcnt vmcnt(0)
	v_add_f64 v[15:16], v[15:16], -v[99:100]
	buffer_store_dword v13, off, s[20:23], 0 offset:48 ; 4-byte Folded Spill
	s_nop 0
	buffer_store_dword v14, off, s[20:23], 0 offset:52 ; 4-byte Folded Spill
	buffer_store_dword v15, off, s[20:23], 0 offset:56 ; 4-byte Folded Spill
	;; [unrolled: 1-line block ×4, first 2 shown]
	s_nop 0
	buffer_store_dword v82, off, s[20:23], 0 offset:84 ; 4-byte Folded Spill
	buffer_store_dword v83, off, s[20:23], 0 offset:88 ; 4-byte Folded Spill
	;; [unrolled: 1-line block ×3, first 2 shown]
.LBB77_145:
	s_or_b64 exec, exec, s[2:3]
	v_cmp_eq_u32_e32 vcc, 16, v127
	s_waitcnt vmcnt(0)
	s_barrier
	s_and_saveexec_b64 s[4:5], vcc
	s_cbranch_execz .LBB77_152
; %bb.146:
	buffer_load_dword v13, off, s[20:23], 0 offset:64 ; 4-byte Folded Reload
	buffer_load_dword v14, off, s[20:23], 0 offset:68 ; 4-byte Folded Reload
	;; [unrolled: 1-line block ×4, first 2 shown]
	s_waitcnt vmcnt(0)
	ds_write2_b64 v0, v[13:14], v[15:16] offset1:1
	buffer_load_dword v81, off, s[20:23], 0 offset:32 ; 4-byte Folded Reload
	buffer_load_dword v82, off, s[20:23], 0 offset:36 ; 4-byte Folded Reload
	;; [unrolled: 1-line block ×4, first 2 shown]
	s_waitcnt vmcnt(0)
	ds_write2_b64 v125, v[81:82], v[83:84] offset0:34 offset1:35
	buffer_load_dword v13, off, s[20:23], 0 offset:16 ; 4-byte Folded Reload
	buffer_load_dword v14, off, s[20:23], 0 offset:20 ; 4-byte Folded Reload
	;; [unrolled: 1-line block ×4, first 2 shown]
	s_waitcnt vmcnt(0)
	ds_write2_b64 v125, v[13:14], v[15:16] offset0:36 offset1:37
	ds_write2_b64 v125, v[73:74], v[75:76] offset0:38 offset1:39
	;; [unrolled: 1-line block ×16, first 2 shown]
	buffer_load_dword v13, off, s[20:23], 0 ; 4-byte Folded Reload
	buffer_load_dword v14, off, s[20:23], 0 offset:4 ; 4-byte Folded Reload
	buffer_load_dword v15, off, s[20:23], 0 offset:8 ; 4-byte Folded Reload
	;; [unrolled: 1-line block ×3, first 2 shown]
	s_waitcnt vmcnt(0)
	ds_write2_b64 v125, v[13:14], v[15:16] offset0:68 offset1:69
	ds_write2_b64 v125, v[9:10], v[11:12] offset0:70 offset1:71
	;; [unrolled: 1-line block ×4, first 2 shown]
	buffer_load_dword v13, off, s[20:23], 0 offset:48 ; 4-byte Folded Reload
	buffer_load_dword v14, off, s[20:23], 0 offset:52 ; 4-byte Folded Reload
	buffer_load_dword v15, off, s[20:23], 0 offset:56 ; 4-byte Folded Reload
	buffer_load_dword v16, off, s[20:23], 0 offset:60 ; 4-byte Folded Reload
	s_waitcnt vmcnt(0)
	ds_write2_b64 v125, v[13:14], v[15:16] offset0:76 offset1:77
	ds_read2_b64 v[97:100], v0 offset1:1
	s_waitcnt lgkmcnt(0)
	v_cmp_neq_f64_e32 vcc, 0, v[97:98]
	v_cmp_neq_f64_e64 s[2:3], 0, v[99:100]
	s_or_b64 s[2:3], vcc, s[2:3]
	s_and_b64 exec, exec, s[2:3]
	s_cbranch_execz .LBB77_152
; %bb.147:
	v_cmp_ngt_f64_e64 s[2:3], |v[97:98]|, |v[99:100]|
                                        ; implicit-def: $vgpr101_vgpr102
	s_and_saveexec_b64 s[6:7], s[2:3]
	s_xor_b64 s[2:3], exec, s[6:7]
                                        ; implicit-def: $vgpr103_vgpr104
	s_cbranch_execz .LBB77_149
; %bb.148:
	v_div_scale_f64 v[101:102], s[6:7], v[99:100], v[99:100], v[97:98]
	v_rcp_f64_e32 v[103:104], v[101:102]
	v_fma_f64 v[105:106], -v[101:102], v[103:104], 1.0
	v_fma_f64 v[103:104], v[103:104], v[105:106], v[103:104]
	v_div_scale_f64 v[105:106], vcc, v[97:98], v[99:100], v[97:98]
	v_fma_f64 v[107:108], -v[101:102], v[103:104], 1.0
	v_fma_f64 v[103:104], v[103:104], v[107:108], v[103:104]
	v_mul_f64 v[107:108], v[105:106], v[103:104]
	v_fma_f64 v[101:102], -v[101:102], v[107:108], v[105:106]
	v_div_fmas_f64 v[101:102], v[101:102], v[103:104], v[107:108]
	v_div_fixup_f64 v[101:102], v[101:102], v[99:100], v[97:98]
	v_fma_f64 v[97:98], v[97:98], v[101:102], v[99:100]
	v_div_scale_f64 v[99:100], s[6:7], v[97:98], v[97:98], 1.0
	v_div_scale_f64 v[107:108], vcc, 1.0, v[97:98], 1.0
	v_rcp_f64_e32 v[103:104], v[99:100]
	v_fma_f64 v[105:106], -v[99:100], v[103:104], 1.0
	v_fma_f64 v[103:104], v[103:104], v[105:106], v[103:104]
	v_fma_f64 v[105:106], -v[99:100], v[103:104], 1.0
	v_fma_f64 v[103:104], v[103:104], v[105:106], v[103:104]
	v_mul_f64 v[105:106], v[107:108], v[103:104]
	v_fma_f64 v[99:100], -v[99:100], v[105:106], v[107:108]
	v_div_fmas_f64 v[99:100], v[99:100], v[103:104], v[105:106]
	v_div_fixup_f64 v[103:104], v[99:100], v[97:98], 1.0
                                        ; implicit-def: $vgpr97_vgpr98
	v_mul_f64 v[101:102], v[101:102], v[103:104]
	v_xor_b32_e32 v104, 0x80000000, v104
.LBB77_149:
	s_andn2_saveexec_b64 s[2:3], s[2:3]
	s_cbranch_execz .LBB77_151
; %bb.150:
	v_div_scale_f64 v[101:102], s[6:7], v[97:98], v[97:98], v[99:100]
	v_rcp_f64_e32 v[103:104], v[101:102]
	v_fma_f64 v[105:106], -v[101:102], v[103:104], 1.0
	v_fma_f64 v[103:104], v[103:104], v[105:106], v[103:104]
	v_div_scale_f64 v[105:106], vcc, v[99:100], v[97:98], v[99:100]
	v_fma_f64 v[107:108], -v[101:102], v[103:104], 1.0
	v_fma_f64 v[103:104], v[103:104], v[107:108], v[103:104]
	v_mul_f64 v[107:108], v[105:106], v[103:104]
	v_fma_f64 v[101:102], -v[101:102], v[107:108], v[105:106]
	v_div_fmas_f64 v[101:102], v[101:102], v[103:104], v[107:108]
	v_div_fixup_f64 v[103:104], v[101:102], v[97:98], v[99:100]
	v_fma_f64 v[97:98], v[99:100], v[103:104], v[97:98]
	v_div_scale_f64 v[99:100], s[6:7], v[97:98], v[97:98], 1.0
	v_div_scale_f64 v[107:108], vcc, 1.0, v[97:98], 1.0
	v_rcp_f64_e32 v[101:102], v[99:100]
	v_fma_f64 v[105:106], -v[99:100], v[101:102], 1.0
	v_fma_f64 v[101:102], v[101:102], v[105:106], v[101:102]
	v_fma_f64 v[105:106], -v[99:100], v[101:102], 1.0
	v_fma_f64 v[101:102], v[101:102], v[105:106], v[101:102]
	v_mul_f64 v[105:106], v[107:108], v[101:102]
	v_fma_f64 v[99:100], -v[99:100], v[105:106], v[107:108]
	v_div_fmas_f64 v[99:100], v[99:100], v[101:102], v[105:106]
	v_div_fixup_f64 v[101:102], v[99:100], v[97:98], 1.0
	v_mul_f64 v[103:104], v[103:104], -v[101:102]
.LBB77_151:
	s_or_b64 exec, exec, s[2:3]
	ds_write2_b64 v0, v[101:102], v[103:104] offset1:1
.LBB77_152:
	s_or_b64 exec, exec, s[4:5]
	s_waitcnt lgkmcnt(0)
	s_barrier
	ds_read2_b64 v[89:92], v0 offset1:1
	v_cmp_lt_u32_e32 vcc, 16, v127
	s_mov_b64 s[2:3], exec
	s_and_b64 s[4:5], s[2:3], vcc
	buffer_store_dword v85, off, s[20:23], 0 offset:544 ; 4-byte Folded Spill
	s_nop 0
	buffer_store_dword v86, off, s[20:23], 0 offset:548 ; 4-byte Folded Spill
	buffer_store_dword v87, off, s[20:23], 0 offset:552 ; 4-byte Folded Spill
	;; [unrolled: 1-line block ×3, first 2 shown]
	s_mov_b64 exec, s[4:5]
	s_cbranch_execz .LBB77_154
; %bb.153:
	buffer_load_dword v77, off, s[20:23], 0 offset:64 ; 4-byte Folded Reload
	buffer_load_dword v78, off, s[20:23], 0 offset:68 ; 4-byte Folded Reload
	;; [unrolled: 1-line block ×4, first 2 shown]
	ds_read2_b64 v[99:102], v125 offset0:34 offset1:35
	buffer_load_dword v81, off, s[20:23], 0 offset:32 ; 4-byte Folded Reload
	buffer_load_dword v82, off, s[20:23], 0 offset:36 ; 4-byte Folded Reload
	;; [unrolled: 1-line block ×4, first 2 shown]
	s_waitcnt vmcnt(4) lgkmcnt(1)
	v_mul_f64 v[87:88], v[89:90], v[79:80]
	v_mul_f64 v[97:98], v[91:92], v[79:80]
	v_fma_f64 v[79:80], v[91:92], v[77:78], v[87:88]
	v_fma_f64 v[97:98], v[89:90], v[77:78], -v[97:98]
	s_waitcnt lgkmcnt(0)
	v_mul_f64 v[85:86], v[101:102], v[79:80]
	v_mov_b32_e32 v77, v97
	v_mov_b32_e32 v78, v98
	v_fma_f64 v[85:86], v[99:100], v[97:98], -v[85:86]
	v_mul_f64 v[99:100], v[99:100], v[79:80]
	s_waitcnt vmcnt(2)
	v_add_f64 v[81:82], v[81:82], -v[85:86]
	v_fma_f64 v[99:100], v[101:102], v[97:98], v[99:100]
	s_waitcnt vmcnt(0)
	v_add_f64 v[83:84], v[83:84], -v[99:100]
	buffer_store_dword v81, off, s[20:23], 0 offset:32 ; 4-byte Folded Spill
	s_nop 0
	buffer_store_dword v82, off, s[20:23], 0 offset:36 ; 4-byte Folded Spill
	buffer_store_dword v83, off, s[20:23], 0 offset:40 ; 4-byte Folded Spill
	;; [unrolled: 1-line block ×3, first 2 shown]
	ds_read2_b64 v[99:102], v125 offset0:36 offset1:37
	buffer_load_dword v13, off, s[20:23], 0 offset:16 ; 4-byte Folded Reload
	buffer_load_dword v14, off, s[20:23], 0 offset:20 ; 4-byte Folded Reload
	;; [unrolled: 1-line block ×4, first 2 shown]
	s_waitcnt lgkmcnt(0)
	v_mul_f64 v[85:86], v[101:102], v[79:80]
	v_fma_f64 v[85:86], v[99:100], v[97:98], -v[85:86]
	v_mul_f64 v[99:100], v[99:100], v[79:80]
	v_fma_f64 v[99:100], v[101:102], v[97:98], v[99:100]
	s_waitcnt vmcnt(2)
	v_add_f64 v[13:14], v[13:14], -v[85:86]
	s_waitcnt vmcnt(0)
	v_add_f64 v[15:16], v[15:16], -v[99:100]
	buffer_store_dword v13, off, s[20:23], 0 offset:16 ; 4-byte Folded Spill
	s_nop 0
	buffer_store_dword v14, off, s[20:23], 0 offset:20 ; 4-byte Folded Spill
	buffer_store_dword v15, off, s[20:23], 0 offset:24 ; 4-byte Folded Spill
	;; [unrolled: 1-line block ×3, first 2 shown]
	ds_read2_b64 v[99:102], v125 offset0:38 offset1:39
	s_waitcnt lgkmcnt(0)
	v_mul_f64 v[85:86], v[101:102], v[79:80]
	v_fma_f64 v[85:86], v[99:100], v[97:98], -v[85:86]
	v_mul_f64 v[99:100], v[99:100], v[79:80]
	v_add_f64 v[73:74], v[73:74], -v[85:86]
	v_fma_f64 v[99:100], v[101:102], v[97:98], v[99:100]
	v_add_f64 v[75:76], v[75:76], -v[99:100]
	ds_read2_b64 v[99:102], v125 offset0:40 offset1:41
	s_waitcnt lgkmcnt(0)
	v_mul_f64 v[85:86], v[101:102], v[79:80]
	v_fma_f64 v[85:86], v[99:100], v[97:98], -v[85:86]
	v_mul_f64 v[99:100], v[99:100], v[79:80]
	v_add_f64 v[69:70], v[69:70], -v[85:86]
	v_fma_f64 v[99:100], v[101:102], v[97:98], v[99:100]
	v_add_f64 v[71:72], v[71:72], -v[99:100]
	;; [unrolled: 8-line block ×15, first 2 shown]
	ds_read2_b64 v[99:102], v125 offset0:68 offset1:69
	buffer_load_dword v13, off, s[20:23], 0 ; 4-byte Folded Reload
	buffer_load_dword v14, off, s[20:23], 0 offset:4 ; 4-byte Folded Reload
	buffer_load_dword v15, off, s[20:23], 0 offset:8 ; 4-byte Folded Reload
	;; [unrolled: 1-line block ×3, first 2 shown]
	s_waitcnt lgkmcnt(0)
	v_mul_f64 v[85:86], v[101:102], v[79:80]
	v_fma_f64 v[85:86], v[99:100], v[97:98], -v[85:86]
	v_mul_f64 v[99:100], v[99:100], v[79:80]
	v_fma_f64 v[99:100], v[101:102], v[97:98], v[99:100]
	s_waitcnt vmcnt(2)
	v_add_f64 v[13:14], v[13:14], -v[85:86]
	s_waitcnt vmcnt(0)
	v_add_f64 v[15:16], v[15:16], -v[99:100]
	buffer_store_dword v13, off, s[20:23], 0 ; 4-byte Folded Spill
	s_nop 0
	buffer_store_dword v14, off, s[20:23], 0 offset:4 ; 4-byte Folded Spill
	buffer_store_dword v15, off, s[20:23], 0 offset:8 ; 4-byte Folded Spill
	;; [unrolled: 1-line block ×3, first 2 shown]
	ds_read2_b64 v[99:102], v125 offset0:70 offset1:71
	s_waitcnt lgkmcnt(0)
	v_mul_f64 v[85:86], v[101:102], v[79:80]
	v_fma_f64 v[85:86], v[99:100], v[97:98], -v[85:86]
	v_mul_f64 v[99:100], v[99:100], v[79:80]
	v_add_f64 v[9:10], v[9:10], -v[85:86]
	v_fma_f64 v[99:100], v[101:102], v[97:98], v[99:100]
	v_add_f64 v[11:12], v[11:12], -v[99:100]
	ds_read2_b64 v[99:102], v125 offset0:72 offset1:73
	s_waitcnt lgkmcnt(0)
	v_mul_f64 v[85:86], v[101:102], v[79:80]
	v_fma_f64 v[85:86], v[99:100], v[97:98], -v[85:86]
	v_mul_f64 v[99:100], v[99:100], v[79:80]
	v_add_f64 v[5:6], v[5:6], -v[85:86]
	v_fma_f64 v[99:100], v[101:102], v[97:98], v[99:100]
	v_add_f64 v[7:8], v[7:8], -v[99:100]
	;; [unrolled: 8-line block ×3, first 2 shown]
	ds_read2_b64 v[99:102], v125 offset0:76 offset1:77
	buffer_load_dword v13, off, s[20:23], 0 offset:48 ; 4-byte Folded Reload
	buffer_load_dword v14, off, s[20:23], 0 offset:52 ; 4-byte Folded Reload
	;; [unrolled: 1-line block ×4, first 2 shown]
	s_waitcnt lgkmcnt(0)
	v_mul_f64 v[85:86], v[101:102], v[79:80]
	v_fma_f64 v[85:86], v[99:100], v[97:98], -v[85:86]
	v_mul_f64 v[99:100], v[99:100], v[79:80]
	v_fma_f64 v[99:100], v[101:102], v[97:98], v[99:100]
	s_waitcnt vmcnt(2)
	v_add_f64 v[13:14], v[13:14], -v[85:86]
	s_waitcnt vmcnt(0)
	v_add_f64 v[15:16], v[15:16], -v[99:100]
	buffer_store_dword v13, off, s[20:23], 0 offset:48 ; 4-byte Folded Spill
	s_nop 0
	buffer_store_dword v14, off, s[20:23], 0 offset:52 ; 4-byte Folded Spill
	buffer_store_dword v15, off, s[20:23], 0 offset:56 ; 4-byte Folded Spill
	;; [unrolled: 1-line block ×4, first 2 shown]
	s_nop 0
	buffer_store_dword v78, off, s[20:23], 0 offset:68 ; 4-byte Folded Spill
	buffer_store_dword v79, off, s[20:23], 0 offset:72 ; 4-byte Folded Spill
	;; [unrolled: 1-line block ×3, first 2 shown]
.LBB77_154:
	s_or_b64 exec, exec, s[2:3]
	v_cmp_eq_u32_e32 vcc, 17, v127
	s_waitcnt vmcnt(0) lgkmcnt(0)
	s_barrier
	s_and_saveexec_b64 s[4:5], vcc
	s_cbranch_execz .LBB77_161
; %bb.155:
	buffer_load_dword v81, off, s[20:23], 0 offset:32 ; 4-byte Folded Reload
	buffer_load_dword v82, off, s[20:23], 0 offset:36 ; 4-byte Folded Reload
	;; [unrolled: 1-line block ×4, first 2 shown]
	s_waitcnt vmcnt(0)
	ds_write2_b64 v0, v[81:82], v[83:84] offset1:1
	buffer_load_dword v13, off, s[20:23], 0 offset:16 ; 4-byte Folded Reload
	buffer_load_dword v14, off, s[20:23], 0 offset:20 ; 4-byte Folded Reload
	;; [unrolled: 1-line block ×4, first 2 shown]
	s_waitcnt vmcnt(0)
	ds_write2_b64 v125, v[13:14], v[15:16] offset0:36 offset1:37
	ds_write2_b64 v125, v[73:74], v[75:76] offset0:38 offset1:39
	;; [unrolled: 1-line block ×16, first 2 shown]
	buffer_load_dword v13, off, s[20:23], 0 ; 4-byte Folded Reload
	buffer_load_dword v14, off, s[20:23], 0 offset:4 ; 4-byte Folded Reload
	buffer_load_dword v15, off, s[20:23], 0 offset:8 ; 4-byte Folded Reload
	;; [unrolled: 1-line block ×3, first 2 shown]
	s_waitcnt vmcnt(0)
	ds_write2_b64 v125, v[13:14], v[15:16] offset0:68 offset1:69
	ds_write2_b64 v125, v[9:10], v[11:12] offset0:70 offset1:71
	;; [unrolled: 1-line block ×4, first 2 shown]
	buffer_load_dword v13, off, s[20:23], 0 offset:48 ; 4-byte Folded Reload
	buffer_load_dword v14, off, s[20:23], 0 offset:52 ; 4-byte Folded Reload
	;; [unrolled: 1-line block ×4, first 2 shown]
	s_waitcnt vmcnt(0)
	ds_write2_b64 v125, v[13:14], v[15:16] offset0:76 offset1:77
	ds_read2_b64 v[97:100], v0 offset1:1
	s_waitcnt lgkmcnt(0)
	v_cmp_neq_f64_e32 vcc, 0, v[97:98]
	v_cmp_neq_f64_e64 s[2:3], 0, v[99:100]
	s_or_b64 s[2:3], vcc, s[2:3]
	s_and_b64 exec, exec, s[2:3]
	s_cbranch_execz .LBB77_161
; %bb.156:
	v_cmp_ngt_f64_e64 s[2:3], |v[97:98]|, |v[99:100]|
                                        ; implicit-def: $vgpr101_vgpr102
	s_and_saveexec_b64 s[6:7], s[2:3]
	s_xor_b64 s[2:3], exec, s[6:7]
                                        ; implicit-def: $vgpr103_vgpr104
	s_cbranch_execz .LBB77_158
; %bb.157:
	v_div_scale_f64 v[101:102], s[6:7], v[99:100], v[99:100], v[97:98]
	v_rcp_f64_e32 v[103:104], v[101:102]
	v_fma_f64 v[105:106], -v[101:102], v[103:104], 1.0
	v_fma_f64 v[103:104], v[103:104], v[105:106], v[103:104]
	v_div_scale_f64 v[105:106], vcc, v[97:98], v[99:100], v[97:98]
	v_fma_f64 v[107:108], -v[101:102], v[103:104], 1.0
	v_fma_f64 v[103:104], v[103:104], v[107:108], v[103:104]
	v_mul_f64 v[107:108], v[105:106], v[103:104]
	v_fma_f64 v[101:102], -v[101:102], v[107:108], v[105:106]
	v_div_fmas_f64 v[101:102], v[101:102], v[103:104], v[107:108]
	v_div_fixup_f64 v[101:102], v[101:102], v[99:100], v[97:98]
	v_fma_f64 v[97:98], v[97:98], v[101:102], v[99:100]
	v_div_scale_f64 v[99:100], s[6:7], v[97:98], v[97:98], 1.0
	v_div_scale_f64 v[107:108], vcc, 1.0, v[97:98], 1.0
	v_rcp_f64_e32 v[103:104], v[99:100]
	v_fma_f64 v[105:106], -v[99:100], v[103:104], 1.0
	v_fma_f64 v[103:104], v[103:104], v[105:106], v[103:104]
	v_fma_f64 v[105:106], -v[99:100], v[103:104], 1.0
	v_fma_f64 v[103:104], v[103:104], v[105:106], v[103:104]
	v_mul_f64 v[105:106], v[107:108], v[103:104]
	v_fma_f64 v[99:100], -v[99:100], v[105:106], v[107:108]
	v_div_fmas_f64 v[99:100], v[99:100], v[103:104], v[105:106]
	v_div_fixup_f64 v[103:104], v[99:100], v[97:98], 1.0
                                        ; implicit-def: $vgpr97_vgpr98
	v_mul_f64 v[101:102], v[101:102], v[103:104]
	v_xor_b32_e32 v104, 0x80000000, v104
.LBB77_158:
	s_andn2_saveexec_b64 s[2:3], s[2:3]
	s_cbranch_execz .LBB77_160
; %bb.159:
	v_div_scale_f64 v[101:102], s[6:7], v[97:98], v[97:98], v[99:100]
	v_rcp_f64_e32 v[103:104], v[101:102]
	v_fma_f64 v[105:106], -v[101:102], v[103:104], 1.0
	v_fma_f64 v[103:104], v[103:104], v[105:106], v[103:104]
	v_div_scale_f64 v[105:106], vcc, v[99:100], v[97:98], v[99:100]
	v_fma_f64 v[107:108], -v[101:102], v[103:104], 1.0
	v_fma_f64 v[103:104], v[103:104], v[107:108], v[103:104]
	v_mul_f64 v[107:108], v[105:106], v[103:104]
	v_fma_f64 v[101:102], -v[101:102], v[107:108], v[105:106]
	v_div_fmas_f64 v[101:102], v[101:102], v[103:104], v[107:108]
	v_div_fixup_f64 v[103:104], v[101:102], v[97:98], v[99:100]
	v_fma_f64 v[97:98], v[99:100], v[103:104], v[97:98]
	v_div_scale_f64 v[99:100], s[6:7], v[97:98], v[97:98], 1.0
	v_div_scale_f64 v[107:108], vcc, 1.0, v[97:98], 1.0
	v_rcp_f64_e32 v[101:102], v[99:100]
	v_fma_f64 v[105:106], -v[99:100], v[101:102], 1.0
	v_fma_f64 v[101:102], v[101:102], v[105:106], v[101:102]
	v_fma_f64 v[105:106], -v[99:100], v[101:102], 1.0
	v_fma_f64 v[101:102], v[101:102], v[105:106], v[101:102]
	v_mul_f64 v[105:106], v[107:108], v[101:102]
	v_fma_f64 v[99:100], -v[99:100], v[105:106], v[107:108]
	v_div_fmas_f64 v[99:100], v[99:100], v[101:102], v[105:106]
	v_div_fixup_f64 v[101:102], v[99:100], v[97:98], 1.0
	v_mul_f64 v[103:104], v[103:104], -v[101:102]
.LBB77_160:
	s_or_b64 exec, exec, s[2:3]
	ds_write2_b64 v0, v[101:102], v[103:104] offset1:1
.LBB77_161:
	s_or_b64 exec, exec, s[4:5]
	s_waitcnt lgkmcnt(0)
	s_barrier
	ds_read2_b64 v[13:16], v0 offset1:1
	v_cmp_lt_u32_e32 vcc, 17, v127
	s_waitcnt lgkmcnt(0)
	buffer_store_dword v13, off, s[20:23], 0 offset:956 ; 4-byte Folded Spill
	s_nop 0
	buffer_store_dword v14, off, s[20:23], 0 offset:960 ; 4-byte Folded Spill
	buffer_store_dword v15, off, s[20:23], 0 offset:964 ; 4-byte Folded Spill
	;; [unrolled: 1-line block ×3, first 2 shown]
	s_and_saveexec_b64 s[2:3], vcc
	s_cbranch_execz .LBB77_163
; %bb.162:
	buffer_load_dword v81, off, s[20:23], 0 offset:32 ; 4-byte Folded Reload
	buffer_load_dword v82, off, s[20:23], 0 offset:36 ; 4-byte Folded Reload
	;; [unrolled: 1-line block ×8, first 2 shown]
	ds_read2_b64 v[99:102], v125 offset0:36 offset1:37
	s_waitcnt vmcnt(0)
	v_mul_f64 v[97:98], v[15:16], v[83:84]
	v_mul_f64 v[83:84], v[13:14], v[83:84]
	v_fma_f64 v[97:98], v[13:14], v[81:82], -v[97:98]
	v_fma_f64 v[83:84], v[15:16], v[81:82], v[83:84]
	buffer_load_dword v13, off, s[20:23], 0 offset:16 ; 4-byte Folded Reload
	buffer_load_dword v14, off, s[20:23], 0 offset:20 ; 4-byte Folded Reload
	;; [unrolled: 1-line block ×4, first 2 shown]
	s_waitcnt lgkmcnt(0)
	v_mul_f64 v[81:82], v[101:102], v[83:84]
	v_fma_f64 v[81:82], v[99:100], v[97:98], -v[81:82]
	v_mul_f64 v[99:100], v[99:100], v[83:84]
	v_fma_f64 v[99:100], v[101:102], v[97:98], v[99:100]
	s_waitcnt vmcnt(2)
	v_add_f64 v[13:14], v[13:14], -v[81:82]
	s_waitcnt vmcnt(0)
	v_add_f64 v[15:16], v[15:16], -v[99:100]
	buffer_store_dword v13, off, s[20:23], 0 offset:16 ; 4-byte Folded Spill
	s_nop 0
	buffer_store_dword v14, off, s[20:23], 0 offset:20 ; 4-byte Folded Spill
	buffer_store_dword v15, off, s[20:23], 0 offset:24 ; 4-byte Folded Spill
	;; [unrolled: 1-line block ×3, first 2 shown]
	ds_read2_b64 v[99:102], v125 offset0:38 offset1:39
	s_waitcnt lgkmcnt(0)
	v_mul_f64 v[81:82], v[101:102], v[83:84]
	v_fma_f64 v[81:82], v[99:100], v[97:98], -v[81:82]
	v_mul_f64 v[99:100], v[99:100], v[83:84]
	v_add_f64 v[73:74], v[73:74], -v[81:82]
	v_fma_f64 v[99:100], v[101:102], v[97:98], v[99:100]
	v_add_f64 v[75:76], v[75:76], -v[99:100]
	ds_read2_b64 v[99:102], v125 offset0:40 offset1:41
	s_waitcnt lgkmcnt(0)
	v_mul_f64 v[81:82], v[101:102], v[83:84]
	v_fma_f64 v[81:82], v[99:100], v[97:98], -v[81:82]
	v_mul_f64 v[99:100], v[99:100], v[83:84]
	v_add_f64 v[69:70], v[69:70], -v[81:82]
	v_fma_f64 v[99:100], v[101:102], v[97:98], v[99:100]
	v_add_f64 v[71:72], v[71:72], -v[99:100]
	;; [unrolled: 8-line block ×15, first 2 shown]
	ds_read2_b64 v[99:102], v125 offset0:68 offset1:69
	buffer_load_dword v13, off, s[20:23], 0 ; 4-byte Folded Reload
	buffer_load_dword v14, off, s[20:23], 0 offset:4 ; 4-byte Folded Reload
	buffer_load_dword v15, off, s[20:23], 0 offset:8 ; 4-byte Folded Reload
	;; [unrolled: 1-line block ×3, first 2 shown]
	s_waitcnt lgkmcnt(0)
	v_mul_f64 v[81:82], v[101:102], v[83:84]
	v_fma_f64 v[81:82], v[99:100], v[97:98], -v[81:82]
	v_mul_f64 v[99:100], v[99:100], v[83:84]
	v_fma_f64 v[99:100], v[101:102], v[97:98], v[99:100]
	s_waitcnt vmcnt(2)
	v_add_f64 v[13:14], v[13:14], -v[81:82]
	s_waitcnt vmcnt(0)
	v_add_f64 v[15:16], v[15:16], -v[99:100]
	buffer_store_dword v13, off, s[20:23], 0 ; 4-byte Folded Spill
	s_nop 0
	buffer_store_dword v14, off, s[20:23], 0 offset:4 ; 4-byte Folded Spill
	buffer_store_dword v15, off, s[20:23], 0 offset:8 ; 4-byte Folded Spill
	;; [unrolled: 1-line block ×3, first 2 shown]
	ds_read2_b64 v[99:102], v125 offset0:70 offset1:71
	s_waitcnt lgkmcnt(0)
	v_mul_f64 v[81:82], v[101:102], v[83:84]
	v_fma_f64 v[81:82], v[99:100], v[97:98], -v[81:82]
	v_mul_f64 v[99:100], v[99:100], v[83:84]
	v_add_f64 v[9:10], v[9:10], -v[81:82]
	v_fma_f64 v[99:100], v[101:102], v[97:98], v[99:100]
	v_add_f64 v[11:12], v[11:12], -v[99:100]
	ds_read2_b64 v[99:102], v125 offset0:72 offset1:73
	s_waitcnt lgkmcnt(0)
	v_mul_f64 v[81:82], v[101:102], v[83:84]
	v_fma_f64 v[81:82], v[99:100], v[97:98], -v[81:82]
	v_mul_f64 v[99:100], v[99:100], v[83:84]
	v_add_f64 v[5:6], v[5:6], -v[81:82]
	v_fma_f64 v[99:100], v[101:102], v[97:98], v[99:100]
	v_add_f64 v[7:8], v[7:8], -v[99:100]
	;; [unrolled: 8-line block ×3, first 2 shown]
	ds_read2_b64 v[99:102], v125 offset0:76 offset1:77
	buffer_load_dword v13, off, s[20:23], 0 offset:48 ; 4-byte Folded Reload
	buffer_load_dword v14, off, s[20:23], 0 offset:52 ; 4-byte Folded Reload
	;; [unrolled: 1-line block ×4, first 2 shown]
	s_waitcnt lgkmcnt(0)
	v_mul_f64 v[81:82], v[101:102], v[83:84]
	v_fma_f64 v[81:82], v[99:100], v[97:98], -v[81:82]
	v_mul_f64 v[99:100], v[99:100], v[83:84]
	v_fma_f64 v[99:100], v[101:102], v[97:98], v[99:100]
	s_waitcnt vmcnt(2)
	v_add_f64 v[13:14], v[13:14], -v[81:82]
	v_mov_b32_e32 v81, v97
	s_waitcnt vmcnt(0)
	v_add_f64 v[15:16], v[15:16], -v[99:100]
	v_mov_b32_e32 v82, v98
	buffer_store_dword v13, off, s[20:23], 0 offset:48 ; 4-byte Folded Spill
	s_nop 0
	buffer_store_dword v14, off, s[20:23], 0 offset:52 ; 4-byte Folded Spill
	buffer_store_dword v15, off, s[20:23], 0 offset:56 ; 4-byte Folded Spill
	buffer_store_dword v16, off, s[20:23], 0 offset:60 ; 4-byte Folded Spill
	buffer_store_dword v81, off, s[20:23], 0 offset:32 ; 4-byte Folded Spill
	s_nop 0
	buffer_store_dword v82, off, s[20:23], 0 offset:36 ; 4-byte Folded Spill
	buffer_store_dword v83, off, s[20:23], 0 offset:40 ; 4-byte Folded Spill
	;; [unrolled: 1-line block ×3, first 2 shown]
.LBB77_163:
	s_or_b64 exec, exec, s[2:3]
	s_waitcnt vmcnt(0)
	s_barrier
	v_cmp_eq_u32_e32 vcc, 18, v127
	s_mov_b64 s[4:5], exec
	buffer_load_dword v81, off, s[20:23], 0 offset:48 ; 4-byte Folded Reload
	buffer_load_dword v82, off, s[20:23], 0 offset:52 ; 4-byte Folded Reload
	;; [unrolled: 1-line block ×4, first 2 shown]
	s_and_b64 s[2:3], s[4:5], vcc
	s_mov_b64 exec, s[2:3]
	s_cbranch_execz .LBB77_170
; %bb.164:
	buffer_load_dword v13, off, s[20:23], 0 offset:16 ; 4-byte Folded Reload
	buffer_load_dword v14, off, s[20:23], 0 offset:20 ; 4-byte Folded Reload
	;; [unrolled: 1-line block ×4, first 2 shown]
	s_waitcnt vmcnt(0)
	ds_write2_b64 v0, v[13:14], v[15:16] offset1:1
	ds_write2_b64 v125, v[73:74], v[75:76] offset0:38 offset1:39
	ds_write2_b64 v125, v[69:70], v[71:72] offset0:40 offset1:41
	;; [unrolled: 1-line block ×15, first 2 shown]
	buffer_load_dword v13, off, s[20:23], 0 ; 4-byte Folded Reload
	buffer_load_dword v14, off, s[20:23], 0 offset:4 ; 4-byte Folded Reload
	buffer_load_dword v15, off, s[20:23], 0 offset:8 ; 4-byte Folded Reload
	;; [unrolled: 1-line block ×3, first 2 shown]
	s_waitcnt vmcnt(0)
	ds_write2_b64 v125, v[13:14], v[15:16] offset0:68 offset1:69
	ds_write2_b64 v125, v[9:10], v[11:12] offset0:70 offset1:71
	;; [unrolled: 1-line block ×5, first 2 shown]
	ds_read2_b64 v[97:100], v0 offset1:1
	s_waitcnt lgkmcnt(0)
	v_cmp_neq_f64_e32 vcc, 0, v[97:98]
	v_cmp_neq_f64_e64 s[2:3], 0, v[99:100]
	s_or_b64 s[2:3], vcc, s[2:3]
	s_and_b64 exec, exec, s[2:3]
	s_cbranch_execz .LBB77_170
; %bb.165:
	v_cmp_ngt_f64_e64 s[2:3], |v[97:98]|, |v[99:100]|
                                        ; implicit-def: $vgpr101_vgpr102
	s_and_saveexec_b64 s[6:7], s[2:3]
	s_xor_b64 s[2:3], exec, s[6:7]
                                        ; implicit-def: $vgpr103_vgpr104
	s_cbranch_execz .LBB77_167
; %bb.166:
	v_div_scale_f64 v[101:102], s[6:7], v[99:100], v[99:100], v[97:98]
	v_rcp_f64_e32 v[103:104], v[101:102]
	v_fma_f64 v[105:106], -v[101:102], v[103:104], 1.0
	v_fma_f64 v[103:104], v[103:104], v[105:106], v[103:104]
	v_div_scale_f64 v[105:106], vcc, v[97:98], v[99:100], v[97:98]
	v_fma_f64 v[107:108], -v[101:102], v[103:104], 1.0
	v_fma_f64 v[103:104], v[103:104], v[107:108], v[103:104]
	v_mul_f64 v[107:108], v[105:106], v[103:104]
	v_fma_f64 v[101:102], -v[101:102], v[107:108], v[105:106]
	v_div_fmas_f64 v[101:102], v[101:102], v[103:104], v[107:108]
	v_div_fixup_f64 v[101:102], v[101:102], v[99:100], v[97:98]
	v_fma_f64 v[97:98], v[97:98], v[101:102], v[99:100]
	v_div_scale_f64 v[99:100], s[6:7], v[97:98], v[97:98], 1.0
	v_div_scale_f64 v[107:108], vcc, 1.0, v[97:98], 1.0
	v_rcp_f64_e32 v[103:104], v[99:100]
	v_fma_f64 v[105:106], -v[99:100], v[103:104], 1.0
	v_fma_f64 v[103:104], v[103:104], v[105:106], v[103:104]
	v_fma_f64 v[105:106], -v[99:100], v[103:104], 1.0
	v_fma_f64 v[103:104], v[103:104], v[105:106], v[103:104]
	v_mul_f64 v[105:106], v[107:108], v[103:104]
	v_fma_f64 v[99:100], -v[99:100], v[105:106], v[107:108]
	v_div_fmas_f64 v[99:100], v[99:100], v[103:104], v[105:106]
	v_div_fixup_f64 v[103:104], v[99:100], v[97:98], 1.0
                                        ; implicit-def: $vgpr97_vgpr98
	v_mul_f64 v[101:102], v[101:102], v[103:104]
	v_xor_b32_e32 v104, 0x80000000, v104
.LBB77_167:
	s_andn2_saveexec_b64 s[2:3], s[2:3]
	s_cbranch_execz .LBB77_169
; %bb.168:
	v_div_scale_f64 v[101:102], s[6:7], v[97:98], v[97:98], v[99:100]
	v_rcp_f64_e32 v[103:104], v[101:102]
	v_fma_f64 v[105:106], -v[101:102], v[103:104], 1.0
	v_fma_f64 v[103:104], v[103:104], v[105:106], v[103:104]
	v_div_scale_f64 v[105:106], vcc, v[99:100], v[97:98], v[99:100]
	v_fma_f64 v[107:108], -v[101:102], v[103:104], 1.0
	v_fma_f64 v[103:104], v[103:104], v[107:108], v[103:104]
	v_mul_f64 v[107:108], v[105:106], v[103:104]
	v_fma_f64 v[101:102], -v[101:102], v[107:108], v[105:106]
	v_div_fmas_f64 v[101:102], v[101:102], v[103:104], v[107:108]
	v_div_fixup_f64 v[103:104], v[101:102], v[97:98], v[99:100]
	v_fma_f64 v[97:98], v[99:100], v[103:104], v[97:98]
	v_div_scale_f64 v[99:100], s[6:7], v[97:98], v[97:98], 1.0
	v_div_scale_f64 v[107:108], vcc, 1.0, v[97:98], 1.0
	v_rcp_f64_e32 v[101:102], v[99:100]
	v_fma_f64 v[105:106], -v[99:100], v[101:102], 1.0
	v_fma_f64 v[101:102], v[101:102], v[105:106], v[101:102]
	v_fma_f64 v[105:106], -v[99:100], v[101:102], 1.0
	v_fma_f64 v[101:102], v[101:102], v[105:106], v[101:102]
	v_mul_f64 v[105:106], v[107:108], v[101:102]
	v_fma_f64 v[99:100], -v[99:100], v[105:106], v[107:108]
	v_div_fmas_f64 v[99:100], v[99:100], v[101:102], v[105:106]
	v_div_fixup_f64 v[101:102], v[99:100], v[97:98], 1.0
	v_mul_f64 v[103:104], v[103:104], -v[101:102]
.LBB77_169:
	s_or_b64 exec, exec, s[2:3]
	ds_write2_b64 v0, v[101:102], v[103:104] offset1:1
.LBB77_170:
	s_or_b64 exec, exec, s[4:5]
	s_waitcnt vmcnt(0) lgkmcnt(0)
	s_barrier
	ds_read2_b64 v[13:16], v0 offset1:1
	v_cmp_lt_u32_e32 vcc, 18, v127
	s_waitcnt lgkmcnt(0)
	buffer_store_dword v13, off, s[20:23], 0 offset:860 ; 4-byte Folded Spill
	s_nop 0
	buffer_store_dword v14, off, s[20:23], 0 offset:864 ; 4-byte Folded Spill
	buffer_store_dword v15, off, s[20:23], 0 offset:868 ; 4-byte Folded Spill
	;; [unrolled: 1-line block ×3, first 2 shown]
	s_and_saveexec_b64 s[2:3], vcc
	s_cbranch_execz .LBB77_172
; %bb.171:
	buffer_load_dword v13, off, s[20:23], 0 offset:860 ; 4-byte Folded Reload
	buffer_load_dword v14, off, s[20:23], 0 offset:864 ; 4-byte Folded Reload
	;; [unrolled: 1-line block ×8, first 2 shown]
	ds_read2_b64 v[99:102], v125 offset0:38 offset1:39
	s_waitcnt vmcnt(0)
	v_mul_f64 v[97:98], v[15:16], v[79:80]
	v_mul_f64 v[79:80], v[13:14], v[79:80]
	v_fma_f64 v[97:98], v[13:14], v[77:78], -v[97:98]
	v_fma_f64 v[79:80], v[15:16], v[77:78], v[79:80]
	s_waitcnt lgkmcnt(0)
	v_mul_f64 v[77:78], v[101:102], v[79:80]
	v_fma_f64 v[77:78], v[99:100], v[97:98], -v[77:78]
	v_mul_f64 v[99:100], v[99:100], v[79:80]
	v_add_f64 v[73:74], v[73:74], -v[77:78]
	v_fma_f64 v[99:100], v[101:102], v[97:98], v[99:100]
	v_add_f64 v[75:76], v[75:76], -v[99:100]
	ds_read2_b64 v[99:102], v125 offset0:40 offset1:41
	s_waitcnt lgkmcnt(0)
	v_mul_f64 v[77:78], v[101:102], v[79:80]
	v_fma_f64 v[77:78], v[99:100], v[97:98], -v[77:78]
	v_mul_f64 v[99:100], v[99:100], v[79:80]
	v_add_f64 v[69:70], v[69:70], -v[77:78]
	v_fma_f64 v[99:100], v[101:102], v[97:98], v[99:100]
	v_add_f64 v[71:72], v[71:72], -v[99:100]
	ds_read2_b64 v[99:102], v125 offset0:42 offset1:43
	;; [unrolled: 8-line block ×15, first 2 shown]
	buffer_load_dword v13, off, s[20:23], 0 ; 4-byte Folded Reload
	buffer_load_dword v14, off, s[20:23], 0 offset:4 ; 4-byte Folded Reload
	buffer_load_dword v15, off, s[20:23], 0 offset:8 ; 4-byte Folded Reload
	;; [unrolled: 1-line block ×3, first 2 shown]
	s_waitcnt lgkmcnt(0)
	v_mul_f64 v[77:78], v[101:102], v[79:80]
	v_fma_f64 v[77:78], v[99:100], v[97:98], -v[77:78]
	v_mul_f64 v[99:100], v[99:100], v[79:80]
	v_fma_f64 v[99:100], v[101:102], v[97:98], v[99:100]
	s_waitcnt vmcnt(2)
	v_add_f64 v[13:14], v[13:14], -v[77:78]
	s_waitcnt vmcnt(0)
	v_add_f64 v[15:16], v[15:16], -v[99:100]
	buffer_store_dword v13, off, s[20:23], 0 ; 4-byte Folded Spill
	s_nop 0
	buffer_store_dword v14, off, s[20:23], 0 offset:4 ; 4-byte Folded Spill
	buffer_store_dword v15, off, s[20:23], 0 offset:8 ; 4-byte Folded Spill
	;; [unrolled: 1-line block ×3, first 2 shown]
	ds_read2_b64 v[99:102], v125 offset0:70 offset1:71
	s_waitcnt lgkmcnt(0)
	v_mul_f64 v[77:78], v[101:102], v[79:80]
	v_fma_f64 v[77:78], v[99:100], v[97:98], -v[77:78]
	v_mul_f64 v[99:100], v[99:100], v[79:80]
	v_add_f64 v[9:10], v[9:10], -v[77:78]
	v_fma_f64 v[99:100], v[101:102], v[97:98], v[99:100]
	v_add_f64 v[11:12], v[11:12], -v[99:100]
	ds_read2_b64 v[99:102], v125 offset0:72 offset1:73
	s_waitcnt lgkmcnt(0)
	v_mul_f64 v[77:78], v[101:102], v[79:80]
	v_fma_f64 v[77:78], v[99:100], v[97:98], -v[77:78]
	v_mul_f64 v[99:100], v[99:100], v[79:80]
	v_add_f64 v[5:6], v[5:6], -v[77:78]
	v_fma_f64 v[99:100], v[101:102], v[97:98], v[99:100]
	v_add_f64 v[7:8], v[7:8], -v[99:100]
	;; [unrolled: 8-line block ×3, first 2 shown]
	ds_read2_b64 v[99:102], v125 offset0:76 offset1:77
	s_waitcnt lgkmcnt(0)
	v_mul_f64 v[77:78], v[101:102], v[79:80]
	v_fma_f64 v[77:78], v[99:100], v[97:98], -v[77:78]
	v_mul_f64 v[99:100], v[99:100], v[79:80]
	v_add_f64 v[81:82], v[81:82], -v[77:78]
	v_fma_f64 v[99:100], v[101:102], v[97:98], v[99:100]
	v_mov_b32_e32 v77, v97
	v_mov_b32_e32 v78, v98
	buffer_store_dword v77, off, s[20:23], 0 offset:16 ; 4-byte Folded Spill
	s_nop 0
	buffer_store_dword v78, off, s[20:23], 0 offset:20 ; 4-byte Folded Spill
	buffer_store_dword v79, off, s[20:23], 0 offset:24 ; 4-byte Folded Spill
	;; [unrolled: 1-line block ×3, first 2 shown]
	v_add_f64 v[83:84], v[83:84], -v[99:100]
.LBB77_172:
	s_or_b64 exec, exec, s[2:3]
	v_cmp_eq_u32_e32 vcc, 19, v127
	s_waitcnt vmcnt(0)
	s_barrier
	s_and_saveexec_b64 s[4:5], vcc
	s_cbranch_execz .LBB77_179
; %bb.173:
	ds_write2_b64 v0, v[73:74], v[75:76] offset1:1
	ds_write2_b64 v125, v[69:70], v[71:72] offset0:40 offset1:41
	ds_write2_b64 v125, v[65:66], v[67:68] offset0:42 offset1:43
	;; [unrolled: 1-line block ×14, first 2 shown]
	buffer_load_dword v13, off, s[20:23], 0 ; 4-byte Folded Reload
	buffer_load_dword v14, off, s[20:23], 0 offset:4 ; 4-byte Folded Reload
	buffer_load_dword v15, off, s[20:23], 0 offset:8 ; 4-byte Folded Reload
	buffer_load_dword v16, off, s[20:23], 0 offset:12 ; 4-byte Folded Reload
	s_waitcnt vmcnt(0)
	ds_write2_b64 v125, v[13:14], v[15:16] offset0:68 offset1:69
	ds_write2_b64 v125, v[9:10], v[11:12] offset0:70 offset1:71
	;; [unrolled: 1-line block ×5, first 2 shown]
	ds_read2_b64 v[97:100], v0 offset1:1
	s_waitcnt lgkmcnt(0)
	v_cmp_neq_f64_e32 vcc, 0, v[97:98]
	v_cmp_neq_f64_e64 s[2:3], 0, v[99:100]
	s_or_b64 s[2:3], vcc, s[2:3]
	s_and_b64 exec, exec, s[2:3]
	s_cbranch_execz .LBB77_179
; %bb.174:
	v_cmp_ngt_f64_e64 s[2:3], |v[97:98]|, |v[99:100]|
                                        ; implicit-def: $vgpr101_vgpr102
	s_and_saveexec_b64 s[6:7], s[2:3]
	s_xor_b64 s[2:3], exec, s[6:7]
                                        ; implicit-def: $vgpr103_vgpr104
	s_cbranch_execz .LBB77_176
; %bb.175:
	v_div_scale_f64 v[101:102], s[6:7], v[99:100], v[99:100], v[97:98]
	v_rcp_f64_e32 v[103:104], v[101:102]
	v_fma_f64 v[105:106], -v[101:102], v[103:104], 1.0
	v_fma_f64 v[103:104], v[103:104], v[105:106], v[103:104]
	v_div_scale_f64 v[105:106], vcc, v[97:98], v[99:100], v[97:98]
	v_fma_f64 v[107:108], -v[101:102], v[103:104], 1.0
	v_fma_f64 v[103:104], v[103:104], v[107:108], v[103:104]
	v_mul_f64 v[107:108], v[105:106], v[103:104]
	v_fma_f64 v[101:102], -v[101:102], v[107:108], v[105:106]
	v_div_fmas_f64 v[101:102], v[101:102], v[103:104], v[107:108]
	v_div_fixup_f64 v[101:102], v[101:102], v[99:100], v[97:98]
	v_fma_f64 v[97:98], v[97:98], v[101:102], v[99:100]
	v_div_scale_f64 v[99:100], s[6:7], v[97:98], v[97:98], 1.0
	v_div_scale_f64 v[107:108], vcc, 1.0, v[97:98], 1.0
	v_rcp_f64_e32 v[103:104], v[99:100]
	v_fma_f64 v[105:106], -v[99:100], v[103:104], 1.0
	v_fma_f64 v[103:104], v[103:104], v[105:106], v[103:104]
	v_fma_f64 v[105:106], -v[99:100], v[103:104], 1.0
	v_fma_f64 v[103:104], v[103:104], v[105:106], v[103:104]
	v_mul_f64 v[105:106], v[107:108], v[103:104]
	v_fma_f64 v[99:100], -v[99:100], v[105:106], v[107:108]
	v_div_fmas_f64 v[99:100], v[99:100], v[103:104], v[105:106]
	v_div_fixup_f64 v[103:104], v[99:100], v[97:98], 1.0
                                        ; implicit-def: $vgpr97_vgpr98
	v_mul_f64 v[101:102], v[101:102], v[103:104]
	v_xor_b32_e32 v104, 0x80000000, v104
.LBB77_176:
	s_andn2_saveexec_b64 s[2:3], s[2:3]
	s_cbranch_execz .LBB77_178
; %bb.177:
	v_div_scale_f64 v[101:102], s[6:7], v[97:98], v[97:98], v[99:100]
	v_rcp_f64_e32 v[103:104], v[101:102]
	v_fma_f64 v[105:106], -v[101:102], v[103:104], 1.0
	v_fma_f64 v[103:104], v[103:104], v[105:106], v[103:104]
	v_div_scale_f64 v[105:106], vcc, v[99:100], v[97:98], v[99:100]
	v_fma_f64 v[107:108], -v[101:102], v[103:104], 1.0
	v_fma_f64 v[103:104], v[103:104], v[107:108], v[103:104]
	v_mul_f64 v[107:108], v[105:106], v[103:104]
	v_fma_f64 v[101:102], -v[101:102], v[107:108], v[105:106]
	v_div_fmas_f64 v[101:102], v[101:102], v[103:104], v[107:108]
	v_div_fixup_f64 v[103:104], v[101:102], v[97:98], v[99:100]
	v_fma_f64 v[97:98], v[99:100], v[103:104], v[97:98]
	v_div_scale_f64 v[99:100], s[6:7], v[97:98], v[97:98], 1.0
	v_div_scale_f64 v[107:108], vcc, 1.0, v[97:98], 1.0
	v_rcp_f64_e32 v[101:102], v[99:100]
	v_fma_f64 v[105:106], -v[99:100], v[101:102], 1.0
	v_fma_f64 v[101:102], v[101:102], v[105:106], v[101:102]
	v_fma_f64 v[105:106], -v[99:100], v[101:102], 1.0
	v_fma_f64 v[101:102], v[101:102], v[105:106], v[101:102]
	v_mul_f64 v[105:106], v[107:108], v[101:102]
	v_fma_f64 v[99:100], -v[99:100], v[105:106], v[107:108]
	v_div_fmas_f64 v[99:100], v[99:100], v[101:102], v[105:106]
	v_div_fixup_f64 v[101:102], v[99:100], v[97:98], 1.0
	v_mul_f64 v[103:104], v[103:104], -v[101:102]
.LBB77_178:
	s_or_b64 exec, exec, s[2:3]
	ds_write2_b64 v0, v[101:102], v[103:104] offset1:1
.LBB77_179:
	s_or_b64 exec, exec, s[4:5]
	s_waitcnt lgkmcnt(0)
	s_barrier
	ds_read2_b64 v[13:16], v0 offset1:1
	v_cmp_lt_u32_e32 vcc, 19, v127
	s_waitcnt lgkmcnt(0)
	buffer_store_dword v13, off, s[20:23], 0 offset:48 ; 4-byte Folded Spill
	s_nop 0
	buffer_store_dword v14, off, s[20:23], 0 offset:52 ; 4-byte Folded Spill
	buffer_store_dword v15, off, s[20:23], 0 offset:56 ; 4-byte Folded Spill
	;; [unrolled: 1-line block ×3, first 2 shown]
	s_and_saveexec_b64 s[2:3], vcc
	s_cbranch_execz .LBB77_181
; %bb.180:
	buffer_load_dword v13, off, s[20:23], 0 offset:48 ; 4-byte Folded Reload
	buffer_load_dword v14, off, s[20:23], 0 offset:52 ; 4-byte Folded Reload
	;; [unrolled: 1-line block ×4, first 2 shown]
	ds_read2_b64 v[99:102], v125 offset0:40 offset1:41
	s_waitcnt vmcnt(0)
	v_mul_f64 v[97:98], v[15:16], v[75:76]
	v_mul_f64 v[75:76], v[13:14], v[75:76]
	v_fma_f64 v[97:98], v[13:14], v[73:74], -v[97:98]
	v_fma_f64 v[75:76], v[15:16], v[73:74], v[75:76]
	s_waitcnt lgkmcnt(0)
	v_mul_f64 v[73:74], v[101:102], v[75:76]
	v_fma_f64 v[73:74], v[99:100], v[97:98], -v[73:74]
	v_mul_f64 v[99:100], v[99:100], v[75:76]
	v_add_f64 v[69:70], v[69:70], -v[73:74]
	v_fma_f64 v[99:100], v[101:102], v[97:98], v[99:100]
	v_add_f64 v[71:72], v[71:72], -v[99:100]
	ds_read2_b64 v[99:102], v125 offset0:42 offset1:43
	s_waitcnt lgkmcnt(0)
	v_mul_f64 v[73:74], v[101:102], v[75:76]
	v_fma_f64 v[73:74], v[99:100], v[97:98], -v[73:74]
	v_mul_f64 v[99:100], v[99:100], v[75:76]
	v_add_f64 v[65:66], v[65:66], -v[73:74]
	v_fma_f64 v[99:100], v[101:102], v[97:98], v[99:100]
	v_add_f64 v[67:68], v[67:68], -v[99:100]
	ds_read2_b64 v[99:102], v125 offset0:44 offset1:45
	;; [unrolled: 8-line block ×14, first 2 shown]
	buffer_load_dword v13, off, s[20:23], 0 ; 4-byte Folded Reload
	buffer_load_dword v14, off, s[20:23], 0 offset:4 ; 4-byte Folded Reload
	buffer_load_dword v15, off, s[20:23], 0 offset:8 ; 4-byte Folded Reload
	;; [unrolled: 1-line block ×3, first 2 shown]
	s_waitcnt lgkmcnt(0)
	v_mul_f64 v[73:74], v[101:102], v[75:76]
	v_fma_f64 v[73:74], v[99:100], v[97:98], -v[73:74]
	v_mul_f64 v[99:100], v[99:100], v[75:76]
	v_fma_f64 v[99:100], v[101:102], v[97:98], v[99:100]
	s_waitcnt vmcnt(2)
	v_add_f64 v[13:14], v[13:14], -v[73:74]
	s_waitcnt vmcnt(0)
	v_add_f64 v[15:16], v[15:16], -v[99:100]
	buffer_store_dword v13, off, s[20:23], 0 ; 4-byte Folded Spill
	s_nop 0
	buffer_store_dword v14, off, s[20:23], 0 offset:4 ; 4-byte Folded Spill
	buffer_store_dword v15, off, s[20:23], 0 offset:8 ; 4-byte Folded Spill
	;; [unrolled: 1-line block ×3, first 2 shown]
	ds_read2_b64 v[99:102], v125 offset0:70 offset1:71
	s_waitcnt lgkmcnt(0)
	v_mul_f64 v[73:74], v[101:102], v[75:76]
	v_fma_f64 v[73:74], v[99:100], v[97:98], -v[73:74]
	v_mul_f64 v[99:100], v[99:100], v[75:76]
	v_add_f64 v[9:10], v[9:10], -v[73:74]
	v_fma_f64 v[99:100], v[101:102], v[97:98], v[99:100]
	v_add_f64 v[11:12], v[11:12], -v[99:100]
	ds_read2_b64 v[99:102], v125 offset0:72 offset1:73
	s_waitcnt lgkmcnt(0)
	v_mul_f64 v[73:74], v[101:102], v[75:76]
	v_fma_f64 v[73:74], v[99:100], v[97:98], -v[73:74]
	v_mul_f64 v[99:100], v[99:100], v[75:76]
	v_add_f64 v[5:6], v[5:6], -v[73:74]
	v_fma_f64 v[99:100], v[101:102], v[97:98], v[99:100]
	v_add_f64 v[7:8], v[7:8], -v[99:100]
	;; [unrolled: 8-line block ×3, first 2 shown]
	ds_read2_b64 v[99:102], v125 offset0:76 offset1:77
	s_waitcnt lgkmcnt(0)
	v_mul_f64 v[73:74], v[101:102], v[75:76]
	v_fma_f64 v[73:74], v[99:100], v[97:98], -v[73:74]
	v_mul_f64 v[99:100], v[99:100], v[75:76]
	v_add_f64 v[81:82], v[81:82], -v[73:74]
	v_fma_f64 v[99:100], v[101:102], v[97:98], v[99:100]
	v_mov_b32_e32 v73, v97
	v_mov_b32_e32 v74, v98
	v_add_f64 v[83:84], v[83:84], -v[99:100]
.LBB77_181:
	s_or_b64 exec, exec, s[2:3]
	v_cmp_eq_u32_e32 vcc, 20, v127
	s_waitcnt vmcnt(0)
	s_barrier
	s_and_saveexec_b64 s[4:5], vcc
	s_cbranch_execz .LBB77_188
; %bb.182:
	ds_write2_b64 v0, v[69:70], v[71:72] offset1:1
	ds_write2_b64 v125, v[65:66], v[67:68] offset0:42 offset1:43
	ds_write2_b64 v125, v[61:62], v[63:64] offset0:44 offset1:45
	;; [unrolled: 1-line block ×13, first 2 shown]
	buffer_load_dword v13, off, s[20:23], 0 ; 4-byte Folded Reload
	buffer_load_dword v14, off, s[20:23], 0 offset:4 ; 4-byte Folded Reload
	buffer_load_dword v15, off, s[20:23], 0 offset:8 ; 4-byte Folded Reload
	;; [unrolled: 1-line block ×3, first 2 shown]
	s_waitcnt vmcnt(0)
	ds_write2_b64 v125, v[13:14], v[15:16] offset0:68 offset1:69
	ds_write2_b64 v125, v[9:10], v[11:12] offset0:70 offset1:71
	;; [unrolled: 1-line block ×5, first 2 shown]
	ds_read2_b64 v[97:100], v0 offset1:1
	s_waitcnt lgkmcnt(0)
	v_cmp_neq_f64_e32 vcc, 0, v[97:98]
	v_cmp_neq_f64_e64 s[2:3], 0, v[99:100]
	s_or_b64 s[2:3], vcc, s[2:3]
	s_and_b64 exec, exec, s[2:3]
	s_cbranch_execz .LBB77_188
; %bb.183:
	v_cmp_ngt_f64_e64 s[2:3], |v[97:98]|, |v[99:100]|
                                        ; implicit-def: $vgpr101_vgpr102
	s_and_saveexec_b64 s[6:7], s[2:3]
	s_xor_b64 s[2:3], exec, s[6:7]
                                        ; implicit-def: $vgpr103_vgpr104
	s_cbranch_execz .LBB77_185
; %bb.184:
	v_div_scale_f64 v[101:102], s[6:7], v[99:100], v[99:100], v[97:98]
	v_rcp_f64_e32 v[103:104], v[101:102]
	v_fma_f64 v[105:106], -v[101:102], v[103:104], 1.0
	v_fma_f64 v[103:104], v[103:104], v[105:106], v[103:104]
	v_div_scale_f64 v[105:106], vcc, v[97:98], v[99:100], v[97:98]
	v_fma_f64 v[107:108], -v[101:102], v[103:104], 1.0
	v_fma_f64 v[103:104], v[103:104], v[107:108], v[103:104]
	v_mul_f64 v[107:108], v[105:106], v[103:104]
	v_fma_f64 v[101:102], -v[101:102], v[107:108], v[105:106]
	v_div_fmas_f64 v[101:102], v[101:102], v[103:104], v[107:108]
	v_div_fixup_f64 v[101:102], v[101:102], v[99:100], v[97:98]
	v_fma_f64 v[97:98], v[97:98], v[101:102], v[99:100]
	v_div_scale_f64 v[99:100], s[6:7], v[97:98], v[97:98], 1.0
	v_div_scale_f64 v[107:108], vcc, 1.0, v[97:98], 1.0
	v_rcp_f64_e32 v[103:104], v[99:100]
	v_fma_f64 v[105:106], -v[99:100], v[103:104], 1.0
	v_fma_f64 v[103:104], v[103:104], v[105:106], v[103:104]
	v_fma_f64 v[105:106], -v[99:100], v[103:104], 1.0
	v_fma_f64 v[103:104], v[103:104], v[105:106], v[103:104]
	v_mul_f64 v[105:106], v[107:108], v[103:104]
	v_fma_f64 v[99:100], -v[99:100], v[105:106], v[107:108]
	v_div_fmas_f64 v[99:100], v[99:100], v[103:104], v[105:106]
	v_div_fixup_f64 v[103:104], v[99:100], v[97:98], 1.0
                                        ; implicit-def: $vgpr97_vgpr98
	v_mul_f64 v[101:102], v[101:102], v[103:104]
	v_xor_b32_e32 v104, 0x80000000, v104
.LBB77_185:
	s_andn2_saveexec_b64 s[2:3], s[2:3]
	s_cbranch_execz .LBB77_187
; %bb.186:
	v_div_scale_f64 v[101:102], s[6:7], v[97:98], v[97:98], v[99:100]
	v_rcp_f64_e32 v[103:104], v[101:102]
	v_fma_f64 v[105:106], -v[101:102], v[103:104], 1.0
	v_fma_f64 v[103:104], v[103:104], v[105:106], v[103:104]
	v_div_scale_f64 v[105:106], vcc, v[99:100], v[97:98], v[99:100]
	v_fma_f64 v[107:108], -v[101:102], v[103:104], 1.0
	v_fma_f64 v[103:104], v[103:104], v[107:108], v[103:104]
	v_mul_f64 v[107:108], v[105:106], v[103:104]
	v_fma_f64 v[101:102], -v[101:102], v[107:108], v[105:106]
	v_div_fmas_f64 v[101:102], v[101:102], v[103:104], v[107:108]
	v_div_fixup_f64 v[103:104], v[101:102], v[97:98], v[99:100]
	v_fma_f64 v[97:98], v[99:100], v[103:104], v[97:98]
	v_div_scale_f64 v[99:100], s[6:7], v[97:98], v[97:98], 1.0
	v_div_scale_f64 v[107:108], vcc, 1.0, v[97:98], 1.0
	v_rcp_f64_e32 v[101:102], v[99:100]
	v_fma_f64 v[105:106], -v[99:100], v[101:102], 1.0
	v_fma_f64 v[101:102], v[101:102], v[105:106], v[101:102]
	v_fma_f64 v[105:106], -v[99:100], v[101:102], 1.0
	v_fma_f64 v[101:102], v[101:102], v[105:106], v[101:102]
	v_mul_f64 v[105:106], v[107:108], v[101:102]
	v_fma_f64 v[99:100], -v[99:100], v[105:106], v[107:108]
	v_div_fmas_f64 v[99:100], v[99:100], v[101:102], v[105:106]
	v_div_fixup_f64 v[101:102], v[99:100], v[97:98], 1.0
	v_mul_f64 v[103:104], v[103:104], -v[101:102]
.LBB77_187:
	s_or_b64 exec, exec, s[2:3]
	ds_write2_b64 v0, v[101:102], v[103:104] offset1:1
.LBB77_188:
	s_or_b64 exec, exec, s[4:5]
	s_waitcnt lgkmcnt(0)
	s_barrier
	ds_read2_b64 v[13:16], v0 offset1:1
	v_cmp_lt_u32_e32 vcc, 20, v127
	s_waitcnt lgkmcnt(0)
	buffer_store_dword v13, off, s[20:23], 0 offset:876 ; 4-byte Folded Spill
	s_nop 0
	buffer_store_dword v14, off, s[20:23], 0 offset:880 ; 4-byte Folded Spill
	buffer_store_dword v15, off, s[20:23], 0 offset:884 ; 4-byte Folded Spill
	;; [unrolled: 1-line block ×3, first 2 shown]
	s_and_saveexec_b64 s[2:3], vcc
	s_cbranch_execz .LBB77_190
; %bb.189:
	buffer_load_dword v13, off, s[20:23], 0 offset:876 ; 4-byte Folded Reload
	buffer_load_dword v14, off, s[20:23], 0 offset:880 ; 4-byte Folded Reload
	;; [unrolled: 1-line block ×4, first 2 shown]
	ds_read2_b64 v[99:102], v125 offset0:42 offset1:43
	s_waitcnt vmcnt(0)
	v_mul_f64 v[97:98], v[15:16], v[71:72]
	v_mul_f64 v[71:72], v[13:14], v[71:72]
	v_fma_f64 v[97:98], v[13:14], v[69:70], -v[97:98]
	v_fma_f64 v[71:72], v[15:16], v[69:70], v[71:72]
	s_waitcnt lgkmcnt(0)
	v_mul_f64 v[69:70], v[101:102], v[71:72]
	v_fma_f64 v[69:70], v[99:100], v[97:98], -v[69:70]
	v_mul_f64 v[99:100], v[99:100], v[71:72]
	v_add_f64 v[65:66], v[65:66], -v[69:70]
	v_fma_f64 v[99:100], v[101:102], v[97:98], v[99:100]
	v_add_f64 v[67:68], v[67:68], -v[99:100]
	ds_read2_b64 v[99:102], v125 offset0:44 offset1:45
	s_waitcnt lgkmcnt(0)
	v_mul_f64 v[69:70], v[101:102], v[71:72]
	v_fma_f64 v[69:70], v[99:100], v[97:98], -v[69:70]
	v_mul_f64 v[99:100], v[99:100], v[71:72]
	v_add_f64 v[61:62], v[61:62], -v[69:70]
	v_fma_f64 v[99:100], v[101:102], v[97:98], v[99:100]
	v_add_f64 v[63:64], v[63:64], -v[99:100]
	ds_read2_b64 v[99:102], v125 offset0:46 offset1:47
	;; [unrolled: 8-line block ×13, first 2 shown]
	buffer_load_dword v13, off, s[20:23], 0 ; 4-byte Folded Reload
	buffer_load_dword v14, off, s[20:23], 0 offset:4 ; 4-byte Folded Reload
	buffer_load_dword v15, off, s[20:23], 0 offset:8 ; 4-byte Folded Reload
	;; [unrolled: 1-line block ×3, first 2 shown]
	s_waitcnt lgkmcnt(0)
	v_mul_f64 v[69:70], v[101:102], v[71:72]
	v_fma_f64 v[69:70], v[99:100], v[97:98], -v[69:70]
	v_mul_f64 v[99:100], v[99:100], v[71:72]
	v_fma_f64 v[99:100], v[101:102], v[97:98], v[99:100]
	s_waitcnt vmcnt(2)
	v_add_f64 v[13:14], v[13:14], -v[69:70]
	s_waitcnt vmcnt(0)
	v_add_f64 v[15:16], v[15:16], -v[99:100]
	buffer_store_dword v13, off, s[20:23], 0 ; 4-byte Folded Spill
	s_nop 0
	buffer_store_dword v14, off, s[20:23], 0 offset:4 ; 4-byte Folded Spill
	buffer_store_dword v15, off, s[20:23], 0 offset:8 ; 4-byte Folded Spill
	;; [unrolled: 1-line block ×3, first 2 shown]
	ds_read2_b64 v[99:102], v125 offset0:70 offset1:71
	s_waitcnt lgkmcnt(0)
	v_mul_f64 v[69:70], v[101:102], v[71:72]
	v_fma_f64 v[69:70], v[99:100], v[97:98], -v[69:70]
	v_mul_f64 v[99:100], v[99:100], v[71:72]
	v_add_f64 v[9:10], v[9:10], -v[69:70]
	v_fma_f64 v[99:100], v[101:102], v[97:98], v[99:100]
	v_add_f64 v[11:12], v[11:12], -v[99:100]
	ds_read2_b64 v[99:102], v125 offset0:72 offset1:73
	s_waitcnt lgkmcnt(0)
	v_mul_f64 v[69:70], v[101:102], v[71:72]
	v_fma_f64 v[69:70], v[99:100], v[97:98], -v[69:70]
	v_mul_f64 v[99:100], v[99:100], v[71:72]
	v_add_f64 v[5:6], v[5:6], -v[69:70]
	v_fma_f64 v[99:100], v[101:102], v[97:98], v[99:100]
	v_add_f64 v[7:8], v[7:8], -v[99:100]
	;; [unrolled: 8-line block ×3, first 2 shown]
	ds_read2_b64 v[99:102], v125 offset0:76 offset1:77
	s_waitcnt lgkmcnt(0)
	v_mul_f64 v[69:70], v[101:102], v[71:72]
	v_fma_f64 v[69:70], v[99:100], v[97:98], -v[69:70]
	v_mul_f64 v[99:100], v[99:100], v[71:72]
	v_add_f64 v[81:82], v[81:82], -v[69:70]
	v_fma_f64 v[99:100], v[101:102], v[97:98], v[99:100]
	v_mov_b32_e32 v69, v97
	v_mov_b32_e32 v70, v98
	v_add_f64 v[83:84], v[83:84], -v[99:100]
.LBB77_190:
	s_or_b64 exec, exec, s[2:3]
	v_cmp_eq_u32_e32 vcc, 21, v127
	s_waitcnt vmcnt(0)
	s_barrier
	s_and_saveexec_b64 s[4:5], vcc
	s_cbranch_execz .LBB77_197
; %bb.191:
	ds_write2_b64 v0, v[65:66], v[67:68] offset1:1
	ds_write2_b64 v125, v[61:62], v[63:64] offset0:44 offset1:45
	ds_write2_b64 v125, v[57:58], v[59:60] offset0:46 offset1:47
	;; [unrolled: 1-line block ×12, first 2 shown]
	buffer_load_dword v13, off, s[20:23], 0 ; 4-byte Folded Reload
	buffer_load_dword v14, off, s[20:23], 0 offset:4 ; 4-byte Folded Reload
	buffer_load_dword v15, off, s[20:23], 0 offset:8 ; 4-byte Folded Reload
	;; [unrolled: 1-line block ×3, first 2 shown]
	s_waitcnt vmcnt(0)
	ds_write2_b64 v125, v[13:14], v[15:16] offset0:68 offset1:69
	ds_write2_b64 v125, v[9:10], v[11:12] offset0:70 offset1:71
	;; [unrolled: 1-line block ×5, first 2 shown]
	ds_read2_b64 v[97:100], v0 offset1:1
	s_waitcnt lgkmcnt(0)
	v_cmp_neq_f64_e32 vcc, 0, v[97:98]
	v_cmp_neq_f64_e64 s[2:3], 0, v[99:100]
	s_or_b64 s[2:3], vcc, s[2:3]
	s_and_b64 exec, exec, s[2:3]
	s_cbranch_execz .LBB77_197
; %bb.192:
	v_cmp_ngt_f64_e64 s[2:3], |v[97:98]|, |v[99:100]|
                                        ; implicit-def: $vgpr101_vgpr102
	s_and_saveexec_b64 s[6:7], s[2:3]
	s_xor_b64 s[2:3], exec, s[6:7]
                                        ; implicit-def: $vgpr103_vgpr104
	s_cbranch_execz .LBB77_194
; %bb.193:
	v_div_scale_f64 v[101:102], s[6:7], v[99:100], v[99:100], v[97:98]
	v_rcp_f64_e32 v[103:104], v[101:102]
	v_fma_f64 v[105:106], -v[101:102], v[103:104], 1.0
	v_fma_f64 v[103:104], v[103:104], v[105:106], v[103:104]
	v_div_scale_f64 v[105:106], vcc, v[97:98], v[99:100], v[97:98]
	v_fma_f64 v[107:108], -v[101:102], v[103:104], 1.0
	v_fma_f64 v[103:104], v[103:104], v[107:108], v[103:104]
	v_mul_f64 v[107:108], v[105:106], v[103:104]
	v_fma_f64 v[101:102], -v[101:102], v[107:108], v[105:106]
	v_div_fmas_f64 v[101:102], v[101:102], v[103:104], v[107:108]
	v_div_fixup_f64 v[101:102], v[101:102], v[99:100], v[97:98]
	v_fma_f64 v[97:98], v[97:98], v[101:102], v[99:100]
	v_div_scale_f64 v[99:100], s[6:7], v[97:98], v[97:98], 1.0
	v_div_scale_f64 v[107:108], vcc, 1.0, v[97:98], 1.0
	v_rcp_f64_e32 v[103:104], v[99:100]
	v_fma_f64 v[105:106], -v[99:100], v[103:104], 1.0
	v_fma_f64 v[103:104], v[103:104], v[105:106], v[103:104]
	v_fma_f64 v[105:106], -v[99:100], v[103:104], 1.0
	v_fma_f64 v[103:104], v[103:104], v[105:106], v[103:104]
	v_mul_f64 v[105:106], v[107:108], v[103:104]
	v_fma_f64 v[99:100], -v[99:100], v[105:106], v[107:108]
	v_div_fmas_f64 v[99:100], v[99:100], v[103:104], v[105:106]
	v_div_fixup_f64 v[103:104], v[99:100], v[97:98], 1.0
                                        ; implicit-def: $vgpr97_vgpr98
	v_mul_f64 v[101:102], v[101:102], v[103:104]
	v_xor_b32_e32 v104, 0x80000000, v104
.LBB77_194:
	s_andn2_saveexec_b64 s[2:3], s[2:3]
	s_cbranch_execz .LBB77_196
; %bb.195:
	v_div_scale_f64 v[101:102], s[6:7], v[97:98], v[97:98], v[99:100]
	v_rcp_f64_e32 v[103:104], v[101:102]
	v_fma_f64 v[105:106], -v[101:102], v[103:104], 1.0
	v_fma_f64 v[103:104], v[103:104], v[105:106], v[103:104]
	v_div_scale_f64 v[105:106], vcc, v[99:100], v[97:98], v[99:100]
	v_fma_f64 v[107:108], -v[101:102], v[103:104], 1.0
	v_fma_f64 v[103:104], v[103:104], v[107:108], v[103:104]
	v_mul_f64 v[107:108], v[105:106], v[103:104]
	v_fma_f64 v[101:102], -v[101:102], v[107:108], v[105:106]
	v_div_fmas_f64 v[101:102], v[101:102], v[103:104], v[107:108]
	v_div_fixup_f64 v[103:104], v[101:102], v[97:98], v[99:100]
	v_fma_f64 v[97:98], v[99:100], v[103:104], v[97:98]
	v_div_scale_f64 v[99:100], s[6:7], v[97:98], v[97:98], 1.0
	v_div_scale_f64 v[107:108], vcc, 1.0, v[97:98], 1.0
	v_rcp_f64_e32 v[101:102], v[99:100]
	v_fma_f64 v[105:106], -v[99:100], v[101:102], 1.0
	v_fma_f64 v[101:102], v[101:102], v[105:106], v[101:102]
	v_fma_f64 v[105:106], -v[99:100], v[101:102], 1.0
	v_fma_f64 v[101:102], v[101:102], v[105:106], v[101:102]
	v_mul_f64 v[105:106], v[107:108], v[101:102]
	v_fma_f64 v[99:100], -v[99:100], v[105:106], v[107:108]
	v_div_fmas_f64 v[99:100], v[99:100], v[101:102], v[105:106]
	v_div_fixup_f64 v[101:102], v[99:100], v[97:98], 1.0
	v_mul_f64 v[103:104], v[103:104], -v[101:102]
.LBB77_196:
	s_or_b64 exec, exec, s[2:3]
	ds_write2_b64 v0, v[101:102], v[103:104] offset1:1
.LBB77_197:
	s_or_b64 exec, exec, s[4:5]
	s_waitcnt lgkmcnt(0)
	s_barrier
	ds_read2_b64 v[13:16], v0 offset1:1
	v_cmp_lt_u32_e32 vcc, 21, v127
	s_waitcnt lgkmcnt(0)
	buffer_store_dword v13, off, s[20:23], 0 offset:892 ; 4-byte Folded Spill
	s_nop 0
	buffer_store_dword v14, off, s[20:23], 0 offset:896 ; 4-byte Folded Spill
	buffer_store_dword v15, off, s[20:23], 0 offset:900 ; 4-byte Folded Spill
	;; [unrolled: 1-line block ×3, first 2 shown]
	s_and_saveexec_b64 s[2:3], vcc
	s_cbranch_execz .LBB77_199
; %bb.198:
	buffer_load_dword v13, off, s[20:23], 0 offset:892 ; 4-byte Folded Reload
	buffer_load_dword v14, off, s[20:23], 0 offset:896 ; 4-byte Folded Reload
	;; [unrolled: 1-line block ×4, first 2 shown]
	ds_read2_b64 v[99:102], v125 offset0:44 offset1:45
	s_waitcnt vmcnt(0)
	v_mul_f64 v[97:98], v[15:16], v[67:68]
	v_mul_f64 v[67:68], v[13:14], v[67:68]
	v_fma_f64 v[97:98], v[13:14], v[65:66], -v[97:98]
	v_fma_f64 v[67:68], v[15:16], v[65:66], v[67:68]
	s_waitcnt lgkmcnt(0)
	v_mul_f64 v[65:66], v[101:102], v[67:68]
	v_fma_f64 v[65:66], v[99:100], v[97:98], -v[65:66]
	v_mul_f64 v[99:100], v[99:100], v[67:68]
	v_add_f64 v[61:62], v[61:62], -v[65:66]
	v_fma_f64 v[99:100], v[101:102], v[97:98], v[99:100]
	v_add_f64 v[63:64], v[63:64], -v[99:100]
	ds_read2_b64 v[99:102], v125 offset0:46 offset1:47
	s_waitcnt lgkmcnt(0)
	v_mul_f64 v[65:66], v[101:102], v[67:68]
	v_fma_f64 v[65:66], v[99:100], v[97:98], -v[65:66]
	v_mul_f64 v[99:100], v[99:100], v[67:68]
	v_add_f64 v[57:58], v[57:58], -v[65:66]
	v_fma_f64 v[99:100], v[101:102], v[97:98], v[99:100]
	v_add_f64 v[59:60], v[59:60], -v[99:100]
	ds_read2_b64 v[99:102], v125 offset0:48 offset1:49
	;; [unrolled: 8-line block ×12, first 2 shown]
	buffer_load_dword v13, off, s[20:23], 0 ; 4-byte Folded Reload
	buffer_load_dword v14, off, s[20:23], 0 offset:4 ; 4-byte Folded Reload
	buffer_load_dword v15, off, s[20:23], 0 offset:8 ; 4-byte Folded Reload
	;; [unrolled: 1-line block ×3, first 2 shown]
	s_waitcnt lgkmcnt(0)
	v_mul_f64 v[65:66], v[101:102], v[67:68]
	v_fma_f64 v[65:66], v[99:100], v[97:98], -v[65:66]
	v_mul_f64 v[99:100], v[99:100], v[67:68]
	v_fma_f64 v[99:100], v[101:102], v[97:98], v[99:100]
	s_waitcnt vmcnt(2)
	v_add_f64 v[13:14], v[13:14], -v[65:66]
	s_waitcnt vmcnt(0)
	v_add_f64 v[15:16], v[15:16], -v[99:100]
	buffer_store_dword v13, off, s[20:23], 0 ; 4-byte Folded Spill
	s_nop 0
	buffer_store_dword v14, off, s[20:23], 0 offset:4 ; 4-byte Folded Spill
	buffer_store_dword v15, off, s[20:23], 0 offset:8 ; 4-byte Folded Spill
	;; [unrolled: 1-line block ×3, first 2 shown]
	ds_read2_b64 v[99:102], v125 offset0:70 offset1:71
	s_waitcnt lgkmcnt(0)
	v_mul_f64 v[65:66], v[101:102], v[67:68]
	v_fma_f64 v[65:66], v[99:100], v[97:98], -v[65:66]
	v_mul_f64 v[99:100], v[99:100], v[67:68]
	v_add_f64 v[9:10], v[9:10], -v[65:66]
	v_fma_f64 v[99:100], v[101:102], v[97:98], v[99:100]
	v_add_f64 v[11:12], v[11:12], -v[99:100]
	ds_read2_b64 v[99:102], v125 offset0:72 offset1:73
	s_waitcnt lgkmcnt(0)
	v_mul_f64 v[65:66], v[101:102], v[67:68]
	v_fma_f64 v[65:66], v[99:100], v[97:98], -v[65:66]
	v_mul_f64 v[99:100], v[99:100], v[67:68]
	v_add_f64 v[5:6], v[5:6], -v[65:66]
	v_fma_f64 v[99:100], v[101:102], v[97:98], v[99:100]
	v_add_f64 v[7:8], v[7:8], -v[99:100]
	;; [unrolled: 8-line block ×3, first 2 shown]
	ds_read2_b64 v[99:102], v125 offset0:76 offset1:77
	s_waitcnt lgkmcnt(0)
	v_mul_f64 v[65:66], v[101:102], v[67:68]
	v_fma_f64 v[65:66], v[99:100], v[97:98], -v[65:66]
	v_mul_f64 v[99:100], v[99:100], v[67:68]
	v_add_f64 v[81:82], v[81:82], -v[65:66]
	v_fma_f64 v[99:100], v[101:102], v[97:98], v[99:100]
	v_mov_b32_e32 v65, v97
	v_mov_b32_e32 v66, v98
	v_add_f64 v[83:84], v[83:84], -v[99:100]
.LBB77_199:
	s_or_b64 exec, exec, s[2:3]
	v_cmp_eq_u32_e32 vcc, 22, v127
	s_waitcnt vmcnt(0)
	s_barrier
	s_and_saveexec_b64 s[4:5], vcc
	s_cbranch_execz .LBB77_206
; %bb.200:
	ds_write2_b64 v0, v[61:62], v[63:64] offset1:1
	ds_write2_b64 v125, v[57:58], v[59:60] offset0:46 offset1:47
	ds_write2_b64 v125, v[53:54], v[55:56] offset0:48 offset1:49
	;; [unrolled: 1-line block ×11, first 2 shown]
	buffer_load_dword v13, off, s[20:23], 0 ; 4-byte Folded Reload
	buffer_load_dword v14, off, s[20:23], 0 offset:4 ; 4-byte Folded Reload
	buffer_load_dword v15, off, s[20:23], 0 offset:8 ; 4-byte Folded Reload
	;; [unrolled: 1-line block ×3, first 2 shown]
	s_waitcnt vmcnt(0)
	ds_write2_b64 v125, v[13:14], v[15:16] offset0:68 offset1:69
	ds_write2_b64 v125, v[9:10], v[11:12] offset0:70 offset1:71
	;; [unrolled: 1-line block ×5, first 2 shown]
	ds_read2_b64 v[97:100], v0 offset1:1
	s_waitcnt lgkmcnt(0)
	v_cmp_neq_f64_e32 vcc, 0, v[97:98]
	v_cmp_neq_f64_e64 s[2:3], 0, v[99:100]
	s_or_b64 s[2:3], vcc, s[2:3]
	s_and_b64 exec, exec, s[2:3]
	s_cbranch_execz .LBB77_206
; %bb.201:
	v_cmp_ngt_f64_e64 s[2:3], |v[97:98]|, |v[99:100]|
                                        ; implicit-def: $vgpr101_vgpr102
	s_and_saveexec_b64 s[6:7], s[2:3]
	s_xor_b64 s[2:3], exec, s[6:7]
                                        ; implicit-def: $vgpr103_vgpr104
	s_cbranch_execz .LBB77_203
; %bb.202:
	v_div_scale_f64 v[101:102], s[6:7], v[99:100], v[99:100], v[97:98]
	v_rcp_f64_e32 v[103:104], v[101:102]
	v_fma_f64 v[105:106], -v[101:102], v[103:104], 1.0
	v_fma_f64 v[103:104], v[103:104], v[105:106], v[103:104]
	v_div_scale_f64 v[105:106], vcc, v[97:98], v[99:100], v[97:98]
	v_fma_f64 v[107:108], -v[101:102], v[103:104], 1.0
	v_fma_f64 v[103:104], v[103:104], v[107:108], v[103:104]
	v_mul_f64 v[107:108], v[105:106], v[103:104]
	v_fma_f64 v[101:102], -v[101:102], v[107:108], v[105:106]
	v_div_fmas_f64 v[101:102], v[101:102], v[103:104], v[107:108]
	v_div_fixup_f64 v[101:102], v[101:102], v[99:100], v[97:98]
	v_fma_f64 v[97:98], v[97:98], v[101:102], v[99:100]
	v_div_scale_f64 v[99:100], s[6:7], v[97:98], v[97:98], 1.0
	v_div_scale_f64 v[107:108], vcc, 1.0, v[97:98], 1.0
	v_rcp_f64_e32 v[103:104], v[99:100]
	v_fma_f64 v[105:106], -v[99:100], v[103:104], 1.0
	v_fma_f64 v[103:104], v[103:104], v[105:106], v[103:104]
	v_fma_f64 v[105:106], -v[99:100], v[103:104], 1.0
	v_fma_f64 v[103:104], v[103:104], v[105:106], v[103:104]
	v_mul_f64 v[105:106], v[107:108], v[103:104]
	v_fma_f64 v[99:100], -v[99:100], v[105:106], v[107:108]
	v_div_fmas_f64 v[99:100], v[99:100], v[103:104], v[105:106]
	v_div_fixup_f64 v[103:104], v[99:100], v[97:98], 1.0
                                        ; implicit-def: $vgpr97_vgpr98
	v_mul_f64 v[101:102], v[101:102], v[103:104]
	v_xor_b32_e32 v104, 0x80000000, v104
.LBB77_203:
	s_andn2_saveexec_b64 s[2:3], s[2:3]
	s_cbranch_execz .LBB77_205
; %bb.204:
	v_div_scale_f64 v[101:102], s[6:7], v[97:98], v[97:98], v[99:100]
	v_rcp_f64_e32 v[103:104], v[101:102]
	v_fma_f64 v[105:106], -v[101:102], v[103:104], 1.0
	v_fma_f64 v[103:104], v[103:104], v[105:106], v[103:104]
	v_div_scale_f64 v[105:106], vcc, v[99:100], v[97:98], v[99:100]
	v_fma_f64 v[107:108], -v[101:102], v[103:104], 1.0
	v_fma_f64 v[103:104], v[103:104], v[107:108], v[103:104]
	v_mul_f64 v[107:108], v[105:106], v[103:104]
	v_fma_f64 v[101:102], -v[101:102], v[107:108], v[105:106]
	v_div_fmas_f64 v[101:102], v[101:102], v[103:104], v[107:108]
	v_div_fixup_f64 v[103:104], v[101:102], v[97:98], v[99:100]
	v_fma_f64 v[97:98], v[99:100], v[103:104], v[97:98]
	v_div_scale_f64 v[99:100], s[6:7], v[97:98], v[97:98], 1.0
	v_div_scale_f64 v[107:108], vcc, 1.0, v[97:98], 1.0
	v_rcp_f64_e32 v[101:102], v[99:100]
	v_fma_f64 v[105:106], -v[99:100], v[101:102], 1.0
	v_fma_f64 v[101:102], v[101:102], v[105:106], v[101:102]
	v_fma_f64 v[105:106], -v[99:100], v[101:102], 1.0
	v_fma_f64 v[101:102], v[101:102], v[105:106], v[101:102]
	v_mul_f64 v[105:106], v[107:108], v[101:102]
	v_fma_f64 v[99:100], -v[99:100], v[105:106], v[107:108]
	v_div_fmas_f64 v[99:100], v[99:100], v[101:102], v[105:106]
	v_div_fixup_f64 v[101:102], v[99:100], v[97:98], 1.0
	v_mul_f64 v[103:104], v[103:104], -v[101:102]
.LBB77_205:
	s_or_b64 exec, exec, s[2:3]
	ds_write2_b64 v0, v[101:102], v[103:104] offset1:1
.LBB77_206:
	s_or_b64 exec, exec, s[4:5]
	s_waitcnt lgkmcnt(0)
	s_barrier
	ds_read2_b64 v[13:16], v0 offset1:1
	v_cmp_lt_u32_e32 vcc, 22, v127
	s_waitcnt lgkmcnt(0)
	buffer_store_dword v13, off, s[20:23], 0 offset:908 ; 4-byte Folded Spill
	s_nop 0
	buffer_store_dword v14, off, s[20:23], 0 offset:912 ; 4-byte Folded Spill
	buffer_store_dword v15, off, s[20:23], 0 offset:916 ; 4-byte Folded Spill
	;; [unrolled: 1-line block ×3, first 2 shown]
	s_and_saveexec_b64 s[2:3], vcc
	s_cbranch_execz .LBB77_208
; %bb.207:
	buffer_load_dword v13, off, s[20:23], 0 offset:908 ; 4-byte Folded Reload
	buffer_load_dword v14, off, s[20:23], 0 offset:912 ; 4-byte Folded Reload
	;; [unrolled: 1-line block ×4, first 2 shown]
	ds_read2_b64 v[99:102], v125 offset0:46 offset1:47
	s_waitcnt vmcnt(2)
	v_mul_f64 v[97:98], v[13:14], v[63:64]
	s_waitcnt vmcnt(0)
	v_mul_f64 v[63:64], v[15:16], v[63:64]
	v_fma_f64 v[97:98], v[15:16], v[61:62], v[97:98]
	v_fma_f64 v[61:62], v[13:14], v[61:62], -v[63:64]
	s_waitcnt lgkmcnt(0)
	v_mul_f64 v[63:64], v[101:102], v[97:98]
	v_fma_f64 v[63:64], v[99:100], v[61:62], -v[63:64]
	v_mul_f64 v[99:100], v[99:100], v[97:98]
	v_add_f64 v[57:58], v[57:58], -v[63:64]
	v_fma_f64 v[99:100], v[101:102], v[61:62], v[99:100]
	v_add_f64 v[59:60], v[59:60], -v[99:100]
	ds_read2_b64 v[99:102], v125 offset0:48 offset1:49
	s_waitcnt lgkmcnt(0)
	v_mul_f64 v[63:64], v[101:102], v[97:98]
	v_fma_f64 v[63:64], v[99:100], v[61:62], -v[63:64]
	v_mul_f64 v[99:100], v[99:100], v[97:98]
	v_add_f64 v[53:54], v[53:54], -v[63:64]
	v_fma_f64 v[99:100], v[101:102], v[61:62], v[99:100]
	v_add_f64 v[55:56], v[55:56], -v[99:100]
	ds_read2_b64 v[99:102], v125 offset0:50 offset1:51
	;; [unrolled: 8-line block ×11, first 2 shown]
	buffer_load_dword v13, off, s[20:23], 0 ; 4-byte Folded Reload
	buffer_load_dword v14, off, s[20:23], 0 offset:4 ; 4-byte Folded Reload
	buffer_load_dword v15, off, s[20:23], 0 offset:8 ; 4-byte Folded Reload
	;; [unrolled: 1-line block ×3, first 2 shown]
	s_waitcnt lgkmcnt(0)
	v_mul_f64 v[63:64], v[101:102], v[97:98]
	v_fma_f64 v[63:64], v[99:100], v[61:62], -v[63:64]
	v_mul_f64 v[99:100], v[99:100], v[97:98]
	v_fma_f64 v[99:100], v[101:102], v[61:62], v[99:100]
	s_waitcnt vmcnt(2)
	v_add_f64 v[13:14], v[13:14], -v[63:64]
	s_waitcnt vmcnt(0)
	v_add_f64 v[15:16], v[15:16], -v[99:100]
	buffer_store_dword v13, off, s[20:23], 0 ; 4-byte Folded Spill
	s_nop 0
	buffer_store_dword v14, off, s[20:23], 0 offset:4 ; 4-byte Folded Spill
	buffer_store_dword v15, off, s[20:23], 0 offset:8 ; 4-byte Folded Spill
	;; [unrolled: 1-line block ×3, first 2 shown]
	ds_read2_b64 v[99:102], v125 offset0:70 offset1:71
	s_waitcnt lgkmcnt(0)
	v_mul_f64 v[63:64], v[101:102], v[97:98]
	v_fma_f64 v[63:64], v[99:100], v[61:62], -v[63:64]
	v_mul_f64 v[99:100], v[99:100], v[97:98]
	v_add_f64 v[9:10], v[9:10], -v[63:64]
	v_fma_f64 v[99:100], v[101:102], v[61:62], v[99:100]
	v_add_f64 v[11:12], v[11:12], -v[99:100]
	ds_read2_b64 v[99:102], v125 offset0:72 offset1:73
	s_waitcnt lgkmcnt(0)
	v_mul_f64 v[63:64], v[101:102], v[97:98]
	v_fma_f64 v[63:64], v[99:100], v[61:62], -v[63:64]
	v_mul_f64 v[99:100], v[99:100], v[97:98]
	v_add_f64 v[5:6], v[5:6], -v[63:64]
	v_fma_f64 v[99:100], v[101:102], v[61:62], v[99:100]
	v_add_f64 v[7:8], v[7:8], -v[99:100]
	;; [unrolled: 8-line block ×3, first 2 shown]
	ds_read2_b64 v[99:102], v125 offset0:76 offset1:77
	s_waitcnt lgkmcnt(0)
	v_mul_f64 v[63:64], v[101:102], v[97:98]
	v_fma_f64 v[63:64], v[99:100], v[61:62], -v[63:64]
	v_mul_f64 v[99:100], v[99:100], v[97:98]
	v_add_f64 v[81:82], v[81:82], -v[63:64]
	v_fma_f64 v[99:100], v[101:102], v[61:62], v[99:100]
	v_mov_b32_e32 v63, v97
	v_mov_b32_e32 v64, v98
	v_add_f64 v[83:84], v[83:84], -v[99:100]
.LBB77_208:
	s_or_b64 exec, exec, s[2:3]
	v_cmp_eq_u32_e32 vcc, 23, v127
	s_waitcnt vmcnt(0)
	s_barrier
	s_and_saveexec_b64 s[4:5], vcc
	s_cbranch_execz .LBB77_215
; %bb.209:
	ds_write2_b64 v0, v[57:58], v[59:60] offset1:1
	ds_write2_b64 v125, v[53:54], v[55:56] offset0:48 offset1:49
	ds_write2_b64 v125, v[49:50], v[51:52] offset0:50 offset1:51
	;; [unrolled: 1-line block ×10, first 2 shown]
	buffer_load_dword v13, off, s[20:23], 0 ; 4-byte Folded Reload
	buffer_load_dword v14, off, s[20:23], 0 offset:4 ; 4-byte Folded Reload
	buffer_load_dword v15, off, s[20:23], 0 offset:8 ; 4-byte Folded Reload
	;; [unrolled: 1-line block ×3, first 2 shown]
	s_waitcnt vmcnt(0)
	ds_write2_b64 v125, v[13:14], v[15:16] offset0:68 offset1:69
	ds_write2_b64 v125, v[9:10], v[11:12] offset0:70 offset1:71
	;; [unrolled: 1-line block ×5, first 2 shown]
	ds_read2_b64 v[97:100], v0 offset1:1
	s_waitcnt lgkmcnt(0)
	v_cmp_neq_f64_e32 vcc, 0, v[97:98]
	v_cmp_neq_f64_e64 s[2:3], 0, v[99:100]
	s_or_b64 s[2:3], vcc, s[2:3]
	s_and_b64 exec, exec, s[2:3]
	s_cbranch_execz .LBB77_215
; %bb.210:
	v_cmp_ngt_f64_e64 s[2:3], |v[97:98]|, |v[99:100]|
                                        ; implicit-def: $vgpr101_vgpr102
	s_and_saveexec_b64 s[6:7], s[2:3]
	s_xor_b64 s[2:3], exec, s[6:7]
                                        ; implicit-def: $vgpr103_vgpr104
	s_cbranch_execz .LBB77_212
; %bb.211:
	v_div_scale_f64 v[101:102], s[6:7], v[99:100], v[99:100], v[97:98]
	v_rcp_f64_e32 v[103:104], v[101:102]
	v_fma_f64 v[105:106], -v[101:102], v[103:104], 1.0
	v_fma_f64 v[103:104], v[103:104], v[105:106], v[103:104]
	v_div_scale_f64 v[105:106], vcc, v[97:98], v[99:100], v[97:98]
	v_fma_f64 v[107:108], -v[101:102], v[103:104], 1.0
	v_fma_f64 v[103:104], v[103:104], v[107:108], v[103:104]
	v_mul_f64 v[107:108], v[105:106], v[103:104]
	v_fma_f64 v[101:102], -v[101:102], v[107:108], v[105:106]
	v_div_fmas_f64 v[101:102], v[101:102], v[103:104], v[107:108]
	v_div_fixup_f64 v[101:102], v[101:102], v[99:100], v[97:98]
	v_fma_f64 v[97:98], v[97:98], v[101:102], v[99:100]
	v_div_scale_f64 v[99:100], s[6:7], v[97:98], v[97:98], 1.0
	v_div_scale_f64 v[107:108], vcc, 1.0, v[97:98], 1.0
	v_rcp_f64_e32 v[103:104], v[99:100]
	v_fma_f64 v[105:106], -v[99:100], v[103:104], 1.0
	v_fma_f64 v[103:104], v[103:104], v[105:106], v[103:104]
	v_fma_f64 v[105:106], -v[99:100], v[103:104], 1.0
	v_fma_f64 v[103:104], v[103:104], v[105:106], v[103:104]
	v_mul_f64 v[105:106], v[107:108], v[103:104]
	v_fma_f64 v[99:100], -v[99:100], v[105:106], v[107:108]
	v_div_fmas_f64 v[99:100], v[99:100], v[103:104], v[105:106]
	v_div_fixup_f64 v[103:104], v[99:100], v[97:98], 1.0
                                        ; implicit-def: $vgpr97_vgpr98
	v_mul_f64 v[101:102], v[101:102], v[103:104]
	v_xor_b32_e32 v104, 0x80000000, v104
.LBB77_212:
	s_andn2_saveexec_b64 s[2:3], s[2:3]
	s_cbranch_execz .LBB77_214
; %bb.213:
	v_div_scale_f64 v[101:102], s[6:7], v[97:98], v[97:98], v[99:100]
	v_rcp_f64_e32 v[103:104], v[101:102]
	v_fma_f64 v[105:106], -v[101:102], v[103:104], 1.0
	v_fma_f64 v[103:104], v[103:104], v[105:106], v[103:104]
	v_div_scale_f64 v[105:106], vcc, v[99:100], v[97:98], v[99:100]
	v_fma_f64 v[107:108], -v[101:102], v[103:104], 1.0
	v_fma_f64 v[103:104], v[103:104], v[107:108], v[103:104]
	v_mul_f64 v[107:108], v[105:106], v[103:104]
	v_fma_f64 v[101:102], -v[101:102], v[107:108], v[105:106]
	v_div_fmas_f64 v[101:102], v[101:102], v[103:104], v[107:108]
	v_div_fixup_f64 v[103:104], v[101:102], v[97:98], v[99:100]
	v_fma_f64 v[97:98], v[99:100], v[103:104], v[97:98]
	v_div_scale_f64 v[99:100], s[6:7], v[97:98], v[97:98], 1.0
	v_div_scale_f64 v[107:108], vcc, 1.0, v[97:98], 1.0
	v_rcp_f64_e32 v[101:102], v[99:100]
	v_fma_f64 v[105:106], -v[99:100], v[101:102], 1.0
	v_fma_f64 v[101:102], v[101:102], v[105:106], v[101:102]
	v_fma_f64 v[105:106], -v[99:100], v[101:102], 1.0
	v_fma_f64 v[101:102], v[101:102], v[105:106], v[101:102]
	v_mul_f64 v[105:106], v[107:108], v[101:102]
	v_fma_f64 v[99:100], -v[99:100], v[105:106], v[107:108]
	v_div_fmas_f64 v[99:100], v[99:100], v[101:102], v[105:106]
	v_div_fixup_f64 v[101:102], v[99:100], v[97:98], 1.0
	v_mul_f64 v[103:104], v[103:104], -v[101:102]
.LBB77_214:
	s_or_b64 exec, exec, s[2:3]
	ds_write2_b64 v0, v[101:102], v[103:104] offset1:1
.LBB77_215:
	s_or_b64 exec, exec, s[4:5]
	s_waitcnt lgkmcnt(0)
	s_barrier
	ds_read2_b64 v[13:16], v0 offset1:1
	v_cmp_lt_u32_e32 vcc, 23, v127
	s_waitcnt lgkmcnt(0)
	buffer_store_dword v13, off, s[20:23], 0 offset:924 ; 4-byte Folded Spill
	s_nop 0
	buffer_store_dword v14, off, s[20:23], 0 offset:928 ; 4-byte Folded Spill
	buffer_store_dword v15, off, s[20:23], 0 offset:932 ; 4-byte Folded Spill
	;; [unrolled: 1-line block ×3, first 2 shown]
	s_and_saveexec_b64 s[2:3], vcc
	s_cbranch_execz .LBB77_217
; %bb.216:
	buffer_load_dword v13, off, s[20:23], 0 offset:924 ; 4-byte Folded Reload
	buffer_load_dword v14, off, s[20:23], 0 offset:928 ; 4-byte Folded Reload
	buffer_load_dword v15, off, s[20:23], 0 offset:932 ; 4-byte Folded Reload
	buffer_load_dword v16, off, s[20:23], 0 offset:936 ; 4-byte Folded Reload
	ds_read2_b64 v[99:102], v125 offset0:48 offset1:49
	s_waitcnt vmcnt(2)
	v_mul_f64 v[97:98], v[13:14], v[59:60]
	s_waitcnt vmcnt(0)
	v_mul_f64 v[59:60], v[15:16], v[59:60]
	v_fma_f64 v[97:98], v[15:16], v[57:58], v[97:98]
	v_fma_f64 v[57:58], v[13:14], v[57:58], -v[59:60]
	s_waitcnt lgkmcnt(0)
	v_mul_f64 v[59:60], v[101:102], v[97:98]
	v_fma_f64 v[59:60], v[99:100], v[57:58], -v[59:60]
	v_mul_f64 v[99:100], v[99:100], v[97:98]
	v_add_f64 v[53:54], v[53:54], -v[59:60]
	v_fma_f64 v[99:100], v[101:102], v[57:58], v[99:100]
	v_add_f64 v[55:56], v[55:56], -v[99:100]
	ds_read2_b64 v[99:102], v125 offset0:50 offset1:51
	s_waitcnt lgkmcnt(0)
	v_mul_f64 v[59:60], v[101:102], v[97:98]
	v_fma_f64 v[59:60], v[99:100], v[57:58], -v[59:60]
	v_mul_f64 v[99:100], v[99:100], v[97:98]
	v_add_f64 v[49:50], v[49:50], -v[59:60]
	v_fma_f64 v[99:100], v[101:102], v[57:58], v[99:100]
	v_add_f64 v[51:52], v[51:52], -v[99:100]
	ds_read2_b64 v[99:102], v125 offset0:52 offset1:53
	s_waitcnt lgkmcnt(0)
	v_mul_f64 v[59:60], v[101:102], v[97:98]
	v_fma_f64 v[59:60], v[99:100], v[57:58], -v[59:60]
	v_mul_f64 v[99:100], v[99:100], v[97:98]
	v_add_f64 v[45:46], v[45:46], -v[59:60]
	v_fma_f64 v[99:100], v[101:102], v[57:58], v[99:100]
	v_add_f64 v[47:48], v[47:48], -v[99:100]
	ds_read2_b64 v[99:102], v125 offset0:54 offset1:55
	s_waitcnt lgkmcnt(0)
	v_mul_f64 v[59:60], v[101:102], v[97:98]
	v_fma_f64 v[59:60], v[99:100], v[57:58], -v[59:60]
	v_mul_f64 v[99:100], v[99:100], v[97:98]
	v_add_f64 v[41:42], v[41:42], -v[59:60]
	v_fma_f64 v[99:100], v[101:102], v[57:58], v[99:100]
	v_add_f64 v[43:44], v[43:44], -v[99:100]
	ds_read2_b64 v[99:102], v125 offset0:56 offset1:57
	s_waitcnt lgkmcnt(0)
	v_mul_f64 v[59:60], v[101:102], v[97:98]
	v_fma_f64 v[59:60], v[99:100], v[57:58], -v[59:60]
	v_mul_f64 v[99:100], v[99:100], v[97:98]
	v_add_f64 v[37:38], v[37:38], -v[59:60]
	v_fma_f64 v[99:100], v[101:102], v[57:58], v[99:100]
	v_add_f64 v[39:40], v[39:40], -v[99:100]
	ds_read2_b64 v[99:102], v125 offset0:58 offset1:59
	s_waitcnt lgkmcnt(0)
	v_mul_f64 v[59:60], v[101:102], v[97:98]
	v_fma_f64 v[59:60], v[99:100], v[57:58], -v[59:60]
	v_mul_f64 v[99:100], v[99:100], v[97:98]
	v_add_f64 v[33:34], v[33:34], -v[59:60]
	v_fma_f64 v[99:100], v[101:102], v[57:58], v[99:100]
	v_add_f64 v[35:36], v[35:36], -v[99:100]
	ds_read2_b64 v[99:102], v125 offset0:60 offset1:61
	s_waitcnt lgkmcnt(0)
	v_mul_f64 v[59:60], v[101:102], v[97:98]
	v_fma_f64 v[59:60], v[99:100], v[57:58], -v[59:60]
	v_mul_f64 v[99:100], v[99:100], v[97:98]
	v_add_f64 v[29:30], v[29:30], -v[59:60]
	v_fma_f64 v[99:100], v[101:102], v[57:58], v[99:100]
	v_add_f64 v[31:32], v[31:32], -v[99:100]
	ds_read2_b64 v[99:102], v125 offset0:62 offset1:63
	s_waitcnt lgkmcnt(0)
	v_mul_f64 v[59:60], v[101:102], v[97:98]
	v_fma_f64 v[59:60], v[99:100], v[57:58], -v[59:60]
	v_mul_f64 v[99:100], v[99:100], v[97:98]
	v_add_f64 v[25:26], v[25:26], -v[59:60]
	v_fma_f64 v[99:100], v[101:102], v[57:58], v[99:100]
	v_add_f64 v[27:28], v[27:28], -v[99:100]
	ds_read2_b64 v[99:102], v125 offset0:64 offset1:65
	s_waitcnt lgkmcnt(0)
	v_mul_f64 v[59:60], v[101:102], v[97:98]
	v_fma_f64 v[59:60], v[99:100], v[57:58], -v[59:60]
	v_mul_f64 v[99:100], v[99:100], v[97:98]
	v_add_f64 v[21:22], v[21:22], -v[59:60]
	v_fma_f64 v[99:100], v[101:102], v[57:58], v[99:100]
	v_add_f64 v[23:24], v[23:24], -v[99:100]
	ds_read2_b64 v[99:102], v125 offset0:66 offset1:67
	s_waitcnt lgkmcnt(0)
	v_mul_f64 v[59:60], v[101:102], v[97:98]
	v_fma_f64 v[59:60], v[99:100], v[57:58], -v[59:60]
	v_mul_f64 v[99:100], v[99:100], v[97:98]
	v_add_f64 v[17:18], v[17:18], -v[59:60]
	v_fma_f64 v[99:100], v[101:102], v[57:58], v[99:100]
	v_add_f64 v[19:20], v[19:20], -v[99:100]
	ds_read2_b64 v[99:102], v125 offset0:68 offset1:69
	buffer_load_dword v13, off, s[20:23], 0 ; 4-byte Folded Reload
	buffer_load_dword v14, off, s[20:23], 0 offset:4 ; 4-byte Folded Reload
	buffer_load_dword v15, off, s[20:23], 0 offset:8 ; 4-byte Folded Reload
	;; [unrolled: 1-line block ×3, first 2 shown]
	s_waitcnt lgkmcnt(0)
	v_mul_f64 v[59:60], v[101:102], v[97:98]
	v_fma_f64 v[59:60], v[99:100], v[57:58], -v[59:60]
	v_mul_f64 v[99:100], v[99:100], v[97:98]
	v_fma_f64 v[99:100], v[101:102], v[57:58], v[99:100]
	s_waitcnt vmcnt(2)
	v_add_f64 v[13:14], v[13:14], -v[59:60]
	s_waitcnt vmcnt(0)
	v_add_f64 v[15:16], v[15:16], -v[99:100]
	buffer_store_dword v13, off, s[20:23], 0 ; 4-byte Folded Spill
	s_nop 0
	buffer_store_dword v14, off, s[20:23], 0 offset:4 ; 4-byte Folded Spill
	buffer_store_dword v15, off, s[20:23], 0 offset:8 ; 4-byte Folded Spill
	buffer_store_dword v16, off, s[20:23], 0 offset:12 ; 4-byte Folded Spill
	ds_read2_b64 v[99:102], v125 offset0:70 offset1:71
	s_waitcnt lgkmcnt(0)
	v_mul_f64 v[59:60], v[101:102], v[97:98]
	v_fma_f64 v[59:60], v[99:100], v[57:58], -v[59:60]
	v_mul_f64 v[99:100], v[99:100], v[97:98]
	v_add_f64 v[9:10], v[9:10], -v[59:60]
	v_fma_f64 v[99:100], v[101:102], v[57:58], v[99:100]
	v_add_f64 v[11:12], v[11:12], -v[99:100]
	ds_read2_b64 v[99:102], v125 offset0:72 offset1:73
	s_waitcnt lgkmcnt(0)
	v_mul_f64 v[59:60], v[101:102], v[97:98]
	v_fma_f64 v[59:60], v[99:100], v[57:58], -v[59:60]
	v_mul_f64 v[99:100], v[99:100], v[97:98]
	v_add_f64 v[5:6], v[5:6], -v[59:60]
	v_fma_f64 v[99:100], v[101:102], v[57:58], v[99:100]
	v_add_f64 v[7:8], v[7:8], -v[99:100]
	;; [unrolled: 8-line block ×3, first 2 shown]
	ds_read2_b64 v[99:102], v125 offset0:76 offset1:77
	s_waitcnt lgkmcnt(0)
	v_mul_f64 v[59:60], v[101:102], v[97:98]
	v_fma_f64 v[59:60], v[99:100], v[57:58], -v[59:60]
	v_mul_f64 v[99:100], v[99:100], v[97:98]
	v_add_f64 v[81:82], v[81:82], -v[59:60]
	v_fma_f64 v[99:100], v[101:102], v[57:58], v[99:100]
	v_mov_b32_e32 v59, v97
	v_mov_b32_e32 v60, v98
	v_add_f64 v[83:84], v[83:84], -v[99:100]
.LBB77_217:
	s_or_b64 exec, exec, s[2:3]
	v_cmp_eq_u32_e32 vcc, 24, v127
	s_waitcnt vmcnt(0)
	s_barrier
	s_and_saveexec_b64 s[4:5], vcc
	s_cbranch_execz .LBB77_224
; %bb.218:
	ds_write2_b64 v0, v[53:54], v[55:56] offset1:1
	ds_write2_b64 v125, v[49:50], v[51:52] offset0:50 offset1:51
	ds_write2_b64 v125, v[45:46], v[47:48] offset0:52 offset1:53
	ds_write2_b64 v125, v[41:42], v[43:44] offset0:54 offset1:55
	ds_write2_b64 v125, v[37:38], v[39:40] offset0:56 offset1:57
	ds_write2_b64 v125, v[33:34], v[35:36] offset0:58 offset1:59
	ds_write2_b64 v125, v[29:30], v[31:32] offset0:60 offset1:61
	ds_write2_b64 v125, v[25:26], v[27:28] offset0:62 offset1:63
	ds_write2_b64 v125, v[21:22], v[23:24] offset0:64 offset1:65
	ds_write2_b64 v125, v[17:18], v[19:20] offset0:66 offset1:67
	buffer_load_dword v13, off, s[20:23], 0 ; 4-byte Folded Reload
	buffer_load_dword v14, off, s[20:23], 0 offset:4 ; 4-byte Folded Reload
	buffer_load_dword v15, off, s[20:23], 0 offset:8 ; 4-byte Folded Reload
	;; [unrolled: 1-line block ×3, first 2 shown]
	s_waitcnt vmcnt(0)
	ds_write2_b64 v125, v[13:14], v[15:16] offset0:68 offset1:69
	ds_write2_b64 v125, v[9:10], v[11:12] offset0:70 offset1:71
	;; [unrolled: 1-line block ×5, first 2 shown]
	ds_read2_b64 v[97:100], v0 offset1:1
	s_waitcnt lgkmcnt(0)
	v_cmp_neq_f64_e32 vcc, 0, v[97:98]
	v_cmp_neq_f64_e64 s[2:3], 0, v[99:100]
	s_or_b64 s[2:3], vcc, s[2:3]
	s_and_b64 exec, exec, s[2:3]
	s_cbranch_execz .LBB77_224
; %bb.219:
	v_cmp_ngt_f64_e64 s[2:3], |v[97:98]|, |v[99:100]|
                                        ; implicit-def: $vgpr101_vgpr102
	s_and_saveexec_b64 s[6:7], s[2:3]
	s_xor_b64 s[2:3], exec, s[6:7]
                                        ; implicit-def: $vgpr103_vgpr104
	s_cbranch_execz .LBB77_221
; %bb.220:
	v_div_scale_f64 v[101:102], s[6:7], v[99:100], v[99:100], v[97:98]
	v_rcp_f64_e32 v[103:104], v[101:102]
	v_fma_f64 v[105:106], -v[101:102], v[103:104], 1.0
	v_fma_f64 v[103:104], v[103:104], v[105:106], v[103:104]
	v_div_scale_f64 v[105:106], vcc, v[97:98], v[99:100], v[97:98]
	v_fma_f64 v[107:108], -v[101:102], v[103:104], 1.0
	v_fma_f64 v[103:104], v[103:104], v[107:108], v[103:104]
	v_mul_f64 v[107:108], v[105:106], v[103:104]
	v_fma_f64 v[101:102], -v[101:102], v[107:108], v[105:106]
	v_div_fmas_f64 v[101:102], v[101:102], v[103:104], v[107:108]
	v_div_fixup_f64 v[101:102], v[101:102], v[99:100], v[97:98]
	v_fma_f64 v[97:98], v[97:98], v[101:102], v[99:100]
	v_div_scale_f64 v[99:100], s[6:7], v[97:98], v[97:98], 1.0
	v_div_scale_f64 v[107:108], vcc, 1.0, v[97:98], 1.0
	v_rcp_f64_e32 v[103:104], v[99:100]
	v_fma_f64 v[105:106], -v[99:100], v[103:104], 1.0
	v_fma_f64 v[103:104], v[103:104], v[105:106], v[103:104]
	v_fma_f64 v[105:106], -v[99:100], v[103:104], 1.0
	v_fma_f64 v[103:104], v[103:104], v[105:106], v[103:104]
	v_mul_f64 v[105:106], v[107:108], v[103:104]
	v_fma_f64 v[99:100], -v[99:100], v[105:106], v[107:108]
	v_div_fmas_f64 v[99:100], v[99:100], v[103:104], v[105:106]
	v_div_fixup_f64 v[103:104], v[99:100], v[97:98], 1.0
                                        ; implicit-def: $vgpr97_vgpr98
	v_mul_f64 v[101:102], v[101:102], v[103:104]
	v_xor_b32_e32 v104, 0x80000000, v104
.LBB77_221:
	s_andn2_saveexec_b64 s[2:3], s[2:3]
	s_cbranch_execz .LBB77_223
; %bb.222:
	v_div_scale_f64 v[101:102], s[6:7], v[97:98], v[97:98], v[99:100]
	v_rcp_f64_e32 v[103:104], v[101:102]
	v_fma_f64 v[105:106], -v[101:102], v[103:104], 1.0
	v_fma_f64 v[103:104], v[103:104], v[105:106], v[103:104]
	v_div_scale_f64 v[105:106], vcc, v[99:100], v[97:98], v[99:100]
	v_fma_f64 v[107:108], -v[101:102], v[103:104], 1.0
	v_fma_f64 v[103:104], v[103:104], v[107:108], v[103:104]
	v_mul_f64 v[107:108], v[105:106], v[103:104]
	v_fma_f64 v[101:102], -v[101:102], v[107:108], v[105:106]
	v_div_fmas_f64 v[101:102], v[101:102], v[103:104], v[107:108]
	v_div_fixup_f64 v[103:104], v[101:102], v[97:98], v[99:100]
	v_fma_f64 v[97:98], v[99:100], v[103:104], v[97:98]
	v_div_scale_f64 v[99:100], s[6:7], v[97:98], v[97:98], 1.0
	v_div_scale_f64 v[107:108], vcc, 1.0, v[97:98], 1.0
	v_rcp_f64_e32 v[101:102], v[99:100]
	v_fma_f64 v[105:106], -v[99:100], v[101:102], 1.0
	v_fma_f64 v[101:102], v[101:102], v[105:106], v[101:102]
	v_fma_f64 v[105:106], -v[99:100], v[101:102], 1.0
	v_fma_f64 v[101:102], v[101:102], v[105:106], v[101:102]
	v_mul_f64 v[105:106], v[107:108], v[101:102]
	v_fma_f64 v[99:100], -v[99:100], v[105:106], v[107:108]
	v_div_fmas_f64 v[99:100], v[99:100], v[101:102], v[105:106]
	v_div_fixup_f64 v[101:102], v[99:100], v[97:98], 1.0
	v_mul_f64 v[103:104], v[103:104], -v[101:102]
.LBB77_223:
	s_or_b64 exec, exec, s[2:3]
	ds_write2_b64 v0, v[101:102], v[103:104] offset1:1
.LBB77_224:
	s_or_b64 exec, exec, s[4:5]
	s_waitcnt lgkmcnt(0)
	s_barrier
	ds_read2_b64 v[13:16], v0 offset1:1
	v_cmp_lt_u32_e32 vcc, 24, v127
	s_waitcnt lgkmcnt(0)
	buffer_store_dword v13, off, s[20:23], 0 offset:940 ; 4-byte Folded Spill
	s_nop 0
	buffer_store_dword v14, off, s[20:23], 0 offset:944 ; 4-byte Folded Spill
	buffer_store_dword v15, off, s[20:23], 0 offset:948 ; 4-byte Folded Spill
	;; [unrolled: 1-line block ×3, first 2 shown]
	s_and_saveexec_b64 s[2:3], vcc
	s_cbranch_execz .LBB77_226
; %bb.225:
	buffer_load_dword v13, off, s[20:23], 0 offset:940 ; 4-byte Folded Reload
	buffer_load_dword v14, off, s[20:23], 0 offset:944 ; 4-byte Folded Reload
	buffer_load_dword v15, off, s[20:23], 0 offset:948 ; 4-byte Folded Reload
	buffer_load_dword v16, off, s[20:23], 0 offset:952 ; 4-byte Folded Reload
	ds_read2_b64 v[99:102], v125 offset0:50 offset1:51
	s_waitcnt vmcnt(2)
	v_mul_f64 v[97:98], v[13:14], v[55:56]
	s_waitcnt vmcnt(0)
	v_mul_f64 v[55:56], v[15:16], v[55:56]
	v_fma_f64 v[97:98], v[15:16], v[53:54], v[97:98]
	v_fma_f64 v[53:54], v[13:14], v[53:54], -v[55:56]
	s_waitcnt lgkmcnt(0)
	v_mul_f64 v[55:56], v[101:102], v[97:98]
	v_fma_f64 v[55:56], v[99:100], v[53:54], -v[55:56]
	v_mul_f64 v[99:100], v[99:100], v[97:98]
	v_add_f64 v[49:50], v[49:50], -v[55:56]
	v_fma_f64 v[99:100], v[101:102], v[53:54], v[99:100]
	v_add_f64 v[51:52], v[51:52], -v[99:100]
	ds_read2_b64 v[99:102], v125 offset0:52 offset1:53
	s_waitcnt lgkmcnt(0)
	v_mul_f64 v[55:56], v[101:102], v[97:98]
	v_fma_f64 v[55:56], v[99:100], v[53:54], -v[55:56]
	v_mul_f64 v[99:100], v[99:100], v[97:98]
	v_add_f64 v[45:46], v[45:46], -v[55:56]
	v_fma_f64 v[99:100], v[101:102], v[53:54], v[99:100]
	v_add_f64 v[47:48], v[47:48], -v[99:100]
	ds_read2_b64 v[99:102], v125 offset0:54 offset1:55
	;; [unrolled: 8-line block ×9, first 2 shown]
	buffer_load_dword v13, off, s[20:23], 0 ; 4-byte Folded Reload
	buffer_load_dword v14, off, s[20:23], 0 offset:4 ; 4-byte Folded Reload
	buffer_load_dword v15, off, s[20:23], 0 offset:8 ; 4-byte Folded Reload
	;; [unrolled: 1-line block ×3, first 2 shown]
	s_waitcnt lgkmcnt(0)
	v_mul_f64 v[55:56], v[101:102], v[97:98]
	v_fma_f64 v[55:56], v[99:100], v[53:54], -v[55:56]
	v_mul_f64 v[99:100], v[99:100], v[97:98]
	v_fma_f64 v[99:100], v[101:102], v[53:54], v[99:100]
	s_waitcnt vmcnt(2)
	v_add_f64 v[13:14], v[13:14], -v[55:56]
	s_waitcnt vmcnt(0)
	v_add_f64 v[15:16], v[15:16], -v[99:100]
	buffer_store_dword v13, off, s[20:23], 0 ; 4-byte Folded Spill
	s_nop 0
	buffer_store_dword v14, off, s[20:23], 0 offset:4 ; 4-byte Folded Spill
	buffer_store_dword v15, off, s[20:23], 0 offset:8 ; 4-byte Folded Spill
	buffer_store_dword v16, off, s[20:23], 0 offset:12 ; 4-byte Folded Spill
	ds_read2_b64 v[99:102], v125 offset0:70 offset1:71
	s_waitcnt lgkmcnt(0)
	v_mul_f64 v[55:56], v[101:102], v[97:98]
	v_fma_f64 v[55:56], v[99:100], v[53:54], -v[55:56]
	v_mul_f64 v[99:100], v[99:100], v[97:98]
	v_add_f64 v[9:10], v[9:10], -v[55:56]
	v_fma_f64 v[99:100], v[101:102], v[53:54], v[99:100]
	v_add_f64 v[11:12], v[11:12], -v[99:100]
	ds_read2_b64 v[99:102], v125 offset0:72 offset1:73
	s_waitcnt lgkmcnt(0)
	v_mul_f64 v[55:56], v[101:102], v[97:98]
	v_fma_f64 v[55:56], v[99:100], v[53:54], -v[55:56]
	v_mul_f64 v[99:100], v[99:100], v[97:98]
	v_add_f64 v[5:6], v[5:6], -v[55:56]
	v_fma_f64 v[99:100], v[101:102], v[53:54], v[99:100]
	v_add_f64 v[7:8], v[7:8], -v[99:100]
	ds_read2_b64 v[99:102], v125 offset0:74 offset1:75
	s_waitcnt lgkmcnt(0)
	v_mul_f64 v[55:56], v[101:102], v[97:98]
	v_fma_f64 v[55:56], v[99:100], v[53:54], -v[55:56]
	v_mul_f64 v[99:100], v[99:100], v[97:98]
	v_add_f64 v[1:2], v[1:2], -v[55:56]
	v_fma_f64 v[99:100], v[101:102], v[53:54], v[99:100]
	v_add_f64 v[3:4], v[3:4], -v[99:100]
	ds_read2_b64 v[99:102], v125 offset0:76 offset1:77
	s_waitcnt lgkmcnt(0)
	v_mul_f64 v[55:56], v[101:102], v[97:98]
	v_fma_f64 v[55:56], v[99:100], v[53:54], -v[55:56]
	v_mul_f64 v[99:100], v[99:100], v[97:98]
	v_add_f64 v[81:82], v[81:82], -v[55:56]
	v_fma_f64 v[99:100], v[101:102], v[53:54], v[99:100]
	v_mov_b32_e32 v55, v97
	v_mov_b32_e32 v56, v98
	v_add_f64 v[83:84], v[83:84], -v[99:100]
.LBB77_226:
	s_or_b64 exec, exec, s[2:3]
	v_cmp_eq_u32_e32 vcc, 25, v127
	s_waitcnt vmcnt(0)
	s_barrier
	s_and_saveexec_b64 s[4:5], vcc
	s_cbranch_execz .LBB77_233
; %bb.227:
	ds_write2_b64 v0, v[49:50], v[51:52] offset1:1
	ds_write2_b64 v125, v[45:46], v[47:48] offset0:52 offset1:53
	ds_write2_b64 v125, v[41:42], v[43:44] offset0:54 offset1:55
	;; [unrolled: 1-line block ×8, first 2 shown]
	buffer_load_dword v13, off, s[20:23], 0 ; 4-byte Folded Reload
	buffer_load_dword v14, off, s[20:23], 0 offset:4 ; 4-byte Folded Reload
	buffer_load_dword v15, off, s[20:23], 0 offset:8 ; 4-byte Folded Reload
	;; [unrolled: 1-line block ×3, first 2 shown]
	s_waitcnt vmcnt(0)
	ds_write2_b64 v125, v[13:14], v[15:16] offset0:68 offset1:69
	ds_write2_b64 v125, v[9:10], v[11:12] offset0:70 offset1:71
	;; [unrolled: 1-line block ×5, first 2 shown]
	ds_read2_b64 v[97:100], v0 offset1:1
	s_waitcnt lgkmcnt(0)
	v_cmp_neq_f64_e32 vcc, 0, v[97:98]
	v_cmp_neq_f64_e64 s[2:3], 0, v[99:100]
	s_or_b64 s[2:3], vcc, s[2:3]
	s_and_b64 exec, exec, s[2:3]
	s_cbranch_execz .LBB77_233
; %bb.228:
	v_cmp_ngt_f64_e64 s[2:3], |v[97:98]|, |v[99:100]|
                                        ; implicit-def: $vgpr101_vgpr102
	s_and_saveexec_b64 s[6:7], s[2:3]
	s_xor_b64 s[2:3], exec, s[6:7]
                                        ; implicit-def: $vgpr103_vgpr104
	s_cbranch_execz .LBB77_230
; %bb.229:
	v_div_scale_f64 v[101:102], s[6:7], v[99:100], v[99:100], v[97:98]
	v_rcp_f64_e32 v[103:104], v[101:102]
	v_fma_f64 v[105:106], -v[101:102], v[103:104], 1.0
	v_fma_f64 v[103:104], v[103:104], v[105:106], v[103:104]
	v_div_scale_f64 v[105:106], vcc, v[97:98], v[99:100], v[97:98]
	v_fma_f64 v[107:108], -v[101:102], v[103:104], 1.0
	v_fma_f64 v[103:104], v[103:104], v[107:108], v[103:104]
	v_mul_f64 v[107:108], v[105:106], v[103:104]
	v_fma_f64 v[101:102], -v[101:102], v[107:108], v[105:106]
	v_div_fmas_f64 v[101:102], v[101:102], v[103:104], v[107:108]
	v_div_fixup_f64 v[101:102], v[101:102], v[99:100], v[97:98]
	v_fma_f64 v[97:98], v[97:98], v[101:102], v[99:100]
	v_div_scale_f64 v[99:100], s[6:7], v[97:98], v[97:98], 1.0
	v_div_scale_f64 v[107:108], vcc, 1.0, v[97:98], 1.0
	v_rcp_f64_e32 v[103:104], v[99:100]
	v_fma_f64 v[105:106], -v[99:100], v[103:104], 1.0
	v_fma_f64 v[103:104], v[103:104], v[105:106], v[103:104]
	v_fma_f64 v[105:106], -v[99:100], v[103:104], 1.0
	v_fma_f64 v[103:104], v[103:104], v[105:106], v[103:104]
	v_mul_f64 v[105:106], v[107:108], v[103:104]
	v_fma_f64 v[99:100], -v[99:100], v[105:106], v[107:108]
	v_div_fmas_f64 v[99:100], v[99:100], v[103:104], v[105:106]
	v_div_fixup_f64 v[103:104], v[99:100], v[97:98], 1.0
                                        ; implicit-def: $vgpr97_vgpr98
	v_mul_f64 v[101:102], v[101:102], v[103:104]
	v_xor_b32_e32 v104, 0x80000000, v104
.LBB77_230:
	s_andn2_saveexec_b64 s[2:3], s[2:3]
	s_cbranch_execz .LBB77_232
; %bb.231:
	v_div_scale_f64 v[101:102], s[6:7], v[97:98], v[97:98], v[99:100]
	v_rcp_f64_e32 v[103:104], v[101:102]
	v_fma_f64 v[105:106], -v[101:102], v[103:104], 1.0
	v_fma_f64 v[103:104], v[103:104], v[105:106], v[103:104]
	v_div_scale_f64 v[105:106], vcc, v[99:100], v[97:98], v[99:100]
	v_fma_f64 v[107:108], -v[101:102], v[103:104], 1.0
	v_fma_f64 v[103:104], v[103:104], v[107:108], v[103:104]
	v_mul_f64 v[107:108], v[105:106], v[103:104]
	v_fma_f64 v[101:102], -v[101:102], v[107:108], v[105:106]
	v_div_fmas_f64 v[101:102], v[101:102], v[103:104], v[107:108]
	v_div_fixup_f64 v[103:104], v[101:102], v[97:98], v[99:100]
	v_fma_f64 v[97:98], v[99:100], v[103:104], v[97:98]
	v_div_scale_f64 v[99:100], s[6:7], v[97:98], v[97:98], 1.0
	v_div_scale_f64 v[107:108], vcc, 1.0, v[97:98], 1.0
	v_rcp_f64_e32 v[101:102], v[99:100]
	v_fma_f64 v[105:106], -v[99:100], v[101:102], 1.0
	v_fma_f64 v[101:102], v[101:102], v[105:106], v[101:102]
	v_fma_f64 v[105:106], -v[99:100], v[101:102], 1.0
	v_fma_f64 v[101:102], v[101:102], v[105:106], v[101:102]
	v_mul_f64 v[105:106], v[107:108], v[101:102]
	v_fma_f64 v[99:100], -v[99:100], v[105:106], v[107:108]
	v_div_fmas_f64 v[99:100], v[99:100], v[101:102], v[105:106]
	v_div_fixup_f64 v[101:102], v[99:100], v[97:98], 1.0
	v_mul_f64 v[103:104], v[103:104], -v[101:102]
.LBB77_232:
	s_or_b64 exec, exec, s[2:3]
	ds_write2_b64 v0, v[101:102], v[103:104] offset1:1
.LBB77_233:
	s_or_b64 exec, exec, s[4:5]
	s_waitcnt lgkmcnt(0)
	s_barrier
	ds_read2_b64 v[13:16], v0 offset1:1
	v_cmp_lt_u32_e32 vcc, 25, v127
	s_waitcnt lgkmcnt(0)
	buffer_store_dword v13, off, s[20:23], 0 offset:1116 ; 4-byte Folded Spill
	s_nop 0
	buffer_store_dword v14, off, s[20:23], 0 offset:1120 ; 4-byte Folded Spill
	buffer_store_dword v15, off, s[20:23], 0 offset:1124 ; 4-byte Folded Spill
	;; [unrolled: 1-line block ×3, first 2 shown]
	s_and_saveexec_b64 s[2:3], vcc
	s_cbranch_execz .LBB77_235
; %bb.234:
	buffer_load_dword v13, off, s[20:23], 0 offset:1116 ; 4-byte Folded Reload
	buffer_load_dword v14, off, s[20:23], 0 offset:1120 ; 4-byte Folded Reload
	;; [unrolled: 1-line block ×4, first 2 shown]
	ds_read2_b64 v[99:102], v125 offset0:52 offset1:53
	s_waitcnt vmcnt(2)
	v_mul_f64 v[97:98], v[13:14], v[51:52]
	s_waitcnt vmcnt(0)
	v_mul_f64 v[51:52], v[15:16], v[51:52]
	v_fma_f64 v[97:98], v[15:16], v[49:50], v[97:98]
	v_fma_f64 v[49:50], v[13:14], v[49:50], -v[51:52]
	s_waitcnt lgkmcnt(0)
	v_mul_f64 v[51:52], v[101:102], v[97:98]
	v_fma_f64 v[51:52], v[99:100], v[49:50], -v[51:52]
	v_mul_f64 v[99:100], v[99:100], v[97:98]
	v_add_f64 v[45:46], v[45:46], -v[51:52]
	v_fma_f64 v[99:100], v[101:102], v[49:50], v[99:100]
	v_add_f64 v[47:48], v[47:48], -v[99:100]
	ds_read2_b64 v[99:102], v125 offset0:54 offset1:55
	s_waitcnt lgkmcnt(0)
	v_mul_f64 v[51:52], v[101:102], v[97:98]
	v_fma_f64 v[51:52], v[99:100], v[49:50], -v[51:52]
	v_mul_f64 v[99:100], v[99:100], v[97:98]
	v_add_f64 v[41:42], v[41:42], -v[51:52]
	v_fma_f64 v[99:100], v[101:102], v[49:50], v[99:100]
	v_add_f64 v[43:44], v[43:44], -v[99:100]
	ds_read2_b64 v[99:102], v125 offset0:56 offset1:57
	;; [unrolled: 8-line block ×8, first 2 shown]
	buffer_load_dword v13, off, s[20:23], 0 ; 4-byte Folded Reload
	buffer_load_dword v14, off, s[20:23], 0 offset:4 ; 4-byte Folded Reload
	buffer_load_dword v15, off, s[20:23], 0 offset:8 ; 4-byte Folded Reload
	;; [unrolled: 1-line block ×3, first 2 shown]
	s_waitcnt lgkmcnt(0)
	v_mul_f64 v[51:52], v[101:102], v[97:98]
	v_fma_f64 v[51:52], v[99:100], v[49:50], -v[51:52]
	v_mul_f64 v[99:100], v[99:100], v[97:98]
	v_fma_f64 v[99:100], v[101:102], v[49:50], v[99:100]
	s_waitcnt vmcnt(2)
	v_add_f64 v[13:14], v[13:14], -v[51:52]
	s_waitcnt vmcnt(0)
	v_add_f64 v[15:16], v[15:16], -v[99:100]
	buffer_store_dword v13, off, s[20:23], 0 ; 4-byte Folded Spill
	s_nop 0
	buffer_store_dword v14, off, s[20:23], 0 offset:4 ; 4-byte Folded Spill
	buffer_store_dword v15, off, s[20:23], 0 offset:8 ; 4-byte Folded Spill
	;; [unrolled: 1-line block ×3, first 2 shown]
	ds_read2_b64 v[99:102], v125 offset0:70 offset1:71
	s_waitcnt lgkmcnt(0)
	v_mul_f64 v[51:52], v[101:102], v[97:98]
	v_fma_f64 v[51:52], v[99:100], v[49:50], -v[51:52]
	v_mul_f64 v[99:100], v[99:100], v[97:98]
	v_add_f64 v[9:10], v[9:10], -v[51:52]
	v_fma_f64 v[99:100], v[101:102], v[49:50], v[99:100]
	v_add_f64 v[11:12], v[11:12], -v[99:100]
	ds_read2_b64 v[99:102], v125 offset0:72 offset1:73
	s_waitcnt lgkmcnt(0)
	v_mul_f64 v[51:52], v[101:102], v[97:98]
	v_fma_f64 v[51:52], v[99:100], v[49:50], -v[51:52]
	v_mul_f64 v[99:100], v[99:100], v[97:98]
	v_add_f64 v[5:6], v[5:6], -v[51:52]
	v_fma_f64 v[99:100], v[101:102], v[49:50], v[99:100]
	v_add_f64 v[7:8], v[7:8], -v[99:100]
	;; [unrolled: 8-line block ×3, first 2 shown]
	ds_read2_b64 v[99:102], v125 offset0:76 offset1:77
	s_waitcnt lgkmcnt(0)
	v_mul_f64 v[51:52], v[101:102], v[97:98]
	v_fma_f64 v[51:52], v[99:100], v[49:50], -v[51:52]
	v_mul_f64 v[99:100], v[99:100], v[97:98]
	v_add_f64 v[81:82], v[81:82], -v[51:52]
	v_fma_f64 v[99:100], v[101:102], v[49:50], v[99:100]
	v_mov_b32_e32 v51, v97
	v_mov_b32_e32 v52, v98
	v_add_f64 v[83:84], v[83:84], -v[99:100]
.LBB77_235:
	s_or_b64 exec, exec, s[2:3]
	v_cmp_eq_u32_e32 vcc, 26, v127
	s_waitcnt vmcnt(0)
	s_barrier
	s_and_saveexec_b64 s[4:5], vcc
	s_cbranch_execz .LBB77_242
; %bb.236:
	ds_write2_b64 v0, v[45:46], v[47:48] offset1:1
	ds_write2_b64 v125, v[41:42], v[43:44] offset0:54 offset1:55
	ds_write2_b64 v125, v[37:38], v[39:40] offset0:56 offset1:57
	;; [unrolled: 1-line block ×7, first 2 shown]
	buffer_load_dword v13, off, s[20:23], 0 ; 4-byte Folded Reload
	buffer_load_dword v14, off, s[20:23], 0 offset:4 ; 4-byte Folded Reload
	buffer_load_dword v15, off, s[20:23], 0 offset:8 ; 4-byte Folded Reload
	;; [unrolled: 1-line block ×3, first 2 shown]
	s_waitcnt vmcnt(0)
	ds_write2_b64 v125, v[13:14], v[15:16] offset0:68 offset1:69
	ds_write2_b64 v125, v[9:10], v[11:12] offset0:70 offset1:71
	;; [unrolled: 1-line block ×5, first 2 shown]
	ds_read2_b64 v[97:100], v0 offset1:1
	s_waitcnt lgkmcnt(0)
	v_cmp_neq_f64_e32 vcc, 0, v[97:98]
	v_cmp_neq_f64_e64 s[2:3], 0, v[99:100]
	s_or_b64 s[2:3], vcc, s[2:3]
	s_and_b64 exec, exec, s[2:3]
	s_cbranch_execz .LBB77_242
; %bb.237:
	v_cmp_ngt_f64_e64 s[2:3], |v[97:98]|, |v[99:100]|
                                        ; implicit-def: $vgpr101_vgpr102
	s_and_saveexec_b64 s[6:7], s[2:3]
	s_xor_b64 s[2:3], exec, s[6:7]
                                        ; implicit-def: $vgpr103_vgpr104
	s_cbranch_execz .LBB77_239
; %bb.238:
	v_div_scale_f64 v[101:102], s[6:7], v[99:100], v[99:100], v[97:98]
	v_rcp_f64_e32 v[103:104], v[101:102]
	v_fma_f64 v[105:106], -v[101:102], v[103:104], 1.0
	v_fma_f64 v[103:104], v[103:104], v[105:106], v[103:104]
	v_div_scale_f64 v[105:106], vcc, v[97:98], v[99:100], v[97:98]
	v_fma_f64 v[107:108], -v[101:102], v[103:104], 1.0
	v_fma_f64 v[103:104], v[103:104], v[107:108], v[103:104]
	v_mul_f64 v[107:108], v[105:106], v[103:104]
	v_fma_f64 v[101:102], -v[101:102], v[107:108], v[105:106]
	v_div_fmas_f64 v[101:102], v[101:102], v[103:104], v[107:108]
	v_div_fixup_f64 v[101:102], v[101:102], v[99:100], v[97:98]
	v_fma_f64 v[97:98], v[97:98], v[101:102], v[99:100]
	v_div_scale_f64 v[99:100], s[6:7], v[97:98], v[97:98], 1.0
	v_div_scale_f64 v[107:108], vcc, 1.0, v[97:98], 1.0
	v_rcp_f64_e32 v[103:104], v[99:100]
	v_fma_f64 v[105:106], -v[99:100], v[103:104], 1.0
	v_fma_f64 v[103:104], v[103:104], v[105:106], v[103:104]
	v_fma_f64 v[105:106], -v[99:100], v[103:104], 1.0
	v_fma_f64 v[103:104], v[103:104], v[105:106], v[103:104]
	v_mul_f64 v[105:106], v[107:108], v[103:104]
	v_fma_f64 v[99:100], -v[99:100], v[105:106], v[107:108]
	v_div_fmas_f64 v[99:100], v[99:100], v[103:104], v[105:106]
	v_div_fixup_f64 v[103:104], v[99:100], v[97:98], 1.0
                                        ; implicit-def: $vgpr97_vgpr98
	v_mul_f64 v[101:102], v[101:102], v[103:104]
	v_xor_b32_e32 v104, 0x80000000, v104
.LBB77_239:
	s_andn2_saveexec_b64 s[2:3], s[2:3]
	s_cbranch_execz .LBB77_241
; %bb.240:
	v_div_scale_f64 v[101:102], s[6:7], v[97:98], v[97:98], v[99:100]
	v_rcp_f64_e32 v[103:104], v[101:102]
	v_fma_f64 v[105:106], -v[101:102], v[103:104], 1.0
	v_fma_f64 v[103:104], v[103:104], v[105:106], v[103:104]
	v_div_scale_f64 v[105:106], vcc, v[99:100], v[97:98], v[99:100]
	v_fma_f64 v[107:108], -v[101:102], v[103:104], 1.0
	v_fma_f64 v[103:104], v[103:104], v[107:108], v[103:104]
	v_mul_f64 v[107:108], v[105:106], v[103:104]
	v_fma_f64 v[101:102], -v[101:102], v[107:108], v[105:106]
	v_div_fmas_f64 v[101:102], v[101:102], v[103:104], v[107:108]
	v_div_fixup_f64 v[103:104], v[101:102], v[97:98], v[99:100]
	v_fma_f64 v[97:98], v[99:100], v[103:104], v[97:98]
	v_div_scale_f64 v[99:100], s[6:7], v[97:98], v[97:98], 1.0
	v_div_scale_f64 v[107:108], vcc, 1.0, v[97:98], 1.0
	v_rcp_f64_e32 v[101:102], v[99:100]
	v_fma_f64 v[105:106], -v[99:100], v[101:102], 1.0
	v_fma_f64 v[101:102], v[101:102], v[105:106], v[101:102]
	v_fma_f64 v[105:106], -v[99:100], v[101:102], 1.0
	v_fma_f64 v[101:102], v[101:102], v[105:106], v[101:102]
	v_mul_f64 v[105:106], v[107:108], v[101:102]
	v_fma_f64 v[99:100], -v[99:100], v[105:106], v[107:108]
	v_div_fmas_f64 v[99:100], v[99:100], v[101:102], v[105:106]
	v_div_fixup_f64 v[101:102], v[99:100], v[97:98], 1.0
	v_mul_f64 v[103:104], v[103:104], -v[101:102]
.LBB77_241:
	s_or_b64 exec, exec, s[2:3]
	ds_write2_b64 v0, v[101:102], v[103:104] offset1:1
.LBB77_242:
	s_or_b64 exec, exec, s[4:5]
	s_waitcnt lgkmcnt(0)
	s_barrier
	ds_read2_b64 v[13:16], v0 offset1:1
	v_cmp_lt_u32_e32 vcc, 26, v127
	s_waitcnt lgkmcnt(0)
	buffer_store_dword v13, off, s[20:23], 0 offset:972 ; 4-byte Folded Spill
	s_nop 0
	buffer_store_dword v14, off, s[20:23], 0 offset:976 ; 4-byte Folded Spill
	buffer_store_dword v15, off, s[20:23], 0 offset:980 ; 4-byte Folded Spill
	;; [unrolled: 1-line block ×3, first 2 shown]
	s_and_saveexec_b64 s[2:3], vcc
	s_cbranch_execz .LBB77_244
; %bb.243:
	buffer_load_dword v13, off, s[20:23], 0 offset:972 ; 4-byte Folded Reload
	buffer_load_dword v14, off, s[20:23], 0 offset:976 ; 4-byte Folded Reload
	;; [unrolled: 1-line block ×4, first 2 shown]
	ds_read2_b64 v[99:102], v125 offset0:54 offset1:55
	s_waitcnt vmcnt(2)
	v_mul_f64 v[97:98], v[13:14], v[47:48]
	s_waitcnt vmcnt(0)
	v_mul_f64 v[47:48], v[15:16], v[47:48]
	v_fma_f64 v[97:98], v[15:16], v[45:46], v[97:98]
	v_fma_f64 v[45:46], v[13:14], v[45:46], -v[47:48]
	s_waitcnt lgkmcnt(0)
	v_mul_f64 v[47:48], v[101:102], v[97:98]
	v_fma_f64 v[47:48], v[99:100], v[45:46], -v[47:48]
	v_mul_f64 v[99:100], v[99:100], v[97:98]
	v_add_f64 v[41:42], v[41:42], -v[47:48]
	v_fma_f64 v[99:100], v[101:102], v[45:46], v[99:100]
	v_add_f64 v[43:44], v[43:44], -v[99:100]
	ds_read2_b64 v[99:102], v125 offset0:56 offset1:57
	s_waitcnt lgkmcnt(0)
	v_mul_f64 v[47:48], v[101:102], v[97:98]
	v_fma_f64 v[47:48], v[99:100], v[45:46], -v[47:48]
	v_mul_f64 v[99:100], v[99:100], v[97:98]
	v_add_f64 v[37:38], v[37:38], -v[47:48]
	v_fma_f64 v[99:100], v[101:102], v[45:46], v[99:100]
	v_add_f64 v[39:40], v[39:40], -v[99:100]
	ds_read2_b64 v[99:102], v125 offset0:58 offset1:59
	;; [unrolled: 8-line block ×7, first 2 shown]
	buffer_load_dword v13, off, s[20:23], 0 ; 4-byte Folded Reload
	buffer_load_dword v14, off, s[20:23], 0 offset:4 ; 4-byte Folded Reload
	buffer_load_dword v15, off, s[20:23], 0 offset:8 ; 4-byte Folded Reload
	;; [unrolled: 1-line block ×3, first 2 shown]
	s_waitcnt lgkmcnt(0)
	v_mul_f64 v[47:48], v[101:102], v[97:98]
	v_fma_f64 v[47:48], v[99:100], v[45:46], -v[47:48]
	v_mul_f64 v[99:100], v[99:100], v[97:98]
	v_fma_f64 v[99:100], v[101:102], v[45:46], v[99:100]
	s_waitcnt vmcnt(2)
	v_add_f64 v[13:14], v[13:14], -v[47:48]
	s_waitcnt vmcnt(0)
	v_add_f64 v[15:16], v[15:16], -v[99:100]
	buffer_store_dword v13, off, s[20:23], 0 ; 4-byte Folded Spill
	s_nop 0
	buffer_store_dword v14, off, s[20:23], 0 offset:4 ; 4-byte Folded Spill
	buffer_store_dword v15, off, s[20:23], 0 offset:8 ; 4-byte Folded Spill
	;; [unrolled: 1-line block ×3, first 2 shown]
	ds_read2_b64 v[99:102], v125 offset0:70 offset1:71
	s_waitcnt lgkmcnt(0)
	v_mul_f64 v[47:48], v[101:102], v[97:98]
	v_fma_f64 v[47:48], v[99:100], v[45:46], -v[47:48]
	v_mul_f64 v[99:100], v[99:100], v[97:98]
	v_add_f64 v[9:10], v[9:10], -v[47:48]
	v_fma_f64 v[99:100], v[101:102], v[45:46], v[99:100]
	v_add_f64 v[11:12], v[11:12], -v[99:100]
	ds_read2_b64 v[99:102], v125 offset0:72 offset1:73
	s_waitcnt lgkmcnt(0)
	v_mul_f64 v[47:48], v[101:102], v[97:98]
	v_fma_f64 v[47:48], v[99:100], v[45:46], -v[47:48]
	v_mul_f64 v[99:100], v[99:100], v[97:98]
	v_add_f64 v[5:6], v[5:6], -v[47:48]
	v_fma_f64 v[99:100], v[101:102], v[45:46], v[99:100]
	v_add_f64 v[7:8], v[7:8], -v[99:100]
	;; [unrolled: 8-line block ×3, first 2 shown]
	ds_read2_b64 v[99:102], v125 offset0:76 offset1:77
	s_waitcnt lgkmcnt(0)
	v_mul_f64 v[47:48], v[101:102], v[97:98]
	v_fma_f64 v[47:48], v[99:100], v[45:46], -v[47:48]
	v_mul_f64 v[99:100], v[99:100], v[97:98]
	v_add_f64 v[81:82], v[81:82], -v[47:48]
	v_fma_f64 v[99:100], v[101:102], v[45:46], v[99:100]
	v_mov_b32_e32 v47, v97
	v_mov_b32_e32 v48, v98
	v_add_f64 v[83:84], v[83:84], -v[99:100]
.LBB77_244:
	s_or_b64 exec, exec, s[2:3]
	v_cmp_eq_u32_e32 vcc, 27, v127
	s_waitcnt vmcnt(0)
	s_barrier
	s_and_saveexec_b64 s[4:5], vcc
	s_cbranch_execz .LBB77_251
; %bb.245:
	ds_write2_b64 v0, v[41:42], v[43:44] offset1:1
	ds_write2_b64 v125, v[37:38], v[39:40] offset0:56 offset1:57
	ds_write2_b64 v125, v[33:34], v[35:36] offset0:58 offset1:59
	;; [unrolled: 1-line block ×6, first 2 shown]
	buffer_load_dword v13, off, s[20:23], 0 ; 4-byte Folded Reload
	buffer_load_dword v14, off, s[20:23], 0 offset:4 ; 4-byte Folded Reload
	buffer_load_dword v15, off, s[20:23], 0 offset:8 ; 4-byte Folded Reload
	buffer_load_dword v16, off, s[20:23], 0 offset:12 ; 4-byte Folded Reload
	s_waitcnt vmcnt(0)
	ds_write2_b64 v125, v[13:14], v[15:16] offset0:68 offset1:69
	ds_write2_b64 v125, v[9:10], v[11:12] offset0:70 offset1:71
	ds_write2_b64 v125, v[5:6], v[7:8] offset0:72 offset1:73
	ds_write2_b64 v125, v[1:2], v[3:4] offset0:74 offset1:75
	ds_write2_b64 v125, v[81:82], v[83:84] offset0:76 offset1:77
	ds_read2_b64 v[97:100], v0 offset1:1
	s_waitcnt lgkmcnt(0)
	v_cmp_neq_f64_e32 vcc, 0, v[97:98]
	v_cmp_neq_f64_e64 s[2:3], 0, v[99:100]
	s_or_b64 s[2:3], vcc, s[2:3]
	s_and_b64 exec, exec, s[2:3]
	s_cbranch_execz .LBB77_251
; %bb.246:
	v_cmp_ngt_f64_e64 s[2:3], |v[97:98]|, |v[99:100]|
                                        ; implicit-def: $vgpr101_vgpr102
	s_and_saveexec_b64 s[6:7], s[2:3]
	s_xor_b64 s[2:3], exec, s[6:7]
                                        ; implicit-def: $vgpr103_vgpr104
	s_cbranch_execz .LBB77_248
; %bb.247:
	v_div_scale_f64 v[101:102], s[6:7], v[99:100], v[99:100], v[97:98]
	v_rcp_f64_e32 v[103:104], v[101:102]
	v_fma_f64 v[105:106], -v[101:102], v[103:104], 1.0
	v_fma_f64 v[103:104], v[103:104], v[105:106], v[103:104]
	v_div_scale_f64 v[105:106], vcc, v[97:98], v[99:100], v[97:98]
	v_fma_f64 v[107:108], -v[101:102], v[103:104], 1.0
	v_fma_f64 v[103:104], v[103:104], v[107:108], v[103:104]
	v_mul_f64 v[107:108], v[105:106], v[103:104]
	v_fma_f64 v[101:102], -v[101:102], v[107:108], v[105:106]
	v_div_fmas_f64 v[101:102], v[101:102], v[103:104], v[107:108]
	v_div_fixup_f64 v[101:102], v[101:102], v[99:100], v[97:98]
	v_fma_f64 v[97:98], v[97:98], v[101:102], v[99:100]
	v_div_scale_f64 v[99:100], s[6:7], v[97:98], v[97:98], 1.0
	v_div_scale_f64 v[107:108], vcc, 1.0, v[97:98], 1.0
	v_rcp_f64_e32 v[103:104], v[99:100]
	v_fma_f64 v[105:106], -v[99:100], v[103:104], 1.0
	v_fma_f64 v[103:104], v[103:104], v[105:106], v[103:104]
	v_fma_f64 v[105:106], -v[99:100], v[103:104], 1.0
	v_fma_f64 v[103:104], v[103:104], v[105:106], v[103:104]
	v_mul_f64 v[105:106], v[107:108], v[103:104]
	v_fma_f64 v[99:100], -v[99:100], v[105:106], v[107:108]
	v_div_fmas_f64 v[99:100], v[99:100], v[103:104], v[105:106]
	v_div_fixup_f64 v[103:104], v[99:100], v[97:98], 1.0
                                        ; implicit-def: $vgpr97_vgpr98
	v_mul_f64 v[101:102], v[101:102], v[103:104]
	v_xor_b32_e32 v104, 0x80000000, v104
.LBB77_248:
	s_andn2_saveexec_b64 s[2:3], s[2:3]
	s_cbranch_execz .LBB77_250
; %bb.249:
	v_div_scale_f64 v[101:102], s[6:7], v[97:98], v[97:98], v[99:100]
	v_rcp_f64_e32 v[103:104], v[101:102]
	v_fma_f64 v[105:106], -v[101:102], v[103:104], 1.0
	v_fma_f64 v[103:104], v[103:104], v[105:106], v[103:104]
	v_div_scale_f64 v[105:106], vcc, v[99:100], v[97:98], v[99:100]
	v_fma_f64 v[107:108], -v[101:102], v[103:104], 1.0
	v_fma_f64 v[103:104], v[103:104], v[107:108], v[103:104]
	v_mul_f64 v[107:108], v[105:106], v[103:104]
	v_fma_f64 v[101:102], -v[101:102], v[107:108], v[105:106]
	v_div_fmas_f64 v[101:102], v[101:102], v[103:104], v[107:108]
	v_div_fixup_f64 v[103:104], v[101:102], v[97:98], v[99:100]
	v_fma_f64 v[97:98], v[99:100], v[103:104], v[97:98]
	v_div_scale_f64 v[99:100], s[6:7], v[97:98], v[97:98], 1.0
	v_div_scale_f64 v[107:108], vcc, 1.0, v[97:98], 1.0
	v_rcp_f64_e32 v[101:102], v[99:100]
	v_fma_f64 v[105:106], -v[99:100], v[101:102], 1.0
	v_fma_f64 v[101:102], v[101:102], v[105:106], v[101:102]
	v_fma_f64 v[105:106], -v[99:100], v[101:102], 1.0
	v_fma_f64 v[101:102], v[101:102], v[105:106], v[101:102]
	v_mul_f64 v[105:106], v[107:108], v[101:102]
	v_fma_f64 v[99:100], -v[99:100], v[105:106], v[107:108]
	v_div_fmas_f64 v[99:100], v[99:100], v[101:102], v[105:106]
	v_div_fixup_f64 v[101:102], v[99:100], v[97:98], 1.0
	v_mul_f64 v[103:104], v[103:104], -v[101:102]
.LBB77_250:
	s_or_b64 exec, exec, s[2:3]
	ds_write2_b64 v0, v[101:102], v[103:104] offset1:1
.LBB77_251:
	s_or_b64 exec, exec, s[4:5]
	s_waitcnt lgkmcnt(0)
	s_barrier
	ds_read2_b64 v[13:16], v0 offset1:1
	v_cmp_lt_u32_e32 vcc, 27, v127
	s_waitcnt lgkmcnt(0)
	buffer_store_dword v13, off, s[20:23], 0 offset:988 ; 4-byte Folded Spill
	s_nop 0
	buffer_store_dword v14, off, s[20:23], 0 offset:992 ; 4-byte Folded Spill
	buffer_store_dword v15, off, s[20:23], 0 offset:996 ; 4-byte Folded Spill
	;; [unrolled: 1-line block ×3, first 2 shown]
	s_and_saveexec_b64 s[2:3], vcc
	s_cbranch_execz .LBB77_253
; %bb.252:
	buffer_load_dword v13, off, s[20:23], 0 offset:988 ; 4-byte Folded Reload
	buffer_load_dword v14, off, s[20:23], 0 offset:992 ; 4-byte Folded Reload
	buffer_load_dword v15, off, s[20:23], 0 offset:996 ; 4-byte Folded Reload
	buffer_load_dword v16, off, s[20:23], 0 offset:1000 ; 4-byte Folded Reload
	ds_read2_b64 v[99:102], v125 offset0:56 offset1:57
	s_waitcnt vmcnt(2)
	v_mul_f64 v[97:98], v[13:14], v[43:44]
	s_waitcnt vmcnt(0)
	v_mul_f64 v[43:44], v[15:16], v[43:44]
	v_fma_f64 v[97:98], v[15:16], v[41:42], v[97:98]
	v_fma_f64 v[41:42], v[13:14], v[41:42], -v[43:44]
	s_waitcnt lgkmcnt(0)
	v_mul_f64 v[43:44], v[101:102], v[97:98]
	v_fma_f64 v[43:44], v[99:100], v[41:42], -v[43:44]
	v_mul_f64 v[99:100], v[99:100], v[97:98]
	v_add_f64 v[37:38], v[37:38], -v[43:44]
	v_fma_f64 v[99:100], v[101:102], v[41:42], v[99:100]
	v_add_f64 v[39:40], v[39:40], -v[99:100]
	ds_read2_b64 v[99:102], v125 offset0:58 offset1:59
	s_waitcnt lgkmcnt(0)
	v_mul_f64 v[43:44], v[101:102], v[97:98]
	v_fma_f64 v[43:44], v[99:100], v[41:42], -v[43:44]
	v_mul_f64 v[99:100], v[99:100], v[97:98]
	v_add_f64 v[33:34], v[33:34], -v[43:44]
	v_fma_f64 v[99:100], v[101:102], v[41:42], v[99:100]
	v_add_f64 v[35:36], v[35:36], -v[99:100]
	ds_read2_b64 v[99:102], v125 offset0:60 offset1:61
	;; [unrolled: 8-line block ×6, first 2 shown]
	buffer_load_dword v13, off, s[20:23], 0 ; 4-byte Folded Reload
	buffer_load_dword v14, off, s[20:23], 0 offset:4 ; 4-byte Folded Reload
	buffer_load_dword v15, off, s[20:23], 0 offset:8 ; 4-byte Folded Reload
	;; [unrolled: 1-line block ×3, first 2 shown]
	s_waitcnt lgkmcnt(0)
	v_mul_f64 v[43:44], v[101:102], v[97:98]
	v_fma_f64 v[43:44], v[99:100], v[41:42], -v[43:44]
	v_mul_f64 v[99:100], v[99:100], v[97:98]
	v_fma_f64 v[99:100], v[101:102], v[41:42], v[99:100]
	s_waitcnt vmcnt(2)
	v_add_f64 v[13:14], v[13:14], -v[43:44]
	s_waitcnt vmcnt(0)
	v_add_f64 v[15:16], v[15:16], -v[99:100]
	buffer_store_dword v13, off, s[20:23], 0 ; 4-byte Folded Spill
	s_nop 0
	buffer_store_dword v14, off, s[20:23], 0 offset:4 ; 4-byte Folded Spill
	buffer_store_dword v15, off, s[20:23], 0 offset:8 ; 4-byte Folded Spill
	;; [unrolled: 1-line block ×3, first 2 shown]
	ds_read2_b64 v[99:102], v125 offset0:70 offset1:71
	s_waitcnt lgkmcnt(0)
	v_mul_f64 v[43:44], v[101:102], v[97:98]
	v_fma_f64 v[43:44], v[99:100], v[41:42], -v[43:44]
	v_mul_f64 v[99:100], v[99:100], v[97:98]
	v_add_f64 v[9:10], v[9:10], -v[43:44]
	v_fma_f64 v[99:100], v[101:102], v[41:42], v[99:100]
	v_add_f64 v[11:12], v[11:12], -v[99:100]
	ds_read2_b64 v[99:102], v125 offset0:72 offset1:73
	s_waitcnt lgkmcnt(0)
	v_mul_f64 v[43:44], v[101:102], v[97:98]
	v_fma_f64 v[43:44], v[99:100], v[41:42], -v[43:44]
	v_mul_f64 v[99:100], v[99:100], v[97:98]
	v_add_f64 v[5:6], v[5:6], -v[43:44]
	v_fma_f64 v[99:100], v[101:102], v[41:42], v[99:100]
	v_add_f64 v[7:8], v[7:8], -v[99:100]
	;; [unrolled: 8-line block ×3, first 2 shown]
	ds_read2_b64 v[99:102], v125 offset0:76 offset1:77
	s_waitcnt lgkmcnt(0)
	v_mul_f64 v[43:44], v[101:102], v[97:98]
	v_fma_f64 v[43:44], v[99:100], v[41:42], -v[43:44]
	v_mul_f64 v[99:100], v[99:100], v[97:98]
	v_add_f64 v[81:82], v[81:82], -v[43:44]
	v_fma_f64 v[99:100], v[101:102], v[41:42], v[99:100]
	v_mov_b32_e32 v43, v97
	v_mov_b32_e32 v44, v98
	v_add_f64 v[83:84], v[83:84], -v[99:100]
.LBB77_253:
	s_or_b64 exec, exec, s[2:3]
	v_cmp_eq_u32_e32 vcc, 28, v127
	s_waitcnt vmcnt(0)
	s_barrier
	s_and_saveexec_b64 s[4:5], vcc
	s_cbranch_execz .LBB77_260
; %bb.254:
	ds_write2_b64 v0, v[37:38], v[39:40] offset1:1
	ds_write2_b64 v125, v[33:34], v[35:36] offset0:58 offset1:59
	ds_write2_b64 v125, v[29:30], v[31:32] offset0:60 offset1:61
	;; [unrolled: 1-line block ×5, first 2 shown]
	buffer_load_dword v13, off, s[20:23], 0 ; 4-byte Folded Reload
	buffer_load_dword v14, off, s[20:23], 0 offset:4 ; 4-byte Folded Reload
	buffer_load_dword v15, off, s[20:23], 0 offset:8 ; 4-byte Folded Reload
	;; [unrolled: 1-line block ×3, first 2 shown]
	s_waitcnt vmcnt(0)
	ds_write2_b64 v125, v[13:14], v[15:16] offset0:68 offset1:69
	ds_write2_b64 v125, v[9:10], v[11:12] offset0:70 offset1:71
	;; [unrolled: 1-line block ×5, first 2 shown]
	ds_read2_b64 v[97:100], v0 offset1:1
	s_waitcnt lgkmcnt(0)
	v_cmp_neq_f64_e32 vcc, 0, v[97:98]
	v_cmp_neq_f64_e64 s[2:3], 0, v[99:100]
	s_or_b64 s[2:3], vcc, s[2:3]
	s_and_b64 exec, exec, s[2:3]
	s_cbranch_execz .LBB77_260
; %bb.255:
	v_cmp_ngt_f64_e64 s[2:3], |v[97:98]|, |v[99:100]|
                                        ; implicit-def: $vgpr101_vgpr102
	s_and_saveexec_b64 s[6:7], s[2:3]
	s_xor_b64 s[2:3], exec, s[6:7]
                                        ; implicit-def: $vgpr103_vgpr104
	s_cbranch_execz .LBB77_257
; %bb.256:
	v_div_scale_f64 v[101:102], s[6:7], v[99:100], v[99:100], v[97:98]
	v_rcp_f64_e32 v[103:104], v[101:102]
	v_fma_f64 v[105:106], -v[101:102], v[103:104], 1.0
	v_fma_f64 v[103:104], v[103:104], v[105:106], v[103:104]
	v_div_scale_f64 v[105:106], vcc, v[97:98], v[99:100], v[97:98]
	v_fma_f64 v[107:108], -v[101:102], v[103:104], 1.0
	v_fma_f64 v[103:104], v[103:104], v[107:108], v[103:104]
	v_mul_f64 v[107:108], v[105:106], v[103:104]
	v_fma_f64 v[101:102], -v[101:102], v[107:108], v[105:106]
	v_div_fmas_f64 v[101:102], v[101:102], v[103:104], v[107:108]
	v_div_fixup_f64 v[101:102], v[101:102], v[99:100], v[97:98]
	v_fma_f64 v[97:98], v[97:98], v[101:102], v[99:100]
	v_div_scale_f64 v[99:100], s[6:7], v[97:98], v[97:98], 1.0
	v_div_scale_f64 v[107:108], vcc, 1.0, v[97:98], 1.0
	v_rcp_f64_e32 v[103:104], v[99:100]
	v_fma_f64 v[105:106], -v[99:100], v[103:104], 1.0
	v_fma_f64 v[103:104], v[103:104], v[105:106], v[103:104]
	v_fma_f64 v[105:106], -v[99:100], v[103:104], 1.0
	v_fma_f64 v[103:104], v[103:104], v[105:106], v[103:104]
	v_mul_f64 v[105:106], v[107:108], v[103:104]
	v_fma_f64 v[99:100], -v[99:100], v[105:106], v[107:108]
	v_div_fmas_f64 v[99:100], v[99:100], v[103:104], v[105:106]
	v_div_fixup_f64 v[103:104], v[99:100], v[97:98], 1.0
                                        ; implicit-def: $vgpr97_vgpr98
	v_mul_f64 v[101:102], v[101:102], v[103:104]
	v_xor_b32_e32 v104, 0x80000000, v104
.LBB77_257:
	s_andn2_saveexec_b64 s[2:3], s[2:3]
	s_cbranch_execz .LBB77_259
; %bb.258:
	v_div_scale_f64 v[101:102], s[6:7], v[97:98], v[97:98], v[99:100]
	v_rcp_f64_e32 v[103:104], v[101:102]
	v_fma_f64 v[105:106], -v[101:102], v[103:104], 1.0
	v_fma_f64 v[103:104], v[103:104], v[105:106], v[103:104]
	v_div_scale_f64 v[105:106], vcc, v[99:100], v[97:98], v[99:100]
	v_fma_f64 v[107:108], -v[101:102], v[103:104], 1.0
	v_fma_f64 v[103:104], v[103:104], v[107:108], v[103:104]
	v_mul_f64 v[107:108], v[105:106], v[103:104]
	v_fma_f64 v[101:102], -v[101:102], v[107:108], v[105:106]
	v_div_fmas_f64 v[101:102], v[101:102], v[103:104], v[107:108]
	v_div_fixup_f64 v[103:104], v[101:102], v[97:98], v[99:100]
	v_fma_f64 v[97:98], v[99:100], v[103:104], v[97:98]
	v_div_scale_f64 v[99:100], s[6:7], v[97:98], v[97:98], 1.0
	v_div_scale_f64 v[107:108], vcc, 1.0, v[97:98], 1.0
	v_rcp_f64_e32 v[101:102], v[99:100]
	v_fma_f64 v[105:106], -v[99:100], v[101:102], 1.0
	v_fma_f64 v[101:102], v[101:102], v[105:106], v[101:102]
	v_fma_f64 v[105:106], -v[99:100], v[101:102], 1.0
	v_fma_f64 v[101:102], v[101:102], v[105:106], v[101:102]
	v_mul_f64 v[105:106], v[107:108], v[101:102]
	v_fma_f64 v[99:100], -v[99:100], v[105:106], v[107:108]
	v_div_fmas_f64 v[99:100], v[99:100], v[101:102], v[105:106]
	v_div_fixup_f64 v[101:102], v[99:100], v[97:98], 1.0
	v_mul_f64 v[103:104], v[103:104], -v[101:102]
.LBB77_259:
	s_or_b64 exec, exec, s[2:3]
	ds_write2_b64 v0, v[101:102], v[103:104] offset1:1
.LBB77_260:
	s_or_b64 exec, exec, s[4:5]
	s_waitcnt lgkmcnt(0)
	s_barrier
	ds_read2_b64 v[13:16], v0 offset1:1
	v_cmp_lt_u32_e32 vcc, 28, v127
	s_waitcnt lgkmcnt(0)
	buffer_store_dword v13, off, s[20:23], 0 offset:1004 ; 4-byte Folded Spill
	s_nop 0
	buffer_store_dword v14, off, s[20:23], 0 offset:1008 ; 4-byte Folded Spill
	buffer_store_dword v15, off, s[20:23], 0 offset:1012 ; 4-byte Folded Spill
	;; [unrolled: 1-line block ×3, first 2 shown]
	s_and_saveexec_b64 s[2:3], vcc
	s_cbranch_execz .LBB77_262
; %bb.261:
	buffer_load_dword v13, off, s[20:23], 0 offset:1004 ; 4-byte Folded Reload
	buffer_load_dword v14, off, s[20:23], 0 offset:1008 ; 4-byte Folded Reload
	;; [unrolled: 1-line block ×4, first 2 shown]
	ds_read2_b64 v[99:102], v125 offset0:58 offset1:59
	s_waitcnt vmcnt(2)
	v_mul_f64 v[97:98], v[13:14], v[39:40]
	s_waitcnt vmcnt(0)
	v_mul_f64 v[39:40], v[15:16], v[39:40]
	v_fma_f64 v[97:98], v[15:16], v[37:38], v[97:98]
	v_fma_f64 v[37:38], v[13:14], v[37:38], -v[39:40]
	s_waitcnt lgkmcnt(0)
	v_mul_f64 v[39:40], v[101:102], v[97:98]
	v_fma_f64 v[39:40], v[99:100], v[37:38], -v[39:40]
	v_mul_f64 v[99:100], v[99:100], v[97:98]
	v_add_f64 v[33:34], v[33:34], -v[39:40]
	v_fma_f64 v[99:100], v[101:102], v[37:38], v[99:100]
	v_add_f64 v[35:36], v[35:36], -v[99:100]
	ds_read2_b64 v[99:102], v125 offset0:60 offset1:61
	s_waitcnt lgkmcnt(0)
	v_mul_f64 v[39:40], v[101:102], v[97:98]
	v_fma_f64 v[39:40], v[99:100], v[37:38], -v[39:40]
	v_mul_f64 v[99:100], v[99:100], v[97:98]
	v_add_f64 v[29:30], v[29:30], -v[39:40]
	v_fma_f64 v[99:100], v[101:102], v[37:38], v[99:100]
	v_add_f64 v[31:32], v[31:32], -v[99:100]
	ds_read2_b64 v[99:102], v125 offset0:62 offset1:63
	;; [unrolled: 8-line block ×5, first 2 shown]
	buffer_load_dword v13, off, s[20:23], 0 ; 4-byte Folded Reload
	buffer_load_dword v14, off, s[20:23], 0 offset:4 ; 4-byte Folded Reload
	buffer_load_dword v15, off, s[20:23], 0 offset:8 ; 4-byte Folded Reload
	;; [unrolled: 1-line block ×3, first 2 shown]
	s_waitcnt lgkmcnt(0)
	v_mul_f64 v[39:40], v[101:102], v[97:98]
	v_fma_f64 v[39:40], v[99:100], v[37:38], -v[39:40]
	v_mul_f64 v[99:100], v[99:100], v[97:98]
	v_fma_f64 v[99:100], v[101:102], v[37:38], v[99:100]
	s_waitcnt vmcnt(2)
	v_add_f64 v[13:14], v[13:14], -v[39:40]
	s_waitcnt vmcnt(0)
	v_add_f64 v[15:16], v[15:16], -v[99:100]
	buffer_store_dword v13, off, s[20:23], 0 ; 4-byte Folded Spill
	s_nop 0
	buffer_store_dword v14, off, s[20:23], 0 offset:4 ; 4-byte Folded Spill
	buffer_store_dword v15, off, s[20:23], 0 offset:8 ; 4-byte Folded Spill
	;; [unrolled: 1-line block ×3, first 2 shown]
	ds_read2_b64 v[99:102], v125 offset0:70 offset1:71
	s_waitcnt lgkmcnt(0)
	v_mul_f64 v[39:40], v[101:102], v[97:98]
	v_fma_f64 v[39:40], v[99:100], v[37:38], -v[39:40]
	v_mul_f64 v[99:100], v[99:100], v[97:98]
	v_add_f64 v[9:10], v[9:10], -v[39:40]
	v_fma_f64 v[99:100], v[101:102], v[37:38], v[99:100]
	v_add_f64 v[11:12], v[11:12], -v[99:100]
	ds_read2_b64 v[99:102], v125 offset0:72 offset1:73
	s_waitcnt lgkmcnt(0)
	v_mul_f64 v[39:40], v[101:102], v[97:98]
	v_fma_f64 v[39:40], v[99:100], v[37:38], -v[39:40]
	v_mul_f64 v[99:100], v[99:100], v[97:98]
	v_add_f64 v[5:6], v[5:6], -v[39:40]
	v_fma_f64 v[99:100], v[101:102], v[37:38], v[99:100]
	v_add_f64 v[7:8], v[7:8], -v[99:100]
	;; [unrolled: 8-line block ×3, first 2 shown]
	ds_read2_b64 v[99:102], v125 offset0:76 offset1:77
	s_waitcnt lgkmcnt(0)
	v_mul_f64 v[39:40], v[101:102], v[97:98]
	v_fma_f64 v[39:40], v[99:100], v[37:38], -v[39:40]
	v_mul_f64 v[99:100], v[99:100], v[97:98]
	v_add_f64 v[81:82], v[81:82], -v[39:40]
	v_fma_f64 v[99:100], v[101:102], v[37:38], v[99:100]
	v_mov_b32_e32 v39, v97
	v_mov_b32_e32 v40, v98
	v_add_f64 v[83:84], v[83:84], -v[99:100]
.LBB77_262:
	s_or_b64 exec, exec, s[2:3]
	v_cmp_eq_u32_e32 vcc, 29, v127
	s_waitcnt vmcnt(0)
	s_barrier
	s_and_saveexec_b64 s[4:5], vcc
	s_cbranch_execz .LBB77_269
; %bb.263:
	ds_write2_b64 v0, v[33:34], v[35:36] offset1:1
	ds_write2_b64 v125, v[29:30], v[31:32] offset0:60 offset1:61
	ds_write2_b64 v125, v[25:26], v[27:28] offset0:62 offset1:63
	;; [unrolled: 1-line block ×4, first 2 shown]
	buffer_load_dword v13, off, s[20:23], 0 ; 4-byte Folded Reload
	buffer_load_dword v14, off, s[20:23], 0 offset:4 ; 4-byte Folded Reload
	buffer_load_dword v15, off, s[20:23], 0 offset:8 ; 4-byte Folded Reload
	;; [unrolled: 1-line block ×3, first 2 shown]
	s_waitcnt vmcnt(0)
	ds_write2_b64 v125, v[13:14], v[15:16] offset0:68 offset1:69
	ds_write2_b64 v125, v[9:10], v[11:12] offset0:70 offset1:71
	;; [unrolled: 1-line block ×5, first 2 shown]
	ds_read2_b64 v[97:100], v0 offset1:1
	s_waitcnt lgkmcnt(0)
	v_cmp_neq_f64_e32 vcc, 0, v[97:98]
	v_cmp_neq_f64_e64 s[2:3], 0, v[99:100]
	s_or_b64 s[2:3], vcc, s[2:3]
	s_and_b64 exec, exec, s[2:3]
	s_cbranch_execz .LBB77_269
; %bb.264:
	v_cmp_ngt_f64_e64 s[2:3], |v[97:98]|, |v[99:100]|
                                        ; implicit-def: $vgpr101_vgpr102
	s_and_saveexec_b64 s[6:7], s[2:3]
	s_xor_b64 s[2:3], exec, s[6:7]
                                        ; implicit-def: $vgpr103_vgpr104
	s_cbranch_execz .LBB77_266
; %bb.265:
	v_div_scale_f64 v[101:102], s[6:7], v[99:100], v[99:100], v[97:98]
	v_rcp_f64_e32 v[103:104], v[101:102]
	v_fma_f64 v[105:106], -v[101:102], v[103:104], 1.0
	v_fma_f64 v[103:104], v[103:104], v[105:106], v[103:104]
	v_div_scale_f64 v[105:106], vcc, v[97:98], v[99:100], v[97:98]
	v_fma_f64 v[107:108], -v[101:102], v[103:104], 1.0
	v_fma_f64 v[103:104], v[103:104], v[107:108], v[103:104]
	v_mul_f64 v[107:108], v[105:106], v[103:104]
	v_fma_f64 v[101:102], -v[101:102], v[107:108], v[105:106]
	v_div_fmas_f64 v[101:102], v[101:102], v[103:104], v[107:108]
	v_div_fixup_f64 v[101:102], v[101:102], v[99:100], v[97:98]
	v_fma_f64 v[97:98], v[97:98], v[101:102], v[99:100]
	v_div_scale_f64 v[99:100], s[6:7], v[97:98], v[97:98], 1.0
	v_div_scale_f64 v[107:108], vcc, 1.0, v[97:98], 1.0
	v_rcp_f64_e32 v[103:104], v[99:100]
	v_fma_f64 v[105:106], -v[99:100], v[103:104], 1.0
	v_fma_f64 v[103:104], v[103:104], v[105:106], v[103:104]
	v_fma_f64 v[105:106], -v[99:100], v[103:104], 1.0
	v_fma_f64 v[103:104], v[103:104], v[105:106], v[103:104]
	v_mul_f64 v[105:106], v[107:108], v[103:104]
	v_fma_f64 v[99:100], -v[99:100], v[105:106], v[107:108]
	v_div_fmas_f64 v[99:100], v[99:100], v[103:104], v[105:106]
	v_div_fixup_f64 v[103:104], v[99:100], v[97:98], 1.0
                                        ; implicit-def: $vgpr97_vgpr98
	v_mul_f64 v[101:102], v[101:102], v[103:104]
	v_xor_b32_e32 v104, 0x80000000, v104
.LBB77_266:
	s_andn2_saveexec_b64 s[2:3], s[2:3]
	s_cbranch_execz .LBB77_268
; %bb.267:
	v_div_scale_f64 v[101:102], s[6:7], v[97:98], v[97:98], v[99:100]
	v_rcp_f64_e32 v[103:104], v[101:102]
	v_fma_f64 v[105:106], -v[101:102], v[103:104], 1.0
	v_fma_f64 v[103:104], v[103:104], v[105:106], v[103:104]
	v_div_scale_f64 v[105:106], vcc, v[99:100], v[97:98], v[99:100]
	v_fma_f64 v[107:108], -v[101:102], v[103:104], 1.0
	v_fma_f64 v[103:104], v[103:104], v[107:108], v[103:104]
	v_mul_f64 v[107:108], v[105:106], v[103:104]
	v_fma_f64 v[101:102], -v[101:102], v[107:108], v[105:106]
	v_div_fmas_f64 v[101:102], v[101:102], v[103:104], v[107:108]
	v_div_fixup_f64 v[103:104], v[101:102], v[97:98], v[99:100]
	v_fma_f64 v[97:98], v[99:100], v[103:104], v[97:98]
	v_div_scale_f64 v[99:100], s[6:7], v[97:98], v[97:98], 1.0
	v_div_scale_f64 v[107:108], vcc, 1.0, v[97:98], 1.0
	v_rcp_f64_e32 v[101:102], v[99:100]
	v_fma_f64 v[105:106], -v[99:100], v[101:102], 1.0
	v_fma_f64 v[101:102], v[101:102], v[105:106], v[101:102]
	v_fma_f64 v[105:106], -v[99:100], v[101:102], 1.0
	v_fma_f64 v[101:102], v[101:102], v[105:106], v[101:102]
	v_mul_f64 v[105:106], v[107:108], v[101:102]
	v_fma_f64 v[99:100], -v[99:100], v[105:106], v[107:108]
	v_div_fmas_f64 v[99:100], v[99:100], v[101:102], v[105:106]
	v_div_fixup_f64 v[101:102], v[99:100], v[97:98], 1.0
	v_mul_f64 v[103:104], v[103:104], -v[101:102]
.LBB77_268:
	s_or_b64 exec, exec, s[2:3]
	ds_write2_b64 v0, v[101:102], v[103:104] offset1:1
.LBB77_269:
	s_or_b64 exec, exec, s[4:5]
	s_waitcnt lgkmcnt(0)
	s_barrier
	ds_read2_b64 v[13:16], v0 offset1:1
	v_cmp_lt_u32_e32 vcc, 29, v127
	s_waitcnt lgkmcnt(0)
	buffer_store_dword v13, off, s[20:23], 0 offset:1020 ; 4-byte Folded Spill
	s_nop 0
	buffer_store_dword v14, off, s[20:23], 0 offset:1024 ; 4-byte Folded Spill
	buffer_store_dword v15, off, s[20:23], 0 offset:1028 ; 4-byte Folded Spill
	;; [unrolled: 1-line block ×3, first 2 shown]
	s_and_saveexec_b64 s[2:3], vcc
	s_cbranch_execz .LBB77_271
; %bb.270:
	buffer_load_dword v13, off, s[20:23], 0 offset:1020 ; 4-byte Folded Reload
	buffer_load_dword v14, off, s[20:23], 0 offset:1024 ; 4-byte Folded Reload
	;; [unrolled: 1-line block ×4, first 2 shown]
	ds_read2_b64 v[99:102], v125 offset0:60 offset1:61
	s_waitcnt vmcnt(2)
	v_mul_f64 v[97:98], v[13:14], v[35:36]
	s_waitcnt vmcnt(0)
	v_mul_f64 v[35:36], v[15:16], v[35:36]
	v_fma_f64 v[97:98], v[15:16], v[33:34], v[97:98]
	v_fma_f64 v[33:34], v[13:14], v[33:34], -v[35:36]
	s_waitcnt lgkmcnt(0)
	v_mul_f64 v[35:36], v[101:102], v[97:98]
	v_fma_f64 v[35:36], v[99:100], v[33:34], -v[35:36]
	v_mul_f64 v[99:100], v[99:100], v[97:98]
	v_add_f64 v[29:30], v[29:30], -v[35:36]
	v_fma_f64 v[99:100], v[101:102], v[33:34], v[99:100]
	v_add_f64 v[31:32], v[31:32], -v[99:100]
	ds_read2_b64 v[99:102], v125 offset0:62 offset1:63
	s_waitcnt lgkmcnt(0)
	v_mul_f64 v[35:36], v[101:102], v[97:98]
	v_fma_f64 v[35:36], v[99:100], v[33:34], -v[35:36]
	v_mul_f64 v[99:100], v[99:100], v[97:98]
	v_add_f64 v[25:26], v[25:26], -v[35:36]
	v_fma_f64 v[99:100], v[101:102], v[33:34], v[99:100]
	v_add_f64 v[27:28], v[27:28], -v[99:100]
	ds_read2_b64 v[99:102], v125 offset0:64 offset1:65
	;; [unrolled: 8-line block ×4, first 2 shown]
	buffer_load_dword v13, off, s[20:23], 0 ; 4-byte Folded Reload
	buffer_load_dword v14, off, s[20:23], 0 offset:4 ; 4-byte Folded Reload
	buffer_load_dword v15, off, s[20:23], 0 offset:8 ; 4-byte Folded Reload
	;; [unrolled: 1-line block ×3, first 2 shown]
	s_waitcnt lgkmcnt(0)
	v_mul_f64 v[35:36], v[101:102], v[97:98]
	v_fma_f64 v[35:36], v[99:100], v[33:34], -v[35:36]
	v_mul_f64 v[99:100], v[99:100], v[97:98]
	v_fma_f64 v[99:100], v[101:102], v[33:34], v[99:100]
	s_waitcnt vmcnt(2)
	v_add_f64 v[13:14], v[13:14], -v[35:36]
	s_waitcnt vmcnt(0)
	v_add_f64 v[15:16], v[15:16], -v[99:100]
	buffer_store_dword v13, off, s[20:23], 0 ; 4-byte Folded Spill
	s_nop 0
	buffer_store_dword v14, off, s[20:23], 0 offset:4 ; 4-byte Folded Spill
	buffer_store_dword v15, off, s[20:23], 0 offset:8 ; 4-byte Folded Spill
	;; [unrolled: 1-line block ×3, first 2 shown]
	ds_read2_b64 v[99:102], v125 offset0:70 offset1:71
	s_waitcnt lgkmcnt(0)
	v_mul_f64 v[35:36], v[101:102], v[97:98]
	v_fma_f64 v[35:36], v[99:100], v[33:34], -v[35:36]
	v_mul_f64 v[99:100], v[99:100], v[97:98]
	v_add_f64 v[9:10], v[9:10], -v[35:36]
	v_fma_f64 v[99:100], v[101:102], v[33:34], v[99:100]
	v_add_f64 v[11:12], v[11:12], -v[99:100]
	ds_read2_b64 v[99:102], v125 offset0:72 offset1:73
	s_waitcnt lgkmcnt(0)
	v_mul_f64 v[35:36], v[101:102], v[97:98]
	v_fma_f64 v[35:36], v[99:100], v[33:34], -v[35:36]
	v_mul_f64 v[99:100], v[99:100], v[97:98]
	v_add_f64 v[5:6], v[5:6], -v[35:36]
	v_fma_f64 v[99:100], v[101:102], v[33:34], v[99:100]
	v_add_f64 v[7:8], v[7:8], -v[99:100]
	;; [unrolled: 8-line block ×3, first 2 shown]
	ds_read2_b64 v[99:102], v125 offset0:76 offset1:77
	s_waitcnt lgkmcnt(0)
	v_mul_f64 v[35:36], v[101:102], v[97:98]
	v_fma_f64 v[35:36], v[99:100], v[33:34], -v[35:36]
	v_mul_f64 v[99:100], v[99:100], v[97:98]
	v_add_f64 v[81:82], v[81:82], -v[35:36]
	v_fma_f64 v[99:100], v[101:102], v[33:34], v[99:100]
	v_mov_b32_e32 v35, v97
	v_mov_b32_e32 v36, v98
	v_add_f64 v[83:84], v[83:84], -v[99:100]
.LBB77_271:
	s_or_b64 exec, exec, s[2:3]
	v_cmp_eq_u32_e32 vcc, 30, v127
	s_waitcnt vmcnt(0)
	s_barrier
	s_and_saveexec_b64 s[4:5], vcc
	s_cbranch_execz .LBB77_278
; %bb.272:
	ds_write2_b64 v0, v[29:30], v[31:32] offset1:1
	ds_write2_b64 v125, v[25:26], v[27:28] offset0:62 offset1:63
	ds_write2_b64 v125, v[21:22], v[23:24] offset0:64 offset1:65
	;; [unrolled: 1-line block ×3, first 2 shown]
	buffer_load_dword v13, off, s[20:23], 0 ; 4-byte Folded Reload
	buffer_load_dword v14, off, s[20:23], 0 offset:4 ; 4-byte Folded Reload
	buffer_load_dword v15, off, s[20:23], 0 offset:8 ; 4-byte Folded Reload
	;; [unrolled: 1-line block ×3, first 2 shown]
	s_waitcnt vmcnt(0)
	ds_write2_b64 v125, v[13:14], v[15:16] offset0:68 offset1:69
	ds_write2_b64 v125, v[9:10], v[11:12] offset0:70 offset1:71
	;; [unrolled: 1-line block ×5, first 2 shown]
	ds_read2_b64 v[97:100], v0 offset1:1
	s_waitcnt lgkmcnt(0)
	v_cmp_neq_f64_e32 vcc, 0, v[97:98]
	v_cmp_neq_f64_e64 s[2:3], 0, v[99:100]
	s_or_b64 s[2:3], vcc, s[2:3]
	s_and_b64 exec, exec, s[2:3]
	s_cbranch_execz .LBB77_278
; %bb.273:
	v_cmp_ngt_f64_e64 s[2:3], |v[97:98]|, |v[99:100]|
                                        ; implicit-def: $vgpr101_vgpr102
	s_and_saveexec_b64 s[6:7], s[2:3]
	s_xor_b64 s[2:3], exec, s[6:7]
                                        ; implicit-def: $vgpr103_vgpr104
	s_cbranch_execz .LBB77_275
; %bb.274:
	v_div_scale_f64 v[101:102], s[6:7], v[99:100], v[99:100], v[97:98]
	v_rcp_f64_e32 v[103:104], v[101:102]
	v_fma_f64 v[105:106], -v[101:102], v[103:104], 1.0
	v_fma_f64 v[103:104], v[103:104], v[105:106], v[103:104]
	v_div_scale_f64 v[105:106], vcc, v[97:98], v[99:100], v[97:98]
	v_fma_f64 v[107:108], -v[101:102], v[103:104], 1.0
	v_fma_f64 v[103:104], v[103:104], v[107:108], v[103:104]
	v_mul_f64 v[107:108], v[105:106], v[103:104]
	v_fma_f64 v[101:102], -v[101:102], v[107:108], v[105:106]
	v_div_fmas_f64 v[101:102], v[101:102], v[103:104], v[107:108]
	v_div_fixup_f64 v[101:102], v[101:102], v[99:100], v[97:98]
	v_fma_f64 v[97:98], v[97:98], v[101:102], v[99:100]
	v_div_scale_f64 v[99:100], s[6:7], v[97:98], v[97:98], 1.0
	v_div_scale_f64 v[107:108], vcc, 1.0, v[97:98], 1.0
	v_rcp_f64_e32 v[103:104], v[99:100]
	v_fma_f64 v[105:106], -v[99:100], v[103:104], 1.0
	v_fma_f64 v[103:104], v[103:104], v[105:106], v[103:104]
	v_fma_f64 v[105:106], -v[99:100], v[103:104], 1.0
	v_fma_f64 v[103:104], v[103:104], v[105:106], v[103:104]
	v_mul_f64 v[105:106], v[107:108], v[103:104]
	v_fma_f64 v[99:100], -v[99:100], v[105:106], v[107:108]
	v_div_fmas_f64 v[99:100], v[99:100], v[103:104], v[105:106]
	v_div_fixup_f64 v[103:104], v[99:100], v[97:98], 1.0
                                        ; implicit-def: $vgpr97_vgpr98
	v_mul_f64 v[101:102], v[101:102], v[103:104]
	v_xor_b32_e32 v104, 0x80000000, v104
.LBB77_275:
	s_andn2_saveexec_b64 s[2:3], s[2:3]
	s_cbranch_execz .LBB77_277
; %bb.276:
	v_div_scale_f64 v[101:102], s[6:7], v[97:98], v[97:98], v[99:100]
	v_rcp_f64_e32 v[103:104], v[101:102]
	v_fma_f64 v[105:106], -v[101:102], v[103:104], 1.0
	v_fma_f64 v[103:104], v[103:104], v[105:106], v[103:104]
	v_div_scale_f64 v[105:106], vcc, v[99:100], v[97:98], v[99:100]
	v_fma_f64 v[107:108], -v[101:102], v[103:104], 1.0
	v_fma_f64 v[103:104], v[103:104], v[107:108], v[103:104]
	v_mul_f64 v[107:108], v[105:106], v[103:104]
	v_fma_f64 v[101:102], -v[101:102], v[107:108], v[105:106]
	v_div_fmas_f64 v[101:102], v[101:102], v[103:104], v[107:108]
	v_div_fixup_f64 v[103:104], v[101:102], v[97:98], v[99:100]
	v_fma_f64 v[97:98], v[99:100], v[103:104], v[97:98]
	v_div_scale_f64 v[99:100], s[6:7], v[97:98], v[97:98], 1.0
	v_div_scale_f64 v[107:108], vcc, 1.0, v[97:98], 1.0
	v_rcp_f64_e32 v[101:102], v[99:100]
	v_fma_f64 v[105:106], -v[99:100], v[101:102], 1.0
	v_fma_f64 v[101:102], v[101:102], v[105:106], v[101:102]
	v_fma_f64 v[105:106], -v[99:100], v[101:102], 1.0
	v_fma_f64 v[101:102], v[101:102], v[105:106], v[101:102]
	v_mul_f64 v[105:106], v[107:108], v[101:102]
	v_fma_f64 v[99:100], -v[99:100], v[105:106], v[107:108]
	v_div_fmas_f64 v[99:100], v[99:100], v[101:102], v[105:106]
	v_div_fixup_f64 v[101:102], v[99:100], v[97:98], 1.0
	v_mul_f64 v[103:104], v[103:104], -v[101:102]
.LBB77_277:
	s_or_b64 exec, exec, s[2:3]
	ds_write2_b64 v0, v[101:102], v[103:104] offset1:1
.LBB77_278:
	s_or_b64 exec, exec, s[4:5]
	s_waitcnt lgkmcnt(0)
	s_barrier
	ds_read2_b64 v[13:16], v0 offset1:1
	v_cmp_lt_u32_e32 vcc, 30, v127
	s_waitcnt lgkmcnt(0)
	buffer_store_dword v13, off, s[20:23], 0 offset:1036 ; 4-byte Folded Spill
	s_nop 0
	buffer_store_dword v14, off, s[20:23], 0 offset:1040 ; 4-byte Folded Spill
	buffer_store_dword v15, off, s[20:23], 0 offset:1044 ; 4-byte Folded Spill
	;; [unrolled: 1-line block ×3, first 2 shown]
	s_and_saveexec_b64 s[2:3], vcc
	s_cbranch_execz .LBB77_280
; %bb.279:
	buffer_load_dword v13, off, s[20:23], 0 offset:1036 ; 4-byte Folded Reload
	buffer_load_dword v14, off, s[20:23], 0 offset:1040 ; 4-byte Folded Reload
	;; [unrolled: 1-line block ×4, first 2 shown]
	ds_read2_b64 v[99:102], v125 offset0:62 offset1:63
	s_waitcnt vmcnt(2)
	v_mul_f64 v[97:98], v[13:14], v[31:32]
	s_waitcnt vmcnt(0)
	v_mul_f64 v[31:32], v[15:16], v[31:32]
	v_fma_f64 v[97:98], v[15:16], v[29:30], v[97:98]
	v_fma_f64 v[29:30], v[13:14], v[29:30], -v[31:32]
	s_waitcnt lgkmcnt(0)
	v_mul_f64 v[31:32], v[101:102], v[97:98]
	v_fma_f64 v[31:32], v[99:100], v[29:30], -v[31:32]
	v_mul_f64 v[99:100], v[99:100], v[97:98]
	v_add_f64 v[25:26], v[25:26], -v[31:32]
	v_fma_f64 v[99:100], v[101:102], v[29:30], v[99:100]
	v_add_f64 v[27:28], v[27:28], -v[99:100]
	ds_read2_b64 v[99:102], v125 offset0:64 offset1:65
	s_waitcnt lgkmcnt(0)
	v_mul_f64 v[31:32], v[101:102], v[97:98]
	v_fma_f64 v[31:32], v[99:100], v[29:30], -v[31:32]
	v_mul_f64 v[99:100], v[99:100], v[97:98]
	v_add_f64 v[21:22], v[21:22], -v[31:32]
	v_fma_f64 v[99:100], v[101:102], v[29:30], v[99:100]
	v_add_f64 v[23:24], v[23:24], -v[99:100]
	ds_read2_b64 v[99:102], v125 offset0:66 offset1:67
	;; [unrolled: 8-line block ×3, first 2 shown]
	buffer_load_dword v13, off, s[20:23], 0 ; 4-byte Folded Reload
	buffer_load_dword v14, off, s[20:23], 0 offset:4 ; 4-byte Folded Reload
	buffer_load_dword v15, off, s[20:23], 0 offset:8 ; 4-byte Folded Reload
	;; [unrolled: 1-line block ×3, first 2 shown]
	s_waitcnt lgkmcnt(0)
	v_mul_f64 v[31:32], v[101:102], v[97:98]
	v_fma_f64 v[31:32], v[99:100], v[29:30], -v[31:32]
	v_mul_f64 v[99:100], v[99:100], v[97:98]
	v_fma_f64 v[99:100], v[101:102], v[29:30], v[99:100]
	s_waitcnt vmcnt(2)
	v_add_f64 v[13:14], v[13:14], -v[31:32]
	s_waitcnt vmcnt(0)
	v_add_f64 v[15:16], v[15:16], -v[99:100]
	buffer_store_dword v13, off, s[20:23], 0 ; 4-byte Folded Spill
	s_nop 0
	buffer_store_dword v14, off, s[20:23], 0 offset:4 ; 4-byte Folded Spill
	buffer_store_dword v15, off, s[20:23], 0 offset:8 ; 4-byte Folded Spill
	;; [unrolled: 1-line block ×3, first 2 shown]
	ds_read2_b64 v[99:102], v125 offset0:70 offset1:71
	s_waitcnt lgkmcnt(0)
	v_mul_f64 v[31:32], v[101:102], v[97:98]
	v_fma_f64 v[31:32], v[99:100], v[29:30], -v[31:32]
	v_mul_f64 v[99:100], v[99:100], v[97:98]
	v_add_f64 v[9:10], v[9:10], -v[31:32]
	v_fma_f64 v[99:100], v[101:102], v[29:30], v[99:100]
	v_add_f64 v[11:12], v[11:12], -v[99:100]
	ds_read2_b64 v[99:102], v125 offset0:72 offset1:73
	s_waitcnt lgkmcnt(0)
	v_mul_f64 v[31:32], v[101:102], v[97:98]
	v_fma_f64 v[31:32], v[99:100], v[29:30], -v[31:32]
	v_mul_f64 v[99:100], v[99:100], v[97:98]
	v_add_f64 v[5:6], v[5:6], -v[31:32]
	v_fma_f64 v[99:100], v[101:102], v[29:30], v[99:100]
	v_add_f64 v[7:8], v[7:8], -v[99:100]
	;; [unrolled: 8-line block ×3, first 2 shown]
	ds_read2_b64 v[99:102], v125 offset0:76 offset1:77
	s_waitcnt lgkmcnt(0)
	v_mul_f64 v[31:32], v[101:102], v[97:98]
	v_fma_f64 v[31:32], v[99:100], v[29:30], -v[31:32]
	v_mul_f64 v[99:100], v[99:100], v[97:98]
	v_add_f64 v[81:82], v[81:82], -v[31:32]
	v_fma_f64 v[99:100], v[101:102], v[29:30], v[99:100]
	v_mov_b32_e32 v31, v97
	v_mov_b32_e32 v32, v98
	v_add_f64 v[83:84], v[83:84], -v[99:100]
.LBB77_280:
	s_or_b64 exec, exec, s[2:3]
	v_cmp_eq_u32_e32 vcc, 31, v127
	s_waitcnt vmcnt(0)
	s_barrier
	s_and_saveexec_b64 s[4:5], vcc
	s_cbranch_execz .LBB77_287
; %bb.281:
	ds_write2_b64 v0, v[25:26], v[27:28] offset1:1
	ds_write2_b64 v125, v[21:22], v[23:24] offset0:64 offset1:65
	ds_write2_b64 v125, v[17:18], v[19:20] offset0:66 offset1:67
	buffer_load_dword v13, off, s[20:23], 0 ; 4-byte Folded Reload
	buffer_load_dword v14, off, s[20:23], 0 offset:4 ; 4-byte Folded Reload
	buffer_load_dword v15, off, s[20:23], 0 offset:8 ; 4-byte Folded Reload
	;; [unrolled: 1-line block ×3, first 2 shown]
	s_waitcnt vmcnt(0)
	ds_write2_b64 v125, v[13:14], v[15:16] offset0:68 offset1:69
	ds_write2_b64 v125, v[9:10], v[11:12] offset0:70 offset1:71
	;; [unrolled: 1-line block ×5, first 2 shown]
	ds_read2_b64 v[97:100], v0 offset1:1
	s_waitcnt lgkmcnt(0)
	v_cmp_neq_f64_e32 vcc, 0, v[97:98]
	v_cmp_neq_f64_e64 s[2:3], 0, v[99:100]
	s_or_b64 s[2:3], vcc, s[2:3]
	s_and_b64 exec, exec, s[2:3]
	s_cbranch_execz .LBB77_287
; %bb.282:
	v_cmp_ngt_f64_e64 s[2:3], |v[97:98]|, |v[99:100]|
                                        ; implicit-def: $vgpr101_vgpr102
	s_and_saveexec_b64 s[6:7], s[2:3]
	s_xor_b64 s[2:3], exec, s[6:7]
                                        ; implicit-def: $vgpr103_vgpr104
	s_cbranch_execz .LBB77_284
; %bb.283:
	v_div_scale_f64 v[101:102], s[6:7], v[99:100], v[99:100], v[97:98]
	v_rcp_f64_e32 v[103:104], v[101:102]
	v_fma_f64 v[105:106], -v[101:102], v[103:104], 1.0
	v_fma_f64 v[103:104], v[103:104], v[105:106], v[103:104]
	v_div_scale_f64 v[105:106], vcc, v[97:98], v[99:100], v[97:98]
	v_fma_f64 v[107:108], -v[101:102], v[103:104], 1.0
	v_fma_f64 v[103:104], v[103:104], v[107:108], v[103:104]
	v_mul_f64 v[107:108], v[105:106], v[103:104]
	v_fma_f64 v[101:102], -v[101:102], v[107:108], v[105:106]
	v_div_fmas_f64 v[101:102], v[101:102], v[103:104], v[107:108]
	v_div_fixup_f64 v[101:102], v[101:102], v[99:100], v[97:98]
	v_fma_f64 v[97:98], v[97:98], v[101:102], v[99:100]
	v_div_scale_f64 v[99:100], s[6:7], v[97:98], v[97:98], 1.0
	v_div_scale_f64 v[107:108], vcc, 1.0, v[97:98], 1.0
	v_rcp_f64_e32 v[103:104], v[99:100]
	v_fma_f64 v[105:106], -v[99:100], v[103:104], 1.0
	v_fma_f64 v[103:104], v[103:104], v[105:106], v[103:104]
	v_fma_f64 v[105:106], -v[99:100], v[103:104], 1.0
	v_fma_f64 v[103:104], v[103:104], v[105:106], v[103:104]
	v_mul_f64 v[105:106], v[107:108], v[103:104]
	v_fma_f64 v[99:100], -v[99:100], v[105:106], v[107:108]
	v_div_fmas_f64 v[99:100], v[99:100], v[103:104], v[105:106]
	v_div_fixup_f64 v[103:104], v[99:100], v[97:98], 1.0
                                        ; implicit-def: $vgpr97_vgpr98
	v_mul_f64 v[101:102], v[101:102], v[103:104]
	v_xor_b32_e32 v104, 0x80000000, v104
.LBB77_284:
	s_andn2_saveexec_b64 s[2:3], s[2:3]
	s_cbranch_execz .LBB77_286
; %bb.285:
	v_div_scale_f64 v[101:102], s[6:7], v[97:98], v[97:98], v[99:100]
	v_rcp_f64_e32 v[103:104], v[101:102]
	v_fma_f64 v[105:106], -v[101:102], v[103:104], 1.0
	v_fma_f64 v[103:104], v[103:104], v[105:106], v[103:104]
	v_div_scale_f64 v[105:106], vcc, v[99:100], v[97:98], v[99:100]
	v_fma_f64 v[107:108], -v[101:102], v[103:104], 1.0
	v_fma_f64 v[103:104], v[103:104], v[107:108], v[103:104]
	v_mul_f64 v[107:108], v[105:106], v[103:104]
	v_fma_f64 v[101:102], -v[101:102], v[107:108], v[105:106]
	v_div_fmas_f64 v[101:102], v[101:102], v[103:104], v[107:108]
	v_div_fixup_f64 v[103:104], v[101:102], v[97:98], v[99:100]
	v_fma_f64 v[97:98], v[99:100], v[103:104], v[97:98]
	v_div_scale_f64 v[99:100], s[6:7], v[97:98], v[97:98], 1.0
	v_div_scale_f64 v[107:108], vcc, 1.0, v[97:98], 1.0
	v_rcp_f64_e32 v[101:102], v[99:100]
	v_fma_f64 v[105:106], -v[99:100], v[101:102], 1.0
	v_fma_f64 v[101:102], v[101:102], v[105:106], v[101:102]
	v_fma_f64 v[105:106], -v[99:100], v[101:102], 1.0
	v_fma_f64 v[101:102], v[101:102], v[105:106], v[101:102]
	v_mul_f64 v[105:106], v[107:108], v[101:102]
	v_fma_f64 v[99:100], -v[99:100], v[105:106], v[107:108]
	v_div_fmas_f64 v[99:100], v[99:100], v[101:102], v[105:106]
	v_div_fixup_f64 v[101:102], v[99:100], v[97:98], 1.0
	v_mul_f64 v[103:104], v[103:104], -v[101:102]
.LBB77_286:
	s_or_b64 exec, exec, s[2:3]
	ds_write2_b64 v0, v[101:102], v[103:104] offset1:1
.LBB77_287:
	s_or_b64 exec, exec, s[4:5]
	s_waitcnt lgkmcnt(0)
	s_barrier
	ds_read2_b64 v[13:16], v0 offset1:1
	v_cmp_lt_u32_e32 vcc, 31, v127
	s_waitcnt lgkmcnt(0)
	buffer_store_dword v13, off, s[20:23], 0 offset:1052 ; 4-byte Folded Spill
	s_nop 0
	buffer_store_dword v14, off, s[20:23], 0 offset:1056 ; 4-byte Folded Spill
	buffer_store_dword v15, off, s[20:23], 0 offset:1060 ; 4-byte Folded Spill
	;; [unrolled: 1-line block ×3, first 2 shown]
	s_and_saveexec_b64 s[2:3], vcc
	s_cbranch_execz .LBB77_289
; %bb.288:
	buffer_load_dword v13, off, s[20:23], 0 offset:1052 ; 4-byte Folded Reload
	buffer_load_dword v14, off, s[20:23], 0 offset:1056 ; 4-byte Folded Reload
	buffer_load_dword v15, off, s[20:23], 0 offset:1060 ; 4-byte Folded Reload
	buffer_load_dword v16, off, s[20:23], 0 offset:1064 ; 4-byte Folded Reload
	ds_read2_b64 v[99:102], v125 offset0:64 offset1:65
	s_waitcnt vmcnt(2)
	v_mul_f64 v[97:98], v[13:14], v[27:28]
	s_waitcnt vmcnt(0)
	v_mul_f64 v[27:28], v[15:16], v[27:28]
	v_fma_f64 v[97:98], v[15:16], v[25:26], v[97:98]
	v_fma_f64 v[25:26], v[13:14], v[25:26], -v[27:28]
	s_waitcnt lgkmcnt(0)
	v_mul_f64 v[27:28], v[101:102], v[97:98]
	v_fma_f64 v[27:28], v[99:100], v[25:26], -v[27:28]
	v_mul_f64 v[99:100], v[99:100], v[97:98]
	v_add_f64 v[21:22], v[21:22], -v[27:28]
	v_fma_f64 v[99:100], v[101:102], v[25:26], v[99:100]
	v_add_f64 v[23:24], v[23:24], -v[99:100]
	ds_read2_b64 v[99:102], v125 offset0:66 offset1:67
	s_waitcnt lgkmcnt(0)
	v_mul_f64 v[27:28], v[101:102], v[97:98]
	v_fma_f64 v[27:28], v[99:100], v[25:26], -v[27:28]
	v_mul_f64 v[99:100], v[99:100], v[97:98]
	v_add_f64 v[17:18], v[17:18], -v[27:28]
	v_fma_f64 v[99:100], v[101:102], v[25:26], v[99:100]
	v_add_f64 v[19:20], v[19:20], -v[99:100]
	ds_read2_b64 v[99:102], v125 offset0:68 offset1:69
	buffer_load_dword v13, off, s[20:23], 0 ; 4-byte Folded Reload
	buffer_load_dword v14, off, s[20:23], 0 offset:4 ; 4-byte Folded Reload
	buffer_load_dword v15, off, s[20:23], 0 offset:8 ; 4-byte Folded Reload
	;; [unrolled: 1-line block ×3, first 2 shown]
	s_waitcnt lgkmcnt(0)
	v_mul_f64 v[27:28], v[101:102], v[97:98]
	v_fma_f64 v[27:28], v[99:100], v[25:26], -v[27:28]
	v_mul_f64 v[99:100], v[99:100], v[97:98]
	v_fma_f64 v[99:100], v[101:102], v[25:26], v[99:100]
	s_waitcnt vmcnt(2)
	v_add_f64 v[13:14], v[13:14], -v[27:28]
	s_waitcnt vmcnt(0)
	v_add_f64 v[15:16], v[15:16], -v[99:100]
	buffer_store_dword v13, off, s[20:23], 0 ; 4-byte Folded Spill
	s_nop 0
	buffer_store_dword v14, off, s[20:23], 0 offset:4 ; 4-byte Folded Spill
	buffer_store_dword v15, off, s[20:23], 0 offset:8 ; 4-byte Folded Spill
	;; [unrolled: 1-line block ×3, first 2 shown]
	ds_read2_b64 v[99:102], v125 offset0:70 offset1:71
	s_waitcnt lgkmcnt(0)
	v_mul_f64 v[27:28], v[101:102], v[97:98]
	v_fma_f64 v[27:28], v[99:100], v[25:26], -v[27:28]
	v_mul_f64 v[99:100], v[99:100], v[97:98]
	v_add_f64 v[9:10], v[9:10], -v[27:28]
	v_fma_f64 v[99:100], v[101:102], v[25:26], v[99:100]
	v_add_f64 v[11:12], v[11:12], -v[99:100]
	ds_read2_b64 v[99:102], v125 offset0:72 offset1:73
	s_waitcnt lgkmcnt(0)
	v_mul_f64 v[27:28], v[101:102], v[97:98]
	v_fma_f64 v[27:28], v[99:100], v[25:26], -v[27:28]
	v_mul_f64 v[99:100], v[99:100], v[97:98]
	v_add_f64 v[5:6], v[5:6], -v[27:28]
	v_fma_f64 v[99:100], v[101:102], v[25:26], v[99:100]
	v_add_f64 v[7:8], v[7:8], -v[99:100]
	;; [unrolled: 8-line block ×3, first 2 shown]
	ds_read2_b64 v[99:102], v125 offset0:76 offset1:77
	s_waitcnt lgkmcnt(0)
	v_mul_f64 v[27:28], v[101:102], v[97:98]
	v_fma_f64 v[27:28], v[99:100], v[25:26], -v[27:28]
	v_mul_f64 v[99:100], v[99:100], v[97:98]
	v_add_f64 v[81:82], v[81:82], -v[27:28]
	v_fma_f64 v[99:100], v[101:102], v[25:26], v[99:100]
	v_mov_b32_e32 v27, v97
	v_mov_b32_e32 v28, v98
	v_add_f64 v[83:84], v[83:84], -v[99:100]
.LBB77_289:
	s_or_b64 exec, exec, s[2:3]
	v_cmp_eq_u32_e32 vcc, 32, v127
	s_waitcnt vmcnt(0)
	s_barrier
	s_and_saveexec_b64 s[4:5], vcc
	s_cbranch_execz .LBB77_296
; %bb.290:
	ds_write2_b64 v0, v[21:22], v[23:24] offset1:1
	ds_write2_b64 v125, v[17:18], v[19:20] offset0:66 offset1:67
	buffer_load_dword v13, off, s[20:23], 0 ; 4-byte Folded Reload
	buffer_load_dword v14, off, s[20:23], 0 offset:4 ; 4-byte Folded Reload
	buffer_load_dword v15, off, s[20:23], 0 offset:8 ; 4-byte Folded Reload
	;; [unrolled: 1-line block ×3, first 2 shown]
	s_waitcnt vmcnt(0)
	ds_write2_b64 v125, v[13:14], v[15:16] offset0:68 offset1:69
	ds_write2_b64 v125, v[9:10], v[11:12] offset0:70 offset1:71
	;; [unrolled: 1-line block ×5, first 2 shown]
	ds_read2_b64 v[97:100], v0 offset1:1
	s_waitcnt lgkmcnt(0)
	v_cmp_neq_f64_e32 vcc, 0, v[97:98]
	v_cmp_neq_f64_e64 s[2:3], 0, v[99:100]
	s_or_b64 s[2:3], vcc, s[2:3]
	s_and_b64 exec, exec, s[2:3]
	s_cbranch_execz .LBB77_296
; %bb.291:
	v_cmp_ngt_f64_e64 s[2:3], |v[97:98]|, |v[99:100]|
                                        ; implicit-def: $vgpr101_vgpr102
	s_and_saveexec_b64 s[6:7], s[2:3]
	s_xor_b64 s[2:3], exec, s[6:7]
                                        ; implicit-def: $vgpr103_vgpr104
	s_cbranch_execz .LBB77_293
; %bb.292:
	v_div_scale_f64 v[101:102], s[6:7], v[99:100], v[99:100], v[97:98]
	v_rcp_f64_e32 v[103:104], v[101:102]
	v_fma_f64 v[105:106], -v[101:102], v[103:104], 1.0
	v_fma_f64 v[103:104], v[103:104], v[105:106], v[103:104]
	v_div_scale_f64 v[105:106], vcc, v[97:98], v[99:100], v[97:98]
	v_fma_f64 v[107:108], -v[101:102], v[103:104], 1.0
	v_fma_f64 v[103:104], v[103:104], v[107:108], v[103:104]
	v_mul_f64 v[107:108], v[105:106], v[103:104]
	v_fma_f64 v[101:102], -v[101:102], v[107:108], v[105:106]
	v_div_fmas_f64 v[101:102], v[101:102], v[103:104], v[107:108]
	v_div_fixup_f64 v[101:102], v[101:102], v[99:100], v[97:98]
	v_fma_f64 v[97:98], v[97:98], v[101:102], v[99:100]
	v_div_scale_f64 v[99:100], s[6:7], v[97:98], v[97:98], 1.0
	v_div_scale_f64 v[107:108], vcc, 1.0, v[97:98], 1.0
	v_rcp_f64_e32 v[103:104], v[99:100]
	v_fma_f64 v[105:106], -v[99:100], v[103:104], 1.0
	v_fma_f64 v[103:104], v[103:104], v[105:106], v[103:104]
	v_fma_f64 v[105:106], -v[99:100], v[103:104], 1.0
	v_fma_f64 v[103:104], v[103:104], v[105:106], v[103:104]
	v_mul_f64 v[105:106], v[107:108], v[103:104]
	v_fma_f64 v[99:100], -v[99:100], v[105:106], v[107:108]
	v_div_fmas_f64 v[99:100], v[99:100], v[103:104], v[105:106]
	v_div_fixup_f64 v[103:104], v[99:100], v[97:98], 1.0
                                        ; implicit-def: $vgpr97_vgpr98
	v_mul_f64 v[101:102], v[101:102], v[103:104]
	v_xor_b32_e32 v104, 0x80000000, v104
.LBB77_293:
	s_andn2_saveexec_b64 s[2:3], s[2:3]
	s_cbranch_execz .LBB77_295
; %bb.294:
	v_div_scale_f64 v[101:102], s[6:7], v[97:98], v[97:98], v[99:100]
	v_rcp_f64_e32 v[103:104], v[101:102]
	v_fma_f64 v[105:106], -v[101:102], v[103:104], 1.0
	v_fma_f64 v[103:104], v[103:104], v[105:106], v[103:104]
	v_div_scale_f64 v[105:106], vcc, v[99:100], v[97:98], v[99:100]
	v_fma_f64 v[107:108], -v[101:102], v[103:104], 1.0
	v_fma_f64 v[103:104], v[103:104], v[107:108], v[103:104]
	v_mul_f64 v[107:108], v[105:106], v[103:104]
	v_fma_f64 v[101:102], -v[101:102], v[107:108], v[105:106]
	v_div_fmas_f64 v[101:102], v[101:102], v[103:104], v[107:108]
	v_div_fixup_f64 v[103:104], v[101:102], v[97:98], v[99:100]
	v_fma_f64 v[97:98], v[99:100], v[103:104], v[97:98]
	v_div_scale_f64 v[99:100], s[6:7], v[97:98], v[97:98], 1.0
	v_div_scale_f64 v[107:108], vcc, 1.0, v[97:98], 1.0
	v_rcp_f64_e32 v[101:102], v[99:100]
	v_fma_f64 v[105:106], -v[99:100], v[101:102], 1.0
	v_fma_f64 v[101:102], v[101:102], v[105:106], v[101:102]
	v_fma_f64 v[105:106], -v[99:100], v[101:102], 1.0
	v_fma_f64 v[101:102], v[101:102], v[105:106], v[101:102]
	v_mul_f64 v[105:106], v[107:108], v[101:102]
	v_fma_f64 v[99:100], -v[99:100], v[105:106], v[107:108]
	v_div_fmas_f64 v[99:100], v[99:100], v[101:102], v[105:106]
	v_div_fixup_f64 v[101:102], v[99:100], v[97:98], 1.0
	v_mul_f64 v[103:104], v[103:104], -v[101:102]
.LBB77_295:
	s_or_b64 exec, exec, s[2:3]
	ds_write2_b64 v0, v[101:102], v[103:104] offset1:1
.LBB77_296:
	s_or_b64 exec, exec, s[4:5]
	s_waitcnt lgkmcnt(0)
	s_barrier
	ds_read2_b64 v[13:16], v0 offset1:1
	v_cmp_lt_u32_e32 vcc, 32, v127
	s_waitcnt lgkmcnt(0)
	buffer_store_dword v13, off, s[20:23], 0 offset:1068 ; 4-byte Folded Spill
	s_nop 0
	buffer_store_dword v14, off, s[20:23], 0 offset:1072 ; 4-byte Folded Spill
	buffer_store_dword v15, off, s[20:23], 0 offset:1076 ; 4-byte Folded Spill
	;; [unrolled: 1-line block ×3, first 2 shown]
	s_and_saveexec_b64 s[2:3], vcc
	s_cbranch_execz .LBB77_298
; %bb.297:
	buffer_load_dword v13, off, s[20:23], 0 offset:1068 ; 4-byte Folded Reload
	buffer_load_dword v14, off, s[20:23], 0 offset:1072 ; 4-byte Folded Reload
	;; [unrolled: 1-line block ×4, first 2 shown]
	ds_read2_b64 v[99:102], v125 offset0:66 offset1:67
	s_waitcnt vmcnt(2)
	v_mul_f64 v[97:98], v[13:14], v[23:24]
	s_waitcnt vmcnt(0)
	v_mul_f64 v[23:24], v[15:16], v[23:24]
	v_fma_f64 v[97:98], v[15:16], v[21:22], v[97:98]
	v_fma_f64 v[21:22], v[13:14], v[21:22], -v[23:24]
	s_waitcnt lgkmcnt(0)
	v_mul_f64 v[23:24], v[101:102], v[97:98]
	v_fma_f64 v[23:24], v[99:100], v[21:22], -v[23:24]
	v_mul_f64 v[99:100], v[99:100], v[97:98]
	v_add_f64 v[17:18], v[17:18], -v[23:24]
	v_fma_f64 v[99:100], v[101:102], v[21:22], v[99:100]
	v_add_f64 v[19:20], v[19:20], -v[99:100]
	ds_read2_b64 v[99:102], v125 offset0:68 offset1:69
	buffer_load_dword v13, off, s[20:23], 0 ; 4-byte Folded Reload
	buffer_load_dword v14, off, s[20:23], 0 offset:4 ; 4-byte Folded Reload
	buffer_load_dword v15, off, s[20:23], 0 offset:8 ; 4-byte Folded Reload
	;; [unrolled: 1-line block ×3, first 2 shown]
	s_waitcnt lgkmcnt(0)
	v_mul_f64 v[23:24], v[101:102], v[97:98]
	v_fma_f64 v[23:24], v[99:100], v[21:22], -v[23:24]
	v_mul_f64 v[99:100], v[99:100], v[97:98]
	v_fma_f64 v[99:100], v[101:102], v[21:22], v[99:100]
	s_waitcnt vmcnt(2)
	v_add_f64 v[13:14], v[13:14], -v[23:24]
	s_waitcnt vmcnt(0)
	v_add_f64 v[15:16], v[15:16], -v[99:100]
	buffer_store_dword v13, off, s[20:23], 0 ; 4-byte Folded Spill
	s_nop 0
	buffer_store_dword v14, off, s[20:23], 0 offset:4 ; 4-byte Folded Spill
	buffer_store_dword v15, off, s[20:23], 0 offset:8 ; 4-byte Folded Spill
	;; [unrolled: 1-line block ×3, first 2 shown]
	ds_read2_b64 v[99:102], v125 offset0:70 offset1:71
	s_waitcnt lgkmcnt(0)
	v_mul_f64 v[23:24], v[101:102], v[97:98]
	v_fma_f64 v[23:24], v[99:100], v[21:22], -v[23:24]
	v_mul_f64 v[99:100], v[99:100], v[97:98]
	v_add_f64 v[9:10], v[9:10], -v[23:24]
	v_fma_f64 v[99:100], v[101:102], v[21:22], v[99:100]
	v_add_f64 v[11:12], v[11:12], -v[99:100]
	ds_read2_b64 v[99:102], v125 offset0:72 offset1:73
	s_waitcnt lgkmcnt(0)
	v_mul_f64 v[23:24], v[101:102], v[97:98]
	v_fma_f64 v[23:24], v[99:100], v[21:22], -v[23:24]
	v_mul_f64 v[99:100], v[99:100], v[97:98]
	v_add_f64 v[5:6], v[5:6], -v[23:24]
	v_fma_f64 v[99:100], v[101:102], v[21:22], v[99:100]
	v_add_f64 v[7:8], v[7:8], -v[99:100]
	;; [unrolled: 8-line block ×3, first 2 shown]
	ds_read2_b64 v[99:102], v125 offset0:76 offset1:77
	s_waitcnt lgkmcnt(0)
	v_mul_f64 v[23:24], v[101:102], v[97:98]
	v_fma_f64 v[23:24], v[99:100], v[21:22], -v[23:24]
	v_mul_f64 v[99:100], v[99:100], v[97:98]
	v_add_f64 v[81:82], v[81:82], -v[23:24]
	v_fma_f64 v[99:100], v[101:102], v[21:22], v[99:100]
	v_mov_b32_e32 v23, v97
	v_mov_b32_e32 v24, v98
	v_add_f64 v[83:84], v[83:84], -v[99:100]
.LBB77_298:
	s_or_b64 exec, exec, s[2:3]
	v_cmp_eq_u32_e32 vcc, 33, v127
	s_waitcnt vmcnt(0)
	s_barrier
	s_and_saveexec_b64 s[4:5], vcc
	s_cbranch_execz .LBB77_305
; %bb.299:
	ds_write2_b64 v0, v[17:18], v[19:20] offset1:1
	buffer_load_dword v13, off, s[20:23], 0 ; 4-byte Folded Reload
	buffer_load_dword v14, off, s[20:23], 0 offset:4 ; 4-byte Folded Reload
	buffer_load_dword v15, off, s[20:23], 0 offset:8 ; 4-byte Folded Reload
	;; [unrolled: 1-line block ×3, first 2 shown]
	s_waitcnt vmcnt(0)
	ds_write2_b64 v125, v[13:14], v[15:16] offset0:68 offset1:69
	ds_write2_b64 v125, v[9:10], v[11:12] offset0:70 offset1:71
	;; [unrolled: 1-line block ×5, first 2 shown]
	ds_read2_b64 v[97:100], v0 offset1:1
	s_waitcnt lgkmcnt(0)
	v_cmp_neq_f64_e32 vcc, 0, v[97:98]
	v_cmp_neq_f64_e64 s[2:3], 0, v[99:100]
	s_or_b64 s[2:3], vcc, s[2:3]
	s_and_b64 exec, exec, s[2:3]
	s_cbranch_execz .LBB77_305
; %bb.300:
	v_cmp_ngt_f64_e64 s[2:3], |v[97:98]|, |v[99:100]|
                                        ; implicit-def: $vgpr101_vgpr102
	s_and_saveexec_b64 s[6:7], s[2:3]
	s_xor_b64 s[2:3], exec, s[6:7]
                                        ; implicit-def: $vgpr103_vgpr104
	s_cbranch_execz .LBB77_302
; %bb.301:
	v_div_scale_f64 v[101:102], s[6:7], v[99:100], v[99:100], v[97:98]
	v_rcp_f64_e32 v[103:104], v[101:102]
	v_fma_f64 v[105:106], -v[101:102], v[103:104], 1.0
	v_fma_f64 v[103:104], v[103:104], v[105:106], v[103:104]
	v_div_scale_f64 v[105:106], vcc, v[97:98], v[99:100], v[97:98]
	v_fma_f64 v[107:108], -v[101:102], v[103:104], 1.0
	v_fma_f64 v[103:104], v[103:104], v[107:108], v[103:104]
	v_mul_f64 v[107:108], v[105:106], v[103:104]
	v_fma_f64 v[101:102], -v[101:102], v[107:108], v[105:106]
	v_div_fmas_f64 v[101:102], v[101:102], v[103:104], v[107:108]
	v_div_fixup_f64 v[101:102], v[101:102], v[99:100], v[97:98]
	v_fma_f64 v[97:98], v[97:98], v[101:102], v[99:100]
	v_div_scale_f64 v[99:100], s[6:7], v[97:98], v[97:98], 1.0
	v_div_scale_f64 v[107:108], vcc, 1.0, v[97:98], 1.0
	v_rcp_f64_e32 v[103:104], v[99:100]
	v_fma_f64 v[105:106], -v[99:100], v[103:104], 1.0
	v_fma_f64 v[103:104], v[103:104], v[105:106], v[103:104]
	v_fma_f64 v[105:106], -v[99:100], v[103:104], 1.0
	v_fma_f64 v[103:104], v[103:104], v[105:106], v[103:104]
	v_mul_f64 v[105:106], v[107:108], v[103:104]
	v_fma_f64 v[99:100], -v[99:100], v[105:106], v[107:108]
	v_div_fmas_f64 v[99:100], v[99:100], v[103:104], v[105:106]
	v_div_fixup_f64 v[103:104], v[99:100], v[97:98], 1.0
                                        ; implicit-def: $vgpr97_vgpr98
	v_mul_f64 v[101:102], v[101:102], v[103:104]
	v_xor_b32_e32 v104, 0x80000000, v104
.LBB77_302:
	s_andn2_saveexec_b64 s[2:3], s[2:3]
	s_cbranch_execz .LBB77_304
; %bb.303:
	v_div_scale_f64 v[101:102], s[6:7], v[97:98], v[97:98], v[99:100]
	v_rcp_f64_e32 v[103:104], v[101:102]
	v_fma_f64 v[105:106], -v[101:102], v[103:104], 1.0
	v_fma_f64 v[103:104], v[103:104], v[105:106], v[103:104]
	v_div_scale_f64 v[105:106], vcc, v[99:100], v[97:98], v[99:100]
	v_fma_f64 v[107:108], -v[101:102], v[103:104], 1.0
	v_fma_f64 v[103:104], v[103:104], v[107:108], v[103:104]
	v_mul_f64 v[107:108], v[105:106], v[103:104]
	v_fma_f64 v[101:102], -v[101:102], v[107:108], v[105:106]
	v_div_fmas_f64 v[101:102], v[101:102], v[103:104], v[107:108]
	v_div_fixup_f64 v[103:104], v[101:102], v[97:98], v[99:100]
	v_fma_f64 v[97:98], v[99:100], v[103:104], v[97:98]
	v_div_scale_f64 v[99:100], s[6:7], v[97:98], v[97:98], 1.0
	v_div_scale_f64 v[107:108], vcc, 1.0, v[97:98], 1.0
	v_rcp_f64_e32 v[101:102], v[99:100]
	v_fma_f64 v[105:106], -v[99:100], v[101:102], 1.0
	v_fma_f64 v[101:102], v[101:102], v[105:106], v[101:102]
	v_fma_f64 v[105:106], -v[99:100], v[101:102], 1.0
	v_fma_f64 v[101:102], v[101:102], v[105:106], v[101:102]
	v_mul_f64 v[105:106], v[107:108], v[101:102]
	v_fma_f64 v[99:100], -v[99:100], v[105:106], v[107:108]
	v_div_fmas_f64 v[99:100], v[99:100], v[101:102], v[105:106]
	v_div_fixup_f64 v[101:102], v[99:100], v[97:98], 1.0
	v_mul_f64 v[103:104], v[103:104], -v[101:102]
.LBB77_304:
	s_or_b64 exec, exec, s[2:3]
	ds_write2_b64 v0, v[101:102], v[103:104] offset1:1
.LBB77_305:
	s_or_b64 exec, exec, s[4:5]
	s_waitcnt lgkmcnt(0)
	s_barrier
	ds_read2_b64 v[13:16], v0 offset1:1
	v_cmp_lt_u32_e32 vcc, 33, v127
	s_waitcnt lgkmcnt(0)
	buffer_store_dword v13, off, s[20:23], 0 offset:1084 ; 4-byte Folded Spill
	s_nop 0
	buffer_store_dword v14, off, s[20:23], 0 offset:1088 ; 4-byte Folded Spill
	buffer_store_dword v15, off, s[20:23], 0 offset:1092 ; 4-byte Folded Spill
	;; [unrolled: 1-line block ×3, first 2 shown]
	s_and_saveexec_b64 s[2:3], vcc
	s_cbranch_execz .LBB77_307
; %bb.306:
	buffer_load_dword v13, off, s[20:23], 0 offset:1084 ; 4-byte Folded Reload
	buffer_load_dword v14, off, s[20:23], 0 offset:1088 ; 4-byte Folded Reload
	;; [unrolled: 1-line block ×4, first 2 shown]
	s_waitcnt vmcnt(2)
	v_mul_f64 v[97:98], v[13:14], v[19:20]
	s_waitcnt vmcnt(0)
	v_mul_f64 v[19:20], v[15:16], v[19:20]
	v_fma_f64 v[101:102], v[15:16], v[17:18], v[97:98]
	ds_read2_b64 v[97:100], v125 offset0:68 offset1:69
	v_fma_f64 v[17:18], v[13:14], v[17:18], -v[19:20]
	buffer_load_dword v13, off, s[20:23], 0 ; 4-byte Folded Reload
	buffer_load_dword v14, off, s[20:23], 0 offset:4 ; 4-byte Folded Reload
	buffer_load_dword v15, off, s[20:23], 0 offset:8 ; 4-byte Folded Reload
	;; [unrolled: 1-line block ×3, first 2 shown]
	s_waitcnt lgkmcnt(0)
	v_mul_f64 v[19:20], v[99:100], v[101:102]
	v_fma_f64 v[19:20], v[97:98], v[17:18], -v[19:20]
	v_mul_f64 v[97:98], v[97:98], v[101:102]
	v_fma_f64 v[97:98], v[99:100], v[17:18], v[97:98]
	s_waitcnt vmcnt(2)
	v_add_f64 v[13:14], v[13:14], -v[19:20]
	s_waitcnt vmcnt(0)
	v_add_f64 v[15:16], v[15:16], -v[97:98]
	buffer_store_dword v13, off, s[20:23], 0 ; 4-byte Folded Spill
	s_nop 0
	buffer_store_dword v14, off, s[20:23], 0 offset:4 ; 4-byte Folded Spill
	buffer_store_dword v15, off, s[20:23], 0 offset:8 ; 4-byte Folded Spill
	;; [unrolled: 1-line block ×3, first 2 shown]
	ds_read2_b64 v[97:100], v125 offset0:70 offset1:71
	s_waitcnt lgkmcnt(0)
	v_mul_f64 v[19:20], v[99:100], v[101:102]
	v_fma_f64 v[19:20], v[97:98], v[17:18], -v[19:20]
	v_mul_f64 v[97:98], v[97:98], v[101:102]
	v_add_f64 v[9:10], v[9:10], -v[19:20]
	v_fma_f64 v[97:98], v[99:100], v[17:18], v[97:98]
	v_add_f64 v[11:12], v[11:12], -v[97:98]
	ds_read2_b64 v[97:100], v125 offset0:72 offset1:73
	s_waitcnt lgkmcnt(0)
	v_mul_f64 v[19:20], v[99:100], v[101:102]
	v_fma_f64 v[19:20], v[97:98], v[17:18], -v[19:20]
	v_mul_f64 v[97:98], v[97:98], v[101:102]
	v_add_f64 v[5:6], v[5:6], -v[19:20]
	v_fma_f64 v[97:98], v[99:100], v[17:18], v[97:98]
	v_add_f64 v[7:8], v[7:8], -v[97:98]
	;; [unrolled: 8-line block ×3, first 2 shown]
	ds_read2_b64 v[97:100], v125 offset0:76 offset1:77
	s_waitcnt lgkmcnt(0)
	v_mul_f64 v[19:20], v[99:100], v[101:102]
	v_fma_f64 v[19:20], v[97:98], v[17:18], -v[19:20]
	v_mul_f64 v[97:98], v[97:98], v[101:102]
	v_add_f64 v[81:82], v[81:82], -v[19:20]
	v_fma_f64 v[97:98], v[99:100], v[17:18], v[97:98]
	v_mov_b32_e32 v19, v101
	v_mov_b32_e32 v20, v102
	v_add_f64 v[83:84], v[83:84], -v[97:98]
.LBB77_307:
	s_or_b64 exec, exec, s[2:3]
	v_cmp_eq_u32_e32 vcc, 34, v127
	s_waitcnt vmcnt(0)
	s_barrier
	s_and_saveexec_b64 s[4:5], vcc
	s_cbranch_execz .LBB77_314
; %bb.308:
	buffer_load_dword v13, off, s[20:23], 0 ; 4-byte Folded Reload
	buffer_load_dword v14, off, s[20:23], 0 offset:4 ; 4-byte Folded Reload
	buffer_load_dword v15, off, s[20:23], 0 offset:8 ; 4-byte Folded Reload
	buffer_load_dword v16, off, s[20:23], 0 offset:12 ; 4-byte Folded Reload
	s_waitcnt vmcnt(0)
	ds_write2_b64 v0, v[13:14], v[15:16] offset1:1
	ds_write2_b64 v125, v[9:10], v[11:12] offset0:70 offset1:71
	ds_write2_b64 v125, v[5:6], v[7:8] offset0:72 offset1:73
	;; [unrolled: 1-line block ×4, first 2 shown]
	ds_read2_b64 v[97:100], v0 offset1:1
	s_waitcnt lgkmcnt(0)
	v_cmp_neq_f64_e32 vcc, 0, v[97:98]
	v_cmp_neq_f64_e64 s[2:3], 0, v[99:100]
	s_or_b64 s[2:3], vcc, s[2:3]
	s_and_b64 exec, exec, s[2:3]
	s_cbranch_execz .LBB77_314
; %bb.309:
	v_cmp_ngt_f64_e64 s[2:3], |v[97:98]|, |v[99:100]|
                                        ; implicit-def: $vgpr101_vgpr102
	s_and_saveexec_b64 s[6:7], s[2:3]
	s_xor_b64 s[2:3], exec, s[6:7]
                                        ; implicit-def: $vgpr103_vgpr104
	s_cbranch_execz .LBB77_311
; %bb.310:
	v_div_scale_f64 v[101:102], s[6:7], v[99:100], v[99:100], v[97:98]
	v_rcp_f64_e32 v[103:104], v[101:102]
	v_fma_f64 v[105:106], -v[101:102], v[103:104], 1.0
	v_fma_f64 v[103:104], v[103:104], v[105:106], v[103:104]
	v_div_scale_f64 v[105:106], vcc, v[97:98], v[99:100], v[97:98]
	v_fma_f64 v[107:108], -v[101:102], v[103:104], 1.0
	v_fma_f64 v[103:104], v[103:104], v[107:108], v[103:104]
	v_mul_f64 v[107:108], v[105:106], v[103:104]
	v_fma_f64 v[101:102], -v[101:102], v[107:108], v[105:106]
	v_div_fmas_f64 v[101:102], v[101:102], v[103:104], v[107:108]
	v_div_fixup_f64 v[101:102], v[101:102], v[99:100], v[97:98]
	v_fma_f64 v[97:98], v[97:98], v[101:102], v[99:100]
	v_div_scale_f64 v[99:100], s[6:7], v[97:98], v[97:98], 1.0
	v_div_scale_f64 v[107:108], vcc, 1.0, v[97:98], 1.0
	v_rcp_f64_e32 v[103:104], v[99:100]
	v_fma_f64 v[105:106], -v[99:100], v[103:104], 1.0
	v_fma_f64 v[103:104], v[103:104], v[105:106], v[103:104]
	v_fma_f64 v[105:106], -v[99:100], v[103:104], 1.0
	v_fma_f64 v[103:104], v[103:104], v[105:106], v[103:104]
	v_mul_f64 v[105:106], v[107:108], v[103:104]
	v_fma_f64 v[99:100], -v[99:100], v[105:106], v[107:108]
	v_div_fmas_f64 v[99:100], v[99:100], v[103:104], v[105:106]
	v_div_fixup_f64 v[103:104], v[99:100], v[97:98], 1.0
                                        ; implicit-def: $vgpr97_vgpr98
	v_mul_f64 v[101:102], v[101:102], v[103:104]
	v_xor_b32_e32 v104, 0x80000000, v104
.LBB77_311:
	s_andn2_saveexec_b64 s[2:3], s[2:3]
	s_cbranch_execz .LBB77_313
; %bb.312:
	v_div_scale_f64 v[101:102], s[6:7], v[97:98], v[97:98], v[99:100]
	v_rcp_f64_e32 v[103:104], v[101:102]
	v_fma_f64 v[105:106], -v[101:102], v[103:104], 1.0
	v_fma_f64 v[103:104], v[103:104], v[105:106], v[103:104]
	v_div_scale_f64 v[105:106], vcc, v[99:100], v[97:98], v[99:100]
	v_fma_f64 v[107:108], -v[101:102], v[103:104], 1.0
	v_fma_f64 v[103:104], v[103:104], v[107:108], v[103:104]
	v_mul_f64 v[107:108], v[105:106], v[103:104]
	v_fma_f64 v[101:102], -v[101:102], v[107:108], v[105:106]
	v_div_fmas_f64 v[101:102], v[101:102], v[103:104], v[107:108]
	v_div_fixup_f64 v[103:104], v[101:102], v[97:98], v[99:100]
	v_fma_f64 v[97:98], v[99:100], v[103:104], v[97:98]
	v_div_scale_f64 v[99:100], s[6:7], v[97:98], v[97:98], 1.0
	v_div_scale_f64 v[107:108], vcc, 1.0, v[97:98], 1.0
	v_rcp_f64_e32 v[101:102], v[99:100]
	v_fma_f64 v[105:106], -v[99:100], v[101:102], 1.0
	v_fma_f64 v[101:102], v[101:102], v[105:106], v[101:102]
	v_fma_f64 v[105:106], -v[99:100], v[101:102], 1.0
	v_fma_f64 v[101:102], v[101:102], v[105:106], v[101:102]
	v_mul_f64 v[105:106], v[107:108], v[101:102]
	v_fma_f64 v[99:100], -v[99:100], v[105:106], v[107:108]
	v_div_fmas_f64 v[99:100], v[99:100], v[101:102], v[105:106]
	v_div_fixup_f64 v[101:102], v[99:100], v[97:98], 1.0
	v_mul_f64 v[103:104], v[103:104], -v[101:102]
.LBB77_313:
	s_or_b64 exec, exec, s[2:3]
	ds_write2_b64 v0, v[101:102], v[103:104] offset1:1
.LBB77_314:
	s_or_b64 exec, exec, s[4:5]
	s_waitcnt lgkmcnt(0)
	s_barrier
	ds_read2_b64 v[13:16], v0 offset1:1
	v_cmp_lt_u32_e32 vcc, 34, v127
	s_waitcnt lgkmcnt(0)
	buffer_store_dword v13, off, s[20:23], 0 offset:1100 ; 4-byte Folded Spill
	s_nop 0
	buffer_store_dword v14, off, s[20:23], 0 offset:1104 ; 4-byte Folded Spill
	buffer_store_dword v15, off, s[20:23], 0 offset:1108 ; 4-byte Folded Spill
	;; [unrolled: 1-line block ×3, first 2 shown]
	s_and_saveexec_b64 s[2:3], vcc
	s_cbranch_execz .LBB77_316
; %bb.315:
	buffer_load_dword v13, off, s[20:23], 0 ; 4-byte Folded Reload
	buffer_load_dword v14, off, s[20:23], 0 offset:4 ; 4-byte Folded Reload
	buffer_load_dword v15, off, s[20:23], 0 offset:8 ; 4-byte Folded Reload
	;; [unrolled: 1-line block ×7, first 2 shown]
	s_waitcnt vmcnt(2)
	v_mul_f64 v[97:98], v[103:104], v[15:16]
	s_waitcnt vmcnt(0)
	v_mul_f64 v[15:16], v[105:106], v[15:16]
	v_fma_f64 v[101:102], v[105:106], v[13:14], v[97:98]
	ds_read2_b64 v[97:100], v125 offset0:70 offset1:71
	v_fma_f64 v[13:14], v[103:104], v[13:14], -v[15:16]
	s_waitcnt lgkmcnt(0)
	v_mul_f64 v[15:16], v[99:100], v[101:102]
	v_fma_f64 v[15:16], v[97:98], v[13:14], -v[15:16]
	v_mul_f64 v[97:98], v[97:98], v[101:102]
	v_add_f64 v[9:10], v[9:10], -v[15:16]
	v_fma_f64 v[97:98], v[99:100], v[13:14], v[97:98]
	v_add_f64 v[11:12], v[11:12], -v[97:98]
	ds_read2_b64 v[97:100], v125 offset0:72 offset1:73
	s_waitcnt lgkmcnt(0)
	v_mul_f64 v[15:16], v[99:100], v[101:102]
	v_fma_f64 v[15:16], v[97:98], v[13:14], -v[15:16]
	v_mul_f64 v[97:98], v[97:98], v[101:102]
	v_add_f64 v[5:6], v[5:6], -v[15:16]
	v_fma_f64 v[97:98], v[99:100], v[13:14], v[97:98]
	v_add_f64 v[7:8], v[7:8], -v[97:98]
	ds_read2_b64 v[97:100], v125 offset0:74 offset1:75
	;; [unrolled: 8-line block ×3, first 2 shown]
	s_waitcnt lgkmcnt(0)
	v_mul_f64 v[15:16], v[99:100], v[101:102]
	v_fma_f64 v[15:16], v[97:98], v[13:14], -v[15:16]
	v_mul_f64 v[97:98], v[97:98], v[101:102]
	v_add_f64 v[81:82], v[81:82], -v[15:16]
	v_fma_f64 v[97:98], v[99:100], v[13:14], v[97:98]
	v_mov_b32_e32 v15, v101
	v_mov_b32_e32 v16, v102
	buffer_store_dword v13, off, s[20:23], 0 ; 4-byte Folded Spill
	s_nop 0
	buffer_store_dword v14, off, s[20:23], 0 offset:4 ; 4-byte Folded Spill
	buffer_store_dword v15, off, s[20:23], 0 offset:8 ; 4-byte Folded Spill
	;; [unrolled: 1-line block ×3, first 2 shown]
	v_add_f64 v[83:84], v[83:84], -v[97:98]
.LBB77_316:
	s_or_b64 exec, exec, s[2:3]
	v_cmp_eq_u32_e32 vcc, 35, v127
	s_waitcnt vmcnt(0)
	s_barrier
	s_and_saveexec_b64 s[4:5], vcc
	s_cbranch_execz .LBB77_323
; %bb.317:
	ds_write2_b64 v0, v[9:10], v[11:12] offset1:1
	ds_write2_b64 v125, v[5:6], v[7:8] offset0:72 offset1:73
	ds_write2_b64 v125, v[1:2], v[3:4] offset0:74 offset1:75
	;; [unrolled: 1-line block ×3, first 2 shown]
	ds_read2_b64 v[97:100], v0 offset1:1
	s_waitcnt lgkmcnt(0)
	v_cmp_neq_f64_e32 vcc, 0, v[97:98]
	v_cmp_neq_f64_e64 s[2:3], 0, v[99:100]
	s_or_b64 s[2:3], vcc, s[2:3]
	s_and_b64 exec, exec, s[2:3]
	s_cbranch_execz .LBB77_323
; %bb.318:
	v_cmp_ngt_f64_e64 s[2:3], |v[97:98]|, |v[99:100]|
                                        ; implicit-def: $vgpr101_vgpr102
	s_and_saveexec_b64 s[6:7], s[2:3]
	s_xor_b64 s[2:3], exec, s[6:7]
                                        ; implicit-def: $vgpr103_vgpr104
	s_cbranch_execz .LBB77_320
; %bb.319:
	v_div_scale_f64 v[101:102], s[6:7], v[99:100], v[99:100], v[97:98]
	v_rcp_f64_e32 v[103:104], v[101:102]
	v_fma_f64 v[105:106], -v[101:102], v[103:104], 1.0
	v_fma_f64 v[103:104], v[103:104], v[105:106], v[103:104]
	v_div_scale_f64 v[105:106], vcc, v[97:98], v[99:100], v[97:98]
	v_fma_f64 v[107:108], -v[101:102], v[103:104], 1.0
	v_fma_f64 v[103:104], v[103:104], v[107:108], v[103:104]
	v_mul_f64 v[107:108], v[105:106], v[103:104]
	v_fma_f64 v[101:102], -v[101:102], v[107:108], v[105:106]
	v_div_fmas_f64 v[101:102], v[101:102], v[103:104], v[107:108]
	v_div_fixup_f64 v[101:102], v[101:102], v[99:100], v[97:98]
	v_fma_f64 v[97:98], v[97:98], v[101:102], v[99:100]
	v_div_scale_f64 v[99:100], s[6:7], v[97:98], v[97:98], 1.0
	v_div_scale_f64 v[107:108], vcc, 1.0, v[97:98], 1.0
	v_rcp_f64_e32 v[103:104], v[99:100]
	v_fma_f64 v[105:106], -v[99:100], v[103:104], 1.0
	v_fma_f64 v[103:104], v[103:104], v[105:106], v[103:104]
	v_fma_f64 v[105:106], -v[99:100], v[103:104], 1.0
	v_fma_f64 v[103:104], v[103:104], v[105:106], v[103:104]
	v_mul_f64 v[105:106], v[107:108], v[103:104]
	v_fma_f64 v[99:100], -v[99:100], v[105:106], v[107:108]
	v_div_fmas_f64 v[99:100], v[99:100], v[103:104], v[105:106]
	v_div_fixup_f64 v[103:104], v[99:100], v[97:98], 1.0
                                        ; implicit-def: $vgpr97_vgpr98
	v_mul_f64 v[101:102], v[101:102], v[103:104]
	v_xor_b32_e32 v104, 0x80000000, v104
.LBB77_320:
	s_andn2_saveexec_b64 s[2:3], s[2:3]
	s_cbranch_execz .LBB77_322
; %bb.321:
	v_div_scale_f64 v[101:102], s[6:7], v[97:98], v[97:98], v[99:100]
	v_rcp_f64_e32 v[103:104], v[101:102]
	v_fma_f64 v[105:106], -v[101:102], v[103:104], 1.0
	v_fma_f64 v[103:104], v[103:104], v[105:106], v[103:104]
	v_div_scale_f64 v[105:106], vcc, v[99:100], v[97:98], v[99:100]
	v_fma_f64 v[107:108], -v[101:102], v[103:104], 1.0
	v_fma_f64 v[103:104], v[103:104], v[107:108], v[103:104]
	v_mul_f64 v[107:108], v[105:106], v[103:104]
	v_fma_f64 v[101:102], -v[101:102], v[107:108], v[105:106]
	v_div_fmas_f64 v[101:102], v[101:102], v[103:104], v[107:108]
	v_div_fixup_f64 v[103:104], v[101:102], v[97:98], v[99:100]
	v_fma_f64 v[97:98], v[99:100], v[103:104], v[97:98]
	v_div_scale_f64 v[99:100], s[6:7], v[97:98], v[97:98], 1.0
	v_div_scale_f64 v[107:108], vcc, 1.0, v[97:98], 1.0
	v_rcp_f64_e32 v[101:102], v[99:100]
	v_fma_f64 v[105:106], -v[99:100], v[101:102], 1.0
	v_fma_f64 v[101:102], v[101:102], v[105:106], v[101:102]
	v_fma_f64 v[105:106], -v[99:100], v[101:102], 1.0
	v_fma_f64 v[101:102], v[101:102], v[105:106], v[101:102]
	v_mul_f64 v[105:106], v[107:108], v[101:102]
	v_fma_f64 v[99:100], -v[99:100], v[105:106], v[107:108]
	v_div_fmas_f64 v[99:100], v[99:100], v[101:102], v[105:106]
	v_div_fixup_f64 v[101:102], v[99:100], v[97:98], 1.0
	v_mul_f64 v[103:104], v[103:104], -v[101:102]
.LBB77_322:
	s_or_b64 exec, exec, s[2:3]
	ds_write2_b64 v0, v[101:102], v[103:104] offset1:1
.LBB77_323:
	s_or_b64 exec, exec, s[4:5]
	s_waitcnt lgkmcnt(0)
	s_barrier
	ds_read2_b64 v[13:16], v0 offset1:1
	v_cmp_lt_u32_e32 vcc, 35, v127
	s_and_saveexec_b64 s[2:3], vcc
	s_cbranch_execz .LBB77_325
; %bb.324:
	s_waitcnt lgkmcnt(0)
	v_mul_f64 v[97:98], v[13:14], v[11:12]
	v_mul_f64 v[11:12], v[15:16], v[11:12]
	v_fma_f64 v[101:102], v[15:16], v[9:10], v[97:98]
	ds_read2_b64 v[97:100], v125 offset0:72 offset1:73
	v_fma_f64 v[9:10], v[13:14], v[9:10], -v[11:12]
	s_waitcnt lgkmcnt(0)
	v_mul_f64 v[11:12], v[99:100], v[101:102]
	v_fma_f64 v[11:12], v[97:98], v[9:10], -v[11:12]
	v_mul_f64 v[97:98], v[97:98], v[101:102]
	v_add_f64 v[5:6], v[5:6], -v[11:12]
	v_fma_f64 v[97:98], v[99:100], v[9:10], v[97:98]
	v_add_f64 v[7:8], v[7:8], -v[97:98]
	ds_read2_b64 v[97:100], v125 offset0:74 offset1:75
	s_waitcnt lgkmcnt(0)
	v_mul_f64 v[11:12], v[99:100], v[101:102]
	v_fma_f64 v[11:12], v[97:98], v[9:10], -v[11:12]
	v_mul_f64 v[97:98], v[97:98], v[101:102]
	v_add_f64 v[1:2], v[1:2], -v[11:12]
	v_fma_f64 v[97:98], v[99:100], v[9:10], v[97:98]
	v_add_f64 v[3:4], v[3:4], -v[97:98]
	ds_read2_b64 v[97:100], v125 offset0:76 offset1:77
	s_waitcnt lgkmcnt(0)
	v_mul_f64 v[11:12], v[99:100], v[101:102]
	v_fma_f64 v[11:12], v[97:98], v[9:10], -v[11:12]
	v_mul_f64 v[97:98], v[97:98], v[101:102]
	v_add_f64 v[81:82], v[81:82], -v[11:12]
	v_fma_f64 v[97:98], v[99:100], v[9:10], v[97:98]
	v_mov_b32_e32 v11, v101
	v_mov_b32_e32 v12, v102
	v_add_f64 v[83:84], v[83:84], -v[97:98]
.LBB77_325:
	s_or_b64 exec, exec, s[2:3]
	v_cmp_eq_u32_e32 vcc, 36, v127
	s_waitcnt lgkmcnt(0)
	s_barrier
	s_and_saveexec_b64 s[4:5], vcc
	s_cbranch_execz .LBB77_332
; %bb.326:
	ds_write2_b64 v0, v[5:6], v[7:8] offset1:1
	ds_write2_b64 v125, v[1:2], v[3:4] offset0:74 offset1:75
	ds_write2_b64 v125, v[81:82], v[83:84] offset0:76 offset1:77
	ds_read2_b64 v[97:100], v0 offset1:1
	s_waitcnt lgkmcnt(0)
	v_cmp_neq_f64_e32 vcc, 0, v[97:98]
	v_cmp_neq_f64_e64 s[2:3], 0, v[99:100]
	s_or_b64 s[2:3], vcc, s[2:3]
	s_and_b64 exec, exec, s[2:3]
	s_cbranch_execz .LBB77_332
; %bb.327:
	v_cmp_ngt_f64_e64 s[2:3], |v[97:98]|, |v[99:100]|
                                        ; implicit-def: $vgpr101_vgpr102
	s_and_saveexec_b64 s[6:7], s[2:3]
	s_xor_b64 s[2:3], exec, s[6:7]
                                        ; implicit-def: $vgpr103_vgpr104
	s_cbranch_execz .LBB77_329
; %bb.328:
	v_div_scale_f64 v[101:102], s[6:7], v[99:100], v[99:100], v[97:98]
	v_rcp_f64_e32 v[103:104], v[101:102]
	v_fma_f64 v[105:106], -v[101:102], v[103:104], 1.0
	v_fma_f64 v[103:104], v[103:104], v[105:106], v[103:104]
	v_div_scale_f64 v[105:106], vcc, v[97:98], v[99:100], v[97:98]
	v_fma_f64 v[107:108], -v[101:102], v[103:104], 1.0
	v_fma_f64 v[103:104], v[103:104], v[107:108], v[103:104]
	v_mul_f64 v[107:108], v[105:106], v[103:104]
	v_fma_f64 v[101:102], -v[101:102], v[107:108], v[105:106]
	v_div_fmas_f64 v[101:102], v[101:102], v[103:104], v[107:108]
	v_div_fixup_f64 v[101:102], v[101:102], v[99:100], v[97:98]
	v_fma_f64 v[97:98], v[97:98], v[101:102], v[99:100]
	v_div_scale_f64 v[99:100], s[6:7], v[97:98], v[97:98], 1.0
	v_div_scale_f64 v[107:108], vcc, 1.0, v[97:98], 1.0
	v_rcp_f64_e32 v[103:104], v[99:100]
	v_fma_f64 v[105:106], -v[99:100], v[103:104], 1.0
	v_fma_f64 v[103:104], v[103:104], v[105:106], v[103:104]
	v_fma_f64 v[105:106], -v[99:100], v[103:104], 1.0
	v_fma_f64 v[103:104], v[103:104], v[105:106], v[103:104]
	v_mul_f64 v[105:106], v[107:108], v[103:104]
	v_fma_f64 v[99:100], -v[99:100], v[105:106], v[107:108]
	v_div_fmas_f64 v[99:100], v[99:100], v[103:104], v[105:106]
	v_div_fixup_f64 v[103:104], v[99:100], v[97:98], 1.0
                                        ; implicit-def: $vgpr97_vgpr98
	v_mul_f64 v[101:102], v[101:102], v[103:104]
	v_xor_b32_e32 v104, 0x80000000, v104
.LBB77_329:
	s_andn2_saveexec_b64 s[2:3], s[2:3]
	s_cbranch_execz .LBB77_331
; %bb.330:
	v_div_scale_f64 v[101:102], s[6:7], v[97:98], v[97:98], v[99:100]
	v_rcp_f64_e32 v[103:104], v[101:102]
	v_fma_f64 v[105:106], -v[101:102], v[103:104], 1.0
	v_fma_f64 v[103:104], v[103:104], v[105:106], v[103:104]
	v_div_scale_f64 v[105:106], vcc, v[99:100], v[97:98], v[99:100]
	v_fma_f64 v[107:108], -v[101:102], v[103:104], 1.0
	v_fma_f64 v[103:104], v[103:104], v[107:108], v[103:104]
	v_mul_f64 v[107:108], v[105:106], v[103:104]
	v_fma_f64 v[101:102], -v[101:102], v[107:108], v[105:106]
	v_div_fmas_f64 v[101:102], v[101:102], v[103:104], v[107:108]
	v_div_fixup_f64 v[103:104], v[101:102], v[97:98], v[99:100]
	v_fma_f64 v[97:98], v[99:100], v[103:104], v[97:98]
	v_div_scale_f64 v[99:100], s[6:7], v[97:98], v[97:98], 1.0
	v_div_scale_f64 v[107:108], vcc, 1.0, v[97:98], 1.0
	v_rcp_f64_e32 v[101:102], v[99:100]
	v_fma_f64 v[105:106], -v[99:100], v[101:102], 1.0
	v_fma_f64 v[101:102], v[101:102], v[105:106], v[101:102]
	v_fma_f64 v[105:106], -v[99:100], v[101:102], 1.0
	v_fma_f64 v[101:102], v[101:102], v[105:106], v[101:102]
	v_mul_f64 v[105:106], v[107:108], v[101:102]
	v_fma_f64 v[99:100], -v[99:100], v[105:106], v[107:108]
	v_div_fmas_f64 v[99:100], v[99:100], v[101:102], v[105:106]
	v_div_fixup_f64 v[101:102], v[99:100], v[97:98], 1.0
	v_mul_f64 v[103:104], v[103:104], -v[101:102]
.LBB77_331:
	s_or_b64 exec, exec, s[2:3]
	ds_write2_b64 v0, v[101:102], v[103:104] offset1:1
.LBB77_332:
	s_or_b64 exec, exec, s[4:5]
	s_waitcnt lgkmcnt(0)
	s_barrier
	ds_read2_b64 v[113:116], v0 offset1:1
	v_cmp_lt_u32_e32 vcc, 36, v127
	s_and_saveexec_b64 s[2:3], vcc
	s_cbranch_execz .LBB77_334
; %bb.333:
	s_waitcnt lgkmcnt(0)
	v_mul_f64 v[97:98], v[113:114], v[7:8]
	v_mul_f64 v[7:8], v[115:116], v[7:8]
	v_fma_f64 v[105:106], v[115:116], v[5:6], v[97:98]
	ds_read2_b64 v[97:100], v125 offset0:74 offset1:75
	v_fma_f64 v[5:6], v[113:114], v[5:6], -v[7:8]
	s_waitcnt lgkmcnt(0)
	v_mul_f64 v[7:8], v[99:100], v[105:106]
	v_fma_f64 v[7:8], v[97:98], v[5:6], -v[7:8]
	v_mul_f64 v[97:98], v[97:98], v[105:106]
	v_add_f64 v[1:2], v[1:2], -v[7:8]
	v_fma_f64 v[97:98], v[99:100], v[5:6], v[97:98]
	v_add_f64 v[3:4], v[3:4], -v[97:98]
	ds_read2_b64 v[97:100], v125 offset0:76 offset1:77
	s_waitcnt lgkmcnt(0)
	v_mul_f64 v[7:8], v[99:100], v[105:106]
	v_fma_f64 v[7:8], v[97:98], v[5:6], -v[7:8]
	v_mul_f64 v[97:98], v[97:98], v[105:106]
	v_add_f64 v[81:82], v[81:82], -v[7:8]
	v_fma_f64 v[97:98], v[99:100], v[5:6], v[97:98]
	v_mov_b32_e32 v7, v105
	v_mov_b32_e32 v8, v106
	v_add_f64 v[83:84], v[83:84], -v[97:98]
.LBB77_334:
	s_or_b64 exec, exec, s[2:3]
	v_cmp_eq_u32_e32 vcc, 37, v127
	s_waitcnt lgkmcnt(0)
	s_barrier
	s_and_saveexec_b64 s[4:5], vcc
	s_cbranch_execz .LBB77_341
; %bb.335:
	ds_write2_b64 v0, v[1:2], v[3:4] offset1:1
	ds_write2_b64 v125, v[81:82], v[83:84] offset0:76 offset1:77
	ds_read2_b64 v[97:100], v0 offset1:1
	s_waitcnt lgkmcnt(0)
	v_cmp_neq_f64_e32 vcc, 0, v[97:98]
	v_cmp_neq_f64_e64 s[2:3], 0, v[99:100]
	s_or_b64 s[2:3], vcc, s[2:3]
	s_and_b64 exec, exec, s[2:3]
	s_cbranch_execz .LBB77_341
; %bb.336:
	v_cmp_ngt_f64_e64 s[2:3], |v[97:98]|, |v[99:100]|
                                        ; implicit-def: $vgpr105_vgpr106
	s_and_saveexec_b64 s[6:7], s[2:3]
	s_xor_b64 s[2:3], exec, s[6:7]
                                        ; implicit-def: $vgpr107_vgpr108
	s_cbranch_execz .LBB77_338
; %bb.337:
	v_div_scale_f64 v[105:106], s[6:7], v[99:100], v[99:100], v[97:98]
	v_div_scale_f64 v[95:96], vcc, v[97:98], v[99:100], v[97:98]
	v_rcp_f64_e32 v[107:108], v[105:106]
	v_fma_f64 v[93:94], -v[105:106], v[107:108], 1.0
	v_fma_f64 v[93:94], v[107:108], v[93:94], v[107:108]
	v_fma_f64 v[107:108], -v[105:106], v[93:94], 1.0
	v_fma_f64 v[93:94], v[93:94], v[107:108], v[93:94]
	v_mul_f64 v[107:108], v[95:96], v[93:94]
	v_fma_f64 v[95:96], -v[105:106], v[107:108], v[95:96]
	v_div_fmas_f64 v[93:94], v[95:96], v[93:94], v[107:108]
	v_div_fixup_f64 v[93:94], v[93:94], v[99:100], v[97:98]
	v_fma_f64 v[95:96], v[97:98], v[93:94], v[99:100]
	v_div_scale_f64 v[97:98], s[6:7], v[95:96], v[95:96], 1.0
	v_div_scale_f64 v[107:108], vcc, 1.0, v[95:96], 1.0
	v_rcp_f64_e32 v[99:100], v[97:98]
	v_fma_f64 v[105:106], -v[97:98], v[99:100], 1.0
	v_fma_f64 v[99:100], v[99:100], v[105:106], v[99:100]
	v_fma_f64 v[105:106], -v[97:98], v[99:100], 1.0
	v_fma_f64 v[99:100], v[99:100], v[105:106], v[99:100]
	v_mul_f64 v[105:106], v[107:108], v[99:100]
	v_fma_f64 v[97:98], -v[97:98], v[105:106], v[107:108]
	v_div_fmas_f64 v[97:98], v[97:98], v[99:100], v[105:106]
	v_div_fixup_f64 v[107:108], v[97:98], v[95:96], 1.0
                                        ; implicit-def: $vgpr97_vgpr98
	v_mul_f64 v[105:106], v[93:94], v[107:108]
	buffer_load_dword v93, off, s[20:23], 0 offset:240 ; 4-byte Folded Reload
	buffer_load_dword v94, off, s[20:23], 0 offset:244 ; 4-byte Folded Reload
	;; [unrolled: 1-line block ×4, first 2 shown]
	v_xor_b32_e32 v108, 0x80000000, v108
.LBB77_338:
	s_andn2_saveexec_b64 s[2:3], s[2:3]
	s_cbranch_execz .LBB77_340
; %bb.339:
	s_waitcnt vmcnt(2)
	v_div_scale_f64 v[93:94], s[6:7], v[97:98], v[97:98], v[99:100]
	s_waitcnt vmcnt(0)
	v_rcp_f64_e32 v[95:96], v[93:94]
	v_fma_f64 v[105:106], -v[93:94], v[95:96], 1.0
	v_fma_f64 v[95:96], v[95:96], v[105:106], v[95:96]
	v_div_scale_f64 v[105:106], vcc, v[99:100], v[97:98], v[99:100]
	v_fma_f64 v[107:108], -v[93:94], v[95:96], 1.0
	v_fma_f64 v[95:96], v[95:96], v[107:108], v[95:96]
	v_mul_f64 v[107:108], v[105:106], v[95:96]
	v_fma_f64 v[93:94], -v[93:94], v[107:108], v[105:106]
	v_div_fmas_f64 v[93:94], v[93:94], v[95:96], v[107:108]
	v_div_fixup_f64 v[93:94], v[93:94], v[97:98], v[99:100]
	v_fma_f64 v[95:96], v[99:100], v[93:94], v[97:98]
	v_div_scale_f64 v[97:98], s[6:7], v[95:96], v[95:96], 1.0
	v_div_scale_f64 v[107:108], vcc, 1.0, v[95:96], 1.0
	v_rcp_f64_e32 v[99:100], v[97:98]
	v_fma_f64 v[105:106], -v[97:98], v[99:100], 1.0
	v_fma_f64 v[99:100], v[99:100], v[105:106], v[99:100]
	v_fma_f64 v[105:106], -v[97:98], v[99:100], 1.0
	v_fma_f64 v[99:100], v[99:100], v[105:106], v[99:100]
	v_mul_f64 v[105:106], v[107:108], v[99:100]
	v_fma_f64 v[97:98], -v[97:98], v[105:106], v[107:108]
	v_div_fmas_f64 v[97:98], v[97:98], v[99:100], v[105:106]
	v_div_fixup_f64 v[105:106], v[97:98], v[95:96], 1.0
	v_mul_f64 v[107:108], v[93:94], -v[105:106]
	buffer_load_dword v93, off, s[20:23], 0 offset:240 ; 4-byte Folded Reload
	buffer_load_dword v94, off, s[20:23], 0 offset:244 ; 4-byte Folded Reload
	;; [unrolled: 1-line block ×4, first 2 shown]
.LBB77_340:
	s_or_b64 exec, exec, s[2:3]
	ds_write2_b64 v0, v[105:106], v[107:108] offset1:1
.LBB77_341:
	s_or_b64 exec, exec, s[4:5]
	s_waitcnt vmcnt(0) lgkmcnt(0)
	s_barrier
	ds_read2_b64 v[97:100], v0 offset1:1
	v_cmp_lt_u32_e32 vcc, 37, v127
	s_and_saveexec_b64 s[2:3], vcc
	s_cbranch_execz .LBB77_343
; %bb.342:
	s_waitcnt lgkmcnt(0)
	v_mul_f64 v[93:94], v[97:98], v[3:4]
	v_mul_f64 v[3:4], v[99:100], v[3:4]
	ds_read2_b64 v[105:108], v125 offset0:76 offset1:77
	v_fma_f64 v[93:94], v[99:100], v[1:2], v[93:94]
	v_fma_f64 v[1:2], v[97:98], v[1:2], -v[3:4]
	s_waitcnt lgkmcnt(0)
	v_mul_f64 v[3:4], v[107:108], v[93:94]
	v_mul_f64 v[95:96], v[105:106], v[93:94]
	v_fma_f64 v[3:4], v[105:106], v[1:2], -v[3:4]
	v_fma_f64 v[95:96], v[107:108], v[1:2], v[95:96]
	v_add_f64 v[81:82], v[81:82], -v[3:4]
	v_mov_b32_e32 v3, v93
	v_add_f64 v[83:84], v[83:84], -v[95:96]
	v_mov_b32_e32 v4, v94
	buffer_load_dword v93, off, s[20:23], 0 offset:240 ; 4-byte Folded Reload
	buffer_load_dword v94, off, s[20:23], 0 offset:244 ; 4-byte Folded Reload
	;; [unrolled: 1-line block ×4, first 2 shown]
.LBB77_343:
	s_or_b64 exec, exec, s[2:3]
	v_cmp_eq_u32_e32 vcc, 38, v127
	s_waitcnt vmcnt(0) lgkmcnt(0)
	s_barrier
	s_and_saveexec_b64 s[4:5], vcc
	s_cbranch_execz .LBB77_350
; %bb.344:
	v_cmp_neq_f64_e32 vcc, 0, v[81:82]
	v_cmp_neq_f64_e64 s[2:3], 0, v[83:84]
	ds_write2_b64 v0, v[81:82], v[83:84] offset1:1
	s_or_b64 s[2:3], vcc, s[2:3]
	s_and_b64 exec, exec, s[2:3]
	s_cbranch_execz .LBB77_350
; %bb.345:
	v_cmp_ngt_f64_e64 s[2:3], |v[81:82]|, |v[83:84]|
                                        ; implicit-def: $vgpr105_vgpr106
	s_and_saveexec_b64 s[6:7], s[2:3]
	s_xor_b64 s[2:3], exec, s[6:7]
                                        ; implicit-def: $vgpr107_vgpr108
	s_cbranch_execz .LBB77_347
; %bb.346:
	v_div_scale_f64 v[93:94], s[6:7], v[83:84], v[83:84], v[81:82]
	v_mov_b32_e32 v101, v121
	v_mov_b32_e32 v102, v122
	;; [unrolled: 1-line block ×14, first 2 shown]
	v_rcp_f64_e32 v[95:96], v[93:94]
	v_mov_b32_e32 v3, v7
	v_mov_b32_e32 v4, v8
	;; [unrolled: 1-line block ×15, first 2 shown]
	v_fma_f64 v[105:106], -v[93:94], v[95:96], 1.0
	v_mov_b32_e32 v14, v18
	v_mov_b32_e32 v15, v19
	;; [unrolled: 1-line block ×7, first 2 shown]
	v_fma_f64 v[95:96], v[95:96], v[105:106], v[95:96]
	v_div_scale_f64 v[105:106], vcc, v[81:82], v[83:84], v[81:82]
	v_mov_b32_e32 v21, v25
	v_mov_b32_e32 v22, v26
	;; [unrolled: 1-line block ×5, first 2 shown]
	v_fma_f64 v[107:108], -v[93:94], v[95:96], 1.0
	v_mov_b32_e32 v26, v30
	v_mov_b32_e32 v27, v31
	;; [unrolled: 1-line block ×7, first 2 shown]
	v_fma_f64 v[95:96], v[95:96], v[107:108], v[95:96]
	v_mov_b32_e32 v33, v37
	v_mov_b32_e32 v34, v38
	;; [unrolled: 1-line block ×7, first 2 shown]
	v_mul_f64 v[107:108], v[105:106], v[95:96]
	v_mov_b32_e32 v40, v120
	v_mov_b32_e32 v120, v44
	;; [unrolled: 1-line block ×7, first 2 shown]
	v_fma_f64 v[93:94], -v[93:94], v[107:108], v[105:106]
	v_mov_b32_e32 v43, v47
	v_mov_b32_e32 v44, v48
	;; [unrolled: 1-line block ×7, first 2 shown]
	v_div_fmas_f64 v[93:94], v[93:94], v[95:96], v[107:108]
	v_mov_b32_e32 v50, v54
	v_mov_b32_e32 v51, v55
	;; [unrolled: 1-line block ×15, first 2 shown]
	v_div_fixup_f64 v[93:94], v[93:94], v[83:84], v[81:82]
	v_mov_b32_e32 v68, v64
	v_mov_b32_e32 v67, v63
	;; [unrolled: 1-line block ×7, first 2 shown]
	v_fma_f64 v[95:96], v[81:82], v[93:94], v[83:84]
	v_mov_b32_e32 v61, v57
	v_mov_b32_e32 v60, v56
	;; [unrolled: 1-line block ×7, first 2 shown]
	v_div_scale_f64 v[105:106], s[6:7], v[95:96], v[95:96], 1.0
	v_div_scale_f64 v[89:90], vcc, 1.0, v[95:96], 1.0
	v_mov_b32_e32 v54, v50
	v_mov_b32_e32 v53, v49
	;; [unrolled: 1-line block ×12, first 2 shown]
	v_rcp_f64_e32 v[107:108], v[105:106]
	v_mov_b32_e32 v43, v119
	v_mov_b32_e32 v44, v120
	;; [unrolled: 1-line block ×15, first 2 shown]
	v_fma_f64 v[125:126], -v[105:106], v[107:108], 1.0
	v_mov_b32_e32 v31, v27
	v_mov_b32_e32 v30, v26
	;; [unrolled: 1-line block ×7, first 2 shown]
	v_fma_f64 v[107:108], v[107:108], v[125:126], v[107:108]
	v_mov_b32_e32 v24, v20
	v_mov_b32_e32 v23, v19
	;; [unrolled: 1-line block ×7, first 2 shown]
	v_fma_f64 v[125:126], -v[105:106], v[107:108], 1.0
	v_mov_b32_e32 v17, v13
	v_mov_b32_e32 v13, v85
	;; [unrolled: 1-line block ×5, first 2 shown]
	v_fma_f64 v[91:92], v[107:108], v[125:126], v[107:108]
	v_mul_f64 v[107:108], v[89:90], v[91:92]
	v_fma_f64 v[89:90], -v[105:106], v[107:108], v[89:90]
	v_div_fmas_f64 v[89:90], v[89:90], v[91:92], v[107:108]
	v_div_fixup_f64 v[107:108], v[89:90], v[95:96], 1.0
	v_mov_b32_e32 v92, v12
	v_mov_b32_e32 v91, v11
	;; [unrolled: 1-line block ×7, first 2 shown]
	v_mul_f64 v[105:106], v[93:94], v[107:108]
	buffer_load_dword v93, off, s[20:23], 0 offset:240 ; 4-byte Folded Reload
	buffer_load_dword v94, off, s[20:23], 0 offset:244 ; 4-byte Folded Reload
	buffer_load_dword v95, off, s[20:23], 0 offset:248 ; 4-byte Folded Reload
	buffer_load_dword v96, off, s[20:23], 0 offset:252 ; 4-byte Folded Reload
	v_mov_b32_e32 v9, v5
	v_mov_b32_e32 v8, v4
	;; [unrolled: 1-line block ×17, first 2 shown]
	v_xor_b32_e32 v108, 0x80000000, v108
.LBB77_347:
	s_andn2_saveexec_b64 s[2:3], s[2:3]
	s_cbranch_execz .LBB77_349
; %bb.348:
	v_mov_b32_e32 v80, v16
	v_mov_b32_e32 v79, v15
	;; [unrolled: 1-line block ×8, first 2 shown]
	v_div_scale_f64 v[89:90], s[6:7], v[81:82], v[81:82], v[83:84]
	v_rcp_f64_e32 v[91:92], v[89:90]
	s_waitcnt vmcnt(2)
	v_fma_f64 v[93:94], -v[89:90], v[91:92], 1.0
	v_fma_f64 v[91:92], v[91:92], v[93:94], v[91:92]
	v_div_scale_f64 v[93:94], vcc, v[83:84], v[81:82], v[83:84]
	s_waitcnt vmcnt(0)
	v_fma_f64 v[95:96], -v[89:90], v[91:92], 1.0
	v_fma_f64 v[91:92], v[91:92], v[95:96], v[91:92]
	v_mul_f64 v[95:96], v[93:94], v[91:92]
	v_fma_f64 v[89:90], -v[89:90], v[95:96], v[93:94]
	v_div_fmas_f64 v[89:90], v[89:90], v[91:92], v[95:96]
	v_div_fixup_f64 v[89:90], v[89:90], v[81:82], v[83:84]
	v_fma_f64 v[91:92], v[83:84], v[89:90], v[81:82]
	v_div_scale_f64 v[93:94], s[6:7], v[91:92], v[91:92], 1.0
	v_div_scale_f64 v[107:108], vcc, 1.0, v[91:92], 1.0
	v_rcp_f64_e32 v[95:96], v[93:94]
	v_fma_f64 v[105:106], -v[93:94], v[95:96], 1.0
	v_fma_f64 v[95:96], v[95:96], v[105:106], v[95:96]
	v_fma_f64 v[105:106], -v[93:94], v[95:96], 1.0
	v_fma_f64 v[95:96], v[95:96], v[105:106], v[95:96]
	v_mul_f64 v[105:106], v[107:108], v[95:96]
	v_fma_f64 v[93:94], -v[93:94], v[105:106], v[107:108]
	v_div_fmas_f64 v[93:94], v[93:94], v[95:96], v[105:106]
	v_div_fixup_f64 v[105:106], v[93:94], v[91:92], 1.0
	buffer_load_dword v93, off, s[20:23], 0 offset:240 ; 4-byte Folded Reload
	buffer_load_dword v94, off, s[20:23], 0 offset:244 ; 4-byte Folded Reload
	buffer_load_dword v95, off, s[20:23], 0 offset:248 ; 4-byte Folded Reload
	buffer_load_dword v96, off, s[20:23], 0 offset:252 ; 4-byte Folded Reload
	v_mul_f64 v[107:108], v[89:90], -v[105:106]
	v_mov_b32_e32 v92, v16
	v_mov_b32_e32 v91, v15
	;; [unrolled: 1-line block ×8, first 2 shown]
.LBB77_349:
	s_or_b64 exec, exec, s[2:3]
	ds_write2_b64 v0, v[105:106], v[107:108] offset1:1
.LBB77_350:
	s_or_b64 exec, exec, s[4:5]
	s_waitcnt vmcnt(0) lgkmcnt(0)
	s_barrier
	ds_read2_b64 v[105:108], v0 offset1:1
	v_mov_b32_e32 v77, v81
	v_mov_b32_e32 v78, v82
	;; [unrolled: 1-line block ×4, first 2 shown]
	s_waitcnt lgkmcnt(0)
	s_barrier
	s_and_saveexec_b64 s[2:3], s[0:1]
	s_cbranch_execz .LBB77_353
; %bb.351:
	v_mov_b32_e32 v104, v16
	v_mov_b32_e32 v103, v15
	;; [unrolled: 1-line block ×4, first 2 shown]
	buffer_load_dword v13, off, s[20:23], 0 offset:604 ; 4-byte Folded Reload
	buffer_load_dword v14, off, s[20:23], 0 offset:608 ; 4-byte Folded Reload
	;; [unrolled: 1-line block ×4, first 2 shown]
	v_mov_b32_e32 v81, v89
	v_mov_b32_e32 v82, v90
	;; [unrolled: 1-line block ×4, first 2 shown]
	s_waitcnt vmcnt(2)
	v_cmp_eq_f64_e32 vcc, 0, v[13:14]
	s_waitcnt vmcnt(0)
	v_cmp_eq_f64_e64 s[0:1], 0, v[15:16]
	buffer_load_dword v13, off, s[20:23], 0 offset:620 ; 4-byte Folded Reload
	buffer_load_dword v14, off, s[20:23], 0 offset:624 ; 4-byte Folded Reload
	;; [unrolled: 1-line block ×4, first 2 shown]
	s_and_b64 s[4:5], vcc, s[0:1]
	v_cndmask_b32_e64 v89, 0, 1, s[4:5]
	s_waitcnt vmcnt(2)
	v_cmp_neq_f64_e32 vcc, 0, v[13:14]
	s_waitcnt vmcnt(0)
	v_cmp_neq_f64_e64 s[0:1], 0, v[15:16]
	buffer_load_dword v13, off, s[20:23], 0 offset:636 ; 4-byte Folded Reload
	buffer_load_dword v14, off, s[20:23], 0 offset:640 ; 4-byte Folded Reload
	;; [unrolled: 1-line block ×4, first 2 shown]
	s_or_b64 s[0:1], vcc, s[0:1]
	s_or_b64 vcc, s[0:1], s[4:5]
	v_cndmask_b32_e32 v89, 2, v89, vcc
	s_waitcnt vmcnt(2)
	v_cmp_eq_f64_e32 vcc, 0, v[13:14]
	s_waitcnt vmcnt(0)
	v_cmp_eq_f64_e64 s[0:1], 0, v[15:16]
	buffer_load_dword v13, off, s[20:23], 0 offset:652 ; 4-byte Folded Reload
	buffer_load_dword v14, off, s[20:23], 0 offset:656 ; 4-byte Folded Reload
	buffer_load_dword v15, off, s[20:23], 0 offset:660 ; 4-byte Folded Reload
	buffer_load_dword v16, off, s[20:23], 0 offset:664 ; 4-byte Folded Reload
	s_and_b64 s[0:1], vcc, s[0:1]
	v_cmp_eq_u32_e32 vcc, 0, v89
	s_and_b64 s[0:1], s[0:1], vcc
	v_cndmask_b32_e64 v89, v89, 3, s[0:1]
	s_waitcnt vmcnt(2)
	v_cmp_eq_f64_e32 vcc, 0, v[13:14]
	s_waitcnt vmcnt(0)
	v_cmp_eq_f64_e64 s[0:1], 0, v[15:16]
	buffer_load_dword v13, off, s[20:23], 0 offset:668 ; 4-byte Folded Reload
	buffer_load_dword v14, off, s[20:23], 0 offset:672 ; 4-byte Folded Reload
	buffer_load_dword v15, off, s[20:23], 0 offset:676 ; 4-byte Folded Reload
	buffer_load_dword v16, off, s[20:23], 0 offset:680 ; 4-byte Folded Reload
	s_and_b64 s[0:1], vcc, s[0:1]
	v_cmp_eq_u32_e32 vcc, 0, v89
	s_and_b64 s[0:1], s[0:1], vcc
	v_cndmask_b32_e64 v89, v89, 4, s[0:1]
	;; [unrolled: 12-line block ×14, first 2 shown]
	v_cmp_eq_f64_e32 vcc, 0, v[81:82]
	v_cmp_eq_f64_e64 s[0:1], 0, v[83:84]
	s_and_b64 s[0:1], vcc, s[0:1]
	v_cmp_eq_u32_e32 vcc, 0, v89
	s_and_b64 s[0:1], s[0:1], vcc
	v_cndmask_b32_e64 v89, v89, 17, s[0:1]
	s_waitcnt vmcnt(2)
	v_cmp_eq_f64_e32 vcc, 0, v[13:14]
	s_waitcnt vmcnt(0)
	v_cmp_eq_f64_e64 s[0:1], 0, v[15:16]
	buffer_load_dword v13, off, s[20:23], 0 offset:860 ; 4-byte Folded Reload
	buffer_load_dword v14, off, s[20:23], 0 offset:864 ; 4-byte Folded Reload
	buffer_load_dword v15, off, s[20:23], 0 offset:868 ; 4-byte Folded Reload
	buffer_load_dword v16, off, s[20:23], 0 offset:872 ; 4-byte Folded Reload
	s_and_b64 s[0:1], vcc, s[0:1]
	v_cmp_eq_u32_e32 vcc, 0, v89
	s_and_b64 s[0:1], s[0:1], vcc
	v_cndmask_b32_e64 v89, v89, 18, s[0:1]
	s_waitcnt vmcnt(2)
	v_cmp_eq_f64_e32 vcc, 0, v[13:14]
	s_waitcnt vmcnt(0)
	v_cmp_eq_f64_e64 s[0:1], 0, v[15:16]
	buffer_load_dword v13, off, s[20:23], 0 offset:48 ; 4-byte Folded Reload
	buffer_load_dword v14, off, s[20:23], 0 offset:52 ; 4-byte Folded Reload
	buffer_load_dword v15, off, s[20:23], 0 offset:56 ; 4-byte Folded Reload
	buffer_load_dword v16, off, s[20:23], 0 offset:60 ; 4-byte Folded Reload
	;; [unrolled: 12-line block ×7, first 2 shown]
	buffer_load_dword v85, off, s[20:23], 0 offset:1116 ; 4-byte Folded Reload
	buffer_load_dword v86, off, s[20:23], 0 offset:1120 ; 4-byte Folded Reload
	;; [unrolled: 1-line block ×4, first 2 shown]
	s_and_b64 s[0:1], vcc, s[0:1]
	v_cmp_eq_u32_e32 vcc, 0, v89
	s_and_b64 s[0:1], s[0:1], vcc
	v_cndmask_b32_e64 v89, v89, 24, s[0:1]
	s_waitcnt vmcnt(6)
	v_cmp_eq_f64_e32 vcc, 0, v[13:14]
	s_waitcnt vmcnt(4)
	v_cmp_eq_f64_e64 s[0:1], 0, v[15:16]
	buffer_load_dword v13, off, s[20:23], 0 offset:972 ; 4-byte Folded Reload
	buffer_load_dword v14, off, s[20:23], 0 offset:976 ; 4-byte Folded Reload
	;; [unrolled: 1-line block ×4, first 2 shown]
	s_and_b64 s[0:1], vcc, s[0:1]
	v_cmp_eq_u32_e32 vcc, 0, v89
	s_and_b64 s[0:1], s[0:1], vcc
	v_cndmask_b32_e64 v89, v89, 25, s[0:1]
	s_waitcnt vmcnt(6)
	v_cmp_eq_f64_e32 vcc, 0, v[85:86]
	s_waitcnt vmcnt(4)
	v_cmp_eq_f64_e64 s[0:1], 0, v[87:88]
	s_and_b64 s[0:1], vcc, s[0:1]
	v_cmp_eq_u32_e32 vcc, 0, v89
	s_and_b64 s[0:1], s[0:1], vcc
	v_cndmask_b32_e64 v89, v89, 26, s[0:1]
	s_waitcnt vmcnt(2)
	v_cmp_eq_f64_e32 vcc, 0, v[13:14]
	s_waitcnt vmcnt(0)
	v_cmp_eq_f64_e64 s[0:1], 0, v[15:16]
	buffer_load_dword v13, off, s[20:23], 0 offset:988 ; 4-byte Folded Reload
	buffer_load_dword v14, off, s[20:23], 0 offset:992 ; 4-byte Folded Reload
	buffer_load_dword v15, off, s[20:23], 0 offset:996 ; 4-byte Folded Reload
	buffer_load_dword v16, off, s[20:23], 0 offset:1000 ; 4-byte Folded Reload
	s_and_b64 s[0:1], vcc, s[0:1]
	v_cmp_eq_u32_e32 vcc, 0, v89
	s_and_b64 s[0:1], s[0:1], vcc
	v_cndmask_b32_e64 v89, v89, 27, s[0:1]
	s_waitcnt vmcnt(2)
	v_cmp_eq_f64_e32 vcc, 0, v[13:14]
	s_waitcnt vmcnt(0)
	v_cmp_eq_f64_e64 s[0:1], 0, v[15:16]
	buffer_load_dword v13, off, s[20:23], 0 offset:1004 ; 4-byte Folded Reload
	buffer_load_dword v14, off, s[20:23], 0 offset:1008 ; 4-byte Folded Reload
	buffer_load_dword v15, off, s[20:23], 0 offset:1012 ; 4-byte Folded Reload
	buffer_load_dword v16, off, s[20:23], 0 offset:1016 ; 4-byte Folded Reload
	;; [unrolled: 12-line block ×8, first 2 shown]
	buffer_load_dword v81, off, s[20:23], 0 offset:1132 ; 4-byte Folded Reload
	buffer_load_dword v82, off, s[20:23], 0 offset:1136 ; 4-byte Folded Reload
	s_and_b64 s[0:1], vcc, s[0:1]
	v_cmp_eq_u32_e32 vcc, 0, v89
	s_and_b64 s[0:1], s[0:1], vcc
	v_cndmask_b32_e64 v89, v89, 34, s[0:1]
	s_waitcnt vmcnt(4)
	v_cmp_eq_f64_e32 vcc, 0, v[13:14]
	s_waitcnt vmcnt(2)
	v_cmp_eq_f64_e64 s[0:1], 0, v[15:16]
	s_and_b64 s[0:1], vcc, s[0:1]
	v_cmp_eq_u32_e32 vcc, 0, v89
	s_and_b64 s[0:1], s[0:1], vcc
	v_cndmask_b32_e64 v89, v89, 35, s[0:1]
	v_cmp_eq_f64_e32 vcc, 0, v[101:102]
	v_cmp_eq_f64_e64 s[0:1], 0, v[103:104]
	s_and_b64 s[0:1], vcc, s[0:1]
	v_cmp_eq_u32_e32 vcc, 0, v89
	s_and_b64 s[0:1], s[0:1], vcc
	v_cndmask_b32_e64 v89, v89, 36, s[0:1]
	v_cmp_eq_f64_e32 vcc, 0, v[113:114]
	;; [unrolled: 6-line block ×4, first 2 shown]
	v_cmp_eq_f64_e64 s[0:1], 0, v[107:108]
	s_and_b64 s[0:1], vcc, s[0:1]
	v_cmp_eq_u32_e32 vcc, 0, v89
	s_and_b64 s[0:1], s[0:1], vcc
	v_cndmask_b32_e64 v99, v89, 39, s[0:1]
	s_waitcnt vmcnt(0)
	v_lshlrev_b64 v[89:90], 2, v[81:82]
	v_cmp_ne_u32_e64 s[0:1], 0, v99
	v_add_co_u32_e32 v97, vcc, s10, v89
	v_mov_b32_e32 v89, s11
	v_addc_co_u32_e32 v98, vcc, v89, v90, vcc
	global_load_dword v89, v[97:98], off
	s_waitcnt vmcnt(0)
	v_cmp_eq_u32_e32 vcc, 0, v89
	s_and_b64 s[0:1], vcc, s[0:1]
	s_and_b64 exec, exec, s[0:1]
	s_cbranch_execz .LBB77_353
; %bb.352:
	v_add_u32_e32 v89, s13, v99
	global_store_dword v[97:98], v89, off
.LBB77_353:
	s_or_b64 exec, exec, s[2:3]
	buffer_load_dword v13, off, s[20:23], 0 offset:588 ; 4-byte Folded Reload
	buffer_load_dword v14, off, s[20:23], 0 offset:592 ; 4-byte Folded Reload
	;; [unrolled: 1-line block ×6, first 2 shown]
	v_mul_f64 v[91:92], v[107:108], v[79:80]
	v_mul_f64 v[89:90], v[105:106], v[79:80]
	v_cmp_lt_u32_e32 vcc, 38, v127
	v_fma_f64 v[91:92], v[105:106], v[77:78], -v[91:92]
	v_fma_f64 v[89:90], v[107:108], v[77:78], v[89:90]
	v_cndmask_b32_e32 v98, v78, v92, vcc
	v_cndmask_b32_e32 v97, v77, v91, vcc
	;; [unrolled: 1-line block ×4, first 2 shown]
	s_waitcnt vmcnt(0)
	global_store_dwordx4 v[13:14], v[81:84], off
	buffer_load_dword v13, off, s[20:23], 0 offset:596 ; 4-byte Folded Reload
	s_nop 0
	buffer_load_dword v14, off, s[20:23], 0 offset:600 ; 4-byte Folded Reload
	buffer_load_dword v81, off, s[20:23], 0 offset:208 ; 4-byte Folded Reload
	;; [unrolled: 1-line block ×5, first 2 shown]
	s_waitcnt vmcnt(0)
	global_store_dwordx4 v[13:14], v[81:84], off
	buffer_load_dword v81, off, s[20:23], 0 offset:560 ; 4-byte Folded Reload
	s_nop 0
	buffer_load_dword v82, off, s[20:23], 0 offset:564 ; 4-byte Folded Reload
	buffer_load_dword v13, off, s[20:23], 0 offset:192 ; 4-byte Folded Reload
	buffer_load_dword v14, off, s[20:23], 0 offset:196 ; 4-byte Folded Reload
	buffer_load_dword v15, off, s[20:23], 0 offset:200 ; 4-byte Folded Reload
	buffer_load_dword v16, off, s[20:23], 0 offset:204 ; 4-byte Folded Reload
	s_waitcnt vmcnt(0)
	global_store_dwordx4 v[81:82], v[13:16], off
	buffer_load_dword v87, off, s[20:23], 0 offset:256 ; 4-byte Folded Reload
	buffer_load_dword v88, off, s[20:23], 0 offset:260 ; 4-byte Folded Reload
	s_nop 0
	buffer_load_dword v13, off, s[20:23], 0 offset:176 ; 4-byte Folded Reload
	buffer_load_dword v14, off, s[20:23], 0 offset:180 ; 4-byte Folded Reload
	buffer_load_dword v15, off, s[20:23], 0 offset:184 ; 4-byte Folded Reload
	buffer_load_dword v16, off, s[20:23], 0 offset:188 ; 4-byte Folded Reload
	s_waitcnt vmcnt(0)
	global_store_dwordx4 v[87:88], v[13:16], off
	buffer_load_dword v81, off, s[20:23], 0 offset:536 ; 4-byte Folded Reload
	buffer_load_dword v82, off, s[20:23], 0 offset:540 ; 4-byte Folded Reload
	s_nop 0
	buffer_load_dword v13, off, s[20:23], 0 offset:160 ; 4-byte Folded Reload
	buffer_load_dword v14, off, s[20:23], 0 offset:164 ; 4-byte Folded Reload
	buffer_load_dword v15, off, s[20:23], 0 offset:168 ; 4-byte Folded Reload
	buffer_load_dword v16, off, s[20:23], 0 offset:172 ; 4-byte Folded Reload
	;; [unrolled: 9-line block ×3, first 2 shown]
	s_waitcnt vmcnt(0)
	global_store_dwordx4 v[85:86], v[13:16], off
	buffer_load_dword v85, off, s[20:23], 0 offset:272 ; 4-byte Folded Reload
	s_nop 0
	buffer_load_dword v86, off, s[20:23], 0 offset:276 ; 4-byte Folded Reload
	buffer_load_dword v13, off, s[20:23], 0 offset:128 ; 4-byte Folded Reload
	buffer_load_dword v14, off, s[20:23], 0 offset:132 ; 4-byte Folded Reload
	buffer_load_dword v15, off, s[20:23], 0 offset:136 ; 4-byte Folded Reload
	buffer_load_dword v16, off, s[20:23], 0 offset:140 ; 4-byte Folded Reload
	s_waitcnt vmcnt(0)
	global_store_dwordx4 v[85:86], v[13:16], off
	buffer_load_dword v85, off, s[20:23], 0 offset:280 ; 4-byte Folded Reload
	s_nop 0
	buffer_load_dword v86, off, s[20:23], 0 offset:284 ; 4-byte Folded Reload
	buffer_load_dword v13, off, s[20:23], 0 offset:112 ; 4-byte Folded Reload
	buffer_load_dword v14, off, s[20:23], 0 offset:116 ; 4-byte Folded Reload
	buffer_load_dword v15, off, s[20:23], 0 offset:120 ; 4-byte Folded Reload
	buffer_load_dword v16, off, s[20:23], 0 offset:124 ; 4-byte Folded Reload
	;; [unrolled: 9-line block ×3, first 2 shown]
	s_waitcnt vmcnt(0)
	global_store_dwordx4 v[85:86], v[13:16], off
	buffer_load_dword v85, off, s[20:23], 0 offset:296 ; 4-byte Folded Reload
	s_nop 0
	buffer_load_dword v86, off, s[20:23], 0 offset:300 ; 4-byte Folded Reload
	s_waitcnt vmcnt(0)
	global_store_dwordx4 v[85:86], v[93:96], off
	buffer_load_dword v85, off, s[20:23], 0 offset:304 ; 4-byte Folded Reload
	s_nop 0
	buffer_load_dword v86, off, s[20:23], 0 offset:308 ; 4-byte Folded Reload
	buffer_load_dword v81, off, s[20:23], 0 offset:568 ; 4-byte Folded Reload
	buffer_load_dword v82, off, s[20:23], 0 offset:572 ; 4-byte Folded Reload
	buffer_load_dword v83, off, s[20:23], 0 offset:576 ; 4-byte Folded Reload
	buffer_load_dword v84, off, s[20:23], 0 offset:580 ; 4-byte Folded Reload
	s_waitcnt vmcnt(0)
	global_store_dwordx4 v[85:86], v[81:84], off
	buffer_load_dword v85, off, s[20:23], 0 offset:312 ; 4-byte Folded Reload
	s_nop 0
	buffer_load_dword v86, off, s[20:23], 0 offset:316 ; 4-byte Folded Reload
	s_waitcnt vmcnt(0)
	global_store_dwordx4 v[85:86], v[117:120], off
	buffer_load_dword v85, off, s[20:23], 0 offset:320 ; 4-byte Folded Reload
	s_nop 0
	buffer_load_dword v86, off, s[20:23], 0 offset:324 ; 4-byte Folded Reload
	buffer_load_dword v81, off, s[20:23], 0 offset:544 ; 4-byte Folded Reload
	;; [unrolled: 1-line block ×5, first 2 shown]
	s_waitcnt vmcnt(0)
	global_store_dwordx4 v[85:86], v[81:84], off
	buffer_load_dword v85, off, s[20:23], 0 offset:328 ; 4-byte Folded Reload
	s_nop 0
	buffer_load_dword v86, off, s[20:23], 0 offset:332 ; 4-byte Folded Reload
	s_waitcnt vmcnt(0)
	global_store_dwordx4 v[85:86], v[121:124], off
	buffer_load_dword v85, off, s[20:23], 0 offset:336 ; 4-byte Folded Reload
	s_nop 0
	buffer_load_dword v86, off, s[20:23], 0 offset:340 ; 4-byte Folded Reload
	;; [unrolled: 5-line block ×3, first 2 shown]
	buffer_load_dword v81, off, s[20:23], 0 offset:80 ; 4-byte Folded Reload
	buffer_load_dword v82, off, s[20:23], 0 offset:84 ; 4-byte Folded Reload
	buffer_load_dword v83, off, s[20:23], 0 offset:88 ; 4-byte Folded Reload
	buffer_load_dword v84, off, s[20:23], 0 offset:92 ; 4-byte Folded Reload
	s_waitcnt vmcnt(0)
	global_store_dwordx4 v[85:86], v[81:84], off
	buffer_load_dword v85, off, s[20:23], 0 offset:352 ; 4-byte Folded Reload
	s_nop 0
	buffer_load_dword v86, off, s[20:23], 0 offset:356 ; 4-byte Folded Reload
	buffer_load_dword v13, off, s[20:23], 0 offset:64 ; 4-byte Folded Reload
	buffer_load_dword v14, off, s[20:23], 0 offset:68 ; 4-byte Folded Reload
	buffer_load_dword v15, off, s[20:23], 0 offset:72 ; 4-byte Folded Reload
	buffer_load_dword v16, off, s[20:23], 0 offset:76 ; 4-byte Folded Reload
	s_waitcnt vmcnt(0)
	global_store_dwordx4 v[85:86], v[13:16], off
	buffer_load_dword v85, off, s[20:23], 0 offset:360 ; 4-byte Folded Reload
	s_nop 0
	buffer_load_dword v86, off, s[20:23], 0 offset:364 ; 4-byte Folded Reload
	;; [unrolled: 9-line block ×3, first 2 shown]
	buffer_load_dword v13, off, s[20:23], 0 offset:16 ; 4-byte Folded Reload
	buffer_load_dword v14, off, s[20:23], 0 offset:20 ; 4-byte Folded Reload
	;; [unrolled: 1-line block ×4, first 2 shown]
	s_waitcnt vmcnt(0)
	global_store_dwordx4 v[81:82], v[13:16], off
	buffer_load_dword v77, off, s[20:23], 0 offset:376 ; 4-byte Folded Reload
	buffer_load_dword v78, off, s[20:23], 0 offset:380 ; 4-byte Folded Reload
	s_waitcnt vmcnt(0)
	global_store_dwordx4 v[77:78], v[73:76], off
	buffer_load_dword v73, off, s[20:23], 0 offset:384 ; 4-byte Folded Reload
	s_nop 0
	buffer_load_dword v74, off, s[20:23], 0 offset:388 ; 4-byte Folded Reload
	s_waitcnt vmcnt(0)
	global_store_dwordx4 v[73:74], v[69:72], off
	buffer_load_dword v69, off, s[20:23], 0 offset:392 ; 4-byte Folded Reload
	s_nop 0
	;; [unrolled: 5-line block ×15, first 2 shown]
	buffer_load_dword v18, off, s[20:23], 0 offset:492 ; 4-byte Folded Reload
	buffer_load_dword v13, off, s[20:23], 0 ; 4-byte Folded Reload
	buffer_load_dword v14, off, s[20:23], 0 offset:4 ; 4-byte Folded Reload
	buffer_load_dword v15, off, s[20:23], 0 offset:8 ; 4-byte Folded Reload
	;; [unrolled: 1-line block ×3, first 2 shown]
	s_waitcnt vmcnt(0)
	global_store_dwordx4 v[17:18], v[13:16], off
	buffer_load_dword v13, off, s[20:23], 0 offset:496 ; 4-byte Folded Reload
	s_nop 0
	buffer_load_dword v14, off, s[20:23], 0 offset:500 ; 4-byte Folded Reload
	s_waitcnt vmcnt(0)
	global_store_dwordx4 v[13:14], v[9:12], off
	buffer_load_dword v9, off, s[20:23], 0 offset:504 ; 4-byte Folded Reload
	s_nop 0
	buffer_load_dword v10, off, s[20:23], 0 offset:508 ; 4-byte Folded Reload
	;; [unrolled: 5-line block ×4, first 2 shown]
	s_waitcnt vmcnt(0)
	global_store_dwordx4 v[0:1], v[97:100], off
.LBB77_354:
	s_endpgm
	.section	.rodata,"a",@progbits
	.p2align	6, 0x0
	.amdhsa_kernel _ZN9rocsolver6v33100L23getf2_npvt_small_kernelILi39E19rocblas_complex_numIdEiiPS3_EEvT1_T3_lS5_lPT2_S5_S5_
		.amdhsa_group_segment_fixed_size 0
		.amdhsa_private_segment_fixed_size 1144
		.amdhsa_kernarg_size 312
		.amdhsa_user_sgpr_count 6
		.amdhsa_user_sgpr_private_segment_buffer 1
		.amdhsa_user_sgpr_dispatch_ptr 0
		.amdhsa_user_sgpr_queue_ptr 0
		.amdhsa_user_sgpr_kernarg_segment_ptr 1
		.amdhsa_user_sgpr_dispatch_id 0
		.amdhsa_user_sgpr_flat_scratch_init 0
		.amdhsa_user_sgpr_private_segment_size 0
		.amdhsa_uses_dynamic_stack 0
		.amdhsa_system_sgpr_private_segment_wavefront_offset 1
		.amdhsa_system_sgpr_workgroup_id_x 1
		.amdhsa_system_sgpr_workgroup_id_y 1
		.amdhsa_system_sgpr_workgroup_id_z 0
		.amdhsa_system_sgpr_workgroup_info 0
		.amdhsa_system_vgpr_workitem_id 1
		.amdhsa_next_free_vgpr 128
		.amdhsa_next_free_sgpr 24
		.amdhsa_reserve_vcc 1
		.amdhsa_reserve_flat_scratch 0
		.amdhsa_float_round_mode_32 0
		.amdhsa_float_round_mode_16_64 0
		.amdhsa_float_denorm_mode_32 3
		.amdhsa_float_denorm_mode_16_64 3
		.amdhsa_dx10_clamp 1
		.amdhsa_ieee_mode 1
		.amdhsa_fp16_overflow 0
		.amdhsa_exception_fp_ieee_invalid_op 0
		.amdhsa_exception_fp_denorm_src 0
		.amdhsa_exception_fp_ieee_div_zero 0
		.amdhsa_exception_fp_ieee_overflow 0
		.amdhsa_exception_fp_ieee_underflow 0
		.amdhsa_exception_fp_ieee_inexact 0
		.amdhsa_exception_int_div_zero 0
	.end_amdhsa_kernel
	.section	.text._ZN9rocsolver6v33100L23getf2_npvt_small_kernelILi39E19rocblas_complex_numIdEiiPS3_EEvT1_T3_lS5_lPT2_S5_S5_,"axG",@progbits,_ZN9rocsolver6v33100L23getf2_npvt_small_kernelILi39E19rocblas_complex_numIdEiiPS3_EEvT1_T3_lS5_lPT2_S5_S5_,comdat
.Lfunc_end77:
	.size	_ZN9rocsolver6v33100L23getf2_npvt_small_kernelILi39E19rocblas_complex_numIdEiiPS3_EEvT1_T3_lS5_lPT2_S5_S5_, .Lfunc_end77-_ZN9rocsolver6v33100L23getf2_npvt_small_kernelILi39E19rocblas_complex_numIdEiiPS3_EEvT1_T3_lS5_lPT2_S5_S5_
                                        ; -- End function
	.set _ZN9rocsolver6v33100L23getf2_npvt_small_kernelILi39E19rocblas_complex_numIdEiiPS3_EEvT1_T3_lS5_lPT2_S5_S5_.num_vgpr, 128
	.set _ZN9rocsolver6v33100L23getf2_npvt_small_kernelILi39E19rocblas_complex_numIdEiiPS3_EEvT1_T3_lS5_lPT2_S5_S5_.num_agpr, 0
	.set _ZN9rocsolver6v33100L23getf2_npvt_small_kernelILi39E19rocblas_complex_numIdEiiPS3_EEvT1_T3_lS5_lPT2_S5_S5_.numbered_sgpr, 24
	.set _ZN9rocsolver6v33100L23getf2_npvt_small_kernelILi39E19rocblas_complex_numIdEiiPS3_EEvT1_T3_lS5_lPT2_S5_S5_.num_named_barrier, 0
	.set _ZN9rocsolver6v33100L23getf2_npvt_small_kernelILi39E19rocblas_complex_numIdEiiPS3_EEvT1_T3_lS5_lPT2_S5_S5_.private_seg_size, 1144
	.set _ZN9rocsolver6v33100L23getf2_npvt_small_kernelILi39E19rocblas_complex_numIdEiiPS3_EEvT1_T3_lS5_lPT2_S5_S5_.uses_vcc, 1
	.set _ZN9rocsolver6v33100L23getf2_npvt_small_kernelILi39E19rocblas_complex_numIdEiiPS3_EEvT1_T3_lS5_lPT2_S5_S5_.uses_flat_scratch, 0
	.set _ZN9rocsolver6v33100L23getf2_npvt_small_kernelILi39E19rocblas_complex_numIdEiiPS3_EEvT1_T3_lS5_lPT2_S5_S5_.has_dyn_sized_stack, 0
	.set _ZN9rocsolver6v33100L23getf2_npvt_small_kernelILi39E19rocblas_complex_numIdEiiPS3_EEvT1_T3_lS5_lPT2_S5_S5_.has_recursion, 0
	.set _ZN9rocsolver6v33100L23getf2_npvt_small_kernelILi39E19rocblas_complex_numIdEiiPS3_EEvT1_T3_lS5_lPT2_S5_S5_.has_indirect_call, 0
	.section	.AMDGPU.csdata,"",@progbits
; Kernel info:
; codeLenInByte = 102332
; TotalNumSgprs: 28
; NumVgprs: 128
; ScratchSize: 1144
; MemoryBound: 1
; FloatMode: 240
; IeeeMode: 1
; LDSByteSize: 0 bytes/workgroup (compile time only)
; SGPRBlocks: 3
; VGPRBlocks: 31
; NumSGPRsForWavesPerEU: 28
; NumVGPRsForWavesPerEU: 128
; Occupancy: 2
; WaveLimiterHint : 0
; COMPUTE_PGM_RSRC2:SCRATCH_EN: 1
; COMPUTE_PGM_RSRC2:USER_SGPR: 6
; COMPUTE_PGM_RSRC2:TRAP_HANDLER: 0
; COMPUTE_PGM_RSRC2:TGID_X_EN: 1
; COMPUTE_PGM_RSRC2:TGID_Y_EN: 1
; COMPUTE_PGM_RSRC2:TGID_Z_EN: 0
; COMPUTE_PGM_RSRC2:TIDIG_COMP_CNT: 1
	.section	.text._ZN9rocsolver6v33100L18getf2_small_kernelILi40E19rocblas_complex_numIdEiiPS3_EEvT1_T3_lS5_lPS5_llPT2_S5_S5_S7_l,"axG",@progbits,_ZN9rocsolver6v33100L18getf2_small_kernelILi40E19rocblas_complex_numIdEiiPS3_EEvT1_T3_lS5_lPS5_llPT2_S5_S5_S7_l,comdat
	.globl	_ZN9rocsolver6v33100L18getf2_small_kernelILi40E19rocblas_complex_numIdEiiPS3_EEvT1_T3_lS5_lPS5_llPT2_S5_S5_S7_l ; -- Begin function _ZN9rocsolver6v33100L18getf2_small_kernelILi40E19rocblas_complex_numIdEiiPS3_EEvT1_T3_lS5_lPS5_llPT2_S5_S5_S7_l
	.p2align	8
	.type	_ZN9rocsolver6v33100L18getf2_small_kernelILi40E19rocblas_complex_numIdEiiPS3_EEvT1_T3_lS5_lPS5_llPT2_S5_S5_S7_l,@function
_ZN9rocsolver6v33100L18getf2_small_kernelILi40E19rocblas_complex_numIdEiiPS3_EEvT1_T3_lS5_lPS5_llPT2_S5_S5_S7_l: ; @_ZN9rocsolver6v33100L18getf2_small_kernelILi40E19rocblas_complex_numIdEiiPS3_EEvT1_T3_lS5_lPS5_llPT2_S5_S5_S7_l
; %bb.0:
	s_mov_b64 s[26:27], s[2:3]
	s_mov_b64 s[24:25], s[0:1]
	s_load_dword s0, s[4:5], 0x6c
	s_load_dwordx2 s[16:17], s[4:5], 0x48
	s_add_u32 s24, s24, s8
	s_addc_u32 s25, s25, 0
	s_waitcnt lgkmcnt(0)
	s_lshr_b32 s0, s0, 16
	s_mul_i32 s7, s7, s0
	v_add_u32_e32 v6, s7, v1
	v_cmp_gt_i32_e32 vcc, s16, v6
	s_and_saveexec_b64 s[0:1], vcc
	s_cbranch_execz .LBB78_841
; %bb.1:
	s_load_dwordx4 s[0:3], s[4:5], 0x50
	v_mov_b32_e32 v2, 0
	v_ashrrev_i32_e32 v7, 31, v6
	v_mov_b32_e32 v3, 0
	s_waitcnt lgkmcnt(0)
	s_cmp_eq_u64 s[0:1], 0
	s_cselect_b64 s[6:7], -1, 0
	s_and_b64 vcc, exec, s[6:7]
	s_cbranch_vccnz .LBB78_3
; %bb.2:
	v_mul_lo_u32 v4, s3, v6
	v_mul_lo_u32 v5, s2, v7
	v_mad_u64_u32 v[2:3], s[2:3], s2, v6, 0
	v_add3_u32 v3, v3, v5, v4
	v_lshlrev_b64 v[2:3], 2, v[2:3]
	v_mov_b32_e32 v4, s1
	v_add_co_u32_e32 v2, vcc, s0, v2
	v_addc_co_u32_e32 v3, vcc, v4, v3, vcc
.LBB78_3:
	buffer_store_dword v2, off, s[24:27], 0 offset:224 ; 4-byte Folded Spill
	s_nop 0
	buffer_store_dword v3, off, s[24:27], 0 offset:228 ; 4-byte Folded Spill
	s_load_dwordx8 s[8:15], s[4:5], 0x20
	s_load_dwordx4 s[20:23], s[4:5], 0x8
	s_load_dword s2, s[4:5], 0x18
	v_lshlrev_b32_e32 v56, 4, v0
	s_waitcnt lgkmcnt(0)
	v_mul_lo_u32 v4, s9, v6
	v_mul_lo_u32 v5, s8, v7
	buffer_store_dword v6, off, s[24:27], 0 offset:248 ; 4-byte Folded Spill
	s_nop 0
	buffer_store_dword v7, off, s[24:27], 0 offset:252 ; 4-byte Folded Spill
	s_add_i32 s16, s2, s2
	s_ashr_i32 s3, s2, 31
	v_mad_u64_u32 v[2:3], s[0:1], s8, v6, 0
	v_mov_b32_e32 v6, s21
	s_lshl_b64 s[0:1], s[22:23], 4
	v_add3_u32 v3, v3, v5, v4
	v_lshlrev_b64 v[2:3], 4, v[2:3]
	v_mov_b32_e32 v4, s1
	v_add_co_u32_e32 v2, vcc, s20, v2
	v_addc_co_u32_e32 v3, vcc, v6, v3, vcc
	v_add_co_u32_e32 v127, vcc, s0, v2
	v_addc_co_u32_e32 v97, vcc, v3, v4, vcc
	v_add_u32_e32 v4, s16, v0
	v_ashrrev_i32_e32 v5, 31, v4
	v_lshlrev_b64 v[2:3], 4, v[4:5]
	v_add_u32_e32 v6, s2, v4
	v_ashrrev_i32_e32 v7, 31, v6
	v_add_co_u32_e32 v2, vcc, v127, v2
	v_lshlrev_b64 v[4:5], 4, v[6:7]
	v_add_u32_e32 v8, s2, v6
	v_addc_co_u32_e32 v3, vcc, v97, v3, vcc
	v_ashrrev_i32_e32 v9, 31, v8
	v_add_co_u32_e32 v4, vcc, v127, v4
	v_lshlrev_b64 v[6:7], 4, v[8:9]
	v_add_u32_e32 v10, s2, v8
	v_addc_co_u32_e32 v5, vcc, v97, v5, vcc
	;; [unrolled: 5-line block ×24, first 2 shown]
	v_ashrrev_i32_e32 v53, 31, v52
	v_add_co_u32_e32 v50, vcc, v127, v50
	v_lshlrev_b64 v[53:54], 4, v[52:53]
	v_addc_co_u32_e32 v51, vcc, v97, v51, vcc
	v_add_u32_e32 v52, s2, v52
	v_add_co_u32_e32 v117, vcc, v127, v53
	v_ashrrev_i32_e32 v53, 31, v52
	v_addc_co_u32_e32 v118, vcc, v97, v54, vcc
	v_lshlrev_b64 v[53:54], 4, v[52:53]
	v_add_u32_e32 v52, s2, v52
	v_add_co_u32_e32 v119, vcc, v127, v53
	v_ashrrev_i32_e32 v53, 31, v52
	v_addc_co_u32_e32 v120, vcc, v97, v54, vcc
	v_lshlrev_b64 v[53:54], 4, v[52:53]
	;; [unrolled: 5-line block ×10, first 2 shown]
	v_add_u32_e32 v52, s2, v52
	v_add_co_u32_e32 v107, vcc, v127, v53
	v_ashrrev_i32_e32 v53, 31, v52
	s_lshl_b64 s[8:9], s[2:3], 4
	s_load_dword s3, s[4:5], 0x0
	v_addc_co_u32_e32 v108, vcc, v97, v54, vcc
	v_lshlrev_b64 v[53:54], 4, v[52:53]
	v_add_u32_e32 v52, s2, v52
	v_add_co_u32_e32 v101, vcc, v127, v53
	v_ashrrev_i32_e32 v53, 31, v52
	v_lshlrev_b64 v[52:53], 4, v[52:53]
	v_addc_co_u32_e32 v102, vcc, v97, v54, vcc
	s_waitcnt lgkmcnt(0)
	s_max_i32 s0, s3, 40
	v_add_co_u32_e32 v103, vcc, v127, v52
	v_mul_lo_u32 v99, s0, v1
	v_addc_co_u32_e32 v104, vcc, v97, v53, vcc
	v_add_co_u32_e32 v54, vcc, v127, v56
	v_addc_co_u32_e32 v55, vcc, 0, v97, vcc
	v_mov_b32_e32 v53, s9
	v_add_co_u32_e32 v52, vcc, s8, v54
	v_lshl_add_u32 v98, v99, 4, 0
	v_addc_co_u32_e32 v53, vcc, v55, v53, vcc
	v_add_u32_e32 v1, v98, v56
	global_load_dwordx4 v[54:57], v[54:55], off
	s_nop 0
	global_load_dwordx4 v[58:61], v[52:53], off
	s_waitcnt vmcnt(0)
	buffer_store_dword v58, off, s[24:27], 0 offset:208 ; 4-byte Folded Spill
	s_nop 0
	buffer_store_dword v59, off, s[24:27], 0 offset:212 ; 4-byte Folded Spill
	buffer_store_dword v60, off, s[24:27], 0 offset:216 ; 4-byte Folded Spill
	;; [unrolled: 1-line block ×4, first 2 shown]
	s_nop 0
	buffer_store_dword v55, off, s[24:27], 0 offset:236 ; 4-byte Folded Spill
	buffer_store_dword v56, off, s[24:27], 0 offset:240 ; 4-byte Folded Spill
	;; [unrolled: 1-line block ×3, first 2 shown]
	s_load_dwordx2 s[4:5], s[4:5], 0x40
	s_cmp_lt_i32 s3, 2
	ds_write2_b64 v1, v[54:55], v[56:57] offset1:1
	global_load_dwordx4 v[52:55], v[2:3], off
	s_waitcnt vmcnt(0)
	buffer_store_dword v52, off, s[24:27], 0 offset:192 ; 4-byte Folded Spill
	s_nop 0
	buffer_store_dword v53, off, s[24:27], 0 offset:196 ; 4-byte Folded Spill
	buffer_store_dword v54, off, s[24:27], 0 offset:200 ; 4-byte Folded Spill
	buffer_store_dword v55, off, s[24:27], 0 offset:204 ; 4-byte Folded Spill
	global_load_dwordx4 v[1:4], v[4:5], off
	s_waitcnt vmcnt(0)
	buffer_store_dword v1, off, s[24:27], 0 offset:176 ; 4-byte Folded Spill
	s_nop 0
	buffer_store_dword v2, off, s[24:27], 0 offset:180 ; 4-byte Folded Spill
	buffer_store_dword v3, off, s[24:27], 0 offset:184 ; 4-byte Folded Spill
	buffer_store_dword v4, off, s[24:27], 0 offset:188 ; 4-byte Folded Spill
	;; [unrolled: 7-line block ×12, first 2 shown]
	global_load_dwordx4 v[1:4], v[26:27], off
	s_waitcnt vmcnt(0)
	buffer_store_dword v1, off, s[24:27], 0 ; 4-byte Folded Spill
	s_nop 0
	buffer_store_dword v2, off, s[24:27], 0 offset:4 ; 4-byte Folded Spill
	buffer_store_dword v3, off, s[24:27], 0 offset:8 ; 4-byte Folded Spill
	;; [unrolled: 1-line block ×3, first 2 shown]
	global_load_dwordx4 v[93:96], v[28:29], off
	global_load_dwordx4 v[89:92], v[30:31], off
	;; [unrolled: 1-line block ×11, first 2 shown]
	s_nop 0
	global_load_dwordx4 v[49:52], v[50:51], off
	s_nop 0
	global_load_dwordx4 v[45:48], v[117:118], off
	global_load_dwordx4 v[41:44], v[119:120], off
	;; [unrolled: 1-line block ×13, first 2 shown]
	s_waitcnt vmcnt(0) lgkmcnt(0)
	s_barrier
	ds_read2_b64 v[121:124], v98 offset1:1
	v_lshlrev_b32_e32 v103, 4, v99
	v_mov_b32_e32 v101, 0
	s_cbranch_scc1 .LBB78_6
; %bb.4:
	v_add3_u32 v99, v103, 0, 16
	s_mov_b32 s0, 1
	v_mov_b32_e32 v101, 0
.LBB78_5:                               ; =>This Inner Loop Header: Depth=1
	s_waitcnt lgkmcnt(0)
	v_cmp_gt_f64_e32 vcc, 0, v[121:122]
	v_xor_b32_e32 v100, 0x80000000, v122
	ds_read2_b64 v[104:107], v99 offset1:1
	v_mov_b32_e32 v108, v121
	v_mov_b32_e32 v110, v123
	v_add_u32_e32 v99, 16, v99
	s_waitcnt lgkmcnt(0)
	v_mov_b32_e32 v112, v106
	v_cndmask_b32_e32 v109, v122, v100, vcc
	v_cmp_gt_f64_e32 vcc, 0, v[123:124]
	v_xor_b32_e32 v100, 0x80000000, v124
	v_cndmask_b32_e32 v111, v124, v100, vcc
	v_cmp_gt_f64_e32 vcc, 0, v[104:105]
	v_xor_b32_e32 v100, 0x80000000, v105
	v_add_f64 v[108:109], v[108:109], v[110:111]
	v_mov_b32_e32 v110, v104
	v_cndmask_b32_e32 v111, v105, v100, vcc
	v_cmp_gt_f64_e32 vcc, 0, v[106:107]
	v_xor_b32_e32 v100, 0x80000000, v107
	v_cndmask_b32_e32 v113, v107, v100, vcc
	v_add_f64 v[110:111], v[110:111], v[112:113]
	v_mov_b32_e32 v100, s0
	s_add_i32 s0, s0, 1
	s_cmp_eq_u32 s3, s0
	v_cmp_lt_f64_e32 vcc, v[108:109], v[110:111]
	v_cndmask_b32_e32 v122, v122, v105, vcc
	v_cndmask_b32_e32 v121, v121, v104, vcc
	;; [unrolled: 1-line block ×5, first 2 shown]
	s_cbranch_scc0 .LBB78_5
.LBB78_6:
	buffer_load_dword v115, off, s[24:27], 0 offset:224 ; 4-byte Folded Reload
	buffer_load_dword v116, off, s[24:27], 0 offset:228 ; 4-byte Folded Reload
	s_waitcnt lgkmcnt(0)
	v_cmp_neq_f64_e32 vcc, 0, v[121:122]
	v_cmp_neq_f64_e64 s[0:1], 0, v[123:124]
	v_mov_b32_e32 v99, 1
	v_mov_b32_e32 v104, 1
	s_or_b64 s[18:19], vcc, s[0:1]
	s_and_saveexec_b64 s[0:1], s[18:19]
	s_cbranch_execz .LBB78_12
; %bb.7:
	v_cmp_ngt_f64_e64 s[18:19], |v[121:122]|, |v[123:124]|
	s_and_saveexec_b64 s[20:21], s[18:19]
	s_xor_b64 s[18:19], exec, s[20:21]
	s_cbranch_execz .LBB78_9
; %bb.8:
	v_div_scale_f64 v[99:100], s[20:21], v[123:124], v[123:124], v[121:122]
	v_rcp_f64_e32 v[104:105], v[99:100]
	v_fma_f64 v[106:107], -v[99:100], v[104:105], 1.0
	v_fma_f64 v[104:105], v[104:105], v[106:107], v[104:105]
	v_div_scale_f64 v[106:107], vcc, v[121:122], v[123:124], v[121:122]
	v_fma_f64 v[108:109], -v[99:100], v[104:105], 1.0
	v_fma_f64 v[104:105], v[104:105], v[108:109], v[104:105]
	v_mul_f64 v[108:109], v[106:107], v[104:105]
	v_fma_f64 v[99:100], -v[99:100], v[108:109], v[106:107]
	v_div_fmas_f64 v[99:100], v[99:100], v[104:105], v[108:109]
	v_div_fixup_f64 v[99:100], v[99:100], v[123:124], v[121:122]
	v_fma_f64 v[104:105], v[121:122], v[99:100], v[123:124]
	v_div_scale_f64 v[106:107], s[20:21], v[104:105], v[104:105], 1.0
	v_div_scale_f64 v[112:113], vcc, 1.0, v[104:105], 1.0
	v_rcp_f64_e32 v[108:109], v[106:107]
	v_fma_f64 v[110:111], -v[106:107], v[108:109], 1.0
	v_fma_f64 v[108:109], v[108:109], v[110:111], v[108:109]
	v_fma_f64 v[110:111], -v[106:107], v[108:109], 1.0
	v_fma_f64 v[108:109], v[108:109], v[110:111], v[108:109]
	v_mul_f64 v[110:111], v[112:113], v[108:109]
	v_fma_f64 v[106:107], -v[106:107], v[110:111], v[112:113]
	v_div_fmas_f64 v[106:107], v[106:107], v[108:109], v[110:111]
	v_div_fixup_f64 v[123:124], v[106:107], v[104:105], 1.0
	v_mul_f64 v[121:122], v[99:100], v[123:124]
	v_xor_b32_e32 v124, 0x80000000, v124
.LBB78_9:
	s_andn2_saveexec_b64 s[18:19], s[18:19]
	s_cbranch_execz .LBB78_11
; %bb.10:
	v_div_scale_f64 v[99:100], s[20:21], v[121:122], v[121:122], v[123:124]
	v_rcp_f64_e32 v[104:105], v[99:100]
	v_fma_f64 v[106:107], -v[99:100], v[104:105], 1.0
	v_fma_f64 v[104:105], v[104:105], v[106:107], v[104:105]
	v_div_scale_f64 v[106:107], vcc, v[123:124], v[121:122], v[123:124]
	v_fma_f64 v[108:109], -v[99:100], v[104:105], 1.0
	v_fma_f64 v[104:105], v[104:105], v[108:109], v[104:105]
	v_mul_f64 v[108:109], v[106:107], v[104:105]
	v_fma_f64 v[99:100], -v[99:100], v[108:109], v[106:107]
	v_div_fmas_f64 v[99:100], v[99:100], v[104:105], v[108:109]
	v_div_fixup_f64 v[99:100], v[99:100], v[121:122], v[123:124]
	v_fma_f64 v[104:105], v[123:124], v[99:100], v[121:122]
	v_div_scale_f64 v[106:107], s[20:21], v[104:105], v[104:105], 1.0
	v_div_scale_f64 v[112:113], vcc, 1.0, v[104:105], 1.0
	v_rcp_f64_e32 v[108:109], v[106:107]
	v_fma_f64 v[110:111], -v[106:107], v[108:109], 1.0
	v_fma_f64 v[108:109], v[108:109], v[110:111], v[108:109]
	v_fma_f64 v[110:111], -v[106:107], v[108:109], 1.0
	v_fma_f64 v[108:109], v[108:109], v[110:111], v[108:109]
	v_mul_f64 v[110:111], v[112:113], v[108:109]
	v_fma_f64 v[106:107], -v[106:107], v[110:111], v[112:113]
	v_div_fmas_f64 v[106:107], v[106:107], v[108:109], v[110:111]
	v_div_fixup_f64 v[121:122], v[106:107], v[104:105], 1.0
	v_mul_f64 v[123:124], v[99:100], -v[121:122]
.LBB78_11:
	s_or_b64 exec, exec, s[18:19]
	v_mov_b32_e32 v104, 0
	v_mov_b32_e32 v99, 2
.LBB78_12:
	s_or_b64 exec, exec, s[0:1]
	v_cmp_ne_u32_e32 vcc, v0, v101
	s_and_saveexec_b64 s[0:1], vcc
	s_xor_b64 s[0:1], exec, s[0:1]
	s_cbranch_execz .LBB78_18
; %bb.13:
	v_cmp_eq_u32_e32 vcc, 0, v0
	s_and_saveexec_b64 s[18:19], vcc
	s_cbranch_execz .LBB78_17
; %bb.14:
	v_cmp_ne_u32_e32 vcc, 0, v101
	s_xor_b64 s[20:21], s[6:7], -1
	s_and_b64 s[22:23], s[20:21], vcc
	s_and_saveexec_b64 s[20:21], s[22:23]
	s_cbranch_execz .LBB78_16
; %bb.15:
	v_ashrrev_i32_e32 v102, 31, v101
	v_lshlrev_b64 v[105:106], 2, v[101:102]
	s_waitcnt vmcnt(1)
	v_add_co_u32_e32 v105, vcc, v115, v105
	s_waitcnt vmcnt(0)
	v_addc_co_u32_e32 v106, vcc, v116, v106, vcc
	global_load_dword v0, v[105:106], off
	global_load_dword v100, v[115:116], off
	s_waitcnt vmcnt(1)
	global_store_dword v[115:116], v0, off
	s_waitcnt vmcnt(1)
	global_store_dword v[105:106], v100, off
.LBB78_16:
	s_or_b64 exec, exec, s[20:21]
	v_mov_b32_e32 v0, v101
.LBB78_17:
	s_or_b64 exec, exec, s[18:19]
.LBB78_18:
	s_or_saveexec_b64 s[0:1], s[0:1]
	v_mov_b32_e32 v100, v0
	s_xor_b64 exec, exec, s[0:1]
	s_cbranch_execz .LBB78_20
; %bb.19:
	buffer_load_dword v105, off, s[24:27], 0 offset:208 ; 4-byte Folded Reload
	buffer_load_dword v106, off, s[24:27], 0 offset:212 ; 4-byte Folded Reload
	buffer_load_dword v107, off, s[24:27], 0 offset:216 ; 4-byte Folded Reload
	buffer_load_dword v108, off, s[24:27], 0 offset:220 ; 4-byte Folded Reload
	v_mov_b32_e32 v100, 0
	s_waitcnt vmcnt(0)
	ds_write2_b64 v98, v[105:106], v[107:108] offset0:2 offset1:3
	buffer_load_dword v105, off, s[24:27], 0 offset:192 ; 4-byte Folded Reload
	buffer_load_dword v106, off, s[24:27], 0 offset:196 ; 4-byte Folded Reload
	buffer_load_dword v107, off, s[24:27], 0 offset:200 ; 4-byte Folded Reload
	buffer_load_dword v108, off, s[24:27], 0 offset:204 ; 4-byte Folded Reload
	s_waitcnt vmcnt(0)
	ds_write2_b64 v98, v[105:106], v[107:108] offset0:4 offset1:5
	buffer_load_dword v105, off, s[24:27], 0 offset:176 ; 4-byte Folded Reload
	buffer_load_dword v106, off, s[24:27], 0 offset:180 ; 4-byte Folded Reload
	buffer_load_dword v107, off, s[24:27], 0 offset:184 ; 4-byte Folded Reload
	buffer_load_dword v108, off, s[24:27], 0 offset:188 ; 4-byte Folded Reload
	;; [unrolled: 6-line block ×12, first 2 shown]
	s_waitcnt vmcnt(0)
	ds_write2_b64 v98, v[105:106], v[107:108] offset0:26 offset1:27
	buffer_load_dword v105, off, s[24:27], 0 ; 4-byte Folded Reload
	buffer_load_dword v106, off, s[24:27], 0 offset:4 ; 4-byte Folded Reload
	buffer_load_dword v107, off, s[24:27], 0 offset:8 ; 4-byte Folded Reload
	;; [unrolled: 1-line block ×3, first 2 shown]
	s_waitcnt vmcnt(0)
	ds_write2_b64 v98, v[105:106], v[107:108] offset0:28 offset1:29
	ds_write2_b64 v98, v[93:94], v[95:96] offset0:30 offset1:31
	;; [unrolled: 1-line block ×26, first 2 shown]
.LBB78_20:
	s_or_b64 exec, exec, s[0:1]
	v_cmp_lt_i32_e32 vcc, 0, v100
	s_waitcnt vmcnt(0) lgkmcnt(0)
	s_barrier
	s_and_saveexec_b64 s[0:1], vcc
	s_cbranch_execz .LBB78_22
; %bb.21:
	buffer_load_dword v109, off, s[24:27], 0 offset:232 ; 4-byte Folded Reload
	buffer_load_dword v110, off, s[24:27], 0 offset:236 ; 4-byte Folded Reload
	;; [unrolled: 1-line block ×4, first 2 shown]
	ds_read2_b64 v[105:108], v98 offset0:2 offset1:3
	s_waitcnt vmcnt(0)
	v_mul_f64 v[101:102], v[123:124], v[111:112]
	v_fma_f64 v[125:126], v[121:122], v[109:110], -v[101:102]
	v_mul_f64 v[101:102], v[121:122], v[111:112]
	v_fma_f64 v[111:112], v[123:124], v[109:110], v[101:102]
	s_waitcnt lgkmcnt(0)
	v_mul_f64 v[101:102], v[107:108], v[111:112]
	v_fma_f64 v[101:102], v[105:106], v[125:126], -v[101:102]
	v_mul_f64 v[105:106], v[105:106], v[111:112]
	v_fma_f64 v[105:106], v[107:108], v[125:126], v[105:106]
	buffer_load_dword v107, off, s[24:27], 0 offset:208 ; 4-byte Folded Reload
	buffer_load_dword v108, off, s[24:27], 0 offset:212 ; 4-byte Folded Reload
	buffer_load_dword v109, off, s[24:27], 0 offset:216 ; 4-byte Folded Reload
	buffer_load_dword v110, off, s[24:27], 0 offset:220 ; 4-byte Folded Reload
	s_waitcnt vmcnt(2)
	v_add_f64 v[107:108], v[107:108], -v[101:102]
	s_waitcnt vmcnt(0)
	v_add_f64 v[109:110], v[109:110], -v[105:106]
	buffer_store_dword v107, off, s[24:27], 0 offset:208 ; 4-byte Folded Spill
	s_nop 0
	buffer_store_dword v108, off, s[24:27], 0 offset:212 ; 4-byte Folded Spill
	buffer_store_dword v109, off, s[24:27], 0 offset:216 ; 4-byte Folded Spill
	buffer_store_dword v110, off, s[24:27], 0 offset:220 ; 4-byte Folded Spill
	ds_read2_b64 v[105:108], v98 offset0:4 offset1:5
	s_waitcnt lgkmcnt(0)
	v_mul_f64 v[101:102], v[107:108], v[111:112]
	v_fma_f64 v[101:102], v[105:106], v[125:126], -v[101:102]
	v_mul_f64 v[105:106], v[105:106], v[111:112]
	v_fma_f64 v[105:106], v[107:108], v[125:126], v[105:106]
	buffer_load_dword v107, off, s[24:27], 0 offset:192 ; 4-byte Folded Reload
	buffer_load_dword v108, off, s[24:27], 0 offset:196 ; 4-byte Folded Reload
	buffer_load_dword v109, off, s[24:27], 0 offset:200 ; 4-byte Folded Reload
	buffer_load_dword v110, off, s[24:27], 0 offset:204 ; 4-byte Folded Reload
	s_waitcnt vmcnt(2)
	v_add_f64 v[107:108], v[107:108], -v[101:102]
	s_waitcnt vmcnt(0)
	v_add_f64 v[109:110], v[109:110], -v[105:106]
	buffer_store_dword v107, off, s[24:27], 0 offset:192 ; 4-byte Folded Spill
	s_nop 0
	buffer_store_dword v108, off, s[24:27], 0 offset:196 ; 4-byte Folded Spill
	buffer_store_dword v109, off, s[24:27], 0 offset:200 ; 4-byte Folded Spill
	buffer_store_dword v110, off, s[24:27], 0 offset:204 ; 4-byte Folded Spill
	ds_read2_b64 v[105:108], v98 offset0:6 offset1:7
	;; [unrolled: 19-line block ×13, first 2 shown]
	s_waitcnt lgkmcnt(0)
	v_mul_f64 v[101:102], v[107:108], v[111:112]
	v_fma_f64 v[101:102], v[105:106], v[125:126], -v[101:102]
	v_mul_f64 v[105:106], v[105:106], v[111:112]
	v_fma_f64 v[105:106], v[107:108], v[125:126], v[105:106]
	buffer_load_dword v107, off, s[24:27], 0 ; 4-byte Folded Reload
	buffer_load_dword v108, off, s[24:27], 0 offset:4 ; 4-byte Folded Reload
	buffer_load_dword v109, off, s[24:27], 0 offset:8 ; 4-byte Folded Reload
	;; [unrolled: 1-line block ×3, first 2 shown]
	s_waitcnt vmcnt(2)
	v_add_f64 v[107:108], v[107:108], -v[101:102]
	s_waitcnt vmcnt(0)
	v_add_f64 v[109:110], v[109:110], -v[105:106]
	buffer_store_dword v107, off, s[24:27], 0 ; 4-byte Folded Spill
	s_nop 0
	buffer_store_dword v108, off, s[24:27], 0 offset:4 ; 4-byte Folded Spill
	buffer_store_dword v109, off, s[24:27], 0 offset:8 ; 4-byte Folded Spill
	;; [unrolled: 1-line block ×3, first 2 shown]
	ds_read2_b64 v[105:108], v98 offset0:30 offset1:31
	v_mov_b32_e32 v109, v125
	v_mov_b32_e32 v110, v126
	s_waitcnt lgkmcnt(0)
	v_mul_f64 v[101:102], v[107:108], v[111:112]
	v_fma_f64 v[101:102], v[105:106], v[125:126], -v[101:102]
	v_mul_f64 v[105:106], v[105:106], v[111:112]
	v_add_f64 v[93:94], v[93:94], -v[101:102]
	v_fma_f64 v[105:106], v[107:108], v[125:126], v[105:106]
	v_add_f64 v[95:96], v[95:96], -v[105:106]
	ds_read2_b64 v[105:108], v98 offset0:32 offset1:33
	s_waitcnt lgkmcnt(0)
	v_mul_f64 v[101:102], v[107:108], v[111:112]
	v_fma_f64 v[101:102], v[105:106], v[125:126], -v[101:102]
	v_mul_f64 v[105:106], v[105:106], v[111:112]
	v_add_f64 v[89:90], v[89:90], -v[101:102]
	v_fma_f64 v[105:106], v[107:108], v[125:126], v[105:106]
	v_add_f64 v[91:92], v[91:92], -v[105:106]
	ds_read2_b64 v[105:108], v98 offset0:34 offset1:35
	;; [unrolled: 8-line block ×24, first 2 shown]
	s_waitcnt lgkmcnt(0)
	v_mul_f64 v[101:102], v[107:108], v[111:112]
	v_fma_f64 v[101:102], v[105:106], v[125:126], -v[101:102]
	v_mul_f64 v[105:106], v[105:106], v[111:112]
	buffer_store_dword v109, off, s[24:27], 0 offset:232 ; 4-byte Folded Spill
	s_nop 0
	buffer_store_dword v110, off, s[24:27], 0 offset:236 ; 4-byte Folded Spill
	buffer_store_dword v111, off, s[24:27], 0 offset:240 ; 4-byte Folded Spill
	;; [unrolled: 1-line block ×3, first 2 shown]
	v_add_f64 v[117:118], v[117:118], -v[101:102]
	v_fma_f64 v[105:106], v[107:108], v[125:126], v[105:106]
	v_add_f64 v[119:120], v[119:120], -v[105:106]
.LBB78_22:
	s_or_b64 exec, exec, s[0:1]
	s_waitcnt vmcnt(0)
	s_barrier
	buffer_load_dword v105, off, s[24:27], 0 offset:208 ; 4-byte Folded Reload
	buffer_load_dword v106, off, s[24:27], 0 offset:212 ; 4-byte Folded Reload
	;; [unrolled: 1-line block ×4, first 2 shown]
	v_lshl_add_u32 v101, v100, 4, v98
	s_cmp_lt_i32 s3, 3
	s_waitcnt vmcnt(0)
	ds_write2_b64 v101, v[105:106], v[107:108] offset1:1
	s_waitcnt lgkmcnt(0)
	s_barrier
	ds_read2_b64 v[121:124], v98 offset0:2 offset1:3
	v_mov_b32_e32 v101, 1
	s_cbranch_scc1 .LBB78_25
; %bb.23:
	v_add3_u32 v102, v103, 0, 32
	s_mov_b32 s0, 2
	v_mov_b32_e32 v101, 1
.LBB78_24:                              ; =>This Inner Loop Header: Depth=1
	s_waitcnt lgkmcnt(0)
	v_cmp_gt_f64_e32 vcc, 0, v[121:122]
	v_xor_b32_e32 v109, 0x80000000, v122
	ds_read2_b64 v[105:108], v102 offset1:1
	v_xor_b32_e32 v111, 0x80000000, v124
	v_add_u32_e32 v102, 16, v102
	s_waitcnt lgkmcnt(0)
	v_xor_b32_e32 v113, 0x80000000, v108
	v_cndmask_b32_e32 v110, v122, v109, vcc
	v_cmp_gt_f64_e32 vcc, 0, v[123:124]
	v_mov_b32_e32 v109, v121
	v_cndmask_b32_e32 v112, v124, v111, vcc
	v_cmp_gt_f64_e32 vcc, 0, v[105:106]
	v_mov_b32_e32 v111, v123
	v_add_f64 v[109:110], v[109:110], v[111:112]
	v_xor_b32_e32 v111, 0x80000000, v106
	v_cndmask_b32_e32 v112, v106, v111, vcc
	v_cmp_gt_f64_e32 vcc, 0, v[107:108]
	v_mov_b32_e32 v111, v105
	v_cndmask_b32_e32 v114, v108, v113, vcc
	v_mov_b32_e32 v113, v107
	v_add_f64 v[111:112], v[111:112], v[113:114]
	v_cmp_lt_f64_e32 vcc, v[109:110], v[111:112]
	v_cndmask_b32_e32 v121, v121, v105, vcc
	v_mov_b32_e32 v105, s0
	s_add_i32 s0, s0, 1
	v_cndmask_b32_e32 v122, v122, v106, vcc
	v_cndmask_b32_e32 v124, v124, v108, vcc
	;; [unrolled: 1-line block ×4, first 2 shown]
	s_cmp_lg_u32 s3, s0
	s_cbranch_scc1 .LBB78_24
.LBB78_25:
	s_waitcnt lgkmcnt(0)
	v_cmp_neq_f64_e32 vcc, 0, v[121:122]
	v_cmp_neq_f64_e64 s[0:1], 0, v[123:124]
	s_or_b64 s[18:19], vcc, s[0:1]
	s_and_saveexec_b64 s[0:1], s[18:19]
	s_cbranch_execz .LBB78_31
; %bb.26:
	v_cmp_ngt_f64_e64 s[18:19], |v[121:122]|, |v[123:124]|
	s_and_saveexec_b64 s[20:21], s[18:19]
	s_xor_b64 s[18:19], exec, s[20:21]
	s_cbranch_execz .LBB78_28
; %bb.27:
	v_div_scale_f64 v[105:106], s[20:21], v[123:124], v[123:124], v[121:122]
	v_rcp_f64_e32 v[107:108], v[105:106]
	v_fma_f64 v[109:110], -v[105:106], v[107:108], 1.0
	v_fma_f64 v[107:108], v[107:108], v[109:110], v[107:108]
	v_div_scale_f64 v[109:110], vcc, v[121:122], v[123:124], v[121:122]
	v_fma_f64 v[111:112], -v[105:106], v[107:108], 1.0
	v_fma_f64 v[107:108], v[107:108], v[111:112], v[107:108]
	v_mul_f64 v[111:112], v[109:110], v[107:108]
	v_fma_f64 v[105:106], -v[105:106], v[111:112], v[109:110]
	v_div_fmas_f64 v[105:106], v[105:106], v[107:108], v[111:112]
	v_div_fixup_f64 v[105:106], v[105:106], v[123:124], v[121:122]
	v_fma_f64 v[107:108], v[121:122], v[105:106], v[123:124]
	v_div_scale_f64 v[109:110], s[20:21], v[107:108], v[107:108], 1.0
	v_div_scale_f64 v[115:116], vcc, 1.0, v[107:108], 1.0
	v_rcp_f64_e32 v[111:112], v[109:110]
	v_fma_f64 v[113:114], -v[109:110], v[111:112], 1.0
	v_fma_f64 v[111:112], v[111:112], v[113:114], v[111:112]
	v_fma_f64 v[113:114], -v[109:110], v[111:112], 1.0
	v_fma_f64 v[111:112], v[111:112], v[113:114], v[111:112]
	v_mul_f64 v[113:114], v[115:116], v[111:112]
	v_fma_f64 v[109:110], -v[109:110], v[113:114], v[115:116]
	buffer_load_dword v115, off, s[24:27], 0 offset:224 ; 4-byte Folded Reload
	buffer_load_dword v116, off, s[24:27], 0 offset:228 ; 4-byte Folded Reload
	v_div_fmas_f64 v[109:110], v[109:110], v[111:112], v[113:114]
	v_div_fixup_f64 v[123:124], v[109:110], v[107:108], 1.0
	v_mul_f64 v[121:122], v[105:106], v[123:124]
	v_xor_b32_e32 v124, 0x80000000, v124
.LBB78_28:
	s_andn2_saveexec_b64 s[18:19], s[18:19]
	s_cbranch_execz .LBB78_30
; %bb.29:
	v_div_scale_f64 v[105:106], s[20:21], v[121:122], v[121:122], v[123:124]
	v_rcp_f64_e32 v[107:108], v[105:106]
	v_fma_f64 v[109:110], -v[105:106], v[107:108], 1.0
	v_fma_f64 v[107:108], v[107:108], v[109:110], v[107:108]
	v_div_scale_f64 v[109:110], vcc, v[123:124], v[121:122], v[123:124]
	v_fma_f64 v[111:112], -v[105:106], v[107:108], 1.0
	v_fma_f64 v[107:108], v[107:108], v[111:112], v[107:108]
	v_mul_f64 v[111:112], v[109:110], v[107:108]
	v_fma_f64 v[105:106], -v[105:106], v[111:112], v[109:110]
	v_div_fmas_f64 v[105:106], v[105:106], v[107:108], v[111:112]
	v_div_fixup_f64 v[105:106], v[105:106], v[121:122], v[123:124]
	v_fma_f64 v[107:108], v[123:124], v[105:106], v[121:122]
	v_div_scale_f64 v[109:110], s[20:21], v[107:108], v[107:108], 1.0
	s_waitcnt vmcnt(0)
	v_div_scale_f64 v[115:116], vcc, 1.0, v[107:108], 1.0
	v_rcp_f64_e32 v[111:112], v[109:110]
	v_fma_f64 v[113:114], -v[109:110], v[111:112], 1.0
	v_fma_f64 v[111:112], v[111:112], v[113:114], v[111:112]
	v_fma_f64 v[113:114], -v[109:110], v[111:112], 1.0
	v_fma_f64 v[111:112], v[111:112], v[113:114], v[111:112]
	v_mul_f64 v[113:114], v[115:116], v[111:112]
	v_fma_f64 v[109:110], -v[109:110], v[113:114], v[115:116]
	buffer_load_dword v115, off, s[24:27], 0 offset:224 ; 4-byte Folded Reload
	buffer_load_dword v116, off, s[24:27], 0 offset:228 ; 4-byte Folded Reload
	v_div_fmas_f64 v[109:110], v[109:110], v[111:112], v[113:114]
	v_div_fixup_f64 v[121:122], v[109:110], v[107:108], 1.0
	v_mul_f64 v[123:124], v[105:106], -v[121:122]
.LBB78_30:
	s_or_b64 exec, exec, s[18:19]
	v_mov_b32_e32 v99, v104
.LBB78_31:
	s_or_b64 exec, exec, s[0:1]
	v_cmp_ne_u32_e32 vcc, v100, v101
	s_and_saveexec_b64 s[0:1], vcc
	s_xor_b64 s[0:1], exec, s[0:1]
	s_cbranch_execz .LBB78_37
; %bb.32:
	v_cmp_eq_u32_e32 vcc, 1, v100
	s_and_saveexec_b64 s[18:19], vcc
	s_cbranch_execz .LBB78_36
; %bb.33:
	v_cmp_ne_u32_e32 vcc, 1, v101
	s_xor_b64 s[20:21], s[6:7], -1
	s_and_b64 s[22:23], s[20:21], vcc
	s_and_saveexec_b64 s[20:21], s[22:23]
	s_cbranch_execz .LBB78_35
; %bb.34:
	v_ashrrev_i32_e32 v102, 31, v101
	v_lshlrev_b64 v[104:105], 2, v[101:102]
	s_waitcnt vmcnt(1)
	v_add_co_u32_e32 v104, vcc, v115, v104
	s_waitcnt vmcnt(0)
	v_addc_co_u32_e32 v105, vcc, v116, v105, vcc
	global_load_dword v0, v[104:105], off
	global_load_dword v100, v[115:116], off offset:4
	s_waitcnt vmcnt(1)
	global_store_dword v[115:116], v0, off offset:4
	s_waitcnt vmcnt(1)
	global_store_dword v[104:105], v100, off
.LBB78_35:
	s_or_b64 exec, exec, s[20:21]
	v_mov_b32_e32 v100, v101
	v_mov_b32_e32 v0, v101
.LBB78_36:
	s_or_b64 exec, exec, s[18:19]
.LBB78_37:
	s_andn2_saveexec_b64 s[0:1], s[0:1]
	s_cbranch_execz .LBB78_39
; %bb.38:
	buffer_load_dword v104, off, s[24:27], 0 offset:192 ; 4-byte Folded Reload
	buffer_load_dword v105, off, s[24:27], 0 offset:196 ; 4-byte Folded Reload
	;; [unrolled: 1-line block ×4, first 2 shown]
	v_mov_b32_e32 v100, 1
	s_waitcnt vmcnt(0)
	ds_write2_b64 v98, v[104:105], v[106:107] offset0:4 offset1:5
	buffer_load_dword v104, off, s[24:27], 0 offset:176 ; 4-byte Folded Reload
	buffer_load_dword v105, off, s[24:27], 0 offset:180 ; 4-byte Folded Reload
	buffer_load_dword v106, off, s[24:27], 0 offset:184 ; 4-byte Folded Reload
	buffer_load_dword v107, off, s[24:27], 0 offset:188 ; 4-byte Folded Reload
	s_waitcnt vmcnt(0)
	ds_write2_b64 v98, v[104:105], v[106:107] offset0:6 offset1:7
	buffer_load_dword v104, off, s[24:27], 0 offset:160 ; 4-byte Folded Reload
	buffer_load_dword v105, off, s[24:27], 0 offset:164 ; 4-byte Folded Reload
	buffer_load_dword v106, off, s[24:27], 0 offset:168 ; 4-byte Folded Reload
	buffer_load_dword v107, off, s[24:27], 0 offset:172 ; 4-byte Folded Reload
	;; [unrolled: 6-line block ×11, first 2 shown]
	s_waitcnt vmcnt(0)
	ds_write2_b64 v98, v[104:105], v[106:107] offset0:26 offset1:27
	buffer_load_dword v104, off, s[24:27], 0 ; 4-byte Folded Reload
	buffer_load_dword v105, off, s[24:27], 0 offset:4 ; 4-byte Folded Reload
	buffer_load_dword v106, off, s[24:27], 0 offset:8 ; 4-byte Folded Reload
	;; [unrolled: 1-line block ×3, first 2 shown]
	s_waitcnt vmcnt(0)
	ds_write2_b64 v98, v[104:105], v[106:107] offset0:28 offset1:29
	ds_write2_b64 v98, v[93:94], v[95:96] offset0:30 offset1:31
	;; [unrolled: 1-line block ×26, first 2 shown]
.LBB78_39:
	s_or_b64 exec, exec, s[0:1]
	v_cmp_lt_i32_e32 vcc, 1, v100
	s_waitcnt vmcnt(0) lgkmcnt(0)
	s_barrier
	s_and_saveexec_b64 s[0:1], vcc
	s_cbranch_execz .LBB78_41
; %bb.40:
	buffer_load_dword v108, off, s[24:27], 0 offset:208 ; 4-byte Folded Reload
	buffer_load_dword v109, off, s[24:27], 0 offset:212 ; 4-byte Folded Reload
	;; [unrolled: 1-line block ×4, first 2 shown]
	ds_read2_b64 v[104:107], v98 offset0:4 offset1:5
	s_waitcnt vmcnt(0)
	v_mul_f64 v[101:102], v[123:124], v[110:111]
	v_fma_f64 v[125:126], v[121:122], v[108:109], -v[101:102]
	v_mul_f64 v[101:102], v[121:122], v[110:111]
	v_fma_f64 v[110:111], v[123:124], v[108:109], v[101:102]
	s_waitcnt lgkmcnt(0)
	v_mul_f64 v[101:102], v[106:107], v[110:111]
	v_fma_f64 v[101:102], v[104:105], v[125:126], -v[101:102]
	v_mul_f64 v[104:105], v[104:105], v[110:111]
	v_fma_f64 v[104:105], v[106:107], v[125:126], v[104:105]
	buffer_load_dword v106, off, s[24:27], 0 offset:192 ; 4-byte Folded Reload
	buffer_load_dword v107, off, s[24:27], 0 offset:196 ; 4-byte Folded Reload
	buffer_load_dword v108, off, s[24:27], 0 offset:200 ; 4-byte Folded Reload
	buffer_load_dword v109, off, s[24:27], 0 offset:204 ; 4-byte Folded Reload
	s_waitcnt vmcnt(2)
	v_add_f64 v[106:107], v[106:107], -v[101:102]
	s_waitcnt vmcnt(0)
	v_add_f64 v[108:109], v[108:109], -v[104:105]
	buffer_store_dword v106, off, s[24:27], 0 offset:192 ; 4-byte Folded Spill
	s_nop 0
	buffer_store_dword v107, off, s[24:27], 0 offset:196 ; 4-byte Folded Spill
	buffer_store_dword v108, off, s[24:27], 0 offset:200 ; 4-byte Folded Spill
	buffer_store_dword v109, off, s[24:27], 0 offset:204 ; 4-byte Folded Spill
	ds_read2_b64 v[104:107], v98 offset0:6 offset1:7
	s_waitcnt lgkmcnt(0)
	v_mul_f64 v[101:102], v[106:107], v[110:111]
	v_fma_f64 v[101:102], v[104:105], v[125:126], -v[101:102]
	v_mul_f64 v[104:105], v[104:105], v[110:111]
	v_fma_f64 v[104:105], v[106:107], v[125:126], v[104:105]
	buffer_load_dword v106, off, s[24:27], 0 offset:176 ; 4-byte Folded Reload
	buffer_load_dword v107, off, s[24:27], 0 offset:180 ; 4-byte Folded Reload
	buffer_load_dword v108, off, s[24:27], 0 offset:184 ; 4-byte Folded Reload
	buffer_load_dword v109, off, s[24:27], 0 offset:188 ; 4-byte Folded Reload
	s_waitcnt vmcnt(2)
	v_add_f64 v[106:107], v[106:107], -v[101:102]
	s_waitcnt vmcnt(0)
	v_add_f64 v[108:109], v[108:109], -v[104:105]
	buffer_store_dword v106, off, s[24:27], 0 offset:176 ; 4-byte Folded Spill
	s_nop 0
	buffer_store_dword v107, off, s[24:27], 0 offset:180 ; 4-byte Folded Spill
	buffer_store_dword v108, off, s[24:27], 0 offset:184 ; 4-byte Folded Spill
	buffer_store_dword v109, off, s[24:27], 0 offset:188 ; 4-byte Folded Spill
	ds_read2_b64 v[104:107], v98 offset0:8 offset1:9
	;; [unrolled: 19-line block ×12, first 2 shown]
	s_waitcnt lgkmcnt(0)
	v_mul_f64 v[101:102], v[106:107], v[110:111]
	v_fma_f64 v[101:102], v[104:105], v[125:126], -v[101:102]
	v_mul_f64 v[104:105], v[104:105], v[110:111]
	v_fma_f64 v[104:105], v[106:107], v[125:126], v[104:105]
	buffer_load_dword v106, off, s[24:27], 0 ; 4-byte Folded Reload
	buffer_load_dword v107, off, s[24:27], 0 offset:4 ; 4-byte Folded Reload
	buffer_load_dword v108, off, s[24:27], 0 offset:8 ; 4-byte Folded Reload
	;; [unrolled: 1-line block ×3, first 2 shown]
	s_waitcnt vmcnt(2)
	v_add_f64 v[106:107], v[106:107], -v[101:102]
	s_waitcnt vmcnt(0)
	v_add_f64 v[108:109], v[108:109], -v[104:105]
	buffer_store_dword v106, off, s[24:27], 0 ; 4-byte Folded Spill
	s_nop 0
	buffer_store_dword v107, off, s[24:27], 0 offset:4 ; 4-byte Folded Spill
	buffer_store_dword v108, off, s[24:27], 0 offset:8 ; 4-byte Folded Spill
	;; [unrolled: 1-line block ×3, first 2 shown]
	ds_read2_b64 v[104:107], v98 offset0:30 offset1:31
	v_mov_b32_e32 v108, v125
	v_mov_b32_e32 v109, v126
	s_waitcnt lgkmcnt(0)
	v_mul_f64 v[101:102], v[106:107], v[110:111]
	v_fma_f64 v[101:102], v[104:105], v[125:126], -v[101:102]
	v_mul_f64 v[104:105], v[104:105], v[110:111]
	v_add_f64 v[93:94], v[93:94], -v[101:102]
	v_fma_f64 v[104:105], v[106:107], v[125:126], v[104:105]
	v_add_f64 v[95:96], v[95:96], -v[104:105]
	ds_read2_b64 v[104:107], v98 offset0:32 offset1:33
	s_waitcnt lgkmcnt(0)
	v_mul_f64 v[101:102], v[106:107], v[110:111]
	v_fma_f64 v[101:102], v[104:105], v[125:126], -v[101:102]
	v_mul_f64 v[104:105], v[104:105], v[110:111]
	v_add_f64 v[89:90], v[89:90], -v[101:102]
	v_fma_f64 v[104:105], v[106:107], v[125:126], v[104:105]
	v_add_f64 v[91:92], v[91:92], -v[104:105]
	ds_read2_b64 v[104:107], v98 offset0:34 offset1:35
	;; [unrolled: 8-line block ×24, first 2 shown]
	s_waitcnt lgkmcnt(0)
	v_mul_f64 v[101:102], v[106:107], v[110:111]
	v_fma_f64 v[101:102], v[104:105], v[125:126], -v[101:102]
	v_mul_f64 v[104:105], v[104:105], v[110:111]
	buffer_store_dword v108, off, s[24:27], 0 offset:208 ; 4-byte Folded Spill
	s_nop 0
	buffer_store_dword v109, off, s[24:27], 0 offset:212 ; 4-byte Folded Spill
	buffer_store_dword v110, off, s[24:27], 0 offset:216 ; 4-byte Folded Spill
	;; [unrolled: 1-line block ×3, first 2 shown]
	v_add_f64 v[117:118], v[117:118], -v[101:102]
	v_fma_f64 v[104:105], v[106:107], v[125:126], v[104:105]
	v_add_f64 v[119:120], v[119:120], -v[104:105]
.LBB78_41:
	s_or_b64 exec, exec, s[0:1]
	s_waitcnt vmcnt(0)
	s_barrier
	buffer_load_dword v104, off, s[24:27], 0 offset:192 ; 4-byte Folded Reload
	buffer_load_dword v105, off, s[24:27], 0 offset:196 ; 4-byte Folded Reload
	;; [unrolled: 1-line block ×4, first 2 shown]
	v_lshl_add_u32 v101, v100, 4, v98
	s_cmp_lt_i32 s3, 4
	s_waitcnt vmcnt(0)
	ds_write2_b64 v101, v[104:105], v[106:107] offset1:1
	s_waitcnt lgkmcnt(0)
	s_barrier
	ds_read2_b64 v[121:124], v98 offset0:4 offset1:5
	v_mov_b32_e32 v101, 2
	s_cbranch_scc1 .LBB78_44
; %bb.42:
	v_add3_u32 v102, v103, 0, 48
	s_mov_b32 s0, 3
	v_mov_b32_e32 v101, 2
.LBB78_43:                              ; =>This Inner Loop Header: Depth=1
	s_waitcnt lgkmcnt(0)
	v_cmp_gt_f64_e32 vcc, 0, v[121:122]
	v_xor_b32_e32 v108, 0x80000000, v122
	ds_read2_b64 v[104:107], v102 offset1:1
	v_xor_b32_e32 v110, 0x80000000, v124
	v_add_u32_e32 v102, 16, v102
	s_waitcnt lgkmcnt(0)
	v_xor_b32_e32 v112, 0x80000000, v107
	v_cndmask_b32_e32 v109, v122, v108, vcc
	v_cmp_gt_f64_e32 vcc, 0, v[123:124]
	v_mov_b32_e32 v108, v121
	v_cndmask_b32_e32 v111, v124, v110, vcc
	v_cmp_gt_f64_e32 vcc, 0, v[104:105]
	v_mov_b32_e32 v110, v123
	v_add_f64 v[108:109], v[108:109], v[110:111]
	v_xor_b32_e32 v110, 0x80000000, v105
	v_cndmask_b32_e32 v111, v105, v110, vcc
	v_cmp_gt_f64_e32 vcc, 0, v[106:107]
	v_mov_b32_e32 v110, v104
	v_cndmask_b32_e32 v113, v107, v112, vcc
	v_mov_b32_e32 v112, v106
	v_add_f64 v[110:111], v[110:111], v[112:113]
	v_cmp_lt_f64_e32 vcc, v[108:109], v[110:111]
	v_cndmask_b32_e32 v121, v121, v104, vcc
	v_mov_b32_e32 v104, s0
	s_add_i32 s0, s0, 1
	v_cndmask_b32_e32 v122, v122, v105, vcc
	v_cndmask_b32_e32 v124, v124, v107, vcc
	;; [unrolled: 1-line block ×4, first 2 shown]
	s_cmp_lg_u32 s3, s0
	s_cbranch_scc1 .LBB78_43
.LBB78_44:
	s_waitcnt lgkmcnt(0)
	v_cmp_eq_f64_e32 vcc, 0, v[121:122]
	v_cmp_eq_f64_e64 s[0:1], 0, v[123:124]
	s_and_b64 s[0:1], vcc, s[0:1]
	s_and_saveexec_b64 s[18:19], s[0:1]
	s_xor_b64 s[0:1], exec, s[18:19]
; %bb.45:
	v_cmp_ne_u32_e32 vcc, 0, v99
	v_cndmask_b32_e32 v99, 3, v99, vcc
; %bb.46:
	s_andn2_saveexec_b64 s[0:1], s[0:1]
	s_cbranch_execz .LBB78_52
; %bb.47:
	v_cmp_ngt_f64_e64 s[18:19], |v[121:122]|, |v[123:124]|
	s_and_saveexec_b64 s[20:21], s[18:19]
	s_xor_b64 s[18:19], exec, s[20:21]
	s_cbranch_execz .LBB78_49
; %bb.48:
	v_div_scale_f64 v[104:105], s[20:21], v[123:124], v[123:124], v[121:122]
	v_rcp_f64_e32 v[106:107], v[104:105]
	v_fma_f64 v[108:109], -v[104:105], v[106:107], 1.0
	v_fma_f64 v[106:107], v[106:107], v[108:109], v[106:107]
	v_div_scale_f64 v[108:109], vcc, v[121:122], v[123:124], v[121:122]
	v_fma_f64 v[110:111], -v[104:105], v[106:107], 1.0
	v_fma_f64 v[106:107], v[106:107], v[110:111], v[106:107]
	v_mul_f64 v[110:111], v[108:109], v[106:107]
	v_fma_f64 v[104:105], -v[104:105], v[110:111], v[108:109]
	v_div_fmas_f64 v[104:105], v[104:105], v[106:107], v[110:111]
	v_div_fixup_f64 v[104:105], v[104:105], v[123:124], v[121:122]
	v_fma_f64 v[106:107], v[121:122], v[104:105], v[123:124]
	v_div_scale_f64 v[108:109], s[20:21], v[106:107], v[106:107], 1.0
	v_div_scale_f64 v[114:115], vcc, 1.0, v[106:107], 1.0
	v_rcp_f64_e32 v[110:111], v[108:109]
	v_fma_f64 v[112:113], -v[108:109], v[110:111], 1.0
	v_fma_f64 v[110:111], v[110:111], v[112:113], v[110:111]
	v_fma_f64 v[112:113], -v[108:109], v[110:111], 1.0
	v_fma_f64 v[110:111], v[110:111], v[112:113], v[110:111]
	v_mul_f64 v[112:113], v[114:115], v[110:111]
	v_fma_f64 v[108:109], -v[108:109], v[112:113], v[114:115]
	buffer_load_dword v115, off, s[24:27], 0 offset:224 ; 4-byte Folded Reload
	buffer_load_dword v116, off, s[24:27], 0 offset:228 ; 4-byte Folded Reload
	v_div_fmas_f64 v[108:109], v[108:109], v[110:111], v[112:113]
	v_div_fixup_f64 v[123:124], v[108:109], v[106:107], 1.0
	v_mul_f64 v[121:122], v[104:105], v[123:124]
	v_xor_b32_e32 v124, 0x80000000, v124
.LBB78_49:
	s_andn2_saveexec_b64 s[18:19], s[18:19]
	s_cbranch_execz .LBB78_51
; %bb.50:
	v_div_scale_f64 v[104:105], s[20:21], v[121:122], v[121:122], v[123:124]
	v_rcp_f64_e32 v[106:107], v[104:105]
	v_fma_f64 v[108:109], -v[104:105], v[106:107], 1.0
	v_fma_f64 v[106:107], v[106:107], v[108:109], v[106:107]
	v_div_scale_f64 v[108:109], vcc, v[123:124], v[121:122], v[123:124]
	v_fma_f64 v[110:111], -v[104:105], v[106:107], 1.0
	v_fma_f64 v[106:107], v[106:107], v[110:111], v[106:107]
	v_mul_f64 v[110:111], v[108:109], v[106:107]
	v_fma_f64 v[104:105], -v[104:105], v[110:111], v[108:109]
	v_div_fmas_f64 v[104:105], v[104:105], v[106:107], v[110:111]
	v_div_fixup_f64 v[104:105], v[104:105], v[121:122], v[123:124]
	v_fma_f64 v[106:107], v[123:124], v[104:105], v[121:122]
	v_div_scale_f64 v[108:109], s[20:21], v[106:107], v[106:107], 1.0
	s_waitcnt vmcnt(1)
	v_div_scale_f64 v[114:115], vcc, 1.0, v[106:107], 1.0
	v_rcp_f64_e32 v[110:111], v[108:109]
	v_fma_f64 v[112:113], -v[108:109], v[110:111], 1.0
	v_fma_f64 v[110:111], v[110:111], v[112:113], v[110:111]
	v_fma_f64 v[112:113], -v[108:109], v[110:111], 1.0
	v_fma_f64 v[110:111], v[110:111], v[112:113], v[110:111]
	v_mul_f64 v[112:113], v[114:115], v[110:111]
	v_fma_f64 v[108:109], -v[108:109], v[112:113], v[114:115]
	buffer_load_dword v115, off, s[24:27], 0 offset:224 ; 4-byte Folded Reload
	buffer_load_dword v116, off, s[24:27], 0 offset:228 ; 4-byte Folded Reload
	v_div_fmas_f64 v[108:109], v[108:109], v[110:111], v[112:113]
	v_div_fixup_f64 v[121:122], v[108:109], v[106:107], 1.0
	v_mul_f64 v[123:124], v[104:105], -v[121:122]
.LBB78_51:
	s_or_b64 exec, exec, s[18:19]
.LBB78_52:
	s_or_b64 exec, exec, s[0:1]
	v_cmp_ne_u32_e32 vcc, v100, v101
	s_and_saveexec_b64 s[0:1], vcc
	s_xor_b64 s[0:1], exec, s[0:1]
	s_cbranch_execz .LBB78_58
; %bb.53:
	v_cmp_eq_u32_e32 vcc, 2, v100
	s_and_saveexec_b64 s[18:19], vcc
	s_cbranch_execz .LBB78_57
; %bb.54:
	v_cmp_ne_u32_e32 vcc, 2, v101
	s_xor_b64 s[20:21], s[6:7], -1
	s_and_b64 s[22:23], s[20:21], vcc
	s_and_saveexec_b64 s[20:21], s[22:23]
	s_cbranch_execz .LBB78_56
; %bb.55:
	v_ashrrev_i32_e32 v102, 31, v101
	v_lshlrev_b64 v[104:105], 2, v[101:102]
	s_waitcnt vmcnt(1)
	v_add_co_u32_e32 v104, vcc, v115, v104
	s_waitcnt vmcnt(0)
	v_addc_co_u32_e32 v105, vcc, v116, v105, vcc
	global_load_dword v0, v[104:105], off
	global_load_dword v100, v[115:116], off offset:8
	s_waitcnt vmcnt(1)
	global_store_dword v[115:116], v0, off offset:8
	s_waitcnt vmcnt(1)
	global_store_dword v[104:105], v100, off
.LBB78_56:
	s_or_b64 exec, exec, s[20:21]
	v_mov_b32_e32 v100, v101
	v_mov_b32_e32 v0, v101
.LBB78_57:
	s_or_b64 exec, exec, s[18:19]
.LBB78_58:
	s_andn2_saveexec_b64 s[0:1], s[0:1]
	s_cbranch_execz .LBB78_60
; %bb.59:
	buffer_load_dword v104, off, s[24:27], 0 offset:176 ; 4-byte Folded Reload
	buffer_load_dword v105, off, s[24:27], 0 offset:180 ; 4-byte Folded Reload
	;; [unrolled: 1-line block ×4, first 2 shown]
	v_mov_b32_e32 v100, 2
	s_waitcnt vmcnt(0)
	ds_write2_b64 v98, v[104:105], v[106:107] offset0:6 offset1:7
	buffer_load_dword v104, off, s[24:27], 0 offset:160 ; 4-byte Folded Reload
	buffer_load_dword v105, off, s[24:27], 0 offset:164 ; 4-byte Folded Reload
	buffer_load_dword v106, off, s[24:27], 0 offset:168 ; 4-byte Folded Reload
	buffer_load_dword v107, off, s[24:27], 0 offset:172 ; 4-byte Folded Reload
	s_waitcnt vmcnt(0)
	ds_write2_b64 v98, v[104:105], v[106:107] offset0:8 offset1:9
	buffer_load_dword v104, off, s[24:27], 0 offset:144 ; 4-byte Folded Reload
	buffer_load_dword v105, off, s[24:27], 0 offset:148 ; 4-byte Folded Reload
	buffer_load_dword v106, off, s[24:27], 0 offset:152 ; 4-byte Folded Reload
	buffer_load_dword v107, off, s[24:27], 0 offset:156 ; 4-byte Folded Reload
	s_waitcnt vmcnt(0)
	ds_write2_b64 v98, v[104:105], v[106:107] offset0:10 offset1:11
	buffer_load_dword v104, off, s[24:27], 0 offset:128 ; 4-byte Folded Reload
	buffer_load_dword v105, off, s[24:27], 0 offset:132 ; 4-byte Folded Reload
	buffer_load_dword v106, off, s[24:27], 0 offset:136 ; 4-byte Folded Reload
	buffer_load_dword v107, off, s[24:27], 0 offset:140 ; 4-byte Folded Reload
	s_waitcnt vmcnt(0)
	ds_write2_b64 v98, v[104:105], v[106:107] offset0:12 offset1:13
	buffer_load_dword v104, off, s[24:27], 0 offset:112 ; 4-byte Folded Reload
	buffer_load_dword v105, off, s[24:27], 0 offset:116 ; 4-byte Folded Reload
	buffer_load_dword v106, off, s[24:27], 0 offset:120 ; 4-byte Folded Reload
	buffer_load_dword v107, off, s[24:27], 0 offset:124 ; 4-byte Folded Reload
	s_waitcnt vmcnt(0)
	ds_write2_b64 v98, v[104:105], v[106:107] offset0:14 offset1:15
	buffer_load_dword v104, off, s[24:27], 0 offset:96 ; 4-byte Folded Reload
	buffer_load_dword v105, off, s[24:27], 0 offset:100 ; 4-byte Folded Reload
	buffer_load_dword v106, off, s[24:27], 0 offset:104 ; 4-byte Folded Reload
	buffer_load_dword v107, off, s[24:27], 0 offset:108 ; 4-byte Folded Reload
	s_waitcnt vmcnt(0)
	ds_write2_b64 v98, v[104:105], v[106:107] offset0:16 offset1:17
	buffer_load_dword v104, off, s[24:27], 0 offset:80 ; 4-byte Folded Reload
	buffer_load_dword v105, off, s[24:27], 0 offset:84 ; 4-byte Folded Reload
	buffer_load_dword v106, off, s[24:27], 0 offset:88 ; 4-byte Folded Reload
	buffer_load_dword v107, off, s[24:27], 0 offset:92 ; 4-byte Folded Reload
	s_waitcnt vmcnt(0)
	ds_write2_b64 v98, v[104:105], v[106:107] offset0:18 offset1:19
	buffer_load_dword v104, off, s[24:27], 0 offset:64 ; 4-byte Folded Reload
	buffer_load_dword v105, off, s[24:27], 0 offset:68 ; 4-byte Folded Reload
	buffer_load_dword v106, off, s[24:27], 0 offset:72 ; 4-byte Folded Reload
	buffer_load_dword v107, off, s[24:27], 0 offset:76 ; 4-byte Folded Reload
	s_waitcnt vmcnt(0)
	ds_write2_b64 v98, v[104:105], v[106:107] offset0:20 offset1:21
	buffer_load_dword v104, off, s[24:27], 0 offset:48 ; 4-byte Folded Reload
	buffer_load_dword v105, off, s[24:27], 0 offset:52 ; 4-byte Folded Reload
	buffer_load_dword v106, off, s[24:27], 0 offset:56 ; 4-byte Folded Reload
	buffer_load_dword v107, off, s[24:27], 0 offset:60 ; 4-byte Folded Reload
	s_waitcnt vmcnt(0)
	ds_write2_b64 v98, v[104:105], v[106:107] offset0:22 offset1:23
	buffer_load_dword v104, off, s[24:27], 0 offset:32 ; 4-byte Folded Reload
	buffer_load_dword v105, off, s[24:27], 0 offset:36 ; 4-byte Folded Reload
	buffer_load_dword v106, off, s[24:27], 0 offset:40 ; 4-byte Folded Reload
	buffer_load_dword v107, off, s[24:27], 0 offset:44 ; 4-byte Folded Reload
	s_waitcnt vmcnt(0)
	ds_write2_b64 v98, v[104:105], v[106:107] offset0:24 offset1:25
	buffer_load_dword v104, off, s[24:27], 0 offset:16 ; 4-byte Folded Reload
	buffer_load_dword v105, off, s[24:27], 0 offset:20 ; 4-byte Folded Reload
	buffer_load_dword v106, off, s[24:27], 0 offset:24 ; 4-byte Folded Reload
	buffer_load_dword v107, off, s[24:27], 0 offset:28 ; 4-byte Folded Reload
	s_waitcnt vmcnt(0)
	ds_write2_b64 v98, v[104:105], v[106:107] offset0:26 offset1:27
	buffer_load_dword v104, off, s[24:27], 0 ; 4-byte Folded Reload
	buffer_load_dword v105, off, s[24:27], 0 offset:4 ; 4-byte Folded Reload
	buffer_load_dword v106, off, s[24:27], 0 offset:8 ; 4-byte Folded Reload
	;; [unrolled: 1-line block ×3, first 2 shown]
	s_waitcnt vmcnt(0)
	ds_write2_b64 v98, v[104:105], v[106:107] offset0:28 offset1:29
	ds_write2_b64 v98, v[93:94], v[95:96] offset0:30 offset1:31
	;; [unrolled: 1-line block ×26, first 2 shown]
.LBB78_60:
	s_or_b64 exec, exec, s[0:1]
	v_cmp_lt_i32_e32 vcc, 2, v100
	s_waitcnt vmcnt(0) lgkmcnt(0)
	s_barrier
	s_and_saveexec_b64 s[0:1], vcc
	s_cbranch_execz .LBB78_62
; %bb.61:
	buffer_load_dword v108, off, s[24:27], 0 offset:192 ; 4-byte Folded Reload
	buffer_load_dword v109, off, s[24:27], 0 offset:196 ; 4-byte Folded Reload
	buffer_load_dword v110, off, s[24:27], 0 offset:200 ; 4-byte Folded Reload
	buffer_load_dword v111, off, s[24:27], 0 offset:204 ; 4-byte Folded Reload
	ds_read2_b64 v[104:107], v98 offset0:6 offset1:7
	s_waitcnt vmcnt(0)
	v_mul_f64 v[101:102], v[123:124], v[110:111]
	v_fma_f64 v[125:126], v[121:122], v[108:109], -v[101:102]
	v_mul_f64 v[101:102], v[121:122], v[110:111]
	v_fma_f64 v[110:111], v[123:124], v[108:109], v[101:102]
	s_waitcnt lgkmcnt(0)
	v_mul_f64 v[101:102], v[106:107], v[110:111]
	v_fma_f64 v[101:102], v[104:105], v[125:126], -v[101:102]
	v_mul_f64 v[104:105], v[104:105], v[110:111]
	v_fma_f64 v[104:105], v[106:107], v[125:126], v[104:105]
	buffer_load_dword v106, off, s[24:27], 0 offset:176 ; 4-byte Folded Reload
	buffer_load_dword v107, off, s[24:27], 0 offset:180 ; 4-byte Folded Reload
	buffer_load_dword v108, off, s[24:27], 0 offset:184 ; 4-byte Folded Reload
	buffer_load_dword v109, off, s[24:27], 0 offset:188 ; 4-byte Folded Reload
	s_waitcnt vmcnt(2)
	v_add_f64 v[106:107], v[106:107], -v[101:102]
	s_waitcnt vmcnt(0)
	v_add_f64 v[108:109], v[108:109], -v[104:105]
	buffer_store_dword v106, off, s[24:27], 0 offset:176 ; 4-byte Folded Spill
	s_nop 0
	buffer_store_dword v107, off, s[24:27], 0 offset:180 ; 4-byte Folded Spill
	buffer_store_dword v108, off, s[24:27], 0 offset:184 ; 4-byte Folded Spill
	buffer_store_dword v109, off, s[24:27], 0 offset:188 ; 4-byte Folded Spill
	ds_read2_b64 v[104:107], v98 offset0:8 offset1:9
	s_waitcnt lgkmcnt(0)
	v_mul_f64 v[101:102], v[106:107], v[110:111]
	v_fma_f64 v[101:102], v[104:105], v[125:126], -v[101:102]
	v_mul_f64 v[104:105], v[104:105], v[110:111]
	v_fma_f64 v[104:105], v[106:107], v[125:126], v[104:105]
	buffer_load_dword v106, off, s[24:27], 0 offset:160 ; 4-byte Folded Reload
	buffer_load_dword v107, off, s[24:27], 0 offset:164 ; 4-byte Folded Reload
	buffer_load_dword v108, off, s[24:27], 0 offset:168 ; 4-byte Folded Reload
	buffer_load_dword v109, off, s[24:27], 0 offset:172 ; 4-byte Folded Reload
	s_waitcnt vmcnt(2)
	v_add_f64 v[106:107], v[106:107], -v[101:102]
	s_waitcnt vmcnt(0)
	v_add_f64 v[108:109], v[108:109], -v[104:105]
	buffer_store_dword v106, off, s[24:27], 0 offset:160 ; 4-byte Folded Spill
	s_nop 0
	buffer_store_dword v107, off, s[24:27], 0 offset:164 ; 4-byte Folded Spill
	buffer_store_dword v108, off, s[24:27], 0 offset:168 ; 4-byte Folded Spill
	buffer_store_dword v109, off, s[24:27], 0 offset:172 ; 4-byte Folded Spill
	ds_read2_b64 v[104:107], v98 offset0:10 offset1:11
	;; [unrolled: 19-line block ×11, first 2 shown]
	s_waitcnt lgkmcnt(0)
	v_mul_f64 v[101:102], v[106:107], v[110:111]
	v_fma_f64 v[101:102], v[104:105], v[125:126], -v[101:102]
	v_mul_f64 v[104:105], v[104:105], v[110:111]
	v_fma_f64 v[104:105], v[106:107], v[125:126], v[104:105]
	buffer_load_dword v106, off, s[24:27], 0 ; 4-byte Folded Reload
	buffer_load_dword v107, off, s[24:27], 0 offset:4 ; 4-byte Folded Reload
	buffer_load_dword v108, off, s[24:27], 0 offset:8 ; 4-byte Folded Reload
	;; [unrolled: 1-line block ×3, first 2 shown]
	s_waitcnt vmcnt(2)
	v_add_f64 v[106:107], v[106:107], -v[101:102]
	s_waitcnt vmcnt(0)
	v_add_f64 v[108:109], v[108:109], -v[104:105]
	buffer_store_dword v106, off, s[24:27], 0 ; 4-byte Folded Spill
	s_nop 0
	buffer_store_dword v107, off, s[24:27], 0 offset:4 ; 4-byte Folded Spill
	buffer_store_dword v108, off, s[24:27], 0 offset:8 ; 4-byte Folded Spill
	;; [unrolled: 1-line block ×3, first 2 shown]
	ds_read2_b64 v[104:107], v98 offset0:30 offset1:31
	v_mov_b32_e32 v108, v125
	v_mov_b32_e32 v109, v126
	s_waitcnt lgkmcnt(0)
	v_mul_f64 v[101:102], v[106:107], v[110:111]
	v_fma_f64 v[101:102], v[104:105], v[125:126], -v[101:102]
	v_mul_f64 v[104:105], v[104:105], v[110:111]
	v_add_f64 v[93:94], v[93:94], -v[101:102]
	v_fma_f64 v[104:105], v[106:107], v[125:126], v[104:105]
	v_add_f64 v[95:96], v[95:96], -v[104:105]
	ds_read2_b64 v[104:107], v98 offset0:32 offset1:33
	s_waitcnt lgkmcnt(0)
	v_mul_f64 v[101:102], v[106:107], v[110:111]
	v_fma_f64 v[101:102], v[104:105], v[125:126], -v[101:102]
	v_mul_f64 v[104:105], v[104:105], v[110:111]
	v_add_f64 v[89:90], v[89:90], -v[101:102]
	v_fma_f64 v[104:105], v[106:107], v[125:126], v[104:105]
	v_add_f64 v[91:92], v[91:92], -v[104:105]
	ds_read2_b64 v[104:107], v98 offset0:34 offset1:35
	;; [unrolled: 8-line block ×24, first 2 shown]
	s_waitcnt lgkmcnt(0)
	v_mul_f64 v[101:102], v[106:107], v[110:111]
	v_fma_f64 v[101:102], v[104:105], v[125:126], -v[101:102]
	v_mul_f64 v[104:105], v[104:105], v[110:111]
	buffer_store_dword v108, off, s[24:27], 0 offset:192 ; 4-byte Folded Spill
	s_nop 0
	buffer_store_dword v109, off, s[24:27], 0 offset:196 ; 4-byte Folded Spill
	buffer_store_dword v110, off, s[24:27], 0 offset:200 ; 4-byte Folded Spill
	;; [unrolled: 1-line block ×3, first 2 shown]
	v_add_f64 v[117:118], v[117:118], -v[101:102]
	v_fma_f64 v[104:105], v[106:107], v[125:126], v[104:105]
	v_add_f64 v[119:120], v[119:120], -v[104:105]
.LBB78_62:
	s_or_b64 exec, exec, s[0:1]
	s_waitcnt vmcnt(0)
	s_barrier
	buffer_load_dword v104, off, s[24:27], 0 offset:176 ; 4-byte Folded Reload
	buffer_load_dword v105, off, s[24:27], 0 offset:180 ; 4-byte Folded Reload
	buffer_load_dword v106, off, s[24:27], 0 offset:184 ; 4-byte Folded Reload
	buffer_load_dword v107, off, s[24:27], 0 offset:188 ; 4-byte Folded Reload
	v_lshl_add_u32 v101, v100, 4, v98
	s_mov_b32 s0, 4
	s_cmp_lt_i32 s3, 5
	s_waitcnt vmcnt(0)
	ds_write2_b64 v101, v[104:105], v[106:107] offset1:1
	s_waitcnt lgkmcnt(0)
	s_barrier
	ds_read2_b64 v[121:124], v98 offset0:6 offset1:7
	v_mov_b32_e32 v101, 3
	s_cbranch_scc1 .LBB78_65
; %bb.63:
	v_add3_u32 v102, v103, 0, 64
	v_mov_b32_e32 v101, 3
.LBB78_64:                              ; =>This Inner Loop Header: Depth=1
	s_waitcnt lgkmcnt(0)
	v_cmp_gt_f64_e32 vcc, 0, v[121:122]
	v_xor_b32_e32 v107, 0x80000000, v122
	ds_read2_b64 v[103:106], v102 offset1:1
	v_xor_b32_e32 v109, 0x80000000, v124
	v_add_u32_e32 v102, 16, v102
	s_waitcnt lgkmcnt(0)
	v_xor_b32_e32 v111, 0x80000000, v106
	v_cndmask_b32_e32 v108, v122, v107, vcc
	v_cmp_gt_f64_e32 vcc, 0, v[123:124]
	v_mov_b32_e32 v107, v121
	v_cndmask_b32_e32 v110, v124, v109, vcc
	v_cmp_gt_f64_e32 vcc, 0, v[103:104]
	v_mov_b32_e32 v109, v123
	v_add_f64 v[107:108], v[107:108], v[109:110]
	v_xor_b32_e32 v109, 0x80000000, v104
	v_cndmask_b32_e32 v110, v104, v109, vcc
	v_cmp_gt_f64_e32 vcc, 0, v[105:106]
	v_mov_b32_e32 v109, v103
	v_cndmask_b32_e32 v112, v106, v111, vcc
	v_mov_b32_e32 v111, v105
	v_add_f64 v[109:110], v[109:110], v[111:112]
	v_cmp_lt_f64_e32 vcc, v[107:108], v[109:110]
	v_cndmask_b32_e32 v121, v121, v103, vcc
	v_mov_b32_e32 v103, s0
	s_add_i32 s0, s0, 1
	v_cndmask_b32_e32 v122, v122, v104, vcc
	v_cndmask_b32_e32 v124, v124, v106, vcc
	;; [unrolled: 1-line block ×4, first 2 shown]
	s_cmp_lg_u32 s3, s0
	s_cbranch_scc1 .LBB78_64
.LBB78_65:
	s_waitcnt lgkmcnt(0)
	v_cmp_eq_f64_e32 vcc, 0, v[121:122]
	v_cmp_eq_f64_e64 s[0:1], 0, v[123:124]
	s_and_b64 s[0:1], vcc, s[0:1]
	s_and_saveexec_b64 s[18:19], s[0:1]
	s_xor_b64 s[0:1], exec, s[18:19]
; %bb.66:
	v_cmp_ne_u32_e32 vcc, 0, v99
	v_cndmask_b32_e32 v99, 4, v99, vcc
; %bb.67:
	s_andn2_saveexec_b64 s[0:1], s[0:1]
	s_cbranch_execz .LBB78_73
; %bb.68:
	v_cmp_ngt_f64_e64 s[18:19], |v[121:122]|, |v[123:124]|
	s_and_saveexec_b64 s[20:21], s[18:19]
	s_xor_b64 s[18:19], exec, s[20:21]
	s_cbranch_execz .LBB78_70
; %bb.69:
	v_div_scale_f64 v[102:103], s[20:21], v[123:124], v[123:124], v[121:122]
	v_rcp_f64_e32 v[104:105], v[102:103]
	v_fma_f64 v[106:107], -v[102:103], v[104:105], 1.0
	v_fma_f64 v[104:105], v[104:105], v[106:107], v[104:105]
	v_div_scale_f64 v[106:107], vcc, v[121:122], v[123:124], v[121:122]
	v_fma_f64 v[108:109], -v[102:103], v[104:105], 1.0
	v_fma_f64 v[104:105], v[104:105], v[108:109], v[104:105]
	v_mul_f64 v[108:109], v[106:107], v[104:105]
	v_fma_f64 v[102:103], -v[102:103], v[108:109], v[106:107]
	v_div_fmas_f64 v[102:103], v[102:103], v[104:105], v[108:109]
	v_div_fixup_f64 v[102:103], v[102:103], v[123:124], v[121:122]
	v_fma_f64 v[104:105], v[121:122], v[102:103], v[123:124]
	v_div_scale_f64 v[106:107], s[20:21], v[104:105], v[104:105], 1.0
	v_div_scale_f64 v[112:113], vcc, 1.0, v[104:105], 1.0
	v_rcp_f64_e32 v[108:109], v[106:107]
	v_fma_f64 v[110:111], -v[106:107], v[108:109], 1.0
	v_fma_f64 v[108:109], v[108:109], v[110:111], v[108:109]
	v_fma_f64 v[110:111], -v[106:107], v[108:109], 1.0
	v_fma_f64 v[108:109], v[108:109], v[110:111], v[108:109]
	v_mul_f64 v[110:111], v[112:113], v[108:109]
	v_fma_f64 v[106:107], -v[106:107], v[110:111], v[112:113]
	v_div_fmas_f64 v[106:107], v[106:107], v[108:109], v[110:111]
	v_div_fixup_f64 v[123:124], v[106:107], v[104:105], 1.0
	v_mul_f64 v[121:122], v[102:103], v[123:124]
	v_xor_b32_e32 v124, 0x80000000, v124
.LBB78_70:
	s_andn2_saveexec_b64 s[18:19], s[18:19]
	s_cbranch_execz .LBB78_72
; %bb.71:
	v_div_scale_f64 v[102:103], s[20:21], v[121:122], v[121:122], v[123:124]
	v_rcp_f64_e32 v[104:105], v[102:103]
	v_fma_f64 v[106:107], -v[102:103], v[104:105], 1.0
	v_fma_f64 v[104:105], v[104:105], v[106:107], v[104:105]
	v_div_scale_f64 v[106:107], vcc, v[123:124], v[121:122], v[123:124]
	v_fma_f64 v[108:109], -v[102:103], v[104:105], 1.0
	v_fma_f64 v[104:105], v[104:105], v[108:109], v[104:105]
	v_mul_f64 v[108:109], v[106:107], v[104:105]
	v_fma_f64 v[102:103], -v[102:103], v[108:109], v[106:107]
	v_div_fmas_f64 v[102:103], v[102:103], v[104:105], v[108:109]
	v_div_fixup_f64 v[102:103], v[102:103], v[121:122], v[123:124]
	v_fma_f64 v[104:105], v[123:124], v[102:103], v[121:122]
	v_div_scale_f64 v[106:107], s[20:21], v[104:105], v[104:105], 1.0
	v_div_scale_f64 v[112:113], vcc, 1.0, v[104:105], 1.0
	v_rcp_f64_e32 v[108:109], v[106:107]
	v_fma_f64 v[110:111], -v[106:107], v[108:109], 1.0
	v_fma_f64 v[108:109], v[108:109], v[110:111], v[108:109]
	v_fma_f64 v[110:111], -v[106:107], v[108:109], 1.0
	v_fma_f64 v[108:109], v[108:109], v[110:111], v[108:109]
	v_mul_f64 v[110:111], v[112:113], v[108:109]
	v_fma_f64 v[106:107], -v[106:107], v[110:111], v[112:113]
	v_div_fmas_f64 v[106:107], v[106:107], v[108:109], v[110:111]
	v_div_fixup_f64 v[121:122], v[106:107], v[104:105], 1.0
	v_mul_f64 v[123:124], v[102:103], -v[121:122]
.LBB78_72:
	s_or_b64 exec, exec, s[18:19]
.LBB78_73:
	s_or_b64 exec, exec, s[0:1]
	v_cmp_ne_u32_e32 vcc, v100, v101
	s_and_saveexec_b64 s[0:1], vcc
	s_xor_b64 s[0:1], exec, s[0:1]
	s_cbranch_execz .LBB78_79
; %bb.74:
	v_cmp_eq_u32_e32 vcc, 3, v100
	s_and_saveexec_b64 s[18:19], vcc
	s_cbranch_execz .LBB78_78
; %bb.75:
	v_cmp_ne_u32_e32 vcc, 3, v101
	s_xor_b64 s[20:21], s[6:7], -1
	s_and_b64 s[22:23], s[20:21], vcc
	s_and_saveexec_b64 s[20:21], s[22:23]
	s_cbranch_execz .LBB78_77
; %bb.76:
	v_ashrrev_i32_e32 v102, 31, v101
	v_lshlrev_b64 v[102:103], 2, v[101:102]
	v_add_co_u32_e32 v102, vcc, v115, v102
	v_addc_co_u32_e32 v103, vcc, v116, v103, vcc
	global_load_dword v0, v[102:103], off
	global_load_dword v100, v[115:116], off offset:12
	s_waitcnt vmcnt(1)
	global_store_dword v[115:116], v0, off offset:12
	s_waitcnt vmcnt(1)
	global_store_dword v[102:103], v100, off
.LBB78_77:
	s_or_b64 exec, exec, s[20:21]
	v_mov_b32_e32 v100, v101
	v_mov_b32_e32 v0, v101
.LBB78_78:
	s_or_b64 exec, exec, s[18:19]
.LBB78_79:
	s_andn2_saveexec_b64 s[0:1], s[0:1]
	s_cbranch_execz .LBB78_81
; %bb.80:
	buffer_load_dword v100, off, s[24:27], 0 offset:160 ; 4-byte Folded Reload
	buffer_load_dword v101, off, s[24:27], 0 offset:164 ; 4-byte Folded Reload
	buffer_load_dword v102, off, s[24:27], 0 offset:168 ; 4-byte Folded Reload
	buffer_load_dword v103, off, s[24:27], 0 offset:172 ; 4-byte Folded Reload
	s_waitcnt vmcnt(0)
	ds_write2_b64 v98, v[100:101], v[102:103] offset0:8 offset1:9
	buffer_load_dword v100, off, s[24:27], 0 offset:144 ; 4-byte Folded Reload
	buffer_load_dword v101, off, s[24:27], 0 offset:148 ; 4-byte Folded Reload
	buffer_load_dword v102, off, s[24:27], 0 offset:152 ; 4-byte Folded Reload
	buffer_load_dword v103, off, s[24:27], 0 offset:156 ; 4-byte Folded Reload
	s_waitcnt vmcnt(0)
	ds_write2_b64 v98, v[100:101], v[102:103] offset0:10 offset1:11
	;; [unrolled: 6-line block ×10, first 2 shown]
	buffer_load_dword v100, off, s[24:27], 0 ; 4-byte Folded Reload
	buffer_load_dword v101, off, s[24:27], 0 offset:4 ; 4-byte Folded Reload
	buffer_load_dword v102, off, s[24:27], 0 offset:8 ; 4-byte Folded Reload
	buffer_load_dword v103, off, s[24:27], 0 offset:12 ; 4-byte Folded Reload
	s_waitcnt vmcnt(0)
	ds_write2_b64 v98, v[100:101], v[102:103] offset0:28 offset1:29
	ds_write2_b64 v98, v[93:94], v[95:96] offset0:30 offset1:31
	;; [unrolled: 1-line block ×26, first 2 shown]
	v_mov_b32_e32 v100, 3
.LBB78_81:
	s_or_b64 exec, exec, s[0:1]
	v_cmp_lt_i32_e32 vcc, 3, v100
	s_waitcnt vmcnt(0) lgkmcnt(0)
	s_barrier
	s_and_saveexec_b64 s[0:1], vcc
	s_cbranch_execz .LBB78_83
; %bb.82:
	buffer_load_dword v109, off, s[24:27], 0 offset:176 ; 4-byte Folded Reload
	buffer_load_dword v110, off, s[24:27], 0 offset:180 ; 4-byte Folded Reload
	;; [unrolled: 1-line block ×4, first 2 shown]
	s_waitcnt vmcnt(0)
	v_mul_f64 v[101:102], v[123:124], v[111:112]
	v_fma_f64 v[125:126], v[121:122], v[109:110], -v[101:102]
	v_mul_f64 v[101:102], v[121:122], v[111:112]
	v_fma_f64 v[111:112], v[123:124], v[109:110], v[101:102]
	ds_read2_b64 v[101:104], v98 offset0:8 offset1:9
	buffer_load_dword v107, off, s[24:27], 0 offset:160 ; 4-byte Folded Reload
	buffer_load_dword v108, off, s[24:27], 0 offset:164 ; 4-byte Folded Reload
	buffer_load_dword v109, off, s[24:27], 0 offset:168 ; 4-byte Folded Reload
	buffer_load_dword v110, off, s[24:27], 0 offset:172 ; 4-byte Folded Reload
	s_waitcnt lgkmcnt(0)
	v_mul_f64 v[105:106], v[103:104], v[111:112]
	v_fma_f64 v[105:106], v[101:102], v[125:126], -v[105:106]
	v_mul_f64 v[101:102], v[101:102], v[111:112]
	v_fma_f64 v[101:102], v[103:104], v[125:126], v[101:102]
	s_waitcnt vmcnt(2)
	v_add_f64 v[107:108], v[107:108], -v[105:106]
	s_waitcnt vmcnt(0)
	v_add_f64 v[109:110], v[109:110], -v[101:102]
	buffer_store_dword v107, off, s[24:27], 0 offset:160 ; 4-byte Folded Spill
	s_nop 0
	buffer_store_dword v108, off, s[24:27], 0 offset:164 ; 4-byte Folded Spill
	buffer_store_dword v109, off, s[24:27], 0 offset:168 ; 4-byte Folded Spill
	buffer_store_dword v110, off, s[24:27], 0 offset:172 ; 4-byte Folded Spill
	ds_read2_b64 v[101:104], v98 offset0:10 offset1:11
	buffer_load_dword v107, off, s[24:27], 0 offset:144 ; 4-byte Folded Reload
	buffer_load_dword v108, off, s[24:27], 0 offset:148 ; 4-byte Folded Reload
	buffer_load_dword v109, off, s[24:27], 0 offset:152 ; 4-byte Folded Reload
	buffer_load_dword v110, off, s[24:27], 0 offset:156 ; 4-byte Folded Reload
	s_waitcnt lgkmcnt(0)
	v_mul_f64 v[105:106], v[103:104], v[111:112]
	v_fma_f64 v[105:106], v[101:102], v[125:126], -v[105:106]
	v_mul_f64 v[101:102], v[101:102], v[111:112]
	v_fma_f64 v[101:102], v[103:104], v[125:126], v[101:102]
	s_waitcnt vmcnt(2)
	v_add_f64 v[107:108], v[107:108], -v[105:106]
	s_waitcnt vmcnt(0)
	v_add_f64 v[109:110], v[109:110], -v[101:102]
	buffer_store_dword v107, off, s[24:27], 0 offset:144 ; 4-byte Folded Spill
	s_nop 0
	buffer_store_dword v108, off, s[24:27], 0 offset:148 ; 4-byte Folded Spill
	buffer_store_dword v109, off, s[24:27], 0 offset:152 ; 4-byte Folded Spill
	buffer_store_dword v110, off, s[24:27], 0 offset:156 ; 4-byte Folded Spill
	;; [unrolled: 19-line block ×10, first 2 shown]
	ds_read2_b64 v[101:104], v98 offset0:28 offset1:29
	buffer_load_dword v107, off, s[24:27], 0 ; 4-byte Folded Reload
	buffer_load_dword v108, off, s[24:27], 0 offset:4 ; 4-byte Folded Reload
	buffer_load_dword v109, off, s[24:27], 0 offset:8 ; 4-byte Folded Reload
	;; [unrolled: 1-line block ×3, first 2 shown]
	s_waitcnt lgkmcnt(0)
	v_mul_f64 v[105:106], v[103:104], v[111:112]
	v_fma_f64 v[105:106], v[101:102], v[125:126], -v[105:106]
	v_mul_f64 v[101:102], v[101:102], v[111:112]
	v_fma_f64 v[101:102], v[103:104], v[125:126], v[101:102]
	s_waitcnt vmcnt(2)
	v_add_f64 v[107:108], v[107:108], -v[105:106]
	s_waitcnt vmcnt(0)
	v_add_f64 v[109:110], v[109:110], -v[101:102]
	buffer_store_dword v107, off, s[24:27], 0 ; 4-byte Folded Spill
	s_nop 0
	buffer_store_dword v108, off, s[24:27], 0 offset:4 ; 4-byte Folded Spill
	buffer_store_dword v109, off, s[24:27], 0 offset:8 ; 4-byte Folded Spill
	;; [unrolled: 1-line block ×3, first 2 shown]
	ds_read2_b64 v[101:104], v98 offset0:30 offset1:31
	v_mov_b32_e32 v109, v125
	v_mov_b32_e32 v110, v126
	s_waitcnt lgkmcnt(0)
	v_mul_f64 v[105:106], v[103:104], v[111:112]
	v_fma_f64 v[105:106], v[101:102], v[125:126], -v[105:106]
	v_mul_f64 v[101:102], v[101:102], v[111:112]
	v_add_f64 v[93:94], v[93:94], -v[105:106]
	v_fma_f64 v[101:102], v[103:104], v[125:126], v[101:102]
	v_add_f64 v[95:96], v[95:96], -v[101:102]
	ds_read2_b64 v[101:104], v98 offset0:32 offset1:33
	s_waitcnt lgkmcnt(0)
	v_mul_f64 v[105:106], v[103:104], v[111:112]
	v_fma_f64 v[105:106], v[101:102], v[125:126], -v[105:106]
	v_mul_f64 v[101:102], v[101:102], v[111:112]
	v_add_f64 v[89:90], v[89:90], -v[105:106]
	v_fma_f64 v[101:102], v[103:104], v[125:126], v[101:102]
	v_add_f64 v[91:92], v[91:92], -v[101:102]
	ds_read2_b64 v[101:104], v98 offset0:34 offset1:35
	;; [unrolled: 8-line block ×24, first 2 shown]
	s_waitcnt lgkmcnt(0)
	v_mul_f64 v[105:106], v[103:104], v[111:112]
	v_fma_f64 v[105:106], v[101:102], v[125:126], -v[105:106]
	v_mul_f64 v[101:102], v[101:102], v[111:112]
	buffer_store_dword v109, off, s[24:27], 0 offset:176 ; 4-byte Folded Spill
	s_nop 0
	buffer_store_dword v110, off, s[24:27], 0 offset:180 ; 4-byte Folded Spill
	buffer_store_dword v111, off, s[24:27], 0 offset:184 ; 4-byte Folded Spill
	;; [unrolled: 1-line block ×3, first 2 shown]
	v_add_f64 v[117:118], v[117:118], -v[105:106]
	v_fma_f64 v[101:102], v[103:104], v[125:126], v[101:102]
	v_add_f64 v[119:120], v[119:120], -v[101:102]
.LBB78_83:
	s_or_b64 exec, exec, s[0:1]
	s_waitcnt vmcnt(0)
	s_barrier
	buffer_load_dword v102, off, s[24:27], 0 offset:160 ; 4-byte Folded Reload
	buffer_load_dword v103, off, s[24:27], 0 offset:164 ; 4-byte Folded Reload
	;; [unrolled: 1-line block ×4, first 2 shown]
	v_lshl_add_u32 v101, v100, 4, v98
	s_cmp_lt_i32 s3, 6
	s_waitcnt vmcnt(0)
	ds_write2_b64 v101, v[102:103], v[104:105] offset1:1
	s_waitcnt lgkmcnt(0)
	s_barrier
	ds_read2_b64 v[121:124], v98 offset0:8 offset1:9
	v_mov_b32_e32 v101, 4
	s_cbranch_scc1 .LBB78_86
; %bb.84:
	v_mov_b32_e32 v101, 4
	v_add_u32_e32 v102, 0x50, v98
	s_mov_b32 s0, 5
.LBB78_85:                              ; =>This Inner Loop Header: Depth=1
	s_waitcnt lgkmcnt(0)
	v_cmp_gt_f64_e32 vcc, 0, v[121:122]
	v_xor_b32_e32 v107, 0x80000000, v122
	ds_read2_b64 v[103:106], v102 offset1:1
	v_xor_b32_e32 v109, 0x80000000, v124
	v_add_u32_e32 v102, 16, v102
	s_waitcnt lgkmcnt(0)
	v_xor_b32_e32 v111, 0x80000000, v106
	v_cndmask_b32_e32 v108, v122, v107, vcc
	v_cmp_gt_f64_e32 vcc, 0, v[123:124]
	v_mov_b32_e32 v107, v121
	v_cndmask_b32_e32 v110, v124, v109, vcc
	v_cmp_gt_f64_e32 vcc, 0, v[103:104]
	v_mov_b32_e32 v109, v123
	v_add_f64 v[107:108], v[107:108], v[109:110]
	v_xor_b32_e32 v109, 0x80000000, v104
	v_cndmask_b32_e32 v110, v104, v109, vcc
	v_cmp_gt_f64_e32 vcc, 0, v[105:106]
	v_mov_b32_e32 v109, v103
	v_cndmask_b32_e32 v112, v106, v111, vcc
	v_mov_b32_e32 v111, v105
	v_add_f64 v[109:110], v[109:110], v[111:112]
	v_cmp_lt_f64_e32 vcc, v[107:108], v[109:110]
	v_cndmask_b32_e32 v121, v121, v103, vcc
	v_mov_b32_e32 v103, s0
	s_add_i32 s0, s0, 1
	v_cndmask_b32_e32 v122, v122, v104, vcc
	v_cndmask_b32_e32 v124, v124, v106, vcc
	v_cndmask_b32_e32 v123, v123, v105, vcc
	v_cndmask_b32_e32 v101, v101, v103, vcc
	s_cmp_lg_u32 s3, s0
	s_cbranch_scc1 .LBB78_85
.LBB78_86:
	s_waitcnt lgkmcnt(0)
	v_cmp_eq_f64_e32 vcc, 0, v[121:122]
	v_cmp_eq_f64_e64 s[0:1], 0, v[123:124]
	s_and_b64 s[0:1], vcc, s[0:1]
	s_and_saveexec_b64 s[18:19], s[0:1]
	s_xor_b64 s[0:1], exec, s[18:19]
; %bb.87:
	v_cmp_ne_u32_e32 vcc, 0, v99
	v_cndmask_b32_e32 v99, 5, v99, vcc
; %bb.88:
	s_andn2_saveexec_b64 s[0:1], s[0:1]
	s_cbranch_execz .LBB78_94
; %bb.89:
	v_cmp_ngt_f64_e64 s[18:19], |v[121:122]|, |v[123:124]|
	s_and_saveexec_b64 s[20:21], s[18:19]
	s_xor_b64 s[18:19], exec, s[20:21]
	s_cbranch_execz .LBB78_91
; %bb.90:
	v_div_scale_f64 v[102:103], s[20:21], v[123:124], v[123:124], v[121:122]
	v_rcp_f64_e32 v[104:105], v[102:103]
	v_fma_f64 v[106:107], -v[102:103], v[104:105], 1.0
	v_fma_f64 v[104:105], v[104:105], v[106:107], v[104:105]
	v_div_scale_f64 v[106:107], vcc, v[121:122], v[123:124], v[121:122]
	v_fma_f64 v[108:109], -v[102:103], v[104:105], 1.0
	v_fma_f64 v[104:105], v[104:105], v[108:109], v[104:105]
	v_mul_f64 v[108:109], v[106:107], v[104:105]
	v_fma_f64 v[102:103], -v[102:103], v[108:109], v[106:107]
	v_div_fmas_f64 v[102:103], v[102:103], v[104:105], v[108:109]
	v_div_fixup_f64 v[102:103], v[102:103], v[123:124], v[121:122]
	v_fma_f64 v[104:105], v[121:122], v[102:103], v[123:124]
	v_div_scale_f64 v[106:107], s[20:21], v[104:105], v[104:105], 1.0
	v_div_scale_f64 v[112:113], vcc, 1.0, v[104:105], 1.0
	v_rcp_f64_e32 v[108:109], v[106:107]
	v_fma_f64 v[110:111], -v[106:107], v[108:109], 1.0
	v_fma_f64 v[108:109], v[108:109], v[110:111], v[108:109]
	v_fma_f64 v[110:111], -v[106:107], v[108:109], 1.0
	v_fma_f64 v[108:109], v[108:109], v[110:111], v[108:109]
	v_mul_f64 v[110:111], v[112:113], v[108:109]
	v_fma_f64 v[106:107], -v[106:107], v[110:111], v[112:113]
	v_div_fmas_f64 v[106:107], v[106:107], v[108:109], v[110:111]
	v_div_fixup_f64 v[123:124], v[106:107], v[104:105], 1.0
	v_mul_f64 v[121:122], v[102:103], v[123:124]
	v_xor_b32_e32 v124, 0x80000000, v124
.LBB78_91:
	s_andn2_saveexec_b64 s[18:19], s[18:19]
	s_cbranch_execz .LBB78_93
; %bb.92:
	v_div_scale_f64 v[102:103], s[20:21], v[121:122], v[121:122], v[123:124]
	v_rcp_f64_e32 v[104:105], v[102:103]
	v_fma_f64 v[106:107], -v[102:103], v[104:105], 1.0
	v_fma_f64 v[104:105], v[104:105], v[106:107], v[104:105]
	v_div_scale_f64 v[106:107], vcc, v[123:124], v[121:122], v[123:124]
	v_fma_f64 v[108:109], -v[102:103], v[104:105], 1.0
	v_fma_f64 v[104:105], v[104:105], v[108:109], v[104:105]
	v_mul_f64 v[108:109], v[106:107], v[104:105]
	v_fma_f64 v[102:103], -v[102:103], v[108:109], v[106:107]
	v_div_fmas_f64 v[102:103], v[102:103], v[104:105], v[108:109]
	v_div_fixup_f64 v[102:103], v[102:103], v[121:122], v[123:124]
	v_fma_f64 v[104:105], v[123:124], v[102:103], v[121:122]
	v_div_scale_f64 v[106:107], s[20:21], v[104:105], v[104:105], 1.0
	v_div_scale_f64 v[112:113], vcc, 1.0, v[104:105], 1.0
	v_rcp_f64_e32 v[108:109], v[106:107]
	v_fma_f64 v[110:111], -v[106:107], v[108:109], 1.0
	v_fma_f64 v[108:109], v[108:109], v[110:111], v[108:109]
	v_fma_f64 v[110:111], -v[106:107], v[108:109], 1.0
	v_fma_f64 v[108:109], v[108:109], v[110:111], v[108:109]
	v_mul_f64 v[110:111], v[112:113], v[108:109]
	v_fma_f64 v[106:107], -v[106:107], v[110:111], v[112:113]
	v_div_fmas_f64 v[106:107], v[106:107], v[108:109], v[110:111]
	v_div_fixup_f64 v[121:122], v[106:107], v[104:105], 1.0
	v_mul_f64 v[123:124], v[102:103], -v[121:122]
.LBB78_93:
	s_or_b64 exec, exec, s[18:19]
.LBB78_94:
	s_or_b64 exec, exec, s[0:1]
	v_cmp_ne_u32_e32 vcc, v100, v101
	s_and_saveexec_b64 s[0:1], vcc
	s_xor_b64 s[0:1], exec, s[0:1]
	s_cbranch_execz .LBB78_100
; %bb.95:
	v_cmp_eq_u32_e32 vcc, 4, v100
	s_and_saveexec_b64 s[18:19], vcc
	s_cbranch_execz .LBB78_99
; %bb.96:
	v_cmp_ne_u32_e32 vcc, 4, v101
	s_xor_b64 s[20:21], s[6:7], -1
	s_and_b64 s[22:23], s[20:21], vcc
	s_and_saveexec_b64 s[20:21], s[22:23]
	s_cbranch_execz .LBB78_98
; %bb.97:
	v_ashrrev_i32_e32 v102, 31, v101
	v_lshlrev_b64 v[102:103], 2, v[101:102]
	v_add_co_u32_e32 v102, vcc, v115, v102
	v_addc_co_u32_e32 v103, vcc, v116, v103, vcc
	global_load_dword v0, v[102:103], off
	global_load_dword v100, v[115:116], off offset:16
	s_waitcnt vmcnt(1)
	global_store_dword v[115:116], v0, off offset:16
	s_waitcnt vmcnt(1)
	global_store_dword v[102:103], v100, off
.LBB78_98:
	s_or_b64 exec, exec, s[20:21]
	v_mov_b32_e32 v100, v101
	v_mov_b32_e32 v0, v101
.LBB78_99:
	s_or_b64 exec, exec, s[18:19]
.LBB78_100:
	s_andn2_saveexec_b64 s[0:1], s[0:1]
	s_cbranch_execz .LBB78_102
; %bb.101:
	buffer_load_dword v100, off, s[24:27], 0 offset:144 ; 4-byte Folded Reload
	buffer_load_dword v101, off, s[24:27], 0 offset:148 ; 4-byte Folded Reload
	buffer_load_dword v102, off, s[24:27], 0 offset:152 ; 4-byte Folded Reload
	buffer_load_dword v103, off, s[24:27], 0 offset:156 ; 4-byte Folded Reload
	s_waitcnt vmcnt(0)
	ds_write2_b64 v98, v[100:101], v[102:103] offset0:10 offset1:11
	buffer_load_dword v100, off, s[24:27], 0 offset:128 ; 4-byte Folded Reload
	buffer_load_dword v101, off, s[24:27], 0 offset:132 ; 4-byte Folded Reload
	buffer_load_dword v102, off, s[24:27], 0 offset:136 ; 4-byte Folded Reload
	buffer_load_dword v103, off, s[24:27], 0 offset:140 ; 4-byte Folded Reload
	s_waitcnt vmcnt(0)
	ds_write2_b64 v98, v[100:101], v[102:103] offset0:12 offset1:13
	;; [unrolled: 6-line block ×9, first 2 shown]
	buffer_load_dword v100, off, s[24:27], 0 ; 4-byte Folded Reload
	buffer_load_dword v101, off, s[24:27], 0 offset:4 ; 4-byte Folded Reload
	buffer_load_dword v102, off, s[24:27], 0 offset:8 ; 4-byte Folded Reload
	;; [unrolled: 1-line block ×3, first 2 shown]
	s_waitcnt vmcnt(0)
	ds_write2_b64 v98, v[100:101], v[102:103] offset0:28 offset1:29
	ds_write2_b64 v98, v[93:94], v[95:96] offset0:30 offset1:31
	;; [unrolled: 1-line block ×26, first 2 shown]
	v_mov_b32_e32 v100, 4
.LBB78_102:
	s_or_b64 exec, exec, s[0:1]
	v_cmp_lt_i32_e32 vcc, 4, v100
	s_waitcnt vmcnt(0) lgkmcnt(0)
	s_barrier
	s_and_saveexec_b64 s[0:1], vcc
	s_cbranch_execz .LBB78_104
; %bb.103:
	buffer_load_dword v109, off, s[24:27], 0 offset:160 ; 4-byte Folded Reload
	buffer_load_dword v110, off, s[24:27], 0 offset:164 ; 4-byte Folded Reload
	;; [unrolled: 1-line block ×4, first 2 shown]
	s_waitcnt vmcnt(0)
	v_mul_f64 v[101:102], v[123:124], v[111:112]
	v_fma_f64 v[125:126], v[121:122], v[109:110], -v[101:102]
	v_mul_f64 v[101:102], v[121:122], v[111:112]
	v_fma_f64 v[111:112], v[123:124], v[109:110], v[101:102]
	ds_read2_b64 v[101:104], v98 offset0:10 offset1:11
	buffer_load_dword v107, off, s[24:27], 0 offset:144 ; 4-byte Folded Reload
	buffer_load_dword v108, off, s[24:27], 0 offset:148 ; 4-byte Folded Reload
	buffer_load_dword v109, off, s[24:27], 0 offset:152 ; 4-byte Folded Reload
	buffer_load_dword v110, off, s[24:27], 0 offset:156 ; 4-byte Folded Reload
	s_waitcnt lgkmcnt(0)
	v_mul_f64 v[105:106], v[103:104], v[111:112]
	v_fma_f64 v[105:106], v[101:102], v[125:126], -v[105:106]
	v_mul_f64 v[101:102], v[101:102], v[111:112]
	v_fma_f64 v[101:102], v[103:104], v[125:126], v[101:102]
	s_waitcnt vmcnt(2)
	v_add_f64 v[107:108], v[107:108], -v[105:106]
	s_waitcnt vmcnt(0)
	v_add_f64 v[109:110], v[109:110], -v[101:102]
	buffer_store_dword v107, off, s[24:27], 0 offset:144 ; 4-byte Folded Spill
	s_nop 0
	buffer_store_dword v108, off, s[24:27], 0 offset:148 ; 4-byte Folded Spill
	buffer_store_dword v109, off, s[24:27], 0 offset:152 ; 4-byte Folded Spill
	buffer_store_dword v110, off, s[24:27], 0 offset:156 ; 4-byte Folded Spill
	ds_read2_b64 v[101:104], v98 offset0:12 offset1:13
	buffer_load_dword v107, off, s[24:27], 0 offset:128 ; 4-byte Folded Reload
	buffer_load_dword v108, off, s[24:27], 0 offset:132 ; 4-byte Folded Reload
	buffer_load_dword v109, off, s[24:27], 0 offset:136 ; 4-byte Folded Reload
	buffer_load_dword v110, off, s[24:27], 0 offset:140 ; 4-byte Folded Reload
	s_waitcnt lgkmcnt(0)
	v_mul_f64 v[105:106], v[103:104], v[111:112]
	v_fma_f64 v[105:106], v[101:102], v[125:126], -v[105:106]
	v_mul_f64 v[101:102], v[101:102], v[111:112]
	v_fma_f64 v[101:102], v[103:104], v[125:126], v[101:102]
	s_waitcnt vmcnt(2)
	v_add_f64 v[107:108], v[107:108], -v[105:106]
	s_waitcnt vmcnt(0)
	v_add_f64 v[109:110], v[109:110], -v[101:102]
	buffer_store_dword v107, off, s[24:27], 0 offset:128 ; 4-byte Folded Spill
	s_nop 0
	buffer_store_dword v108, off, s[24:27], 0 offset:132 ; 4-byte Folded Spill
	buffer_store_dword v109, off, s[24:27], 0 offset:136 ; 4-byte Folded Spill
	buffer_store_dword v110, off, s[24:27], 0 offset:140 ; 4-byte Folded Spill
	;; [unrolled: 19-line block ×9, first 2 shown]
	ds_read2_b64 v[101:104], v98 offset0:28 offset1:29
	buffer_load_dword v107, off, s[24:27], 0 ; 4-byte Folded Reload
	buffer_load_dword v108, off, s[24:27], 0 offset:4 ; 4-byte Folded Reload
	buffer_load_dword v109, off, s[24:27], 0 offset:8 ; 4-byte Folded Reload
	buffer_load_dword v110, off, s[24:27], 0 offset:12 ; 4-byte Folded Reload
	s_waitcnt lgkmcnt(0)
	v_mul_f64 v[105:106], v[103:104], v[111:112]
	v_fma_f64 v[105:106], v[101:102], v[125:126], -v[105:106]
	v_mul_f64 v[101:102], v[101:102], v[111:112]
	v_fma_f64 v[101:102], v[103:104], v[125:126], v[101:102]
	s_waitcnt vmcnt(2)
	v_add_f64 v[107:108], v[107:108], -v[105:106]
	s_waitcnt vmcnt(0)
	v_add_f64 v[109:110], v[109:110], -v[101:102]
	buffer_store_dword v107, off, s[24:27], 0 ; 4-byte Folded Spill
	s_nop 0
	buffer_store_dword v108, off, s[24:27], 0 offset:4 ; 4-byte Folded Spill
	buffer_store_dword v109, off, s[24:27], 0 offset:8 ; 4-byte Folded Spill
	;; [unrolled: 1-line block ×3, first 2 shown]
	ds_read2_b64 v[101:104], v98 offset0:30 offset1:31
	v_mov_b32_e32 v109, v125
	v_mov_b32_e32 v110, v126
	s_waitcnt lgkmcnt(0)
	v_mul_f64 v[105:106], v[103:104], v[111:112]
	v_fma_f64 v[105:106], v[101:102], v[125:126], -v[105:106]
	v_mul_f64 v[101:102], v[101:102], v[111:112]
	v_add_f64 v[93:94], v[93:94], -v[105:106]
	v_fma_f64 v[101:102], v[103:104], v[125:126], v[101:102]
	v_add_f64 v[95:96], v[95:96], -v[101:102]
	ds_read2_b64 v[101:104], v98 offset0:32 offset1:33
	s_waitcnt lgkmcnt(0)
	v_mul_f64 v[105:106], v[103:104], v[111:112]
	v_fma_f64 v[105:106], v[101:102], v[125:126], -v[105:106]
	v_mul_f64 v[101:102], v[101:102], v[111:112]
	v_add_f64 v[89:90], v[89:90], -v[105:106]
	v_fma_f64 v[101:102], v[103:104], v[125:126], v[101:102]
	v_add_f64 v[91:92], v[91:92], -v[101:102]
	ds_read2_b64 v[101:104], v98 offset0:34 offset1:35
	;; [unrolled: 8-line block ×24, first 2 shown]
	s_waitcnt lgkmcnt(0)
	v_mul_f64 v[105:106], v[103:104], v[111:112]
	v_fma_f64 v[105:106], v[101:102], v[125:126], -v[105:106]
	v_mul_f64 v[101:102], v[101:102], v[111:112]
	buffer_store_dword v109, off, s[24:27], 0 offset:160 ; 4-byte Folded Spill
	s_nop 0
	buffer_store_dword v110, off, s[24:27], 0 offset:164 ; 4-byte Folded Spill
	buffer_store_dword v111, off, s[24:27], 0 offset:168 ; 4-byte Folded Spill
	;; [unrolled: 1-line block ×3, first 2 shown]
	v_add_f64 v[117:118], v[117:118], -v[105:106]
	v_fma_f64 v[101:102], v[103:104], v[125:126], v[101:102]
	v_add_f64 v[119:120], v[119:120], -v[101:102]
.LBB78_104:
	s_or_b64 exec, exec, s[0:1]
	s_waitcnt vmcnt(0)
	s_barrier
	buffer_load_dword v102, off, s[24:27], 0 offset:144 ; 4-byte Folded Reload
	buffer_load_dword v103, off, s[24:27], 0 offset:148 ; 4-byte Folded Reload
	;; [unrolled: 1-line block ×4, first 2 shown]
	v_lshl_add_u32 v101, v100, 4, v98
	s_cmp_lt_i32 s3, 7
	s_waitcnt vmcnt(0)
	ds_write2_b64 v101, v[102:103], v[104:105] offset1:1
	s_waitcnt lgkmcnt(0)
	s_barrier
	ds_read2_b64 v[121:124], v98 offset0:10 offset1:11
	v_mov_b32_e32 v101, 5
	s_cbranch_scc1 .LBB78_107
; %bb.105:
	v_add_u32_e32 v102, 0x60, v98
	s_mov_b32 s0, 6
	v_mov_b32_e32 v101, 5
.LBB78_106:                             ; =>This Inner Loop Header: Depth=1
	s_waitcnt lgkmcnt(0)
	v_cmp_gt_f64_e32 vcc, 0, v[121:122]
	v_xor_b32_e32 v107, 0x80000000, v122
	ds_read2_b64 v[103:106], v102 offset1:1
	v_xor_b32_e32 v109, 0x80000000, v124
	v_add_u32_e32 v102, 16, v102
	s_waitcnt lgkmcnt(0)
	v_xor_b32_e32 v111, 0x80000000, v106
	v_cndmask_b32_e32 v108, v122, v107, vcc
	v_cmp_gt_f64_e32 vcc, 0, v[123:124]
	v_mov_b32_e32 v107, v121
	v_cndmask_b32_e32 v110, v124, v109, vcc
	v_cmp_gt_f64_e32 vcc, 0, v[103:104]
	v_mov_b32_e32 v109, v123
	v_add_f64 v[107:108], v[107:108], v[109:110]
	v_xor_b32_e32 v109, 0x80000000, v104
	v_cndmask_b32_e32 v110, v104, v109, vcc
	v_cmp_gt_f64_e32 vcc, 0, v[105:106]
	v_mov_b32_e32 v109, v103
	v_cndmask_b32_e32 v112, v106, v111, vcc
	v_mov_b32_e32 v111, v105
	v_add_f64 v[109:110], v[109:110], v[111:112]
	v_cmp_lt_f64_e32 vcc, v[107:108], v[109:110]
	v_cndmask_b32_e32 v121, v121, v103, vcc
	v_mov_b32_e32 v103, s0
	s_add_i32 s0, s0, 1
	v_cndmask_b32_e32 v122, v122, v104, vcc
	v_cndmask_b32_e32 v124, v124, v106, vcc
	;; [unrolled: 1-line block ×4, first 2 shown]
	s_cmp_lg_u32 s3, s0
	s_cbranch_scc1 .LBB78_106
.LBB78_107:
	s_waitcnt lgkmcnt(0)
	v_cmp_eq_f64_e32 vcc, 0, v[121:122]
	v_cmp_eq_f64_e64 s[0:1], 0, v[123:124]
	s_and_b64 s[0:1], vcc, s[0:1]
	s_and_saveexec_b64 s[18:19], s[0:1]
	s_xor_b64 s[0:1], exec, s[18:19]
; %bb.108:
	v_cmp_ne_u32_e32 vcc, 0, v99
	v_cndmask_b32_e32 v99, 6, v99, vcc
; %bb.109:
	s_andn2_saveexec_b64 s[0:1], s[0:1]
	s_cbranch_execz .LBB78_115
; %bb.110:
	v_cmp_ngt_f64_e64 s[18:19], |v[121:122]|, |v[123:124]|
	s_and_saveexec_b64 s[20:21], s[18:19]
	s_xor_b64 s[18:19], exec, s[20:21]
	s_cbranch_execz .LBB78_112
; %bb.111:
	v_div_scale_f64 v[102:103], s[20:21], v[123:124], v[123:124], v[121:122]
	v_rcp_f64_e32 v[104:105], v[102:103]
	v_fma_f64 v[106:107], -v[102:103], v[104:105], 1.0
	v_fma_f64 v[104:105], v[104:105], v[106:107], v[104:105]
	v_div_scale_f64 v[106:107], vcc, v[121:122], v[123:124], v[121:122]
	v_fma_f64 v[108:109], -v[102:103], v[104:105], 1.0
	v_fma_f64 v[104:105], v[104:105], v[108:109], v[104:105]
	v_mul_f64 v[108:109], v[106:107], v[104:105]
	v_fma_f64 v[102:103], -v[102:103], v[108:109], v[106:107]
	v_div_fmas_f64 v[102:103], v[102:103], v[104:105], v[108:109]
	v_div_fixup_f64 v[102:103], v[102:103], v[123:124], v[121:122]
	v_fma_f64 v[104:105], v[121:122], v[102:103], v[123:124]
	v_div_scale_f64 v[106:107], s[20:21], v[104:105], v[104:105], 1.0
	v_div_scale_f64 v[112:113], vcc, 1.0, v[104:105], 1.0
	v_rcp_f64_e32 v[108:109], v[106:107]
	v_fma_f64 v[110:111], -v[106:107], v[108:109], 1.0
	v_fma_f64 v[108:109], v[108:109], v[110:111], v[108:109]
	v_fma_f64 v[110:111], -v[106:107], v[108:109], 1.0
	v_fma_f64 v[108:109], v[108:109], v[110:111], v[108:109]
	v_mul_f64 v[110:111], v[112:113], v[108:109]
	v_fma_f64 v[106:107], -v[106:107], v[110:111], v[112:113]
	v_div_fmas_f64 v[106:107], v[106:107], v[108:109], v[110:111]
	v_div_fixup_f64 v[123:124], v[106:107], v[104:105], 1.0
	v_mul_f64 v[121:122], v[102:103], v[123:124]
	v_xor_b32_e32 v124, 0x80000000, v124
.LBB78_112:
	s_andn2_saveexec_b64 s[18:19], s[18:19]
	s_cbranch_execz .LBB78_114
; %bb.113:
	v_div_scale_f64 v[102:103], s[20:21], v[121:122], v[121:122], v[123:124]
	v_rcp_f64_e32 v[104:105], v[102:103]
	v_fma_f64 v[106:107], -v[102:103], v[104:105], 1.0
	v_fma_f64 v[104:105], v[104:105], v[106:107], v[104:105]
	v_div_scale_f64 v[106:107], vcc, v[123:124], v[121:122], v[123:124]
	v_fma_f64 v[108:109], -v[102:103], v[104:105], 1.0
	v_fma_f64 v[104:105], v[104:105], v[108:109], v[104:105]
	v_mul_f64 v[108:109], v[106:107], v[104:105]
	v_fma_f64 v[102:103], -v[102:103], v[108:109], v[106:107]
	v_div_fmas_f64 v[102:103], v[102:103], v[104:105], v[108:109]
	v_div_fixup_f64 v[102:103], v[102:103], v[121:122], v[123:124]
	v_fma_f64 v[104:105], v[123:124], v[102:103], v[121:122]
	v_div_scale_f64 v[106:107], s[20:21], v[104:105], v[104:105], 1.0
	v_div_scale_f64 v[112:113], vcc, 1.0, v[104:105], 1.0
	v_rcp_f64_e32 v[108:109], v[106:107]
	v_fma_f64 v[110:111], -v[106:107], v[108:109], 1.0
	v_fma_f64 v[108:109], v[108:109], v[110:111], v[108:109]
	v_fma_f64 v[110:111], -v[106:107], v[108:109], 1.0
	v_fma_f64 v[108:109], v[108:109], v[110:111], v[108:109]
	v_mul_f64 v[110:111], v[112:113], v[108:109]
	v_fma_f64 v[106:107], -v[106:107], v[110:111], v[112:113]
	v_div_fmas_f64 v[106:107], v[106:107], v[108:109], v[110:111]
	v_div_fixup_f64 v[121:122], v[106:107], v[104:105], 1.0
	v_mul_f64 v[123:124], v[102:103], -v[121:122]
.LBB78_114:
	s_or_b64 exec, exec, s[18:19]
.LBB78_115:
	s_or_b64 exec, exec, s[0:1]
	v_cmp_ne_u32_e32 vcc, v100, v101
	s_and_saveexec_b64 s[0:1], vcc
	s_xor_b64 s[0:1], exec, s[0:1]
	s_cbranch_execz .LBB78_121
; %bb.116:
	v_cmp_eq_u32_e32 vcc, 5, v100
	s_and_saveexec_b64 s[18:19], vcc
	s_cbranch_execz .LBB78_120
; %bb.117:
	v_cmp_ne_u32_e32 vcc, 5, v101
	s_xor_b64 s[20:21], s[6:7], -1
	s_and_b64 s[22:23], s[20:21], vcc
	s_and_saveexec_b64 s[20:21], s[22:23]
	s_cbranch_execz .LBB78_119
; %bb.118:
	v_ashrrev_i32_e32 v102, 31, v101
	v_lshlrev_b64 v[102:103], 2, v[101:102]
	v_add_co_u32_e32 v102, vcc, v115, v102
	v_addc_co_u32_e32 v103, vcc, v116, v103, vcc
	global_load_dword v0, v[102:103], off
	global_load_dword v100, v[115:116], off offset:20
	s_waitcnt vmcnt(1)
	global_store_dword v[115:116], v0, off offset:20
	s_waitcnt vmcnt(1)
	global_store_dword v[102:103], v100, off
.LBB78_119:
	s_or_b64 exec, exec, s[20:21]
	v_mov_b32_e32 v100, v101
	v_mov_b32_e32 v0, v101
.LBB78_120:
	s_or_b64 exec, exec, s[18:19]
.LBB78_121:
	s_andn2_saveexec_b64 s[0:1], s[0:1]
	s_cbranch_execz .LBB78_123
; %bb.122:
	buffer_load_dword v100, off, s[24:27], 0 offset:128 ; 4-byte Folded Reload
	buffer_load_dword v101, off, s[24:27], 0 offset:132 ; 4-byte Folded Reload
	buffer_load_dword v102, off, s[24:27], 0 offset:136 ; 4-byte Folded Reload
	buffer_load_dword v103, off, s[24:27], 0 offset:140 ; 4-byte Folded Reload
	s_waitcnt vmcnt(0)
	ds_write2_b64 v98, v[100:101], v[102:103] offset0:12 offset1:13
	buffer_load_dword v100, off, s[24:27], 0 offset:112 ; 4-byte Folded Reload
	buffer_load_dword v101, off, s[24:27], 0 offset:116 ; 4-byte Folded Reload
	buffer_load_dword v102, off, s[24:27], 0 offset:120 ; 4-byte Folded Reload
	buffer_load_dword v103, off, s[24:27], 0 offset:124 ; 4-byte Folded Reload
	s_waitcnt vmcnt(0)
	ds_write2_b64 v98, v[100:101], v[102:103] offset0:14 offset1:15
	buffer_load_dword v100, off, s[24:27], 0 offset:96 ; 4-byte Folded Reload
	buffer_load_dword v101, off, s[24:27], 0 offset:100 ; 4-byte Folded Reload
	buffer_load_dword v102, off, s[24:27], 0 offset:104 ; 4-byte Folded Reload
	buffer_load_dword v103, off, s[24:27], 0 offset:108 ; 4-byte Folded Reload
	s_waitcnt vmcnt(0)
	ds_write2_b64 v98, v[100:101], v[102:103] offset0:16 offset1:17
	buffer_load_dword v100, off, s[24:27], 0 offset:80 ; 4-byte Folded Reload
	buffer_load_dword v101, off, s[24:27], 0 offset:84 ; 4-byte Folded Reload
	buffer_load_dword v102, off, s[24:27], 0 offset:88 ; 4-byte Folded Reload
	buffer_load_dword v103, off, s[24:27], 0 offset:92 ; 4-byte Folded Reload
	s_waitcnt vmcnt(0)
	ds_write2_b64 v98, v[100:101], v[102:103] offset0:18 offset1:19
	buffer_load_dword v100, off, s[24:27], 0 offset:64 ; 4-byte Folded Reload
	buffer_load_dword v101, off, s[24:27], 0 offset:68 ; 4-byte Folded Reload
	buffer_load_dword v102, off, s[24:27], 0 offset:72 ; 4-byte Folded Reload
	buffer_load_dword v103, off, s[24:27], 0 offset:76 ; 4-byte Folded Reload
	s_waitcnt vmcnt(0)
	ds_write2_b64 v98, v[100:101], v[102:103] offset0:20 offset1:21
	buffer_load_dword v100, off, s[24:27], 0 offset:48 ; 4-byte Folded Reload
	buffer_load_dword v101, off, s[24:27], 0 offset:52 ; 4-byte Folded Reload
	buffer_load_dword v102, off, s[24:27], 0 offset:56 ; 4-byte Folded Reload
	buffer_load_dword v103, off, s[24:27], 0 offset:60 ; 4-byte Folded Reload
	s_waitcnt vmcnt(0)
	ds_write2_b64 v98, v[100:101], v[102:103] offset0:22 offset1:23
	buffer_load_dword v100, off, s[24:27], 0 offset:32 ; 4-byte Folded Reload
	buffer_load_dword v101, off, s[24:27], 0 offset:36 ; 4-byte Folded Reload
	buffer_load_dword v102, off, s[24:27], 0 offset:40 ; 4-byte Folded Reload
	buffer_load_dword v103, off, s[24:27], 0 offset:44 ; 4-byte Folded Reload
	s_waitcnt vmcnt(0)
	ds_write2_b64 v98, v[100:101], v[102:103] offset0:24 offset1:25
	buffer_load_dword v100, off, s[24:27], 0 offset:16 ; 4-byte Folded Reload
	buffer_load_dword v101, off, s[24:27], 0 offset:20 ; 4-byte Folded Reload
	buffer_load_dword v102, off, s[24:27], 0 offset:24 ; 4-byte Folded Reload
	buffer_load_dword v103, off, s[24:27], 0 offset:28 ; 4-byte Folded Reload
	s_waitcnt vmcnt(0)
	ds_write2_b64 v98, v[100:101], v[102:103] offset0:26 offset1:27
	buffer_load_dword v100, off, s[24:27], 0 ; 4-byte Folded Reload
	buffer_load_dword v101, off, s[24:27], 0 offset:4 ; 4-byte Folded Reload
	buffer_load_dword v102, off, s[24:27], 0 offset:8 ; 4-byte Folded Reload
	;; [unrolled: 1-line block ×3, first 2 shown]
	s_waitcnt vmcnt(0)
	ds_write2_b64 v98, v[100:101], v[102:103] offset0:28 offset1:29
	ds_write2_b64 v98, v[93:94], v[95:96] offset0:30 offset1:31
	ds_write2_b64 v98, v[89:90], v[91:92] offset0:32 offset1:33
	ds_write2_b64 v98, v[85:86], v[87:88] offset0:34 offset1:35
	ds_write2_b64 v98, v[81:82], v[83:84] offset0:36 offset1:37
	ds_write2_b64 v98, v[77:78], v[79:80] offset0:38 offset1:39
	ds_write2_b64 v98, v[73:74], v[75:76] offset0:40 offset1:41
	ds_write2_b64 v98, v[69:70], v[71:72] offset0:42 offset1:43
	ds_write2_b64 v98, v[65:66], v[67:68] offset0:44 offset1:45
	ds_write2_b64 v98, v[61:62], v[63:64] offset0:46 offset1:47
	ds_write2_b64 v98, v[57:58], v[59:60] offset0:48 offset1:49
	ds_write2_b64 v98, v[53:54], v[55:56] offset0:50 offset1:51
	ds_write2_b64 v98, v[49:50], v[51:52] offset0:52 offset1:53
	ds_write2_b64 v98, v[45:46], v[47:48] offset0:54 offset1:55
	ds_write2_b64 v98, v[41:42], v[43:44] offset0:56 offset1:57
	ds_write2_b64 v98, v[37:38], v[39:40] offset0:58 offset1:59
	ds_write2_b64 v98, v[33:34], v[35:36] offset0:60 offset1:61
	ds_write2_b64 v98, v[29:30], v[31:32] offset0:62 offset1:63
	ds_write2_b64 v98, v[25:26], v[27:28] offset0:64 offset1:65
	ds_write2_b64 v98, v[21:22], v[23:24] offset0:66 offset1:67
	ds_write2_b64 v98, v[17:18], v[19:20] offset0:68 offset1:69
	ds_write2_b64 v98, v[13:14], v[15:16] offset0:70 offset1:71
	ds_write2_b64 v98, v[9:10], v[11:12] offset0:72 offset1:73
	ds_write2_b64 v98, v[5:6], v[7:8] offset0:74 offset1:75
	ds_write2_b64 v98, v[1:2], v[3:4] offset0:76 offset1:77
	ds_write2_b64 v98, v[117:118], v[119:120] offset0:78 offset1:79
	v_mov_b32_e32 v100, 5
.LBB78_123:
	s_or_b64 exec, exec, s[0:1]
	v_cmp_lt_i32_e32 vcc, 5, v100
	s_waitcnt vmcnt(0) lgkmcnt(0)
	s_barrier
	s_and_saveexec_b64 s[0:1], vcc
	s_cbranch_execz .LBB78_125
; %bb.124:
	buffer_load_dword v109, off, s[24:27], 0 offset:144 ; 4-byte Folded Reload
	buffer_load_dword v110, off, s[24:27], 0 offset:148 ; 4-byte Folded Reload
	;; [unrolled: 1-line block ×4, first 2 shown]
	s_waitcnt vmcnt(0)
	v_mul_f64 v[101:102], v[123:124], v[111:112]
	v_fma_f64 v[125:126], v[121:122], v[109:110], -v[101:102]
	v_mul_f64 v[101:102], v[121:122], v[111:112]
	v_fma_f64 v[111:112], v[123:124], v[109:110], v[101:102]
	ds_read2_b64 v[101:104], v98 offset0:12 offset1:13
	buffer_load_dword v107, off, s[24:27], 0 offset:128 ; 4-byte Folded Reload
	buffer_load_dword v108, off, s[24:27], 0 offset:132 ; 4-byte Folded Reload
	buffer_load_dword v109, off, s[24:27], 0 offset:136 ; 4-byte Folded Reload
	buffer_load_dword v110, off, s[24:27], 0 offset:140 ; 4-byte Folded Reload
	s_waitcnt lgkmcnt(0)
	v_mul_f64 v[105:106], v[103:104], v[111:112]
	v_fma_f64 v[105:106], v[101:102], v[125:126], -v[105:106]
	v_mul_f64 v[101:102], v[101:102], v[111:112]
	v_fma_f64 v[101:102], v[103:104], v[125:126], v[101:102]
	s_waitcnt vmcnt(2)
	v_add_f64 v[107:108], v[107:108], -v[105:106]
	s_waitcnt vmcnt(0)
	v_add_f64 v[109:110], v[109:110], -v[101:102]
	buffer_store_dword v107, off, s[24:27], 0 offset:128 ; 4-byte Folded Spill
	s_nop 0
	buffer_store_dword v108, off, s[24:27], 0 offset:132 ; 4-byte Folded Spill
	buffer_store_dword v109, off, s[24:27], 0 offset:136 ; 4-byte Folded Spill
	buffer_store_dword v110, off, s[24:27], 0 offset:140 ; 4-byte Folded Spill
	ds_read2_b64 v[101:104], v98 offset0:14 offset1:15
	buffer_load_dword v107, off, s[24:27], 0 offset:112 ; 4-byte Folded Reload
	buffer_load_dword v108, off, s[24:27], 0 offset:116 ; 4-byte Folded Reload
	buffer_load_dword v109, off, s[24:27], 0 offset:120 ; 4-byte Folded Reload
	buffer_load_dword v110, off, s[24:27], 0 offset:124 ; 4-byte Folded Reload
	s_waitcnt lgkmcnt(0)
	v_mul_f64 v[105:106], v[103:104], v[111:112]
	v_fma_f64 v[105:106], v[101:102], v[125:126], -v[105:106]
	v_mul_f64 v[101:102], v[101:102], v[111:112]
	v_fma_f64 v[101:102], v[103:104], v[125:126], v[101:102]
	s_waitcnt vmcnt(2)
	v_add_f64 v[107:108], v[107:108], -v[105:106]
	s_waitcnt vmcnt(0)
	v_add_f64 v[109:110], v[109:110], -v[101:102]
	buffer_store_dword v107, off, s[24:27], 0 offset:112 ; 4-byte Folded Spill
	s_nop 0
	buffer_store_dword v108, off, s[24:27], 0 offset:116 ; 4-byte Folded Spill
	buffer_store_dword v109, off, s[24:27], 0 offset:120 ; 4-byte Folded Spill
	buffer_store_dword v110, off, s[24:27], 0 offset:124 ; 4-byte Folded Spill
	ds_read2_b64 v[101:104], v98 offset0:16 offset1:17
	buffer_load_dword v107, off, s[24:27], 0 offset:96 ; 4-byte Folded Reload
	buffer_load_dword v108, off, s[24:27], 0 offset:100 ; 4-byte Folded Reload
	buffer_load_dword v109, off, s[24:27], 0 offset:104 ; 4-byte Folded Reload
	buffer_load_dword v110, off, s[24:27], 0 offset:108 ; 4-byte Folded Reload
	s_waitcnt lgkmcnt(0)
	v_mul_f64 v[105:106], v[103:104], v[111:112]
	v_fma_f64 v[105:106], v[101:102], v[125:126], -v[105:106]
	v_mul_f64 v[101:102], v[101:102], v[111:112]
	v_fma_f64 v[101:102], v[103:104], v[125:126], v[101:102]
	s_waitcnt vmcnt(2)
	v_add_f64 v[107:108], v[107:108], -v[105:106]
	s_waitcnt vmcnt(0)
	v_add_f64 v[109:110], v[109:110], -v[101:102]
	buffer_store_dword v107, off, s[24:27], 0 offset:96 ; 4-byte Folded Spill
	s_nop 0
	buffer_store_dword v108, off, s[24:27], 0 offset:100 ; 4-byte Folded Spill
	buffer_store_dword v109, off, s[24:27], 0 offset:104 ; 4-byte Folded Spill
	buffer_store_dword v110, off, s[24:27], 0 offset:108 ; 4-byte Folded Spill
	ds_read2_b64 v[101:104], v98 offset0:18 offset1:19
	buffer_load_dword v107, off, s[24:27], 0 offset:80 ; 4-byte Folded Reload
	buffer_load_dword v108, off, s[24:27], 0 offset:84 ; 4-byte Folded Reload
	buffer_load_dword v109, off, s[24:27], 0 offset:88 ; 4-byte Folded Reload
	buffer_load_dword v110, off, s[24:27], 0 offset:92 ; 4-byte Folded Reload
	s_waitcnt lgkmcnt(0)
	v_mul_f64 v[105:106], v[103:104], v[111:112]
	v_fma_f64 v[105:106], v[101:102], v[125:126], -v[105:106]
	v_mul_f64 v[101:102], v[101:102], v[111:112]
	v_fma_f64 v[101:102], v[103:104], v[125:126], v[101:102]
	s_waitcnt vmcnt(2)
	v_add_f64 v[107:108], v[107:108], -v[105:106]
	s_waitcnt vmcnt(0)
	v_add_f64 v[109:110], v[109:110], -v[101:102]
	buffer_store_dword v107, off, s[24:27], 0 offset:80 ; 4-byte Folded Spill
	s_nop 0
	buffer_store_dword v108, off, s[24:27], 0 offset:84 ; 4-byte Folded Spill
	buffer_store_dword v109, off, s[24:27], 0 offset:88 ; 4-byte Folded Spill
	buffer_store_dword v110, off, s[24:27], 0 offset:92 ; 4-byte Folded Spill
	ds_read2_b64 v[101:104], v98 offset0:20 offset1:21
	buffer_load_dword v107, off, s[24:27], 0 offset:64 ; 4-byte Folded Reload
	buffer_load_dword v108, off, s[24:27], 0 offset:68 ; 4-byte Folded Reload
	buffer_load_dword v109, off, s[24:27], 0 offset:72 ; 4-byte Folded Reload
	buffer_load_dword v110, off, s[24:27], 0 offset:76 ; 4-byte Folded Reload
	s_waitcnt lgkmcnt(0)
	v_mul_f64 v[105:106], v[103:104], v[111:112]
	v_fma_f64 v[105:106], v[101:102], v[125:126], -v[105:106]
	v_mul_f64 v[101:102], v[101:102], v[111:112]
	v_fma_f64 v[101:102], v[103:104], v[125:126], v[101:102]
	s_waitcnt vmcnt(2)
	v_add_f64 v[107:108], v[107:108], -v[105:106]
	s_waitcnt vmcnt(0)
	v_add_f64 v[109:110], v[109:110], -v[101:102]
	buffer_store_dword v107, off, s[24:27], 0 offset:64 ; 4-byte Folded Spill
	s_nop 0
	buffer_store_dword v108, off, s[24:27], 0 offset:68 ; 4-byte Folded Spill
	buffer_store_dword v109, off, s[24:27], 0 offset:72 ; 4-byte Folded Spill
	buffer_store_dword v110, off, s[24:27], 0 offset:76 ; 4-byte Folded Spill
	ds_read2_b64 v[101:104], v98 offset0:22 offset1:23
	buffer_load_dword v107, off, s[24:27], 0 offset:48 ; 4-byte Folded Reload
	buffer_load_dword v108, off, s[24:27], 0 offset:52 ; 4-byte Folded Reload
	buffer_load_dword v109, off, s[24:27], 0 offset:56 ; 4-byte Folded Reload
	buffer_load_dword v110, off, s[24:27], 0 offset:60 ; 4-byte Folded Reload
	s_waitcnt lgkmcnt(0)
	v_mul_f64 v[105:106], v[103:104], v[111:112]
	v_fma_f64 v[105:106], v[101:102], v[125:126], -v[105:106]
	v_mul_f64 v[101:102], v[101:102], v[111:112]
	v_fma_f64 v[101:102], v[103:104], v[125:126], v[101:102]
	s_waitcnt vmcnt(2)
	v_add_f64 v[107:108], v[107:108], -v[105:106]
	s_waitcnt vmcnt(0)
	v_add_f64 v[109:110], v[109:110], -v[101:102]
	buffer_store_dword v107, off, s[24:27], 0 offset:48 ; 4-byte Folded Spill
	s_nop 0
	buffer_store_dword v108, off, s[24:27], 0 offset:52 ; 4-byte Folded Spill
	buffer_store_dword v109, off, s[24:27], 0 offset:56 ; 4-byte Folded Spill
	buffer_store_dword v110, off, s[24:27], 0 offset:60 ; 4-byte Folded Spill
	ds_read2_b64 v[101:104], v98 offset0:24 offset1:25
	buffer_load_dword v107, off, s[24:27], 0 offset:32 ; 4-byte Folded Reload
	buffer_load_dword v108, off, s[24:27], 0 offset:36 ; 4-byte Folded Reload
	buffer_load_dword v109, off, s[24:27], 0 offset:40 ; 4-byte Folded Reload
	buffer_load_dword v110, off, s[24:27], 0 offset:44 ; 4-byte Folded Reload
	s_waitcnt lgkmcnt(0)
	v_mul_f64 v[105:106], v[103:104], v[111:112]
	v_fma_f64 v[105:106], v[101:102], v[125:126], -v[105:106]
	v_mul_f64 v[101:102], v[101:102], v[111:112]
	v_fma_f64 v[101:102], v[103:104], v[125:126], v[101:102]
	s_waitcnt vmcnt(2)
	v_add_f64 v[107:108], v[107:108], -v[105:106]
	s_waitcnt vmcnt(0)
	v_add_f64 v[109:110], v[109:110], -v[101:102]
	buffer_store_dword v107, off, s[24:27], 0 offset:32 ; 4-byte Folded Spill
	s_nop 0
	buffer_store_dword v108, off, s[24:27], 0 offset:36 ; 4-byte Folded Spill
	buffer_store_dword v109, off, s[24:27], 0 offset:40 ; 4-byte Folded Spill
	buffer_store_dword v110, off, s[24:27], 0 offset:44 ; 4-byte Folded Spill
	ds_read2_b64 v[101:104], v98 offset0:26 offset1:27
	buffer_load_dword v107, off, s[24:27], 0 offset:16 ; 4-byte Folded Reload
	buffer_load_dword v108, off, s[24:27], 0 offset:20 ; 4-byte Folded Reload
	buffer_load_dword v109, off, s[24:27], 0 offset:24 ; 4-byte Folded Reload
	buffer_load_dword v110, off, s[24:27], 0 offset:28 ; 4-byte Folded Reload
	s_waitcnt lgkmcnt(0)
	v_mul_f64 v[105:106], v[103:104], v[111:112]
	v_fma_f64 v[105:106], v[101:102], v[125:126], -v[105:106]
	v_mul_f64 v[101:102], v[101:102], v[111:112]
	v_fma_f64 v[101:102], v[103:104], v[125:126], v[101:102]
	s_waitcnt vmcnt(2)
	v_add_f64 v[107:108], v[107:108], -v[105:106]
	s_waitcnt vmcnt(0)
	v_add_f64 v[109:110], v[109:110], -v[101:102]
	buffer_store_dword v107, off, s[24:27], 0 offset:16 ; 4-byte Folded Spill
	s_nop 0
	buffer_store_dword v108, off, s[24:27], 0 offset:20 ; 4-byte Folded Spill
	buffer_store_dword v109, off, s[24:27], 0 offset:24 ; 4-byte Folded Spill
	buffer_store_dword v110, off, s[24:27], 0 offset:28 ; 4-byte Folded Spill
	ds_read2_b64 v[101:104], v98 offset0:28 offset1:29
	buffer_load_dword v107, off, s[24:27], 0 ; 4-byte Folded Reload
	buffer_load_dword v108, off, s[24:27], 0 offset:4 ; 4-byte Folded Reload
	buffer_load_dword v109, off, s[24:27], 0 offset:8 ; 4-byte Folded Reload
	;; [unrolled: 1-line block ×3, first 2 shown]
	s_waitcnt lgkmcnt(0)
	v_mul_f64 v[105:106], v[103:104], v[111:112]
	v_fma_f64 v[105:106], v[101:102], v[125:126], -v[105:106]
	v_mul_f64 v[101:102], v[101:102], v[111:112]
	v_fma_f64 v[101:102], v[103:104], v[125:126], v[101:102]
	s_waitcnt vmcnt(2)
	v_add_f64 v[107:108], v[107:108], -v[105:106]
	s_waitcnt vmcnt(0)
	v_add_f64 v[109:110], v[109:110], -v[101:102]
	buffer_store_dword v107, off, s[24:27], 0 ; 4-byte Folded Spill
	s_nop 0
	buffer_store_dword v108, off, s[24:27], 0 offset:4 ; 4-byte Folded Spill
	buffer_store_dword v109, off, s[24:27], 0 offset:8 ; 4-byte Folded Spill
	;; [unrolled: 1-line block ×3, first 2 shown]
	ds_read2_b64 v[101:104], v98 offset0:30 offset1:31
	v_mov_b32_e32 v109, v125
	v_mov_b32_e32 v110, v126
	s_waitcnt lgkmcnt(0)
	v_mul_f64 v[105:106], v[103:104], v[111:112]
	v_fma_f64 v[105:106], v[101:102], v[125:126], -v[105:106]
	v_mul_f64 v[101:102], v[101:102], v[111:112]
	v_add_f64 v[93:94], v[93:94], -v[105:106]
	v_fma_f64 v[101:102], v[103:104], v[125:126], v[101:102]
	v_add_f64 v[95:96], v[95:96], -v[101:102]
	ds_read2_b64 v[101:104], v98 offset0:32 offset1:33
	s_waitcnt lgkmcnt(0)
	v_mul_f64 v[105:106], v[103:104], v[111:112]
	v_fma_f64 v[105:106], v[101:102], v[125:126], -v[105:106]
	v_mul_f64 v[101:102], v[101:102], v[111:112]
	v_add_f64 v[89:90], v[89:90], -v[105:106]
	v_fma_f64 v[101:102], v[103:104], v[125:126], v[101:102]
	v_add_f64 v[91:92], v[91:92], -v[101:102]
	ds_read2_b64 v[101:104], v98 offset0:34 offset1:35
	;; [unrolled: 8-line block ×24, first 2 shown]
	s_waitcnt lgkmcnt(0)
	v_mul_f64 v[105:106], v[103:104], v[111:112]
	v_fma_f64 v[105:106], v[101:102], v[125:126], -v[105:106]
	v_mul_f64 v[101:102], v[101:102], v[111:112]
	buffer_store_dword v109, off, s[24:27], 0 offset:144 ; 4-byte Folded Spill
	s_nop 0
	buffer_store_dword v110, off, s[24:27], 0 offset:148 ; 4-byte Folded Spill
	buffer_store_dword v111, off, s[24:27], 0 offset:152 ; 4-byte Folded Spill
	;; [unrolled: 1-line block ×3, first 2 shown]
	v_add_f64 v[117:118], v[117:118], -v[105:106]
	v_fma_f64 v[101:102], v[103:104], v[125:126], v[101:102]
	v_add_f64 v[119:120], v[119:120], -v[101:102]
.LBB78_125:
	s_or_b64 exec, exec, s[0:1]
	s_waitcnt vmcnt(0)
	s_barrier
	buffer_load_dword v102, off, s[24:27], 0 offset:128 ; 4-byte Folded Reload
	buffer_load_dword v103, off, s[24:27], 0 offset:132 ; 4-byte Folded Reload
	;; [unrolled: 1-line block ×4, first 2 shown]
	v_lshl_add_u32 v101, v100, 4, v98
	s_cmp_lt_i32 s3, 8
	s_waitcnt vmcnt(0)
	ds_write2_b64 v101, v[102:103], v[104:105] offset1:1
	s_waitcnt lgkmcnt(0)
	s_barrier
	ds_read2_b64 v[121:124], v98 offset0:12 offset1:13
	v_mov_b32_e32 v101, 6
	s_cbranch_scc1 .LBB78_128
; %bb.126:
	v_add_u32_e32 v102, 0x70, v98
	s_mov_b32 s0, 7
	v_mov_b32_e32 v101, 6
.LBB78_127:                             ; =>This Inner Loop Header: Depth=1
	s_waitcnt lgkmcnt(0)
	v_cmp_gt_f64_e32 vcc, 0, v[121:122]
	v_xor_b32_e32 v107, 0x80000000, v122
	ds_read2_b64 v[103:106], v102 offset1:1
	v_xor_b32_e32 v109, 0x80000000, v124
	v_add_u32_e32 v102, 16, v102
	s_waitcnt lgkmcnt(0)
	v_xor_b32_e32 v111, 0x80000000, v106
	v_cndmask_b32_e32 v108, v122, v107, vcc
	v_cmp_gt_f64_e32 vcc, 0, v[123:124]
	v_mov_b32_e32 v107, v121
	v_cndmask_b32_e32 v110, v124, v109, vcc
	v_cmp_gt_f64_e32 vcc, 0, v[103:104]
	v_mov_b32_e32 v109, v123
	v_add_f64 v[107:108], v[107:108], v[109:110]
	v_xor_b32_e32 v109, 0x80000000, v104
	v_cndmask_b32_e32 v110, v104, v109, vcc
	v_cmp_gt_f64_e32 vcc, 0, v[105:106]
	v_mov_b32_e32 v109, v103
	v_cndmask_b32_e32 v112, v106, v111, vcc
	v_mov_b32_e32 v111, v105
	v_add_f64 v[109:110], v[109:110], v[111:112]
	v_cmp_lt_f64_e32 vcc, v[107:108], v[109:110]
	v_cndmask_b32_e32 v121, v121, v103, vcc
	v_mov_b32_e32 v103, s0
	s_add_i32 s0, s0, 1
	v_cndmask_b32_e32 v122, v122, v104, vcc
	v_cndmask_b32_e32 v124, v124, v106, vcc
	;; [unrolled: 1-line block ×4, first 2 shown]
	s_cmp_lg_u32 s3, s0
	s_cbranch_scc1 .LBB78_127
.LBB78_128:
	s_waitcnt lgkmcnt(0)
	v_cmp_eq_f64_e32 vcc, 0, v[121:122]
	v_cmp_eq_f64_e64 s[0:1], 0, v[123:124]
	s_and_b64 s[0:1], vcc, s[0:1]
	s_and_saveexec_b64 s[18:19], s[0:1]
	s_xor_b64 s[0:1], exec, s[18:19]
; %bb.129:
	v_cmp_ne_u32_e32 vcc, 0, v99
	v_cndmask_b32_e32 v99, 7, v99, vcc
; %bb.130:
	s_andn2_saveexec_b64 s[0:1], s[0:1]
	s_cbranch_execz .LBB78_136
; %bb.131:
	v_cmp_ngt_f64_e64 s[18:19], |v[121:122]|, |v[123:124]|
	s_and_saveexec_b64 s[20:21], s[18:19]
	s_xor_b64 s[18:19], exec, s[20:21]
	s_cbranch_execz .LBB78_133
; %bb.132:
	v_div_scale_f64 v[102:103], s[20:21], v[123:124], v[123:124], v[121:122]
	v_rcp_f64_e32 v[104:105], v[102:103]
	v_fma_f64 v[106:107], -v[102:103], v[104:105], 1.0
	v_fma_f64 v[104:105], v[104:105], v[106:107], v[104:105]
	v_div_scale_f64 v[106:107], vcc, v[121:122], v[123:124], v[121:122]
	v_fma_f64 v[108:109], -v[102:103], v[104:105], 1.0
	v_fma_f64 v[104:105], v[104:105], v[108:109], v[104:105]
	v_mul_f64 v[108:109], v[106:107], v[104:105]
	v_fma_f64 v[102:103], -v[102:103], v[108:109], v[106:107]
	v_div_fmas_f64 v[102:103], v[102:103], v[104:105], v[108:109]
	v_div_fixup_f64 v[102:103], v[102:103], v[123:124], v[121:122]
	v_fma_f64 v[104:105], v[121:122], v[102:103], v[123:124]
	v_div_scale_f64 v[106:107], s[20:21], v[104:105], v[104:105], 1.0
	v_div_scale_f64 v[112:113], vcc, 1.0, v[104:105], 1.0
	v_rcp_f64_e32 v[108:109], v[106:107]
	v_fma_f64 v[110:111], -v[106:107], v[108:109], 1.0
	v_fma_f64 v[108:109], v[108:109], v[110:111], v[108:109]
	v_fma_f64 v[110:111], -v[106:107], v[108:109], 1.0
	v_fma_f64 v[108:109], v[108:109], v[110:111], v[108:109]
	v_mul_f64 v[110:111], v[112:113], v[108:109]
	v_fma_f64 v[106:107], -v[106:107], v[110:111], v[112:113]
	v_div_fmas_f64 v[106:107], v[106:107], v[108:109], v[110:111]
	v_div_fixup_f64 v[123:124], v[106:107], v[104:105], 1.0
	v_mul_f64 v[121:122], v[102:103], v[123:124]
	v_xor_b32_e32 v124, 0x80000000, v124
.LBB78_133:
	s_andn2_saveexec_b64 s[18:19], s[18:19]
	s_cbranch_execz .LBB78_135
; %bb.134:
	v_div_scale_f64 v[102:103], s[20:21], v[121:122], v[121:122], v[123:124]
	v_rcp_f64_e32 v[104:105], v[102:103]
	v_fma_f64 v[106:107], -v[102:103], v[104:105], 1.0
	v_fma_f64 v[104:105], v[104:105], v[106:107], v[104:105]
	v_div_scale_f64 v[106:107], vcc, v[123:124], v[121:122], v[123:124]
	v_fma_f64 v[108:109], -v[102:103], v[104:105], 1.0
	v_fma_f64 v[104:105], v[104:105], v[108:109], v[104:105]
	v_mul_f64 v[108:109], v[106:107], v[104:105]
	v_fma_f64 v[102:103], -v[102:103], v[108:109], v[106:107]
	v_div_fmas_f64 v[102:103], v[102:103], v[104:105], v[108:109]
	v_div_fixup_f64 v[102:103], v[102:103], v[121:122], v[123:124]
	v_fma_f64 v[104:105], v[123:124], v[102:103], v[121:122]
	v_div_scale_f64 v[106:107], s[20:21], v[104:105], v[104:105], 1.0
	v_div_scale_f64 v[112:113], vcc, 1.0, v[104:105], 1.0
	v_rcp_f64_e32 v[108:109], v[106:107]
	v_fma_f64 v[110:111], -v[106:107], v[108:109], 1.0
	v_fma_f64 v[108:109], v[108:109], v[110:111], v[108:109]
	v_fma_f64 v[110:111], -v[106:107], v[108:109], 1.0
	v_fma_f64 v[108:109], v[108:109], v[110:111], v[108:109]
	v_mul_f64 v[110:111], v[112:113], v[108:109]
	v_fma_f64 v[106:107], -v[106:107], v[110:111], v[112:113]
	v_div_fmas_f64 v[106:107], v[106:107], v[108:109], v[110:111]
	v_div_fixup_f64 v[121:122], v[106:107], v[104:105], 1.0
	v_mul_f64 v[123:124], v[102:103], -v[121:122]
.LBB78_135:
	s_or_b64 exec, exec, s[18:19]
.LBB78_136:
	s_or_b64 exec, exec, s[0:1]
	v_cmp_ne_u32_e32 vcc, v100, v101
	s_and_saveexec_b64 s[0:1], vcc
	s_xor_b64 s[0:1], exec, s[0:1]
	s_cbranch_execz .LBB78_142
; %bb.137:
	v_cmp_eq_u32_e32 vcc, 6, v100
	s_and_saveexec_b64 s[18:19], vcc
	s_cbranch_execz .LBB78_141
; %bb.138:
	v_cmp_ne_u32_e32 vcc, 6, v101
	s_xor_b64 s[20:21], s[6:7], -1
	s_and_b64 s[22:23], s[20:21], vcc
	s_and_saveexec_b64 s[20:21], s[22:23]
	s_cbranch_execz .LBB78_140
; %bb.139:
	v_ashrrev_i32_e32 v102, 31, v101
	v_lshlrev_b64 v[102:103], 2, v[101:102]
	v_add_co_u32_e32 v102, vcc, v115, v102
	v_addc_co_u32_e32 v103, vcc, v116, v103, vcc
	global_load_dword v0, v[102:103], off
	global_load_dword v100, v[115:116], off offset:24
	s_waitcnt vmcnt(1)
	global_store_dword v[115:116], v0, off offset:24
	s_waitcnt vmcnt(1)
	global_store_dword v[102:103], v100, off
.LBB78_140:
	s_or_b64 exec, exec, s[20:21]
	v_mov_b32_e32 v100, v101
	v_mov_b32_e32 v0, v101
.LBB78_141:
	s_or_b64 exec, exec, s[18:19]
.LBB78_142:
	s_andn2_saveexec_b64 s[0:1], s[0:1]
	s_cbranch_execz .LBB78_144
; %bb.143:
	buffer_load_dword v100, off, s[24:27], 0 offset:112 ; 4-byte Folded Reload
	buffer_load_dword v101, off, s[24:27], 0 offset:116 ; 4-byte Folded Reload
	buffer_load_dword v102, off, s[24:27], 0 offset:120 ; 4-byte Folded Reload
	buffer_load_dword v103, off, s[24:27], 0 offset:124 ; 4-byte Folded Reload
	s_waitcnt vmcnt(0)
	ds_write2_b64 v98, v[100:101], v[102:103] offset0:14 offset1:15
	buffer_load_dword v100, off, s[24:27], 0 offset:96 ; 4-byte Folded Reload
	buffer_load_dword v101, off, s[24:27], 0 offset:100 ; 4-byte Folded Reload
	buffer_load_dword v102, off, s[24:27], 0 offset:104 ; 4-byte Folded Reload
	buffer_load_dword v103, off, s[24:27], 0 offset:108 ; 4-byte Folded Reload
	s_waitcnt vmcnt(0)
	ds_write2_b64 v98, v[100:101], v[102:103] offset0:16 offset1:17
	;; [unrolled: 6-line block ×7, first 2 shown]
	buffer_load_dword v100, off, s[24:27], 0 ; 4-byte Folded Reload
	buffer_load_dword v101, off, s[24:27], 0 offset:4 ; 4-byte Folded Reload
	buffer_load_dword v102, off, s[24:27], 0 offset:8 ; 4-byte Folded Reload
	;; [unrolled: 1-line block ×3, first 2 shown]
	s_waitcnt vmcnt(0)
	ds_write2_b64 v98, v[100:101], v[102:103] offset0:28 offset1:29
	ds_write2_b64 v98, v[93:94], v[95:96] offset0:30 offset1:31
	;; [unrolled: 1-line block ×26, first 2 shown]
	v_mov_b32_e32 v100, 6
.LBB78_144:
	s_or_b64 exec, exec, s[0:1]
	v_cmp_lt_i32_e32 vcc, 6, v100
	s_waitcnt vmcnt(0) lgkmcnt(0)
	s_barrier
	s_and_saveexec_b64 s[0:1], vcc
	s_cbranch_execz .LBB78_146
; %bb.145:
	buffer_load_dword v109, off, s[24:27], 0 offset:128 ; 4-byte Folded Reload
	buffer_load_dword v110, off, s[24:27], 0 offset:132 ; 4-byte Folded Reload
	;; [unrolled: 1-line block ×4, first 2 shown]
	s_waitcnt vmcnt(0)
	v_mul_f64 v[101:102], v[123:124], v[111:112]
	v_fma_f64 v[125:126], v[121:122], v[109:110], -v[101:102]
	v_mul_f64 v[101:102], v[121:122], v[111:112]
	v_fma_f64 v[111:112], v[123:124], v[109:110], v[101:102]
	ds_read2_b64 v[101:104], v98 offset0:14 offset1:15
	buffer_load_dword v107, off, s[24:27], 0 offset:112 ; 4-byte Folded Reload
	buffer_load_dword v108, off, s[24:27], 0 offset:116 ; 4-byte Folded Reload
	buffer_load_dword v109, off, s[24:27], 0 offset:120 ; 4-byte Folded Reload
	buffer_load_dword v110, off, s[24:27], 0 offset:124 ; 4-byte Folded Reload
	s_waitcnt lgkmcnt(0)
	v_mul_f64 v[105:106], v[103:104], v[111:112]
	v_fma_f64 v[105:106], v[101:102], v[125:126], -v[105:106]
	v_mul_f64 v[101:102], v[101:102], v[111:112]
	v_fma_f64 v[101:102], v[103:104], v[125:126], v[101:102]
	s_waitcnt vmcnt(2)
	v_add_f64 v[107:108], v[107:108], -v[105:106]
	s_waitcnt vmcnt(0)
	v_add_f64 v[109:110], v[109:110], -v[101:102]
	buffer_store_dword v107, off, s[24:27], 0 offset:112 ; 4-byte Folded Spill
	s_nop 0
	buffer_store_dword v108, off, s[24:27], 0 offset:116 ; 4-byte Folded Spill
	buffer_store_dword v109, off, s[24:27], 0 offset:120 ; 4-byte Folded Spill
	buffer_store_dword v110, off, s[24:27], 0 offset:124 ; 4-byte Folded Spill
	ds_read2_b64 v[101:104], v98 offset0:16 offset1:17
	buffer_load_dword v107, off, s[24:27], 0 offset:96 ; 4-byte Folded Reload
	buffer_load_dword v108, off, s[24:27], 0 offset:100 ; 4-byte Folded Reload
	buffer_load_dword v109, off, s[24:27], 0 offset:104 ; 4-byte Folded Reload
	buffer_load_dword v110, off, s[24:27], 0 offset:108 ; 4-byte Folded Reload
	s_waitcnt lgkmcnt(0)
	v_mul_f64 v[105:106], v[103:104], v[111:112]
	v_fma_f64 v[105:106], v[101:102], v[125:126], -v[105:106]
	v_mul_f64 v[101:102], v[101:102], v[111:112]
	v_fma_f64 v[101:102], v[103:104], v[125:126], v[101:102]
	s_waitcnt vmcnt(2)
	v_add_f64 v[107:108], v[107:108], -v[105:106]
	s_waitcnt vmcnt(0)
	v_add_f64 v[109:110], v[109:110], -v[101:102]
	buffer_store_dword v107, off, s[24:27], 0 offset:96 ; 4-byte Folded Spill
	s_nop 0
	buffer_store_dword v108, off, s[24:27], 0 offset:100 ; 4-byte Folded Spill
	buffer_store_dword v109, off, s[24:27], 0 offset:104 ; 4-byte Folded Spill
	buffer_store_dword v110, off, s[24:27], 0 offset:108 ; 4-byte Folded Spill
	;; [unrolled: 19-line block ×7, first 2 shown]
	ds_read2_b64 v[101:104], v98 offset0:28 offset1:29
	buffer_load_dword v107, off, s[24:27], 0 ; 4-byte Folded Reload
	buffer_load_dword v108, off, s[24:27], 0 offset:4 ; 4-byte Folded Reload
	buffer_load_dword v109, off, s[24:27], 0 offset:8 ; 4-byte Folded Reload
	;; [unrolled: 1-line block ×3, first 2 shown]
	s_waitcnt lgkmcnt(0)
	v_mul_f64 v[105:106], v[103:104], v[111:112]
	v_fma_f64 v[105:106], v[101:102], v[125:126], -v[105:106]
	v_mul_f64 v[101:102], v[101:102], v[111:112]
	v_fma_f64 v[101:102], v[103:104], v[125:126], v[101:102]
	s_waitcnt vmcnt(2)
	v_add_f64 v[107:108], v[107:108], -v[105:106]
	s_waitcnt vmcnt(0)
	v_add_f64 v[109:110], v[109:110], -v[101:102]
	buffer_store_dword v107, off, s[24:27], 0 ; 4-byte Folded Spill
	s_nop 0
	buffer_store_dword v108, off, s[24:27], 0 offset:4 ; 4-byte Folded Spill
	buffer_store_dword v109, off, s[24:27], 0 offset:8 ; 4-byte Folded Spill
	buffer_store_dword v110, off, s[24:27], 0 offset:12 ; 4-byte Folded Spill
	ds_read2_b64 v[101:104], v98 offset0:30 offset1:31
	v_mov_b32_e32 v109, v125
	v_mov_b32_e32 v110, v126
	s_waitcnt lgkmcnt(0)
	v_mul_f64 v[105:106], v[103:104], v[111:112]
	v_fma_f64 v[105:106], v[101:102], v[125:126], -v[105:106]
	v_mul_f64 v[101:102], v[101:102], v[111:112]
	v_add_f64 v[93:94], v[93:94], -v[105:106]
	v_fma_f64 v[101:102], v[103:104], v[125:126], v[101:102]
	v_add_f64 v[95:96], v[95:96], -v[101:102]
	ds_read2_b64 v[101:104], v98 offset0:32 offset1:33
	s_waitcnt lgkmcnt(0)
	v_mul_f64 v[105:106], v[103:104], v[111:112]
	v_fma_f64 v[105:106], v[101:102], v[125:126], -v[105:106]
	v_mul_f64 v[101:102], v[101:102], v[111:112]
	v_add_f64 v[89:90], v[89:90], -v[105:106]
	v_fma_f64 v[101:102], v[103:104], v[125:126], v[101:102]
	v_add_f64 v[91:92], v[91:92], -v[101:102]
	ds_read2_b64 v[101:104], v98 offset0:34 offset1:35
	s_waitcnt lgkmcnt(0)
	v_mul_f64 v[105:106], v[103:104], v[111:112]
	v_fma_f64 v[105:106], v[101:102], v[125:126], -v[105:106]
	v_mul_f64 v[101:102], v[101:102], v[111:112]
	v_add_f64 v[85:86], v[85:86], -v[105:106]
	v_fma_f64 v[101:102], v[103:104], v[125:126], v[101:102]
	v_add_f64 v[87:88], v[87:88], -v[101:102]
	ds_read2_b64 v[101:104], v98 offset0:36 offset1:37
	s_waitcnt lgkmcnt(0)
	v_mul_f64 v[105:106], v[103:104], v[111:112]
	v_fma_f64 v[105:106], v[101:102], v[125:126], -v[105:106]
	v_mul_f64 v[101:102], v[101:102], v[111:112]
	v_add_f64 v[81:82], v[81:82], -v[105:106]
	v_fma_f64 v[101:102], v[103:104], v[125:126], v[101:102]
	v_add_f64 v[83:84], v[83:84], -v[101:102]
	ds_read2_b64 v[101:104], v98 offset0:38 offset1:39
	s_waitcnt lgkmcnt(0)
	v_mul_f64 v[105:106], v[103:104], v[111:112]
	v_fma_f64 v[105:106], v[101:102], v[125:126], -v[105:106]
	v_mul_f64 v[101:102], v[101:102], v[111:112]
	v_add_f64 v[77:78], v[77:78], -v[105:106]
	v_fma_f64 v[101:102], v[103:104], v[125:126], v[101:102]
	v_add_f64 v[79:80], v[79:80], -v[101:102]
	ds_read2_b64 v[101:104], v98 offset0:40 offset1:41
	s_waitcnt lgkmcnt(0)
	v_mul_f64 v[105:106], v[103:104], v[111:112]
	v_fma_f64 v[105:106], v[101:102], v[125:126], -v[105:106]
	v_mul_f64 v[101:102], v[101:102], v[111:112]
	v_add_f64 v[73:74], v[73:74], -v[105:106]
	v_fma_f64 v[101:102], v[103:104], v[125:126], v[101:102]
	v_add_f64 v[75:76], v[75:76], -v[101:102]
	ds_read2_b64 v[101:104], v98 offset0:42 offset1:43
	s_waitcnt lgkmcnt(0)
	v_mul_f64 v[105:106], v[103:104], v[111:112]
	v_fma_f64 v[105:106], v[101:102], v[125:126], -v[105:106]
	v_mul_f64 v[101:102], v[101:102], v[111:112]
	v_add_f64 v[69:70], v[69:70], -v[105:106]
	v_fma_f64 v[101:102], v[103:104], v[125:126], v[101:102]
	v_add_f64 v[71:72], v[71:72], -v[101:102]
	ds_read2_b64 v[101:104], v98 offset0:44 offset1:45
	s_waitcnt lgkmcnt(0)
	v_mul_f64 v[105:106], v[103:104], v[111:112]
	v_fma_f64 v[105:106], v[101:102], v[125:126], -v[105:106]
	v_mul_f64 v[101:102], v[101:102], v[111:112]
	v_add_f64 v[65:66], v[65:66], -v[105:106]
	v_fma_f64 v[101:102], v[103:104], v[125:126], v[101:102]
	v_add_f64 v[67:68], v[67:68], -v[101:102]
	ds_read2_b64 v[101:104], v98 offset0:46 offset1:47
	s_waitcnt lgkmcnt(0)
	v_mul_f64 v[105:106], v[103:104], v[111:112]
	v_fma_f64 v[105:106], v[101:102], v[125:126], -v[105:106]
	v_mul_f64 v[101:102], v[101:102], v[111:112]
	v_add_f64 v[61:62], v[61:62], -v[105:106]
	v_fma_f64 v[101:102], v[103:104], v[125:126], v[101:102]
	v_add_f64 v[63:64], v[63:64], -v[101:102]
	ds_read2_b64 v[101:104], v98 offset0:48 offset1:49
	s_waitcnt lgkmcnt(0)
	v_mul_f64 v[105:106], v[103:104], v[111:112]
	v_fma_f64 v[105:106], v[101:102], v[125:126], -v[105:106]
	v_mul_f64 v[101:102], v[101:102], v[111:112]
	v_add_f64 v[57:58], v[57:58], -v[105:106]
	v_fma_f64 v[101:102], v[103:104], v[125:126], v[101:102]
	v_add_f64 v[59:60], v[59:60], -v[101:102]
	ds_read2_b64 v[101:104], v98 offset0:50 offset1:51
	s_waitcnt lgkmcnt(0)
	v_mul_f64 v[105:106], v[103:104], v[111:112]
	v_fma_f64 v[105:106], v[101:102], v[125:126], -v[105:106]
	v_mul_f64 v[101:102], v[101:102], v[111:112]
	v_add_f64 v[53:54], v[53:54], -v[105:106]
	v_fma_f64 v[101:102], v[103:104], v[125:126], v[101:102]
	v_add_f64 v[55:56], v[55:56], -v[101:102]
	ds_read2_b64 v[101:104], v98 offset0:52 offset1:53
	s_waitcnt lgkmcnt(0)
	v_mul_f64 v[105:106], v[103:104], v[111:112]
	v_fma_f64 v[105:106], v[101:102], v[125:126], -v[105:106]
	v_mul_f64 v[101:102], v[101:102], v[111:112]
	v_add_f64 v[49:50], v[49:50], -v[105:106]
	v_fma_f64 v[101:102], v[103:104], v[125:126], v[101:102]
	v_add_f64 v[51:52], v[51:52], -v[101:102]
	ds_read2_b64 v[101:104], v98 offset0:54 offset1:55
	s_waitcnt lgkmcnt(0)
	v_mul_f64 v[105:106], v[103:104], v[111:112]
	v_fma_f64 v[105:106], v[101:102], v[125:126], -v[105:106]
	v_mul_f64 v[101:102], v[101:102], v[111:112]
	v_add_f64 v[45:46], v[45:46], -v[105:106]
	v_fma_f64 v[101:102], v[103:104], v[125:126], v[101:102]
	v_add_f64 v[47:48], v[47:48], -v[101:102]
	ds_read2_b64 v[101:104], v98 offset0:56 offset1:57
	s_waitcnt lgkmcnt(0)
	v_mul_f64 v[105:106], v[103:104], v[111:112]
	v_fma_f64 v[105:106], v[101:102], v[125:126], -v[105:106]
	v_mul_f64 v[101:102], v[101:102], v[111:112]
	v_add_f64 v[41:42], v[41:42], -v[105:106]
	v_fma_f64 v[101:102], v[103:104], v[125:126], v[101:102]
	v_add_f64 v[43:44], v[43:44], -v[101:102]
	ds_read2_b64 v[101:104], v98 offset0:58 offset1:59
	s_waitcnt lgkmcnt(0)
	v_mul_f64 v[105:106], v[103:104], v[111:112]
	v_fma_f64 v[105:106], v[101:102], v[125:126], -v[105:106]
	v_mul_f64 v[101:102], v[101:102], v[111:112]
	v_add_f64 v[37:38], v[37:38], -v[105:106]
	v_fma_f64 v[101:102], v[103:104], v[125:126], v[101:102]
	v_add_f64 v[39:40], v[39:40], -v[101:102]
	ds_read2_b64 v[101:104], v98 offset0:60 offset1:61
	s_waitcnt lgkmcnt(0)
	v_mul_f64 v[105:106], v[103:104], v[111:112]
	v_fma_f64 v[105:106], v[101:102], v[125:126], -v[105:106]
	v_mul_f64 v[101:102], v[101:102], v[111:112]
	v_add_f64 v[33:34], v[33:34], -v[105:106]
	v_fma_f64 v[101:102], v[103:104], v[125:126], v[101:102]
	v_add_f64 v[35:36], v[35:36], -v[101:102]
	ds_read2_b64 v[101:104], v98 offset0:62 offset1:63
	s_waitcnt lgkmcnt(0)
	v_mul_f64 v[105:106], v[103:104], v[111:112]
	v_fma_f64 v[105:106], v[101:102], v[125:126], -v[105:106]
	v_mul_f64 v[101:102], v[101:102], v[111:112]
	v_add_f64 v[29:30], v[29:30], -v[105:106]
	v_fma_f64 v[101:102], v[103:104], v[125:126], v[101:102]
	v_add_f64 v[31:32], v[31:32], -v[101:102]
	ds_read2_b64 v[101:104], v98 offset0:64 offset1:65
	s_waitcnt lgkmcnt(0)
	v_mul_f64 v[105:106], v[103:104], v[111:112]
	v_fma_f64 v[105:106], v[101:102], v[125:126], -v[105:106]
	v_mul_f64 v[101:102], v[101:102], v[111:112]
	v_add_f64 v[25:26], v[25:26], -v[105:106]
	v_fma_f64 v[101:102], v[103:104], v[125:126], v[101:102]
	v_add_f64 v[27:28], v[27:28], -v[101:102]
	ds_read2_b64 v[101:104], v98 offset0:66 offset1:67
	s_waitcnt lgkmcnt(0)
	v_mul_f64 v[105:106], v[103:104], v[111:112]
	v_fma_f64 v[105:106], v[101:102], v[125:126], -v[105:106]
	v_mul_f64 v[101:102], v[101:102], v[111:112]
	v_add_f64 v[21:22], v[21:22], -v[105:106]
	v_fma_f64 v[101:102], v[103:104], v[125:126], v[101:102]
	v_add_f64 v[23:24], v[23:24], -v[101:102]
	ds_read2_b64 v[101:104], v98 offset0:68 offset1:69
	s_waitcnt lgkmcnt(0)
	v_mul_f64 v[105:106], v[103:104], v[111:112]
	v_fma_f64 v[105:106], v[101:102], v[125:126], -v[105:106]
	v_mul_f64 v[101:102], v[101:102], v[111:112]
	v_add_f64 v[17:18], v[17:18], -v[105:106]
	v_fma_f64 v[101:102], v[103:104], v[125:126], v[101:102]
	v_add_f64 v[19:20], v[19:20], -v[101:102]
	ds_read2_b64 v[101:104], v98 offset0:70 offset1:71
	s_waitcnt lgkmcnt(0)
	v_mul_f64 v[105:106], v[103:104], v[111:112]
	v_fma_f64 v[105:106], v[101:102], v[125:126], -v[105:106]
	v_mul_f64 v[101:102], v[101:102], v[111:112]
	v_add_f64 v[13:14], v[13:14], -v[105:106]
	v_fma_f64 v[101:102], v[103:104], v[125:126], v[101:102]
	v_add_f64 v[15:16], v[15:16], -v[101:102]
	ds_read2_b64 v[101:104], v98 offset0:72 offset1:73
	s_waitcnt lgkmcnt(0)
	v_mul_f64 v[105:106], v[103:104], v[111:112]
	v_fma_f64 v[105:106], v[101:102], v[125:126], -v[105:106]
	v_mul_f64 v[101:102], v[101:102], v[111:112]
	v_add_f64 v[9:10], v[9:10], -v[105:106]
	v_fma_f64 v[101:102], v[103:104], v[125:126], v[101:102]
	v_add_f64 v[11:12], v[11:12], -v[101:102]
	ds_read2_b64 v[101:104], v98 offset0:74 offset1:75
	s_waitcnt lgkmcnt(0)
	v_mul_f64 v[105:106], v[103:104], v[111:112]
	v_fma_f64 v[105:106], v[101:102], v[125:126], -v[105:106]
	v_mul_f64 v[101:102], v[101:102], v[111:112]
	v_add_f64 v[5:6], v[5:6], -v[105:106]
	v_fma_f64 v[101:102], v[103:104], v[125:126], v[101:102]
	v_add_f64 v[7:8], v[7:8], -v[101:102]
	ds_read2_b64 v[101:104], v98 offset0:76 offset1:77
	s_waitcnt lgkmcnt(0)
	v_mul_f64 v[105:106], v[103:104], v[111:112]
	v_fma_f64 v[105:106], v[101:102], v[125:126], -v[105:106]
	v_mul_f64 v[101:102], v[101:102], v[111:112]
	v_add_f64 v[1:2], v[1:2], -v[105:106]
	v_fma_f64 v[101:102], v[103:104], v[125:126], v[101:102]
	v_add_f64 v[3:4], v[3:4], -v[101:102]
	ds_read2_b64 v[101:104], v98 offset0:78 offset1:79
	s_waitcnt lgkmcnt(0)
	v_mul_f64 v[105:106], v[103:104], v[111:112]
	v_fma_f64 v[105:106], v[101:102], v[125:126], -v[105:106]
	v_mul_f64 v[101:102], v[101:102], v[111:112]
	buffer_store_dword v109, off, s[24:27], 0 offset:128 ; 4-byte Folded Spill
	s_nop 0
	buffer_store_dword v110, off, s[24:27], 0 offset:132 ; 4-byte Folded Spill
	buffer_store_dword v111, off, s[24:27], 0 offset:136 ; 4-byte Folded Spill
	;; [unrolled: 1-line block ×3, first 2 shown]
	v_add_f64 v[117:118], v[117:118], -v[105:106]
	v_fma_f64 v[101:102], v[103:104], v[125:126], v[101:102]
	v_add_f64 v[119:120], v[119:120], -v[101:102]
.LBB78_146:
	s_or_b64 exec, exec, s[0:1]
	s_waitcnt vmcnt(0)
	s_barrier
	buffer_load_dword v102, off, s[24:27], 0 offset:112 ; 4-byte Folded Reload
	buffer_load_dword v103, off, s[24:27], 0 offset:116 ; 4-byte Folded Reload
	;; [unrolled: 1-line block ×4, first 2 shown]
	v_lshl_add_u32 v101, v100, 4, v98
	s_cmp_lt_i32 s3, 9
	s_waitcnt vmcnt(0)
	ds_write2_b64 v101, v[102:103], v[104:105] offset1:1
	s_waitcnt lgkmcnt(0)
	s_barrier
	ds_read2_b64 v[121:124], v98 offset0:14 offset1:15
	v_mov_b32_e32 v101, 7
	s_cbranch_scc1 .LBB78_149
; %bb.147:
	v_add_u32_e32 v102, 0x80, v98
	s_mov_b32 s0, 8
	v_mov_b32_e32 v101, 7
.LBB78_148:                             ; =>This Inner Loop Header: Depth=1
	s_waitcnt lgkmcnt(0)
	v_cmp_gt_f64_e32 vcc, 0, v[121:122]
	v_xor_b32_e32 v107, 0x80000000, v122
	ds_read2_b64 v[103:106], v102 offset1:1
	v_xor_b32_e32 v109, 0x80000000, v124
	v_add_u32_e32 v102, 16, v102
	s_waitcnt lgkmcnt(0)
	v_xor_b32_e32 v111, 0x80000000, v106
	v_cndmask_b32_e32 v108, v122, v107, vcc
	v_cmp_gt_f64_e32 vcc, 0, v[123:124]
	v_mov_b32_e32 v107, v121
	v_cndmask_b32_e32 v110, v124, v109, vcc
	v_cmp_gt_f64_e32 vcc, 0, v[103:104]
	v_mov_b32_e32 v109, v123
	v_add_f64 v[107:108], v[107:108], v[109:110]
	v_xor_b32_e32 v109, 0x80000000, v104
	v_cndmask_b32_e32 v110, v104, v109, vcc
	v_cmp_gt_f64_e32 vcc, 0, v[105:106]
	v_mov_b32_e32 v109, v103
	v_cndmask_b32_e32 v112, v106, v111, vcc
	v_mov_b32_e32 v111, v105
	v_add_f64 v[109:110], v[109:110], v[111:112]
	v_cmp_lt_f64_e32 vcc, v[107:108], v[109:110]
	v_cndmask_b32_e32 v121, v121, v103, vcc
	v_mov_b32_e32 v103, s0
	s_add_i32 s0, s0, 1
	v_cndmask_b32_e32 v122, v122, v104, vcc
	v_cndmask_b32_e32 v124, v124, v106, vcc
	;; [unrolled: 1-line block ×4, first 2 shown]
	s_cmp_lg_u32 s3, s0
	s_cbranch_scc1 .LBB78_148
.LBB78_149:
	s_waitcnt lgkmcnt(0)
	v_cmp_eq_f64_e32 vcc, 0, v[121:122]
	v_cmp_eq_f64_e64 s[0:1], 0, v[123:124]
	s_and_b64 s[0:1], vcc, s[0:1]
	s_and_saveexec_b64 s[18:19], s[0:1]
	s_xor_b64 s[0:1], exec, s[18:19]
; %bb.150:
	v_cmp_ne_u32_e32 vcc, 0, v99
	v_cndmask_b32_e32 v99, 8, v99, vcc
; %bb.151:
	s_andn2_saveexec_b64 s[0:1], s[0:1]
	s_cbranch_execz .LBB78_157
; %bb.152:
	v_cmp_ngt_f64_e64 s[18:19], |v[121:122]|, |v[123:124]|
	s_and_saveexec_b64 s[20:21], s[18:19]
	s_xor_b64 s[18:19], exec, s[20:21]
	s_cbranch_execz .LBB78_154
; %bb.153:
	v_div_scale_f64 v[102:103], s[20:21], v[123:124], v[123:124], v[121:122]
	v_rcp_f64_e32 v[104:105], v[102:103]
	v_fma_f64 v[106:107], -v[102:103], v[104:105], 1.0
	v_fma_f64 v[104:105], v[104:105], v[106:107], v[104:105]
	v_div_scale_f64 v[106:107], vcc, v[121:122], v[123:124], v[121:122]
	v_fma_f64 v[108:109], -v[102:103], v[104:105], 1.0
	v_fma_f64 v[104:105], v[104:105], v[108:109], v[104:105]
	v_mul_f64 v[108:109], v[106:107], v[104:105]
	v_fma_f64 v[102:103], -v[102:103], v[108:109], v[106:107]
	v_div_fmas_f64 v[102:103], v[102:103], v[104:105], v[108:109]
	v_div_fixup_f64 v[102:103], v[102:103], v[123:124], v[121:122]
	v_fma_f64 v[104:105], v[121:122], v[102:103], v[123:124]
	v_div_scale_f64 v[106:107], s[20:21], v[104:105], v[104:105], 1.0
	v_div_scale_f64 v[112:113], vcc, 1.0, v[104:105], 1.0
	v_rcp_f64_e32 v[108:109], v[106:107]
	v_fma_f64 v[110:111], -v[106:107], v[108:109], 1.0
	v_fma_f64 v[108:109], v[108:109], v[110:111], v[108:109]
	v_fma_f64 v[110:111], -v[106:107], v[108:109], 1.0
	v_fma_f64 v[108:109], v[108:109], v[110:111], v[108:109]
	v_mul_f64 v[110:111], v[112:113], v[108:109]
	v_fma_f64 v[106:107], -v[106:107], v[110:111], v[112:113]
	v_div_fmas_f64 v[106:107], v[106:107], v[108:109], v[110:111]
	v_div_fixup_f64 v[123:124], v[106:107], v[104:105], 1.0
	v_mul_f64 v[121:122], v[102:103], v[123:124]
	v_xor_b32_e32 v124, 0x80000000, v124
.LBB78_154:
	s_andn2_saveexec_b64 s[18:19], s[18:19]
	s_cbranch_execz .LBB78_156
; %bb.155:
	v_div_scale_f64 v[102:103], s[20:21], v[121:122], v[121:122], v[123:124]
	v_rcp_f64_e32 v[104:105], v[102:103]
	v_fma_f64 v[106:107], -v[102:103], v[104:105], 1.0
	v_fma_f64 v[104:105], v[104:105], v[106:107], v[104:105]
	v_div_scale_f64 v[106:107], vcc, v[123:124], v[121:122], v[123:124]
	v_fma_f64 v[108:109], -v[102:103], v[104:105], 1.0
	v_fma_f64 v[104:105], v[104:105], v[108:109], v[104:105]
	v_mul_f64 v[108:109], v[106:107], v[104:105]
	v_fma_f64 v[102:103], -v[102:103], v[108:109], v[106:107]
	v_div_fmas_f64 v[102:103], v[102:103], v[104:105], v[108:109]
	v_div_fixup_f64 v[102:103], v[102:103], v[121:122], v[123:124]
	v_fma_f64 v[104:105], v[123:124], v[102:103], v[121:122]
	v_div_scale_f64 v[106:107], s[20:21], v[104:105], v[104:105], 1.0
	v_div_scale_f64 v[112:113], vcc, 1.0, v[104:105], 1.0
	v_rcp_f64_e32 v[108:109], v[106:107]
	v_fma_f64 v[110:111], -v[106:107], v[108:109], 1.0
	v_fma_f64 v[108:109], v[108:109], v[110:111], v[108:109]
	v_fma_f64 v[110:111], -v[106:107], v[108:109], 1.0
	v_fma_f64 v[108:109], v[108:109], v[110:111], v[108:109]
	v_mul_f64 v[110:111], v[112:113], v[108:109]
	v_fma_f64 v[106:107], -v[106:107], v[110:111], v[112:113]
	v_div_fmas_f64 v[106:107], v[106:107], v[108:109], v[110:111]
	v_div_fixup_f64 v[121:122], v[106:107], v[104:105], 1.0
	v_mul_f64 v[123:124], v[102:103], -v[121:122]
.LBB78_156:
	s_or_b64 exec, exec, s[18:19]
.LBB78_157:
	s_or_b64 exec, exec, s[0:1]
	v_cmp_ne_u32_e32 vcc, v100, v101
	s_and_saveexec_b64 s[0:1], vcc
	s_xor_b64 s[0:1], exec, s[0:1]
	s_cbranch_execz .LBB78_163
; %bb.158:
	v_cmp_eq_u32_e32 vcc, 7, v100
	s_and_saveexec_b64 s[18:19], vcc
	s_cbranch_execz .LBB78_162
; %bb.159:
	v_cmp_ne_u32_e32 vcc, 7, v101
	s_xor_b64 s[20:21], s[6:7], -1
	s_and_b64 s[22:23], s[20:21], vcc
	s_and_saveexec_b64 s[20:21], s[22:23]
	s_cbranch_execz .LBB78_161
; %bb.160:
	v_ashrrev_i32_e32 v102, 31, v101
	v_lshlrev_b64 v[102:103], 2, v[101:102]
	v_add_co_u32_e32 v102, vcc, v115, v102
	v_addc_co_u32_e32 v103, vcc, v116, v103, vcc
	global_load_dword v0, v[102:103], off
	global_load_dword v100, v[115:116], off offset:28
	s_waitcnt vmcnt(1)
	global_store_dword v[115:116], v0, off offset:28
	s_waitcnt vmcnt(1)
	global_store_dword v[102:103], v100, off
.LBB78_161:
	s_or_b64 exec, exec, s[20:21]
	v_mov_b32_e32 v100, v101
	v_mov_b32_e32 v0, v101
.LBB78_162:
	s_or_b64 exec, exec, s[18:19]
.LBB78_163:
	s_andn2_saveexec_b64 s[0:1], s[0:1]
	s_cbranch_execz .LBB78_165
; %bb.164:
	buffer_load_dword v100, off, s[24:27], 0 offset:96 ; 4-byte Folded Reload
	buffer_load_dword v101, off, s[24:27], 0 offset:100 ; 4-byte Folded Reload
	buffer_load_dword v102, off, s[24:27], 0 offset:104 ; 4-byte Folded Reload
	buffer_load_dword v103, off, s[24:27], 0 offset:108 ; 4-byte Folded Reload
	s_waitcnt vmcnt(0)
	ds_write2_b64 v98, v[100:101], v[102:103] offset0:16 offset1:17
	buffer_load_dword v100, off, s[24:27], 0 offset:80 ; 4-byte Folded Reload
	buffer_load_dword v101, off, s[24:27], 0 offset:84 ; 4-byte Folded Reload
	buffer_load_dword v102, off, s[24:27], 0 offset:88 ; 4-byte Folded Reload
	buffer_load_dword v103, off, s[24:27], 0 offset:92 ; 4-byte Folded Reload
	s_waitcnt vmcnt(0)
	ds_write2_b64 v98, v[100:101], v[102:103] offset0:18 offset1:19
	;; [unrolled: 6-line block ×6, first 2 shown]
	buffer_load_dword v100, off, s[24:27], 0 ; 4-byte Folded Reload
	buffer_load_dword v101, off, s[24:27], 0 offset:4 ; 4-byte Folded Reload
	buffer_load_dword v102, off, s[24:27], 0 offset:8 ; 4-byte Folded Reload
	;; [unrolled: 1-line block ×3, first 2 shown]
	s_waitcnt vmcnt(0)
	ds_write2_b64 v98, v[100:101], v[102:103] offset0:28 offset1:29
	ds_write2_b64 v98, v[93:94], v[95:96] offset0:30 offset1:31
	;; [unrolled: 1-line block ×26, first 2 shown]
	v_mov_b32_e32 v100, 7
.LBB78_165:
	s_or_b64 exec, exec, s[0:1]
	v_cmp_lt_i32_e32 vcc, 7, v100
	s_waitcnt vmcnt(0) lgkmcnt(0)
	s_barrier
	s_and_saveexec_b64 s[0:1], vcc
	s_cbranch_execz .LBB78_167
; %bb.166:
	buffer_load_dword v109, off, s[24:27], 0 offset:112 ; 4-byte Folded Reload
	buffer_load_dword v110, off, s[24:27], 0 offset:116 ; 4-byte Folded Reload
	;; [unrolled: 1-line block ×4, first 2 shown]
	s_waitcnt vmcnt(0)
	v_mul_f64 v[101:102], v[123:124], v[111:112]
	v_fma_f64 v[125:126], v[121:122], v[109:110], -v[101:102]
	v_mul_f64 v[101:102], v[121:122], v[111:112]
	v_fma_f64 v[111:112], v[123:124], v[109:110], v[101:102]
	ds_read2_b64 v[101:104], v98 offset0:16 offset1:17
	buffer_load_dword v107, off, s[24:27], 0 offset:96 ; 4-byte Folded Reload
	buffer_load_dword v108, off, s[24:27], 0 offset:100 ; 4-byte Folded Reload
	buffer_load_dword v109, off, s[24:27], 0 offset:104 ; 4-byte Folded Reload
	buffer_load_dword v110, off, s[24:27], 0 offset:108 ; 4-byte Folded Reload
	s_waitcnt lgkmcnt(0)
	v_mul_f64 v[105:106], v[103:104], v[111:112]
	v_fma_f64 v[105:106], v[101:102], v[125:126], -v[105:106]
	v_mul_f64 v[101:102], v[101:102], v[111:112]
	v_fma_f64 v[101:102], v[103:104], v[125:126], v[101:102]
	s_waitcnt vmcnt(2)
	v_add_f64 v[107:108], v[107:108], -v[105:106]
	s_waitcnt vmcnt(0)
	v_add_f64 v[109:110], v[109:110], -v[101:102]
	buffer_store_dword v107, off, s[24:27], 0 offset:96 ; 4-byte Folded Spill
	s_nop 0
	buffer_store_dword v108, off, s[24:27], 0 offset:100 ; 4-byte Folded Spill
	buffer_store_dword v109, off, s[24:27], 0 offset:104 ; 4-byte Folded Spill
	buffer_store_dword v110, off, s[24:27], 0 offset:108 ; 4-byte Folded Spill
	ds_read2_b64 v[101:104], v98 offset0:18 offset1:19
	buffer_load_dword v107, off, s[24:27], 0 offset:80 ; 4-byte Folded Reload
	buffer_load_dword v108, off, s[24:27], 0 offset:84 ; 4-byte Folded Reload
	buffer_load_dword v109, off, s[24:27], 0 offset:88 ; 4-byte Folded Reload
	buffer_load_dword v110, off, s[24:27], 0 offset:92 ; 4-byte Folded Reload
	s_waitcnt lgkmcnt(0)
	v_mul_f64 v[105:106], v[103:104], v[111:112]
	v_fma_f64 v[105:106], v[101:102], v[125:126], -v[105:106]
	v_mul_f64 v[101:102], v[101:102], v[111:112]
	v_fma_f64 v[101:102], v[103:104], v[125:126], v[101:102]
	s_waitcnt vmcnt(2)
	v_add_f64 v[107:108], v[107:108], -v[105:106]
	s_waitcnt vmcnt(0)
	v_add_f64 v[109:110], v[109:110], -v[101:102]
	buffer_store_dword v107, off, s[24:27], 0 offset:80 ; 4-byte Folded Spill
	s_nop 0
	buffer_store_dword v108, off, s[24:27], 0 offset:84 ; 4-byte Folded Spill
	buffer_store_dword v109, off, s[24:27], 0 offset:88 ; 4-byte Folded Spill
	buffer_store_dword v110, off, s[24:27], 0 offset:92 ; 4-byte Folded Spill
	;; [unrolled: 19-line block ×6, first 2 shown]
	ds_read2_b64 v[101:104], v98 offset0:28 offset1:29
	buffer_load_dword v107, off, s[24:27], 0 ; 4-byte Folded Reload
	buffer_load_dword v108, off, s[24:27], 0 offset:4 ; 4-byte Folded Reload
	buffer_load_dword v109, off, s[24:27], 0 offset:8 ; 4-byte Folded Reload
	;; [unrolled: 1-line block ×3, first 2 shown]
	s_waitcnt lgkmcnt(0)
	v_mul_f64 v[105:106], v[103:104], v[111:112]
	v_fma_f64 v[105:106], v[101:102], v[125:126], -v[105:106]
	v_mul_f64 v[101:102], v[101:102], v[111:112]
	v_fma_f64 v[101:102], v[103:104], v[125:126], v[101:102]
	s_waitcnt vmcnt(2)
	v_add_f64 v[107:108], v[107:108], -v[105:106]
	s_waitcnt vmcnt(0)
	v_add_f64 v[109:110], v[109:110], -v[101:102]
	buffer_store_dword v107, off, s[24:27], 0 ; 4-byte Folded Spill
	s_nop 0
	buffer_store_dword v108, off, s[24:27], 0 offset:4 ; 4-byte Folded Spill
	buffer_store_dword v109, off, s[24:27], 0 offset:8 ; 4-byte Folded Spill
	;; [unrolled: 1-line block ×3, first 2 shown]
	ds_read2_b64 v[101:104], v98 offset0:30 offset1:31
	v_mov_b32_e32 v109, v125
	v_mov_b32_e32 v110, v126
	s_waitcnt lgkmcnt(0)
	v_mul_f64 v[105:106], v[103:104], v[111:112]
	v_fma_f64 v[105:106], v[101:102], v[125:126], -v[105:106]
	v_mul_f64 v[101:102], v[101:102], v[111:112]
	v_add_f64 v[93:94], v[93:94], -v[105:106]
	v_fma_f64 v[101:102], v[103:104], v[125:126], v[101:102]
	v_add_f64 v[95:96], v[95:96], -v[101:102]
	ds_read2_b64 v[101:104], v98 offset0:32 offset1:33
	s_waitcnt lgkmcnt(0)
	v_mul_f64 v[105:106], v[103:104], v[111:112]
	v_fma_f64 v[105:106], v[101:102], v[125:126], -v[105:106]
	v_mul_f64 v[101:102], v[101:102], v[111:112]
	v_add_f64 v[89:90], v[89:90], -v[105:106]
	v_fma_f64 v[101:102], v[103:104], v[125:126], v[101:102]
	v_add_f64 v[91:92], v[91:92], -v[101:102]
	ds_read2_b64 v[101:104], v98 offset0:34 offset1:35
	;; [unrolled: 8-line block ×24, first 2 shown]
	s_waitcnt lgkmcnt(0)
	v_mul_f64 v[105:106], v[103:104], v[111:112]
	v_fma_f64 v[105:106], v[101:102], v[125:126], -v[105:106]
	v_mul_f64 v[101:102], v[101:102], v[111:112]
	buffer_store_dword v109, off, s[24:27], 0 offset:112 ; 4-byte Folded Spill
	s_nop 0
	buffer_store_dword v110, off, s[24:27], 0 offset:116 ; 4-byte Folded Spill
	buffer_store_dword v111, off, s[24:27], 0 offset:120 ; 4-byte Folded Spill
	;; [unrolled: 1-line block ×3, first 2 shown]
	v_add_f64 v[117:118], v[117:118], -v[105:106]
	v_fma_f64 v[101:102], v[103:104], v[125:126], v[101:102]
	v_add_f64 v[119:120], v[119:120], -v[101:102]
.LBB78_167:
	s_or_b64 exec, exec, s[0:1]
	s_waitcnt vmcnt(0)
	s_barrier
	buffer_load_dword v102, off, s[24:27], 0 offset:96 ; 4-byte Folded Reload
	buffer_load_dword v103, off, s[24:27], 0 offset:100 ; 4-byte Folded Reload
	buffer_load_dword v104, off, s[24:27], 0 offset:104 ; 4-byte Folded Reload
	buffer_load_dword v105, off, s[24:27], 0 offset:108 ; 4-byte Folded Reload
	v_lshl_add_u32 v101, v100, 4, v98
	s_cmp_lt_i32 s3, 10
	s_waitcnt vmcnt(0)
	ds_write2_b64 v101, v[102:103], v[104:105] offset1:1
	s_waitcnt lgkmcnt(0)
	s_barrier
	ds_read2_b64 v[121:124], v98 offset0:16 offset1:17
	v_mov_b32_e32 v101, 8
	s_cbranch_scc1 .LBB78_170
; %bb.168:
	v_add_u32_e32 v102, 0x90, v98
	s_mov_b32 s0, 9
	v_mov_b32_e32 v101, 8
.LBB78_169:                             ; =>This Inner Loop Header: Depth=1
	s_waitcnt lgkmcnt(0)
	v_cmp_gt_f64_e32 vcc, 0, v[121:122]
	v_xor_b32_e32 v107, 0x80000000, v122
	ds_read2_b64 v[103:106], v102 offset1:1
	v_xor_b32_e32 v109, 0x80000000, v124
	v_add_u32_e32 v102, 16, v102
	s_waitcnt lgkmcnt(0)
	v_xor_b32_e32 v111, 0x80000000, v106
	v_cndmask_b32_e32 v108, v122, v107, vcc
	v_cmp_gt_f64_e32 vcc, 0, v[123:124]
	v_mov_b32_e32 v107, v121
	v_cndmask_b32_e32 v110, v124, v109, vcc
	v_cmp_gt_f64_e32 vcc, 0, v[103:104]
	v_mov_b32_e32 v109, v123
	v_add_f64 v[107:108], v[107:108], v[109:110]
	v_xor_b32_e32 v109, 0x80000000, v104
	v_cndmask_b32_e32 v110, v104, v109, vcc
	v_cmp_gt_f64_e32 vcc, 0, v[105:106]
	v_mov_b32_e32 v109, v103
	v_cndmask_b32_e32 v112, v106, v111, vcc
	v_mov_b32_e32 v111, v105
	v_add_f64 v[109:110], v[109:110], v[111:112]
	v_cmp_lt_f64_e32 vcc, v[107:108], v[109:110]
	v_cndmask_b32_e32 v121, v121, v103, vcc
	v_mov_b32_e32 v103, s0
	s_add_i32 s0, s0, 1
	v_cndmask_b32_e32 v122, v122, v104, vcc
	v_cndmask_b32_e32 v124, v124, v106, vcc
	;; [unrolled: 1-line block ×4, first 2 shown]
	s_cmp_lg_u32 s3, s0
	s_cbranch_scc1 .LBB78_169
.LBB78_170:
	s_waitcnt lgkmcnt(0)
	v_cmp_eq_f64_e32 vcc, 0, v[121:122]
	v_cmp_eq_f64_e64 s[0:1], 0, v[123:124]
	s_and_b64 s[0:1], vcc, s[0:1]
	s_and_saveexec_b64 s[18:19], s[0:1]
	s_xor_b64 s[0:1], exec, s[18:19]
; %bb.171:
	v_cmp_ne_u32_e32 vcc, 0, v99
	v_cndmask_b32_e32 v99, 9, v99, vcc
; %bb.172:
	s_andn2_saveexec_b64 s[0:1], s[0:1]
	s_cbranch_execz .LBB78_178
; %bb.173:
	v_cmp_ngt_f64_e64 s[18:19], |v[121:122]|, |v[123:124]|
	s_and_saveexec_b64 s[20:21], s[18:19]
	s_xor_b64 s[18:19], exec, s[20:21]
	s_cbranch_execz .LBB78_175
; %bb.174:
	v_div_scale_f64 v[102:103], s[20:21], v[123:124], v[123:124], v[121:122]
	v_rcp_f64_e32 v[104:105], v[102:103]
	v_fma_f64 v[106:107], -v[102:103], v[104:105], 1.0
	v_fma_f64 v[104:105], v[104:105], v[106:107], v[104:105]
	v_div_scale_f64 v[106:107], vcc, v[121:122], v[123:124], v[121:122]
	v_fma_f64 v[108:109], -v[102:103], v[104:105], 1.0
	v_fma_f64 v[104:105], v[104:105], v[108:109], v[104:105]
	v_mul_f64 v[108:109], v[106:107], v[104:105]
	v_fma_f64 v[102:103], -v[102:103], v[108:109], v[106:107]
	v_div_fmas_f64 v[102:103], v[102:103], v[104:105], v[108:109]
	v_div_fixup_f64 v[102:103], v[102:103], v[123:124], v[121:122]
	v_fma_f64 v[104:105], v[121:122], v[102:103], v[123:124]
	v_div_scale_f64 v[106:107], s[20:21], v[104:105], v[104:105], 1.0
	v_div_scale_f64 v[112:113], vcc, 1.0, v[104:105], 1.0
	v_rcp_f64_e32 v[108:109], v[106:107]
	v_fma_f64 v[110:111], -v[106:107], v[108:109], 1.0
	v_fma_f64 v[108:109], v[108:109], v[110:111], v[108:109]
	v_fma_f64 v[110:111], -v[106:107], v[108:109], 1.0
	v_fma_f64 v[108:109], v[108:109], v[110:111], v[108:109]
	v_mul_f64 v[110:111], v[112:113], v[108:109]
	v_fma_f64 v[106:107], -v[106:107], v[110:111], v[112:113]
	v_div_fmas_f64 v[106:107], v[106:107], v[108:109], v[110:111]
	v_div_fixup_f64 v[123:124], v[106:107], v[104:105], 1.0
	v_mul_f64 v[121:122], v[102:103], v[123:124]
	v_xor_b32_e32 v124, 0x80000000, v124
.LBB78_175:
	s_andn2_saveexec_b64 s[18:19], s[18:19]
	s_cbranch_execz .LBB78_177
; %bb.176:
	v_div_scale_f64 v[102:103], s[20:21], v[121:122], v[121:122], v[123:124]
	v_rcp_f64_e32 v[104:105], v[102:103]
	v_fma_f64 v[106:107], -v[102:103], v[104:105], 1.0
	v_fma_f64 v[104:105], v[104:105], v[106:107], v[104:105]
	v_div_scale_f64 v[106:107], vcc, v[123:124], v[121:122], v[123:124]
	v_fma_f64 v[108:109], -v[102:103], v[104:105], 1.0
	v_fma_f64 v[104:105], v[104:105], v[108:109], v[104:105]
	v_mul_f64 v[108:109], v[106:107], v[104:105]
	v_fma_f64 v[102:103], -v[102:103], v[108:109], v[106:107]
	v_div_fmas_f64 v[102:103], v[102:103], v[104:105], v[108:109]
	v_div_fixup_f64 v[102:103], v[102:103], v[121:122], v[123:124]
	v_fma_f64 v[104:105], v[123:124], v[102:103], v[121:122]
	v_div_scale_f64 v[106:107], s[20:21], v[104:105], v[104:105], 1.0
	v_div_scale_f64 v[112:113], vcc, 1.0, v[104:105], 1.0
	v_rcp_f64_e32 v[108:109], v[106:107]
	v_fma_f64 v[110:111], -v[106:107], v[108:109], 1.0
	v_fma_f64 v[108:109], v[108:109], v[110:111], v[108:109]
	v_fma_f64 v[110:111], -v[106:107], v[108:109], 1.0
	v_fma_f64 v[108:109], v[108:109], v[110:111], v[108:109]
	v_mul_f64 v[110:111], v[112:113], v[108:109]
	v_fma_f64 v[106:107], -v[106:107], v[110:111], v[112:113]
	v_div_fmas_f64 v[106:107], v[106:107], v[108:109], v[110:111]
	v_div_fixup_f64 v[121:122], v[106:107], v[104:105], 1.0
	v_mul_f64 v[123:124], v[102:103], -v[121:122]
.LBB78_177:
	s_or_b64 exec, exec, s[18:19]
.LBB78_178:
	s_or_b64 exec, exec, s[0:1]
	v_cmp_ne_u32_e32 vcc, v100, v101
	s_and_saveexec_b64 s[0:1], vcc
	s_xor_b64 s[0:1], exec, s[0:1]
	s_cbranch_execz .LBB78_184
; %bb.179:
	v_cmp_eq_u32_e32 vcc, 8, v100
	s_and_saveexec_b64 s[18:19], vcc
	s_cbranch_execz .LBB78_183
; %bb.180:
	v_cmp_ne_u32_e32 vcc, 8, v101
	s_xor_b64 s[20:21], s[6:7], -1
	s_and_b64 s[22:23], s[20:21], vcc
	s_and_saveexec_b64 s[20:21], s[22:23]
	s_cbranch_execz .LBB78_182
; %bb.181:
	v_ashrrev_i32_e32 v102, 31, v101
	v_lshlrev_b64 v[102:103], 2, v[101:102]
	v_add_co_u32_e32 v102, vcc, v115, v102
	v_addc_co_u32_e32 v103, vcc, v116, v103, vcc
	global_load_dword v0, v[102:103], off
	global_load_dword v100, v[115:116], off offset:32
	s_waitcnt vmcnt(1)
	global_store_dword v[115:116], v0, off offset:32
	s_waitcnt vmcnt(1)
	global_store_dword v[102:103], v100, off
.LBB78_182:
	s_or_b64 exec, exec, s[20:21]
	v_mov_b32_e32 v100, v101
	v_mov_b32_e32 v0, v101
.LBB78_183:
	s_or_b64 exec, exec, s[18:19]
.LBB78_184:
	s_andn2_saveexec_b64 s[0:1], s[0:1]
	s_cbranch_execz .LBB78_186
; %bb.185:
	buffer_load_dword v100, off, s[24:27], 0 offset:80 ; 4-byte Folded Reload
	buffer_load_dword v101, off, s[24:27], 0 offset:84 ; 4-byte Folded Reload
	buffer_load_dword v102, off, s[24:27], 0 offset:88 ; 4-byte Folded Reload
	buffer_load_dword v103, off, s[24:27], 0 offset:92 ; 4-byte Folded Reload
	s_waitcnt vmcnt(0)
	ds_write2_b64 v98, v[100:101], v[102:103] offset0:18 offset1:19
	buffer_load_dword v100, off, s[24:27], 0 offset:64 ; 4-byte Folded Reload
	buffer_load_dword v101, off, s[24:27], 0 offset:68 ; 4-byte Folded Reload
	buffer_load_dword v102, off, s[24:27], 0 offset:72 ; 4-byte Folded Reload
	buffer_load_dword v103, off, s[24:27], 0 offset:76 ; 4-byte Folded Reload
	s_waitcnt vmcnt(0)
	ds_write2_b64 v98, v[100:101], v[102:103] offset0:20 offset1:21
	;; [unrolled: 6-line block ×5, first 2 shown]
	buffer_load_dword v100, off, s[24:27], 0 ; 4-byte Folded Reload
	buffer_load_dword v101, off, s[24:27], 0 offset:4 ; 4-byte Folded Reload
	buffer_load_dword v102, off, s[24:27], 0 offset:8 ; 4-byte Folded Reload
	;; [unrolled: 1-line block ×3, first 2 shown]
	s_waitcnt vmcnt(0)
	ds_write2_b64 v98, v[100:101], v[102:103] offset0:28 offset1:29
	ds_write2_b64 v98, v[93:94], v[95:96] offset0:30 offset1:31
	;; [unrolled: 1-line block ×26, first 2 shown]
	v_mov_b32_e32 v100, 8
.LBB78_186:
	s_or_b64 exec, exec, s[0:1]
	v_cmp_lt_i32_e32 vcc, 8, v100
	s_waitcnt vmcnt(0) lgkmcnt(0)
	s_barrier
	s_and_saveexec_b64 s[0:1], vcc
	s_cbranch_execz .LBB78_188
; %bb.187:
	buffer_load_dword v109, off, s[24:27], 0 offset:96 ; 4-byte Folded Reload
	buffer_load_dword v110, off, s[24:27], 0 offset:100 ; 4-byte Folded Reload
	buffer_load_dword v111, off, s[24:27], 0 offset:104 ; 4-byte Folded Reload
	buffer_load_dword v112, off, s[24:27], 0 offset:108 ; 4-byte Folded Reload
	s_waitcnt vmcnt(0)
	v_mul_f64 v[101:102], v[123:124], v[111:112]
	v_fma_f64 v[125:126], v[121:122], v[109:110], -v[101:102]
	v_mul_f64 v[101:102], v[121:122], v[111:112]
	v_fma_f64 v[111:112], v[123:124], v[109:110], v[101:102]
	ds_read2_b64 v[101:104], v98 offset0:18 offset1:19
	buffer_load_dword v107, off, s[24:27], 0 offset:80 ; 4-byte Folded Reload
	buffer_load_dword v108, off, s[24:27], 0 offset:84 ; 4-byte Folded Reload
	buffer_load_dword v109, off, s[24:27], 0 offset:88 ; 4-byte Folded Reload
	buffer_load_dword v110, off, s[24:27], 0 offset:92 ; 4-byte Folded Reload
	s_waitcnt lgkmcnt(0)
	v_mul_f64 v[105:106], v[103:104], v[111:112]
	v_fma_f64 v[105:106], v[101:102], v[125:126], -v[105:106]
	v_mul_f64 v[101:102], v[101:102], v[111:112]
	v_fma_f64 v[101:102], v[103:104], v[125:126], v[101:102]
	s_waitcnt vmcnt(2)
	v_add_f64 v[107:108], v[107:108], -v[105:106]
	s_waitcnt vmcnt(0)
	v_add_f64 v[109:110], v[109:110], -v[101:102]
	buffer_store_dword v107, off, s[24:27], 0 offset:80 ; 4-byte Folded Spill
	s_nop 0
	buffer_store_dword v108, off, s[24:27], 0 offset:84 ; 4-byte Folded Spill
	buffer_store_dword v109, off, s[24:27], 0 offset:88 ; 4-byte Folded Spill
	buffer_store_dword v110, off, s[24:27], 0 offset:92 ; 4-byte Folded Spill
	ds_read2_b64 v[101:104], v98 offset0:20 offset1:21
	buffer_load_dword v107, off, s[24:27], 0 offset:64 ; 4-byte Folded Reload
	buffer_load_dword v108, off, s[24:27], 0 offset:68 ; 4-byte Folded Reload
	buffer_load_dword v109, off, s[24:27], 0 offset:72 ; 4-byte Folded Reload
	buffer_load_dword v110, off, s[24:27], 0 offset:76 ; 4-byte Folded Reload
	s_waitcnt lgkmcnt(0)
	v_mul_f64 v[105:106], v[103:104], v[111:112]
	v_fma_f64 v[105:106], v[101:102], v[125:126], -v[105:106]
	v_mul_f64 v[101:102], v[101:102], v[111:112]
	v_fma_f64 v[101:102], v[103:104], v[125:126], v[101:102]
	s_waitcnt vmcnt(2)
	v_add_f64 v[107:108], v[107:108], -v[105:106]
	s_waitcnt vmcnt(0)
	v_add_f64 v[109:110], v[109:110], -v[101:102]
	buffer_store_dword v107, off, s[24:27], 0 offset:64 ; 4-byte Folded Spill
	s_nop 0
	buffer_store_dword v108, off, s[24:27], 0 offset:68 ; 4-byte Folded Spill
	buffer_store_dword v109, off, s[24:27], 0 offset:72 ; 4-byte Folded Spill
	buffer_store_dword v110, off, s[24:27], 0 offset:76 ; 4-byte Folded Spill
	;; [unrolled: 19-line block ×5, first 2 shown]
	ds_read2_b64 v[101:104], v98 offset0:28 offset1:29
	buffer_load_dword v107, off, s[24:27], 0 ; 4-byte Folded Reload
	buffer_load_dword v108, off, s[24:27], 0 offset:4 ; 4-byte Folded Reload
	buffer_load_dword v109, off, s[24:27], 0 offset:8 ; 4-byte Folded Reload
	;; [unrolled: 1-line block ×3, first 2 shown]
	s_waitcnt lgkmcnt(0)
	v_mul_f64 v[105:106], v[103:104], v[111:112]
	v_fma_f64 v[105:106], v[101:102], v[125:126], -v[105:106]
	v_mul_f64 v[101:102], v[101:102], v[111:112]
	v_fma_f64 v[101:102], v[103:104], v[125:126], v[101:102]
	s_waitcnt vmcnt(2)
	v_add_f64 v[107:108], v[107:108], -v[105:106]
	s_waitcnt vmcnt(0)
	v_add_f64 v[109:110], v[109:110], -v[101:102]
	buffer_store_dword v107, off, s[24:27], 0 ; 4-byte Folded Spill
	s_nop 0
	buffer_store_dword v108, off, s[24:27], 0 offset:4 ; 4-byte Folded Spill
	buffer_store_dword v109, off, s[24:27], 0 offset:8 ; 4-byte Folded Spill
	;; [unrolled: 1-line block ×3, first 2 shown]
	ds_read2_b64 v[101:104], v98 offset0:30 offset1:31
	v_mov_b32_e32 v109, v125
	v_mov_b32_e32 v110, v126
	s_waitcnt lgkmcnt(0)
	v_mul_f64 v[105:106], v[103:104], v[111:112]
	v_fma_f64 v[105:106], v[101:102], v[125:126], -v[105:106]
	v_mul_f64 v[101:102], v[101:102], v[111:112]
	v_add_f64 v[93:94], v[93:94], -v[105:106]
	v_fma_f64 v[101:102], v[103:104], v[125:126], v[101:102]
	v_add_f64 v[95:96], v[95:96], -v[101:102]
	ds_read2_b64 v[101:104], v98 offset0:32 offset1:33
	s_waitcnt lgkmcnt(0)
	v_mul_f64 v[105:106], v[103:104], v[111:112]
	v_fma_f64 v[105:106], v[101:102], v[125:126], -v[105:106]
	v_mul_f64 v[101:102], v[101:102], v[111:112]
	v_add_f64 v[89:90], v[89:90], -v[105:106]
	v_fma_f64 v[101:102], v[103:104], v[125:126], v[101:102]
	v_add_f64 v[91:92], v[91:92], -v[101:102]
	ds_read2_b64 v[101:104], v98 offset0:34 offset1:35
	;; [unrolled: 8-line block ×24, first 2 shown]
	s_waitcnt lgkmcnt(0)
	v_mul_f64 v[105:106], v[103:104], v[111:112]
	v_fma_f64 v[105:106], v[101:102], v[125:126], -v[105:106]
	v_mul_f64 v[101:102], v[101:102], v[111:112]
	buffer_store_dword v109, off, s[24:27], 0 offset:96 ; 4-byte Folded Spill
	s_nop 0
	buffer_store_dword v110, off, s[24:27], 0 offset:100 ; 4-byte Folded Spill
	buffer_store_dword v111, off, s[24:27], 0 offset:104 ; 4-byte Folded Spill
	;; [unrolled: 1-line block ×3, first 2 shown]
	v_add_f64 v[117:118], v[117:118], -v[105:106]
	v_fma_f64 v[101:102], v[103:104], v[125:126], v[101:102]
	v_add_f64 v[119:120], v[119:120], -v[101:102]
.LBB78_188:
	s_or_b64 exec, exec, s[0:1]
	s_waitcnt vmcnt(0)
	s_barrier
	buffer_load_dword v102, off, s[24:27], 0 offset:80 ; 4-byte Folded Reload
	buffer_load_dword v103, off, s[24:27], 0 offset:84 ; 4-byte Folded Reload
	;; [unrolled: 1-line block ×4, first 2 shown]
	v_lshl_add_u32 v101, v100, 4, v98
	s_cmp_lt_i32 s3, 11
	s_waitcnt vmcnt(0)
	ds_write2_b64 v101, v[102:103], v[104:105] offset1:1
	s_waitcnt lgkmcnt(0)
	s_barrier
	ds_read2_b64 v[121:124], v98 offset0:18 offset1:19
	v_mov_b32_e32 v101, 9
	s_cbranch_scc1 .LBB78_191
; %bb.189:
	v_add_u32_e32 v102, 0xa0, v98
	s_mov_b32 s0, 10
	v_mov_b32_e32 v101, 9
.LBB78_190:                             ; =>This Inner Loop Header: Depth=1
	s_waitcnt lgkmcnt(0)
	v_cmp_gt_f64_e32 vcc, 0, v[121:122]
	v_xor_b32_e32 v107, 0x80000000, v122
	ds_read2_b64 v[103:106], v102 offset1:1
	v_xor_b32_e32 v109, 0x80000000, v124
	v_add_u32_e32 v102, 16, v102
	s_waitcnt lgkmcnt(0)
	v_xor_b32_e32 v111, 0x80000000, v106
	v_cndmask_b32_e32 v108, v122, v107, vcc
	v_cmp_gt_f64_e32 vcc, 0, v[123:124]
	v_mov_b32_e32 v107, v121
	v_cndmask_b32_e32 v110, v124, v109, vcc
	v_cmp_gt_f64_e32 vcc, 0, v[103:104]
	v_mov_b32_e32 v109, v123
	v_add_f64 v[107:108], v[107:108], v[109:110]
	v_xor_b32_e32 v109, 0x80000000, v104
	v_cndmask_b32_e32 v110, v104, v109, vcc
	v_cmp_gt_f64_e32 vcc, 0, v[105:106]
	v_mov_b32_e32 v109, v103
	v_cndmask_b32_e32 v112, v106, v111, vcc
	v_mov_b32_e32 v111, v105
	v_add_f64 v[109:110], v[109:110], v[111:112]
	v_cmp_lt_f64_e32 vcc, v[107:108], v[109:110]
	v_cndmask_b32_e32 v121, v121, v103, vcc
	v_mov_b32_e32 v103, s0
	s_add_i32 s0, s0, 1
	v_cndmask_b32_e32 v122, v122, v104, vcc
	v_cndmask_b32_e32 v124, v124, v106, vcc
	;; [unrolled: 1-line block ×4, first 2 shown]
	s_cmp_lg_u32 s3, s0
	s_cbranch_scc1 .LBB78_190
.LBB78_191:
	s_waitcnt lgkmcnt(0)
	v_cmp_eq_f64_e32 vcc, 0, v[121:122]
	v_cmp_eq_f64_e64 s[0:1], 0, v[123:124]
	s_and_b64 s[0:1], vcc, s[0:1]
	s_and_saveexec_b64 s[18:19], s[0:1]
	s_xor_b64 s[0:1], exec, s[18:19]
; %bb.192:
	v_cmp_ne_u32_e32 vcc, 0, v99
	v_cndmask_b32_e32 v99, 10, v99, vcc
; %bb.193:
	s_andn2_saveexec_b64 s[0:1], s[0:1]
	s_cbranch_execz .LBB78_199
; %bb.194:
	v_cmp_ngt_f64_e64 s[18:19], |v[121:122]|, |v[123:124]|
	s_and_saveexec_b64 s[20:21], s[18:19]
	s_xor_b64 s[18:19], exec, s[20:21]
	s_cbranch_execz .LBB78_196
; %bb.195:
	v_div_scale_f64 v[102:103], s[20:21], v[123:124], v[123:124], v[121:122]
	v_rcp_f64_e32 v[104:105], v[102:103]
	v_fma_f64 v[106:107], -v[102:103], v[104:105], 1.0
	v_fma_f64 v[104:105], v[104:105], v[106:107], v[104:105]
	v_div_scale_f64 v[106:107], vcc, v[121:122], v[123:124], v[121:122]
	v_fma_f64 v[108:109], -v[102:103], v[104:105], 1.0
	v_fma_f64 v[104:105], v[104:105], v[108:109], v[104:105]
	v_mul_f64 v[108:109], v[106:107], v[104:105]
	v_fma_f64 v[102:103], -v[102:103], v[108:109], v[106:107]
	v_div_fmas_f64 v[102:103], v[102:103], v[104:105], v[108:109]
	v_div_fixup_f64 v[102:103], v[102:103], v[123:124], v[121:122]
	v_fma_f64 v[104:105], v[121:122], v[102:103], v[123:124]
	v_div_scale_f64 v[106:107], s[20:21], v[104:105], v[104:105], 1.0
	v_div_scale_f64 v[112:113], vcc, 1.0, v[104:105], 1.0
	v_rcp_f64_e32 v[108:109], v[106:107]
	v_fma_f64 v[110:111], -v[106:107], v[108:109], 1.0
	v_fma_f64 v[108:109], v[108:109], v[110:111], v[108:109]
	v_fma_f64 v[110:111], -v[106:107], v[108:109], 1.0
	v_fma_f64 v[108:109], v[108:109], v[110:111], v[108:109]
	v_mul_f64 v[110:111], v[112:113], v[108:109]
	v_fma_f64 v[106:107], -v[106:107], v[110:111], v[112:113]
	v_div_fmas_f64 v[106:107], v[106:107], v[108:109], v[110:111]
	v_div_fixup_f64 v[123:124], v[106:107], v[104:105], 1.0
	v_mul_f64 v[121:122], v[102:103], v[123:124]
	v_xor_b32_e32 v124, 0x80000000, v124
.LBB78_196:
	s_andn2_saveexec_b64 s[18:19], s[18:19]
	s_cbranch_execz .LBB78_198
; %bb.197:
	v_div_scale_f64 v[102:103], s[20:21], v[121:122], v[121:122], v[123:124]
	v_rcp_f64_e32 v[104:105], v[102:103]
	v_fma_f64 v[106:107], -v[102:103], v[104:105], 1.0
	v_fma_f64 v[104:105], v[104:105], v[106:107], v[104:105]
	v_div_scale_f64 v[106:107], vcc, v[123:124], v[121:122], v[123:124]
	v_fma_f64 v[108:109], -v[102:103], v[104:105], 1.0
	v_fma_f64 v[104:105], v[104:105], v[108:109], v[104:105]
	v_mul_f64 v[108:109], v[106:107], v[104:105]
	v_fma_f64 v[102:103], -v[102:103], v[108:109], v[106:107]
	v_div_fmas_f64 v[102:103], v[102:103], v[104:105], v[108:109]
	v_div_fixup_f64 v[102:103], v[102:103], v[121:122], v[123:124]
	v_fma_f64 v[104:105], v[123:124], v[102:103], v[121:122]
	v_div_scale_f64 v[106:107], s[20:21], v[104:105], v[104:105], 1.0
	v_div_scale_f64 v[112:113], vcc, 1.0, v[104:105], 1.0
	v_rcp_f64_e32 v[108:109], v[106:107]
	v_fma_f64 v[110:111], -v[106:107], v[108:109], 1.0
	v_fma_f64 v[108:109], v[108:109], v[110:111], v[108:109]
	v_fma_f64 v[110:111], -v[106:107], v[108:109], 1.0
	v_fma_f64 v[108:109], v[108:109], v[110:111], v[108:109]
	v_mul_f64 v[110:111], v[112:113], v[108:109]
	v_fma_f64 v[106:107], -v[106:107], v[110:111], v[112:113]
	v_div_fmas_f64 v[106:107], v[106:107], v[108:109], v[110:111]
	v_div_fixup_f64 v[121:122], v[106:107], v[104:105], 1.0
	v_mul_f64 v[123:124], v[102:103], -v[121:122]
.LBB78_198:
	s_or_b64 exec, exec, s[18:19]
.LBB78_199:
	s_or_b64 exec, exec, s[0:1]
	v_cmp_ne_u32_e32 vcc, v100, v101
	s_and_saveexec_b64 s[0:1], vcc
	s_xor_b64 s[0:1], exec, s[0:1]
	s_cbranch_execz .LBB78_205
; %bb.200:
	v_cmp_eq_u32_e32 vcc, 9, v100
	s_and_saveexec_b64 s[18:19], vcc
	s_cbranch_execz .LBB78_204
; %bb.201:
	v_cmp_ne_u32_e32 vcc, 9, v101
	s_xor_b64 s[20:21], s[6:7], -1
	s_and_b64 s[22:23], s[20:21], vcc
	s_and_saveexec_b64 s[20:21], s[22:23]
	s_cbranch_execz .LBB78_203
; %bb.202:
	v_ashrrev_i32_e32 v102, 31, v101
	v_lshlrev_b64 v[102:103], 2, v[101:102]
	v_add_co_u32_e32 v102, vcc, v115, v102
	v_addc_co_u32_e32 v103, vcc, v116, v103, vcc
	global_load_dword v0, v[102:103], off
	global_load_dword v100, v[115:116], off offset:36
	s_waitcnt vmcnt(1)
	global_store_dword v[115:116], v0, off offset:36
	s_waitcnt vmcnt(1)
	global_store_dword v[102:103], v100, off
.LBB78_203:
	s_or_b64 exec, exec, s[20:21]
	v_mov_b32_e32 v100, v101
	v_mov_b32_e32 v0, v101
.LBB78_204:
	s_or_b64 exec, exec, s[18:19]
.LBB78_205:
	s_andn2_saveexec_b64 s[0:1], s[0:1]
	s_cbranch_execz .LBB78_207
; %bb.206:
	buffer_load_dword v100, off, s[24:27], 0 offset:64 ; 4-byte Folded Reload
	buffer_load_dword v101, off, s[24:27], 0 offset:68 ; 4-byte Folded Reload
	buffer_load_dword v102, off, s[24:27], 0 offset:72 ; 4-byte Folded Reload
	buffer_load_dword v103, off, s[24:27], 0 offset:76 ; 4-byte Folded Reload
	s_waitcnt vmcnt(0)
	ds_write2_b64 v98, v[100:101], v[102:103] offset0:20 offset1:21
	buffer_load_dword v100, off, s[24:27], 0 offset:48 ; 4-byte Folded Reload
	buffer_load_dword v101, off, s[24:27], 0 offset:52 ; 4-byte Folded Reload
	buffer_load_dword v102, off, s[24:27], 0 offset:56 ; 4-byte Folded Reload
	buffer_load_dword v103, off, s[24:27], 0 offset:60 ; 4-byte Folded Reload
	s_waitcnt vmcnt(0)
	ds_write2_b64 v98, v[100:101], v[102:103] offset0:22 offset1:23
	;; [unrolled: 6-line block ×4, first 2 shown]
	buffer_load_dword v100, off, s[24:27], 0 ; 4-byte Folded Reload
	buffer_load_dword v101, off, s[24:27], 0 offset:4 ; 4-byte Folded Reload
	buffer_load_dword v102, off, s[24:27], 0 offset:8 ; 4-byte Folded Reload
	;; [unrolled: 1-line block ×3, first 2 shown]
	s_waitcnt vmcnt(0)
	ds_write2_b64 v98, v[100:101], v[102:103] offset0:28 offset1:29
	ds_write2_b64 v98, v[93:94], v[95:96] offset0:30 offset1:31
	;; [unrolled: 1-line block ×26, first 2 shown]
	v_mov_b32_e32 v100, 9
.LBB78_207:
	s_or_b64 exec, exec, s[0:1]
	v_cmp_lt_i32_e32 vcc, 9, v100
	s_waitcnt vmcnt(0) lgkmcnt(0)
	s_barrier
	s_and_saveexec_b64 s[0:1], vcc
	s_cbranch_execz .LBB78_209
; %bb.208:
	buffer_load_dword v109, off, s[24:27], 0 offset:80 ; 4-byte Folded Reload
	buffer_load_dword v110, off, s[24:27], 0 offset:84 ; 4-byte Folded Reload
	;; [unrolled: 1-line block ×4, first 2 shown]
	s_waitcnt vmcnt(0)
	v_mul_f64 v[101:102], v[123:124], v[111:112]
	v_fma_f64 v[125:126], v[121:122], v[109:110], -v[101:102]
	v_mul_f64 v[101:102], v[121:122], v[111:112]
	v_fma_f64 v[111:112], v[123:124], v[109:110], v[101:102]
	ds_read2_b64 v[101:104], v98 offset0:20 offset1:21
	buffer_load_dword v107, off, s[24:27], 0 offset:64 ; 4-byte Folded Reload
	buffer_load_dword v108, off, s[24:27], 0 offset:68 ; 4-byte Folded Reload
	buffer_load_dword v109, off, s[24:27], 0 offset:72 ; 4-byte Folded Reload
	buffer_load_dword v110, off, s[24:27], 0 offset:76 ; 4-byte Folded Reload
	s_waitcnt lgkmcnt(0)
	v_mul_f64 v[105:106], v[103:104], v[111:112]
	v_fma_f64 v[105:106], v[101:102], v[125:126], -v[105:106]
	v_mul_f64 v[101:102], v[101:102], v[111:112]
	v_fma_f64 v[101:102], v[103:104], v[125:126], v[101:102]
	s_waitcnt vmcnt(2)
	v_add_f64 v[107:108], v[107:108], -v[105:106]
	s_waitcnt vmcnt(0)
	v_add_f64 v[109:110], v[109:110], -v[101:102]
	buffer_store_dword v107, off, s[24:27], 0 offset:64 ; 4-byte Folded Spill
	s_nop 0
	buffer_store_dword v108, off, s[24:27], 0 offset:68 ; 4-byte Folded Spill
	buffer_store_dword v109, off, s[24:27], 0 offset:72 ; 4-byte Folded Spill
	buffer_store_dword v110, off, s[24:27], 0 offset:76 ; 4-byte Folded Spill
	ds_read2_b64 v[101:104], v98 offset0:22 offset1:23
	buffer_load_dword v107, off, s[24:27], 0 offset:48 ; 4-byte Folded Reload
	buffer_load_dword v108, off, s[24:27], 0 offset:52 ; 4-byte Folded Reload
	buffer_load_dword v109, off, s[24:27], 0 offset:56 ; 4-byte Folded Reload
	buffer_load_dword v110, off, s[24:27], 0 offset:60 ; 4-byte Folded Reload
	s_waitcnt lgkmcnt(0)
	v_mul_f64 v[105:106], v[103:104], v[111:112]
	v_fma_f64 v[105:106], v[101:102], v[125:126], -v[105:106]
	v_mul_f64 v[101:102], v[101:102], v[111:112]
	v_fma_f64 v[101:102], v[103:104], v[125:126], v[101:102]
	s_waitcnt vmcnt(2)
	v_add_f64 v[107:108], v[107:108], -v[105:106]
	s_waitcnt vmcnt(0)
	v_add_f64 v[109:110], v[109:110], -v[101:102]
	buffer_store_dword v107, off, s[24:27], 0 offset:48 ; 4-byte Folded Spill
	s_nop 0
	buffer_store_dword v108, off, s[24:27], 0 offset:52 ; 4-byte Folded Spill
	buffer_store_dword v109, off, s[24:27], 0 offset:56 ; 4-byte Folded Spill
	buffer_store_dword v110, off, s[24:27], 0 offset:60 ; 4-byte Folded Spill
	;; [unrolled: 19-line block ×4, first 2 shown]
	ds_read2_b64 v[101:104], v98 offset0:28 offset1:29
	buffer_load_dword v107, off, s[24:27], 0 ; 4-byte Folded Reload
	buffer_load_dword v108, off, s[24:27], 0 offset:4 ; 4-byte Folded Reload
	buffer_load_dword v109, off, s[24:27], 0 offset:8 ; 4-byte Folded Reload
	;; [unrolled: 1-line block ×3, first 2 shown]
	s_waitcnt lgkmcnt(0)
	v_mul_f64 v[105:106], v[103:104], v[111:112]
	v_fma_f64 v[105:106], v[101:102], v[125:126], -v[105:106]
	v_mul_f64 v[101:102], v[101:102], v[111:112]
	v_fma_f64 v[101:102], v[103:104], v[125:126], v[101:102]
	s_waitcnt vmcnt(2)
	v_add_f64 v[107:108], v[107:108], -v[105:106]
	s_waitcnt vmcnt(0)
	v_add_f64 v[109:110], v[109:110], -v[101:102]
	buffer_store_dword v107, off, s[24:27], 0 ; 4-byte Folded Spill
	s_nop 0
	buffer_store_dword v108, off, s[24:27], 0 offset:4 ; 4-byte Folded Spill
	buffer_store_dword v109, off, s[24:27], 0 offset:8 ; 4-byte Folded Spill
	;; [unrolled: 1-line block ×3, first 2 shown]
	ds_read2_b64 v[101:104], v98 offset0:30 offset1:31
	v_mov_b32_e32 v109, v125
	v_mov_b32_e32 v110, v126
	s_waitcnt lgkmcnt(0)
	v_mul_f64 v[105:106], v[103:104], v[111:112]
	v_fma_f64 v[105:106], v[101:102], v[125:126], -v[105:106]
	v_mul_f64 v[101:102], v[101:102], v[111:112]
	v_add_f64 v[93:94], v[93:94], -v[105:106]
	v_fma_f64 v[101:102], v[103:104], v[125:126], v[101:102]
	v_add_f64 v[95:96], v[95:96], -v[101:102]
	ds_read2_b64 v[101:104], v98 offset0:32 offset1:33
	s_waitcnt lgkmcnt(0)
	v_mul_f64 v[105:106], v[103:104], v[111:112]
	v_fma_f64 v[105:106], v[101:102], v[125:126], -v[105:106]
	v_mul_f64 v[101:102], v[101:102], v[111:112]
	v_add_f64 v[89:90], v[89:90], -v[105:106]
	v_fma_f64 v[101:102], v[103:104], v[125:126], v[101:102]
	v_add_f64 v[91:92], v[91:92], -v[101:102]
	ds_read2_b64 v[101:104], v98 offset0:34 offset1:35
	;; [unrolled: 8-line block ×24, first 2 shown]
	s_waitcnt lgkmcnt(0)
	v_mul_f64 v[105:106], v[103:104], v[111:112]
	v_fma_f64 v[105:106], v[101:102], v[125:126], -v[105:106]
	v_mul_f64 v[101:102], v[101:102], v[111:112]
	buffer_store_dword v109, off, s[24:27], 0 offset:80 ; 4-byte Folded Spill
	s_nop 0
	buffer_store_dword v110, off, s[24:27], 0 offset:84 ; 4-byte Folded Spill
	buffer_store_dword v111, off, s[24:27], 0 offset:88 ; 4-byte Folded Spill
	;; [unrolled: 1-line block ×3, first 2 shown]
	v_add_f64 v[117:118], v[117:118], -v[105:106]
	v_fma_f64 v[101:102], v[103:104], v[125:126], v[101:102]
	v_add_f64 v[119:120], v[119:120], -v[101:102]
.LBB78_209:
	s_or_b64 exec, exec, s[0:1]
	s_waitcnt vmcnt(0)
	s_barrier
	buffer_load_dword v102, off, s[24:27], 0 offset:64 ; 4-byte Folded Reload
	buffer_load_dword v103, off, s[24:27], 0 offset:68 ; 4-byte Folded Reload
	;; [unrolled: 1-line block ×4, first 2 shown]
	v_lshl_add_u32 v101, v100, 4, v98
	s_cmp_lt_i32 s3, 12
	s_waitcnt vmcnt(0)
	ds_write2_b64 v101, v[102:103], v[104:105] offset1:1
	s_waitcnt lgkmcnt(0)
	s_barrier
	ds_read2_b64 v[121:124], v98 offset0:20 offset1:21
	v_mov_b32_e32 v101, 10
	s_cbranch_scc1 .LBB78_212
; %bb.210:
	v_add_u32_e32 v102, 0xb0, v98
	s_mov_b32 s0, 11
	v_mov_b32_e32 v101, 10
.LBB78_211:                             ; =>This Inner Loop Header: Depth=1
	s_waitcnt lgkmcnt(0)
	v_cmp_gt_f64_e32 vcc, 0, v[121:122]
	v_xor_b32_e32 v107, 0x80000000, v122
	ds_read2_b64 v[103:106], v102 offset1:1
	v_xor_b32_e32 v109, 0x80000000, v124
	v_add_u32_e32 v102, 16, v102
	s_waitcnt lgkmcnt(0)
	v_xor_b32_e32 v111, 0x80000000, v106
	v_cndmask_b32_e32 v108, v122, v107, vcc
	v_cmp_gt_f64_e32 vcc, 0, v[123:124]
	v_mov_b32_e32 v107, v121
	v_cndmask_b32_e32 v110, v124, v109, vcc
	v_cmp_gt_f64_e32 vcc, 0, v[103:104]
	v_mov_b32_e32 v109, v123
	v_add_f64 v[107:108], v[107:108], v[109:110]
	v_xor_b32_e32 v109, 0x80000000, v104
	v_cndmask_b32_e32 v110, v104, v109, vcc
	v_cmp_gt_f64_e32 vcc, 0, v[105:106]
	v_mov_b32_e32 v109, v103
	v_cndmask_b32_e32 v112, v106, v111, vcc
	v_mov_b32_e32 v111, v105
	v_add_f64 v[109:110], v[109:110], v[111:112]
	v_cmp_lt_f64_e32 vcc, v[107:108], v[109:110]
	v_cndmask_b32_e32 v121, v121, v103, vcc
	v_mov_b32_e32 v103, s0
	s_add_i32 s0, s0, 1
	v_cndmask_b32_e32 v122, v122, v104, vcc
	v_cndmask_b32_e32 v124, v124, v106, vcc
	;; [unrolled: 1-line block ×4, first 2 shown]
	s_cmp_lg_u32 s3, s0
	s_cbranch_scc1 .LBB78_211
.LBB78_212:
	s_waitcnt lgkmcnt(0)
	v_cmp_eq_f64_e32 vcc, 0, v[121:122]
	v_cmp_eq_f64_e64 s[0:1], 0, v[123:124]
	s_and_b64 s[0:1], vcc, s[0:1]
	s_and_saveexec_b64 s[18:19], s[0:1]
	s_xor_b64 s[0:1], exec, s[18:19]
; %bb.213:
	v_cmp_ne_u32_e32 vcc, 0, v99
	v_cndmask_b32_e32 v99, 11, v99, vcc
; %bb.214:
	s_andn2_saveexec_b64 s[0:1], s[0:1]
	s_cbranch_execz .LBB78_220
; %bb.215:
	v_cmp_ngt_f64_e64 s[18:19], |v[121:122]|, |v[123:124]|
	s_and_saveexec_b64 s[20:21], s[18:19]
	s_xor_b64 s[18:19], exec, s[20:21]
	s_cbranch_execz .LBB78_217
; %bb.216:
	v_div_scale_f64 v[102:103], s[20:21], v[123:124], v[123:124], v[121:122]
	v_rcp_f64_e32 v[104:105], v[102:103]
	v_fma_f64 v[106:107], -v[102:103], v[104:105], 1.0
	v_fma_f64 v[104:105], v[104:105], v[106:107], v[104:105]
	v_div_scale_f64 v[106:107], vcc, v[121:122], v[123:124], v[121:122]
	v_fma_f64 v[108:109], -v[102:103], v[104:105], 1.0
	v_fma_f64 v[104:105], v[104:105], v[108:109], v[104:105]
	v_mul_f64 v[108:109], v[106:107], v[104:105]
	v_fma_f64 v[102:103], -v[102:103], v[108:109], v[106:107]
	v_div_fmas_f64 v[102:103], v[102:103], v[104:105], v[108:109]
	v_div_fixup_f64 v[102:103], v[102:103], v[123:124], v[121:122]
	v_fma_f64 v[104:105], v[121:122], v[102:103], v[123:124]
	v_div_scale_f64 v[106:107], s[20:21], v[104:105], v[104:105], 1.0
	v_div_scale_f64 v[112:113], vcc, 1.0, v[104:105], 1.0
	v_rcp_f64_e32 v[108:109], v[106:107]
	v_fma_f64 v[110:111], -v[106:107], v[108:109], 1.0
	v_fma_f64 v[108:109], v[108:109], v[110:111], v[108:109]
	v_fma_f64 v[110:111], -v[106:107], v[108:109], 1.0
	v_fma_f64 v[108:109], v[108:109], v[110:111], v[108:109]
	v_mul_f64 v[110:111], v[112:113], v[108:109]
	v_fma_f64 v[106:107], -v[106:107], v[110:111], v[112:113]
	v_div_fmas_f64 v[106:107], v[106:107], v[108:109], v[110:111]
	v_div_fixup_f64 v[123:124], v[106:107], v[104:105], 1.0
	v_mul_f64 v[121:122], v[102:103], v[123:124]
	v_xor_b32_e32 v124, 0x80000000, v124
.LBB78_217:
	s_andn2_saveexec_b64 s[18:19], s[18:19]
	s_cbranch_execz .LBB78_219
; %bb.218:
	v_div_scale_f64 v[102:103], s[20:21], v[121:122], v[121:122], v[123:124]
	v_rcp_f64_e32 v[104:105], v[102:103]
	v_fma_f64 v[106:107], -v[102:103], v[104:105], 1.0
	v_fma_f64 v[104:105], v[104:105], v[106:107], v[104:105]
	v_div_scale_f64 v[106:107], vcc, v[123:124], v[121:122], v[123:124]
	v_fma_f64 v[108:109], -v[102:103], v[104:105], 1.0
	v_fma_f64 v[104:105], v[104:105], v[108:109], v[104:105]
	v_mul_f64 v[108:109], v[106:107], v[104:105]
	v_fma_f64 v[102:103], -v[102:103], v[108:109], v[106:107]
	v_div_fmas_f64 v[102:103], v[102:103], v[104:105], v[108:109]
	v_div_fixup_f64 v[102:103], v[102:103], v[121:122], v[123:124]
	v_fma_f64 v[104:105], v[123:124], v[102:103], v[121:122]
	v_div_scale_f64 v[106:107], s[20:21], v[104:105], v[104:105], 1.0
	v_div_scale_f64 v[112:113], vcc, 1.0, v[104:105], 1.0
	v_rcp_f64_e32 v[108:109], v[106:107]
	v_fma_f64 v[110:111], -v[106:107], v[108:109], 1.0
	v_fma_f64 v[108:109], v[108:109], v[110:111], v[108:109]
	v_fma_f64 v[110:111], -v[106:107], v[108:109], 1.0
	v_fma_f64 v[108:109], v[108:109], v[110:111], v[108:109]
	v_mul_f64 v[110:111], v[112:113], v[108:109]
	v_fma_f64 v[106:107], -v[106:107], v[110:111], v[112:113]
	v_div_fmas_f64 v[106:107], v[106:107], v[108:109], v[110:111]
	v_div_fixup_f64 v[121:122], v[106:107], v[104:105], 1.0
	v_mul_f64 v[123:124], v[102:103], -v[121:122]
.LBB78_219:
	s_or_b64 exec, exec, s[18:19]
.LBB78_220:
	s_or_b64 exec, exec, s[0:1]
	v_cmp_ne_u32_e32 vcc, v100, v101
	s_and_saveexec_b64 s[0:1], vcc
	s_xor_b64 s[0:1], exec, s[0:1]
	s_cbranch_execz .LBB78_226
; %bb.221:
	v_cmp_eq_u32_e32 vcc, 10, v100
	s_and_saveexec_b64 s[18:19], vcc
	s_cbranch_execz .LBB78_225
; %bb.222:
	v_cmp_ne_u32_e32 vcc, 10, v101
	s_xor_b64 s[20:21], s[6:7], -1
	s_and_b64 s[22:23], s[20:21], vcc
	s_and_saveexec_b64 s[20:21], s[22:23]
	s_cbranch_execz .LBB78_224
; %bb.223:
	v_ashrrev_i32_e32 v102, 31, v101
	v_lshlrev_b64 v[102:103], 2, v[101:102]
	v_add_co_u32_e32 v102, vcc, v115, v102
	v_addc_co_u32_e32 v103, vcc, v116, v103, vcc
	global_load_dword v0, v[102:103], off
	global_load_dword v100, v[115:116], off offset:40
	s_waitcnt vmcnt(1)
	global_store_dword v[115:116], v0, off offset:40
	s_waitcnt vmcnt(1)
	global_store_dword v[102:103], v100, off
.LBB78_224:
	s_or_b64 exec, exec, s[20:21]
	v_mov_b32_e32 v100, v101
	v_mov_b32_e32 v0, v101
.LBB78_225:
	s_or_b64 exec, exec, s[18:19]
.LBB78_226:
	s_andn2_saveexec_b64 s[0:1], s[0:1]
	s_cbranch_execz .LBB78_228
; %bb.227:
	buffer_load_dword v100, off, s[24:27], 0 offset:48 ; 4-byte Folded Reload
	buffer_load_dword v101, off, s[24:27], 0 offset:52 ; 4-byte Folded Reload
	buffer_load_dword v102, off, s[24:27], 0 offset:56 ; 4-byte Folded Reload
	buffer_load_dword v103, off, s[24:27], 0 offset:60 ; 4-byte Folded Reload
	s_waitcnt vmcnt(0)
	ds_write2_b64 v98, v[100:101], v[102:103] offset0:22 offset1:23
	buffer_load_dword v100, off, s[24:27], 0 offset:32 ; 4-byte Folded Reload
	buffer_load_dword v101, off, s[24:27], 0 offset:36 ; 4-byte Folded Reload
	buffer_load_dword v102, off, s[24:27], 0 offset:40 ; 4-byte Folded Reload
	buffer_load_dword v103, off, s[24:27], 0 offset:44 ; 4-byte Folded Reload
	s_waitcnt vmcnt(0)
	ds_write2_b64 v98, v[100:101], v[102:103] offset0:24 offset1:25
	;; [unrolled: 6-line block ×3, first 2 shown]
	buffer_load_dword v100, off, s[24:27], 0 ; 4-byte Folded Reload
	buffer_load_dword v101, off, s[24:27], 0 offset:4 ; 4-byte Folded Reload
	buffer_load_dword v102, off, s[24:27], 0 offset:8 ; 4-byte Folded Reload
	;; [unrolled: 1-line block ×3, first 2 shown]
	s_waitcnt vmcnt(0)
	ds_write2_b64 v98, v[100:101], v[102:103] offset0:28 offset1:29
	ds_write2_b64 v98, v[93:94], v[95:96] offset0:30 offset1:31
	;; [unrolled: 1-line block ×26, first 2 shown]
	v_mov_b32_e32 v100, 10
.LBB78_228:
	s_or_b64 exec, exec, s[0:1]
	v_cmp_lt_i32_e32 vcc, 10, v100
	s_waitcnt vmcnt(0) lgkmcnt(0)
	s_barrier
	s_and_saveexec_b64 s[0:1], vcc
	s_cbranch_execz .LBB78_230
; %bb.229:
	buffer_load_dword v109, off, s[24:27], 0 offset:64 ; 4-byte Folded Reload
	buffer_load_dword v110, off, s[24:27], 0 offset:68 ; 4-byte Folded Reload
	;; [unrolled: 1-line block ×4, first 2 shown]
	s_waitcnt vmcnt(0)
	v_mul_f64 v[101:102], v[123:124], v[111:112]
	v_fma_f64 v[125:126], v[121:122], v[109:110], -v[101:102]
	v_mul_f64 v[101:102], v[121:122], v[111:112]
	v_fma_f64 v[111:112], v[123:124], v[109:110], v[101:102]
	ds_read2_b64 v[101:104], v98 offset0:22 offset1:23
	buffer_load_dword v107, off, s[24:27], 0 offset:48 ; 4-byte Folded Reload
	buffer_load_dword v108, off, s[24:27], 0 offset:52 ; 4-byte Folded Reload
	buffer_load_dword v109, off, s[24:27], 0 offset:56 ; 4-byte Folded Reload
	buffer_load_dword v110, off, s[24:27], 0 offset:60 ; 4-byte Folded Reload
	s_waitcnt lgkmcnt(0)
	v_mul_f64 v[105:106], v[103:104], v[111:112]
	v_fma_f64 v[105:106], v[101:102], v[125:126], -v[105:106]
	v_mul_f64 v[101:102], v[101:102], v[111:112]
	v_fma_f64 v[101:102], v[103:104], v[125:126], v[101:102]
	s_waitcnt vmcnt(2)
	v_add_f64 v[107:108], v[107:108], -v[105:106]
	s_waitcnt vmcnt(0)
	v_add_f64 v[109:110], v[109:110], -v[101:102]
	buffer_store_dword v107, off, s[24:27], 0 offset:48 ; 4-byte Folded Spill
	s_nop 0
	buffer_store_dword v108, off, s[24:27], 0 offset:52 ; 4-byte Folded Spill
	buffer_store_dword v109, off, s[24:27], 0 offset:56 ; 4-byte Folded Spill
	buffer_store_dword v110, off, s[24:27], 0 offset:60 ; 4-byte Folded Spill
	ds_read2_b64 v[101:104], v98 offset0:24 offset1:25
	buffer_load_dword v107, off, s[24:27], 0 offset:32 ; 4-byte Folded Reload
	buffer_load_dword v108, off, s[24:27], 0 offset:36 ; 4-byte Folded Reload
	buffer_load_dword v109, off, s[24:27], 0 offset:40 ; 4-byte Folded Reload
	buffer_load_dword v110, off, s[24:27], 0 offset:44 ; 4-byte Folded Reload
	s_waitcnt lgkmcnt(0)
	v_mul_f64 v[105:106], v[103:104], v[111:112]
	v_fma_f64 v[105:106], v[101:102], v[125:126], -v[105:106]
	v_mul_f64 v[101:102], v[101:102], v[111:112]
	v_fma_f64 v[101:102], v[103:104], v[125:126], v[101:102]
	s_waitcnt vmcnt(2)
	v_add_f64 v[107:108], v[107:108], -v[105:106]
	s_waitcnt vmcnt(0)
	v_add_f64 v[109:110], v[109:110], -v[101:102]
	buffer_store_dword v107, off, s[24:27], 0 offset:32 ; 4-byte Folded Spill
	s_nop 0
	buffer_store_dword v108, off, s[24:27], 0 offset:36 ; 4-byte Folded Spill
	buffer_store_dword v109, off, s[24:27], 0 offset:40 ; 4-byte Folded Spill
	buffer_store_dword v110, off, s[24:27], 0 offset:44 ; 4-byte Folded Spill
	ds_read2_b64 v[101:104], v98 offset0:26 offset1:27
	buffer_load_dword v107, off, s[24:27], 0 offset:16 ; 4-byte Folded Reload
	buffer_load_dword v108, off, s[24:27], 0 offset:20 ; 4-byte Folded Reload
	buffer_load_dword v109, off, s[24:27], 0 offset:24 ; 4-byte Folded Reload
	buffer_load_dword v110, off, s[24:27], 0 offset:28 ; 4-byte Folded Reload
	s_waitcnt lgkmcnt(0)
	v_mul_f64 v[105:106], v[103:104], v[111:112]
	v_fma_f64 v[105:106], v[101:102], v[125:126], -v[105:106]
	v_mul_f64 v[101:102], v[101:102], v[111:112]
	v_fma_f64 v[101:102], v[103:104], v[125:126], v[101:102]
	s_waitcnt vmcnt(2)
	v_add_f64 v[107:108], v[107:108], -v[105:106]
	s_waitcnt vmcnt(0)
	v_add_f64 v[109:110], v[109:110], -v[101:102]
	buffer_store_dword v107, off, s[24:27], 0 offset:16 ; 4-byte Folded Spill
	s_nop 0
	buffer_store_dword v108, off, s[24:27], 0 offset:20 ; 4-byte Folded Spill
	buffer_store_dword v109, off, s[24:27], 0 offset:24 ; 4-byte Folded Spill
	buffer_store_dword v110, off, s[24:27], 0 offset:28 ; 4-byte Folded Spill
	ds_read2_b64 v[101:104], v98 offset0:28 offset1:29
	buffer_load_dword v107, off, s[24:27], 0 ; 4-byte Folded Reload
	buffer_load_dword v108, off, s[24:27], 0 offset:4 ; 4-byte Folded Reload
	buffer_load_dword v109, off, s[24:27], 0 offset:8 ; 4-byte Folded Reload
	;; [unrolled: 1-line block ×3, first 2 shown]
	s_waitcnt lgkmcnt(0)
	v_mul_f64 v[105:106], v[103:104], v[111:112]
	v_fma_f64 v[105:106], v[101:102], v[125:126], -v[105:106]
	v_mul_f64 v[101:102], v[101:102], v[111:112]
	v_fma_f64 v[101:102], v[103:104], v[125:126], v[101:102]
	s_waitcnt vmcnt(2)
	v_add_f64 v[107:108], v[107:108], -v[105:106]
	s_waitcnt vmcnt(0)
	v_add_f64 v[109:110], v[109:110], -v[101:102]
	buffer_store_dword v107, off, s[24:27], 0 ; 4-byte Folded Spill
	s_nop 0
	buffer_store_dword v108, off, s[24:27], 0 offset:4 ; 4-byte Folded Spill
	buffer_store_dword v109, off, s[24:27], 0 offset:8 ; 4-byte Folded Spill
	;; [unrolled: 1-line block ×3, first 2 shown]
	ds_read2_b64 v[101:104], v98 offset0:30 offset1:31
	v_mov_b32_e32 v109, v125
	v_mov_b32_e32 v110, v126
	s_waitcnt lgkmcnt(0)
	v_mul_f64 v[105:106], v[103:104], v[111:112]
	v_fma_f64 v[105:106], v[101:102], v[125:126], -v[105:106]
	v_mul_f64 v[101:102], v[101:102], v[111:112]
	v_add_f64 v[93:94], v[93:94], -v[105:106]
	v_fma_f64 v[101:102], v[103:104], v[125:126], v[101:102]
	v_add_f64 v[95:96], v[95:96], -v[101:102]
	ds_read2_b64 v[101:104], v98 offset0:32 offset1:33
	s_waitcnt lgkmcnt(0)
	v_mul_f64 v[105:106], v[103:104], v[111:112]
	v_fma_f64 v[105:106], v[101:102], v[125:126], -v[105:106]
	v_mul_f64 v[101:102], v[101:102], v[111:112]
	v_add_f64 v[89:90], v[89:90], -v[105:106]
	v_fma_f64 v[101:102], v[103:104], v[125:126], v[101:102]
	v_add_f64 v[91:92], v[91:92], -v[101:102]
	ds_read2_b64 v[101:104], v98 offset0:34 offset1:35
	;; [unrolled: 8-line block ×24, first 2 shown]
	s_waitcnt lgkmcnt(0)
	v_mul_f64 v[105:106], v[103:104], v[111:112]
	v_fma_f64 v[105:106], v[101:102], v[125:126], -v[105:106]
	v_mul_f64 v[101:102], v[101:102], v[111:112]
	buffer_store_dword v109, off, s[24:27], 0 offset:64 ; 4-byte Folded Spill
	s_nop 0
	buffer_store_dword v110, off, s[24:27], 0 offset:68 ; 4-byte Folded Spill
	buffer_store_dword v111, off, s[24:27], 0 offset:72 ; 4-byte Folded Spill
	;; [unrolled: 1-line block ×3, first 2 shown]
	v_add_f64 v[117:118], v[117:118], -v[105:106]
	v_fma_f64 v[101:102], v[103:104], v[125:126], v[101:102]
	v_add_f64 v[119:120], v[119:120], -v[101:102]
.LBB78_230:
	s_or_b64 exec, exec, s[0:1]
	s_waitcnt vmcnt(0)
	s_barrier
	buffer_load_dword v102, off, s[24:27], 0 offset:48 ; 4-byte Folded Reload
	buffer_load_dword v103, off, s[24:27], 0 offset:52 ; 4-byte Folded Reload
	;; [unrolled: 1-line block ×4, first 2 shown]
	v_lshl_add_u32 v101, v100, 4, v98
	s_cmp_lt_i32 s3, 13
	s_waitcnt vmcnt(0)
	ds_write2_b64 v101, v[102:103], v[104:105] offset1:1
	s_waitcnt lgkmcnt(0)
	s_barrier
	ds_read2_b64 v[121:124], v98 offset0:22 offset1:23
	v_mov_b32_e32 v101, 11
	s_cbranch_scc1 .LBB78_233
; %bb.231:
	v_add_u32_e32 v102, 0xc0, v98
	s_mov_b32 s0, 12
	v_mov_b32_e32 v101, 11
.LBB78_232:                             ; =>This Inner Loop Header: Depth=1
	s_waitcnt lgkmcnt(0)
	v_cmp_gt_f64_e32 vcc, 0, v[121:122]
	v_xor_b32_e32 v107, 0x80000000, v122
	ds_read2_b64 v[103:106], v102 offset1:1
	v_xor_b32_e32 v109, 0x80000000, v124
	v_add_u32_e32 v102, 16, v102
	s_waitcnt lgkmcnt(0)
	v_xor_b32_e32 v111, 0x80000000, v106
	v_cndmask_b32_e32 v108, v122, v107, vcc
	v_cmp_gt_f64_e32 vcc, 0, v[123:124]
	v_mov_b32_e32 v107, v121
	v_cndmask_b32_e32 v110, v124, v109, vcc
	v_cmp_gt_f64_e32 vcc, 0, v[103:104]
	v_mov_b32_e32 v109, v123
	v_add_f64 v[107:108], v[107:108], v[109:110]
	v_xor_b32_e32 v109, 0x80000000, v104
	v_cndmask_b32_e32 v110, v104, v109, vcc
	v_cmp_gt_f64_e32 vcc, 0, v[105:106]
	v_mov_b32_e32 v109, v103
	v_cndmask_b32_e32 v112, v106, v111, vcc
	v_mov_b32_e32 v111, v105
	v_add_f64 v[109:110], v[109:110], v[111:112]
	v_cmp_lt_f64_e32 vcc, v[107:108], v[109:110]
	v_cndmask_b32_e32 v121, v121, v103, vcc
	v_mov_b32_e32 v103, s0
	s_add_i32 s0, s0, 1
	v_cndmask_b32_e32 v122, v122, v104, vcc
	v_cndmask_b32_e32 v124, v124, v106, vcc
	;; [unrolled: 1-line block ×4, first 2 shown]
	s_cmp_lg_u32 s3, s0
	s_cbranch_scc1 .LBB78_232
.LBB78_233:
	s_waitcnt lgkmcnt(0)
	v_cmp_eq_f64_e32 vcc, 0, v[121:122]
	v_cmp_eq_f64_e64 s[0:1], 0, v[123:124]
	s_and_b64 s[0:1], vcc, s[0:1]
	s_and_saveexec_b64 s[18:19], s[0:1]
	s_xor_b64 s[0:1], exec, s[18:19]
; %bb.234:
	v_cmp_ne_u32_e32 vcc, 0, v99
	v_cndmask_b32_e32 v99, 12, v99, vcc
; %bb.235:
	s_andn2_saveexec_b64 s[0:1], s[0:1]
	s_cbranch_execz .LBB78_241
; %bb.236:
	v_cmp_ngt_f64_e64 s[18:19], |v[121:122]|, |v[123:124]|
	s_and_saveexec_b64 s[20:21], s[18:19]
	s_xor_b64 s[18:19], exec, s[20:21]
	s_cbranch_execz .LBB78_238
; %bb.237:
	v_div_scale_f64 v[102:103], s[20:21], v[123:124], v[123:124], v[121:122]
	v_rcp_f64_e32 v[104:105], v[102:103]
	v_fma_f64 v[106:107], -v[102:103], v[104:105], 1.0
	v_fma_f64 v[104:105], v[104:105], v[106:107], v[104:105]
	v_div_scale_f64 v[106:107], vcc, v[121:122], v[123:124], v[121:122]
	v_fma_f64 v[108:109], -v[102:103], v[104:105], 1.0
	v_fma_f64 v[104:105], v[104:105], v[108:109], v[104:105]
	v_mul_f64 v[108:109], v[106:107], v[104:105]
	v_fma_f64 v[102:103], -v[102:103], v[108:109], v[106:107]
	v_div_fmas_f64 v[102:103], v[102:103], v[104:105], v[108:109]
	v_div_fixup_f64 v[102:103], v[102:103], v[123:124], v[121:122]
	v_fma_f64 v[104:105], v[121:122], v[102:103], v[123:124]
	v_div_scale_f64 v[106:107], s[20:21], v[104:105], v[104:105], 1.0
	v_div_scale_f64 v[112:113], vcc, 1.0, v[104:105], 1.0
	v_rcp_f64_e32 v[108:109], v[106:107]
	v_fma_f64 v[110:111], -v[106:107], v[108:109], 1.0
	v_fma_f64 v[108:109], v[108:109], v[110:111], v[108:109]
	v_fma_f64 v[110:111], -v[106:107], v[108:109], 1.0
	v_fma_f64 v[108:109], v[108:109], v[110:111], v[108:109]
	v_mul_f64 v[110:111], v[112:113], v[108:109]
	v_fma_f64 v[106:107], -v[106:107], v[110:111], v[112:113]
	v_div_fmas_f64 v[106:107], v[106:107], v[108:109], v[110:111]
	v_div_fixup_f64 v[123:124], v[106:107], v[104:105], 1.0
	v_mul_f64 v[121:122], v[102:103], v[123:124]
	v_xor_b32_e32 v124, 0x80000000, v124
.LBB78_238:
	s_andn2_saveexec_b64 s[18:19], s[18:19]
	s_cbranch_execz .LBB78_240
; %bb.239:
	v_div_scale_f64 v[102:103], s[20:21], v[121:122], v[121:122], v[123:124]
	v_rcp_f64_e32 v[104:105], v[102:103]
	v_fma_f64 v[106:107], -v[102:103], v[104:105], 1.0
	v_fma_f64 v[104:105], v[104:105], v[106:107], v[104:105]
	v_div_scale_f64 v[106:107], vcc, v[123:124], v[121:122], v[123:124]
	v_fma_f64 v[108:109], -v[102:103], v[104:105], 1.0
	v_fma_f64 v[104:105], v[104:105], v[108:109], v[104:105]
	v_mul_f64 v[108:109], v[106:107], v[104:105]
	v_fma_f64 v[102:103], -v[102:103], v[108:109], v[106:107]
	v_div_fmas_f64 v[102:103], v[102:103], v[104:105], v[108:109]
	v_div_fixup_f64 v[102:103], v[102:103], v[121:122], v[123:124]
	v_fma_f64 v[104:105], v[123:124], v[102:103], v[121:122]
	v_div_scale_f64 v[106:107], s[20:21], v[104:105], v[104:105], 1.0
	v_div_scale_f64 v[112:113], vcc, 1.0, v[104:105], 1.0
	v_rcp_f64_e32 v[108:109], v[106:107]
	v_fma_f64 v[110:111], -v[106:107], v[108:109], 1.0
	v_fma_f64 v[108:109], v[108:109], v[110:111], v[108:109]
	v_fma_f64 v[110:111], -v[106:107], v[108:109], 1.0
	v_fma_f64 v[108:109], v[108:109], v[110:111], v[108:109]
	v_mul_f64 v[110:111], v[112:113], v[108:109]
	v_fma_f64 v[106:107], -v[106:107], v[110:111], v[112:113]
	v_div_fmas_f64 v[106:107], v[106:107], v[108:109], v[110:111]
	v_div_fixup_f64 v[121:122], v[106:107], v[104:105], 1.0
	v_mul_f64 v[123:124], v[102:103], -v[121:122]
.LBB78_240:
	s_or_b64 exec, exec, s[18:19]
.LBB78_241:
	s_or_b64 exec, exec, s[0:1]
	v_cmp_ne_u32_e32 vcc, v100, v101
	s_and_saveexec_b64 s[0:1], vcc
	s_xor_b64 s[0:1], exec, s[0:1]
	s_cbranch_execz .LBB78_247
; %bb.242:
	v_cmp_eq_u32_e32 vcc, 11, v100
	s_and_saveexec_b64 s[18:19], vcc
	s_cbranch_execz .LBB78_246
; %bb.243:
	v_cmp_ne_u32_e32 vcc, 11, v101
	s_xor_b64 s[20:21], s[6:7], -1
	s_and_b64 s[22:23], s[20:21], vcc
	s_and_saveexec_b64 s[20:21], s[22:23]
	s_cbranch_execz .LBB78_245
; %bb.244:
	v_ashrrev_i32_e32 v102, 31, v101
	v_lshlrev_b64 v[102:103], 2, v[101:102]
	v_add_co_u32_e32 v102, vcc, v115, v102
	v_addc_co_u32_e32 v103, vcc, v116, v103, vcc
	global_load_dword v0, v[102:103], off
	global_load_dword v100, v[115:116], off offset:44
	s_waitcnt vmcnt(1)
	global_store_dword v[115:116], v0, off offset:44
	s_waitcnt vmcnt(1)
	global_store_dword v[102:103], v100, off
.LBB78_245:
	s_or_b64 exec, exec, s[20:21]
	v_mov_b32_e32 v100, v101
	v_mov_b32_e32 v0, v101
.LBB78_246:
	s_or_b64 exec, exec, s[18:19]
.LBB78_247:
	s_andn2_saveexec_b64 s[0:1], s[0:1]
	s_cbranch_execz .LBB78_249
; %bb.248:
	buffer_load_dword v100, off, s[24:27], 0 offset:32 ; 4-byte Folded Reload
	buffer_load_dword v101, off, s[24:27], 0 offset:36 ; 4-byte Folded Reload
	;; [unrolled: 1-line block ×4, first 2 shown]
	s_waitcnt vmcnt(0)
	ds_write2_b64 v98, v[100:101], v[102:103] offset0:24 offset1:25
	buffer_load_dword v100, off, s[24:27], 0 offset:16 ; 4-byte Folded Reload
	buffer_load_dword v101, off, s[24:27], 0 offset:20 ; 4-byte Folded Reload
	;; [unrolled: 1-line block ×4, first 2 shown]
	s_waitcnt vmcnt(0)
	ds_write2_b64 v98, v[100:101], v[102:103] offset0:26 offset1:27
	buffer_load_dword v100, off, s[24:27], 0 ; 4-byte Folded Reload
	buffer_load_dword v101, off, s[24:27], 0 offset:4 ; 4-byte Folded Reload
	buffer_load_dword v102, off, s[24:27], 0 offset:8 ; 4-byte Folded Reload
	;; [unrolled: 1-line block ×3, first 2 shown]
	s_waitcnt vmcnt(0)
	ds_write2_b64 v98, v[100:101], v[102:103] offset0:28 offset1:29
	ds_write2_b64 v98, v[93:94], v[95:96] offset0:30 offset1:31
	;; [unrolled: 1-line block ×26, first 2 shown]
	v_mov_b32_e32 v100, 11
.LBB78_249:
	s_or_b64 exec, exec, s[0:1]
	v_cmp_lt_i32_e32 vcc, 11, v100
	s_waitcnt vmcnt(0) lgkmcnt(0)
	s_barrier
	s_and_saveexec_b64 s[0:1], vcc
	s_cbranch_execz .LBB78_251
; %bb.250:
	buffer_load_dword v109, off, s[24:27], 0 offset:48 ; 4-byte Folded Reload
	buffer_load_dword v110, off, s[24:27], 0 offset:52 ; 4-byte Folded Reload
	;; [unrolled: 1-line block ×4, first 2 shown]
	s_waitcnt vmcnt(0)
	v_mul_f64 v[101:102], v[123:124], v[111:112]
	v_fma_f64 v[125:126], v[121:122], v[109:110], -v[101:102]
	v_mul_f64 v[101:102], v[121:122], v[111:112]
	v_fma_f64 v[111:112], v[123:124], v[109:110], v[101:102]
	ds_read2_b64 v[101:104], v98 offset0:24 offset1:25
	buffer_load_dword v107, off, s[24:27], 0 offset:32 ; 4-byte Folded Reload
	buffer_load_dword v108, off, s[24:27], 0 offset:36 ; 4-byte Folded Reload
	;; [unrolled: 1-line block ×4, first 2 shown]
	s_waitcnt lgkmcnt(0)
	v_mul_f64 v[105:106], v[103:104], v[111:112]
	v_fma_f64 v[105:106], v[101:102], v[125:126], -v[105:106]
	v_mul_f64 v[101:102], v[101:102], v[111:112]
	v_fma_f64 v[101:102], v[103:104], v[125:126], v[101:102]
	s_waitcnt vmcnt(2)
	v_add_f64 v[107:108], v[107:108], -v[105:106]
	s_waitcnt vmcnt(0)
	v_add_f64 v[109:110], v[109:110], -v[101:102]
	buffer_store_dword v107, off, s[24:27], 0 offset:32 ; 4-byte Folded Spill
	s_nop 0
	buffer_store_dword v108, off, s[24:27], 0 offset:36 ; 4-byte Folded Spill
	buffer_store_dword v109, off, s[24:27], 0 offset:40 ; 4-byte Folded Spill
	;; [unrolled: 1-line block ×3, first 2 shown]
	ds_read2_b64 v[101:104], v98 offset0:26 offset1:27
	buffer_load_dword v107, off, s[24:27], 0 offset:16 ; 4-byte Folded Reload
	buffer_load_dword v108, off, s[24:27], 0 offset:20 ; 4-byte Folded Reload
	buffer_load_dword v109, off, s[24:27], 0 offset:24 ; 4-byte Folded Reload
	buffer_load_dword v110, off, s[24:27], 0 offset:28 ; 4-byte Folded Reload
	s_waitcnt lgkmcnt(0)
	v_mul_f64 v[105:106], v[103:104], v[111:112]
	v_fma_f64 v[105:106], v[101:102], v[125:126], -v[105:106]
	v_mul_f64 v[101:102], v[101:102], v[111:112]
	v_fma_f64 v[101:102], v[103:104], v[125:126], v[101:102]
	s_waitcnt vmcnt(2)
	v_add_f64 v[107:108], v[107:108], -v[105:106]
	s_waitcnt vmcnt(0)
	v_add_f64 v[109:110], v[109:110], -v[101:102]
	buffer_store_dword v107, off, s[24:27], 0 offset:16 ; 4-byte Folded Spill
	s_nop 0
	buffer_store_dword v108, off, s[24:27], 0 offset:20 ; 4-byte Folded Spill
	buffer_store_dword v109, off, s[24:27], 0 offset:24 ; 4-byte Folded Spill
	;; [unrolled: 1-line block ×3, first 2 shown]
	ds_read2_b64 v[101:104], v98 offset0:28 offset1:29
	buffer_load_dword v107, off, s[24:27], 0 ; 4-byte Folded Reload
	buffer_load_dword v108, off, s[24:27], 0 offset:4 ; 4-byte Folded Reload
	buffer_load_dword v109, off, s[24:27], 0 offset:8 ; 4-byte Folded Reload
	;; [unrolled: 1-line block ×3, first 2 shown]
	s_waitcnt lgkmcnt(0)
	v_mul_f64 v[105:106], v[103:104], v[111:112]
	v_fma_f64 v[105:106], v[101:102], v[125:126], -v[105:106]
	v_mul_f64 v[101:102], v[101:102], v[111:112]
	v_fma_f64 v[101:102], v[103:104], v[125:126], v[101:102]
	s_waitcnt vmcnt(2)
	v_add_f64 v[107:108], v[107:108], -v[105:106]
	s_waitcnt vmcnt(0)
	v_add_f64 v[109:110], v[109:110], -v[101:102]
	buffer_store_dword v107, off, s[24:27], 0 ; 4-byte Folded Spill
	s_nop 0
	buffer_store_dword v108, off, s[24:27], 0 offset:4 ; 4-byte Folded Spill
	buffer_store_dword v109, off, s[24:27], 0 offset:8 ; 4-byte Folded Spill
	;; [unrolled: 1-line block ×3, first 2 shown]
	ds_read2_b64 v[101:104], v98 offset0:30 offset1:31
	v_mov_b32_e32 v109, v125
	v_mov_b32_e32 v110, v126
	s_waitcnt lgkmcnt(0)
	v_mul_f64 v[105:106], v[103:104], v[111:112]
	v_fma_f64 v[105:106], v[101:102], v[125:126], -v[105:106]
	v_mul_f64 v[101:102], v[101:102], v[111:112]
	v_add_f64 v[93:94], v[93:94], -v[105:106]
	v_fma_f64 v[101:102], v[103:104], v[125:126], v[101:102]
	v_add_f64 v[95:96], v[95:96], -v[101:102]
	ds_read2_b64 v[101:104], v98 offset0:32 offset1:33
	s_waitcnt lgkmcnt(0)
	v_mul_f64 v[105:106], v[103:104], v[111:112]
	v_fma_f64 v[105:106], v[101:102], v[125:126], -v[105:106]
	v_mul_f64 v[101:102], v[101:102], v[111:112]
	v_add_f64 v[89:90], v[89:90], -v[105:106]
	v_fma_f64 v[101:102], v[103:104], v[125:126], v[101:102]
	v_add_f64 v[91:92], v[91:92], -v[101:102]
	ds_read2_b64 v[101:104], v98 offset0:34 offset1:35
	;; [unrolled: 8-line block ×24, first 2 shown]
	s_waitcnt lgkmcnt(0)
	v_mul_f64 v[105:106], v[103:104], v[111:112]
	v_fma_f64 v[105:106], v[101:102], v[125:126], -v[105:106]
	v_mul_f64 v[101:102], v[101:102], v[111:112]
	buffer_store_dword v109, off, s[24:27], 0 offset:48 ; 4-byte Folded Spill
	s_nop 0
	buffer_store_dword v110, off, s[24:27], 0 offset:52 ; 4-byte Folded Spill
	buffer_store_dword v111, off, s[24:27], 0 offset:56 ; 4-byte Folded Spill
	;; [unrolled: 1-line block ×3, first 2 shown]
	v_add_f64 v[117:118], v[117:118], -v[105:106]
	v_fma_f64 v[101:102], v[103:104], v[125:126], v[101:102]
	v_add_f64 v[119:120], v[119:120], -v[101:102]
.LBB78_251:
	s_or_b64 exec, exec, s[0:1]
	s_waitcnt vmcnt(0)
	s_barrier
	buffer_load_dword v102, off, s[24:27], 0 offset:32 ; 4-byte Folded Reload
	buffer_load_dword v103, off, s[24:27], 0 offset:36 ; 4-byte Folded Reload
	;; [unrolled: 1-line block ×4, first 2 shown]
	v_lshl_add_u32 v101, v100, 4, v98
	s_cmp_lt_i32 s3, 14
	s_waitcnt vmcnt(0)
	ds_write2_b64 v101, v[102:103], v[104:105] offset1:1
	s_waitcnt lgkmcnt(0)
	s_barrier
	ds_read2_b64 v[121:124], v98 offset0:24 offset1:25
	v_mov_b32_e32 v101, 12
	s_cbranch_scc1 .LBB78_254
; %bb.252:
	v_add_u32_e32 v102, 0xd0, v98
	s_mov_b32 s0, 13
	v_mov_b32_e32 v101, 12
.LBB78_253:                             ; =>This Inner Loop Header: Depth=1
	s_waitcnt lgkmcnt(0)
	v_cmp_gt_f64_e32 vcc, 0, v[121:122]
	v_xor_b32_e32 v107, 0x80000000, v122
	ds_read2_b64 v[103:106], v102 offset1:1
	v_xor_b32_e32 v109, 0x80000000, v124
	v_add_u32_e32 v102, 16, v102
	s_waitcnt lgkmcnt(0)
	v_xor_b32_e32 v111, 0x80000000, v106
	v_cndmask_b32_e32 v108, v122, v107, vcc
	v_cmp_gt_f64_e32 vcc, 0, v[123:124]
	v_mov_b32_e32 v107, v121
	v_cndmask_b32_e32 v110, v124, v109, vcc
	v_cmp_gt_f64_e32 vcc, 0, v[103:104]
	v_mov_b32_e32 v109, v123
	v_add_f64 v[107:108], v[107:108], v[109:110]
	v_xor_b32_e32 v109, 0x80000000, v104
	v_cndmask_b32_e32 v110, v104, v109, vcc
	v_cmp_gt_f64_e32 vcc, 0, v[105:106]
	v_mov_b32_e32 v109, v103
	v_cndmask_b32_e32 v112, v106, v111, vcc
	v_mov_b32_e32 v111, v105
	v_add_f64 v[109:110], v[109:110], v[111:112]
	v_cmp_lt_f64_e32 vcc, v[107:108], v[109:110]
	v_cndmask_b32_e32 v121, v121, v103, vcc
	v_mov_b32_e32 v103, s0
	s_add_i32 s0, s0, 1
	v_cndmask_b32_e32 v122, v122, v104, vcc
	v_cndmask_b32_e32 v124, v124, v106, vcc
	;; [unrolled: 1-line block ×4, first 2 shown]
	s_cmp_lg_u32 s3, s0
	s_cbranch_scc1 .LBB78_253
.LBB78_254:
	s_waitcnt lgkmcnt(0)
	v_cmp_eq_f64_e32 vcc, 0, v[121:122]
	v_cmp_eq_f64_e64 s[0:1], 0, v[123:124]
	s_and_b64 s[0:1], vcc, s[0:1]
	s_and_saveexec_b64 s[18:19], s[0:1]
	s_xor_b64 s[0:1], exec, s[18:19]
; %bb.255:
	v_cmp_ne_u32_e32 vcc, 0, v99
	v_cndmask_b32_e32 v99, 13, v99, vcc
; %bb.256:
	s_andn2_saveexec_b64 s[0:1], s[0:1]
	s_cbranch_execz .LBB78_262
; %bb.257:
	v_cmp_ngt_f64_e64 s[18:19], |v[121:122]|, |v[123:124]|
	s_and_saveexec_b64 s[20:21], s[18:19]
	s_xor_b64 s[18:19], exec, s[20:21]
	s_cbranch_execz .LBB78_259
; %bb.258:
	v_div_scale_f64 v[102:103], s[20:21], v[123:124], v[123:124], v[121:122]
	v_rcp_f64_e32 v[104:105], v[102:103]
	v_fma_f64 v[106:107], -v[102:103], v[104:105], 1.0
	v_fma_f64 v[104:105], v[104:105], v[106:107], v[104:105]
	v_div_scale_f64 v[106:107], vcc, v[121:122], v[123:124], v[121:122]
	v_fma_f64 v[108:109], -v[102:103], v[104:105], 1.0
	v_fma_f64 v[104:105], v[104:105], v[108:109], v[104:105]
	v_mul_f64 v[108:109], v[106:107], v[104:105]
	v_fma_f64 v[102:103], -v[102:103], v[108:109], v[106:107]
	v_div_fmas_f64 v[102:103], v[102:103], v[104:105], v[108:109]
	v_div_fixup_f64 v[102:103], v[102:103], v[123:124], v[121:122]
	v_fma_f64 v[104:105], v[121:122], v[102:103], v[123:124]
	v_div_scale_f64 v[106:107], s[20:21], v[104:105], v[104:105], 1.0
	v_div_scale_f64 v[112:113], vcc, 1.0, v[104:105], 1.0
	v_rcp_f64_e32 v[108:109], v[106:107]
	v_fma_f64 v[110:111], -v[106:107], v[108:109], 1.0
	v_fma_f64 v[108:109], v[108:109], v[110:111], v[108:109]
	v_fma_f64 v[110:111], -v[106:107], v[108:109], 1.0
	v_fma_f64 v[108:109], v[108:109], v[110:111], v[108:109]
	v_mul_f64 v[110:111], v[112:113], v[108:109]
	v_fma_f64 v[106:107], -v[106:107], v[110:111], v[112:113]
	v_div_fmas_f64 v[106:107], v[106:107], v[108:109], v[110:111]
	v_div_fixup_f64 v[123:124], v[106:107], v[104:105], 1.0
	v_mul_f64 v[121:122], v[102:103], v[123:124]
	v_xor_b32_e32 v124, 0x80000000, v124
.LBB78_259:
	s_andn2_saveexec_b64 s[18:19], s[18:19]
	s_cbranch_execz .LBB78_261
; %bb.260:
	v_div_scale_f64 v[102:103], s[20:21], v[121:122], v[121:122], v[123:124]
	v_rcp_f64_e32 v[104:105], v[102:103]
	v_fma_f64 v[106:107], -v[102:103], v[104:105], 1.0
	v_fma_f64 v[104:105], v[104:105], v[106:107], v[104:105]
	v_div_scale_f64 v[106:107], vcc, v[123:124], v[121:122], v[123:124]
	v_fma_f64 v[108:109], -v[102:103], v[104:105], 1.0
	v_fma_f64 v[104:105], v[104:105], v[108:109], v[104:105]
	v_mul_f64 v[108:109], v[106:107], v[104:105]
	v_fma_f64 v[102:103], -v[102:103], v[108:109], v[106:107]
	v_div_fmas_f64 v[102:103], v[102:103], v[104:105], v[108:109]
	v_div_fixup_f64 v[102:103], v[102:103], v[121:122], v[123:124]
	v_fma_f64 v[104:105], v[123:124], v[102:103], v[121:122]
	v_div_scale_f64 v[106:107], s[20:21], v[104:105], v[104:105], 1.0
	v_div_scale_f64 v[112:113], vcc, 1.0, v[104:105], 1.0
	v_rcp_f64_e32 v[108:109], v[106:107]
	v_fma_f64 v[110:111], -v[106:107], v[108:109], 1.0
	v_fma_f64 v[108:109], v[108:109], v[110:111], v[108:109]
	v_fma_f64 v[110:111], -v[106:107], v[108:109], 1.0
	v_fma_f64 v[108:109], v[108:109], v[110:111], v[108:109]
	v_mul_f64 v[110:111], v[112:113], v[108:109]
	v_fma_f64 v[106:107], -v[106:107], v[110:111], v[112:113]
	v_div_fmas_f64 v[106:107], v[106:107], v[108:109], v[110:111]
	v_div_fixup_f64 v[121:122], v[106:107], v[104:105], 1.0
	v_mul_f64 v[123:124], v[102:103], -v[121:122]
.LBB78_261:
	s_or_b64 exec, exec, s[18:19]
.LBB78_262:
	s_or_b64 exec, exec, s[0:1]
	v_cmp_ne_u32_e32 vcc, v100, v101
	s_and_saveexec_b64 s[0:1], vcc
	s_xor_b64 s[0:1], exec, s[0:1]
	s_cbranch_execz .LBB78_268
; %bb.263:
	v_cmp_eq_u32_e32 vcc, 12, v100
	s_and_saveexec_b64 s[18:19], vcc
	s_cbranch_execz .LBB78_267
; %bb.264:
	v_cmp_ne_u32_e32 vcc, 12, v101
	s_xor_b64 s[20:21], s[6:7], -1
	s_and_b64 s[22:23], s[20:21], vcc
	s_and_saveexec_b64 s[20:21], s[22:23]
	s_cbranch_execz .LBB78_266
; %bb.265:
	v_ashrrev_i32_e32 v102, 31, v101
	v_lshlrev_b64 v[102:103], 2, v[101:102]
	v_add_co_u32_e32 v102, vcc, v115, v102
	v_addc_co_u32_e32 v103, vcc, v116, v103, vcc
	global_load_dword v0, v[102:103], off
	global_load_dword v100, v[115:116], off offset:48
	s_waitcnt vmcnt(1)
	global_store_dword v[115:116], v0, off offset:48
	s_waitcnt vmcnt(1)
	global_store_dword v[102:103], v100, off
.LBB78_266:
	s_or_b64 exec, exec, s[20:21]
	v_mov_b32_e32 v100, v101
	v_mov_b32_e32 v0, v101
.LBB78_267:
	s_or_b64 exec, exec, s[18:19]
.LBB78_268:
	s_andn2_saveexec_b64 s[0:1], s[0:1]
	s_cbranch_execz .LBB78_270
; %bb.269:
	buffer_load_dword v100, off, s[24:27], 0 offset:16 ; 4-byte Folded Reload
	buffer_load_dword v101, off, s[24:27], 0 offset:20 ; 4-byte Folded Reload
	;; [unrolled: 1-line block ×4, first 2 shown]
	s_waitcnt vmcnt(0)
	ds_write2_b64 v98, v[100:101], v[102:103] offset0:26 offset1:27
	buffer_load_dword v100, off, s[24:27], 0 ; 4-byte Folded Reload
	buffer_load_dword v101, off, s[24:27], 0 offset:4 ; 4-byte Folded Reload
	buffer_load_dword v102, off, s[24:27], 0 offset:8 ; 4-byte Folded Reload
	;; [unrolled: 1-line block ×3, first 2 shown]
	s_waitcnt vmcnt(0)
	ds_write2_b64 v98, v[100:101], v[102:103] offset0:28 offset1:29
	ds_write2_b64 v98, v[93:94], v[95:96] offset0:30 offset1:31
	ds_write2_b64 v98, v[89:90], v[91:92] offset0:32 offset1:33
	ds_write2_b64 v98, v[85:86], v[87:88] offset0:34 offset1:35
	ds_write2_b64 v98, v[81:82], v[83:84] offset0:36 offset1:37
	ds_write2_b64 v98, v[77:78], v[79:80] offset0:38 offset1:39
	ds_write2_b64 v98, v[73:74], v[75:76] offset0:40 offset1:41
	ds_write2_b64 v98, v[69:70], v[71:72] offset0:42 offset1:43
	ds_write2_b64 v98, v[65:66], v[67:68] offset0:44 offset1:45
	ds_write2_b64 v98, v[61:62], v[63:64] offset0:46 offset1:47
	ds_write2_b64 v98, v[57:58], v[59:60] offset0:48 offset1:49
	ds_write2_b64 v98, v[53:54], v[55:56] offset0:50 offset1:51
	ds_write2_b64 v98, v[49:50], v[51:52] offset0:52 offset1:53
	ds_write2_b64 v98, v[45:46], v[47:48] offset0:54 offset1:55
	ds_write2_b64 v98, v[41:42], v[43:44] offset0:56 offset1:57
	ds_write2_b64 v98, v[37:38], v[39:40] offset0:58 offset1:59
	ds_write2_b64 v98, v[33:34], v[35:36] offset0:60 offset1:61
	ds_write2_b64 v98, v[29:30], v[31:32] offset0:62 offset1:63
	ds_write2_b64 v98, v[25:26], v[27:28] offset0:64 offset1:65
	ds_write2_b64 v98, v[21:22], v[23:24] offset0:66 offset1:67
	ds_write2_b64 v98, v[17:18], v[19:20] offset0:68 offset1:69
	ds_write2_b64 v98, v[13:14], v[15:16] offset0:70 offset1:71
	ds_write2_b64 v98, v[9:10], v[11:12] offset0:72 offset1:73
	ds_write2_b64 v98, v[5:6], v[7:8] offset0:74 offset1:75
	ds_write2_b64 v98, v[1:2], v[3:4] offset0:76 offset1:77
	ds_write2_b64 v98, v[117:118], v[119:120] offset0:78 offset1:79
	v_mov_b32_e32 v100, 12
.LBB78_270:
	s_or_b64 exec, exec, s[0:1]
	v_cmp_lt_i32_e32 vcc, 12, v100
	s_waitcnt vmcnt(0) lgkmcnt(0)
	s_barrier
	s_and_saveexec_b64 s[0:1], vcc
	s_cbranch_execz .LBB78_272
; %bb.271:
	buffer_load_dword v109, off, s[24:27], 0 offset:32 ; 4-byte Folded Reload
	buffer_load_dword v110, off, s[24:27], 0 offset:36 ; 4-byte Folded Reload
	;; [unrolled: 1-line block ×4, first 2 shown]
	s_waitcnt vmcnt(0)
	v_mul_f64 v[101:102], v[123:124], v[111:112]
	v_fma_f64 v[125:126], v[121:122], v[109:110], -v[101:102]
	v_mul_f64 v[101:102], v[121:122], v[111:112]
	v_fma_f64 v[111:112], v[123:124], v[109:110], v[101:102]
	ds_read2_b64 v[101:104], v98 offset0:26 offset1:27
	buffer_load_dword v107, off, s[24:27], 0 offset:16 ; 4-byte Folded Reload
	buffer_load_dword v108, off, s[24:27], 0 offset:20 ; 4-byte Folded Reload
	;; [unrolled: 1-line block ×4, first 2 shown]
	s_waitcnt lgkmcnt(0)
	v_mul_f64 v[105:106], v[103:104], v[111:112]
	v_fma_f64 v[105:106], v[101:102], v[125:126], -v[105:106]
	v_mul_f64 v[101:102], v[101:102], v[111:112]
	v_fma_f64 v[101:102], v[103:104], v[125:126], v[101:102]
	s_waitcnt vmcnt(2)
	v_add_f64 v[107:108], v[107:108], -v[105:106]
	s_waitcnt vmcnt(0)
	v_add_f64 v[109:110], v[109:110], -v[101:102]
	buffer_store_dword v107, off, s[24:27], 0 offset:16 ; 4-byte Folded Spill
	s_nop 0
	buffer_store_dword v108, off, s[24:27], 0 offset:20 ; 4-byte Folded Spill
	buffer_store_dword v109, off, s[24:27], 0 offset:24 ; 4-byte Folded Spill
	;; [unrolled: 1-line block ×3, first 2 shown]
	ds_read2_b64 v[101:104], v98 offset0:28 offset1:29
	buffer_load_dword v107, off, s[24:27], 0 ; 4-byte Folded Reload
	buffer_load_dword v108, off, s[24:27], 0 offset:4 ; 4-byte Folded Reload
	buffer_load_dword v109, off, s[24:27], 0 offset:8 ; 4-byte Folded Reload
	;; [unrolled: 1-line block ×3, first 2 shown]
	s_waitcnt lgkmcnt(0)
	v_mul_f64 v[105:106], v[103:104], v[111:112]
	v_fma_f64 v[105:106], v[101:102], v[125:126], -v[105:106]
	v_mul_f64 v[101:102], v[101:102], v[111:112]
	v_fma_f64 v[101:102], v[103:104], v[125:126], v[101:102]
	s_waitcnt vmcnt(2)
	v_add_f64 v[107:108], v[107:108], -v[105:106]
	s_waitcnt vmcnt(0)
	v_add_f64 v[109:110], v[109:110], -v[101:102]
	buffer_store_dword v107, off, s[24:27], 0 ; 4-byte Folded Spill
	s_nop 0
	buffer_store_dword v108, off, s[24:27], 0 offset:4 ; 4-byte Folded Spill
	buffer_store_dword v109, off, s[24:27], 0 offset:8 ; 4-byte Folded Spill
	;; [unrolled: 1-line block ×3, first 2 shown]
	ds_read2_b64 v[101:104], v98 offset0:30 offset1:31
	v_mov_b32_e32 v109, v125
	v_mov_b32_e32 v110, v126
	s_waitcnt lgkmcnt(0)
	v_mul_f64 v[105:106], v[103:104], v[111:112]
	v_fma_f64 v[105:106], v[101:102], v[125:126], -v[105:106]
	v_mul_f64 v[101:102], v[101:102], v[111:112]
	v_add_f64 v[93:94], v[93:94], -v[105:106]
	v_fma_f64 v[101:102], v[103:104], v[125:126], v[101:102]
	v_add_f64 v[95:96], v[95:96], -v[101:102]
	ds_read2_b64 v[101:104], v98 offset0:32 offset1:33
	s_waitcnt lgkmcnt(0)
	v_mul_f64 v[105:106], v[103:104], v[111:112]
	v_fma_f64 v[105:106], v[101:102], v[125:126], -v[105:106]
	v_mul_f64 v[101:102], v[101:102], v[111:112]
	v_add_f64 v[89:90], v[89:90], -v[105:106]
	v_fma_f64 v[101:102], v[103:104], v[125:126], v[101:102]
	v_add_f64 v[91:92], v[91:92], -v[101:102]
	ds_read2_b64 v[101:104], v98 offset0:34 offset1:35
	s_waitcnt lgkmcnt(0)
	v_mul_f64 v[105:106], v[103:104], v[111:112]
	v_fma_f64 v[105:106], v[101:102], v[125:126], -v[105:106]
	v_mul_f64 v[101:102], v[101:102], v[111:112]
	v_add_f64 v[85:86], v[85:86], -v[105:106]
	v_fma_f64 v[101:102], v[103:104], v[125:126], v[101:102]
	v_add_f64 v[87:88], v[87:88], -v[101:102]
	ds_read2_b64 v[101:104], v98 offset0:36 offset1:37
	s_waitcnt lgkmcnt(0)
	v_mul_f64 v[105:106], v[103:104], v[111:112]
	v_fma_f64 v[105:106], v[101:102], v[125:126], -v[105:106]
	v_mul_f64 v[101:102], v[101:102], v[111:112]
	v_add_f64 v[81:82], v[81:82], -v[105:106]
	v_fma_f64 v[101:102], v[103:104], v[125:126], v[101:102]
	v_add_f64 v[83:84], v[83:84], -v[101:102]
	ds_read2_b64 v[101:104], v98 offset0:38 offset1:39
	s_waitcnt lgkmcnt(0)
	v_mul_f64 v[105:106], v[103:104], v[111:112]
	v_fma_f64 v[105:106], v[101:102], v[125:126], -v[105:106]
	v_mul_f64 v[101:102], v[101:102], v[111:112]
	v_add_f64 v[77:78], v[77:78], -v[105:106]
	v_fma_f64 v[101:102], v[103:104], v[125:126], v[101:102]
	v_add_f64 v[79:80], v[79:80], -v[101:102]
	ds_read2_b64 v[101:104], v98 offset0:40 offset1:41
	s_waitcnt lgkmcnt(0)
	v_mul_f64 v[105:106], v[103:104], v[111:112]
	v_fma_f64 v[105:106], v[101:102], v[125:126], -v[105:106]
	v_mul_f64 v[101:102], v[101:102], v[111:112]
	v_add_f64 v[73:74], v[73:74], -v[105:106]
	v_fma_f64 v[101:102], v[103:104], v[125:126], v[101:102]
	v_add_f64 v[75:76], v[75:76], -v[101:102]
	ds_read2_b64 v[101:104], v98 offset0:42 offset1:43
	s_waitcnt lgkmcnt(0)
	v_mul_f64 v[105:106], v[103:104], v[111:112]
	v_fma_f64 v[105:106], v[101:102], v[125:126], -v[105:106]
	v_mul_f64 v[101:102], v[101:102], v[111:112]
	v_add_f64 v[69:70], v[69:70], -v[105:106]
	v_fma_f64 v[101:102], v[103:104], v[125:126], v[101:102]
	v_add_f64 v[71:72], v[71:72], -v[101:102]
	ds_read2_b64 v[101:104], v98 offset0:44 offset1:45
	s_waitcnt lgkmcnt(0)
	v_mul_f64 v[105:106], v[103:104], v[111:112]
	v_fma_f64 v[105:106], v[101:102], v[125:126], -v[105:106]
	v_mul_f64 v[101:102], v[101:102], v[111:112]
	v_add_f64 v[65:66], v[65:66], -v[105:106]
	v_fma_f64 v[101:102], v[103:104], v[125:126], v[101:102]
	v_add_f64 v[67:68], v[67:68], -v[101:102]
	ds_read2_b64 v[101:104], v98 offset0:46 offset1:47
	s_waitcnt lgkmcnt(0)
	v_mul_f64 v[105:106], v[103:104], v[111:112]
	v_fma_f64 v[105:106], v[101:102], v[125:126], -v[105:106]
	v_mul_f64 v[101:102], v[101:102], v[111:112]
	v_add_f64 v[61:62], v[61:62], -v[105:106]
	v_fma_f64 v[101:102], v[103:104], v[125:126], v[101:102]
	v_add_f64 v[63:64], v[63:64], -v[101:102]
	ds_read2_b64 v[101:104], v98 offset0:48 offset1:49
	s_waitcnt lgkmcnt(0)
	v_mul_f64 v[105:106], v[103:104], v[111:112]
	v_fma_f64 v[105:106], v[101:102], v[125:126], -v[105:106]
	v_mul_f64 v[101:102], v[101:102], v[111:112]
	v_add_f64 v[57:58], v[57:58], -v[105:106]
	v_fma_f64 v[101:102], v[103:104], v[125:126], v[101:102]
	v_add_f64 v[59:60], v[59:60], -v[101:102]
	ds_read2_b64 v[101:104], v98 offset0:50 offset1:51
	s_waitcnt lgkmcnt(0)
	v_mul_f64 v[105:106], v[103:104], v[111:112]
	v_fma_f64 v[105:106], v[101:102], v[125:126], -v[105:106]
	v_mul_f64 v[101:102], v[101:102], v[111:112]
	v_add_f64 v[53:54], v[53:54], -v[105:106]
	v_fma_f64 v[101:102], v[103:104], v[125:126], v[101:102]
	v_add_f64 v[55:56], v[55:56], -v[101:102]
	ds_read2_b64 v[101:104], v98 offset0:52 offset1:53
	s_waitcnt lgkmcnt(0)
	v_mul_f64 v[105:106], v[103:104], v[111:112]
	v_fma_f64 v[105:106], v[101:102], v[125:126], -v[105:106]
	v_mul_f64 v[101:102], v[101:102], v[111:112]
	v_add_f64 v[49:50], v[49:50], -v[105:106]
	v_fma_f64 v[101:102], v[103:104], v[125:126], v[101:102]
	v_add_f64 v[51:52], v[51:52], -v[101:102]
	ds_read2_b64 v[101:104], v98 offset0:54 offset1:55
	s_waitcnt lgkmcnt(0)
	v_mul_f64 v[105:106], v[103:104], v[111:112]
	v_fma_f64 v[105:106], v[101:102], v[125:126], -v[105:106]
	v_mul_f64 v[101:102], v[101:102], v[111:112]
	v_add_f64 v[45:46], v[45:46], -v[105:106]
	v_fma_f64 v[101:102], v[103:104], v[125:126], v[101:102]
	v_add_f64 v[47:48], v[47:48], -v[101:102]
	ds_read2_b64 v[101:104], v98 offset0:56 offset1:57
	s_waitcnt lgkmcnt(0)
	v_mul_f64 v[105:106], v[103:104], v[111:112]
	v_fma_f64 v[105:106], v[101:102], v[125:126], -v[105:106]
	v_mul_f64 v[101:102], v[101:102], v[111:112]
	v_add_f64 v[41:42], v[41:42], -v[105:106]
	v_fma_f64 v[101:102], v[103:104], v[125:126], v[101:102]
	v_add_f64 v[43:44], v[43:44], -v[101:102]
	ds_read2_b64 v[101:104], v98 offset0:58 offset1:59
	s_waitcnt lgkmcnt(0)
	v_mul_f64 v[105:106], v[103:104], v[111:112]
	v_fma_f64 v[105:106], v[101:102], v[125:126], -v[105:106]
	v_mul_f64 v[101:102], v[101:102], v[111:112]
	v_add_f64 v[37:38], v[37:38], -v[105:106]
	v_fma_f64 v[101:102], v[103:104], v[125:126], v[101:102]
	v_add_f64 v[39:40], v[39:40], -v[101:102]
	ds_read2_b64 v[101:104], v98 offset0:60 offset1:61
	s_waitcnt lgkmcnt(0)
	v_mul_f64 v[105:106], v[103:104], v[111:112]
	v_fma_f64 v[105:106], v[101:102], v[125:126], -v[105:106]
	v_mul_f64 v[101:102], v[101:102], v[111:112]
	v_add_f64 v[33:34], v[33:34], -v[105:106]
	v_fma_f64 v[101:102], v[103:104], v[125:126], v[101:102]
	v_add_f64 v[35:36], v[35:36], -v[101:102]
	ds_read2_b64 v[101:104], v98 offset0:62 offset1:63
	s_waitcnt lgkmcnt(0)
	v_mul_f64 v[105:106], v[103:104], v[111:112]
	v_fma_f64 v[105:106], v[101:102], v[125:126], -v[105:106]
	v_mul_f64 v[101:102], v[101:102], v[111:112]
	v_add_f64 v[29:30], v[29:30], -v[105:106]
	v_fma_f64 v[101:102], v[103:104], v[125:126], v[101:102]
	v_add_f64 v[31:32], v[31:32], -v[101:102]
	ds_read2_b64 v[101:104], v98 offset0:64 offset1:65
	s_waitcnt lgkmcnt(0)
	v_mul_f64 v[105:106], v[103:104], v[111:112]
	v_fma_f64 v[105:106], v[101:102], v[125:126], -v[105:106]
	v_mul_f64 v[101:102], v[101:102], v[111:112]
	v_add_f64 v[25:26], v[25:26], -v[105:106]
	v_fma_f64 v[101:102], v[103:104], v[125:126], v[101:102]
	v_add_f64 v[27:28], v[27:28], -v[101:102]
	ds_read2_b64 v[101:104], v98 offset0:66 offset1:67
	s_waitcnt lgkmcnt(0)
	v_mul_f64 v[105:106], v[103:104], v[111:112]
	v_fma_f64 v[105:106], v[101:102], v[125:126], -v[105:106]
	v_mul_f64 v[101:102], v[101:102], v[111:112]
	v_add_f64 v[21:22], v[21:22], -v[105:106]
	v_fma_f64 v[101:102], v[103:104], v[125:126], v[101:102]
	v_add_f64 v[23:24], v[23:24], -v[101:102]
	ds_read2_b64 v[101:104], v98 offset0:68 offset1:69
	s_waitcnt lgkmcnt(0)
	v_mul_f64 v[105:106], v[103:104], v[111:112]
	v_fma_f64 v[105:106], v[101:102], v[125:126], -v[105:106]
	v_mul_f64 v[101:102], v[101:102], v[111:112]
	v_add_f64 v[17:18], v[17:18], -v[105:106]
	v_fma_f64 v[101:102], v[103:104], v[125:126], v[101:102]
	v_add_f64 v[19:20], v[19:20], -v[101:102]
	ds_read2_b64 v[101:104], v98 offset0:70 offset1:71
	s_waitcnt lgkmcnt(0)
	v_mul_f64 v[105:106], v[103:104], v[111:112]
	v_fma_f64 v[105:106], v[101:102], v[125:126], -v[105:106]
	v_mul_f64 v[101:102], v[101:102], v[111:112]
	v_add_f64 v[13:14], v[13:14], -v[105:106]
	v_fma_f64 v[101:102], v[103:104], v[125:126], v[101:102]
	v_add_f64 v[15:16], v[15:16], -v[101:102]
	ds_read2_b64 v[101:104], v98 offset0:72 offset1:73
	s_waitcnt lgkmcnt(0)
	v_mul_f64 v[105:106], v[103:104], v[111:112]
	v_fma_f64 v[105:106], v[101:102], v[125:126], -v[105:106]
	v_mul_f64 v[101:102], v[101:102], v[111:112]
	v_add_f64 v[9:10], v[9:10], -v[105:106]
	v_fma_f64 v[101:102], v[103:104], v[125:126], v[101:102]
	v_add_f64 v[11:12], v[11:12], -v[101:102]
	ds_read2_b64 v[101:104], v98 offset0:74 offset1:75
	s_waitcnt lgkmcnt(0)
	v_mul_f64 v[105:106], v[103:104], v[111:112]
	v_fma_f64 v[105:106], v[101:102], v[125:126], -v[105:106]
	v_mul_f64 v[101:102], v[101:102], v[111:112]
	v_add_f64 v[5:6], v[5:6], -v[105:106]
	v_fma_f64 v[101:102], v[103:104], v[125:126], v[101:102]
	v_add_f64 v[7:8], v[7:8], -v[101:102]
	ds_read2_b64 v[101:104], v98 offset0:76 offset1:77
	s_waitcnt lgkmcnt(0)
	v_mul_f64 v[105:106], v[103:104], v[111:112]
	v_fma_f64 v[105:106], v[101:102], v[125:126], -v[105:106]
	v_mul_f64 v[101:102], v[101:102], v[111:112]
	v_add_f64 v[1:2], v[1:2], -v[105:106]
	v_fma_f64 v[101:102], v[103:104], v[125:126], v[101:102]
	v_add_f64 v[3:4], v[3:4], -v[101:102]
	ds_read2_b64 v[101:104], v98 offset0:78 offset1:79
	s_waitcnt lgkmcnt(0)
	v_mul_f64 v[105:106], v[103:104], v[111:112]
	v_fma_f64 v[105:106], v[101:102], v[125:126], -v[105:106]
	v_mul_f64 v[101:102], v[101:102], v[111:112]
	buffer_store_dword v109, off, s[24:27], 0 offset:32 ; 4-byte Folded Spill
	s_nop 0
	buffer_store_dword v110, off, s[24:27], 0 offset:36 ; 4-byte Folded Spill
	buffer_store_dword v111, off, s[24:27], 0 offset:40 ; 4-byte Folded Spill
	;; [unrolled: 1-line block ×3, first 2 shown]
	v_add_f64 v[117:118], v[117:118], -v[105:106]
	v_fma_f64 v[101:102], v[103:104], v[125:126], v[101:102]
	v_add_f64 v[119:120], v[119:120], -v[101:102]
.LBB78_272:
	s_or_b64 exec, exec, s[0:1]
	s_waitcnt vmcnt(0)
	s_barrier
	buffer_load_dword v102, off, s[24:27], 0 offset:16 ; 4-byte Folded Reload
	buffer_load_dword v103, off, s[24:27], 0 offset:20 ; 4-byte Folded Reload
	;; [unrolled: 1-line block ×4, first 2 shown]
	v_lshl_add_u32 v101, v100, 4, v98
	s_cmp_lt_i32 s3, 15
	s_waitcnt vmcnt(0)
	ds_write2_b64 v101, v[102:103], v[104:105] offset1:1
	s_waitcnt lgkmcnt(0)
	s_barrier
	ds_read2_b64 v[121:124], v98 offset0:26 offset1:27
	v_mov_b32_e32 v101, 13
	s_cbranch_scc1 .LBB78_275
; %bb.273:
	v_add_u32_e32 v102, 0xe0, v98
	s_mov_b32 s0, 14
	v_mov_b32_e32 v101, 13
.LBB78_274:                             ; =>This Inner Loop Header: Depth=1
	s_waitcnt lgkmcnt(0)
	v_cmp_gt_f64_e32 vcc, 0, v[121:122]
	v_xor_b32_e32 v107, 0x80000000, v122
	ds_read2_b64 v[103:106], v102 offset1:1
	v_xor_b32_e32 v109, 0x80000000, v124
	v_add_u32_e32 v102, 16, v102
	s_waitcnt lgkmcnt(0)
	v_xor_b32_e32 v111, 0x80000000, v106
	v_cndmask_b32_e32 v108, v122, v107, vcc
	v_cmp_gt_f64_e32 vcc, 0, v[123:124]
	v_mov_b32_e32 v107, v121
	v_cndmask_b32_e32 v110, v124, v109, vcc
	v_cmp_gt_f64_e32 vcc, 0, v[103:104]
	v_mov_b32_e32 v109, v123
	v_add_f64 v[107:108], v[107:108], v[109:110]
	v_xor_b32_e32 v109, 0x80000000, v104
	v_cndmask_b32_e32 v110, v104, v109, vcc
	v_cmp_gt_f64_e32 vcc, 0, v[105:106]
	v_mov_b32_e32 v109, v103
	v_cndmask_b32_e32 v112, v106, v111, vcc
	v_mov_b32_e32 v111, v105
	v_add_f64 v[109:110], v[109:110], v[111:112]
	v_cmp_lt_f64_e32 vcc, v[107:108], v[109:110]
	v_cndmask_b32_e32 v121, v121, v103, vcc
	v_mov_b32_e32 v103, s0
	s_add_i32 s0, s0, 1
	v_cndmask_b32_e32 v122, v122, v104, vcc
	v_cndmask_b32_e32 v124, v124, v106, vcc
	;; [unrolled: 1-line block ×4, first 2 shown]
	s_cmp_lg_u32 s3, s0
	s_cbranch_scc1 .LBB78_274
.LBB78_275:
	s_waitcnt lgkmcnt(0)
	v_cmp_eq_f64_e32 vcc, 0, v[121:122]
	v_cmp_eq_f64_e64 s[0:1], 0, v[123:124]
	s_and_b64 s[0:1], vcc, s[0:1]
	s_and_saveexec_b64 s[18:19], s[0:1]
	s_xor_b64 s[0:1], exec, s[18:19]
; %bb.276:
	v_cmp_ne_u32_e32 vcc, 0, v99
	v_cndmask_b32_e32 v99, 14, v99, vcc
; %bb.277:
	s_andn2_saveexec_b64 s[0:1], s[0:1]
	s_cbranch_execz .LBB78_283
; %bb.278:
	v_cmp_ngt_f64_e64 s[18:19], |v[121:122]|, |v[123:124]|
	s_and_saveexec_b64 s[20:21], s[18:19]
	s_xor_b64 s[18:19], exec, s[20:21]
	s_cbranch_execz .LBB78_280
; %bb.279:
	v_div_scale_f64 v[102:103], s[20:21], v[123:124], v[123:124], v[121:122]
	v_rcp_f64_e32 v[104:105], v[102:103]
	v_fma_f64 v[106:107], -v[102:103], v[104:105], 1.0
	v_fma_f64 v[104:105], v[104:105], v[106:107], v[104:105]
	v_div_scale_f64 v[106:107], vcc, v[121:122], v[123:124], v[121:122]
	v_fma_f64 v[108:109], -v[102:103], v[104:105], 1.0
	v_fma_f64 v[104:105], v[104:105], v[108:109], v[104:105]
	v_mul_f64 v[108:109], v[106:107], v[104:105]
	v_fma_f64 v[102:103], -v[102:103], v[108:109], v[106:107]
	v_div_fmas_f64 v[102:103], v[102:103], v[104:105], v[108:109]
	v_div_fixup_f64 v[102:103], v[102:103], v[123:124], v[121:122]
	v_fma_f64 v[104:105], v[121:122], v[102:103], v[123:124]
	v_div_scale_f64 v[106:107], s[20:21], v[104:105], v[104:105], 1.0
	v_div_scale_f64 v[112:113], vcc, 1.0, v[104:105], 1.0
	v_rcp_f64_e32 v[108:109], v[106:107]
	v_fma_f64 v[110:111], -v[106:107], v[108:109], 1.0
	v_fma_f64 v[108:109], v[108:109], v[110:111], v[108:109]
	v_fma_f64 v[110:111], -v[106:107], v[108:109], 1.0
	v_fma_f64 v[108:109], v[108:109], v[110:111], v[108:109]
	v_mul_f64 v[110:111], v[112:113], v[108:109]
	v_fma_f64 v[106:107], -v[106:107], v[110:111], v[112:113]
	v_div_fmas_f64 v[106:107], v[106:107], v[108:109], v[110:111]
	v_div_fixup_f64 v[123:124], v[106:107], v[104:105], 1.0
	v_mul_f64 v[121:122], v[102:103], v[123:124]
	v_xor_b32_e32 v124, 0x80000000, v124
.LBB78_280:
	s_andn2_saveexec_b64 s[18:19], s[18:19]
	s_cbranch_execz .LBB78_282
; %bb.281:
	v_div_scale_f64 v[102:103], s[20:21], v[121:122], v[121:122], v[123:124]
	v_rcp_f64_e32 v[104:105], v[102:103]
	v_fma_f64 v[106:107], -v[102:103], v[104:105], 1.0
	v_fma_f64 v[104:105], v[104:105], v[106:107], v[104:105]
	v_div_scale_f64 v[106:107], vcc, v[123:124], v[121:122], v[123:124]
	v_fma_f64 v[108:109], -v[102:103], v[104:105], 1.0
	v_fma_f64 v[104:105], v[104:105], v[108:109], v[104:105]
	v_mul_f64 v[108:109], v[106:107], v[104:105]
	v_fma_f64 v[102:103], -v[102:103], v[108:109], v[106:107]
	v_div_fmas_f64 v[102:103], v[102:103], v[104:105], v[108:109]
	v_div_fixup_f64 v[102:103], v[102:103], v[121:122], v[123:124]
	v_fma_f64 v[104:105], v[123:124], v[102:103], v[121:122]
	v_div_scale_f64 v[106:107], s[20:21], v[104:105], v[104:105], 1.0
	v_div_scale_f64 v[112:113], vcc, 1.0, v[104:105], 1.0
	v_rcp_f64_e32 v[108:109], v[106:107]
	v_fma_f64 v[110:111], -v[106:107], v[108:109], 1.0
	v_fma_f64 v[108:109], v[108:109], v[110:111], v[108:109]
	v_fma_f64 v[110:111], -v[106:107], v[108:109], 1.0
	v_fma_f64 v[108:109], v[108:109], v[110:111], v[108:109]
	v_mul_f64 v[110:111], v[112:113], v[108:109]
	v_fma_f64 v[106:107], -v[106:107], v[110:111], v[112:113]
	v_div_fmas_f64 v[106:107], v[106:107], v[108:109], v[110:111]
	v_div_fixup_f64 v[121:122], v[106:107], v[104:105], 1.0
	v_mul_f64 v[123:124], v[102:103], -v[121:122]
.LBB78_282:
	s_or_b64 exec, exec, s[18:19]
.LBB78_283:
	s_or_b64 exec, exec, s[0:1]
	v_cmp_ne_u32_e32 vcc, v100, v101
	s_and_saveexec_b64 s[0:1], vcc
	s_xor_b64 s[0:1], exec, s[0:1]
	s_cbranch_execz .LBB78_289
; %bb.284:
	v_cmp_eq_u32_e32 vcc, 13, v100
	s_and_saveexec_b64 s[18:19], vcc
	s_cbranch_execz .LBB78_288
; %bb.285:
	v_cmp_ne_u32_e32 vcc, 13, v101
	s_xor_b64 s[20:21], s[6:7], -1
	s_and_b64 s[22:23], s[20:21], vcc
	s_and_saveexec_b64 s[20:21], s[22:23]
	s_cbranch_execz .LBB78_287
; %bb.286:
	v_ashrrev_i32_e32 v102, 31, v101
	v_lshlrev_b64 v[102:103], 2, v[101:102]
	v_add_co_u32_e32 v102, vcc, v115, v102
	v_addc_co_u32_e32 v103, vcc, v116, v103, vcc
	global_load_dword v0, v[102:103], off
	global_load_dword v100, v[115:116], off offset:52
	s_waitcnt vmcnt(1)
	global_store_dword v[115:116], v0, off offset:52
	s_waitcnt vmcnt(1)
	global_store_dword v[102:103], v100, off
.LBB78_287:
	s_or_b64 exec, exec, s[20:21]
	v_mov_b32_e32 v100, v101
	v_mov_b32_e32 v0, v101
.LBB78_288:
	s_or_b64 exec, exec, s[18:19]
.LBB78_289:
	s_andn2_saveexec_b64 s[0:1], s[0:1]
	s_cbranch_execz .LBB78_291
; %bb.290:
	buffer_load_dword v100, off, s[24:27], 0 ; 4-byte Folded Reload
	buffer_load_dword v101, off, s[24:27], 0 offset:4 ; 4-byte Folded Reload
	buffer_load_dword v102, off, s[24:27], 0 offset:8 ; 4-byte Folded Reload
	;; [unrolled: 1-line block ×3, first 2 shown]
	s_waitcnt vmcnt(0)
	ds_write2_b64 v98, v[100:101], v[102:103] offset0:28 offset1:29
	ds_write2_b64 v98, v[93:94], v[95:96] offset0:30 offset1:31
	;; [unrolled: 1-line block ×26, first 2 shown]
	v_mov_b32_e32 v100, 13
.LBB78_291:
	s_or_b64 exec, exec, s[0:1]
	v_cmp_lt_i32_e32 vcc, 13, v100
	s_waitcnt vmcnt(0) lgkmcnt(0)
	s_barrier
	s_and_saveexec_b64 s[0:1], vcc
	s_cbranch_execz .LBB78_293
; %bb.292:
	buffer_load_dword v109, off, s[24:27], 0 offset:16 ; 4-byte Folded Reload
	buffer_load_dword v110, off, s[24:27], 0 offset:20 ; 4-byte Folded Reload
	;; [unrolled: 1-line block ×4, first 2 shown]
	s_waitcnt vmcnt(0)
	v_mul_f64 v[101:102], v[123:124], v[111:112]
	v_fma_f64 v[125:126], v[121:122], v[109:110], -v[101:102]
	v_mul_f64 v[101:102], v[121:122], v[111:112]
	v_fma_f64 v[111:112], v[123:124], v[109:110], v[101:102]
	ds_read2_b64 v[101:104], v98 offset0:28 offset1:29
	buffer_load_dword v107, off, s[24:27], 0 ; 4-byte Folded Reload
	buffer_load_dword v108, off, s[24:27], 0 offset:4 ; 4-byte Folded Reload
	buffer_load_dword v109, off, s[24:27], 0 offset:8 ; 4-byte Folded Reload
	;; [unrolled: 1-line block ×3, first 2 shown]
	s_waitcnt lgkmcnt(0)
	v_mul_f64 v[105:106], v[103:104], v[111:112]
	v_fma_f64 v[105:106], v[101:102], v[125:126], -v[105:106]
	v_mul_f64 v[101:102], v[101:102], v[111:112]
	v_fma_f64 v[101:102], v[103:104], v[125:126], v[101:102]
	s_waitcnt vmcnt(2)
	v_add_f64 v[107:108], v[107:108], -v[105:106]
	s_waitcnt vmcnt(0)
	v_add_f64 v[109:110], v[109:110], -v[101:102]
	buffer_store_dword v107, off, s[24:27], 0 ; 4-byte Folded Spill
	s_nop 0
	buffer_store_dword v108, off, s[24:27], 0 offset:4 ; 4-byte Folded Spill
	buffer_store_dword v109, off, s[24:27], 0 offset:8 ; 4-byte Folded Spill
	;; [unrolled: 1-line block ×3, first 2 shown]
	ds_read2_b64 v[101:104], v98 offset0:30 offset1:31
	v_mov_b32_e32 v109, v125
	v_mov_b32_e32 v110, v126
	s_waitcnt lgkmcnt(0)
	v_mul_f64 v[105:106], v[103:104], v[111:112]
	v_fma_f64 v[105:106], v[101:102], v[125:126], -v[105:106]
	v_mul_f64 v[101:102], v[101:102], v[111:112]
	v_add_f64 v[93:94], v[93:94], -v[105:106]
	v_fma_f64 v[101:102], v[103:104], v[125:126], v[101:102]
	v_add_f64 v[95:96], v[95:96], -v[101:102]
	ds_read2_b64 v[101:104], v98 offset0:32 offset1:33
	s_waitcnt lgkmcnt(0)
	v_mul_f64 v[105:106], v[103:104], v[111:112]
	v_fma_f64 v[105:106], v[101:102], v[125:126], -v[105:106]
	v_mul_f64 v[101:102], v[101:102], v[111:112]
	v_add_f64 v[89:90], v[89:90], -v[105:106]
	v_fma_f64 v[101:102], v[103:104], v[125:126], v[101:102]
	v_add_f64 v[91:92], v[91:92], -v[101:102]
	ds_read2_b64 v[101:104], v98 offset0:34 offset1:35
	;; [unrolled: 8-line block ×24, first 2 shown]
	s_waitcnt lgkmcnt(0)
	v_mul_f64 v[105:106], v[103:104], v[111:112]
	v_fma_f64 v[105:106], v[101:102], v[125:126], -v[105:106]
	v_mul_f64 v[101:102], v[101:102], v[111:112]
	buffer_store_dword v109, off, s[24:27], 0 offset:16 ; 4-byte Folded Spill
	s_nop 0
	buffer_store_dword v110, off, s[24:27], 0 offset:20 ; 4-byte Folded Spill
	buffer_store_dword v111, off, s[24:27], 0 offset:24 ; 4-byte Folded Spill
	;; [unrolled: 1-line block ×3, first 2 shown]
	v_add_f64 v[117:118], v[117:118], -v[105:106]
	v_fma_f64 v[101:102], v[103:104], v[125:126], v[101:102]
	v_add_f64 v[119:120], v[119:120], -v[101:102]
.LBB78_293:
	s_or_b64 exec, exec, s[0:1]
	s_waitcnt vmcnt(0)
	s_barrier
	buffer_load_dword v102, off, s[24:27], 0 ; 4-byte Folded Reload
	buffer_load_dword v103, off, s[24:27], 0 offset:4 ; 4-byte Folded Reload
	buffer_load_dword v104, off, s[24:27], 0 offset:8 ; 4-byte Folded Reload
	;; [unrolled: 1-line block ×3, first 2 shown]
	v_lshl_add_u32 v101, v100, 4, v98
	s_cmp_lt_i32 s3, 16
	s_waitcnt vmcnt(0)
	ds_write2_b64 v101, v[102:103], v[104:105] offset1:1
	s_waitcnt lgkmcnt(0)
	s_barrier
	ds_read2_b64 v[121:124], v98 offset0:28 offset1:29
	v_mov_b32_e32 v101, 14
	s_cbranch_scc1 .LBB78_296
; %bb.294:
	v_add_u32_e32 v102, 0xf0, v98
	s_mov_b32 s0, 15
	v_mov_b32_e32 v101, 14
.LBB78_295:                             ; =>This Inner Loop Header: Depth=1
	s_waitcnt lgkmcnt(0)
	v_cmp_gt_f64_e32 vcc, 0, v[121:122]
	v_xor_b32_e32 v107, 0x80000000, v122
	ds_read2_b64 v[103:106], v102 offset1:1
	v_xor_b32_e32 v109, 0x80000000, v124
	v_add_u32_e32 v102, 16, v102
	s_waitcnt lgkmcnt(0)
	v_xor_b32_e32 v111, 0x80000000, v106
	v_cndmask_b32_e32 v108, v122, v107, vcc
	v_cmp_gt_f64_e32 vcc, 0, v[123:124]
	v_mov_b32_e32 v107, v121
	v_cndmask_b32_e32 v110, v124, v109, vcc
	v_cmp_gt_f64_e32 vcc, 0, v[103:104]
	v_mov_b32_e32 v109, v123
	v_add_f64 v[107:108], v[107:108], v[109:110]
	v_xor_b32_e32 v109, 0x80000000, v104
	v_cndmask_b32_e32 v110, v104, v109, vcc
	v_cmp_gt_f64_e32 vcc, 0, v[105:106]
	v_mov_b32_e32 v109, v103
	v_cndmask_b32_e32 v112, v106, v111, vcc
	v_mov_b32_e32 v111, v105
	v_add_f64 v[109:110], v[109:110], v[111:112]
	v_cmp_lt_f64_e32 vcc, v[107:108], v[109:110]
	v_cndmask_b32_e32 v121, v121, v103, vcc
	v_mov_b32_e32 v103, s0
	s_add_i32 s0, s0, 1
	v_cndmask_b32_e32 v122, v122, v104, vcc
	v_cndmask_b32_e32 v124, v124, v106, vcc
	;; [unrolled: 1-line block ×4, first 2 shown]
	s_cmp_lg_u32 s3, s0
	s_cbranch_scc1 .LBB78_295
.LBB78_296:
	s_waitcnt lgkmcnt(0)
	v_cmp_eq_f64_e32 vcc, 0, v[121:122]
	v_cmp_eq_f64_e64 s[0:1], 0, v[123:124]
	s_and_b64 s[0:1], vcc, s[0:1]
	s_and_saveexec_b64 s[18:19], s[0:1]
	s_xor_b64 s[0:1], exec, s[18:19]
; %bb.297:
	v_cmp_ne_u32_e32 vcc, 0, v99
	v_cndmask_b32_e32 v99, 15, v99, vcc
; %bb.298:
	s_andn2_saveexec_b64 s[0:1], s[0:1]
	s_cbranch_execz .LBB78_304
; %bb.299:
	v_cmp_ngt_f64_e64 s[18:19], |v[121:122]|, |v[123:124]|
	s_and_saveexec_b64 s[20:21], s[18:19]
	s_xor_b64 s[18:19], exec, s[20:21]
	s_cbranch_execz .LBB78_301
; %bb.300:
	v_div_scale_f64 v[102:103], s[20:21], v[123:124], v[123:124], v[121:122]
	v_rcp_f64_e32 v[104:105], v[102:103]
	v_fma_f64 v[106:107], -v[102:103], v[104:105], 1.0
	v_fma_f64 v[104:105], v[104:105], v[106:107], v[104:105]
	v_div_scale_f64 v[106:107], vcc, v[121:122], v[123:124], v[121:122]
	v_fma_f64 v[108:109], -v[102:103], v[104:105], 1.0
	v_fma_f64 v[104:105], v[104:105], v[108:109], v[104:105]
	v_mul_f64 v[108:109], v[106:107], v[104:105]
	v_fma_f64 v[102:103], -v[102:103], v[108:109], v[106:107]
	v_div_fmas_f64 v[102:103], v[102:103], v[104:105], v[108:109]
	v_div_fixup_f64 v[102:103], v[102:103], v[123:124], v[121:122]
	v_fma_f64 v[104:105], v[121:122], v[102:103], v[123:124]
	v_div_scale_f64 v[106:107], s[20:21], v[104:105], v[104:105], 1.0
	v_div_scale_f64 v[112:113], vcc, 1.0, v[104:105], 1.0
	v_rcp_f64_e32 v[108:109], v[106:107]
	v_fma_f64 v[110:111], -v[106:107], v[108:109], 1.0
	v_fma_f64 v[108:109], v[108:109], v[110:111], v[108:109]
	v_fma_f64 v[110:111], -v[106:107], v[108:109], 1.0
	v_fma_f64 v[108:109], v[108:109], v[110:111], v[108:109]
	v_mul_f64 v[110:111], v[112:113], v[108:109]
	v_fma_f64 v[106:107], -v[106:107], v[110:111], v[112:113]
	v_div_fmas_f64 v[106:107], v[106:107], v[108:109], v[110:111]
	v_div_fixup_f64 v[123:124], v[106:107], v[104:105], 1.0
	v_mul_f64 v[121:122], v[102:103], v[123:124]
	v_xor_b32_e32 v124, 0x80000000, v124
.LBB78_301:
	s_andn2_saveexec_b64 s[18:19], s[18:19]
	s_cbranch_execz .LBB78_303
; %bb.302:
	v_div_scale_f64 v[102:103], s[20:21], v[121:122], v[121:122], v[123:124]
	v_rcp_f64_e32 v[104:105], v[102:103]
	v_fma_f64 v[106:107], -v[102:103], v[104:105], 1.0
	v_fma_f64 v[104:105], v[104:105], v[106:107], v[104:105]
	v_div_scale_f64 v[106:107], vcc, v[123:124], v[121:122], v[123:124]
	v_fma_f64 v[108:109], -v[102:103], v[104:105], 1.0
	v_fma_f64 v[104:105], v[104:105], v[108:109], v[104:105]
	v_mul_f64 v[108:109], v[106:107], v[104:105]
	v_fma_f64 v[102:103], -v[102:103], v[108:109], v[106:107]
	v_div_fmas_f64 v[102:103], v[102:103], v[104:105], v[108:109]
	v_div_fixup_f64 v[102:103], v[102:103], v[121:122], v[123:124]
	v_fma_f64 v[104:105], v[123:124], v[102:103], v[121:122]
	v_div_scale_f64 v[106:107], s[20:21], v[104:105], v[104:105], 1.0
	v_div_scale_f64 v[112:113], vcc, 1.0, v[104:105], 1.0
	v_rcp_f64_e32 v[108:109], v[106:107]
	v_fma_f64 v[110:111], -v[106:107], v[108:109], 1.0
	v_fma_f64 v[108:109], v[108:109], v[110:111], v[108:109]
	v_fma_f64 v[110:111], -v[106:107], v[108:109], 1.0
	v_fma_f64 v[108:109], v[108:109], v[110:111], v[108:109]
	v_mul_f64 v[110:111], v[112:113], v[108:109]
	v_fma_f64 v[106:107], -v[106:107], v[110:111], v[112:113]
	v_div_fmas_f64 v[106:107], v[106:107], v[108:109], v[110:111]
	v_div_fixup_f64 v[121:122], v[106:107], v[104:105], 1.0
	v_mul_f64 v[123:124], v[102:103], -v[121:122]
.LBB78_303:
	s_or_b64 exec, exec, s[18:19]
.LBB78_304:
	s_or_b64 exec, exec, s[0:1]
	v_cmp_ne_u32_e32 vcc, v100, v101
	s_and_saveexec_b64 s[0:1], vcc
	s_xor_b64 s[0:1], exec, s[0:1]
	s_cbranch_execz .LBB78_310
; %bb.305:
	v_cmp_eq_u32_e32 vcc, 14, v100
	s_and_saveexec_b64 s[18:19], vcc
	s_cbranch_execz .LBB78_309
; %bb.306:
	v_cmp_ne_u32_e32 vcc, 14, v101
	s_xor_b64 s[20:21], s[6:7], -1
	s_and_b64 s[22:23], s[20:21], vcc
	s_and_saveexec_b64 s[20:21], s[22:23]
	s_cbranch_execz .LBB78_308
; %bb.307:
	v_ashrrev_i32_e32 v102, 31, v101
	v_lshlrev_b64 v[102:103], 2, v[101:102]
	v_add_co_u32_e32 v102, vcc, v115, v102
	v_addc_co_u32_e32 v103, vcc, v116, v103, vcc
	global_load_dword v0, v[102:103], off
	global_load_dword v100, v[115:116], off offset:56
	s_waitcnt vmcnt(1)
	global_store_dword v[115:116], v0, off offset:56
	s_waitcnt vmcnt(1)
	global_store_dword v[102:103], v100, off
.LBB78_308:
	s_or_b64 exec, exec, s[20:21]
	v_mov_b32_e32 v100, v101
	v_mov_b32_e32 v0, v101
.LBB78_309:
	s_or_b64 exec, exec, s[18:19]
.LBB78_310:
	s_andn2_saveexec_b64 s[0:1], s[0:1]
	s_cbranch_execz .LBB78_312
; %bb.311:
	v_mov_b32_e32 v100, 14
	ds_write2_b64 v98, v[93:94], v[95:96] offset0:30 offset1:31
	ds_write2_b64 v98, v[89:90], v[91:92] offset0:32 offset1:33
	;; [unrolled: 1-line block ×25, first 2 shown]
.LBB78_312:
	s_or_b64 exec, exec, s[0:1]
	v_cmp_lt_i32_e32 vcc, 14, v100
	s_waitcnt vmcnt(0) lgkmcnt(0)
	s_barrier
	s_and_saveexec_b64 s[0:1], vcc
	s_cbranch_execz .LBB78_314
; %bb.313:
	buffer_load_dword v105, off, s[24:27], 0 ; 4-byte Folded Reload
	buffer_load_dword v106, off, s[24:27], 0 offset:4 ; 4-byte Folded Reload
	buffer_load_dword v107, off, s[24:27], 0 offset:8 ; 4-byte Folded Reload
	;; [unrolled: 1-line block ×3, first 2 shown]
	s_waitcnt vmcnt(0)
	v_mul_f64 v[101:102], v[123:124], v[107:108]
	v_fma_f64 v[109:110], v[121:122], v[105:106], -v[101:102]
	v_mul_f64 v[101:102], v[121:122], v[107:108]
	v_fma_f64 v[107:108], v[123:124], v[105:106], v[101:102]
	ds_read2_b64 v[101:104], v98 offset0:30 offset1:31
	s_waitcnt lgkmcnt(0)
	v_mul_f64 v[105:106], v[103:104], v[107:108]
	v_fma_f64 v[105:106], v[101:102], v[109:110], -v[105:106]
	v_mul_f64 v[101:102], v[101:102], v[107:108]
	v_add_f64 v[93:94], v[93:94], -v[105:106]
	v_fma_f64 v[101:102], v[103:104], v[109:110], v[101:102]
	v_add_f64 v[95:96], v[95:96], -v[101:102]
	ds_read2_b64 v[101:104], v98 offset0:32 offset1:33
	s_waitcnt lgkmcnt(0)
	v_mul_f64 v[105:106], v[103:104], v[107:108]
	v_fma_f64 v[105:106], v[101:102], v[109:110], -v[105:106]
	v_mul_f64 v[101:102], v[101:102], v[107:108]
	v_add_f64 v[89:90], v[89:90], -v[105:106]
	v_fma_f64 v[101:102], v[103:104], v[109:110], v[101:102]
	v_add_f64 v[91:92], v[91:92], -v[101:102]
	ds_read2_b64 v[101:104], v98 offset0:34 offset1:35
	s_waitcnt lgkmcnt(0)
	v_mul_f64 v[105:106], v[103:104], v[107:108]
	v_fma_f64 v[105:106], v[101:102], v[109:110], -v[105:106]
	v_mul_f64 v[101:102], v[101:102], v[107:108]
	v_add_f64 v[85:86], v[85:86], -v[105:106]
	v_fma_f64 v[101:102], v[103:104], v[109:110], v[101:102]
	v_add_f64 v[87:88], v[87:88], -v[101:102]
	ds_read2_b64 v[101:104], v98 offset0:36 offset1:37
	s_waitcnt lgkmcnt(0)
	v_mul_f64 v[105:106], v[103:104], v[107:108]
	v_fma_f64 v[105:106], v[101:102], v[109:110], -v[105:106]
	v_mul_f64 v[101:102], v[101:102], v[107:108]
	v_add_f64 v[81:82], v[81:82], -v[105:106]
	v_fma_f64 v[101:102], v[103:104], v[109:110], v[101:102]
	v_add_f64 v[83:84], v[83:84], -v[101:102]
	ds_read2_b64 v[101:104], v98 offset0:38 offset1:39
	s_waitcnt lgkmcnt(0)
	v_mul_f64 v[105:106], v[103:104], v[107:108]
	v_fma_f64 v[105:106], v[101:102], v[109:110], -v[105:106]
	v_mul_f64 v[101:102], v[101:102], v[107:108]
	v_add_f64 v[77:78], v[77:78], -v[105:106]
	v_fma_f64 v[101:102], v[103:104], v[109:110], v[101:102]
	v_add_f64 v[79:80], v[79:80], -v[101:102]
	ds_read2_b64 v[101:104], v98 offset0:40 offset1:41
	s_waitcnt lgkmcnt(0)
	v_mul_f64 v[105:106], v[103:104], v[107:108]
	v_fma_f64 v[105:106], v[101:102], v[109:110], -v[105:106]
	v_mul_f64 v[101:102], v[101:102], v[107:108]
	v_add_f64 v[73:74], v[73:74], -v[105:106]
	v_fma_f64 v[101:102], v[103:104], v[109:110], v[101:102]
	v_add_f64 v[75:76], v[75:76], -v[101:102]
	ds_read2_b64 v[101:104], v98 offset0:42 offset1:43
	s_waitcnt lgkmcnt(0)
	v_mul_f64 v[105:106], v[103:104], v[107:108]
	v_fma_f64 v[105:106], v[101:102], v[109:110], -v[105:106]
	v_mul_f64 v[101:102], v[101:102], v[107:108]
	v_add_f64 v[69:70], v[69:70], -v[105:106]
	v_fma_f64 v[101:102], v[103:104], v[109:110], v[101:102]
	v_add_f64 v[71:72], v[71:72], -v[101:102]
	ds_read2_b64 v[101:104], v98 offset0:44 offset1:45
	s_waitcnt lgkmcnt(0)
	v_mul_f64 v[105:106], v[103:104], v[107:108]
	v_fma_f64 v[105:106], v[101:102], v[109:110], -v[105:106]
	v_mul_f64 v[101:102], v[101:102], v[107:108]
	v_add_f64 v[65:66], v[65:66], -v[105:106]
	v_fma_f64 v[101:102], v[103:104], v[109:110], v[101:102]
	v_add_f64 v[67:68], v[67:68], -v[101:102]
	ds_read2_b64 v[101:104], v98 offset0:46 offset1:47
	s_waitcnt lgkmcnt(0)
	v_mul_f64 v[105:106], v[103:104], v[107:108]
	v_fma_f64 v[105:106], v[101:102], v[109:110], -v[105:106]
	v_mul_f64 v[101:102], v[101:102], v[107:108]
	v_add_f64 v[61:62], v[61:62], -v[105:106]
	v_fma_f64 v[101:102], v[103:104], v[109:110], v[101:102]
	v_add_f64 v[63:64], v[63:64], -v[101:102]
	ds_read2_b64 v[101:104], v98 offset0:48 offset1:49
	s_waitcnt lgkmcnt(0)
	v_mul_f64 v[105:106], v[103:104], v[107:108]
	v_fma_f64 v[105:106], v[101:102], v[109:110], -v[105:106]
	v_mul_f64 v[101:102], v[101:102], v[107:108]
	v_add_f64 v[57:58], v[57:58], -v[105:106]
	v_fma_f64 v[101:102], v[103:104], v[109:110], v[101:102]
	v_add_f64 v[59:60], v[59:60], -v[101:102]
	ds_read2_b64 v[101:104], v98 offset0:50 offset1:51
	s_waitcnt lgkmcnt(0)
	v_mul_f64 v[105:106], v[103:104], v[107:108]
	v_fma_f64 v[105:106], v[101:102], v[109:110], -v[105:106]
	v_mul_f64 v[101:102], v[101:102], v[107:108]
	v_add_f64 v[53:54], v[53:54], -v[105:106]
	v_fma_f64 v[101:102], v[103:104], v[109:110], v[101:102]
	v_add_f64 v[55:56], v[55:56], -v[101:102]
	ds_read2_b64 v[101:104], v98 offset0:52 offset1:53
	s_waitcnt lgkmcnt(0)
	v_mul_f64 v[105:106], v[103:104], v[107:108]
	v_fma_f64 v[105:106], v[101:102], v[109:110], -v[105:106]
	v_mul_f64 v[101:102], v[101:102], v[107:108]
	v_add_f64 v[49:50], v[49:50], -v[105:106]
	v_fma_f64 v[101:102], v[103:104], v[109:110], v[101:102]
	v_add_f64 v[51:52], v[51:52], -v[101:102]
	ds_read2_b64 v[101:104], v98 offset0:54 offset1:55
	s_waitcnt lgkmcnt(0)
	v_mul_f64 v[105:106], v[103:104], v[107:108]
	v_fma_f64 v[105:106], v[101:102], v[109:110], -v[105:106]
	v_mul_f64 v[101:102], v[101:102], v[107:108]
	v_add_f64 v[45:46], v[45:46], -v[105:106]
	v_fma_f64 v[101:102], v[103:104], v[109:110], v[101:102]
	v_add_f64 v[47:48], v[47:48], -v[101:102]
	ds_read2_b64 v[101:104], v98 offset0:56 offset1:57
	s_waitcnt lgkmcnt(0)
	v_mul_f64 v[105:106], v[103:104], v[107:108]
	v_fma_f64 v[105:106], v[101:102], v[109:110], -v[105:106]
	v_mul_f64 v[101:102], v[101:102], v[107:108]
	v_add_f64 v[41:42], v[41:42], -v[105:106]
	v_fma_f64 v[101:102], v[103:104], v[109:110], v[101:102]
	v_add_f64 v[43:44], v[43:44], -v[101:102]
	ds_read2_b64 v[101:104], v98 offset0:58 offset1:59
	s_waitcnt lgkmcnt(0)
	v_mul_f64 v[105:106], v[103:104], v[107:108]
	v_fma_f64 v[105:106], v[101:102], v[109:110], -v[105:106]
	v_mul_f64 v[101:102], v[101:102], v[107:108]
	v_add_f64 v[37:38], v[37:38], -v[105:106]
	v_fma_f64 v[101:102], v[103:104], v[109:110], v[101:102]
	v_add_f64 v[39:40], v[39:40], -v[101:102]
	ds_read2_b64 v[101:104], v98 offset0:60 offset1:61
	s_waitcnt lgkmcnt(0)
	v_mul_f64 v[105:106], v[103:104], v[107:108]
	v_fma_f64 v[105:106], v[101:102], v[109:110], -v[105:106]
	v_mul_f64 v[101:102], v[101:102], v[107:108]
	v_add_f64 v[33:34], v[33:34], -v[105:106]
	v_fma_f64 v[101:102], v[103:104], v[109:110], v[101:102]
	v_add_f64 v[35:36], v[35:36], -v[101:102]
	ds_read2_b64 v[101:104], v98 offset0:62 offset1:63
	s_waitcnt lgkmcnt(0)
	v_mul_f64 v[105:106], v[103:104], v[107:108]
	v_fma_f64 v[105:106], v[101:102], v[109:110], -v[105:106]
	v_mul_f64 v[101:102], v[101:102], v[107:108]
	v_add_f64 v[29:30], v[29:30], -v[105:106]
	v_fma_f64 v[101:102], v[103:104], v[109:110], v[101:102]
	v_add_f64 v[31:32], v[31:32], -v[101:102]
	ds_read2_b64 v[101:104], v98 offset0:64 offset1:65
	s_waitcnt lgkmcnt(0)
	v_mul_f64 v[105:106], v[103:104], v[107:108]
	v_fma_f64 v[105:106], v[101:102], v[109:110], -v[105:106]
	v_mul_f64 v[101:102], v[101:102], v[107:108]
	v_add_f64 v[25:26], v[25:26], -v[105:106]
	v_fma_f64 v[101:102], v[103:104], v[109:110], v[101:102]
	v_add_f64 v[27:28], v[27:28], -v[101:102]
	ds_read2_b64 v[101:104], v98 offset0:66 offset1:67
	s_waitcnt lgkmcnt(0)
	v_mul_f64 v[105:106], v[103:104], v[107:108]
	v_fma_f64 v[105:106], v[101:102], v[109:110], -v[105:106]
	v_mul_f64 v[101:102], v[101:102], v[107:108]
	v_add_f64 v[21:22], v[21:22], -v[105:106]
	v_fma_f64 v[101:102], v[103:104], v[109:110], v[101:102]
	v_add_f64 v[23:24], v[23:24], -v[101:102]
	ds_read2_b64 v[101:104], v98 offset0:68 offset1:69
	s_waitcnt lgkmcnt(0)
	v_mul_f64 v[105:106], v[103:104], v[107:108]
	v_fma_f64 v[105:106], v[101:102], v[109:110], -v[105:106]
	v_mul_f64 v[101:102], v[101:102], v[107:108]
	v_add_f64 v[17:18], v[17:18], -v[105:106]
	v_fma_f64 v[101:102], v[103:104], v[109:110], v[101:102]
	v_add_f64 v[19:20], v[19:20], -v[101:102]
	ds_read2_b64 v[101:104], v98 offset0:70 offset1:71
	s_waitcnt lgkmcnt(0)
	v_mul_f64 v[105:106], v[103:104], v[107:108]
	v_fma_f64 v[105:106], v[101:102], v[109:110], -v[105:106]
	v_mul_f64 v[101:102], v[101:102], v[107:108]
	v_add_f64 v[13:14], v[13:14], -v[105:106]
	v_fma_f64 v[101:102], v[103:104], v[109:110], v[101:102]
	v_add_f64 v[15:16], v[15:16], -v[101:102]
	ds_read2_b64 v[101:104], v98 offset0:72 offset1:73
	s_waitcnt lgkmcnt(0)
	v_mul_f64 v[105:106], v[103:104], v[107:108]
	v_fma_f64 v[105:106], v[101:102], v[109:110], -v[105:106]
	v_mul_f64 v[101:102], v[101:102], v[107:108]
	v_add_f64 v[9:10], v[9:10], -v[105:106]
	v_fma_f64 v[101:102], v[103:104], v[109:110], v[101:102]
	v_add_f64 v[11:12], v[11:12], -v[101:102]
	ds_read2_b64 v[101:104], v98 offset0:74 offset1:75
	s_waitcnt lgkmcnt(0)
	v_mul_f64 v[105:106], v[103:104], v[107:108]
	v_fma_f64 v[105:106], v[101:102], v[109:110], -v[105:106]
	v_mul_f64 v[101:102], v[101:102], v[107:108]
	v_add_f64 v[5:6], v[5:6], -v[105:106]
	v_fma_f64 v[101:102], v[103:104], v[109:110], v[101:102]
	v_add_f64 v[7:8], v[7:8], -v[101:102]
	ds_read2_b64 v[101:104], v98 offset0:76 offset1:77
	s_waitcnt lgkmcnt(0)
	v_mul_f64 v[105:106], v[103:104], v[107:108]
	v_fma_f64 v[105:106], v[101:102], v[109:110], -v[105:106]
	v_mul_f64 v[101:102], v[101:102], v[107:108]
	v_add_f64 v[1:2], v[1:2], -v[105:106]
	v_fma_f64 v[101:102], v[103:104], v[109:110], v[101:102]
	v_add_f64 v[3:4], v[3:4], -v[101:102]
	ds_read2_b64 v[101:104], v98 offset0:78 offset1:79
	s_waitcnt lgkmcnt(0)
	v_mul_f64 v[105:106], v[103:104], v[107:108]
	v_fma_f64 v[105:106], v[101:102], v[109:110], -v[105:106]
	v_mul_f64 v[101:102], v[101:102], v[107:108]
	v_add_f64 v[117:118], v[117:118], -v[105:106]
	v_fma_f64 v[101:102], v[103:104], v[109:110], v[101:102]
	v_mov_b32_e32 v105, v109
	v_mov_b32_e32 v106, v110
	buffer_store_dword v105, off, s[24:27], 0 ; 4-byte Folded Spill
	s_nop 0
	buffer_store_dword v106, off, s[24:27], 0 offset:4 ; 4-byte Folded Spill
	buffer_store_dword v107, off, s[24:27], 0 offset:8 ; 4-byte Folded Spill
	buffer_store_dword v108, off, s[24:27], 0 offset:12 ; 4-byte Folded Spill
	v_add_f64 v[119:120], v[119:120], -v[101:102]
.LBB78_314:
	s_or_b64 exec, exec, s[0:1]
	v_lshl_add_u32 v101, v100, 4, v98
	s_waitcnt vmcnt(0)
	s_barrier
	ds_write2_b64 v101, v[93:94], v[95:96] offset1:1
	s_waitcnt lgkmcnt(0)
	s_barrier
	ds_read2_b64 v[121:124], v98 offset0:30 offset1:31
	s_cmp_lt_i32 s3, 17
	v_mov_b32_e32 v101, 15
	s_cbranch_scc1 .LBB78_317
; %bb.315:
	v_add_u32_e32 v102, 0x100, v98
	s_mov_b32 s0, 16
	v_mov_b32_e32 v101, 15
.LBB78_316:                             ; =>This Inner Loop Header: Depth=1
	s_waitcnt lgkmcnt(0)
	v_cmp_gt_f64_e32 vcc, 0, v[121:122]
	v_xor_b32_e32 v107, 0x80000000, v122
	ds_read2_b64 v[103:106], v102 offset1:1
	v_xor_b32_e32 v109, 0x80000000, v124
	v_add_u32_e32 v102, 16, v102
	s_waitcnt lgkmcnt(0)
	v_xor_b32_e32 v111, 0x80000000, v106
	v_cndmask_b32_e32 v108, v122, v107, vcc
	v_cmp_gt_f64_e32 vcc, 0, v[123:124]
	v_mov_b32_e32 v107, v121
	v_cndmask_b32_e32 v110, v124, v109, vcc
	v_cmp_gt_f64_e32 vcc, 0, v[103:104]
	v_mov_b32_e32 v109, v123
	v_add_f64 v[107:108], v[107:108], v[109:110]
	v_xor_b32_e32 v109, 0x80000000, v104
	v_cndmask_b32_e32 v110, v104, v109, vcc
	v_cmp_gt_f64_e32 vcc, 0, v[105:106]
	v_mov_b32_e32 v109, v103
	v_cndmask_b32_e32 v112, v106, v111, vcc
	v_mov_b32_e32 v111, v105
	v_add_f64 v[109:110], v[109:110], v[111:112]
	v_cmp_lt_f64_e32 vcc, v[107:108], v[109:110]
	v_cndmask_b32_e32 v121, v121, v103, vcc
	v_mov_b32_e32 v103, s0
	s_add_i32 s0, s0, 1
	v_cndmask_b32_e32 v122, v122, v104, vcc
	v_cndmask_b32_e32 v124, v124, v106, vcc
	v_cndmask_b32_e32 v123, v123, v105, vcc
	v_cndmask_b32_e32 v101, v101, v103, vcc
	s_cmp_lg_u32 s3, s0
	s_cbranch_scc1 .LBB78_316
.LBB78_317:
	s_waitcnt lgkmcnt(0)
	v_cmp_eq_f64_e32 vcc, 0, v[121:122]
	v_cmp_eq_f64_e64 s[0:1], 0, v[123:124]
	s_and_b64 s[0:1], vcc, s[0:1]
	s_and_saveexec_b64 s[18:19], s[0:1]
	s_xor_b64 s[0:1], exec, s[18:19]
; %bb.318:
	v_cmp_ne_u32_e32 vcc, 0, v99
	v_cndmask_b32_e32 v99, 16, v99, vcc
; %bb.319:
	s_andn2_saveexec_b64 s[0:1], s[0:1]
	s_cbranch_execz .LBB78_325
; %bb.320:
	v_cmp_ngt_f64_e64 s[18:19], |v[121:122]|, |v[123:124]|
	s_and_saveexec_b64 s[20:21], s[18:19]
	s_xor_b64 s[18:19], exec, s[20:21]
	s_cbranch_execz .LBB78_322
; %bb.321:
	v_div_scale_f64 v[102:103], s[20:21], v[123:124], v[123:124], v[121:122]
	v_rcp_f64_e32 v[104:105], v[102:103]
	v_fma_f64 v[106:107], -v[102:103], v[104:105], 1.0
	v_fma_f64 v[104:105], v[104:105], v[106:107], v[104:105]
	v_div_scale_f64 v[106:107], vcc, v[121:122], v[123:124], v[121:122]
	v_fma_f64 v[108:109], -v[102:103], v[104:105], 1.0
	v_fma_f64 v[104:105], v[104:105], v[108:109], v[104:105]
	v_mul_f64 v[108:109], v[106:107], v[104:105]
	v_fma_f64 v[102:103], -v[102:103], v[108:109], v[106:107]
	v_div_fmas_f64 v[102:103], v[102:103], v[104:105], v[108:109]
	v_div_fixup_f64 v[102:103], v[102:103], v[123:124], v[121:122]
	v_fma_f64 v[104:105], v[121:122], v[102:103], v[123:124]
	v_div_scale_f64 v[106:107], s[20:21], v[104:105], v[104:105], 1.0
	v_div_scale_f64 v[112:113], vcc, 1.0, v[104:105], 1.0
	v_rcp_f64_e32 v[108:109], v[106:107]
	v_fma_f64 v[110:111], -v[106:107], v[108:109], 1.0
	v_fma_f64 v[108:109], v[108:109], v[110:111], v[108:109]
	v_fma_f64 v[110:111], -v[106:107], v[108:109], 1.0
	v_fma_f64 v[108:109], v[108:109], v[110:111], v[108:109]
	v_mul_f64 v[110:111], v[112:113], v[108:109]
	v_fma_f64 v[106:107], -v[106:107], v[110:111], v[112:113]
	v_div_fmas_f64 v[106:107], v[106:107], v[108:109], v[110:111]
	v_div_fixup_f64 v[123:124], v[106:107], v[104:105], 1.0
	v_mul_f64 v[121:122], v[102:103], v[123:124]
	v_xor_b32_e32 v124, 0x80000000, v124
.LBB78_322:
	s_andn2_saveexec_b64 s[18:19], s[18:19]
	s_cbranch_execz .LBB78_324
; %bb.323:
	v_div_scale_f64 v[102:103], s[20:21], v[121:122], v[121:122], v[123:124]
	v_rcp_f64_e32 v[104:105], v[102:103]
	v_fma_f64 v[106:107], -v[102:103], v[104:105], 1.0
	v_fma_f64 v[104:105], v[104:105], v[106:107], v[104:105]
	v_div_scale_f64 v[106:107], vcc, v[123:124], v[121:122], v[123:124]
	v_fma_f64 v[108:109], -v[102:103], v[104:105], 1.0
	v_fma_f64 v[104:105], v[104:105], v[108:109], v[104:105]
	v_mul_f64 v[108:109], v[106:107], v[104:105]
	v_fma_f64 v[102:103], -v[102:103], v[108:109], v[106:107]
	v_div_fmas_f64 v[102:103], v[102:103], v[104:105], v[108:109]
	v_div_fixup_f64 v[102:103], v[102:103], v[121:122], v[123:124]
	v_fma_f64 v[104:105], v[123:124], v[102:103], v[121:122]
	v_div_scale_f64 v[106:107], s[20:21], v[104:105], v[104:105], 1.0
	v_div_scale_f64 v[112:113], vcc, 1.0, v[104:105], 1.0
	v_rcp_f64_e32 v[108:109], v[106:107]
	v_fma_f64 v[110:111], -v[106:107], v[108:109], 1.0
	v_fma_f64 v[108:109], v[108:109], v[110:111], v[108:109]
	v_fma_f64 v[110:111], -v[106:107], v[108:109], 1.0
	v_fma_f64 v[108:109], v[108:109], v[110:111], v[108:109]
	v_mul_f64 v[110:111], v[112:113], v[108:109]
	v_fma_f64 v[106:107], -v[106:107], v[110:111], v[112:113]
	v_div_fmas_f64 v[106:107], v[106:107], v[108:109], v[110:111]
	v_div_fixup_f64 v[121:122], v[106:107], v[104:105], 1.0
	v_mul_f64 v[123:124], v[102:103], -v[121:122]
.LBB78_324:
	s_or_b64 exec, exec, s[18:19]
.LBB78_325:
	s_or_b64 exec, exec, s[0:1]
	v_cmp_ne_u32_e32 vcc, v100, v101
	s_and_saveexec_b64 s[0:1], vcc
	s_xor_b64 s[0:1], exec, s[0:1]
	s_cbranch_execz .LBB78_331
; %bb.326:
	v_cmp_eq_u32_e32 vcc, 15, v100
	s_and_saveexec_b64 s[18:19], vcc
	s_cbranch_execz .LBB78_330
; %bb.327:
	v_cmp_ne_u32_e32 vcc, 15, v101
	s_xor_b64 s[20:21], s[6:7], -1
	s_and_b64 s[22:23], s[20:21], vcc
	s_and_saveexec_b64 s[20:21], s[22:23]
	s_cbranch_execz .LBB78_329
; %bb.328:
	v_ashrrev_i32_e32 v102, 31, v101
	v_lshlrev_b64 v[102:103], 2, v[101:102]
	v_add_co_u32_e32 v102, vcc, v115, v102
	v_addc_co_u32_e32 v103, vcc, v116, v103, vcc
	global_load_dword v0, v[102:103], off
	global_load_dword v100, v[115:116], off offset:60
	s_waitcnt vmcnt(1)
	global_store_dword v[115:116], v0, off offset:60
	s_waitcnt vmcnt(1)
	global_store_dword v[102:103], v100, off
.LBB78_329:
	s_or_b64 exec, exec, s[20:21]
	v_mov_b32_e32 v100, v101
	v_mov_b32_e32 v0, v101
.LBB78_330:
	s_or_b64 exec, exec, s[18:19]
.LBB78_331:
	s_andn2_saveexec_b64 s[0:1], s[0:1]
	s_cbranch_execz .LBB78_333
; %bb.332:
	v_mov_b32_e32 v100, 15
	ds_write2_b64 v98, v[89:90], v[91:92] offset0:32 offset1:33
	ds_write2_b64 v98, v[85:86], v[87:88] offset0:34 offset1:35
	;; [unrolled: 1-line block ×24, first 2 shown]
.LBB78_333:
	s_or_b64 exec, exec, s[0:1]
	v_cmp_lt_i32_e32 vcc, 15, v100
	s_waitcnt vmcnt(0) lgkmcnt(0)
	s_barrier
	s_and_saveexec_b64 s[0:1], vcc
	s_cbranch_execz .LBB78_335
; %bb.334:
	v_mul_f64 v[101:102], v[123:124], v[95:96]
	v_mul_f64 v[95:96], v[121:122], v[95:96]
	v_fma_f64 v[125:126], v[121:122], v[93:94], -v[101:102]
	v_fma_f64 v[95:96], v[123:124], v[93:94], v[95:96]
	ds_read2_b64 v[101:104], v98 offset0:32 offset1:33
	s_waitcnt lgkmcnt(0)
	v_mul_f64 v[93:94], v[103:104], v[95:96]
	v_fma_f64 v[93:94], v[101:102], v[125:126], -v[93:94]
	v_mul_f64 v[101:102], v[101:102], v[95:96]
	v_add_f64 v[89:90], v[89:90], -v[93:94]
	v_fma_f64 v[101:102], v[103:104], v[125:126], v[101:102]
	v_add_f64 v[91:92], v[91:92], -v[101:102]
	ds_read2_b64 v[101:104], v98 offset0:34 offset1:35
	s_waitcnt lgkmcnt(0)
	v_mul_f64 v[93:94], v[103:104], v[95:96]
	v_fma_f64 v[93:94], v[101:102], v[125:126], -v[93:94]
	v_mul_f64 v[101:102], v[101:102], v[95:96]
	v_add_f64 v[85:86], v[85:86], -v[93:94]
	v_fma_f64 v[101:102], v[103:104], v[125:126], v[101:102]
	v_add_f64 v[87:88], v[87:88], -v[101:102]
	;; [unrolled: 8-line block ×23, first 2 shown]
	ds_read2_b64 v[101:104], v98 offset0:78 offset1:79
	s_waitcnt lgkmcnt(0)
	v_mul_f64 v[93:94], v[103:104], v[95:96]
	v_fma_f64 v[93:94], v[101:102], v[125:126], -v[93:94]
	v_mul_f64 v[101:102], v[101:102], v[95:96]
	v_add_f64 v[117:118], v[117:118], -v[93:94]
	v_fma_f64 v[101:102], v[103:104], v[125:126], v[101:102]
	v_mov_b32_e32 v93, v125
	v_mov_b32_e32 v94, v126
	v_add_f64 v[119:120], v[119:120], -v[101:102]
.LBB78_335:
	s_or_b64 exec, exec, s[0:1]
	v_lshl_add_u32 v101, v100, 4, v98
	s_barrier
	ds_write2_b64 v101, v[89:90], v[91:92] offset1:1
	s_waitcnt lgkmcnt(0)
	s_barrier
	ds_read2_b64 v[121:124], v98 offset0:32 offset1:33
	s_cmp_lt_i32 s3, 18
	v_mov_b32_e32 v101, 16
	s_cbranch_scc1 .LBB78_338
; %bb.336:
	v_add_u32_e32 v102, 0x110, v98
	s_mov_b32 s0, 17
	v_mov_b32_e32 v101, 16
.LBB78_337:                             ; =>This Inner Loop Header: Depth=1
	s_waitcnt lgkmcnt(0)
	v_cmp_gt_f64_e32 vcc, 0, v[121:122]
	v_xor_b32_e32 v107, 0x80000000, v122
	ds_read2_b64 v[103:106], v102 offset1:1
	v_xor_b32_e32 v109, 0x80000000, v124
	v_add_u32_e32 v102, 16, v102
	s_waitcnt lgkmcnt(0)
	v_xor_b32_e32 v111, 0x80000000, v106
	v_cndmask_b32_e32 v108, v122, v107, vcc
	v_cmp_gt_f64_e32 vcc, 0, v[123:124]
	v_mov_b32_e32 v107, v121
	v_cndmask_b32_e32 v110, v124, v109, vcc
	v_cmp_gt_f64_e32 vcc, 0, v[103:104]
	v_mov_b32_e32 v109, v123
	v_add_f64 v[107:108], v[107:108], v[109:110]
	v_xor_b32_e32 v109, 0x80000000, v104
	v_cndmask_b32_e32 v110, v104, v109, vcc
	v_cmp_gt_f64_e32 vcc, 0, v[105:106]
	v_mov_b32_e32 v109, v103
	v_cndmask_b32_e32 v112, v106, v111, vcc
	v_mov_b32_e32 v111, v105
	v_add_f64 v[109:110], v[109:110], v[111:112]
	v_cmp_lt_f64_e32 vcc, v[107:108], v[109:110]
	v_cndmask_b32_e32 v121, v121, v103, vcc
	v_mov_b32_e32 v103, s0
	s_add_i32 s0, s0, 1
	v_cndmask_b32_e32 v122, v122, v104, vcc
	v_cndmask_b32_e32 v124, v124, v106, vcc
	;; [unrolled: 1-line block ×4, first 2 shown]
	s_cmp_lg_u32 s3, s0
	s_cbranch_scc1 .LBB78_337
.LBB78_338:
	s_waitcnt lgkmcnt(0)
	v_cmp_eq_f64_e32 vcc, 0, v[121:122]
	v_cmp_eq_f64_e64 s[0:1], 0, v[123:124]
	s_and_b64 s[0:1], vcc, s[0:1]
	s_and_saveexec_b64 s[18:19], s[0:1]
	s_xor_b64 s[0:1], exec, s[18:19]
; %bb.339:
	v_cmp_ne_u32_e32 vcc, 0, v99
	v_cndmask_b32_e32 v99, 17, v99, vcc
; %bb.340:
	s_andn2_saveexec_b64 s[0:1], s[0:1]
	s_cbranch_execz .LBB78_346
; %bb.341:
	v_cmp_ngt_f64_e64 s[18:19], |v[121:122]|, |v[123:124]|
	s_and_saveexec_b64 s[20:21], s[18:19]
	s_xor_b64 s[18:19], exec, s[20:21]
	s_cbranch_execz .LBB78_343
; %bb.342:
	v_div_scale_f64 v[102:103], s[20:21], v[123:124], v[123:124], v[121:122]
	v_rcp_f64_e32 v[104:105], v[102:103]
	v_fma_f64 v[106:107], -v[102:103], v[104:105], 1.0
	v_fma_f64 v[104:105], v[104:105], v[106:107], v[104:105]
	v_div_scale_f64 v[106:107], vcc, v[121:122], v[123:124], v[121:122]
	v_fma_f64 v[108:109], -v[102:103], v[104:105], 1.0
	v_fma_f64 v[104:105], v[104:105], v[108:109], v[104:105]
	v_mul_f64 v[108:109], v[106:107], v[104:105]
	v_fma_f64 v[102:103], -v[102:103], v[108:109], v[106:107]
	v_div_fmas_f64 v[102:103], v[102:103], v[104:105], v[108:109]
	v_div_fixup_f64 v[102:103], v[102:103], v[123:124], v[121:122]
	v_fma_f64 v[104:105], v[121:122], v[102:103], v[123:124]
	v_div_scale_f64 v[106:107], s[20:21], v[104:105], v[104:105], 1.0
	v_div_scale_f64 v[112:113], vcc, 1.0, v[104:105], 1.0
	v_rcp_f64_e32 v[108:109], v[106:107]
	v_fma_f64 v[110:111], -v[106:107], v[108:109], 1.0
	v_fma_f64 v[108:109], v[108:109], v[110:111], v[108:109]
	v_fma_f64 v[110:111], -v[106:107], v[108:109], 1.0
	v_fma_f64 v[108:109], v[108:109], v[110:111], v[108:109]
	v_mul_f64 v[110:111], v[112:113], v[108:109]
	v_fma_f64 v[106:107], -v[106:107], v[110:111], v[112:113]
	v_div_fmas_f64 v[106:107], v[106:107], v[108:109], v[110:111]
	v_div_fixup_f64 v[123:124], v[106:107], v[104:105], 1.0
	v_mul_f64 v[121:122], v[102:103], v[123:124]
	v_xor_b32_e32 v124, 0x80000000, v124
.LBB78_343:
	s_andn2_saveexec_b64 s[18:19], s[18:19]
	s_cbranch_execz .LBB78_345
; %bb.344:
	v_div_scale_f64 v[102:103], s[20:21], v[121:122], v[121:122], v[123:124]
	v_rcp_f64_e32 v[104:105], v[102:103]
	v_fma_f64 v[106:107], -v[102:103], v[104:105], 1.0
	v_fma_f64 v[104:105], v[104:105], v[106:107], v[104:105]
	v_div_scale_f64 v[106:107], vcc, v[123:124], v[121:122], v[123:124]
	v_fma_f64 v[108:109], -v[102:103], v[104:105], 1.0
	v_fma_f64 v[104:105], v[104:105], v[108:109], v[104:105]
	v_mul_f64 v[108:109], v[106:107], v[104:105]
	v_fma_f64 v[102:103], -v[102:103], v[108:109], v[106:107]
	v_div_fmas_f64 v[102:103], v[102:103], v[104:105], v[108:109]
	v_div_fixup_f64 v[102:103], v[102:103], v[121:122], v[123:124]
	v_fma_f64 v[104:105], v[123:124], v[102:103], v[121:122]
	v_div_scale_f64 v[106:107], s[20:21], v[104:105], v[104:105], 1.0
	v_div_scale_f64 v[112:113], vcc, 1.0, v[104:105], 1.0
	v_rcp_f64_e32 v[108:109], v[106:107]
	v_fma_f64 v[110:111], -v[106:107], v[108:109], 1.0
	v_fma_f64 v[108:109], v[108:109], v[110:111], v[108:109]
	v_fma_f64 v[110:111], -v[106:107], v[108:109], 1.0
	v_fma_f64 v[108:109], v[108:109], v[110:111], v[108:109]
	v_mul_f64 v[110:111], v[112:113], v[108:109]
	v_fma_f64 v[106:107], -v[106:107], v[110:111], v[112:113]
	v_div_fmas_f64 v[106:107], v[106:107], v[108:109], v[110:111]
	v_div_fixup_f64 v[121:122], v[106:107], v[104:105], 1.0
	v_mul_f64 v[123:124], v[102:103], -v[121:122]
.LBB78_345:
	s_or_b64 exec, exec, s[18:19]
.LBB78_346:
	s_or_b64 exec, exec, s[0:1]
	v_cmp_ne_u32_e32 vcc, v100, v101
	s_and_saveexec_b64 s[0:1], vcc
	s_xor_b64 s[0:1], exec, s[0:1]
	s_cbranch_execz .LBB78_352
; %bb.347:
	v_cmp_eq_u32_e32 vcc, 16, v100
	s_and_saveexec_b64 s[18:19], vcc
	s_cbranch_execz .LBB78_351
; %bb.348:
	v_cmp_ne_u32_e32 vcc, 16, v101
	s_xor_b64 s[20:21], s[6:7], -1
	s_and_b64 s[22:23], s[20:21], vcc
	s_and_saveexec_b64 s[20:21], s[22:23]
	s_cbranch_execz .LBB78_350
; %bb.349:
	v_ashrrev_i32_e32 v102, 31, v101
	v_lshlrev_b64 v[102:103], 2, v[101:102]
	v_add_co_u32_e32 v102, vcc, v115, v102
	v_addc_co_u32_e32 v103, vcc, v116, v103, vcc
	global_load_dword v0, v[102:103], off
	global_load_dword v100, v[115:116], off offset:64
	s_waitcnt vmcnt(1)
	global_store_dword v[115:116], v0, off offset:64
	s_waitcnt vmcnt(1)
	global_store_dword v[102:103], v100, off
.LBB78_350:
	s_or_b64 exec, exec, s[20:21]
	v_mov_b32_e32 v100, v101
	v_mov_b32_e32 v0, v101
.LBB78_351:
	s_or_b64 exec, exec, s[18:19]
.LBB78_352:
	s_andn2_saveexec_b64 s[0:1], s[0:1]
	s_cbranch_execz .LBB78_354
; %bb.353:
	v_mov_b32_e32 v100, 16
	ds_write2_b64 v98, v[85:86], v[87:88] offset0:34 offset1:35
	ds_write2_b64 v98, v[81:82], v[83:84] offset0:36 offset1:37
	;; [unrolled: 1-line block ×23, first 2 shown]
.LBB78_354:
	s_or_b64 exec, exec, s[0:1]
	v_cmp_lt_i32_e32 vcc, 16, v100
	s_waitcnt vmcnt(0) lgkmcnt(0)
	s_barrier
	s_and_saveexec_b64 s[0:1], vcc
	s_cbranch_execz .LBB78_356
; %bb.355:
	v_mul_f64 v[101:102], v[123:124], v[91:92]
	v_mul_f64 v[91:92], v[121:122], v[91:92]
	v_fma_f64 v[125:126], v[121:122], v[89:90], -v[101:102]
	v_fma_f64 v[91:92], v[123:124], v[89:90], v[91:92]
	ds_read2_b64 v[101:104], v98 offset0:34 offset1:35
	s_waitcnt lgkmcnt(0)
	v_mul_f64 v[89:90], v[103:104], v[91:92]
	v_fma_f64 v[89:90], v[101:102], v[125:126], -v[89:90]
	v_mul_f64 v[101:102], v[101:102], v[91:92]
	v_add_f64 v[85:86], v[85:86], -v[89:90]
	v_fma_f64 v[101:102], v[103:104], v[125:126], v[101:102]
	v_add_f64 v[87:88], v[87:88], -v[101:102]
	ds_read2_b64 v[101:104], v98 offset0:36 offset1:37
	s_waitcnt lgkmcnt(0)
	v_mul_f64 v[89:90], v[103:104], v[91:92]
	v_fma_f64 v[89:90], v[101:102], v[125:126], -v[89:90]
	v_mul_f64 v[101:102], v[101:102], v[91:92]
	v_add_f64 v[81:82], v[81:82], -v[89:90]
	v_fma_f64 v[101:102], v[103:104], v[125:126], v[101:102]
	v_add_f64 v[83:84], v[83:84], -v[101:102]
	;; [unrolled: 8-line block ×22, first 2 shown]
	ds_read2_b64 v[101:104], v98 offset0:78 offset1:79
	s_waitcnt lgkmcnt(0)
	v_mul_f64 v[89:90], v[103:104], v[91:92]
	v_fma_f64 v[89:90], v[101:102], v[125:126], -v[89:90]
	v_mul_f64 v[101:102], v[101:102], v[91:92]
	v_add_f64 v[117:118], v[117:118], -v[89:90]
	v_fma_f64 v[101:102], v[103:104], v[125:126], v[101:102]
	v_mov_b32_e32 v89, v125
	v_mov_b32_e32 v90, v126
	v_add_f64 v[119:120], v[119:120], -v[101:102]
.LBB78_356:
	s_or_b64 exec, exec, s[0:1]
	v_lshl_add_u32 v101, v100, 4, v98
	s_barrier
	ds_write2_b64 v101, v[85:86], v[87:88] offset1:1
	s_waitcnt lgkmcnt(0)
	s_barrier
	ds_read2_b64 v[121:124], v98 offset0:34 offset1:35
	s_cmp_lt_i32 s3, 19
	v_mov_b32_e32 v101, 17
	s_cbranch_scc1 .LBB78_359
; %bb.357:
	v_add_u32_e32 v102, 0x120, v98
	s_mov_b32 s0, 18
	v_mov_b32_e32 v101, 17
.LBB78_358:                             ; =>This Inner Loop Header: Depth=1
	s_waitcnt lgkmcnt(0)
	v_cmp_gt_f64_e32 vcc, 0, v[121:122]
	v_xor_b32_e32 v107, 0x80000000, v122
	ds_read2_b64 v[103:106], v102 offset1:1
	v_xor_b32_e32 v109, 0x80000000, v124
	v_add_u32_e32 v102, 16, v102
	s_waitcnt lgkmcnt(0)
	v_xor_b32_e32 v111, 0x80000000, v106
	v_cndmask_b32_e32 v108, v122, v107, vcc
	v_cmp_gt_f64_e32 vcc, 0, v[123:124]
	v_mov_b32_e32 v107, v121
	v_cndmask_b32_e32 v110, v124, v109, vcc
	v_cmp_gt_f64_e32 vcc, 0, v[103:104]
	v_mov_b32_e32 v109, v123
	v_add_f64 v[107:108], v[107:108], v[109:110]
	v_xor_b32_e32 v109, 0x80000000, v104
	v_cndmask_b32_e32 v110, v104, v109, vcc
	v_cmp_gt_f64_e32 vcc, 0, v[105:106]
	v_mov_b32_e32 v109, v103
	v_cndmask_b32_e32 v112, v106, v111, vcc
	v_mov_b32_e32 v111, v105
	v_add_f64 v[109:110], v[109:110], v[111:112]
	v_cmp_lt_f64_e32 vcc, v[107:108], v[109:110]
	v_cndmask_b32_e32 v121, v121, v103, vcc
	v_mov_b32_e32 v103, s0
	s_add_i32 s0, s0, 1
	v_cndmask_b32_e32 v122, v122, v104, vcc
	v_cndmask_b32_e32 v124, v124, v106, vcc
	;; [unrolled: 1-line block ×4, first 2 shown]
	s_cmp_lg_u32 s3, s0
	s_cbranch_scc1 .LBB78_358
.LBB78_359:
	s_waitcnt lgkmcnt(0)
	v_cmp_eq_f64_e32 vcc, 0, v[121:122]
	v_cmp_eq_f64_e64 s[0:1], 0, v[123:124]
	s_and_b64 s[0:1], vcc, s[0:1]
	s_and_saveexec_b64 s[18:19], s[0:1]
	s_xor_b64 s[0:1], exec, s[18:19]
; %bb.360:
	v_cmp_ne_u32_e32 vcc, 0, v99
	v_cndmask_b32_e32 v99, 18, v99, vcc
; %bb.361:
	s_andn2_saveexec_b64 s[0:1], s[0:1]
	s_cbranch_execz .LBB78_367
; %bb.362:
	v_cmp_ngt_f64_e64 s[18:19], |v[121:122]|, |v[123:124]|
	s_and_saveexec_b64 s[20:21], s[18:19]
	s_xor_b64 s[18:19], exec, s[20:21]
	s_cbranch_execz .LBB78_364
; %bb.363:
	v_div_scale_f64 v[102:103], s[20:21], v[123:124], v[123:124], v[121:122]
	v_rcp_f64_e32 v[104:105], v[102:103]
	v_fma_f64 v[106:107], -v[102:103], v[104:105], 1.0
	v_fma_f64 v[104:105], v[104:105], v[106:107], v[104:105]
	v_div_scale_f64 v[106:107], vcc, v[121:122], v[123:124], v[121:122]
	v_fma_f64 v[108:109], -v[102:103], v[104:105], 1.0
	v_fma_f64 v[104:105], v[104:105], v[108:109], v[104:105]
	v_mul_f64 v[108:109], v[106:107], v[104:105]
	v_fma_f64 v[102:103], -v[102:103], v[108:109], v[106:107]
	v_div_fmas_f64 v[102:103], v[102:103], v[104:105], v[108:109]
	v_div_fixup_f64 v[102:103], v[102:103], v[123:124], v[121:122]
	v_fma_f64 v[104:105], v[121:122], v[102:103], v[123:124]
	v_div_scale_f64 v[106:107], s[20:21], v[104:105], v[104:105], 1.0
	v_div_scale_f64 v[112:113], vcc, 1.0, v[104:105], 1.0
	v_rcp_f64_e32 v[108:109], v[106:107]
	v_fma_f64 v[110:111], -v[106:107], v[108:109], 1.0
	v_fma_f64 v[108:109], v[108:109], v[110:111], v[108:109]
	v_fma_f64 v[110:111], -v[106:107], v[108:109], 1.0
	v_fma_f64 v[108:109], v[108:109], v[110:111], v[108:109]
	v_mul_f64 v[110:111], v[112:113], v[108:109]
	v_fma_f64 v[106:107], -v[106:107], v[110:111], v[112:113]
	v_div_fmas_f64 v[106:107], v[106:107], v[108:109], v[110:111]
	v_div_fixup_f64 v[123:124], v[106:107], v[104:105], 1.0
	v_mul_f64 v[121:122], v[102:103], v[123:124]
	v_xor_b32_e32 v124, 0x80000000, v124
.LBB78_364:
	s_andn2_saveexec_b64 s[18:19], s[18:19]
	s_cbranch_execz .LBB78_366
; %bb.365:
	v_div_scale_f64 v[102:103], s[20:21], v[121:122], v[121:122], v[123:124]
	v_rcp_f64_e32 v[104:105], v[102:103]
	v_fma_f64 v[106:107], -v[102:103], v[104:105], 1.0
	v_fma_f64 v[104:105], v[104:105], v[106:107], v[104:105]
	v_div_scale_f64 v[106:107], vcc, v[123:124], v[121:122], v[123:124]
	v_fma_f64 v[108:109], -v[102:103], v[104:105], 1.0
	v_fma_f64 v[104:105], v[104:105], v[108:109], v[104:105]
	v_mul_f64 v[108:109], v[106:107], v[104:105]
	v_fma_f64 v[102:103], -v[102:103], v[108:109], v[106:107]
	v_div_fmas_f64 v[102:103], v[102:103], v[104:105], v[108:109]
	v_div_fixup_f64 v[102:103], v[102:103], v[121:122], v[123:124]
	v_fma_f64 v[104:105], v[123:124], v[102:103], v[121:122]
	v_div_scale_f64 v[106:107], s[20:21], v[104:105], v[104:105], 1.0
	v_div_scale_f64 v[112:113], vcc, 1.0, v[104:105], 1.0
	v_rcp_f64_e32 v[108:109], v[106:107]
	v_fma_f64 v[110:111], -v[106:107], v[108:109], 1.0
	v_fma_f64 v[108:109], v[108:109], v[110:111], v[108:109]
	v_fma_f64 v[110:111], -v[106:107], v[108:109], 1.0
	v_fma_f64 v[108:109], v[108:109], v[110:111], v[108:109]
	v_mul_f64 v[110:111], v[112:113], v[108:109]
	v_fma_f64 v[106:107], -v[106:107], v[110:111], v[112:113]
	v_div_fmas_f64 v[106:107], v[106:107], v[108:109], v[110:111]
	v_div_fixup_f64 v[121:122], v[106:107], v[104:105], 1.0
	v_mul_f64 v[123:124], v[102:103], -v[121:122]
.LBB78_366:
	s_or_b64 exec, exec, s[18:19]
.LBB78_367:
	s_or_b64 exec, exec, s[0:1]
	v_cmp_ne_u32_e32 vcc, v100, v101
	s_and_saveexec_b64 s[0:1], vcc
	s_xor_b64 s[0:1], exec, s[0:1]
	s_cbranch_execz .LBB78_373
; %bb.368:
	v_cmp_eq_u32_e32 vcc, 17, v100
	s_and_saveexec_b64 s[18:19], vcc
	s_cbranch_execz .LBB78_372
; %bb.369:
	v_cmp_ne_u32_e32 vcc, 17, v101
	s_xor_b64 s[20:21], s[6:7], -1
	s_and_b64 s[22:23], s[20:21], vcc
	s_and_saveexec_b64 s[20:21], s[22:23]
	s_cbranch_execz .LBB78_371
; %bb.370:
	v_ashrrev_i32_e32 v102, 31, v101
	v_lshlrev_b64 v[102:103], 2, v[101:102]
	v_add_co_u32_e32 v102, vcc, v115, v102
	v_addc_co_u32_e32 v103, vcc, v116, v103, vcc
	global_load_dword v0, v[102:103], off
	global_load_dword v100, v[115:116], off offset:68
	s_waitcnt vmcnt(1)
	global_store_dword v[115:116], v0, off offset:68
	s_waitcnt vmcnt(1)
	global_store_dword v[102:103], v100, off
.LBB78_371:
	s_or_b64 exec, exec, s[20:21]
	v_mov_b32_e32 v100, v101
	v_mov_b32_e32 v0, v101
.LBB78_372:
	s_or_b64 exec, exec, s[18:19]
.LBB78_373:
	s_andn2_saveexec_b64 s[0:1], s[0:1]
	s_cbranch_execz .LBB78_375
; %bb.374:
	v_mov_b32_e32 v100, 17
	ds_write2_b64 v98, v[81:82], v[83:84] offset0:36 offset1:37
	ds_write2_b64 v98, v[77:78], v[79:80] offset0:38 offset1:39
	;; [unrolled: 1-line block ×22, first 2 shown]
.LBB78_375:
	s_or_b64 exec, exec, s[0:1]
	v_cmp_lt_i32_e32 vcc, 17, v100
	s_waitcnt vmcnt(0) lgkmcnt(0)
	s_barrier
	s_and_saveexec_b64 s[0:1], vcc
	s_cbranch_execz .LBB78_377
; %bb.376:
	v_mul_f64 v[101:102], v[123:124], v[87:88]
	v_mul_f64 v[87:88], v[121:122], v[87:88]
	v_fma_f64 v[125:126], v[121:122], v[85:86], -v[101:102]
	v_fma_f64 v[87:88], v[123:124], v[85:86], v[87:88]
	ds_read2_b64 v[101:104], v98 offset0:36 offset1:37
	s_waitcnt lgkmcnt(0)
	v_mul_f64 v[85:86], v[103:104], v[87:88]
	v_fma_f64 v[85:86], v[101:102], v[125:126], -v[85:86]
	v_mul_f64 v[101:102], v[101:102], v[87:88]
	v_add_f64 v[81:82], v[81:82], -v[85:86]
	v_fma_f64 v[101:102], v[103:104], v[125:126], v[101:102]
	v_add_f64 v[83:84], v[83:84], -v[101:102]
	ds_read2_b64 v[101:104], v98 offset0:38 offset1:39
	s_waitcnt lgkmcnt(0)
	v_mul_f64 v[85:86], v[103:104], v[87:88]
	v_fma_f64 v[85:86], v[101:102], v[125:126], -v[85:86]
	v_mul_f64 v[101:102], v[101:102], v[87:88]
	v_add_f64 v[77:78], v[77:78], -v[85:86]
	v_fma_f64 v[101:102], v[103:104], v[125:126], v[101:102]
	v_add_f64 v[79:80], v[79:80], -v[101:102]
	;; [unrolled: 8-line block ×21, first 2 shown]
	ds_read2_b64 v[101:104], v98 offset0:78 offset1:79
	s_waitcnt lgkmcnt(0)
	v_mul_f64 v[85:86], v[103:104], v[87:88]
	v_fma_f64 v[85:86], v[101:102], v[125:126], -v[85:86]
	v_mul_f64 v[101:102], v[101:102], v[87:88]
	v_add_f64 v[117:118], v[117:118], -v[85:86]
	v_fma_f64 v[101:102], v[103:104], v[125:126], v[101:102]
	v_mov_b32_e32 v85, v125
	v_mov_b32_e32 v86, v126
	v_add_f64 v[119:120], v[119:120], -v[101:102]
.LBB78_377:
	s_or_b64 exec, exec, s[0:1]
	v_lshl_add_u32 v101, v100, 4, v98
	s_barrier
	ds_write2_b64 v101, v[81:82], v[83:84] offset1:1
	s_waitcnt lgkmcnt(0)
	s_barrier
	ds_read2_b64 v[121:124], v98 offset0:36 offset1:37
	s_cmp_lt_i32 s3, 20
	v_mov_b32_e32 v101, 18
	s_cbranch_scc1 .LBB78_380
; %bb.378:
	v_add_u32_e32 v102, 0x130, v98
	s_mov_b32 s0, 19
	v_mov_b32_e32 v101, 18
.LBB78_379:                             ; =>This Inner Loop Header: Depth=1
	s_waitcnt lgkmcnt(0)
	v_cmp_gt_f64_e32 vcc, 0, v[121:122]
	v_xor_b32_e32 v107, 0x80000000, v122
	ds_read2_b64 v[103:106], v102 offset1:1
	v_xor_b32_e32 v109, 0x80000000, v124
	v_add_u32_e32 v102, 16, v102
	s_waitcnt lgkmcnt(0)
	v_xor_b32_e32 v111, 0x80000000, v106
	v_cndmask_b32_e32 v108, v122, v107, vcc
	v_cmp_gt_f64_e32 vcc, 0, v[123:124]
	v_mov_b32_e32 v107, v121
	v_cndmask_b32_e32 v110, v124, v109, vcc
	v_cmp_gt_f64_e32 vcc, 0, v[103:104]
	v_mov_b32_e32 v109, v123
	v_add_f64 v[107:108], v[107:108], v[109:110]
	v_xor_b32_e32 v109, 0x80000000, v104
	v_cndmask_b32_e32 v110, v104, v109, vcc
	v_cmp_gt_f64_e32 vcc, 0, v[105:106]
	v_mov_b32_e32 v109, v103
	v_cndmask_b32_e32 v112, v106, v111, vcc
	v_mov_b32_e32 v111, v105
	v_add_f64 v[109:110], v[109:110], v[111:112]
	v_cmp_lt_f64_e32 vcc, v[107:108], v[109:110]
	v_cndmask_b32_e32 v121, v121, v103, vcc
	v_mov_b32_e32 v103, s0
	s_add_i32 s0, s0, 1
	v_cndmask_b32_e32 v122, v122, v104, vcc
	v_cndmask_b32_e32 v124, v124, v106, vcc
	;; [unrolled: 1-line block ×4, first 2 shown]
	s_cmp_lg_u32 s3, s0
	s_cbranch_scc1 .LBB78_379
.LBB78_380:
	s_waitcnt lgkmcnt(0)
	v_cmp_eq_f64_e32 vcc, 0, v[121:122]
	v_cmp_eq_f64_e64 s[0:1], 0, v[123:124]
	s_and_b64 s[0:1], vcc, s[0:1]
	s_and_saveexec_b64 s[18:19], s[0:1]
	s_xor_b64 s[0:1], exec, s[18:19]
; %bb.381:
	v_cmp_ne_u32_e32 vcc, 0, v99
	v_cndmask_b32_e32 v99, 19, v99, vcc
; %bb.382:
	s_andn2_saveexec_b64 s[0:1], s[0:1]
	s_cbranch_execz .LBB78_388
; %bb.383:
	v_cmp_ngt_f64_e64 s[18:19], |v[121:122]|, |v[123:124]|
	s_and_saveexec_b64 s[20:21], s[18:19]
	s_xor_b64 s[18:19], exec, s[20:21]
	s_cbranch_execz .LBB78_385
; %bb.384:
	v_div_scale_f64 v[102:103], s[20:21], v[123:124], v[123:124], v[121:122]
	v_rcp_f64_e32 v[104:105], v[102:103]
	v_fma_f64 v[106:107], -v[102:103], v[104:105], 1.0
	v_fma_f64 v[104:105], v[104:105], v[106:107], v[104:105]
	v_div_scale_f64 v[106:107], vcc, v[121:122], v[123:124], v[121:122]
	v_fma_f64 v[108:109], -v[102:103], v[104:105], 1.0
	v_fma_f64 v[104:105], v[104:105], v[108:109], v[104:105]
	v_mul_f64 v[108:109], v[106:107], v[104:105]
	v_fma_f64 v[102:103], -v[102:103], v[108:109], v[106:107]
	v_div_fmas_f64 v[102:103], v[102:103], v[104:105], v[108:109]
	v_div_fixup_f64 v[102:103], v[102:103], v[123:124], v[121:122]
	v_fma_f64 v[104:105], v[121:122], v[102:103], v[123:124]
	v_div_scale_f64 v[106:107], s[20:21], v[104:105], v[104:105], 1.0
	v_div_scale_f64 v[112:113], vcc, 1.0, v[104:105], 1.0
	v_rcp_f64_e32 v[108:109], v[106:107]
	v_fma_f64 v[110:111], -v[106:107], v[108:109], 1.0
	v_fma_f64 v[108:109], v[108:109], v[110:111], v[108:109]
	v_fma_f64 v[110:111], -v[106:107], v[108:109], 1.0
	v_fma_f64 v[108:109], v[108:109], v[110:111], v[108:109]
	v_mul_f64 v[110:111], v[112:113], v[108:109]
	v_fma_f64 v[106:107], -v[106:107], v[110:111], v[112:113]
	v_div_fmas_f64 v[106:107], v[106:107], v[108:109], v[110:111]
	v_div_fixup_f64 v[123:124], v[106:107], v[104:105], 1.0
	v_mul_f64 v[121:122], v[102:103], v[123:124]
	v_xor_b32_e32 v124, 0x80000000, v124
.LBB78_385:
	s_andn2_saveexec_b64 s[18:19], s[18:19]
	s_cbranch_execz .LBB78_387
; %bb.386:
	v_div_scale_f64 v[102:103], s[20:21], v[121:122], v[121:122], v[123:124]
	v_rcp_f64_e32 v[104:105], v[102:103]
	v_fma_f64 v[106:107], -v[102:103], v[104:105], 1.0
	v_fma_f64 v[104:105], v[104:105], v[106:107], v[104:105]
	v_div_scale_f64 v[106:107], vcc, v[123:124], v[121:122], v[123:124]
	v_fma_f64 v[108:109], -v[102:103], v[104:105], 1.0
	v_fma_f64 v[104:105], v[104:105], v[108:109], v[104:105]
	v_mul_f64 v[108:109], v[106:107], v[104:105]
	v_fma_f64 v[102:103], -v[102:103], v[108:109], v[106:107]
	v_div_fmas_f64 v[102:103], v[102:103], v[104:105], v[108:109]
	v_div_fixup_f64 v[102:103], v[102:103], v[121:122], v[123:124]
	v_fma_f64 v[104:105], v[123:124], v[102:103], v[121:122]
	v_div_scale_f64 v[106:107], s[20:21], v[104:105], v[104:105], 1.0
	v_div_scale_f64 v[112:113], vcc, 1.0, v[104:105], 1.0
	v_rcp_f64_e32 v[108:109], v[106:107]
	v_fma_f64 v[110:111], -v[106:107], v[108:109], 1.0
	v_fma_f64 v[108:109], v[108:109], v[110:111], v[108:109]
	v_fma_f64 v[110:111], -v[106:107], v[108:109], 1.0
	v_fma_f64 v[108:109], v[108:109], v[110:111], v[108:109]
	v_mul_f64 v[110:111], v[112:113], v[108:109]
	v_fma_f64 v[106:107], -v[106:107], v[110:111], v[112:113]
	v_div_fmas_f64 v[106:107], v[106:107], v[108:109], v[110:111]
	v_div_fixup_f64 v[121:122], v[106:107], v[104:105], 1.0
	v_mul_f64 v[123:124], v[102:103], -v[121:122]
.LBB78_387:
	s_or_b64 exec, exec, s[18:19]
.LBB78_388:
	s_or_b64 exec, exec, s[0:1]
	v_cmp_ne_u32_e32 vcc, v100, v101
	s_and_saveexec_b64 s[0:1], vcc
	s_xor_b64 s[0:1], exec, s[0:1]
	s_cbranch_execz .LBB78_394
; %bb.389:
	v_cmp_eq_u32_e32 vcc, 18, v100
	s_and_saveexec_b64 s[18:19], vcc
	s_cbranch_execz .LBB78_393
; %bb.390:
	v_cmp_ne_u32_e32 vcc, 18, v101
	s_xor_b64 s[20:21], s[6:7], -1
	s_and_b64 s[22:23], s[20:21], vcc
	s_and_saveexec_b64 s[20:21], s[22:23]
	s_cbranch_execz .LBB78_392
; %bb.391:
	v_ashrrev_i32_e32 v102, 31, v101
	v_lshlrev_b64 v[102:103], 2, v[101:102]
	v_add_co_u32_e32 v102, vcc, v115, v102
	v_addc_co_u32_e32 v103, vcc, v116, v103, vcc
	global_load_dword v0, v[102:103], off
	global_load_dword v100, v[115:116], off offset:72
	s_waitcnt vmcnt(1)
	global_store_dword v[115:116], v0, off offset:72
	s_waitcnt vmcnt(1)
	global_store_dword v[102:103], v100, off
.LBB78_392:
	s_or_b64 exec, exec, s[20:21]
	v_mov_b32_e32 v100, v101
	v_mov_b32_e32 v0, v101
.LBB78_393:
	s_or_b64 exec, exec, s[18:19]
.LBB78_394:
	s_andn2_saveexec_b64 s[0:1], s[0:1]
	s_cbranch_execz .LBB78_396
; %bb.395:
	v_mov_b32_e32 v100, 18
	ds_write2_b64 v98, v[77:78], v[79:80] offset0:38 offset1:39
	ds_write2_b64 v98, v[73:74], v[75:76] offset0:40 offset1:41
	;; [unrolled: 1-line block ×21, first 2 shown]
.LBB78_396:
	s_or_b64 exec, exec, s[0:1]
	v_cmp_lt_i32_e32 vcc, 18, v100
	s_waitcnt vmcnt(0) lgkmcnt(0)
	s_barrier
	s_and_saveexec_b64 s[0:1], vcc
	s_cbranch_execz .LBB78_398
; %bb.397:
	v_mul_f64 v[101:102], v[123:124], v[83:84]
	v_mul_f64 v[83:84], v[121:122], v[83:84]
	v_fma_f64 v[125:126], v[121:122], v[81:82], -v[101:102]
	v_fma_f64 v[83:84], v[123:124], v[81:82], v[83:84]
	ds_read2_b64 v[101:104], v98 offset0:38 offset1:39
	s_waitcnt lgkmcnt(0)
	v_mul_f64 v[81:82], v[103:104], v[83:84]
	v_fma_f64 v[81:82], v[101:102], v[125:126], -v[81:82]
	v_mul_f64 v[101:102], v[101:102], v[83:84]
	v_add_f64 v[77:78], v[77:78], -v[81:82]
	v_fma_f64 v[101:102], v[103:104], v[125:126], v[101:102]
	v_add_f64 v[79:80], v[79:80], -v[101:102]
	ds_read2_b64 v[101:104], v98 offset0:40 offset1:41
	s_waitcnt lgkmcnt(0)
	v_mul_f64 v[81:82], v[103:104], v[83:84]
	v_fma_f64 v[81:82], v[101:102], v[125:126], -v[81:82]
	v_mul_f64 v[101:102], v[101:102], v[83:84]
	v_add_f64 v[73:74], v[73:74], -v[81:82]
	v_fma_f64 v[101:102], v[103:104], v[125:126], v[101:102]
	v_add_f64 v[75:76], v[75:76], -v[101:102]
	;; [unrolled: 8-line block ×20, first 2 shown]
	ds_read2_b64 v[101:104], v98 offset0:78 offset1:79
	s_waitcnt lgkmcnt(0)
	v_mul_f64 v[81:82], v[103:104], v[83:84]
	v_fma_f64 v[81:82], v[101:102], v[125:126], -v[81:82]
	v_mul_f64 v[101:102], v[101:102], v[83:84]
	v_add_f64 v[117:118], v[117:118], -v[81:82]
	v_fma_f64 v[101:102], v[103:104], v[125:126], v[101:102]
	v_mov_b32_e32 v81, v125
	v_mov_b32_e32 v82, v126
	v_add_f64 v[119:120], v[119:120], -v[101:102]
.LBB78_398:
	s_or_b64 exec, exec, s[0:1]
	v_lshl_add_u32 v101, v100, 4, v98
	s_barrier
	ds_write2_b64 v101, v[77:78], v[79:80] offset1:1
	s_waitcnt lgkmcnt(0)
	s_barrier
	ds_read2_b64 v[121:124], v98 offset0:38 offset1:39
	s_cmp_lt_i32 s3, 21
	v_mov_b32_e32 v101, 19
	s_cbranch_scc1 .LBB78_401
; %bb.399:
	v_add_u32_e32 v102, 0x140, v98
	s_mov_b32 s0, 20
	v_mov_b32_e32 v101, 19
.LBB78_400:                             ; =>This Inner Loop Header: Depth=1
	s_waitcnt lgkmcnt(0)
	v_cmp_gt_f64_e32 vcc, 0, v[121:122]
	v_xor_b32_e32 v107, 0x80000000, v122
	ds_read2_b64 v[103:106], v102 offset1:1
	v_xor_b32_e32 v109, 0x80000000, v124
	v_add_u32_e32 v102, 16, v102
	s_waitcnt lgkmcnt(0)
	v_xor_b32_e32 v111, 0x80000000, v106
	v_cndmask_b32_e32 v108, v122, v107, vcc
	v_cmp_gt_f64_e32 vcc, 0, v[123:124]
	v_mov_b32_e32 v107, v121
	v_cndmask_b32_e32 v110, v124, v109, vcc
	v_cmp_gt_f64_e32 vcc, 0, v[103:104]
	v_mov_b32_e32 v109, v123
	v_add_f64 v[107:108], v[107:108], v[109:110]
	v_xor_b32_e32 v109, 0x80000000, v104
	v_cndmask_b32_e32 v110, v104, v109, vcc
	v_cmp_gt_f64_e32 vcc, 0, v[105:106]
	v_mov_b32_e32 v109, v103
	v_cndmask_b32_e32 v112, v106, v111, vcc
	v_mov_b32_e32 v111, v105
	v_add_f64 v[109:110], v[109:110], v[111:112]
	v_cmp_lt_f64_e32 vcc, v[107:108], v[109:110]
	v_cndmask_b32_e32 v121, v121, v103, vcc
	v_mov_b32_e32 v103, s0
	s_add_i32 s0, s0, 1
	v_cndmask_b32_e32 v122, v122, v104, vcc
	v_cndmask_b32_e32 v124, v124, v106, vcc
	;; [unrolled: 1-line block ×4, first 2 shown]
	s_cmp_lg_u32 s3, s0
	s_cbranch_scc1 .LBB78_400
.LBB78_401:
	s_waitcnt lgkmcnt(0)
	v_cmp_eq_f64_e32 vcc, 0, v[121:122]
	v_cmp_eq_f64_e64 s[0:1], 0, v[123:124]
	s_and_b64 s[0:1], vcc, s[0:1]
	s_and_saveexec_b64 s[18:19], s[0:1]
	s_xor_b64 s[0:1], exec, s[18:19]
; %bb.402:
	v_cmp_ne_u32_e32 vcc, 0, v99
	v_cndmask_b32_e32 v99, 20, v99, vcc
; %bb.403:
	s_andn2_saveexec_b64 s[0:1], s[0:1]
	s_cbranch_execz .LBB78_409
; %bb.404:
	v_cmp_ngt_f64_e64 s[18:19], |v[121:122]|, |v[123:124]|
	s_and_saveexec_b64 s[20:21], s[18:19]
	s_xor_b64 s[18:19], exec, s[20:21]
	s_cbranch_execz .LBB78_406
; %bb.405:
	v_div_scale_f64 v[102:103], s[20:21], v[123:124], v[123:124], v[121:122]
	v_rcp_f64_e32 v[104:105], v[102:103]
	v_fma_f64 v[106:107], -v[102:103], v[104:105], 1.0
	v_fma_f64 v[104:105], v[104:105], v[106:107], v[104:105]
	v_div_scale_f64 v[106:107], vcc, v[121:122], v[123:124], v[121:122]
	v_fma_f64 v[108:109], -v[102:103], v[104:105], 1.0
	v_fma_f64 v[104:105], v[104:105], v[108:109], v[104:105]
	v_mul_f64 v[108:109], v[106:107], v[104:105]
	v_fma_f64 v[102:103], -v[102:103], v[108:109], v[106:107]
	v_div_fmas_f64 v[102:103], v[102:103], v[104:105], v[108:109]
	v_div_fixup_f64 v[102:103], v[102:103], v[123:124], v[121:122]
	v_fma_f64 v[104:105], v[121:122], v[102:103], v[123:124]
	v_div_scale_f64 v[106:107], s[20:21], v[104:105], v[104:105], 1.0
	v_div_scale_f64 v[112:113], vcc, 1.0, v[104:105], 1.0
	v_rcp_f64_e32 v[108:109], v[106:107]
	v_fma_f64 v[110:111], -v[106:107], v[108:109], 1.0
	v_fma_f64 v[108:109], v[108:109], v[110:111], v[108:109]
	v_fma_f64 v[110:111], -v[106:107], v[108:109], 1.0
	v_fma_f64 v[108:109], v[108:109], v[110:111], v[108:109]
	v_mul_f64 v[110:111], v[112:113], v[108:109]
	v_fma_f64 v[106:107], -v[106:107], v[110:111], v[112:113]
	v_div_fmas_f64 v[106:107], v[106:107], v[108:109], v[110:111]
	v_div_fixup_f64 v[123:124], v[106:107], v[104:105], 1.0
	v_mul_f64 v[121:122], v[102:103], v[123:124]
	v_xor_b32_e32 v124, 0x80000000, v124
.LBB78_406:
	s_andn2_saveexec_b64 s[18:19], s[18:19]
	s_cbranch_execz .LBB78_408
; %bb.407:
	v_div_scale_f64 v[102:103], s[20:21], v[121:122], v[121:122], v[123:124]
	v_rcp_f64_e32 v[104:105], v[102:103]
	v_fma_f64 v[106:107], -v[102:103], v[104:105], 1.0
	v_fma_f64 v[104:105], v[104:105], v[106:107], v[104:105]
	v_div_scale_f64 v[106:107], vcc, v[123:124], v[121:122], v[123:124]
	v_fma_f64 v[108:109], -v[102:103], v[104:105], 1.0
	v_fma_f64 v[104:105], v[104:105], v[108:109], v[104:105]
	v_mul_f64 v[108:109], v[106:107], v[104:105]
	v_fma_f64 v[102:103], -v[102:103], v[108:109], v[106:107]
	v_div_fmas_f64 v[102:103], v[102:103], v[104:105], v[108:109]
	v_div_fixup_f64 v[102:103], v[102:103], v[121:122], v[123:124]
	v_fma_f64 v[104:105], v[123:124], v[102:103], v[121:122]
	v_div_scale_f64 v[106:107], s[20:21], v[104:105], v[104:105], 1.0
	v_div_scale_f64 v[112:113], vcc, 1.0, v[104:105], 1.0
	v_rcp_f64_e32 v[108:109], v[106:107]
	v_fma_f64 v[110:111], -v[106:107], v[108:109], 1.0
	v_fma_f64 v[108:109], v[108:109], v[110:111], v[108:109]
	v_fma_f64 v[110:111], -v[106:107], v[108:109], 1.0
	v_fma_f64 v[108:109], v[108:109], v[110:111], v[108:109]
	v_mul_f64 v[110:111], v[112:113], v[108:109]
	v_fma_f64 v[106:107], -v[106:107], v[110:111], v[112:113]
	v_div_fmas_f64 v[106:107], v[106:107], v[108:109], v[110:111]
	v_div_fixup_f64 v[121:122], v[106:107], v[104:105], 1.0
	v_mul_f64 v[123:124], v[102:103], -v[121:122]
.LBB78_408:
	s_or_b64 exec, exec, s[18:19]
.LBB78_409:
	s_or_b64 exec, exec, s[0:1]
	v_cmp_ne_u32_e32 vcc, v100, v101
	s_and_saveexec_b64 s[0:1], vcc
	s_xor_b64 s[0:1], exec, s[0:1]
	s_cbranch_execz .LBB78_415
; %bb.410:
	v_cmp_eq_u32_e32 vcc, 19, v100
	s_and_saveexec_b64 s[18:19], vcc
	s_cbranch_execz .LBB78_414
; %bb.411:
	v_cmp_ne_u32_e32 vcc, 19, v101
	s_xor_b64 s[20:21], s[6:7], -1
	s_and_b64 s[22:23], s[20:21], vcc
	s_and_saveexec_b64 s[20:21], s[22:23]
	s_cbranch_execz .LBB78_413
; %bb.412:
	v_ashrrev_i32_e32 v102, 31, v101
	v_lshlrev_b64 v[102:103], 2, v[101:102]
	v_add_co_u32_e32 v102, vcc, v115, v102
	v_addc_co_u32_e32 v103, vcc, v116, v103, vcc
	global_load_dword v0, v[102:103], off
	global_load_dword v100, v[115:116], off offset:76
	s_waitcnt vmcnt(1)
	global_store_dword v[115:116], v0, off offset:76
	s_waitcnt vmcnt(1)
	global_store_dword v[102:103], v100, off
.LBB78_413:
	s_or_b64 exec, exec, s[20:21]
	v_mov_b32_e32 v100, v101
	v_mov_b32_e32 v0, v101
.LBB78_414:
	s_or_b64 exec, exec, s[18:19]
.LBB78_415:
	s_andn2_saveexec_b64 s[0:1], s[0:1]
	s_cbranch_execz .LBB78_417
; %bb.416:
	v_mov_b32_e32 v100, 19
	ds_write2_b64 v98, v[73:74], v[75:76] offset0:40 offset1:41
	ds_write2_b64 v98, v[69:70], v[71:72] offset0:42 offset1:43
	ds_write2_b64 v98, v[65:66], v[67:68] offset0:44 offset1:45
	ds_write2_b64 v98, v[61:62], v[63:64] offset0:46 offset1:47
	ds_write2_b64 v98, v[57:58], v[59:60] offset0:48 offset1:49
	ds_write2_b64 v98, v[53:54], v[55:56] offset0:50 offset1:51
	ds_write2_b64 v98, v[49:50], v[51:52] offset0:52 offset1:53
	ds_write2_b64 v98, v[45:46], v[47:48] offset0:54 offset1:55
	ds_write2_b64 v98, v[41:42], v[43:44] offset0:56 offset1:57
	ds_write2_b64 v98, v[37:38], v[39:40] offset0:58 offset1:59
	ds_write2_b64 v98, v[33:34], v[35:36] offset0:60 offset1:61
	ds_write2_b64 v98, v[29:30], v[31:32] offset0:62 offset1:63
	ds_write2_b64 v98, v[25:26], v[27:28] offset0:64 offset1:65
	ds_write2_b64 v98, v[21:22], v[23:24] offset0:66 offset1:67
	ds_write2_b64 v98, v[17:18], v[19:20] offset0:68 offset1:69
	ds_write2_b64 v98, v[13:14], v[15:16] offset0:70 offset1:71
	ds_write2_b64 v98, v[9:10], v[11:12] offset0:72 offset1:73
	ds_write2_b64 v98, v[5:6], v[7:8] offset0:74 offset1:75
	ds_write2_b64 v98, v[1:2], v[3:4] offset0:76 offset1:77
	ds_write2_b64 v98, v[117:118], v[119:120] offset0:78 offset1:79
.LBB78_417:
	s_or_b64 exec, exec, s[0:1]
	v_cmp_lt_i32_e32 vcc, 19, v100
	s_waitcnt vmcnt(0) lgkmcnt(0)
	s_barrier
	s_and_saveexec_b64 s[0:1], vcc
	s_cbranch_execz .LBB78_419
; %bb.418:
	v_mul_f64 v[101:102], v[123:124], v[79:80]
	v_mul_f64 v[79:80], v[121:122], v[79:80]
	v_fma_f64 v[125:126], v[121:122], v[77:78], -v[101:102]
	v_fma_f64 v[79:80], v[123:124], v[77:78], v[79:80]
	ds_read2_b64 v[101:104], v98 offset0:40 offset1:41
	s_waitcnt lgkmcnt(0)
	v_mul_f64 v[77:78], v[103:104], v[79:80]
	v_fma_f64 v[77:78], v[101:102], v[125:126], -v[77:78]
	v_mul_f64 v[101:102], v[101:102], v[79:80]
	v_add_f64 v[73:74], v[73:74], -v[77:78]
	v_fma_f64 v[101:102], v[103:104], v[125:126], v[101:102]
	v_add_f64 v[75:76], v[75:76], -v[101:102]
	ds_read2_b64 v[101:104], v98 offset0:42 offset1:43
	s_waitcnt lgkmcnt(0)
	v_mul_f64 v[77:78], v[103:104], v[79:80]
	v_fma_f64 v[77:78], v[101:102], v[125:126], -v[77:78]
	v_mul_f64 v[101:102], v[101:102], v[79:80]
	v_add_f64 v[69:70], v[69:70], -v[77:78]
	v_fma_f64 v[101:102], v[103:104], v[125:126], v[101:102]
	v_add_f64 v[71:72], v[71:72], -v[101:102]
	ds_read2_b64 v[101:104], v98 offset0:44 offset1:45
	s_waitcnt lgkmcnt(0)
	v_mul_f64 v[77:78], v[103:104], v[79:80]
	v_fma_f64 v[77:78], v[101:102], v[125:126], -v[77:78]
	v_mul_f64 v[101:102], v[101:102], v[79:80]
	v_add_f64 v[65:66], v[65:66], -v[77:78]
	v_fma_f64 v[101:102], v[103:104], v[125:126], v[101:102]
	v_add_f64 v[67:68], v[67:68], -v[101:102]
	ds_read2_b64 v[101:104], v98 offset0:46 offset1:47
	s_waitcnt lgkmcnt(0)
	v_mul_f64 v[77:78], v[103:104], v[79:80]
	v_fma_f64 v[77:78], v[101:102], v[125:126], -v[77:78]
	v_mul_f64 v[101:102], v[101:102], v[79:80]
	v_add_f64 v[61:62], v[61:62], -v[77:78]
	v_fma_f64 v[101:102], v[103:104], v[125:126], v[101:102]
	v_add_f64 v[63:64], v[63:64], -v[101:102]
	ds_read2_b64 v[101:104], v98 offset0:48 offset1:49
	s_waitcnt lgkmcnt(0)
	v_mul_f64 v[77:78], v[103:104], v[79:80]
	v_fma_f64 v[77:78], v[101:102], v[125:126], -v[77:78]
	v_mul_f64 v[101:102], v[101:102], v[79:80]
	v_add_f64 v[57:58], v[57:58], -v[77:78]
	v_fma_f64 v[101:102], v[103:104], v[125:126], v[101:102]
	v_add_f64 v[59:60], v[59:60], -v[101:102]
	ds_read2_b64 v[101:104], v98 offset0:50 offset1:51
	s_waitcnt lgkmcnt(0)
	v_mul_f64 v[77:78], v[103:104], v[79:80]
	v_fma_f64 v[77:78], v[101:102], v[125:126], -v[77:78]
	v_mul_f64 v[101:102], v[101:102], v[79:80]
	v_add_f64 v[53:54], v[53:54], -v[77:78]
	v_fma_f64 v[101:102], v[103:104], v[125:126], v[101:102]
	v_add_f64 v[55:56], v[55:56], -v[101:102]
	ds_read2_b64 v[101:104], v98 offset0:52 offset1:53
	s_waitcnt lgkmcnt(0)
	v_mul_f64 v[77:78], v[103:104], v[79:80]
	v_fma_f64 v[77:78], v[101:102], v[125:126], -v[77:78]
	v_mul_f64 v[101:102], v[101:102], v[79:80]
	v_add_f64 v[49:50], v[49:50], -v[77:78]
	v_fma_f64 v[101:102], v[103:104], v[125:126], v[101:102]
	v_add_f64 v[51:52], v[51:52], -v[101:102]
	ds_read2_b64 v[101:104], v98 offset0:54 offset1:55
	s_waitcnt lgkmcnt(0)
	v_mul_f64 v[77:78], v[103:104], v[79:80]
	v_fma_f64 v[77:78], v[101:102], v[125:126], -v[77:78]
	v_mul_f64 v[101:102], v[101:102], v[79:80]
	v_add_f64 v[45:46], v[45:46], -v[77:78]
	v_fma_f64 v[101:102], v[103:104], v[125:126], v[101:102]
	v_add_f64 v[47:48], v[47:48], -v[101:102]
	ds_read2_b64 v[101:104], v98 offset0:56 offset1:57
	s_waitcnt lgkmcnt(0)
	v_mul_f64 v[77:78], v[103:104], v[79:80]
	v_fma_f64 v[77:78], v[101:102], v[125:126], -v[77:78]
	v_mul_f64 v[101:102], v[101:102], v[79:80]
	v_add_f64 v[41:42], v[41:42], -v[77:78]
	v_fma_f64 v[101:102], v[103:104], v[125:126], v[101:102]
	v_add_f64 v[43:44], v[43:44], -v[101:102]
	ds_read2_b64 v[101:104], v98 offset0:58 offset1:59
	s_waitcnt lgkmcnt(0)
	v_mul_f64 v[77:78], v[103:104], v[79:80]
	v_fma_f64 v[77:78], v[101:102], v[125:126], -v[77:78]
	v_mul_f64 v[101:102], v[101:102], v[79:80]
	v_add_f64 v[37:38], v[37:38], -v[77:78]
	v_fma_f64 v[101:102], v[103:104], v[125:126], v[101:102]
	v_add_f64 v[39:40], v[39:40], -v[101:102]
	ds_read2_b64 v[101:104], v98 offset0:60 offset1:61
	s_waitcnt lgkmcnt(0)
	v_mul_f64 v[77:78], v[103:104], v[79:80]
	v_fma_f64 v[77:78], v[101:102], v[125:126], -v[77:78]
	v_mul_f64 v[101:102], v[101:102], v[79:80]
	v_add_f64 v[33:34], v[33:34], -v[77:78]
	v_fma_f64 v[101:102], v[103:104], v[125:126], v[101:102]
	v_add_f64 v[35:36], v[35:36], -v[101:102]
	ds_read2_b64 v[101:104], v98 offset0:62 offset1:63
	s_waitcnt lgkmcnt(0)
	v_mul_f64 v[77:78], v[103:104], v[79:80]
	v_fma_f64 v[77:78], v[101:102], v[125:126], -v[77:78]
	v_mul_f64 v[101:102], v[101:102], v[79:80]
	v_add_f64 v[29:30], v[29:30], -v[77:78]
	v_fma_f64 v[101:102], v[103:104], v[125:126], v[101:102]
	v_add_f64 v[31:32], v[31:32], -v[101:102]
	ds_read2_b64 v[101:104], v98 offset0:64 offset1:65
	s_waitcnt lgkmcnt(0)
	v_mul_f64 v[77:78], v[103:104], v[79:80]
	v_fma_f64 v[77:78], v[101:102], v[125:126], -v[77:78]
	v_mul_f64 v[101:102], v[101:102], v[79:80]
	v_add_f64 v[25:26], v[25:26], -v[77:78]
	v_fma_f64 v[101:102], v[103:104], v[125:126], v[101:102]
	v_add_f64 v[27:28], v[27:28], -v[101:102]
	ds_read2_b64 v[101:104], v98 offset0:66 offset1:67
	s_waitcnt lgkmcnt(0)
	v_mul_f64 v[77:78], v[103:104], v[79:80]
	v_fma_f64 v[77:78], v[101:102], v[125:126], -v[77:78]
	v_mul_f64 v[101:102], v[101:102], v[79:80]
	v_add_f64 v[21:22], v[21:22], -v[77:78]
	v_fma_f64 v[101:102], v[103:104], v[125:126], v[101:102]
	v_add_f64 v[23:24], v[23:24], -v[101:102]
	ds_read2_b64 v[101:104], v98 offset0:68 offset1:69
	s_waitcnt lgkmcnt(0)
	v_mul_f64 v[77:78], v[103:104], v[79:80]
	v_fma_f64 v[77:78], v[101:102], v[125:126], -v[77:78]
	v_mul_f64 v[101:102], v[101:102], v[79:80]
	v_add_f64 v[17:18], v[17:18], -v[77:78]
	v_fma_f64 v[101:102], v[103:104], v[125:126], v[101:102]
	v_add_f64 v[19:20], v[19:20], -v[101:102]
	ds_read2_b64 v[101:104], v98 offset0:70 offset1:71
	s_waitcnt lgkmcnt(0)
	v_mul_f64 v[77:78], v[103:104], v[79:80]
	v_fma_f64 v[77:78], v[101:102], v[125:126], -v[77:78]
	v_mul_f64 v[101:102], v[101:102], v[79:80]
	v_add_f64 v[13:14], v[13:14], -v[77:78]
	v_fma_f64 v[101:102], v[103:104], v[125:126], v[101:102]
	v_add_f64 v[15:16], v[15:16], -v[101:102]
	ds_read2_b64 v[101:104], v98 offset0:72 offset1:73
	s_waitcnt lgkmcnt(0)
	v_mul_f64 v[77:78], v[103:104], v[79:80]
	v_fma_f64 v[77:78], v[101:102], v[125:126], -v[77:78]
	v_mul_f64 v[101:102], v[101:102], v[79:80]
	v_add_f64 v[9:10], v[9:10], -v[77:78]
	v_fma_f64 v[101:102], v[103:104], v[125:126], v[101:102]
	v_add_f64 v[11:12], v[11:12], -v[101:102]
	ds_read2_b64 v[101:104], v98 offset0:74 offset1:75
	s_waitcnt lgkmcnt(0)
	v_mul_f64 v[77:78], v[103:104], v[79:80]
	v_fma_f64 v[77:78], v[101:102], v[125:126], -v[77:78]
	v_mul_f64 v[101:102], v[101:102], v[79:80]
	v_add_f64 v[5:6], v[5:6], -v[77:78]
	v_fma_f64 v[101:102], v[103:104], v[125:126], v[101:102]
	v_add_f64 v[7:8], v[7:8], -v[101:102]
	ds_read2_b64 v[101:104], v98 offset0:76 offset1:77
	s_waitcnt lgkmcnt(0)
	v_mul_f64 v[77:78], v[103:104], v[79:80]
	v_fma_f64 v[77:78], v[101:102], v[125:126], -v[77:78]
	v_mul_f64 v[101:102], v[101:102], v[79:80]
	v_add_f64 v[1:2], v[1:2], -v[77:78]
	v_fma_f64 v[101:102], v[103:104], v[125:126], v[101:102]
	v_add_f64 v[3:4], v[3:4], -v[101:102]
	ds_read2_b64 v[101:104], v98 offset0:78 offset1:79
	s_waitcnt lgkmcnt(0)
	v_mul_f64 v[77:78], v[103:104], v[79:80]
	v_fma_f64 v[77:78], v[101:102], v[125:126], -v[77:78]
	v_mul_f64 v[101:102], v[101:102], v[79:80]
	v_add_f64 v[117:118], v[117:118], -v[77:78]
	v_fma_f64 v[101:102], v[103:104], v[125:126], v[101:102]
	v_mov_b32_e32 v77, v125
	v_mov_b32_e32 v78, v126
	v_add_f64 v[119:120], v[119:120], -v[101:102]
.LBB78_419:
	s_or_b64 exec, exec, s[0:1]
	v_lshl_add_u32 v101, v100, 4, v98
	s_barrier
	ds_write2_b64 v101, v[73:74], v[75:76] offset1:1
	s_waitcnt lgkmcnt(0)
	s_barrier
	ds_read2_b64 v[121:124], v98 offset0:40 offset1:41
	s_cmp_lt_i32 s3, 22
	v_mov_b32_e32 v101, 20
	s_cbranch_scc1 .LBB78_422
; %bb.420:
	v_add_u32_e32 v102, 0x150, v98
	s_mov_b32 s0, 21
	v_mov_b32_e32 v101, 20
.LBB78_421:                             ; =>This Inner Loop Header: Depth=1
	s_waitcnt lgkmcnt(0)
	v_cmp_gt_f64_e32 vcc, 0, v[121:122]
	v_xor_b32_e32 v107, 0x80000000, v122
	ds_read2_b64 v[103:106], v102 offset1:1
	v_xor_b32_e32 v109, 0x80000000, v124
	v_add_u32_e32 v102, 16, v102
	s_waitcnt lgkmcnt(0)
	v_xor_b32_e32 v111, 0x80000000, v106
	v_cndmask_b32_e32 v108, v122, v107, vcc
	v_cmp_gt_f64_e32 vcc, 0, v[123:124]
	v_mov_b32_e32 v107, v121
	v_cndmask_b32_e32 v110, v124, v109, vcc
	v_cmp_gt_f64_e32 vcc, 0, v[103:104]
	v_mov_b32_e32 v109, v123
	v_add_f64 v[107:108], v[107:108], v[109:110]
	v_xor_b32_e32 v109, 0x80000000, v104
	v_cndmask_b32_e32 v110, v104, v109, vcc
	v_cmp_gt_f64_e32 vcc, 0, v[105:106]
	v_mov_b32_e32 v109, v103
	v_cndmask_b32_e32 v112, v106, v111, vcc
	v_mov_b32_e32 v111, v105
	v_add_f64 v[109:110], v[109:110], v[111:112]
	v_cmp_lt_f64_e32 vcc, v[107:108], v[109:110]
	v_cndmask_b32_e32 v121, v121, v103, vcc
	v_mov_b32_e32 v103, s0
	s_add_i32 s0, s0, 1
	v_cndmask_b32_e32 v122, v122, v104, vcc
	v_cndmask_b32_e32 v124, v124, v106, vcc
	;; [unrolled: 1-line block ×4, first 2 shown]
	s_cmp_lg_u32 s3, s0
	s_cbranch_scc1 .LBB78_421
.LBB78_422:
	s_waitcnt lgkmcnt(0)
	v_cmp_eq_f64_e32 vcc, 0, v[121:122]
	v_cmp_eq_f64_e64 s[0:1], 0, v[123:124]
	s_and_b64 s[0:1], vcc, s[0:1]
	s_and_saveexec_b64 s[18:19], s[0:1]
	s_xor_b64 s[0:1], exec, s[18:19]
; %bb.423:
	v_cmp_ne_u32_e32 vcc, 0, v99
	v_cndmask_b32_e32 v99, 21, v99, vcc
; %bb.424:
	s_andn2_saveexec_b64 s[0:1], s[0:1]
	s_cbranch_execz .LBB78_430
; %bb.425:
	v_cmp_ngt_f64_e64 s[18:19], |v[121:122]|, |v[123:124]|
	s_and_saveexec_b64 s[20:21], s[18:19]
	s_xor_b64 s[18:19], exec, s[20:21]
	s_cbranch_execz .LBB78_427
; %bb.426:
	v_div_scale_f64 v[102:103], s[20:21], v[123:124], v[123:124], v[121:122]
	v_rcp_f64_e32 v[104:105], v[102:103]
	v_fma_f64 v[106:107], -v[102:103], v[104:105], 1.0
	v_fma_f64 v[104:105], v[104:105], v[106:107], v[104:105]
	v_div_scale_f64 v[106:107], vcc, v[121:122], v[123:124], v[121:122]
	v_fma_f64 v[108:109], -v[102:103], v[104:105], 1.0
	v_fma_f64 v[104:105], v[104:105], v[108:109], v[104:105]
	v_mul_f64 v[108:109], v[106:107], v[104:105]
	v_fma_f64 v[102:103], -v[102:103], v[108:109], v[106:107]
	v_div_fmas_f64 v[102:103], v[102:103], v[104:105], v[108:109]
	v_div_fixup_f64 v[102:103], v[102:103], v[123:124], v[121:122]
	v_fma_f64 v[104:105], v[121:122], v[102:103], v[123:124]
	v_div_scale_f64 v[106:107], s[20:21], v[104:105], v[104:105], 1.0
	v_div_scale_f64 v[112:113], vcc, 1.0, v[104:105], 1.0
	v_rcp_f64_e32 v[108:109], v[106:107]
	v_fma_f64 v[110:111], -v[106:107], v[108:109], 1.0
	v_fma_f64 v[108:109], v[108:109], v[110:111], v[108:109]
	v_fma_f64 v[110:111], -v[106:107], v[108:109], 1.0
	v_fma_f64 v[108:109], v[108:109], v[110:111], v[108:109]
	v_mul_f64 v[110:111], v[112:113], v[108:109]
	v_fma_f64 v[106:107], -v[106:107], v[110:111], v[112:113]
	v_div_fmas_f64 v[106:107], v[106:107], v[108:109], v[110:111]
	v_div_fixup_f64 v[123:124], v[106:107], v[104:105], 1.0
	v_mul_f64 v[121:122], v[102:103], v[123:124]
	v_xor_b32_e32 v124, 0x80000000, v124
.LBB78_427:
	s_andn2_saveexec_b64 s[18:19], s[18:19]
	s_cbranch_execz .LBB78_429
; %bb.428:
	v_div_scale_f64 v[102:103], s[20:21], v[121:122], v[121:122], v[123:124]
	v_rcp_f64_e32 v[104:105], v[102:103]
	v_fma_f64 v[106:107], -v[102:103], v[104:105], 1.0
	v_fma_f64 v[104:105], v[104:105], v[106:107], v[104:105]
	v_div_scale_f64 v[106:107], vcc, v[123:124], v[121:122], v[123:124]
	v_fma_f64 v[108:109], -v[102:103], v[104:105], 1.0
	v_fma_f64 v[104:105], v[104:105], v[108:109], v[104:105]
	v_mul_f64 v[108:109], v[106:107], v[104:105]
	v_fma_f64 v[102:103], -v[102:103], v[108:109], v[106:107]
	v_div_fmas_f64 v[102:103], v[102:103], v[104:105], v[108:109]
	v_div_fixup_f64 v[102:103], v[102:103], v[121:122], v[123:124]
	v_fma_f64 v[104:105], v[123:124], v[102:103], v[121:122]
	v_div_scale_f64 v[106:107], s[20:21], v[104:105], v[104:105], 1.0
	v_div_scale_f64 v[112:113], vcc, 1.0, v[104:105], 1.0
	v_rcp_f64_e32 v[108:109], v[106:107]
	v_fma_f64 v[110:111], -v[106:107], v[108:109], 1.0
	v_fma_f64 v[108:109], v[108:109], v[110:111], v[108:109]
	v_fma_f64 v[110:111], -v[106:107], v[108:109], 1.0
	v_fma_f64 v[108:109], v[108:109], v[110:111], v[108:109]
	v_mul_f64 v[110:111], v[112:113], v[108:109]
	v_fma_f64 v[106:107], -v[106:107], v[110:111], v[112:113]
	v_div_fmas_f64 v[106:107], v[106:107], v[108:109], v[110:111]
	v_div_fixup_f64 v[121:122], v[106:107], v[104:105], 1.0
	v_mul_f64 v[123:124], v[102:103], -v[121:122]
.LBB78_429:
	s_or_b64 exec, exec, s[18:19]
.LBB78_430:
	s_or_b64 exec, exec, s[0:1]
	v_cmp_ne_u32_e32 vcc, v100, v101
	s_and_saveexec_b64 s[0:1], vcc
	s_xor_b64 s[0:1], exec, s[0:1]
	s_cbranch_execz .LBB78_436
; %bb.431:
	v_cmp_eq_u32_e32 vcc, 20, v100
	s_and_saveexec_b64 s[18:19], vcc
	s_cbranch_execz .LBB78_435
; %bb.432:
	v_cmp_ne_u32_e32 vcc, 20, v101
	s_xor_b64 s[20:21], s[6:7], -1
	s_and_b64 s[22:23], s[20:21], vcc
	s_and_saveexec_b64 s[20:21], s[22:23]
	s_cbranch_execz .LBB78_434
; %bb.433:
	v_ashrrev_i32_e32 v102, 31, v101
	v_lshlrev_b64 v[102:103], 2, v[101:102]
	v_add_co_u32_e32 v102, vcc, v115, v102
	v_addc_co_u32_e32 v103, vcc, v116, v103, vcc
	global_load_dword v0, v[102:103], off
	global_load_dword v100, v[115:116], off offset:80
	s_waitcnt vmcnt(1)
	global_store_dword v[115:116], v0, off offset:80
	s_waitcnt vmcnt(1)
	global_store_dword v[102:103], v100, off
.LBB78_434:
	s_or_b64 exec, exec, s[20:21]
	v_mov_b32_e32 v100, v101
	v_mov_b32_e32 v0, v101
.LBB78_435:
	s_or_b64 exec, exec, s[18:19]
.LBB78_436:
	s_andn2_saveexec_b64 s[0:1], s[0:1]
	s_cbranch_execz .LBB78_438
; %bb.437:
	v_mov_b32_e32 v100, 20
	ds_write2_b64 v98, v[69:70], v[71:72] offset0:42 offset1:43
	ds_write2_b64 v98, v[65:66], v[67:68] offset0:44 offset1:45
	;; [unrolled: 1-line block ×19, first 2 shown]
.LBB78_438:
	s_or_b64 exec, exec, s[0:1]
	v_cmp_lt_i32_e32 vcc, 20, v100
	s_waitcnt vmcnt(0) lgkmcnt(0)
	s_barrier
	s_and_saveexec_b64 s[0:1], vcc
	s_cbranch_execz .LBB78_440
; %bb.439:
	v_mul_f64 v[101:102], v[123:124], v[75:76]
	v_mul_f64 v[75:76], v[121:122], v[75:76]
	v_fma_f64 v[125:126], v[121:122], v[73:74], -v[101:102]
	v_fma_f64 v[75:76], v[123:124], v[73:74], v[75:76]
	ds_read2_b64 v[101:104], v98 offset0:42 offset1:43
	s_waitcnt lgkmcnt(0)
	v_mul_f64 v[73:74], v[103:104], v[75:76]
	v_fma_f64 v[73:74], v[101:102], v[125:126], -v[73:74]
	v_mul_f64 v[101:102], v[101:102], v[75:76]
	v_add_f64 v[69:70], v[69:70], -v[73:74]
	v_fma_f64 v[101:102], v[103:104], v[125:126], v[101:102]
	v_add_f64 v[71:72], v[71:72], -v[101:102]
	ds_read2_b64 v[101:104], v98 offset0:44 offset1:45
	s_waitcnt lgkmcnt(0)
	v_mul_f64 v[73:74], v[103:104], v[75:76]
	v_fma_f64 v[73:74], v[101:102], v[125:126], -v[73:74]
	v_mul_f64 v[101:102], v[101:102], v[75:76]
	v_add_f64 v[65:66], v[65:66], -v[73:74]
	v_fma_f64 v[101:102], v[103:104], v[125:126], v[101:102]
	v_add_f64 v[67:68], v[67:68], -v[101:102]
	;; [unrolled: 8-line block ×18, first 2 shown]
	ds_read2_b64 v[101:104], v98 offset0:78 offset1:79
	s_waitcnt lgkmcnt(0)
	v_mul_f64 v[73:74], v[103:104], v[75:76]
	v_fma_f64 v[73:74], v[101:102], v[125:126], -v[73:74]
	v_mul_f64 v[101:102], v[101:102], v[75:76]
	v_add_f64 v[117:118], v[117:118], -v[73:74]
	v_fma_f64 v[101:102], v[103:104], v[125:126], v[101:102]
	v_mov_b32_e32 v73, v125
	v_mov_b32_e32 v74, v126
	v_add_f64 v[119:120], v[119:120], -v[101:102]
.LBB78_440:
	s_or_b64 exec, exec, s[0:1]
	v_lshl_add_u32 v101, v100, 4, v98
	s_barrier
	ds_write2_b64 v101, v[69:70], v[71:72] offset1:1
	s_waitcnt lgkmcnt(0)
	s_barrier
	ds_read2_b64 v[121:124], v98 offset0:42 offset1:43
	s_cmp_lt_i32 s3, 23
	v_mov_b32_e32 v101, 21
	s_cbranch_scc1 .LBB78_443
; %bb.441:
	v_add_u32_e32 v102, 0x160, v98
	s_mov_b32 s0, 22
	v_mov_b32_e32 v101, 21
.LBB78_442:                             ; =>This Inner Loop Header: Depth=1
	s_waitcnt lgkmcnt(0)
	v_cmp_gt_f64_e32 vcc, 0, v[121:122]
	v_xor_b32_e32 v107, 0x80000000, v122
	ds_read2_b64 v[103:106], v102 offset1:1
	v_xor_b32_e32 v109, 0x80000000, v124
	v_add_u32_e32 v102, 16, v102
	s_waitcnt lgkmcnt(0)
	v_xor_b32_e32 v111, 0x80000000, v106
	v_cndmask_b32_e32 v108, v122, v107, vcc
	v_cmp_gt_f64_e32 vcc, 0, v[123:124]
	v_mov_b32_e32 v107, v121
	v_cndmask_b32_e32 v110, v124, v109, vcc
	v_cmp_gt_f64_e32 vcc, 0, v[103:104]
	v_mov_b32_e32 v109, v123
	v_add_f64 v[107:108], v[107:108], v[109:110]
	v_xor_b32_e32 v109, 0x80000000, v104
	v_cndmask_b32_e32 v110, v104, v109, vcc
	v_cmp_gt_f64_e32 vcc, 0, v[105:106]
	v_mov_b32_e32 v109, v103
	v_cndmask_b32_e32 v112, v106, v111, vcc
	v_mov_b32_e32 v111, v105
	v_add_f64 v[109:110], v[109:110], v[111:112]
	v_cmp_lt_f64_e32 vcc, v[107:108], v[109:110]
	v_cndmask_b32_e32 v121, v121, v103, vcc
	v_mov_b32_e32 v103, s0
	s_add_i32 s0, s0, 1
	v_cndmask_b32_e32 v122, v122, v104, vcc
	v_cndmask_b32_e32 v124, v124, v106, vcc
	;; [unrolled: 1-line block ×4, first 2 shown]
	s_cmp_lg_u32 s3, s0
	s_cbranch_scc1 .LBB78_442
.LBB78_443:
	s_waitcnt lgkmcnt(0)
	v_cmp_eq_f64_e32 vcc, 0, v[121:122]
	v_cmp_eq_f64_e64 s[0:1], 0, v[123:124]
	s_and_b64 s[0:1], vcc, s[0:1]
	s_and_saveexec_b64 s[18:19], s[0:1]
	s_xor_b64 s[0:1], exec, s[18:19]
; %bb.444:
	v_cmp_ne_u32_e32 vcc, 0, v99
	v_cndmask_b32_e32 v99, 22, v99, vcc
; %bb.445:
	s_andn2_saveexec_b64 s[0:1], s[0:1]
	s_cbranch_execz .LBB78_451
; %bb.446:
	v_cmp_ngt_f64_e64 s[18:19], |v[121:122]|, |v[123:124]|
	s_and_saveexec_b64 s[20:21], s[18:19]
	s_xor_b64 s[18:19], exec, s[20:21]
	s_cbranch_execz .LBB78_448
; %bb.447:
	v_div_scale_f64 v[102:103], s[20:21], v[123:124], v[123:124], v[121:122]
	v_rcp_f64_e32 v[104:105], v[102:103]
	v_fma_f64 v[106:107], -v[102:103], v[104:105], 1.0
	v_fma_f64 v[104:105], v[104:105], v[106:107], v[104:105]
	v_div_scale_f64 v[106:107], vcc, v[121:122], v[123:124], v[121:122]
	v_fma_f64 v[108:109], -v[102:103], v[104:105], 1.0
	v_fma_f64 v[104:105], v[104:105], v[108:109], v[104:105]
	v_mul_f64 v[108:109], v[106:107], v[104:105]
	v_fma_f64 v[102:103], -v[102:103], v[108:109], v[106:107]
	v_div_fmas_f64 v[102:103], v[102:103], v[104:105], v[108:109]
	v_div_fixup_f64 v[102:103], v[102:103], v[123:124], v[121:122]
	v_fma_f64 v[104:105], v[121:122], v[102:103], v[123:124]
	v_div_scale_f64 v[106:107], s[20:21], v[104:105], v[104:105], 1.0
	v_div_scale_f64 v[112:113], vcc, 1.0, v[104:105], 1.0
	v_rcp_f64_e32 v[108:109], v[106:107]
	v_fma_f64 v[110:111], -v[106:107], v[108:109], 1.0
	v_fma_f64 v[108:109], v[108:109], v[110:111], v[108:109]
	v_fma_f64 v[110:111], -v[106:107], v[108:109], 1.0
	v_fma_f64 v[108:109], v[108:109], v[110:111], v[108:109]
	v_mul_f64 v[110:111], v[112:113], v[108:109]
	v_fma_f64 v[106:107], -v[106:107], v[110:111], v[112:113]
	v_div_fmas_f64 v[106:107], v[106:107], v[108:109], v[110:111]
	v_div_fixup_f64 v[123:124], v[106:107], v[104:105], 1.0
	v_mul_f64 v[121:122], v[102:103], v[123:124]
	v_xor_b32_e32 v124, 0x80000000, v124
.LBB78_448:
	s_andn2_saveexec_b64 s[18:19], s[18:19]
	s_cbranch_execz .LBB78_450
; %bb.449:
	v_div_scale_f64 v[102:103], s[20:21], v[121:122], v[121:122], v[123:124]
	v_rcp_f64_e32 v[104:105], v[102:103]
	v_fma_f64 v[106:107], -v[102:103], v[104:105], 1.0
	v_fma_f64 v[104:105], v[104:105], v[106:107], v[104:105]
	v_div_scale_f64 v[106:107], vcc, v[123:124], v[121:122], v[123:124]
	v_fma_f64 v[108:109], -v[102:103], v[104:105], 1.0
	v_fma_f64 v[104:105], v[104:105], v[108:109], v[104:105]
	v_mul_f64 v[108:109], v[106:107], v[104:105]
	v_fma_f64 v[102:103], -v[102:103], v[108:109], v[106:107]
	v_div_fmas_f64 v[102:103], v[102:103], v[104:105], v[108:109]
	v_div_fixup_f64 v[102:103], v[102:103], v[121:122], v[123:124]
	v_fma_f64 v[104:105], v[123:124], v[102:103], v[121:122]
	v_div_scale_f64 v[106:107], s[20:21], v[104:105], v[104:105], 1.0
	v_div_scale_f64 v[112:113], vcc, 1.0, v[104:105], 1.0
	v_rcp_f64_e32 v[108:109], v[106:107]
	v_fma_f64 v[110:111], -v[106:107], v[108:109], 1.0
	v_fma_f64 v[108:109], v[108:109], v[110:111], v[108:109]
	v_fma_f64 v[110:111], -v[106:107], v[108:109], 1.0
	v_fma_f64 v[108:109], v[108:109], v[110:111], v[108:109]
	v_mul_f64 v[110:111], v[112:113], v[108:109]
	v_fma_f64 v[106:107], -v[106:107], v[110:111], v[112:113]
	v_div_fmas_f64 v[106:107], v[106:107], v[108:109], v[110:111]
	v_div_fixup_f64 v[121:122], v[106:107], v[104:105], 1.0
	v_mul_f64 v[123:124], v[102:103], -v[121:122]
.LBB78_450:
	s_or_b64 exec, exec, s[18:19]
.LBB78_451:
	s_or_b64 exec, exec, s[0:1]
	v_cmp_ne_u32_e32 vcc, v100, v101
	s_and_saveexec_b64 s[0:1], vcc
	s_xor_b64 s[0:1], exec, s[0:1]
	s_cbranch_execz .LBB78_457
; %bb.452:
	v_cmp_eq_u32_e32 vcc, 21, v100
	s_and_saveexec_b64 s[18:19], vcc
	s_cbranch_execz .LBB78_456
; %bb.453:
	v_cmp_ne_u32_e32 vcc, 21, v101
	s_xor_b64 s[20:21], s[6:7], -1
	s_and_b64 s[22:23], s[20:21], vcc
	s_and_saveexec_b64 s[20:21], s[22:23]
	s_cbranch_execz .LBB78_455
; %bb.454:
	v_ashrrev_i32_e32 v102, 31, v101
	v_lshlrev_b64 v[102:103], 2, v[101:102]
	v_add_co_u32_e32 v102, vcc, v115, v102
	v_addc_co_u32_e32 v103, vcc, v116, v103, vcc
	global_load_dword v0, v[102:103], off
	global_load_dword v100, v[115:116], off offset:84
	s_waitcnt vmcnt(1)
	global_store_dword v[115:116], v0, off offset:84
	s_waitcnt vmcnt(1)
	global_store_dword v[102:103], v100, off
.LBB78_455:
	s_or_b64 exec, exec, s[20:21]
	v_mov_b32_e32 v100, v101
	v_mov_b32_e32 v0, v101
.LBB78_456:
	s_or_b64 exec, exec, s[18:19]
.LBB78_457:
	s_andn2_saveexec_b64 s[0:1], s[0:1]
	s_cbranch_execz .LBB78_459
; %bb.458:
	v_mov_b32_e32 v100, 21
	ds_write2_b64 v98, v[65:66], v[67:68] offset0:44 offset1:45
	ds_write2_b64 v98, v[61:62], v[63:64] offset0:46 offset1:47
	;; [unrolled: 1-line block ×18, first 2 shown]
.LBB78_459:
	s_or_b64 exec, exec, s[0:1]
	v_cmp_lt_i32_e32 vcc, 21, v100
	s_waitcnt vmcnt(0) lgkmcnt(0)
	s_barrier
	s_and_saveexec_b64 s[0:1], vcc
	s_cbranch_execz .LBB78_461
; %bb.460:
	v_mul_f64 v[101:102], v[123:124], v[71:72]
	v_mul_f64 v[71:72], v[121:122], v[71:72]
	ds_read2_b64 v[103:106], v98 offset0:44 offset1:45
	v_fma_f64 v[101:102], v[121:122], v[69:70], -v[101:102]
	v_fma_f64 v[71:72], v[123:124], v[69:70], v[71:72]
	s_waitcnt lgkmcnt(0)
	v_mul_f64 v[69:70], v[105:106], v[71:72]
	v_fma_f64 v[69:70], v[103:104], v[101:102], -v[69:70]
	v_mul_f64 v[103:104], v[103:104], v[71:72]
	v_add_f64 v[65:66], v[65:66], -v[69:70]
	v_fma_f64 v[103:104], v[105:106], v[101:102], v[103:104]
	v_add_f64 v[67:68], v[67:68], -v[103:104]
	ds_read2_b64 v[103:106], v98 offset0:46 offset1:47
	s_waitcnt lgkmcnt(0)
	v_mul_f64 v[69:70], v[105:106], v[71:72]
	v_fma_f64 v[69:70], v[103:104], v[101:102], -v[69:70]
	v_mul_f64 v[103:104], v[103:104], v[71:72]
	v_add_f64 v[61:62], v[61:62], -v[69:70]
	v_fma_f64 v[103:104], v[105:106], v[101:102], v[103:104]
	v_add_f64 v[63:64], v[63:64], -v[103:104]
	ds_read2_b64 v[103:106], v98 offset0:48 offset1:49
	;; [unrolled: 8-line block ×17, first 2 shown]
	s_waitcnt lgkmcnt(0)
	v_mul_f64 v[69:70], v[105:106], v[71:72]
	v_fma_f64 v[69:70], v[103:104], v[101:102], -v[69:70]
	v_mul_f64 v[103:104], v[103:104], v[71:72]
	v_add_f64 v[117:118], v[117:118], -v[69:70]
	v_fma_f64 v[103:104], v[105:106], v[101:102], v[103:104]
	v_mov_b32_e32 v69, v101
	v_mov_b32_e32 v70, v102
	v_add_f64 v[119:120], v[119:120], -v[103:104]
.LBB78_461:
	s_or_b64 exec, exec, s[0:1]
	v_lshl_add_u32 v101, v100, 4, v98
	s_barrier
	ds_write2_b64 v101, v[65:66], v[67:68] offset1:1
	s_waitcnt lgkmcnt(0)
	s_barrier
	ds_read2_b64 v[121:124], v98 offset0:44 offset1:45
	s_cmp_lt_i32 s3, 24
	v_mov_b32_e32 v101, 22
	s_cbranch_scc1 .LBB78_464
; %bb.462:
	v_add_u32_e32 v102, 0x170, v98
	s_mov_b32 s0, 23
	v_mov_b32_e32 v101, 22
.LBB78_463:                             ; =>This Inner Loop Header: Depth=1
	s_waitcnt lgkmcnt(0)
	v_cmp_gt_f64_e32 vcc, 0, v[121:122]
	v_xor_b32_e32 v107, 0x80000000, v122
	ds_read2_b64 v[103:106], v102 offset1:1
	v_xor_b32_e32 v109, 0x80000000, v124
	v_add_u32_e32 v102, 16, v102
	s_waitcnt lgkmcnt(0)
	v_xor_b32_e32 v111, 0x80000000, v106
	v_cndmask_b32_e32 v108, v122, v107, vcc
	v_cmp_gt_f64_e32 vcc, 0, v[123:124]
	v_mov_b32_e32 v107, v121
	v_cndmask_b32_e32 v110, v124, v109, vcc
	v_cmp_gt_f64_e32 vcc, 0, v[103:104]
	v_mov_b32_e32 v109, v123
	v_add_f64 v[107:108], v[107:108], v[109:110]
	v_xor_b32_e32 v109, 0x80000000, v104
	v_cndmask_b32_e32 v110, v104, v109, vcc
	v_cmp_gt_f64_e32 vcc, 0, v[105:106]
	v_mov_b32_e32 v109, v103
	v_cndmask_b32_e32 v112, v106, v111, vcc
	v_mov_b32_e32 v111, v105
	v_add_f64 v[109:110], v[109:110], v[111:112]
	v_cmp_lt_f64_e32 vcc, v[107:108], v[109:110]
	v_cndmask_b32_e32 v121, v121, v103, vcc
	v_mov_b32_e32 v103, s0
	s_add_i32 s0, s0, 1
	v_cndmask_b32_e32 v122, v122, v104, vcc
	v_cndmask_b32_e32 v124, v124, v106, vcc
	;; [unrolled: 1-line block ×4, first 2 shown]
	s_cmp_lg_u32 s3, s0
	s_cbranch_scc1 .LBB78_463
.LBB78_464:
	s_waitcnt lgkmcnt(0)
	v_cmp_eq_f64_e32 vcc, 0, v[121:122]
	v_cmp_eq_f64_e64 s[0:1], 0, v[123:124]
	s_and_b64 s[0:1], vcc, s[0:1]
	s_and_saveexec_b64 s[18:19], s[0:1]
	s_xor_b64 s[0:1], exec, s[18:19]
; %bb.465:
	v_cmp_ne_u32_e32 vcc, 0, v99
	v_cndmask_b32_e32 v99, 23, v99, vcc
; %bb.466:
	s_andn2_saveexec_b64 s[0:1], s[0:1]
	s_cbranch_execz .LBB78_472
; %bb.467:
	v_cmp_ngt_f64_e64 s[18:19], |v[121:122]|, |v[123:124]|
	s_and_saveexec_b64 s[20:21], s[18:19]
	s_xor_b64 s[18:19], exec, s[20:21]
	s_cbranch_execz .LBB78_469
; %bb.468:
	v_div_scale_f64 v[102:103], s[20:21], v[123:124], v[123:124], v[121:122]
	v_rcp_f64_e32 v[104:105], v[102:103]
	v_fma_f64 v[106:107], -v[102:103], v[104:105], 1.0
	v_fma_f64 v[104:105], v[104:105], v[106:107], v[104:105]
	v_div_scale_f64 v[106:107], vcc, v[121:122], v[123:124], v[121:122]
	v_fma_f64 v[108:109], -v[102:103], v[104:105], 1.0
	v_fma_f64 v[104:105], v[104:105], v[108:109], v[104:105]
	v_mul_f64 v[108:109], v[106:107], v[104:105]
	v_fma_f64 v[102:103], -v[102:103], v[108:109], v[106:107]
	v_div_fmas_f64 v[102:103], v[102:103], v[104:105], v[108:109]
	v_div_fixup_f64 v[102:103], v[102:103], v[123:124], v[121:122]
	v_fma_f64 v[104:105], v[121:122], v[102:103], v[123:124]
	v_div_scale_f64 v[106:107], s[20:21], v[104:105], v[104:105], 1.0
	v_div_scale_f64 v[112:113], vcc, 1.0, v[104:105], 1.0
	v_rcp_f64_e32 v[108:109], v[106:107]
	v_fma_f64 v[110:111], -v[106:107], v[108:109], 1.0
	v_fma_f64 v[108:109], v[108:109], v[110:111], v[108:109]
	v_fma_f64 v[110:111], -v[106:107], v[108:109], 1.0
	v_fma_f64 v[108:109], v[108:109], v[110:111], v[108:109]
	v_mul_f64 v[110:111], v[112:113], v[108:109]
	v_fma_f64 v[106:107], -v[106:107], v[110:111], v[112:113]
	v_div_fmas_f64 v[106:107], v[106:107], v[108:109], v[110:111]
	v_div_fixup_f64 v[123:124], v[106:107], v[104:105], 1.0
	v_mul_f64 v[121:122], v[102:103], v[123:124]
	v_xor_b32_e32 v124, 0x80000000, v124
.LBB78_469:
	s_andn2_saveexec_b64 s[18:19], s[18:19]
	s_cbranch_execz .LBB78_471
; %bb.470:
	v_div_scale_f64 v[102:103], s[20:21], v[121:122], v[121:122], v[123:124]
	v_rcp_f64_e32 v[104:105], v[102:103]
	v_fma_f64 v[106:107], -v[102:103], v[104:105], 1.0
	v_fma_f64 v[104:105], v[104:105], v[106:107], v[104:105]
	v_div_scale_f64 v[106:107], vcc, v[123:124], v[121:122], v[123:124]
	v_fma_f64 v[108:109], -v[102:103], v[104:105], 1.0
	v_fma_f64 v[104:105], v[104:105], v[108:109], v[104:105]
	v_mul_f64 v[108:109], v[106:107], v[104:105]
	v_fma_f64 v[102:103], -v[102:103], v[108:109], v[106:107]
	v_div_fmas_f64 v[102:103], v[102:103], v[104:105], v[108:109]
	v_div_fixup_f64 v[102:103], v[102:103], v[121:122], v[123:124]
	v_fma_f64 v[104:105], v[123:124], v[102:103], v[121:122]
	v_div_scale_f64 v[106:107], s[20:21], v[104:105], v[104:105], 1.0
	v_div_scale_f64 v[112:113], vcc, 1.0, v[104:105], 1.0
	v_rcp_f64_e32 v[108:109], v[106:107]
	v_fma_f64 v[110:111], -v[106:107], v[108:109], 1.0
	v_fma_f64 v[108:109], v[108:109], v[110:111], v[108:109]
	v_fma_f64 v[110:111], -v[106:107], v[108:109], 1.0
	v_fma_f64 v[108:109], v[108:109], v[110:111], v[108:109]
	v_mul_f64 v[110:111], v[112:113], v[108:109]
	v_fma_f64 v[106:107], -v[106:107], v[110:111], v[112:113]
	v_div_fmas_f64 v[106:107], v[106:107], v[108:109], v[110:111]
	v_div_fixup_f64 v[121:122], v[106:107], v[104:105], 1.0
	v_mul_f64 v[123:124], v[102:103], -v[121:122]
.LBB78_471:
	s_or_b64 exec, exec, s[18:19]
.LBB78_472:
	s_or_b64 exec, exec, s[0:1]
	v_cmp_ne_u32_e32 vcc, v100, v101
	s_and_saveexec_b64 s[0:1], vcc
	s_xor_b64 s[0:1], exec, s[0:1]
	s_cbranch_execz .LBB78_478
; %bb.473:
	v_cmp_eq_u32_e32 vcc, 22, v100
	s_and_saveexec_b64 s[18:19], vcc
	s_cbranch_execz .LBB78_477
; %bb.474:
	v_cmp_ne_u32_e32 vcc, 22, v101
	s_xor_b64 s[20:21], s[6:7], -1
	s_and_b64 s[22:23], s[20:21], vcc
	s_and_saveexec_b64 s[20:21], s[22:23]
	s_cbranch_execz .LBB78_476
; %bb.475:
	v_ashrrev_i32_e32 v102, 31, v101
	v_lshlrev_b64 v[102:103], 2, v[101:102]
	v_add_co_u32_e32 v102, vcc, v115, v102
	v_addc_co_u32_e32 v103, vcc, v116, v103, vcc
	global_load_dword v0, v[102:103], off
	global_load_dword v100, v[115:116], off offset:88
	s_waitcnt vmcnt(1)
	global_store_dword v[115:116], v0, off offset:88
	s_waitcnt vmcnt(1)
	global_store_dword v[102:103], v100, off
.LBB78_476:
	s_or_b64 exec, exec, s[20:21]
	v_mov_b32_e32 v100, v101
	v_mov_b32_e32 v0, v101
.LBB78_477:
	s_or_b64 exec, exec, s[18:19]
.LBB78_478:
	s_andn2_saveexec_b64 s[0:1], s[0:1]
	s_cbranch_execz .LBB78_480
; %bb.479:
	v_mov_b32_e32 v100, 22
	ds_write2_b64 v98, v[61:62], v[63:64] offset0:46 offset1:47
	ds_write2_b64 v98, v[57:58], v[59:60] offset0:48 offset1:49
	;; [unrolled: 1-line block ×17, first 2 shown]
.LBB78_480:
	s_or_b64 exec, exec, s[0:1]
	v_cmp_lt_i32_e32 vcc, 22, v100
	s_waitcnt vmcnt(0) lgkmcnt(0)
	s_barrier
	s_and_saveexec_b64 s[0:1], vcc
	s_cbranch_execz .LBB78_482
; %bb.481:
	v_mul_f64 v[101:102], v[123:124], v[67:68]
	v_mul_f64 v[67:68], v[121:122], v[67:68]
	ds_read2_b64 v[103:106], v98 offset0:46 offset1:47
	v_fma_f64 v[101:102], v[121:122], v[65:66], -v[101:102]
	v_fma_f64 v[67:68], v[123:124], v[65:66], v[67:68]
	s_waitcnt lgkmcnt(0)
	v_mul_f64 v[65:66], v[105:106], v[67:68]
	v_fma_f64 v[65:66], v[103:104], v[101:102], -v[65:66]
	v_mul_f64 v[103:104], v[103:104], v[67:68]
	v_add_f64 v[61:62], v[61:62], -v[65:66]
	v_fma_f64 v[103:104], v[105:106], v[101:102], v[103:104]
	v_add_f64 v[63:64], v[63:64], -v[103:104]
	ds_read2_b64 v[103:106], v98 offset0:48 offset1:49
	s_waitcnt lgkmcnt(0)
	v_mul_f64 v[65:66], v[105:106], v[67:68]
	v_fma_f64 v[65:66], v[103:104], v[101:102], -v[65:66]
	v_mul_f64 v[103:104], v[103:104], v[67:68]
	v_add_f64 v[57:58], v[57:58], -v[65:66]
	v_fma_f64 v[103:104], v[105:106], v[101:102], v[103:104]
	v_add_f64 v[59:60], v[59:60], -v[103:104]
	ds_read2_b64 v[103:106], v98 offset0:50 offset1:51
	;; [unrolled: 8-line block ×16, first 2 shown]
	s_waitcnt lgkmcnt(0)
	v_mul_f64 v[65:66], v[105:106], v[67:68]
	v_fma_f64 v[65:66], v[103:104], v[101:102], -v[65:66]
	v_mul_f64 v[103:104], v[103:104], v[67:68]
	v_add_f64 v[117:118], v[117:118], -v[65:66]
	v_fma_f64 v[103:104], v[105:106], v[101:102], v[103:104]
	v_mov_b32_e32 v65, v101
	v_mov_b32_e32 v66, v102
	v_add_f64 v[119:120], v[119:120], -v[103:104]
.LBB78_482:
	s_or_b64 exec, exec, s[0:1]
	v_lshl_add_u32 v101, v100, 4, v98
	s_barrier
	ds_write2_b64 v101, v[61:62], v[63:64] offset1:1
	s_waitcnt lgkmcnt(0)
	s_barrier
	ds_read2_b64 v[121:124], v98 offset0:46 offset1:47
	s_cmp_lt_i32 s3, 25
	v_mov_b32_e32 v101, 23
	s_cbranch_scc1 .LBB78_485
; %bb.483:
	v_add_u32_e32 v102, 0x180, v98
	s_mov_b32 s0, 24
	v_mov_b32_e32 v101, 23
.LBB78_484:                             ; =>This Inner Loop Header: Depth=1
	s_waitcnt lgkmcnt(0)
	v_cmp_gt_f64_e32 vcc, 0, v[121:122]
	v_xor_b32_e32 v107, 0x80000000, v122
	ds_read2_b64 v[103:106], v102 offset1:1
	v_xor_b32_e32 v109, 0x80000000, v124
	v_add_u32_e32 v102, 16, v102
	s_waitcnt lgkmcnt(0)
	v_xor_b32_e32 v111, 0x80000000, v106
	v_cndmask_b32_e32 v108, v122, v107, vcc
	v_cmp_gt_f64_e32 vcc, 0, v[123:124]
	v_mov_b32_e32 v107, v121
	v_cndmask_b32_e32 v110, v124, v109, vcc
	v_cmp_gt_f64_e32 vcc, 0, v[103:104]
	v_mov_b32_e32 v109, v123
	v_add_f64 v[107:108], v[107:108], v[109:110]
	v_xor_b32_e32 v109, 0x80000000, v104
	v_cndmask_b32_e32 v110, v104, v109, vcc
	v_cmp_gt_f64_e32 vcc, 0, v[105:106]
	v_mov_b32_e32 v109, v103
	v_cndmask_b32_e32 v112, v106, v111, vcc
	v_mov_b32_e32 v111, v105
	v_add_f64 v[109:110], v[109:110], v[111:112]
	v_cmp_lt_f64_e32 vcc, v[107:108], v[109:110]
	v_cndmask_b32_e32 v121, v121, v103, vcc
	v_mov_b32_e32 v103, s0
	s_add_i32 s0, s0, 1
	v_cndmask_b32_e32 v122, v122, v104, vcc
	v_cndmask_b32_e32 v124, v124, v106, vcc
	;; [unrolled: 1-line block ×4, first 2 shown]
	s_cmp_lg_u32 s3, s0
	s_cbranch_scc1 .LBB78_484
.LBB78_485:
	s_waitcnt lgkmcnt(0)
	v_cmp_eq_f64_e32 vcc, 0, v[121:122]
	v_cmp_eq_f64_e64 s[0:1], 0, v[123:124]
	s_and_b64 s[0:1], vcc, s[0:1]
	s_and_saveexec_b64 s[18:19], s[0:1]
	s_xor_b64 s[0:1], exec, s[18:19]
; %bb.486:
	v_cmp_ne_u32_e32 vcc, 0, v99
	v_cndmask_b32_e32 v99, 24, v99, vcc
; %bb.487:
	s_andn2_saveexec_b64 s[0:1], s[0:1]
	s_cbranch_execz .LBB78_493
; %bb.488:
	v_cmp_ngt_f64_e64 s[18:19], |v[121:122]|, |v[123:124]|
	s_and_saveexec_b64 s[20:21], s[18:19]
	s_xor_b64 s[18:19], exec, s[20:21]
	s_cbranch_execz .LBB78_490
; %bb.489:
	v_div_scale_f64 v[102:103], s[20:21], v[123:124], v[123:124], v[121:122]
	v_rcp_f64_e32 v[104:105], v[102:103]
	v_fma_f64 v[106:107], -v[102:103], v[104:105], 1.0
	v_fma_f64 v[104:105], v[104:105], v[106:107], v[104:105]
	v_div_scale_f64 v[106:107], vcc, v[121:122], v[123:124], v[121:122]
	v_fma_f64 v[108:109], -v[102:103], v[104:105], 1.0
	v_fma_f64 v[104:105], v[104:105], v[108:109], v[104:105]
	v_mul_f64 v[108:109], v[106:107], v[104:105]
	v_fma_f64 v[102:103], -v[102:103], v[108:109], v[106:107]
	v_div_fmas_f64 v[102:103], v[102:103], v[104:105], v[108:109]
	v_div_fixup_f64 v[102:103], v[102:103], v[123:124], v[121:122]
	v_fma_f64 v[104:105], v[121:122], v[102:103], v[123:124]
	v_div_scale_f64 v[106:107], s[20:21], v[104:105], v[104:105], 1.0
	v_div_scale_f64 v[112:113], vcc, 1.0, v[104:105], 1.0
	v_rcp_f64_e32 v[108:109], v[106:107]
	v_fma_f64 v[110:111], -v[106:107], v[108:109], 1.0
	v_fma_f64 v[108:109], v[108:109], v[110:111], v[108:109]
	v_fma_f64 v[110:111], -v[106:107], v[108:109], 1.0
	v_fma_f64 v[108:109], v[108:109], v[110:111], v[108:109]
	v_mul_f64 v[110:111], v[112:113], v[108:109]
	v_fma_f64 v[106:107], -v[106:107], v[110:111], v[112:113]
	v_div_fmas_f64 v[106:107], v[106:107], v[108:109], v[110:111]
	v_div_fixup_f64 v[123:124], v[106:107], v[104:105], 1.0
	v_mul_f64 v[121:122], v[102:103], v[123:124]
	v_xor_b32_e32 v124, 0x80000000, v124
.LBB78_490:
	s_andn2_saveexec_b64 s[18:19], s[18:19]
	s_cbranch_execz .LBB78_492
; %bb.491:
	v_div_scale_f64 v[102:103], s[20:21], v[121:122], v[121:122], v[123:124]
	v_rcp_f64_e32 v[104:105], v[102:103]
	v_fma_f64 v[106:107], -v[102:103], v[104:105], 1.0
	v_fma_f64 v[104:105], v[104:105], v[106:107], v[104:105]
	v_div_scale_f64 v[106:107], vcc, v[123:124], v[121:122], v[123:124]
	v_fma_f64 v[108:109], -v[102:103], v[104:105], 1.0
	v_fma_f64 v[104:105], v[104:105], v[108:109], v[104:105]
	v_mul_f64 v[108:109], v[106:107], v[104:105]
	v_fma_f64 v[102:103], -v[102:103], v[108:109], v[106:107]
	v_div_fmas_f64 v[102:103], v[102:103], v[104:105], v[108:109]
	v_div_fixup_f64 v[102:103], v[102:103], v[121:122], v[123:124]
	v_fma_f64 v[104:105], v[123:124], v[102:103], v[121:122]
	v_div_scale_f64 v[106:107], s[20:21], v[104:105], v[104:105], 1.0
	v_div_scale_f64 v[112:113], vcc, 1.0, v[104:105], 1.0
	v_rcp_f64_e32 v[108:109], v[106:107]
	v_fma_f64 v[110:111], -v[106:107], v[108:109], 1.0
	v_fma_f64 v[108:109], v[108:109], v[110:111], v[108:109]
	v_fma_f64 v[110:111], -v[106:107], v[108:109], 1.0
	v_fma_f64 v[108:109], v[108:109], v[110:111], v[108:109]
	v_mul_f64 v[110:111], v[112:113], v[108:109]
	v_fma_f64 v[106:107], -v[106:107], v[110:111], v[112:113]
	v_div_fmas_f64 v[106:107], v[106:107], v[108:109], v[110:111]
	v_div_fixup_f64 v[121:122], v[106:107], v[104:105], 1.0
	v_mul_f64 v[123:124], v[102:103], -v[121:122]
.LBB78_492:
	s_or_b64 exec, exec, s[18:19]
.LBB78_493:
	s_or_b64 exec, exec, s[0:1]
	v_cmp_ne_u32_e32 vcc, v100, v101
	s_and_saveexec_b64 s[0:1], vcc
	s_xor_b64 s[0:1], exec, s[0:1]
	s_cbranch_execz .LBB78_499
; %bb.494:
	v_cmp_eq_u32_e32 vcc, 23, v100
	s_and_saveexec_b64 s[18:19], vcc
	s_cbranch_execz .LBB78_498
; %bb.495:
	v_cmp_ne_u32_e32 vcc, 23, v101
	s_xor_b64 s[20:21], s[6:7], -1
	s_and_b64 s[22:23], s[20:21], vcc
	s_and_saveexec_b64 s[20:21], s[22:23]
	s_cbranch_execz .LBB78_497
; %bb.496:
	v_ashrrev_i32_e32 v102, 31, v101
	v_lshlrev_b64 v[102:103], 2, v[101:102]
	v_add_co_u32_e32 v102, vcc, v115, v102
	v_addc_co_u32_e32 v103, vcc, v116, v103, vcc
	global_load_dword v0, v[102:103], off
	global_load_dword v100, v[115:116], off offset:92
	s_waitcnt vmcnt(1)
	global_store_dword v[115:116], v0, off offset:92
	s_waitcnt vmcnt(1)
	global_store_dword v[102:103], v100, off
.LBB78_497:
	s_or_b64 exec, exec, s[20:21]
	v_mov_b32_e32 v100, v101
	v_mov_b32_e32 v0, v101
.LBB78_498:
	s_or_b64 exec, exec, s[18:19]
.LBB78_499:
	s_andn2_saveexec_b64 s[0:1], s[0:1]
	s_cbranch_execz .LBB78_501
; %bb.500:
	v_mov_b32_e32 v100, 23
	ds_write2_b64 v98, v[57:58], v[59:60] offset0:48 offset1:49
	ds_write2_b64 v98, v[53:54], v[55:56] offset0:50 offset1:51
	;; [unrolled: 1-line block ×16, first 2 shown]
.LBB78_501:
	s_or_b64 exec, exec, s[0:1]
	v_cmp_lt_i32_e32 vcc, 23, v100
	s_waitcnt vmcnt(0) lgkmcnt(0)
	s_barrier
	s_and_saveexec_b64 s[0:1], vcc
	s_cbranch_execz .LBB78_503
; %bb.502:
	v_mul_f64 v[101:102], v[121:122], v[63:64]
	v_mul_f64 v[63:64], v[123:124], v[63:64]
	ds_read2_b64 v[103:106], v98 offset0:48 offset1:49
	v_fma_f64 v[101:102], v[123:124], v[61:62], v[101:102]
	v_fma_f64 v[61:62], v[121:122], v[61:62], -v[63:64]
	s_waitcnt lgkmcnt(0)
	v_mul_f64 v[63:64], v[105:106], v[101:102]
	v_fma_f64 v[63:64], v[103:104], v[61:62], -v[63:64]
	v_mul_f64 v[103:104], v[103:104], v[101:102]
	v_add_f64 v[57:58], v[57:58], -v[63:64]
	v_fma_f64 v[103:104], v[105:106], v[61:62], v[103:104]
	v_add_f64 v[59:60], v[59:60], -v[103:104]
	ds_read2_b64 v[103:106], v98 offset0:50 offset1:51
	s_waitcnt lgkmcnt(0)
	v_mul_f64 v[63:64], v[105:106], v[101:102]
	v_fma_f64 v[63:64], v[103:104], v[61:62], -v[63:64]
	v_mul_f64 v[103:104], v[103:104], v[101:102]
	v_add_f64 v[53:54], v[53:54], -v[63:64]
	v_fma_f64 v[103:104], v[105:106], v[61:62], v[103:104]
	v_add_f64 v[55:56], v[55:56], -v[103:104]
	ds_read2_b64 v[103:106], v98 offset0:52 offset1:53
	;; [unrolled: 8-line block ×15, first 2 shown]
	s_waitcnt lgkmcnt(0)
	v_mul_f64 v[63:64], v[105:106], v[101:102]
	v_fma_f64 v[63:64], v[103:104], v[61:62], -v[63:64]
	v_mul_f64 v[103:104], v[103:104], v[101:102]
	v_add_f64 v[117:118], v[117:118], -v[63:64]
	v_fma_f64 v[103:104], v[105:106], v[61:62], v[103:104]
	v_mov_b32_e32 v63, v101
	v_mov_b32_e32 v64, v102
	v_add_f64 v[119:120], v[119:120], -v[103:104]
.LBB78_503:
	s_or_b64 exec, exec, s[0:1]
	v_lshl_add_u32 v101, v100, 4, v98
	s_barrier
	ds_write2_b64 v101, v[57:58], v[59:60] offset1:1
	s_waitcnt lgkmcnt(0)
	s_barrier
	ds_read2_b64 v[121:124], v98 offset0:48 offset1:49
	s_cmp_lt_i32 s3, 26
	v_mov_b32_e32 v101, 24
	s_cbranch_scc1 .LBB78_506
; %bb.504:
	v_add_u32_e32 v102, 0x190, v98
	s_mov_b32 s0, 25
	v_mov_b32_e32 v101, 24
.LBB78_505:                             ; =>This Inner Loop Header: Depth=1
	s_waitcnt lgkmcnt(0)
	v_cmp_gt_f64_e32 vcc, 0, v[121:122]
	v_xor_b32_e32 v107, 0x80000000, v122
	ds_read2_b64 v[103:106], v102 offset1:1
	v_xor_b32_e32 v109, 0x80000000, v124
	v_add_u32_e32 v102, 16, v102
	s_waitcnt lgkmcnt(0)
	v_xor_b32_e32 v111, 0x80000000, v106
	v_cndmask_b32_e32 v108, v122, v107, vcc
	v_cmp_gt_f64_e32 vcc, 0, v[123:124]
	v_mov_b32_e32 v107, v121
	v_cndmask_b32_e32 v110, v124, v109, vcc
	v_cmp_gt_f64_e32 vcc, 0, v[103:104]
	v_mov_b32_e32 v109, v123
	v_add_f64 v[107:108], v[107:108], v[109:110]
	v_xor_b32_e32 v109, 0x80000000, v104
	v_cndmask_b32_e32 v110, v104, v109, vcc
	v_cmp_gt_f64_e32 vcc, 0, v[105:106]
	v_mov_b32_e32 v109, v103
	v_cndmask_b32_e32 v112, v106, v111, vcc
	v_mov_b32_e32 v111, v105
	v_add_f64 v[109:110], v[109:110], v[111:112]
	v_cmp_lt_f64_e32 vcc, v[107:108], v[109:110]
	v_cndmask_b32_e32 v121, v121, v103, vcc
	v_mov_b32_e32 v103, s0
	s_add_i32 s0, s0, 1
	v_cndmask_b32_e32 v122, v122, v104, vcc
	v_cndmask_b32_e32 v124, v124, v106, vcc
	;; [unrolled: 1-line block ×4, first 2 shown]
	s_cmp_lg_u32 s3, s0
	s_cbranch_scc1 .LBB78_505
.LBB78_506:
	s_waitcnt lgkmcnt(0)
	v_cmp_eq_f64_e32 vcc, 0, v[121:122]
	v_cmp_eq_f64_e64 s[0:1], 0, v[123:124]
	s_and_b64 s[0:1], vcc, s[0:1]
	s_and_saveexec_b64 s[18:19], s[0:1]
	s_xor_b64 s[0:1], exec, s[18:19]
; %bb.507:
	v_cmp_ne_u32_e32 vcc, 0, v99
	v_cndmask_b32_e32 v99, 25, v99, vcc
; %bb.508:
	s_andn2_saveexec_b64 s[0:1], s[0:1]
	s_cbranch_execz .LBB78_514
; %bb.509:
	v_cmp_ngt_f64_e64 s[18:19], |v[121:122]|, |v[123:124]|
	s_and_saveexec_b64 s[20:21], s[18:19]
	s_xor_b64 s[18:19], exec, s[20:21]
	s_cbranch_execz .LBB78_511
; %bb.510:
	v_div_scale_f64 v[102:103], s[20:21], v[123:124], v[123:124], v[121:122]
	v_rcp_f64_e32 v[104:105], v[102:103]
	v_fma_f64 v[106:107], -v[102:103], v[104:105], 1.0
	v_fma_f64 v[104:105], v[104:105], v[106:107], v[104:105]
	v_div_scale_f64 v[106:107], vcc, v[121:122], v[123:124], v[121:122]
	v_fma_f64 v[108:109], -v[102:103], v[104:105], 1.0
	v_fma_f64 v[104:105], v[104:105], v[108:109], v[104:105]
	v_mul_f64 v[108:109], v[106:107], v[104:105]
	v_fma_f64 v[102:103], -v[102:103], v[108:109], v[106:107]
	v_div_fmas_f64 v[102:103], v[102:103], v[104:105], v[108:109]
	v_div_fixup_f64 v[102:103], v[102:103], v[123:124], v[121:122]
	v_fma_f64 v[104:105], v[121:122], v[102:103], v[123:124]
	v_div_scale_f64 v[106:107], s[20:21], v[104:105], v[104:105], 1.0
	v_div_scale_f64 v[112:113], vcc, 1.0, v[104:105], 1.0
	v_rcp_f64_e32 v[108:109], v[106:107]
	v_fma_f64 v[110:111], -v[106:107], v[108:109], 1.0
	v_fma_f64 v[108:109], v[108:109], v[110:111], v[108:109]
	v_fma_f64 v[110:111], -v[106:107], v[108:109], 1.0
	v_fma_f64 v[108:109], v[108:109], v[110:111], v[108:109]
	v_mul_f64 v[110:111], v[112:113], v[108:109]
	v_fma_f64 v[106:107], -v[106:107], v[110:111], v[112:113]
	v_div_fmas_f64 v[106:107], v[106:107], v[108:109], v[110:111]
	v_div_fixup_f64 v[123:124], v[106:107], v[104:105], 1.0
	v_mul_f64 v[121:122], v[102:103], v[123:124]
	v_xor_b32_e32 v124, 0x80000000, v124
.LBB78_511:
	s_andn2_saveexec_b64 s[18:19], s[18:19]
	s_cbranch_execz .LBB78_513
; %bb.512:
	v_div_scale_f64 v[102:103], s[20:21], v[121:122], v[121:122], v[123:124]
	v_rcp_f64_e32 v[104:105], v[102:103]
	v_fma_f64 v[106:107], -v[102:103], v[104:105], 1.0
	v_fma_f64 v[104:105], v[104:105], v[106:107], v[104:105]
	v_div_scale_f64 v[106:107], vcc, v[123:124], v[121:122], v[123:124]
	v_fma_f64 v[108:109], -v[102:103], v[104:105], 1.0
	v_fma_f64 v[104:105], v[104:105], v[108:109], v[104:105]
	v_mul_f64 v[108:109], v[106:107], v[104:105]
	v_fma_f64 v[102:103], -v[102:103], v[108:109], v[106:107]
	v_div_fmas_f64 v[102:103], v[102:103], v[104:105], v[108:109]
	v_div_fixup_f64 v[102:103], v[102:103], v[121:122], v[123:124]
	v_fma_f64 v[104:105], v[123:124], v[102:103], v[121:122]
	v_div_scale_f64 v[106:107], s[20:21], v[104:105], v[104:105], 1.0
	v_div_scale_f64 v[112:113], vcc, 1.0, v[104:105], 1.0
	v_rcp_f64_e32 v[108:109], v[106:107]
	v_fma_f64 v[110:111], -v[106:107], v[108:109], 1.0
	v_fma_f64 v[108:109], v[108:109], v[110:111], v[108:109]
	v_fma_f64 v[110:111], -v[106:107], v[108:109], 1.0
	v_fma_f64 v[108:109], v[108:109], v[110:111], v[108:109]
	v_mul_f64 v[110:111], v[112:113], v[108:109]
	v_fma_f64 v[106:107], -v[106:107], v[110:111], v[112:113]
	v_div_fmas_f64 v[106:107], v[106:107], v[108:109], v[110:111]
	v_div_fixup_f64 v[121:122], v[106:107], v[104:105], 1.0
	v_mul_f64 v[123:124], v[102:103], -v[121:122]
.LBB78_513:
	s_or_b64 exec, exec, s[18:19]
.LBB78_514:
	s_or_b64 exec, exec, s[0:1]
	v_cmp_ne_u32_e32 vcc, v100, v101
	s_and_saveexec_b64 s[0:1], vcc
	s_xor_b64 s[0:1], exec, s[0:1]
	s_cbranch_execz .LBB78_520
; %bb.515:
	v_cmp_eq_u32_e32 vcc, 24, v100
	s_and_saveexec_b64 s[18:19], vcc
	s_cbranch_execz .LBB78_519
; %bb.516:
	v_cmp_ne_u32_e32 vcc, 24, v101
	s_xor_b64 s[20:21], s[6:7], -1
	s_and_b64 s[22:23], s[20:21], vcc
	s_and_saveexec_b64 s[20:21], s[22:23]
	s_cbranch_execz .LBB78_518
; %bb.517:
	v_ashrrev_i32_e32 v102, 31, v101
	v_lshlrev_b64 v[102:103], 2, v[101:102]
	v_add_co_u32_e32 v102, vcc, v115, v102
	v_addc_co_u32_e32 v103, vcc, v116, v103, vcc
	global_load_dword v0, v[102:103], off
	global_load_dword v100, v[115:116], off offset:96
	s_waitcnt vmcnt(1)
	global_store_dword v[115:116], v0, off offset:96
	s_waitcnt vmcnt(1)
	global_store_dword v[102:103], v100, off
.LBB78_518:
	s_or_b64 exec, exec, s[20:21]
	v_mov_b32_e32 v100, v101
	v_mov_b32_e32 v0, v101
.LBB78_519:
	s_or_b64 exec, exec, s[18:19]
.LBB78_520:
	s_andn2_saveexec_b64 s[0:1], s[0:1]
	s_cbranch_execz .LBB78_522
; %bb.521:
	v_mov_b32_e32 v100, 24
	ds_write2_b64 v98, v[53:54], v[55:56] offset0:50 offset1:51
	ds_write2_b64 v98, v[49:50], v[51:52] offset0:52 offset1:53
	;; [unrolled: 1-line block ×15, first 2 shown]
.LBB78_522:
	s_or_b64 exec, exec, s[0:1]
	v_cmp_lt_i32_e32 vcc, 24, v100
	s_waitcnt vmcnt(0) lgkmcnt(0)
	s_barrier
	s_and_saveexec_b64 s[0:1], vcc
	s_cbranch_execz .LBB78_524
; %bb.523:
	v_mul_f64 v[101:102], v[121:122], v[59:60]
	v_mul_f64 v[59:60], v[123:124], v[59:60]
	ds_read2_b64 v[103:106], v98 offset0:50 offset1:51
	v_fma_f64 v[101:102], v[123:124], v[57:58], v[101:102]
	v_fma_f64 v[57:58], v[121:122], v[57:58], -v[59:60]
	s_waitcnt lgkmcnt(0)
	v_mul_f64 v[59:60], v[105:106], v[101:102]
	v_fma_f64 v[59:60], v[103:104], v[57:58], -v[59:60]
	v_mul_f64 v[103:104], v[103:104], v[101:102]
	v_add_f64 v[53:54], v[53:54], -v[59:60]
	v_fma_f64 v[103:104], v[105:106], v[57:58], v[103:104]
	v_add_f64 v[55:56], v[55:56], -v[103:104]
	ds_read2_b64 v[103:106], v98 offset0:52 offset1:53
	s_waitcnt lgkmcnt(0)
	v_mul_f64 v[59:60], v[105:106], v[101:102]
	v_fma_f64 v[59:60], v[103:104], v[57:58], -v[59:60]
	v_mul_f64 v[103:104], v[103:104], v[101:102]
	v_add_f64 v[49:50], v[49:50], -v[59:60]
	v_fma_f64 v[103:104], v[105:106], v[57:58], v[103:104]
	v_add_f64 v[51:52], v[51:52], -v[103:104]
	ds_read2_b64 v[103:106], v98 offset0:54 offset1:55
	;; [unrolled: 8-line block ×14, first 2 shown]
	s_waitcnt lgkmcnt(0)
	v_mul_f64 v[59:60], v[105:106], v[101:102]
	v_fma_f64 v[59:60], v[103:104], v[57:58], -v[59:60]
	v_mul_f64 v[103:104], v[103:104], v[101:102]
	v_add_f64 v[117:118], v[117:118], -v[59:60]
	v_fma_f64 v[103:104], v[105:106], v[57:58], v[103:104]
	v_mov_b32_e32 v59, v101
	v_mov_b32_e32 v60, v102
	v_add_f64 v[119:120], v[119:120], -v[103:104]
.LBB78_524:
	s_or_b64 exec, exec, s[0:1]
	v_lshl_add_u32 v101, v100, 4, v98
	s_barrier
	ds_write2_b64 v101, v[53:54], v[55:56] offset1:1
	s_waitcnt lgkmcnt(0)
	s_barrier
	ds_read2_b64 v[121:124], v98 offset0:50 offset1:51
	s_cmp_lt_i32 s3, 27
	v_mov_b32_e32 v101, 25
	s_cbranch_scc1 .LBB78_527
; %bb.525:
	v_add_u32_e32 v102, 0x1a0, v98
	s_mov_b32 s0, 26
	v_mov_b32_e32 v101, 25
.LBB78_526:                             ; =>This Inner Loop Header: Depth=1
	s_waitcnt lgkmcnt(0)
	v_cmp_gt_f64_e32 vcc, 0, v[121:122]
	v_xor_b32_e32 v107, 0x80000000, v122
	ds_read2_b64 v[103:106], v102 offset1:1
	v_xor_b32_e32 v109, 0x80000000, v124
	v_add_u32_e32 v102, 16, v102
	s_waitcnt lgkmcnt(0)
	v_xor_b32_e32 v111, 0x80000000, v106
	v_cndmask_b32_e32 v108, v122, v107, vcc
	v_cmp_gt_f64_e32 vcc, 0, v[123:124]
	v_mov_b32_e32 v107, v121
	v_cndmask_b32_e32 v110, v124, v109, vcc
	v_cmp_gt_f64_e32 vcc, 0, v[103:104]
	v_mov_b32_e32 v109, v123
	v_add_f64 v[107:108], v[107:108], v[109:110]
	v_xor_b32_e32 v109, 0x80000000, v104
	v_cndmask_b32_e32 v110, v104, v109, vcc
	v_cmp_gt_f64_e32 vcc, 0, v[105:106]
	v_mov_b32_e32 v109, v103
	v_cndmask_b32_e32 v112, v106, v111, vcc
	v_mov_b32_e32 v111, v105
	v_add_f64 v[109:110], v[109:110], v[111:112]
	v_cmp_lt_f64_e32 vcc, v[107:108], v[109:110]
	v_cndmask_b32_e32 v121, v121, v103, vcc
	v_mov_b32_e32 v103, s0
	s_add_i32 s0, s0, 1
	v_cndmask_b32_e32 v122, v122, v104, vcc
	v_cndmask_b32_e32 v124, v124, v106, vcc
	;; [unrolled: 1-line block ×4, first 2 shown]
	s_cmp_lg_u32 s3, s0
	s_cbranch_scc1 .LBB78_526
.LBB78_527:
	s_waitcnt lgkmcnt(0)
	v_cmp_eq_f64_e32 vcc, 0, v[121:122]
	v_cmp_eq_f64_e64 s[0:1], 0, v[123:124]
	s_and_b64 s[0:1], vcc, s[0:1]
	s_and_saveexec_b64 s[18:19], s[0:1]
	s_xor_b64 s[0:1], exec, s[18:19]
; %bb.528:
	v_cmp_ne_u32_e32 vcc, 0, v99
	v_cndmask_b32_e32 v99, 26, v99, vcc
; %bb.529:
	s_andn2_saveexec_b64 s[0:1], s[0:1]
	s_cbranch_execz .LBB78_535
; %bb.530:
	v_cmp_ngt_f64_e64 s[18:19], |v[121:122]|, |v[123:124]|
	s_and_saveexec_b64 s[20:21], s[18:19]
	s_xor_b64 s[18:19], exec, s[20:21]
	s_cbranch_execz .LBB78_532
; %bb.531:
	v_div_scale_f64 v[102:103], s[20:21], v[123:124], v[123:124], v[121:122]
	v_rcp_f64_e32 v[104:105], v[102:103]
	v_fma_f64 v[106:107], -v[102:103], v[104:105], 1.0
	v_fma_f64 v[104:105], v[104:105], v[106:107], v[104:105]
	v_div_scale_f64 v[106:107], vcc, v[121:122], v[123:124], v[121:122]
	v_fma_f64 v[108:109], -v[102:103], v[104:105], 1.0
	v_fma_f64 v[104:105], v[104:105], v[108:109], v[104:105]
	v_mul_f64 v[108:109], v[106:107], v[104:105]
	v_fma_f64 v[102:103], -v[102:103], v[108:109], v[106:107]
	v_div_fmas_f64 v[102:103], v[102:103], v[104:105], v[108:109]
	v_div_fixup_f64 v[102:103], v[102:103], v[123:124], v[121:122]
	v_fma_f64 v[104:105], v[121:122], v[102:103], v[123:124]
	v_div_scale_f64 v[106:107], s[20:21], v[104:105], v[104:105], 1.0
	v_div_scale_f64 v[112:113], vcc, 1.0, v[104:105], 1.0
	v_rcp_f64_e32 v[108:109], v[106:107]
	v_fma_f64 v[110:111], -v[106:107], v[108:109], 1.0
	v_fma_f64 v[108:109], v[108:109], v[110:111], v[108:109]
	v_fma_f64 v[110:111], -v[106:107], v[108:109], 1.0
	v_fma_f64 v[108:109], v[108:109], v[110:111], v[108:109]
	v_mul_f64 v[110:111], v[112:113], v[108:109]
	v_fma_f64 v[106:107], -v[106:107], v[110:111], v[112:113]
	v_div_fmas_f64 v[106:107], v[106:107], v[108:109], v[110:111]
	v_div_fixup_f64 v[123:124], v[106:107], v[104:105], 1.0
	v_mul_f64 v[121:122], v[102:103], v[123:124]
	v_xor_b32_e32 v124, 0x80000000, v124
.LBB78_532:
	s_andn2_saveexec_b64 s[18:19], s[18:19]
	s_cbranch_execz .LBB78_534
; %bb.533:
	v_div_scale_f64 v[102:103], s[20:21], v[121:122], v[121:122], v[123:124]
	v_rcp_f64_e32 v[104:105], v[102:103]
	v_fma_f64 v[106:107], -v[102:103], v[104:105], 1.0
	v_fma_f64 v[104:105], v[104:105], v[106:107], v[104:105]
	v_div_scale_f64 v[106:107], vcc, v[123:124], v[121:122], v[123:124]
	v_fma_f64 v[108:109], -v[102:103], v[104:105], 1.0
	v_fma_f64 v[104:105], v[104:105], v[108:109], v[104:105]
	v_mul_f64 v[108:109], v[106:107], v[104:105]
	v_fma_f64 v[102:103], -v[102:103], v[108:109], v[106:107]
	v_div_fmas_f64 v[102:103], v[102:103], v[104:105], v[108:109]
	v_div_fixup_f64 v[102:103], v[102:103], v[121:122], v[123:124]
	v_fma_f64 v[104:105], v[123:124], v[102:103], v[121:122]
	v_div_scale_f64 v[106:107], s[20:21], v[104:105], v[104:105], 1.0
	v_div_scale_f64 v[112:113], vcc, 1.0, v[104:105], 1.0
	v_rcp_f64_e32 v[108:109], v[106:107]
	v_fma_f64 v[110:111], -v[106:107], v[108:109], 1.0
	v_fma_f64 v[108:109], v[108:109], v[110:111], v[108:109]
	v_fma_f64 v[110:111], -v[106:107], v[108:109], 1.0
	v_fma_f64 v[108:109], v[108:109], v[110:111], v[108:109]
	v_mul_f64 v[110:111], v[112:113], v[108:109]
	v_fma_f64 v[106:107], -v[106:107], v[110:111], v[112:113]
	v_div_fmas_f64 v[106:107], v[106:107], v[108:109], v[110:111]
	v_div_fixup_f64 v[121:122], v[106:107], v[104:105], 1.0
	v_mul_f64 v[123:124], v[102:103], -v[121:122]
.LBB78_534:
	s_or_b64 exec, exec, s[18:19]
.LBB78_535:
	s_or_b64 exec, exec, s[0:1]
	v_cmp_ne_u32_e32 vcc, v100, v101
	s_and_saveexec_b64 s[0:1], vcc
	s_xor_b64 s[0:1], exec, s[0:1]
	s_cbranch_execz .LBB78_541
; %bb.536:
	v_cmp_eq_u32_e32 vcc, 25, v100
	s_and_saveexec_b64 s[18:19], vcc
	s_cbranch_execz .LBB78_540
; %bb.537:
	v_cmp_ne_u32_e32 vcc, 25, v101
	s_xor_b64 s[20:21], s[6:7], -1
	s_and_b64 s[22:23], s[20:21], vcc
	s_and_saveexec_b64 s[20:21], s[22:23]
	s_cbranch_execz .LBB78_539
; %bb.538:
	v_ashrrev_i32_e32 v102, 31, v101
	v_lshlrev_b64 v[102:103], 2, v[101:102]
	v_add_co_u32_e32 v102, vcc, v115, v102
	v_addc_co_u32_e32 v103, vcc, v116, v103, vcc
	global_load_dword v0, v[102:103], off
	global_load_dword v100, v[115:116], off offset:100
	s_waitcnt vmcnt(1)
	global_store_dword v[115:116], v0, off offset:100
	s_waitcnt vmcnt(1)
	global_store_dword v[102:103], v100, off
.LBB78_539:
	s_or_b64 exec, exec, s[20:21]
	v_mov_b32_e32 v100, v101
	v_mov_b32_e32 v0, v101
.LBB78_540:
	s_or_b64 exec, exec, s[18:19]
.LBB78_541:
	s_andn2_saveexec_b64 s[0:1], s[0:1]
	s_cbranch_execz .LBB78_543
; %bb.542:
	v_mov_b32_e32 v100, 25
	ds_write2_b64 v98, v[49:50], v[51:52] offset0:52 offset1:53
	ds_write2_b64 v98, v[45:46], v[47:48] offset0:54 offset1:55
	;; [unrolled: 1-line block ×14, first 2 shown]
.LBB78_543:
	s_or_b64 exec, exec, s[0:1]
	v_cmp_lt_i32_e32 vcc, 25, v100
	s_waitcnt vmcnt(0) lgkmcnt(0)
	s_barrier
	s_and_saveexec_b64 s[0:1], vcc
	s_cbranch_execz .LBB78_545
; %bb.544:
	v_mul_f64 v[101:102], v[121:122], v[55:56]
	v_mul_f64 v[55:56], v[123:124], v[55:56]
	ds_read2_b64 v[103:106], v98 offset0:52 offset1:53
	v_fma_f64 v[101:102], v[123:124], v[53:54], v[101:102]
	v_fma_f64 v[53:54], v[121:122], v[53:54], -v[55:56]
	s_waitcnt lgkmcnt(0)
	v_mul_f64 v[55:56], v[105:106], v[101:102]
	v_fma_f64 v[55:56], v[103:104], v[53:54], -v[55:56]
	v_mul_f64 v[103:104], v[103:104], v[101:102]
	v_add_f64 v[49:50], v[49:50], -v[55:56]
	v_fma_f64 v[103:104], v[105:106], v[53:54], v[103:104]
	v_add_f64 v[51:52], v[51:52], -v[103:104]
	ds_read2_b64 v[103:106], v98 offset0:54 offset1:55
	s_waitcnt lgkmcnt(0)
	v_mul_f64 v[55:56], v[105:106], v[101:102]
	v_fma_f64 v[55:56], v[103:104], v[53:54], -v[55:56]
	v_mul_f64 v[103:104], v[103:104], v[101:102]
	v_add_f64 v[45:46], v[45:46], -v[55:56]
	v_fma_f64 v[103:104], v[105:106], v[53:54], v[103:104]
	v_add_f64 v[47:48], v[47:48], -v[103:104]
	ds_read2_b64 v[103:106], v98 offset0:56 offset1:57
	;; [unrolled: 8-line block ×13, first 2 shown]
	s_waitcnt lgkmcnt(0)
	v_mul_f64 v[55:56], v[105:106], v[101:102]
	v_fma_f64 v[55:56], v[103:104], v[53:54], -v[55:56]
	v_mul_f64 v[103:104], v[103:104], v[101:102]
	v_add_f64 v[117:118], v[117:118], -v[55:56]
	v_fma_f64 v[103:104], v[105:106], v[53:54], v[103:104]
	v_mov_b32_e32 v55, v101
	v_mov_b32_e32 v56, v102
	v_add_f64 v[119:120], v[119:120], -v[103:104]
.LBB78_545:
	s_or_b64 exec, exec, s[0:1]
	v_lshl_add_u32 v101, v100, 4, v98
	s_barrier
	ds_write2_b64 v101, v[49:50], v[51:52] offset1:1
	s_waitcnt lgkmcnt(0)
	s_barrier
	ds_read2_b64 v[121:124], v98 offset0:52 offset1:53
	s_cmp_lt_i32 s3, 28
	v_mov_b32_e32 v101, 26
	s_cbranch_scc1 .LBB78_548
; %bb.546:
	v_add_u32_e32 v102, 0x1b0, v98
	s_mov_b32 s0, 27
	v_mov_b32_e32 v101, 26
.LBB78_547:                             ; =>This Inner Loop Header: Depth=1
	s_waitcnt lgkmcnt(0)
	v_cmp_gt_f64_e32 vcc, 0, v[121:122]
	v_xor_b32_e32 v107, 0x80000000, v122
	ds_read2_b64 v[103:106], v102 offset1:1
	v_xor_b32_e32 v109, 0x80000000, v124
	v_add_u32_e32 v102, 16, v102
	s_waitcnt lgkmcnt(0)
	v_xor_b32_e32 v111, 0x80000000, v106
	v_cndmask_b32_e32 v108, v122, v107, vcc
	v_cmp_gt_f64_e32 vcc, 0, v[123:124]
	v_mov_b32_e32 v107, v121
	v_cndmask_b32_e32 v110, v124, v109, vcc
	v_cmp_gt_f64_e32 vcc, 0, v[103:104]
	v_mov_b32_e32 v109, v123
	v_add_f64 v[107:108], v[107:108], v[109:110]
	v_xor_b32_e32 v109, 0x80000000, v104
	v_cndmask_b32_e32 v110, v104, v109, vcc
	v_cmp_gt_f64_e32 vcc, 0, v[105:106]
	v_mov_b32_e32 v109, v103
	v_cndmask_b32_e32 v112, v106, v111, vcc
	v_mov_b32_e32 v111, v105
	v_add_f64 v[109:110], v[109:110], v[111:112]
	v_cmp_lt_f64_e32 vcc, v[107:108], v[109:110]
	v_cndmask_b32_e32 v121, v121, v103, vcc
	v_mov_b32_e32 v103, s0
	s_add_i32 s0, s0, 1
	v_cndmask_b32_e32 v122, v122, v104, vcc
	v_cndmask_b32_e32 v124, v124, v106, vcc
	v_cndmask_b32_e32 v123, v123, v105, vcc
	v_cndmask_b32_e32 v101, v101, v103, vcc
	s_cmp_lg_u32 s3, s0
	s_cbranch_scc1 .LBB78_547
.LBB78_548:
	s_waitcnt lgkmcnt(0)
	v_cmp_eq_f64_e32 vcc, 0, v[121:122]
	v_cmp_eq_f64_e64 s[0:1], 0, v[123:124]
	s_and_b64 s[0:1], vcc, s[0:1]
	s_and_saveexec_b64 s[18:19], s[0:1]
	s_xor_b64 s[0:1], exec, s[18:19]
; %bb.549:
	v_cmp_ne_u32_e32 vcc, 0, v99
	v_cndmask_b32_e32 v99, 27, v99, vcc
; %bb.550:
	s_andn2_saveexec_b64 s[0:1], s[0:1]
	s_cbranch_execz .LBB78_556
; %bb.551:
	v_cmp_ngt_f64_e64 s[18:19], |v[121:122]|, |v[123:124]|
	s_and_saveexec_b64 s[20:21], s[18:19]
	s_xor_b64 s[18:19], exec, s[20:21]
	s_cbranch_execz .LBB78_553
; %bb.552:
	v_div_scale_f64 v[102:103], s[20:21], v[123:124], v[123:124], v[121:122]
	v_rcp_f64_e32 v[104:105], v[102:103]
	v_fma_f64 v[106:107], -v[102:103], v[104:105], 1.0
	v_fma_f64 v[104:105], v[104:105], v[106:107], v[104:105]
	v_div_scale_f64 v[106:107], vcc, v[121:122], v[123:124], v[121:122]
	v_fma_f64 v[108:109], -v[102:103], v[104:105], 1.0
	v_fma_f64 v[104:105], v[104:105], v[108:109], v[104:105]
	v_mul_f64 v[108:109], v[106:107], v[104:105]
	v_fma_f64 v[102:103], -v[102:103], v[108:109], v[106:107]
	v_div_fmas_f64 v[102:103], v[102:103], v[104:105], v[108:109]
	v_div_fixup_f64 v[102:103], v[102:103], v[123:124], v[121:122]
	v_fma_f64 v[104:105], v[121:122], v[102:103], v[123:124]
	v_div_scale_f64 v[106:107], s[20:21], v[104:105], v[104:105], 1.0
	v_div_scale_f64 v[112:113], vcc, 1.0, v[104:105], 1.0
	v_rcp_f64_e32 v[108:109], v[106:107]
	v_fma_f64 v[110:111], -v[106:107], v[108:109], 1.0
	v_fma_f64 v[108:109], v[108:109], v[110:111], v[108:109]
	v_fma_f64 v[110:111], -v[106:107], v[108:109], 1.0
	v_fma_f64 v[108:109], v[108:109], v[110:111], v[108:109]
	v_mul_f64 v[110:111], v[112:113], v[108:109]
	v_fma_f64 v[106:107], -v[106:107], v[110:111], v[112:113]
	v_div_fmas_f64 v[106:107], v[106:107], v[108:109], v[110:111]
	v_div_fixup_f64 v[123:124], v[106:107], v[104:105], 1.0
	v_mul_f64 v[121:122], v[102:103], v[123:124]
	v_xor_b32_e32 v124, 0x80000000, v124
.LBB78_553:
	s_andn2_saveexec_b64 s[18:19], s[18:19]
	s_cbranch_execz .LBB78_555
; %bb.554:
	v_div_scale_f64 v[102:103], s[20:21], v[121:122], v[121:122], v[123:124]
	v_rcp_f64_e32 v[104:105], v[102:103]
	v_fma_f64 v[106:107], -v[102:103], v[104:105], 1.0
	v_fma_f64 v[104:105], v[104:105], v[106:107], v[104:105]
	v_div_scale_f64 v[106:107], vcc, v[123:124], v[121:122], v[123:124]
	v_fma_f64 v[108:109], -v[102:103], v[104:105], 1.0
	v_fma_f64 v[104:105], v[104:105], v[108:109], v[104:105]
	v_mul_f64 v[108:109], v[106:107], v[104:105]
	v_fma_f64 v[102:103], -v[102:103], v[108:109], v[106:107]
	v_div_fmas_f64 v[102:103], v[102:103], v[104:105], v[108:109]
	v_div_fixup_f64 v[102:103], v[102:103], v[121:122], v[123:124]
	v_fma_f64 v[104:105], v[123:124], v[102:103], v[121:122]
	v_div_scale_f64 v[106:107], s[20:21], v[104:105], v[104:105], 1.0
	v_div_scale_f64 v[112:113], vcc, 1.0, v[104:105], 1.0
	v_rcp_f64_e32 v[108:109], v[106:107]
	v_fma_f64 v[110:111], -v[106:107], v[108:109], 1.0
	v_fma_f64 v[108:109], v[108:109], v[110:111], v[108:109]
	v_fma_f64 v[110:111], -v[106:107], v[108:109], 1.0
	v_fma_f64 v[108:109], v[108:109], v[110:111], v[108:109]
	v_mul_f64 v[110:111], v[112:113], v[108:109]
	v_fma_f64 v[106:107], -v[106:107], v[110:111], v[112:113]
	v_div_fmas_f64 v[106:107], v[106:107], v[108:109], v[110:111]
	v_div_fixup_f64 v[121:122], v[106:107], v[104:105], 1.0
	v_mul_f64 v[123:124], v[102:103], -v[121:122]
.LBB78_555:
	s_or_b64 exec, exec, s[18:19]
.LBB78_556:
	s_or_b64 exec, exec, s[0:1]
	v_cmp_ne_u32_e32 vcc, v100, v101
	s_and_saveexec_b64 s[0:1], vcc
	s_xor_b64 s[0:1], exec, s[0:1]
	s_cbranch_execz .LBB78_562
; %bb.557:
	v_cmp_eq_u32_e32 vcc, 26, v100
	s_and_saveexec_b64 s[18:19], vcc
	s_cbranch_execz .LBB78_561
; %bb.558:
	v_cmp_ne_u32_e32 vcc, 26, v101
	s_xor_b64 s[20:21], s[6:7], -1
	s_and_b64 s[22:23], s[20:21], vcc
	s_and_saveexec_b64 s[20:21], s[22:23]
	s_cbranch_execz .LBB78_560
; %bb.559:
	v_ashrrev_i32_e32 v102, 31, v101
	v_lshlrev_b64 v[102:103], 2, v[101:102]
	v_add_co_u32_e32 v102, vcc, v115, v102
	v_addc_co_u32_e32 v103, vcc, v116, v103, vcc
	global_load_dword v0, v[102:103], off
	global_load_dword v100, v[115:116], off offset:104
	s_waitcnt vmcnt(1)
	global_store_dword v[115:116], v0, off offset:104
	s_waitcnt vmcnt(1)
	global_store_dword v[102:103], v100, off
.LBB78_560:
	s_or_b64 exec, exec, s[20:21]
	v_mov_b32_e32 v100, v101
	v_mov_b32_e32 v0, v101
.LBB78_561:
	s_or_b64 exec, exec, s[18:19]
.LBB78_562:
	s_andn2_saveexec_b64 s[0:1], s[0:1]
	s_cbranch_execz .LBB78_564
; %bb.563:
	v_mov_b32_e32 v100, 26
	ds_write2_b64 v98, v[45:46], v[47:48] offset0:54 offset1:55
	ds_write2_b64 v98, v[41:42], v[43:44] offset0:56 offset1:57
	;; [unrolled: 1-line block ×13, first 2 shown]
.LBB78_564:
	s_or_b64 exec, exec, s[0:1]
	v_cmp_lt_i32_e32 vcc, 26, v100
	s_waitcnt vmcnt(0) lgkmcnt(0)
	s_barrier
	s_and_saveexec_b64 s[0:1], vcc
	s_cbranch_execz .LBB78_566
; %bb.565:
	v_mul_f64 v[101:102], v[121:122], v[51:52]
	v_mul_f64 v[51:52], v[123:124], v[51:52]
	ds_read2_b64 v[103:106], v98 offset0:54 offset1:55
	v_fma_f64 v[101:102], v[123:124], v[49:50], v[101:102]
	v_fma_f64 v[49:50], v[121:122], v[49:50], -v[51:52]
	s_waitcnt lgkmcnt(0)
	v_mul_f64 v[51:52], v[105:106], v[101:102]
	v_fma_f64 v[51:52], v[103:104], v[49:50], -v[51:52]
	v_mul_f64 v[103:104], v[103:104], v[101:102]
	v_add_f64 v[45:46], v[45:46], -v[51:52]
	v_fma_f64 v[103:104], v[105:106], v[49:50], v[103:104]
	v_add_f64 v[47:48], v[47:48], -v[103:104]
	ds_read2_b64 v[103:106], v98 offset0:56 offset1:57
	s_waitcnt lgkmcnt(0)
	v_mul_f64 v[51:52], v[105:106], v[101:102]
	v_fma_f64 v[51:52], v[103:104], v[49:50], -v[51:52]
	v_mul_f64 v[103:104], v[103:104], v[101:102]
	v_add_f64 v[41:42], v[41:42], -v[51:52]
	v_fma_f64 v[103:104], v[105:106], v[49:50], v[103:104]
	v_add_f64 v[43:44], v[43:44], -v[103:104]
	ds_read2_b64 v[103:106], v98 offset0:58 offset1:59
	s_waitcnt lgkmcnt(0)
	v_mul_f64 v[51:52], v[105:106], v[101:102]
	v_fma_f64 v[51:52], v[103:104], v[49:50], -v[51:52]
	v_mul_f64 v[103:104], v[103:104], v[101:102]
	v_add_f64 v[37:38], v[37:38], -v[51:52]
	v_fma_f64 v[103:104], v[105:106], v[49:50], v[103:104]
	v_add_f64 v[39:40], v[39:40], -v[103:104]
	ds_read2_b64 v[103:106], v98 offset0:60 offset1:61
	s_waitcnt lgkmcnt(0)
	v_mul_f64 v[51:52], v[105:106], v[101:102]
	v_fma_f64 v[51:52], v[103:104], v[49:50], -v[51:52]
	v_mul_f64 v[103:104], v[103:104], v[101:102]
	v_add_f64 v[33:34], v[33:34], -v[51:52]
	v_fma_f64 v[103:104], v[105:106], v[49:50], v[103:104]
	v_add_f64 v[35:36], v[35:36], -v[103:104]
	ds_read2_b64 v[103:106], v98 offset0:62 offset1:63
	s_waitcnt lgkmcnt(0)
	v_mul_f64 v[51:52], v[105:106], v[101:102]
	v_fma_f64 v[51:52], v[103:104], v[49:50], -v[51:52]
	v_mul_f64 v[103:104], v[103:104], v[101:102]
	v_add_f64 v[29:30], v[29:30], -v[51:52]
	v_fma_f64 v[103:104], v[105:106], v[49:50], v[103:104]
	v_add_f64 v[31:32], v[31:32], -v[103:104]
	ds_read2_b64 v[103:106], v98 offset0:64 offset1:65
	s_waitcnt lgkmcnt(0)
	v_mul_f64 v[51:52], v[105:106], v[101:102]
	v_fma_f64 v[51:52], v[103:104], v[49:50], -v[51:52]
	v_mul_f64 v[103:104], v[103:104], v[101:102]
	v_add_f64 v[25:26], v[25:26], -v[51:52]
	v_fma_f64 v[103:104], v[105:106], v[49:50], v[103:104]
	v_add_f64 v[27:28], v[27:28], -v[103:104]
	ds_read2_b64 v[103:106], v98 offset0:66 offset1:67
	s_waitcnt lgkmcnt(0)
	v_mul_f64 v[51:52], v[105:106], v[101:102]
	v_fma_f64 v[51:52], v[103:104], v[49:50], -v[51:52]
	v_mul_f64 v[103:104], v[103:104], v[101:102]
	v_add_f64 v[21:22], v[21:22], -v[51:52]
	v_fma_f64 v[103:104], v[105:106], v[49:50], v[103:104]
	v_add_f64 v[23:24], v[23:24], -v[103:104]
	ds_read2_b64 v[103:106], v98 offset0:68 offset1:69
	s_waitcnt lgkmcnt(0)
	v_mul_f64 v[51:52], v[105:106], v[101:102]
	v_fma_f64 v[51:52], v[103:104], v[49:50], -v[51:52]
	v_mul_f64 v[103:104], v[103:104], v[101:102]
	v_add_f64 v[17:18], v[17:18], -v[51:52]
	v_fma_f64 v[103:104], v[105:106], v[49:50], v[103:104]
	v_add_f64 v[19:20], v[19:20], -v[103:104]
	ds_read2_b64 v[103:106], v98 offset0:70 offset1:71
	s_waitcnt lgkmcnt(0)
	v_mul_f64 v[51:52], v[105:106], v[101:102]
	v_fma_f64 v[51:52], v[103:104], v[49:50], -v[51:52]
	v_mul_f64 v[103:104], v[103:104], v[101:102]
	v_add_f64 v[13:14], v[13:14], -v[51:52]
	v_fma_f64 v[103:104], v[105:106], v[49:50], v[103:104]
	v_add_f64 v[15:16], v[15:16], -v[103:104]
	ds_read2_b64 v[103:106], v98 offset0:72 offset1:73
	s_waitcnt lgkmcnt(0)
	v_mul_f64 v[51:52], v[105:106], v[101:102]
	v_fma_f64 v[51:52], v[103:104], v[49:50], -v[51:52]
	v_mul_f64 v[103:104], v[103:104], v[101:102]
	v_add_f64 v[9:10], v[9:10], -v[51:52]
	v_fma_f64 v[103:104], v[105:106], v[49:50], v[103:104]
	v_add_f64 v[11:12], v[11:12], -v[103:104]
	ds_read2_b64 v[103:106], v98 offset0:74 offset1:75
	s_waitcnt lgkmcnt(0)
	v_mul_f64 v[51:52], v[105:106], v[101:102]
	v_fma_f64 v[51:52], v[103:104], v[49:50], -v[51:52]
	v_mul_f64 v[103:104], v[103:104], v[101:102]
	v_add_f64 v[5:6], v[5:6], -v[51:52]
	v_fma_f64 v[103:104], v[105:106], v[49:50], v[103:104]
	v_add_f64 v[7:8], v[7:8], -v[103:104]
	ds_read2_b64 v[103:106], v98 offset0:76 offset1:77
	s_waitcnt lgkmcnt(0)
	v_mul_f64 v[51:52], v[105:106], v[101:102]
	v_fma_f64 v[51:52], v[103:104], v[49:50], -v[51:52]
	v_mul_f64 v[103:104], v[103:104], v[101:102]
	v_add_f64 v[1:2], v[1:2], -v[51:52]
	v_fma_f64 v[103:104], v[105:106], v[49:50], v[103:104]
	v_add_f64 v[3:4], v[3:4], -v[103:104]
	ds_read2_b64 v[103:106], v98 offset0:78 offset1:79
	s_waitcnt lgkmcnt(0)
	v_mul_f64 v[51:52], v[105:106], v[101:102]
	v_fma_f64 v[51:52], v[103:104], v[49:50], -v[51:52]
	v_mul_f64 v[103:104], v[103:104], v[101:102]
	v_add_f64 v[117:118], v[117:118], -v[51:52]
	v_fma_f64 v[103:104], v[105:106], v[49:50], v[103:104]
	v_mov_b32_e32 v51, v101
	v_mov_b32_e32 v52, v102
	v_add_f64 v[119:120], v[119:120], -v[103:104]
.LBB78_566:
	s_or_b64 exec, exec, s[0:1]
	v_lshl_add_u32 v101, v100, 4, v98
	s_barrier
	ds_write2_b64 v101, v[45:46], v[47:48] offset1:1
	s_waitcnt lgkmcnt(0)
	s_barrier
	ds_read2_b64 v[121:124], v98 offset0:54 offset1:55
	s_cmp_lt_i32 s3, 29
	v_mov_b32_e32 v101, 27
	s_cbranch_scc1 .LBB78_569
; %bb.567:
	v_add_u32_e32 v102, 0x1c0, v98
	s_mov_b32 s0, 28
	v_mov_b32_e32 v101, 27
.LBB78_568:                             ; =>This Inner Loop Header: Depth=1
	s_waitcnt lgkmcnt(0)
	v_cmp_gt_f64_e32 vcc, 0, v[121:122]
	v_xor_b32_e32 v107, 0x80000000, v122
	ds_read2_b64 v[103:106], v102 offset1:1
	v_xor_b32_e32 v109, 0x80000000, v124
	v_add_u32_e32 v102, 16, v102
	s_waitcnt lgkmcnt(0)
	v_xor_b32_e32 v111, 0x80000000, v106
	v_cndmask_b32_e32 v108, v122, v107, vcc
	v_cmp_gt_f64_e32 vcc, 0, v[123:124]
	v_mov_b32_e32 v107, v121
	v_cndmask_b32_e32 v110, v124, v109, vcc
	v_cmp_gt_f64_e32 vcc, 0, v[103:104]
	v_mov_b32_e32 v109, v123
	v_add_f64 v[107:108], v[107:108], v[109:110]
	v_xor_b32_e32 v109, 0x80000000, v104
	v_cndmask_b32_e32 v110, v104, v109, vcc
	v_cmp_gt_f64_e32 vcc, 0, v[105:106]
	v_mov_b32_e32 v109, v103
	v_cndmask_b32_e32 v112, v106, v111, vcc
	v_mov_b32_e32 v111, v105
	v_add_f64 v[109:110], v[109:110], v[111:112]
	v_cmp_lt_f64_e32 vcc, v[107:108], v[109:110]
	v_cndmask_b32_e32 v121, v121, v103, vcc
	v_mov_b32_e32 v103, s0
	s_add_i32 s0, s0, 1
	v_cndmask_b32_e32 v122, v122, v104, vcc
	v_cndmask_b32_e32 v124, v124, v106, vcc
	;; [unrolled: 1-line block ×4, first 2 shown]
	s_cmp_lg_u32 s3, s0
	s_cbranch_scc1 .LBB78_568
.LBB78_569:
	s_waitcnt lgkmcnt(0)
	v_cmp_eq_f64_e32 vcc, 0, v[121:122]
	v_cmp_eq_f64_e64 s[0:1], 0, v[123:124]
	s_and_b64 s[0:1], vcc, s[0:1]
	s_and_saveexec_b64 s[18:19], s[0:1]
	s_xor_b64 s[0:1], exec, s[18:19]
; %bb.570:
	v_cmp_ne_u32_e32 vcc, 0, v99
	v_cndmask_b32_e32 v99, 28, v99, vcc
; %bb.571:
	s_andn2_saveexec_b64 s[0:1], s[0:1]
	s_cbranch_execz .LBB78_577
; %bb.572:
	v_cmp_ngt_f64_e64 s[18:19], |v[121:122]|, |v[123:124]|
	s_and_saveexec_b64 s[20:21], s[18:19]
	s_xor_b64 s[18:19], exec, s[20:21]
	s_cbranch_execz .LBB78_574
; %bb.573:
	v_div_scale_f64 v[102:103], s[20:21], v[123:124], v[123:124], v[121:122]
	v_rcp_f64_e32 v[104:105], v[102:103]
	v_fma_f64 v[106:107], -v[102:103], v[104:105], 1.0
	v_fma_f64 v[104:105], v[104:105], v[106:107], v[104:105]
	v_div_scale_f64 v[106:107], vcc, v[121:122], v[123:124], v[121:122]
	v_fma_f64 v[108:109], -v[102:103], v[104:105], 1.0
	v_fma_f64 v[104:105], v[104:105], v[108:109], v[104:105]
	v_mul_f64 v[108:109], v[106:107], v[104:105]
	v_fma_f64 v[102:103], -v[102:103], v[108:109], v[106:107]
	v_div_fmas_f64 v[102:103], v[102:103], v[104:105], v[108:109]
	v_div_fixup_f64 v[102:103], v[102:103], v[123:124], v[121:122]
	v_fma_f64 v[104:105], v[121:122], v[102:103], v[123:124]
	v_div_scale_f64 v[106:107], s[20:21], v[104:105], v[104:105], 1.0
	v_div_scale_f64 v[112:113], vcc, 1.0, v[104:105], 1.0
	v_rcp_f64_e32 v[108:109], v[106:107]
	v_fma_f64 v[110:111], -v[106:107], v[108:109], 1.0
	v_fma_f64 v[108:109], v[108:109], v[110:111], v[108:109]
	v_fma_f64 v[110:111], -v[106:107], v[108:109], 1.0
	v_fma_f64 v[108:109], v[108:109], v[110:111], v[108:109]
	v_mul_f64 v[110:111], v[112:113], v[108:109]
	v_fma_f64 v[106:107], -v[106:107], v[110:111], v[112:113]
	v_div_fmas_f64 v[106:107], v[106:107], v[108:109], v[110:111]
	v_div_fixup_f64 v[123:124], v[106:107], v[104:105], 1.0
	v_mul_f64 v[121:122], v[102:103], v[123:124]
	v_xor_b32_e32 v124, 0x80000000, v124
.LBB78_574:
	s_andn2_saveexec_b64 s[18:19], s[18:19]
	s_cbranch_execz .LBB78_576
; %bb.575:
	v_div_scale_f64 v[102:103], s[20:21], v[121:122], v[121:122], v[123:124]
	v_rcp_f64_e32 v[104:105], v[102:103]
	v_fma_f64 v[106:107], -v[102:103], v[104:105], 1.0
	v_fma_f64 v[104:105], v[104:105], v[106:107], v[104:105]
	v_div_scale_f64 v[106:107], vcc, v[123:124], v[121:122], v[123:124]
	v_fma_f64 v[108:109], -v[102:103], v[104:105], 1.0
	v_fma_f64 v[104:105], v[104:105], v[108:109], v[104:105]
	v_mul_f64 v[108:109], v[106:107], v[104:105]
	v_fma_f64 v[102:103], -v[102:103], v[108:109], v[106:107]
	v_div_fmas_f64 v[102:103], v[102:103], v[104:105], v[108:109]
	v_div_fixup_f64 v[102:103], v[102:103], v[121:122], v[123:124]
	v_fma_f64 v[104:105], v[123:124], v[102:103], v[121:122]
	v_div_scale_f64 v[106:107], s[20:21], v[104:105], v[104:105], 1.0
	v_div_scale_f64 v[112:113], vcc, 1.0, v[104:105], 1.0
	v_rcp_f64_e32 v[108:109], v[106:107]
	v_fma_f64 v[110:111], -v[106:107], v[108:109], 1.0
	v_fma_f64 v[108:109], v[108:109], v[110:111], v[108:109]
	v_fma_f64 v[110:111], -v[106:107], v[108:109], 1.0
	v_fma_f64 v[108:109], v[108:109], v[110:111], v[108:109]
	v_mul_f64 v[110:111], v[112:113], v[108:109]
	v_fma_f64 v[106:107], -v[106:107], v[110:111], v[112:113]
	v_div_fmas_f64 v[106:107], v[106:107], v[108:109], v[110:111]
	v_div_fixup_f64 v[121:122], v[106:107], v[104:105], 1.0
	v_mul_f64 v[123:124], v[102:103], -v[121:122]
.LBB78_576:
	s_or_b64 exec, exec, s[18:19]
.LBB78_577:
	s_or_b64 exec, exec, s[0:1]
	v_cmp_ne_u32_e32 vcc, v100, v101
	s_and_saveexec_b64 s[0:1], vcc
	s_xor_b64 s[0:1], exec, s[0:1]
	s_cbranch_execz .LBB78_583
; %bb.578:
	v_cmp_eq_u32_e32 vcc, 27, v100
	s_and_saveexec_b64 s[18:19], vcc
	s_cbranch_execz .LBB78_582
; %bb.579:
	v_cmp_ne_u32_e32 vcc, 27, v101
	s_xor_b64 s[20:21], s[6:7], -1
	s_and_b64 s[22:23], s[20:21], vcc
	s_and_saveexec_b64 s[20:21], s[22:23]
	s_cbranch_execz .LBB78_581
; %bb.580:
	v_ashrrev_i32_e32 v102, 31, v101
	v_lshlrev_b64 v[102:103], 2, v[101:102]
	v_add_co_u32_e32 v102, vcc, v115, v102
	v_addc_co_u32_e32 v103, vcc, v116, v103, vcc
	global_load_dword v0, v[102:103], off
	global_load_dword v100, v[115:116], off offset:108
	s_waitcnt vmcnt(1)
	global_store_dword v[115:116], v0, off offset:108
	s_waitcnt vmcnt(1)
	global_store_dword v[102:103], v100, off
.LBB78_581:
	s_or_b64 exec, exec, s[20:21]
	v_mov_b32_e32 v100, v101
	v_mov_b32_e32 v0, v101
.LBB78_582:
	s_or_b64 exec, exec, s[18:19]
.LBB78_583:
	s_andn2_saveexec_b64 s[0:1], s[0:1]
	s_cbranch_execz .LBB78_585
; %bb.584:
	v_mov_b32_e32 v100, 27
	ds_write2_b64 v98, v[41:42], v[43:44] offset0:56 offset1:57
	ds_write2_b64 v98, v[37:38], v[39:40] offset0:58 offset1:59
	;; [unrolled: 1-line block ×12, first 2 shown]
.LBB78_585:
	s_or_b64 exec, exec, s[0:1]
	v_cmp_lt_i32_e32 vcc, 27, v100
	s_waitcnt vmcnt(0) lgkmcnt(0)
	s_barrier
	s_and_saveexec_b64 s[0:1], vcc
	s_cbranch_execz .LBB78_587
; %bb.586:
	v_mul_f64 v[101:102], v[121:122], v[47:48]
	v_mul_f64 v[47:48], v[123:124], v[47:48]
	ds_read2_b64 v[103:106], v98 offset0:56 offset1:57
	v_fma_f64 v[101:102], v[123:124], v[45:46], v[101:102]
	v_fma_f64 v[45:46], v[121:122], v[45:46], -v[47:48]
	s_waitcnt lgkmcnt(0)
	v_mul_f64 v[47:48], v[105:106], v[101:102]
	v_fma_f64 v[47:48], v[103:104], v[45:46], -v[47:48]
	v_mul_f64 v[103:104], v[103:104], v[101:102]
	v_add_f64 v[41:42], v[41:42], -v[47:48]
	v_fma_f64 v[103:104], v[105:106], v[45:46], v[103:104]
	v_add_f64 v[43:44], v[43:44], -v[103:104]
	ds_read2_b64 v[103:106], v98 offset0:58 offset1:59
	s_waitcnt lgkmcnt(0)
	v_mul_f64 v[47:48], v[105:106], v[101:102]
	v_fma_f64 v[47:48], v[103:104], v[45:46], -v[47:48]
	v_mul_f64 v[103:104], v[103:104], v[101:102]
	v_add_f64 v[37:38], v[37:38], -v[47:48]
	v_fma_f64 v[103:104], v[105:106], v[45:46], v[103:104]
	v_add_f64 v[39:40], v[39:40], -v[103:104]
	ds_read2_b64 v[103:106], v98 offset0:60 offset1:61
	;; [unrolled: 8-line block ×11, first 2 shown]
	s_waitcnt lgkmcnt(0)
	v_mul_f64 v[47:48], v[105:106], v[101:102]
	v_fma_f64 v[47:48], v[103:104], v[45:46], -v[47:48]
	v_mul_f64 v[103:104], v[103:104], v[101:102]
	v_add_f64 v[117:118], v[117:118], -v[47:48]
	v_fma_f64 v[103:104], v[105:106], v[45:46], v[103:104]
	v_mov_b32_e32 v47, v101
	v_mov_b32_e32 v48, v102
	v_add_f64 v[119:120], v[119:120], -v[103:104]
.LBB78_587:
	s_or_b64 exec, exec, s[0:1]
	v_lshl_add_u32 v101, v100, 4, v98
	s_barrier
	ds_write2_b64 v101, v[41:42], v[43:44] offset1:1
	s_waitcnt lgkmcnt(0)
	s_barrier
	ds_read2_b64 v[121:124], v98 offset0:56 offset1:57
	s_cmp_lt_i32 s3, 30
	v_mov_b32_e32 v101, 28
	s_cbranch_scc1 .LBB78_590
; %bb.588:
	v_add_u32_e32 v102, 0x1d0, v98
	s_mov_b32 s0, 29
	v_mov_b32_e32 v101, 28
.LBB78_589:                             ; =>This Inner Loop Header: Depth=1
	s_waitcnt lgkmcnt(0)
	v_cmp_gt_f64_e32 vcc, 0, v[121:122]
	v_xor_b32_e32 v107, 0x80000000, v122
	ds_read2_b64 v[103:106], v102 offset1:1
	v_xor_b32_e32 v109, 0x80000000, v124
	v_add_u32_e32 v102, 16, v102
	s_waitcnt lgkmcnt(0)
	v_xor_b32_e32 v111, 0x80000000, v106
	v_cndmask_b32_e32 v108, v122, v107, vcc
	v_cmp_gt_f64_e32 vcc, 0, v[123:124]
	v_mov_b32_e32 v107, v121
	v_cndmask_b32_e32 v110, v124, v109, vcc
	v_cmp_gt_f64_e32 vcc, 0, v[103:104]
	v_mov_b32_e32 v109, v123
	v_add_f64 v[107:108], v[107:108], v[109:110]
	v_xor_b32_e32 v109, 0x80000000, v104
	v_cndmask_b32_e32 v110, v104, v109, vcc
	v_cmp_gt_f64_e32 vcc, 0, v[105:106]
	v_mov_b32_e32 v109, v103
	v_cndmask_b32_e32 v112, v106, v111, vcc
	v_mov_b32_e32 v111, v105
	v_add_f64 v[109:110], v[109:110], v[111:112]
	v_cmp_lt_f64_e32 vcc, v[107:108], v[109:110]
	v_cndmask_b32_e32 v121, v121, v103, vcc
	v_mov_b32_e32 v103, s0
	s_add_i32 s0, s0, 1
	v_cndmask_b32_e32 v122, v122, v104, vcc
	v_cndmask_b32_e32 v124, v124, v106, vcc
	;; [unrolled: 1-line block ×4, first 2 shown]
	s_cmp_lg_u32 s3, s0
	s_cbranch_scc1 .LBB78_589
.LBB78_590:
	s_waitcnt lgkmcnt(0)
	v_cmp_eq_f64_e32 vcc, 0, v[121:122]
	v_cmp_eq_f64_e64 s[0:1], 0, v[123:124]
	s_and_b64 s[0:1], vcc, s[0:1]
	s_and_saveexec_b64 s[18:19], s[0:1]
	s_xor_b64 s[0:1], exec, s[18:19]
; %bb.591:
	v_cmp_ne_u32_e32 vcc, 0, v99
	v_cndmask_b32_e32 v99, 29, v99, vcc
; %bb.592:
	s_andn2_saveexec_b64 s[0:1], s[0:1]
	s_cbranch_execz .LBB78_598
; %bb.593:
	v_cmp_ngt_f64_e64 s[18:19], |v[121:122]|, |v[123:124]|
	s_and_saveexec_b64 s[20:21], s[18:19]
	s_xor_b64 s[18:19], exec, s[20:21]
	s_cbranch_execz .LBB78_595
; %bb.594:
	v_div_scale_f64 v[102:103], s[20:21], v[123:124], v[123:124], v[121:122]
	v_rcp_f64_e32 v[104:105], v[102:103]
	v_fma_f64 v[106:107], -v[102:103], v[104:105], 1.0
	v_fma_f64 v[104:105], v[104:105], v[106:107], v[104:105]
	v_div_scale_f64 v[106:107], vcc, v[121:122], v[123:124], v[121:122]
	v_fma_f64 v[108:109], -v[102:103], v[104:105], 1.0
	v_fma_f64 v[104:105], v[104:105], v[108:109], v[104:105]
	v_mul_f64 v[108:109], v[106:107], v[104:105]
	v_fma_f64 v[102:103], -v[102:103], v[108:109], v[106:107]
	v_div_fmas_f64 v[102:103], v[102:103], v[104:105], v[108:109]
	v_div_fixup_f64 v[102:103], v[102:103], v[123:124], v[121:122]
	v_fma_f64 v[104:105], v[121:122], v[102:103], v[123:124]
	v_div_scale_f64 v[106:107], s[20:21], v[104:105], v[104:105], 1.0
	v_div_scale_f64 v[112:113], vcc, 1.0, v[104:105], 1.0
	v_rcp_f64_e32 v[108:109], v[106:107]
	v_fma_f64 v[110:111], -v[106:107], v[108:109], 1.0
	v_fma_f64 v[108:109], v[108:109], v[110:111], v[108:109]
	v_fma_f64 v[110:111], -v[106:107], v[108:109], 1.0
	v_fma_f64 v[108:109], v[108:109], v[110:111], v[108:109]
	v_mul_f64 v[110:111], v[112:113], v[108:109]
	v_fma_f64 v[106:107], -v[106:107], v[110:111], v[112:113]
	v_div_fmas_f64 v[106:107], v[106:107], v[108:109], v[110:111]
	v_div_fixup_f64 v[123:124], v[106:107], v[104:105], 1.0
	v_mul_f64 v[121:122], v[102:103], v[123:124]
	v_xor_b32_e32 v124, 0x80000000, v124
.LBB78_595:
	s_andn2_saveexec_b64 s[18:19], s[18:19]
	s_cbranch_execz .LBB78_597
; %bb.596:
	v_div_scale_f64 v[102:103], s[20:21], v[121:122], v[121:122], v[123:124]
	v_rcp_f64_e32 v[104:105], v[102:103]
	v_fma_f64 v[106:107], -v[102:103], v[104:105], 1.0
	v_fma_f64 v[104:105], v[104:105], v[106:107], v[104:105]
	v_div_scale_f64 v[106:107], vcc, v[123:124], v[121:122], v[123:124]
	v_fma_f64 v[108:109], -v[102:103], v[104:105], 1.0
	v_fma_f64 v[104:105], v[104:105], v[108:109], v[104:105]
	v_mul_f64 v[108:109], v[106:107], v[104:105]
	v_fma_f64 v[102:103], -v[102:103], v[108:109], v[106:107]
	v_div_fmas_f64 v[102:103], v[102:103], v[104:105], v[108:109]
	v_div_fixup_f64 v[102:103], v[102:103], v[121:122], v[123:124]
	v_fma_f64 v[104:105], v[123:124], v[102:103], v[121:122]
	v_div_scale_f64 v[106:107], s[20:21], v[104:105], v[104:105], 1.0
	v_div_scale_f64 v[112:113], vcc, 1.0, v[104:105], 1.0
	v_rcp_f64_e32 v[108:109], v[106:107]
	v_fma_f64 v[110:111], -v[106:107], v[108:109], 1.0
	v_fma_f64 v[108:109], v[108:109], v[110:111], v[108:109]
	v_fma_f64 v[110:111], -v[106:107], v[108:109], 1.0
	v_fma_f64 v[108:109], v[108:109], v[110:111], v[108:109]
	v_mul_f64 v[110:111], v[112:113], v[108:109]
	v_fma_f64 v[106:107], -v[106:107], v[110:111], v[112:113]
	v_div_fmas_f64 v[106:107], v[106:107], v[108:109], v[110:111]
	v_div_fixup_f64 v[121:122], v[106:107], v[104:105], 1.0
	v_mul_f64 v[123:124], v[102:103], -v[121:122]
.LBB78_597:
	s_or_b64 exec, exec, s[18:19]
.LBB78_598:
	s_or_b64 exec, exec, s[0:1]
	v_cmp_ne_u32_e32 vcc, v100, v101
	s_and_saveexec_b64 s[0:1], vcc
	s_xor_b64 s[0:1], exec, s[0:1]
	s_cbranch_execz .LBB78_604
; %bb.599:
	v_cmp_eq_u32_e32 vcc, 28, v100
	s_and_saveexec_b64 s[18:19], vcc
	s_cbranch_execz .LBB78_603
; %bb.600:
	v_cmp_ne_u32_e32 vcc, 28, v101
	s_xor_b64 s[20:21], s[6:7], -1
	s_and_b64 s[22:23], s[20:21], vcc
	s_and_saveexec_b64 s[20:21], s[22:23]
	s_cbranch_execz .LBB78_602
; %bb.601:
	v_ashrrev_i32_e32 v102, 31, v101
	v_lshlrev_b64 v[102:103], 2, v[101:102]
	v_add_co_u32_e32 v102, vcc, v115, v102
	v_addc_co_u32_e32 v103, vcc, v116, v103, vcc
	global_load_dword v0, v[102:103], off
	global_load_dword v100, v[115:116], off offset:112
	s_waitcnt vmcnt(1)
	global_store_dword v[115:116], v0, off offset:112
	s_waitcnt vmcnt(1)
	global_store_dword v[102:103], v100, off
.LBB78_602:
	s_or_b64 exec, exec, s[20:21]
	v_mov_b32_e32 v100, v101
	v_mov_b32_e32 v0, v101
.LBB78_603:
	s_or_b64 exec, exec, s[18:19]
.LBB78_604:
	s_andn2_saveexec_b64 s[0:1], s[0:1]
	s_cbranch_execz .LBB78_606
; %bb.605:
	v_mov_b32_e32 v100, 28
	ds_write2_b64 v98, v[37:38], v[39:40] offset0:58 offset1:59
	ds_write2_b64 v98, v[33:34], v[35:36] offset0:60 offset1:61
	;; [unrolled: 1-line block ×11, first 2 shown]
.LBB78_606:
	s_or_b64 exec, exec, s[0:1]
	v_cmp_lt_i32_e32 vcc, 28, v100
	s_waitcnt vmcnt(0) lgkmcnt(0)
	s_barrier
	s_and_saveexec_b64 s[0:1], vcc
	s_cbranch_execz .LBB78_608
; %bb.607:
	v_mul_f64 v[101:102], v[121:122], v[43:44]
	v_mul_f64 v[43:44], v[123:124], v[43:44]
	ds_read2_b64 v[103:106], v98 offset0:58 offset1:59
	v_fma_f64 v[101:102], v[123:124], v[41:42], v[101:102]
	v_fma_f64 v[41:42], v[121:122], v[41:42], -v[43:44]
	s_waitcnt lgkmcnt(0)
	v_mul_f64 v[43:44], v[105:106], v[101:102]
	v_fma_f64 v[43:44], v[103:104], v[41:42], -v[43:44]
	v_mul_f64 v[103:104], v[103:104], v[101:102]
	v_add_f64 v[37:38], v[37:38], -v[43:44]
	v_fma_f64 v[103:104], v[105:106], v[41:42], v[103:104]
	v_add_f64 v[39:40], v[39:40], -v[103:104]
	ds_read2_b64 v[103:106], v98 offset0:60 offset1:61
	s_waitcnt lgkmcnt(0)
	v_mul_f64 v[43:44], v[105:106], v[101:102]
	v_fma_f64 v[43:44], v[103:104], v[41:42], -v[43:44]
	v_mul_f64 v[103:104], v[103:104], v[101:102]
	v_add_f64 v[33:34], v[33:34], -v[43:44]
	v_fma_f64 v[103:104], v[105:106], v[41:42], v[103:104]
	v_add_f64 v[35:36], v[35:36], -v[103:104]
	ds_read2_b64 v[103:106], v98 offset0:62 offset1:63
	;; [unrolled: 8-line block ×10, first 2 shown]
	s_waitcnt lgkmcnt(0)
	v_mul_f64 v[43:44], v[105:106], v[101:102]
	v_fma_f64 v[43:44], v[103:104], v[41:42], -v[43:44]
	v_mul_f64 v[103:104], v[103:104], v[101:102]
	v_add_f64 v[117:118], v[117:118], -v[43:44]
	v_fma_f64 v[103:104], v[105:106], v[41:42], v[103:104]
	v_mov_b32_e32 v43, v101
	v_mov_b32_e32 v44, v102
	v_add_f64 v[119:120], v[119:120], -v[103:104]
.LBB78_608:
	s_or_b64 exec, exec, s[0:1]
	v_lshl_add_u32 v101, v100, 4, v98
	s_barrier
	ds_write2_b64 v101, v[37:38], v[39:40] offset1:1
	s_waitcnt lgkmcnt(0)
	s_barrier
	ds_read2_b64 v[121:124], v98 offset0:58 offset1:59
	s_cmp_lt_i32 s3, 31
	v_mov_b32_e32 v101, 29
	s_cbranch_scc1 .LBB78_611
; %bb.609:
	v_add_u32_e32 v102, 0x1e0, v98
	s_mov_b32 s0, 30
	v_mov_b32_e32 v101, 29
.LBB78_610:                             ; =>This Inner Loop Header: Depth=1
	s_waitcnt lgkmcnt(0)
	v_cmp_gt_f64_e32 vcc, 0, v[121:122]
	v_xor_b32_e32 v107, 0x80000000, v122
	ds_read2_b64 v[103:106], v102 offset1:1
	v_xor_b32_e32 v109, 0x80000000, v124
	v_add_u32_e32 v102, 16, v102
	s_waitcnt lgkmcnt(0)
	v_xor_b32_e32 v111, 0x80000000, v106
	v_cndmask_b32_e32 v108, v122, v107, vcc
	v_cmp_gt_f64_e32 vcc, 0, v[123:124]
	v_mov_b32_e32 v107, v121
	v_cndmask_b32_e32 v110, v124, v109, vcc
	v_cmp_gt_f64_e32 vcc, 0, v[103:104]
	v_mov_b32_e32 v109, v123
	v_add_f64 v[107:108], v[107:108], v[109:110]
	v_xor_b32_e32 v109, 0x80000000, v104
	v_cndmask_b32_e32 v110, v104, v109, vcc
	v_cmp_gt_f64_e32 vcc, 0, v[105:106]
	v_mov_b32_e32 v109, v103
	v_cndmask_b32_e32 v112, v106, v111, vcc
	v_mov_b32_e32 v111, v105
	v_add_f64 v[109:110], v[109:110], v[111:112]
	v_cmp_lt_f64_e32 vcc, v[107:108], v[109:110]
	v_cndmask_b32_e32 v121, v121, v103, vcc
	v_mov_b32_e32 v103, s0
	s_add_i32 s0, s0, 1
	v_cndmask_b32_e32 v122, v122, v104, vcc
	v_cndmask_b32_e32 v124, v124, v106, vcc
	;; [unrolled: 1-line block ×4, first 2 shown]
	s_cmp_lg_u32 s3, s0
	s_cbranch_scc1 .LBB78_610
.LBB78_611:
	s_waitcnt lgkmcnt(0)
	v_cmp_eq_f64_e32 vcc, 0, v[121:122]
	v_cmp_eq_f64_e64 s[0:1], 0, v[123:124]
	s_and_b64 s[0:1], vcc, s[0:1]
	s_and_saveexec_b64 s[18:19], s[0:1]
	s_xor_b64 s[0:1], exec, s[18:19]
; %bb.612:
	v_cmp_ne_u32_e32 vcc, 0, v99
	v_cndmask_b32_e32 v99, 30, v99, vcc
; %bb.613:
	s_andn2_saveexec_b64 s[0:1], s[0:1]
	s_cbranch_execz .LBB78_619
; %bb.614:
	v_cmp_ngt_f64_e64 s[18:19], |v[121:122]|, |v[123:124]|
	s_and_saveexec_b64 s[20:21], s[18:19]
	s_xor_b64 s[18:19], exec, s[20:21]
	s_cbranch_execz .LBB78_616
; %bb.615:
	v_div_scale_f64 v[102:103], s[20:21], v[123:124], v[123:124], v[121:122]
	v_rcp_f64_e32 v[104:105], v[102:103]
	v_fma_f64 v[106:107], -v[102:103], v[104:105], 1.0
	v_fma_f64 v[104:105], v[104:105], v[106:107], v[104:105]
	v_div_scale_f64 v[106:107], vcc, v[121:122], v[123:124], v[121:122]
	v_fma_f64 v[108:109], -v[102:103], v[104:105], 1.0
	v_fma_f64 v[104:105], v[104:105], v[108:109], v[104:105]
	v_mul_f64 v[108:109], v[106:107], v[104:105]
	v_fma_f64 v[102:103], -v[102:103], v[108:109], v[106:107]
	v_div_fmas_f64 v[102:103], v[102:103], v[104:105], v[108:109]
	v_div_fixup_f64 v[102:103], v[102:103], v[123:124], v[121:122]
	v_fma_f64 v[104:105], v[121:122], v[102:103], v[123:124]
	v_div_scale_f64 v[106:107], s[20:21], v[104:105], v[104:105], 1.0
	v_div_scale_f64 v[112:113], vcc, 1.0, v[104:105], 1.0
	v_rcp_f64_e32 v[108:109], v[106:107]
	v_fma_f64 v[110:111], -v[106:107], v[108:109], 1.0
	v_fma_f64 v[108:109], v[108:109], v[110:111], v[108:109]
	v_fma_f64 v[110:111], -v[106:107], v[108:109], 1.0
	v_fma_f64 v[108:109], v[108:109], v[110:111], v[108:109]
	v_mul_f64 v[110:111], v[112:113], v[108:109]
	v_fma_f64 v[106:107], -v[106:107], v[110:111], v[112:113]
	v_div_fmas_f64 v[106:107], v[106:107], v[108:109], v[110:111]
	v_div_fixup_f64 v[123:124], v[106:107], v[104:105], 1.0
	v_mul_f64 v[121:122], v[102:103], v[123:124]
	v_xor_b32_e32 v124, 0x80000000, v124
.LBB78_616:
	s_andn2_saveexec_b64 s[18:19], s[18:19]
	s_cbranch_execz .LBB78_618
; %bb.617:
	v_div_scale_f64 v[102:103], s[20:21], v[121:122], v[121:122], v[123:124]
	v_rcp_f64_e32 v[104:105], v[102:103]
	v_fma_f64 v[106:107], -v[102:103], v[104:105], 1.0
	v_fma_f64 v[104:105], v[104:105], v[106:107], v[104:105]
	v_div_scale_f64 v[106:107], vcc, v[123:124], v[121:122], v[123:124]
	v_fma_f64 v[108:109], -v[102:103], v[104:105], 1.0
	v_fma_f64 v[104:105], v[104:105], v[108:109], v[104:105]
	v_mul_f64 v[108:109], v[106:107], v[104:105]
	v_fma_f64 v[102:103], -v[102:103], v[108:109], v[106:107]
	v_div_fmas_f64 v[102:103], v[102:103], v[104:105], v[108:109]
	v_div_fixup_f64 v[102:103], v[102:103], v[121:122], v[123:124]
	v_fma_f64 v[104:105], v[123:124], v[102:103], v[121:122]
	v_div_scale_f64 v[106:107], s[20:21], v[104:105], v[104:105], 1.0
	v_div_scale_f64 v[112:113], vcc, 1.0, v[104:105], 1.0
	v_rcp_f64_e32 v[108:109], v[106:107]
	v_fma_f64 v[110:111], -v[106:107], v[108:109], 1.0
	v_fma_f64 v[108:109], v[108:109], v[110:111], v[108:109]
	v_fma_f64 v[110:111], -v[106:107], v[108:109], 1.0
	v_fma_f64 v[108:109], v[108:109], v[110:111], v[108:109]
	v_mul_f64 v[110:111], v[112:113], v[108:109]
	v_fma_f64 v[106:107], -v[106:107], v[110:111], v[112:113]
	v_div_fmas_f64 v[106:107], v[106:107], v[108:109], v[110:111]
	v_div_fixup_f64 v[121:122], v[106:107], v[104:105], 1.0
	v_mul_f64 v[123:124], v[102:103], -v[121:122]
.LBB78_618:
	s_or_b64 exec, exec, s[18:19]
.LBB78_619:
	s_or_b64 exec, exec, s[0:1]
	v_cmp_ne_u32_e32 vcc, v100, v101
	s_and_saveexec_b64 s[0:1], vcc
	s_xor_b64 s[0:1], exec, s[0:1]
	s_cbranch_execz .LBB78_625
; %bb.620:
	v_cmp_eq_u32_e32 vcc, 29, v100
	s_and_saveexec_b64 s[18:19], vcc
	s_cbranch_execz .LBB78_624
; %bb.621:
	v_cmp_ne_u32_e32 vcc, 29, v101
	s_xor_b64 s[20:21], s[6:7], -1
	s_and_b64 s[22:23], s[20:21], vcc
	s_and_saveexec_b64 s[20:21], s[22:23]
	s_cbranch_execz .LBB78_623
; %bb.622:
	v_ashrrev_i32_e32 v102, 31, v101
	v_lshlrev_b64 v[102:103], 2, v[101:102]
	v_add_co_u32_e32 v102, vcc, v115, v102
	v_addc_co_u32_e32 v103, vcc, v116, v103, vcc
	global_load_dword v0, v[102:103], off
	global_load_dword v100, v[115:116], off offset:116
	s_waitcnt vmcnt(1)
	global_store_dword v[115:116], v0, off offset:116
	s_waitcnt vmcnt(1)
	global_store_dword v[102:103], v100, off
.LBB78_623:
	s_or_b64 exec, exec, s[20:21]
	v_mov_b32_e32 v100, v101
	v_mov_b32_e32 v0, v101
.LBB78_624:
	s_or_b64 exec, exec, s[18:19]
.LBB78_625:
	s_andn2_saveexec_b64 s[0:1], s[0:1]
	s_cbranch_execz .LBB78_627
; %bb.626:
	v_mov_b32_e32 v100, 29
	ds_write2_b64 v98, v[33:34], v[35:36] offset0:60 offset1:61
	ds_write2_b64 v98, v[29:30], v[31:32] offset0:62 offset1:63
	;; [unrolled: 1-line block ×10, first 2 shown]
.LBB78_627:
	s_or_b64 exec, exec, s[0:1]
	v_cmp_lt_i32_e32 vcc, 29, v100
	s_waitcnt vmcnt(0) lgkmcnt(0)
	s_barrier
	s_and_saveexec_b64 s[0:1], vcc
	s_cbranch_execz .LBB78_629
; %bb.628:
	v_mul_f64 v[101:102], v[121:122], v[39:40]
	v_mul_f64 v[39:40], v[123:124], v[39:40]
	ds_read2_b64 v[103:106], v98 offset0:60 offset1:61
	v_fma_f64 v[101:102], v[123:124], v[37:38], v[101:102]
	v_fma_f64 v[37:38], v[121:122], v[37:38], -v[39:40]
	s_waitcnt lgkmcnt(0)
	v_mul_f64 v[39:40], v[105:106], v[101:102]
	v_fma_f64 v[39:40], v[103:104], v[37:38], -v[39:40]
	v_mul_f64 v[103:104], v[103:104], v[101:102]
	v_add_f64 v[33:34], v[33:34], -v[39:40]
	v_fma_f64 v[103:104], v[105:106], v[37:38], v[103:104]
	v_add_f64 v[35:36], v[35:36], -v[103:104]
	ds_read2_b64 v[103:106], v98 offset0:62 offset1:63
	s_waitcnt lgkmcnt(0)
	v_mul_f64 v[39:40], v[105:106], v[101:102]
	v_fma_f64 v[39:40], v[103:104], v[37:38], -v[39:40]
	v_mul_f64 v[103:104], v[103:104], v[101:102]
	v_add_f64 v[29:30], v[29:30], -v[39:40]
	v_fma_f64 v[103:104], v[105:106], v[37:38], v[103:104]
	v_add_f64 v[31:32], v[31:32], -v[103:104]
	ds_read2_b64 v[103:106], v98 offset0:64 offset1:65
	;; [unrolled: 8-line block ×9, first 2 shown]
	s_waitcnt lgkmcnt(0)
	v_mul_f64 v[39:40], v[105:106], v[101:102]
	v_fma_f64 v[39:40], v[103:104], v[37:38], -v[39:40]
	v_mul_f64 v[103:104], v[103:104], v[101:102]
	v_add_f64 v[117:118], v[117:118], -v[39:40]
	v_fma_f64 v[103:104], v[105:106], v[37:38], v[103:104]
	v_mov_b32_e32 v39, v101
	v_mov_b32_e32 v40, v102
	v_add_f64 v[119:120], v[119:120], -v[103:104]
.LBB78_629:
	s_or_b64 exec, exec, s[0:1]
	v_lshl_add_u32 v101, v100, 4, v98
	s_barrier
	ds_write2_b64 v101, v[33:34], v[35:36] offset1:1
	s_waitcnt lgkmcnt(0)
	s_barrier
	ds_read2_b64 v[121:124], v98 offset0:60 offset1:61
	s_cmp_lt_i32 s3, 32
	v_mov_b32_e32 v101, 30
	s_cbranch_scc1 .LBB78_632
; %bb.630:
	v_add_u32_e32 v102, 0x1f0, v98
	s_mov_b32 s0, 31
	v_mov_b32_e32 v101, 30
.LBB78_631:                             ; =>This Inner Loop Header: Depth=1
	s_waitcnt lgkmcnt(0)
	v_cmp_gt_f64_e32 vcc, 0, v[121:122]
	v_xor_b32_e32 v107, 0x80000000, v122
	ds_read2_b64 v[103:106], v102 offset1:1
	v_xor_b32_e32 v109, 0x80000000, v124
	v_add_u32_e32 v102, 16, v102
	s_waitcnt lgkmcnt(0)
	v_xor_b32_e32 v111, 0x80000000, v106
	v_cndmask_b32_e32 v108, v122, v107, vcc
	v_cmp_gt_f64_e32 vcc, 0, v[123:124]
	v_mov_b32_e32 v107, v121
	v_cndmask_b32_e32 v110, v124, v109, vcc
	v_cmp_gt_f64_e32 vcc, 0, v[103:104]
	v_mov_b32_e32 v109, v123
	v_add_f64 v[107:108], v[107:108], v[109:110]
	v_xor_b32_e32 v109, 0x80000000, v104
	v_cndmask_b32_e32 v110, v104, v109, vcc
	v_cmp_gt_f64_e32 vcc, 0, v[105:106]
	v_mov_b32_e32 v109, v103
	v_cndmask_b32_e32 v112, v106, v111, vcc
	v_mov_b32_e32 v111, v105
	v_add_f64 v[109:110], v[109:110], v[111:112]
	v_cmp_lt_f64_e32 vcc, v[107:108], v[109:110]
	v_cndmask_b32_e32 v121, v121, v103, vcc
	v_mov_b32_e32 v103, s0
	s_add_i32 s0, s0, 1
	v_cndmask_b32_e32 v122, v122, v104, vcc
	v_cndmask_b32_e32 v124, v124, v106, vcc
	;; [unrolled: 1-line block ×4, first 2 shown]
	s_cmp_lg_u32 s3, s0
	s_cbranch_scc1 .LBB78_631
.LBB78_632:
	s_waitcnt lgkmcnt(0)
	v_cmp_eq_f64_e32 vcc, 0, v[121:122]
	v_cmp_eq_f64_e64 s[0:1], 0, v[123:124]
	s_and_b64 s[0:1], vcc, s[0:1]
	s_and_saveexec_b64 s[18:19], s[0:1]
	s_xor_b64 s[0:1], exec, s[18:19]
; %bb.633:
	v_cmp_ne_u32_e32 vcc, 0, v99
	v_cndmask_b32_e32 v99, 31, v99, vcc
; %bb.634:
	s_andn2_saveexec_b64 s[0:1], s[0:1]
	s_cbranch_execz .LBB78_640
; %bb.635:
	v_cmp_ngt_f64_e64 s[18:19], |v[121:122]|, |v[123:124]|
	s_and_saveexec_b64 s[20:21], s[18:19]
	s_xor_b64 s[18:19], exec, s[20:21]
	s_cbranch_execz .LBB78_637
; %bb.636:
	v_div_scale_f64 v[102:103], s[20:21], v[123:124], v[123:124], v[121:122]
	v_rcp_f64_e32 v[104:105], v[102:103]
	v_fma_f64 v[106:107], -v[102:103], v[104:105], 1.0
	v_fma_f64 v[104:105], v[104:105], v[106:107], v[104:105]
	v_div_scale_f64 v[106:107], vcc, v[121:122], v[123:124], v[121:122]
	v_fma_f64 v[108:109], -v[102:103], v[104:105], 1.0
	v_fma_f64 v[104:105], v[104:105], v[108:109], v[104:105]
	v_mul_f64 v[108:109], v[106:107], v[104:105]
	v_fma_f64 v[102:103], -v[102:103], v[108:109], v[106:107]
	v_div_fmas_f64 v[102:103], v[102:103], v[104:105], v[108:109]
	v_div_fixup_f64 v[102:103], v[102:103], v[123:124], v[121:122]
	v_fma_f64 v[104:105], v[121:122], v[102:103], v[123:124]
	v_div_scale_f64 v[106:107], s[20:21], v[104:105], v[104:105], 1.0
	v_div_scale_f64 v[112:113], vcc, 1.0, v[104:105], 1.0
	v_rcp_f64_e32 v[108:109], v[106:107]
	v_fma_f64 v[110:111], -v[106:107], v[108:109], 1.0
	v_fma_f64 v[108:109], v[108:109], v[110:111], v[108:109]
	v_fma_f64 v[110:111], -v[106:107], v[108:109], 1.0
	v_fma_f64 v[108:109], v[108:109], v[110:111], v[108:109]
	v_mul_f64 v[110:111], v[112:113], v[108:109]
	v_fma_f64 v[106:107], -v[106:107], v[110:111], v[112:113]
	v_div_fmas_f64 v[106:107], v[106:107], v[108:109], v[110:111]
	v_div_fixup_f64 v[123:124], v[106:107], v[104:105], 1.0
	v_mul_f64 v[121:122], v[102:103], v[123:124]
	v_xor_b32_e32 v124, 0x80000000, v124
.LBB78_637:
	s_andn2_saveexec_b64 s[18:19], s[18:19]
	s_cbranch_execz .LBB78_639
; %bb.638:
	v_div_scale_f64 v[102:103], s[20:21], v[121:122], v[121:122], v[123:124]
	v_rcp_f64_e32 v[104:105], v[102:103]
	v_fma_f64 v[106:107], -v[102:103], v[104:105], 1.0
	v_fma_f64 v[104:105], v[104:105], v[106:107], v[104:105]
	v_div_scale_f64 v[106:107], vcc, v[123:124], v[121:122], v[123:124]
	v_fma_f64 v[108:109], -v[102:103], v[104:105], 1.0
	v_fma_f64 v[104:105], v[104:105], v[108:109], v[104:105]
	v_mul_f64 v[108:109], v[106:107], v[104:105]
	v_fma_f64 v[102:103], -v[102:103], v[108:109], v[106:107]
	v_div_fmas_f64 v[102:103], v[102:103], v[104:105], v[108:109]
	v_div_fixup_f64 v[102:103], v[102:103], v[121:122], v[123:124]
	v_fma_f64 v[104:105], v[123:124], v[102:103], v[121:122]
	v_div_scale_f64 v[106:107], s[20:21], v[104:105], v[104:105], 1.0
	v_div_scale_f64 v[112:113], vcc, 1.0, v[104:105], 1.0
	v_rcp_f64_e32 v[108:109], v[106:107]
	v_fma_f64 v[110:111], -v[106:107], v[108:109], 1.0
	v_fma_f64 v[108:109], v[108:109], v[110:111], v[108:109]
	v_fma_f64 v[110:111], -v[106:107], v[108:109], 1.0
	v_fma_f64 v[108:109], v[108:109], v[110:111], v[108:109]
	v_mul_f64 v[110:111], v[112:113], v[108:109]
	v_fma_f64 v[106:107], -v[106:107], v[110:111], v[112:113]
	v_div_fmas_f64 v[106:107], v[106:107], v[108:109], v[110:111]
	v_div_fixup_f64 v[121:122], v[106:107], v[104:105], 1.0
	v_mul_f64 v[123:124], v[102:103], -v[121:122]
.LBB78_639:
	s_or_b64 exec, exec, s[18:19]
.LBB78_640:
	s_or_b64 exec, exec, s[0:1]
	v_cmp_ne_u32_e32 vcc, v100, v101
	s_and_saveexec_b64 s[0:1], vcc
	s_xor_b64 s[0:1], exec, s[0:1]
	s_cbranch_execz .LBB78_646
; %bb.641:
	v_cmp_eq_u32_e32 vcc, 30, v100
	s_and_saveexec_b64 s[18:19], vcc
	s_cbranch_execz .LBB78_645
; %bb.642:
	v_cmp_ne_u32_e32 vcc, 30, v101
	s_xor_b64 s[20:21], s[6:7], -1
	s_and_b64 s[22:23], s[20:21], vcc
	s_and_saveexec_b64 s[20:21], s[22:23]
	s_cbranch_execz .LBB78_644
; %bb.643:
	v_ashrrev_i32_e32 v102, 31, v101
	v_lshlrev_b64 v[102:103], 2, v[101:102]
	v_add_co_u32_e32 v102, vcc, v115, v102
	v_addc_co_u32_e32 v103, vcc, v116, v103, vcc
	global_load_dword v0, v[102:103], off
	global_load_dword v100, v[115:116], off offset:120
	s_waitcnt vmcnt(1)
	global_store_dword v[115:116], v0, off offset:120
	s_waitcnt vmcnt(1)
	global_store_dword v[102:103], v100, off
.LBB78_644:
	s_or_b64 exec, exec, s[20:21]
	v_mov_b32_e32 v100, v101
	v_mov_b32_e32 v0, v101
.LBB78_645:
	s_or_b64 exec, exec, s[18:19]
.LBB78_646:
	s_andn2_saveexec_b64 s[0:1], s[0:1]
	s_cbranch_execz .LBB78_648
; %bb.647:
	v_mov_b32_e32 v100, 30
	ds_write2_b64 v98, v[29:30], v[31:32] offset0:62 offset1:63
	ds_write2_b64 v98, v[25:26], v[27:28] offset0:64 offset1:65
	;; [unrolled: 1-line block ×9, first 2 shown]
.LBB78_648:
	s_or_b64 exec, exec, s[0:1]
	v_cmp_lt_i32_e32 vcc, 30, v100
	s_waitcnt vmcnt(0) lgkmcnt(0)
	s_barrier
	s_and_saveexec_b64 s[0:1], vcc
	s_cbranch_execz .LBB78_650
; %bb.649:
	v_mul_f64 v[101:102], v[121:122], v[35:36]
	v_mul_f64 v[35:36], v[123:124], v[35:36]
	ds_read2_b64 v[103:106], v98 offset0:62 offset1:63
	v_fma_f64 v[101:102], v[123:124], v[33:34], v[101:102]
	v_fma_f64 v[33:34], v[121:122], v[33:34], -v[35:36]
	s_waitcnt lgkmcnt(0)
	v_mul_f64 v[35:36], v[105:106], v[101:102]
	v_fma_f64 v[35:36], v[103:104], v[33:34], -v[35:36]
	v_mul_f64 v[103:104], v[103:104], v[101:102]
	v_add_f64 v[29:30], v[29:30], -v[35:36]
	v_fma_f64 v[103:104], v[105:106], v[33:34], v[103:104]
	v_add_f64 v[31:32], v[31:32], -v[103:104]
	ds_read2_b64 v[103:106], v98 offset0:64 offset1:65
	s_waitcnt lgkmcnt(0)
	v_mul_f64 v[35:36], v[105:106], v[101:102]
	v_fma_f64 v[35:36], v[103:104], v[33:34], -v[35:36]
	v_mul_f64 v[103:104], v[103:104], v[101:102]
	v_add_f64 v[25:26], v[25:26], -v[35:36]
	v_fma_f64 v[103:104], v[105:106], v[33:34], v[103:104]
	v_add_f64 v[27:28], v[27:28], -v[103:104]
	ds_read2_b64 v[103:106], v98 offset0:66 offset1:67
	s_waitcnt lgkmcnt(0)
	v_mul_f64 v[35:36], v[105:106], v[101:102]
	v_fma_f64 v[35:36], v[103:104], v[33:34], -v[35:36]
	v_mul_f64 v[103:104], v[103:104], v[101:102]
	v_add_f64 v[21:22], v[21:22], -v[35:36]
	v_fma_f64 v[103:104], v[105:106], v[33:34], v[103:104]
	v_add_f64 v[23:24], v[23:24], -v[103:104]
	ds_read2_b64 v[103:106], v98 offset0:68 offset1:69
	s_waitcnt lgkmcnt(0)
	v_mul_f64 v[35:36], v[105:106], v[101:102]
	v_fma_f64 v[35:36], v[103:104], v[33:34], -v[35:36]
	v_mul_f64 v[103:104], v[103:104], v[101:102]
	v_add_f64 v[17:18], v[17:18], -v[35:36]
	v_fma_f64 v[103:104], v[105:106], v[33:34], v[103:104]
	v_add_f64 v[19:20], v[19:20], -v[103:104]
	ds_read2_b64 v[103:106], v98 offset0:70 offset1:71
	s_waitcnt lgkmcnt(0)
	v_mul_f64 v[35:36], v[105:106], v[101:102]
	v_fma_f64 v[35:36], v[103:104], v[33:34], -v[35:36]
	v_mul_f64 v[103:104], v[103:104], v[101:102]
	v_add_f64 v[13:14], v[13:14], -v[35:36]
	v_fma_f64 v[103:104], v[105:106], v[33:34], v[103:104]
	v_add_f64 v[15:16], v[15:16], -v[103:104]
	ds_read2_b64 v[103:106], v98 offset0:72 offset1:73
	s_waitcnt lgkmcnt(0)
	v_mul_f64 v[35:36], v[105:106], v[101:102]
	v_fma_f64 v[35:36], v[103:104], v[33:34], -v[35:36]
	v_mul_f64 v[103:104], v[103:104], v[101:102]
	v_add_f64 v[9:10], v[9:10], -v[35:36]
	v_fma_f64 v[103:104], v[105:106], v[33:34], v[103:104]
	v_add_f64 v[11:12], v[11:12], -v[103:104]
	ds_read2_b64 v[103:106], v98 offset0:74 offset1:75
	s_waitcnt lgkmcnt(0)
	v_mul_f64 v[35:36], v[105:106], v[101:102]
	v_fma_f64 v[35:36], v[103:104], v[33:34], -v[35:36]
	v_mul_f64 v[103:104], v[103:104], v[101:102]
	v_add_f64 v[5:6], v[5:6], -v[35:36]
	v_fma_f64 v[103:104], v[105:106], v[33:34], v[103:104]
	v_add_f64 v[7:8], v[7:8], -v[103:104]
	ds_read2_b64 v[103:106], v98 offset0:76 offset1:77
	s_waitcnt lgkmcnt(0)
	v_mul_f64 v[35:36], v[105:106], v[101:102]
	v_fma_f64 v[35:36], v[103:104], v[33:34], -v[35:36]
	v_mul_f64 v[103:104], v[103:104], v[101:102]
	v_add_f64 v[1:2], v[1:2], -v[35:36]
	v_fma_f64 v[103:104], v[105:106], v[33:34], v[103:104]
	v_add_f64 v[3:4], v[3:4], -v[103:104]
	ds_read2_b64 v[103:106], v98 offset0:78 offset1:79
	s_waitcnt lgkmcnt(0)
	v_mul_f64 v[35:36], v[105:106], v[101:102]
	v_fma_f64 v[35:36], v[103:104], v[33:34], -v[35:36]
	v_mul_f64 v[103:104], v[103:104], v[101:102]
	v_add_f64 v[117:118], v[117:118], -v[35:36]
	v_fma_f64 v[103:104], v[105:106], v[33:34], v[103:104]
	v_mov_b32_e32 v35, v101
	v_mov_b32_e32 v36, v102
	v_add_f64 v[119:120], v[119:120], -v[103:104]
.LBB78_650:
	s_or_b64 exec, exec, s[0:1]
	v_lshl_add_u32 v101, v100, 4, v98
	s_barrier
	ds_write2_b64 v101, v[29:30], v[31:32] offset1:1
	s_waitcnt lgkmcnt(0)
	s_barrier
	ds_read2_b64 v[121:124], v98 offset0:62 offset1:63
	s_cmp_lt_i32 s3, 33
	v_mov_b32_e32 v101, 31
	s_cbranch_scc1 .LBB78_653
; %bb.651:
	v_add_u32_e32 v102, 0x200, v98
	s_mov_b32 s0, 32
	v_mov_b32_e32 v101, 31
.LBB78_652:                             ; =>This Inner Loop Header: Depth=1
	s_waitcnt lgkmcnt(0)
	v_cmp_gt_f64_e32 vcc, 0, v[121:122]
	v_xor_b32_e32 v107, 0x80000000, v122
	ds_read2_b64 v[103:106], v102 offset1:1
	v_xor_b32_e32 v109, 0x80000000, v124
	v_add_u32_e32 v102, 16, v102
	s_waitcnt lgkmcnt(0)
	v_xor_b32_e32 v111, 0x80000000, v106
	v_cndmask_b32_e32 v108, v122, v107, vcc
	v_cmp_gt_f64_e32 vcc, 0, v[123:124]
	v_mov_b32_e32 v107, v121
	v_cndmask_b32_e32 v110, v124, v109, vcc
	v_cmp_gt_f64_e32 vcc, 0, v[103:104]
	v_mov_b32_e32 v109, v123
	v_add_f64 v[107:108], v[107:108], v[109:110]
	v_xor_b32_e32 v109, 0x80000000, v104
	v_cndmask_b32_e32 v110, v104, v109, vcc
	v_cmp_gt_f64_e32 vcc, 0, v[105:106]
	v_mov_b32_e32 v109, v103
	v_cndmask_b32_e32 v112, v106, v111, vcc
	v_mov_b32_e32 v111, v105
	v_add_f64 v[109:110], v[109:110], v[111:112]
	v_cmp_lt_f64_e32 vcc, v[107:108], v[109:110]
	v_cndmask_b32_e32 v121, v121, v103, vcc
	v_mov_b32_e32 v103, s0
	s_add_i32 s0, s0, 1
	v_cndmask_b32_e32 v122, v122, v104, vcc
	v_cndmask_b32_e32 v124, v124, v106, vcc
	;; [unrolled: 1-line block ×4, first 2 shown]
	s_cmp_lg_u32 s3, s0
	s_cbranch_scc1 .LBB78_652
.LBB78_653:
	s_waitcnt lgkmcnt(0)
	v_cmp_eq_f64_e32 vcc, 0, v[121:122]
	v_cmp_eq_f64_e64 s[0:1], 0, v[123:124]
	s_and_b64 s[0:1], vcc, s[0:1]
	s_and_saveexec_b64 s[18:19], s[0:1]
	s_xor_b64 s[0:1], exec, s[18:19]
; %bb.654:
	v_cmp_ne_u32_e32 vcc, 0, v99
	v_cndmask_b32_e32 v99, 32, v99, vcc
; %bb.655:
	s_andn2_saveexec_b64 s[0:1], s[0:1]
	s_cbranch_execz .LBB78_661
; %bb.656:
	v_cmp_ngt_f64_e64 s[18:19], |v[121:122]|, |v[123:124]|
	s_and_saveexec_b64 s[20:21], s[18:19]
	s_xor_b64 s[18:19], exec, s[20:21]
	s_cbranch_execz .LBB78_658
; %bb.657:
	v_div_scale_f64 v[102:103], s[20:21], v[123:124], v[123:124], v[121:122]
	v_rcp_f64_e32 v[104:105], v[102:103]
	v_fma_f64 v[106:107], -v[102:103], v[104:105], 1.0
	v_fma_f64 v[104:105], v[104:105], v[106:107], v[104:105]
	v_div_scale_f64 v[106:107], vcc, v[121:122], v[123:124], v[121:122]
	v_fma_f64 v[108:109], -v[102:103], v[104:105], 1.0
	v_fma_f64 v[104:105], v[104:105], v[108:109], v[104:105]
	v_mul_f64 v[108:109], v[106:107], v[104:105]
	v_fma_f64 v[102:103], -v[102:103], v[108:109], v[106:107]
	v_div_fmas_f64 v[102:103], v[102:103], v[104:105], v[108:109]
	v_div_fixup_f64 v[102:103], v[102:103], v[123:124], v[121:122]
	v_fma_f64 v[104:105], v[121:122], v[102:103], v[123:124]
	v_div_scale_f64 v[106:107], s[20:21], v[104:105], v[104:105], 1.0
	v_div_scale_f64 v[112:113], vcc, 1.0, v[104:105], 1.0
	v_rcp_f64_e32 v[108:109], v[106:107]
	v_fma_f64 v[110:111], -v[106:107], v[108:109], 1.0
	v_fma_f64 v[108:109], v[108:109], v[110:111], v[108:109]
	v_fma_f64 v[110:111], -v[106:107], v[108:109], 1.0
	v_fma_f64 v[108:109], v[108:109], v[110:111], v[108:109]
	v_mul_f64 v[110:111], v[112:113], v[108:109]
	v_fma_f64 v[106:107], -v[106:107], v[110:111], v[112:113]
	v_div_fmas_f64 v[106:107], v[106:107], v[108:109], v[110:111]
	v_div_fixup_f64 v[123:124], v[106:107], v[104:105], 1.0
	v_mul_f64 v[121:122], v[102:103], v[123:124]
	v_xor_b32_e32 v124, 0x80000000, v124
.LBB78_658:
	s_andn2_saveexec_b64 s[18:19], s[18:19]
	s_cbranch_execz .LBB78_660
; %bb.659:
	v_div_scale_f64 v[102:103], s[20:21], v[121:122], v[121:122], v[123:124]
	v_rcp_f64_e32 v[104:105], v[102:103]
	v_fma_f64 v[106:107], -v[102:103], v[104:105], 1.0
	v_fma_f64 v[104:105], v[104:105], v[106:107], v[104:105]
	v_div_scale_f64 v[106:107], vcc, v[123:124], v[121:122], v[123:124]
	v_fma_f64 v[108:109], -v[102:103], v[104:105], 1.0
	v_fma_f64 v[104:105], v[104:105], v[108:109], v[104:105]
	v_mul_f64 v[108:109], v[106:107], v[104:105]
	v_fma_f64 v[102:103], -v[102:103], v[108:109], v[106:107]
	v_div_fmas_f64 v[102:103], v[102:103], v[104:105], v[108:109]
	v_div_fixup_f64 v[102:103], v[102:103], v[121:122], v[123:124]
	v_fma_f64 v[104:105], v[123:124], v[102:103], v[121:122]
	v_div_scale_f64 v[106:107], s[20:21], v[104:105], v[104:105], 1.0
	v_div_scale_f64 v[112:113], vcc, 1.0, v[104:105], 1.0
	v_rcp_f64_e32 v[108:109], v[106:107]
	v_fma_f64 v[110:111], -v[106:107], v[108:109], 1.0
	v_fma_f64 v[108:109], v[108:109], v[110:111], v[108:109]
	v_fma_f64 v[110:111], -v[106:107], v[108:109], 1.0
	v_fma_f64 v[108:109], v[108:109], v[110:111], v[108:109]
	v_mul_f64 v[110:111], v[112:113], v[108:109]
	v_fma_f64 v[106:107], -v[106:107], v[110:111], v[112:113]
	v_div_fmas_f64 v[106:107], v[106:107], v[108:109], v[110:111]
	v_div_fixup_f64 v[121:122], v[106:107], v[104:105], 1.0
	v_mul_f64 v[123:124], v[102:103], -v[121:122]
.LBB78_660:
	s_or_b64 exec, exec, s[18:19]
.LBB78_661:
	s_or_b64 exec, exec, s[0:1]
	v_cmp_ne_u32_e32 vcc, v100, v101
	s_and_saveexec_b64 s[0:1], vcc
	s_xor_b64 s[0:1], exec, s[0:1]
	s_cbranch_execz .LBB78_667
; %bb.662:
	v_cmp_eq_u32_e32 vcc, 31, v100
	s_and_saveexec_b64 s[18:19], vcc
	s_cbranch_execz .LBB78_666
; %bb.663:
	v_cmp_ne_u32_e32 vcc, 31, v101
	s_xor_b64 s[20:21], s[6:7], -1
	s_and_b64 s[22:23], s[20:21], vcc
	s_and_saveexec_b64 s[20:21], s[22:23]
	s_cbranch_execz .LBB78_665
; %bb.664:
	v_ashrrev_i32_e32 v102, 31, v101
	v_lshlrev_b64 v[102:103], 2, v[101:102]
	v_add_co_u32_e32 v102, vcc, v115, v102
	v_addc_co_u32_e32 v103, vcc, v116, v103, vcc
	global_load_dword v0, v[102:103], off
	global_load_dword v100, v[115:116], off offset:124
	s_waitcnt vmcnt(1)
	global_store_dword v[115:116], v0, off offset:124
	s_waitcnt vmcnt(1)
	global_store_dword v[102:103], v100, off
.LBB78_665:
	s_or_b64 exec, exec, s[20:21]
	v_mov_b32_e32 v100, v101
	v_mov_b32_e32 v0, v101
.LBB78_666:
	s_or_b64 exec, exec, s[18:19]
.LBB78_667:
	s_andn2_saveexec_b64 s[0:1], s[0:1]
	s_cbranch_execz .LBB78_669
; %bb.668:
	v_mov_b32_e32 v100, 31
	ds_write2_b64 v98, v[25:26], v[27:28] offset0:64 offset1:65
	ds_write2_b64 v98, v[21:22], v[23:24] offset0:66 offset1:67
	;; [unrolled: 1-line block ×8, first 2 shown]
.LBB78_669:
	s_or_b64 exec, exec, s[0:1]
	v_cmp_lt_i32_e32 vcc, 31, v100
	s_waitcnt vmcnt(0) lgkmcnt(0)
	s_barrier
	s_and_saveexec_b64 s[0:1], vcc
	s_cbranch_execz .LBB78_671
; %bb.670:
	v_mul_f64 v[101:102], v[121:122], v[31:32]
	v_mul_f64 v[31:32], v[123:124], v[31:32]
	ds_read2_b64 v[103:106], v98 offset0:64 offset1:65
	v_fma_f64 v[101:102], v[123:124], v[29:30], v[101:102]
	v_fma_f64 v[29:30], v[121:122], v[29:30], -v[31:32]
	s_waitcnt lgkmcnt(0)
	v_mul_f64 v[31:32], v[105:106], v[101:102]
	v_fma_f64 v[31:32], v[103:104], v[29:30], -v[31:32]
	v_mul_f64 v[103:104], v[103:104], v[101:102]
	v_add_f64 v[25:26], v[25:26], -v[31:32]
	v_fma_f64 v[103:104], v[105:106], v[29:30], v[103:104]
	v_add_f64 v[27:28], v[27:28], -v[103:104]
	ds_read2_b64 v[103:106], v98 offset0:66 offset1:67
	s_waitcnt lgkmcnt(0)
	v_mul_f64 v[31:32], v[105:106], v[101:102]
	v_fma_f64 v[31:32], v[103:104], v[29:30], -v[31:32]
	v_mul_f64 v[103:104], v[103:104], v[101:102]
	v_add_f64 v[21:22], v[21:22], -v[31:32]
	v_fma_f64 v[103:104], v[105:106], v[29:30], v[103:104]
	v_add_f64 v[23:24], v[23:24], -v[103:104]
	ds_read2_b64 v[103:106], v98 offset0:68 offset1:69
	;; [unrolled: 8-line block ×7, first 2 shown]
	s_waitcnt lgkmcnt(0)
	v_mul_f64 v[31:32], v[105:106], v[101:102]
	v_fma_f64 v[31:32], v[103:104], v[29:30], -v[31:32]
	v_mul_f64 v[103:104], v[103:104], v[101:102]
	v_add_f64 v[117:118], v[117:118], -v[31:32]
	v_fma_f64 v[103:104], v[105:106], v[29:30], v[103:104]
	v_mov_b32_e32 v31, v101
	v_mov_b32_e32 v32, v102
	v_add_f64 v[119:120], v[119:120], -v[103:104]
.LBB78_671:
	s_or_b64 exec, exec, s[0:1]
	v_lshl_add_u32 v101, v100, 4, v98
	s_barrier
	ds_write2_b64 v101, v[25:26], v[27:28] offset1:1
	s_waitcnt lgkmcnt(0)
	s_barrier
	ds_read2_b64 v[121:124], v98 offset0:64 offset1:65
	s_cmp_lt_i32 s3, 34
	v_mov_b32_e32 v101, 32
	s_cbranch_scc1 .LBB78_674
; %bb.672:
	v_add_u32_e32 v102, 0x210, v98
	s_mov_b32 s0, 33
	v_mov_b32_e32 v101, 32
.LBB78_673:                             ; =>This Inner Loop Header: Depth=1
	s_waitcnt lgkmcnt(0)
	v_cmp_gt_f64_e32 vcc, 0, v[121:122]
	v_xor_b32_e32 v107, 0x80000000, v122
	ds_read2_b64 v[103:106], v102 offset1:1
	v_xor_b32_e32 v109, 0x80000000, v124
	v_add_u32_e32 v102, 16, v102
	s_waitcnt lgkmcnt(0)
	v_xor_b32_e32 v111, 0x80000000, v106
	v_cndmask_b32_e32 v108, v122, v107, vcc
	v_cmp_gt_f64_e32 vcc, 0, v[123:124]
	v_mov_b32_e32 v107, v121
	v_cndmask_b32_e32 v110, v124, v109, vcc
	v_cmp_gt_f64_e32 vcc, 0, v[103:104]
	v_mov_b32_e32 v109, v123
	v_add_f64 v[107:108], v[107:108], v[109:110]
	v_xor_b32_e32 v109, 0x80000000, v104
	v_cndmask_b32_e32 v110, v104, v109, vcc
	v_cmp_gt_f64_e32 vcc, 0, v[105:106]
	v_mov_b32_e32 v109, v103
	v_cndmask_b32_e32 v112, v106, v111, vcc
	v_mov_b32_e32 v111, v105
	v_add_f64 v[109:110], v[109:110], v[111:112]
	v_cmp_lt_f64_e32 vcc, v[107:108], v[109:110]
	v_cndmask_b32_e32 v121, v121, v103, vcc
	v_mov_b32_e32 v103, s0
	s_add_i32 s0, s0, 1
	v_cndmask_b32_e32 v122, v122, v104, vcc
	v_cndmask_b32_e32 v124, v124, v106, vcc
	;; [unrolled: 1-line block ×4, first 2 shown]
	s_cmp_lg_u32 s3, s0
	s_cbranch_scc1 .LBB78_673
.LBB78_674:
	s_waitcnt lgkmcnt(0)
	v_cmp_eq_f64_e32 vcc, 0, v[121:122]
	v_cmp_eq_f64_e64 s[0:1], 0, v[123:124]
	s_and_b64 s[0:1], vcc, s[0:1]
	s_and_saveexec_b64 s[18:19], s[0:1]
	s_xor_b64 s[0:1], exec, s[18:19]
; %bb.675:
	v_cmp_ne_u32_e32 vcc, 0, v99
	v_cndmask_b32_e32 v99, 33, v99, vcc
; %bb.676:
	s_andn2_saveexec_b64 s[0:1], s[0:1]
	s_cbranch_execz .LBB78_682
; %bb.677:
	v_cmp_ngt_f64_e64 s[18:19], |v[121:122]|, |v[123:124]|
	s_and_saveexec_b64 s[20:21], s[18:19]
	s_xor_b64 s[18:19], exec, s[20:21]
	s_cbranch_execz .LBB78_679
; %bb.678:
	v_div_scale_f64 v[102:103], s[20:21], v[123:124], v[123:124], v[121:122]
	v_rcp_f64_e32 v[104:105], v[102:103]
	v_fma_f64 v[106:107], -v[102:103], v[104:105], 1.0
	v_fma_f64 v[104:105], v[104:105], v[106:107], v[104:105]
	v_div_scale_f64 v[106:107], vcc, v[121:122], v[123:124], v[121:122]
	v_fma_f64 v[108:109], -v[102:103], v[104:105], 1.0
	v_fma_f64 v[104:105], v[104:105], v[108:109], v[104:105]
	v_mul_f64 v[108:109], v[106:107], v[104:105]
	v_fma_f64 v[102:103], -v[102:103], v[108:109], v[106:107]
	v_div_fmas_f64 v[102:103], v[102:103], v[104:105], v[108:109]
	v_div_fixup_f64 v[102:103], v[102:103], v[123:124], v[121:122]
	v_fma_f64 v[104:105], v[121:122], v[102:103], v[123:124]
	v_div_scale_f64 v[106:107], s[20:21], v[104:105], v[104:105], 1.0
	v_div_scale_f64 v[112:113], vcc, 1.0, v[104:105], 1.0
	v_rcp_f64_e32 v[108:109], v[106:107]
	v_fma_f64 v[110:111], -v[106:107], v[108:109], 1.0
	v_fma_f64 v[108:109], v[108:109], v[110:111], v[108:109]
	v_fma_f64 v[110:111], -v[106:107], v[108:109], 1.0
	v_fma_f64 v[108:109], v[108:109], v[110:111], v[108:109]
	v_mul_f64 v[110:111], v[112:113], v[108:109]
	v_fma_f64 v[106:107], -v[106:107], v[110:111], v[112:113]
	v_div_fmas_f64 v[106:107], v[106:107], v[108:109], v[110:111]
	v_div_fixup_f64 v[123:124], v[106:107], v[104:105], 1.0
	v_mul_f64 v[121:122], v[102:103], v[123:124]
	v_xor_b32_e32 v124, 0x80000000, v124
.LBB78_679:
	s_andn2_saveexec_b64 s[18:19], s[18:19]
	s_cbranch_execz .LBB78_681
; %bb.680:
	v_div_scale_f64 v[102:103], s[20:21], v[121:122], v[121:122], v[123:124]
	v_rcp_f64_e32 v[104:105], v[102:103]
	v_fma_f64 v[106:107], -v[102:103], v[104:105], 1.0
	v_fma_f64 v[104:105], v[104:105], v[106:107], v[104:105]
	v_div_scale_f64 v[106:107], vcc, v[123:124], v[121:122], v[123:124]
	v_fma_f64 v[108:109], -v[102:103], v[104:105], 1.0
	v_fma_f64 v[104:105], v[104:105], v[108:109], v[104:105]
	v_mul_f64 v[108:109], v[106:107], v[104:105]
	v_fma_f64 v[102:103], -v[102:103], v[108:109], v[106:107]
	v_div_fmas_f64 v[102:103], v[102:103], v[104:105], v[108:109]
	v_div_fixup_f64 v[102:103], v[102:103], v[121:122], v[123:124]
	v_fma_f64 v[104:105], v[123:124], v[102:103], v[121:122]
	v_div_scale_f64 v[106:107], s[20:21], v[104:105], v[104:105], 1.0
	v_div_scale_f64 v[112:113], vcc, 1.0, v[104:105], 1.0
	v_rcp_f64_e32 v[108:109], v[106:107]
	v_fma_f64 v[110:111], -v[106:107], v[108:109], 1.0
	v_fma_f64 v[108:109], v[108:109], v[110:111], v[108:109]
	v_fma_f64 v[110:111], -v[106:107], v[108:109], 1.0
	v_fma_f64 v[108:109], v[108:109], v[110:111], v[108:109]
	v_mul_f64 v[110:111], v[112:113], v[108:109]
	v_fma_f64 v[106:107], -v[106:107], v[110:111], v[112:113]
	v_div_fmas_f64 v[106:107], v[106:107], v[108:109], v[110:111]
	v_div_fixup_f64 v[121:122], v[106:107], v[104:105], 1.0
	v_mul_f64 v[123:124], v[102:103], -v[121:122]
.LBB78_681:
	s_or_b64 exec, exec, s[18:19]
.LBB78_682:
	s_or_b64 exec, exec, s[0:1]
	v_cmp_ne_u32_e32 vcc, v100, v101
	s_and_saveexec_b64 s[0:1], vcc
	s_xor_b64 s[0:1], exec, s[0:1]
	s_cbranch_execz .LBB78_688
; %bb.683:
	v_cmp_eq_u32_e32 vcc, 32, v100
	s_and_saveexec_b64 s[18:19], vcc
	s_cbranch_execz .LBB78_687
; %bb.684:
	v_cmp_ne_u32_e32 vcc, 32, v101
	s_xor_b64 s[20:21], s[6:7], -1
	s_and_b64 s[22:23], s[20:21], vcc
	s_and_saveexec_b64 s[20:21], s[22:23]
	s_cbranch_execz .LBB78_686
; %bb.685:
	v_ashrrev_i32_e32 v102, 31, v101
	v_lshlrev_b64 v[102:103], 2, v[101:102]
	v_add_co_u32_e32 v102, vcc, v115, v102
	v_addc_co_u32_e32 v103, vcc, v116, v103, vcc
	global_load_dword v0, v[102:103], off
	global_load_dword v100, v[115:116], off offset:128
	s_waitcnt vmcnt(1)
	global_store_dword v[115:116], v0, off offset:128
	s_waitcnt vmcnt(1)
	global_store_dword v[102:103], v100, off
.LBB78_686:
	s_or_b64 exec, exec, s[20:21]
	v_mov_b32_e32 v100, v101
	v_mov_b32_e32 v0, v101
.LBB78_687:
	s_or_b64 exec, exec, s[18:19]
.LBB78_688:
	s_andn2_saveexec_b64 s[0:1], s[0:1]
	s_cbranch_execz .LBB78_690
; %bb.689:
	v_mov_b32_e32 v100, 32
	ds_write2_b64 v98, v[21:22], v[23:24] offset0:66 offset1:67
	ds_write2_b64 v98, v[17:18], v[19:20] offset0:68 offset1:69
	;; [unrolled: 1-line block ×7, first 2 shown]
.LBB78_690:
	s_or_b64 exec, exec, s[0:1]
	v_cmp_lt_i32_e32 vcc, 32, v100
	s_waitcnt vmcnt(0) lgkmcnt(0)
	s_barrier
	s_and_saveexec_b64 s[0:1], vcc
	s_cbranch_execz .LBB78_692
; %bb.691:
	v_mul_f64 v[101:102], v[121:122], v[27:28]
	v_mul_f64 v[27:28], v[123:124], v[27:28]
	ds_read2_b64 v[103:106], v98 offset0:66 offset1:67
	v_fma_f64 v[101:102], v[123:124], v[25:26], v[101:102]
	v_fma_f64 v[25:26], v[121:122], v[25:26], -v[27:28]
	s_waitcnt lgkmcnt(0)
	v_mul_f64 v[27:28], v[105:106], v[101:102]
	v_fma_f64 v[27:28], v[103:104], v[25:26], -v[27:28]
	v_mul_f64 v[103:104], v[103:104], v[101:102]
	v_add_f64 v[21:22], v[21:22], -v[27:28]
	v_fma_f64 v[103:104], v[105:106], v[25:26], v[103:104]
	v_add_f64 v[23:24], v[23:24], -v[103:104]
	ds_read2_b64 v[103:106], v98 offset0:68 offset1:69
	s_waitcnt lgkmcnt(0)
	v_mul_f64 v[27:28], v[105:106], v[101:102]
	v_fma_f64 v[27:28], v[103:104], v[25:26], -v[27:28]
	v_mul_f64 v[103:104], v[103:104], v[101:102]
	v_add_f64 v[17:18], v[17:18], -v[27:28]
	v_fma_f64 v[103:104], v[105:106], v[25:26], v[103:104]
	v_add_f64 v[19:20], v[19:20], -v[103:104]
	ds_read2_b64 v[103:106], v98 offset0:70 offset1:71
	;; [unrolled: 8-line block ×6, first 2 shown]
	s_waitcnt lgkmcnt(0)
	v_mul_f64 v[27:28], v[105:106], v[101:102]
	v_fma_f64 v[27:28], v[103:104], v[25:26], -v[27:28]
	v_mul_f64 v[103:104], v[103:104], v[101:102]
	v_add_f64 v[117:118], v[117:118], -v[27:28]
	v_fma_f64 v[103:104], v[105:106], v[25:26], v[103:104]
	v_mov_b32_e32 v27, v101
	v_mov_b32_e32 v28, v102
	v_add_f64 v[119:120], v[119:120], -v[103:104]
.LBB78_692:
	s_or_b64 exec, exec, s[0:1]
	v_lshl_add_u32 v101, v100, 4, v98
	s_barrier
	ds_write2_b64 v101, v[21:22], v[23:24] offset1:1
	s_waitcnt lgkmcnt(0)
	s_barrier
	ds_read2_b64 v[121:124], v98 offset0:66 offset1:67
	s_cmp_lt_i32 s3, 35
	v_mov_b32_e32 v101, 33
	s_cbranch_scc1 .LBB78_695
; %bb.693:
	v_add_u32_e32 v102, 0x220, v98
	s_mov_b32 s0, 34
	v_mov_b32_e32 v101, 33
.LBB78_694:                             ; =>This Inner Loop Header: Depth=1
	s_waitcnt lgkmcnt(0)
	v_cmp_gt_f64_e32 vcc, 0, v[121:122]
	v_xor_b32_e32 v107, 0x80000000, v122
	ds_read2_b64 v[103:106], v102 offset1:1
	v_xor_b32_e32 v109, 0x80000000, v124
	v_add_u32_e32 v102, 16, v102
	s_waitcnt lgkmcnt(0)
	v_xor_b32_e32 v111, 0x80000000, v106
	v_cndmask_b32_e32 v108, v122, v107, vcc
	v_cmp_gt_f64_e32 vcc, 0, v[123:124]
	v_mov_b32_e32 v107, v121
	v_cndmask_b32_e32 v110, v124, v109, vcc
	v_cmp_gt_f64_e32 vcc, 0, v[103:104]
	v_mov_b32_e32 v109, v123
	v_add_f64 v[107:108], v[107:108], v[109:110]
	v_xor_b32_e32 v109, 0x80000000, v104
	v_cndmask_b32_e32 v110, v104, v109, vcc
	v_cmp_gt_f64_e32 vcc, 0, v[105:106]
	v_mov_b32_e32 v109, v103
	v_cndmask_b32_e32 v112, v106, v111, vcc
	v_mov_b32_e32 v111, v105
	v_add_f64 v[109:110], v[109:110], v[111:112]
	v_cmp_lt_f64_e32 vcc, v[107:108], v[109:110]
	v_cndmask_b32_e32 v121, v121, v103, vcc
	v_mov_b32_e32 v103, s0
	s_add_i32 s0, s0, 1
	v_cndmask_b32_e32 v122, v122, v104, vcc
	v_cndmask_b32_e32 v124, v124, v106, vcc
	;; [unrolled: 1-line block ×4, first 2 shown]
	s_cmp_lg_u32 s3, s0
	s_cbranch_scc1 .LBB78_694
.LBB78_695:
	s_waitcnt lgkmcnt(0)
	v_cmp_eq_f64_e32 vcc, 0, v[121:122]
	v_cmp_eq_f64_e64 s[0:1], 0, v[123:124]
	s_and_b64 s[0:1], vcc, s[0:1]
	s_and_saveexec_b64 s[18:19], s[0:1]
	s_xor_b64 s[0:1], exec, s[18:19]
; %bb.696:
	v_cmp_ne_u32_e32 vcc, 0, v99
	v_cndmask_b32_e32 v99, 34, v99, vcc
; %bb.697:
	s_andn2_saveexec_b64 s[0:1], s[0:1]
	s_cbranch_execz .LBB78_703
; %bb.698:
	v_cmp_ngt_f64_e64 s[18:19], |v[121:122]|, |v[123:124]|
	s_and_saveexec_b64 s[20:21], s[18:19]
	s_xor_b64 s[18:19], exec, s[20:21]
	s_cbranch_execz .LBB78_700
; %bb.699:
	v_div_scale_f64 v[102:103], s[20:21], v[123:124], v[123:124], v[121:122]
	v_rcp_f64_e32 v[104:105], v[102:103]
	v_fma_f64 v[106:107], -v[102:103], v[104:105], 1.0
	v_fma_f64 v[104:105], v[104:105], v[106:107], v[104:105]
	v_div_scale_f64 v[106:107], vcc, v[121:122], v[123:124], v[121:122]
	v_fma_f64 v[108:109], -v[102:103], v[104:105], 1.0
	v_fma_f64 v[104:105], v[104:105], v[108:109], v[104:105]
	v_mul_f64 v[108:109], v[106:107], v[104:105]
	v_fma_f64 v[102:103], -v[102:103], v[108:109], v[106:107]
	v_div_fmas_f64 v[102:103], v[102:103], v[104:105], v[108:109]
	v_div_fixup_f64 v[102:103], v[102:103], v[123:124], v[121:122]
	v_fma_f64 v[104:105], v[121:122], v[102:103], v[123:124]
	v_div_scale_f64 v[106:107], s[20:21], v[104:105], v[104:105], 1.0
	v_div_scale_f64 v[112:113], vcc, 1.0, v[104:105], 1.0
	v_rcp_f64_e32 v[108:109], v[106:107]
	v_fma_f64 v[110:111], -v[106:107], v[108:109], 1.0
	v_fma_f64 v[108:109], v[108:109], v[110:111], v[108:109]
	v_fma_f64 v[110:111], -v[106:107], v[108:109], 1.0
	v_fma_f64 v[108:109], v[108:109], v[110:111], v[108:109]
	v_mul_f64 v[110:111], v[112:113], v[108:109]
	v_fma_f64 v[106:107], -v[106:107], v[110:111], v[112:113]
	v_div_fmas_f64 v[106:107], v[106:107], v[108:109], v[110:111]
	v_div_fixup_f64 v[123:124], v[106:107], v[104:105], 1.0
	v_mul_f64 v[121:122], v[102:103], v[123:124]
	v_xor_b32_e32 v124, 0x80000000, v124
.LBB78_700:
	s_andn2_saveexec_b64 s[18:19], s[18:19]
	s_cbranch_execz .LBB78_702
; %bb.701:
	v_div_scale_f64 v[102:103], s[20:21], v[121:122], v[121:122], v[123:124]
	v_rcp_f64_e32 v[104:105], v[102:103]
	v_fma_f64 v[106:107], -v[102:103], v[104:105], 1.0
	v_fma_f64 v[104:105], v[104:105], v[106:107], v[104:105]
	v_div_scale_f64 v[106:107], vcc, v[123:124], v[121:122], v[123:124]
	v_fma_f64 v[108:109], -v[102:103], v[104:105], 1.0
	v_fma_f64 v[104:105], v[104:105], v[108:109], v[104:105]
	v_mul_f64 v[108:109], v[106:107], v[104:105]
	v_fma_f64 v[102:103], -v[102:103], v[108:109], v[106:107]
	v_div_fmas_f64 v[102:103], v[102:103], v[104:105], v[108:109]
	v_div_fixup_f64 v[102:103], v[102:103], v[121:122], v[123:124]
	v_fma_f64 v[104:105], v[123:124], v[102:103], v[121:122]
	v_div_scale_f64 v[106:107], s[20:21], v[104:105], v[104:105], 1.0
	v_div_scale_f64 v[112:113], vcc, 1.0, v[104:105], 1.0
	v_rcp_f64_e32 v[108:109], v[106:107]
	v_fma_f64 v[110:111], -v[106:107], v[108:109], 1.0
	v_fma_f64 v[108:109], v[108:109], v[110:111], v[108:109]
	v_fma_f64 v[110:111], -v[106:107], v[108:109], 1.0
	v_fma_f64 v[108:109], v[108:109], v[110:111], v[108:109]
	v_mul_f64 v[110:111], v[112:113], v[108:109]
	v_fma_f64 v[106:107], -v[106:107], v[110:111], v[112:113]
	v_div_fmas_f64 v[106:107], v[106:107], v[108:109], v[110:111]
	v_div_fixup_f64 v[121:122], v[106:107], v[104:105], 1.0
	v_mul_f64 v[123:124], v[102:103], -v[121:122]
.LBB78_702:
	s_or_b64 exec, exec, s[18:19]
.LBB78_703:
	s_or_b64 exec, exec, s[0:1]
	v_cmp_ne_u32_e32 vcc, v100, v101
	s_and_saveexec_b64 s[0:1], vcc
	s_xor_b64 s[0:1], exec, s[0:1]
	s_cbranch_execz .LBB78_709
; %bb.704:
	v_cmp_eq_u32_e32 vcc, 33, v100
	s_and_saveexec_b64 s[18:19], vcc
	s_cbranch_execz .LBB78_708
; %bb.705:
	v_cmp_ne_u32_e32 vcc, 33, v101
	s_xor_b64 s[20:21], s[6:7], -1
	s_and_b64 s[22:23], s[20:21], vcc
	s_and_saveexec_b64 s[20:21], s[22:23]
	s_cbranch_execz .LBB78_707
; %bb.706:
	v_ashrrev_i32_e32 v102, 31, v101
	v_lshlrev_b64 v[102:103], 2, v[101:102]
	v_add_co_u32_e32 v102, vcc, v115, v102
	v_addc_co_u32_e32 v103, vcc, v116, v103, vcc
	global_load_dword v0, v[102:103], off
	global_load_dword v100, v[115:116], off offset:132
	s_waitcnt vmcnt(1)
	global_store_dword v[115:116], v0, off offset:132
	s_waitcnt vmcnt(1)
	global_store_dword v[102:103], v100, off
.LBB78_707:
	s_or_b64 exec, exec, s[20:21]
	v_mov_b32_e32 v100, v101
	v_mov_b32_e32 v0, v101
.LBB78_708:
	s_or_b64 exec, exec, s[18:19]
.LBB78_709:
	s_andn2_saveexec_b64 s[0:1], s[0:1]
	s_cbranch_execz .LBB78_711
; %bb.710:
	v_mov_b32_e32 v100, 33
	ds_write2_b64 v98, v[17:18], v[19:20] offset0:68 offset1:69
	ds_write2_b64 v98, v[13:14], v[15:16] offset0:70 offset1:71
	;; [unrolled: 1-line block ×6, first 2 shown]
.LBB78_711:
	s_or_b64 exec, exec, s[0:1]
	v_cmp_lt_i32_e32 vcc, 33, v100
	s_waitcnt vmcnt(0) lgkmcnt(0)
	s_barrier
	s_and_saveexec_b64 s[0:1], vcc
	s_cbranch_execz .LBB78_713
; %bb.712:
	v_mul_f64 v[101:102], v[121:122], v[23:24]
	v_mul_f64 v[23:24], v[123:124], v[23:24]
	ds_read2_b64 v[103:106], v98 offset0:68 offset1:69
	v_fma_f64 v[101:102], v[123:124], v[21:22], v[101:102]
	v_fma_f64 v[21:22], v[121:122], v[21:22], -v[23:24]
	s_waitcnt lgkmcnt(0)
	v_mul_f64 v[23:24], v[105:106], v[101:102]
	v_fma_f64 v[23:24], v[103:104], v[21:22], -v[23:24]
	v_mul_f64 v[103:104], v[103:104], v[101:102]
	v_add_f64 v[17:18], v[17:18], -v[23:24]
	v_fma_f64 v[103:104], v[105:106], v[21:22], v[103:104]
	v_add_f64 v[19:20], v[19:20], -v[103:104]
	ds_read2_b64 v[103:106], v98 offset0:70 offset1:71
	s_waitcnt lgkmcnt(0)
	v_mul_f64 v[23:24], v[105:106], v[101:102]
	v_fma_f64 v[23:24], v[103:104], v[21:22], -v[23:24]
	v_mul_f64 v[103:104], v[103:104], v[101:102]
	v_add_f64 v[13:14], v[13:14], -v[23:24]
	v_fma_f64 v[103:104], v[105:106], v[21:22], v[103:104]
	v_add_f64 v[15:16], v[15:16], -v[103:104]
	ds_read2_b64 v[103:106], v98 offset0:72 offset1:73
	;; [unrolled: 8-line block ×5, first 2 shown]
	s_waitcnt lgkmcnt(0)
	v_mul_f64 v[23:24], v[105:106], v[101:102]
	v_fma_f64 v[23:24], v[103:104], v[21:22], -v[23:24]
	v_mul_f64 v[103:104], v[103:104], v[101:102]
	v_add_f64 v[117:118], v[117:118], -v[23:24]
	v_fma_f64 v[103:104], v[105:106], v[21:22], v[103:104]
	v_mov_b32_e32 v23, v101
	v_mov_b32_e32 v24, v102
	v_add_f64 v[119:120], v[119:120], -v[103:104]
.LBB78_713:
	s_or_b64 exec, exec, s[0:1]
	v_lshl_add_u32 v101, v100, 4, v98
	s_barrier
	ds_write2_b64 v101, v[17:18], v[19:20] offset1:1
	s_waitcnt lgkmcnt(0)
	s_barrier
	ds_read2_b64 v[121:124], v98 offset0:68 offset1:69
	s_cmp_lt_i32 s3, 36
	v_mov_b32_e32 v101, 34
	s_cbranch_scc1 .LBB78_716
; %bb.714:
	v_add_u32_e32 v102, 0x230, v98
	s_mov_b32 s0, 35
	v_mov_b32_e32 v101, 34
.LBB78_715:                             ; =>This Inner Loop Header: Depth=1
	s_waitcnt lgkmcnt(0)
	v_cmp_gt_f64_e32 vcc, 0, v[121:122]
	v_xor_b32_e32 v107, 0x80000000, v122
	ds_read2_b64 v[103:106], v102 offset1:1
	v_xor_b32_e32 v109, 0x80000000, v124
	v_add_u32_e32 v102, 16, v102
	s_waitcnt lgkmcnt(0)
	v_xor_b32_e32 v111, 0x80000000, v106
	v_cndmask_b32_e32 v108, v122, v107, vcc
	v_cmp_gt_f64_e32 vcc, 0, v[123:124]
	v_mov_b32_e32 v107, v121
	v_cndmask_b32_e32 v110, v124, v109, vcc
	v_cmp_gt_f64_e32 vcc, 0, v[103:104]
	v_mov_b32_e32 v109, v123
	v_add_f64 v[107:108], v[107:108], v[109:110]
	v_xor_b32_e32 v109, 0x80000000, v104
	v_cndmask_b32_e32 v110, v104, v109, vcc
	v_cmp_gt_f64_e32 vcc, 0, v[105:106]
	v_mov_b32_e32 v109, v103
	v_cndmask_b32_e32 v112, v106, v111, vcc
	v_mov_b32_e32 v111, v105
	v_add_f64 v[109:110], v[109:110], v[111:112]
	v_cmp_lt_f64_e32 vcc, v[107:108], v[109:110]
	v_cndmask_b32_e32 v121, v121, v103, vcc
	v_mov_b32_e32 v103, s0
	s_add_i32 s0, s0, 1
	v_cndmask_b32_e32 v122, v122, v104, vcc
	v_cndmask_b32_e32 v124, v124, v106, vcc
	;; [unrolled: 1-line block ×4, first 2 shown]
	s_cmp_lg_u32 s3, s0
	s_cbranch_scc1 .LBB78_715
.LBB78_716:
	s_waitcnt lgkmcnt(0)
	v_cmp_eq_f64_e32 vcc, 0, v[121:122]
	v_cmp_eq_f64_e64 s[0:1], 0, v[123:124]
	s_and_b64 s[0:1], vcc, s[0:1]
	s_and_saveexec_b64 s[18:19], s[0:1]
	s_xor_b64 s[0:1], exec, s[18:19]
; %bb.717:
	v_cmp_ne_u32_e32 vcc, 0, v99
	v_cndmask_b32_e32 v99, 35, v99, vcc
; %bb.718:
	s_andn2_saveexec_b64 s[0:1], s[0:1]
	s_cbranch_execz .LBB78_724
; %bb.719:
	v_cmp_ngt_f64_e64 s[18:19], |v[121:122]|, |v[123:124]|
	s_and_saveexec_b64 s[20:21], s[18:19]
	s_xor_b64 s[18:19], exec, s[20:21]
	s_cbranch_execz .LBB78_721
; %bb.720:
	v_div_scale_f64 v[102:103], s[20:21], v[123:124], v[123:124], v[121:122]
	v_rcp_f64_e32 v[104:105], v[102:103]
	v_fma_f64 v[106:107], -v[102:103], v[104:105], 1.0
	v_fma_f64 v[104:105], v[104:105], v[106:107], v[104:105]
	v_div_scale_f64 v[106:107], vcc, v[121:122], v[123:124], v[121:122]
	v_fma_f64 v[108:109], -v[102:103], v[104:105], 1.0
	v_fma_f64 v[104:105], v[104:105], v[108:109], v[104:105]
	v_mul_f64 v[108:109], v[106:107], v[104:105]
	v_fma_f64 v[102:103], -v[102:103], v[108:109], v[106:107]
	v_div_fmas_f64 v[102:103], v[102:103], v[104:105], v[108:109]
	v_div_fixup_f64 v[102:103], v[102:103], v[123:124], v[121:122]
	v_fma_f64 v[104:105], v[121:122], v[102:103], v[123:124]
	v_div_scale_f64 v[106:107], s[20:21], v[104:105], v[104:105], 1.0
	v_div_scale_f64 v[112:113], vcc, 1.0, v[104:105], 1.0
	v_rcp_f64_e32 v[108:109], v[106:107]
	v_fma_f64 v[110:111], -v[106:107], v[108:109], 1.0
	v_fma_f64 v[108:109], v[108:109], v[110:111], v[108:109]
	v_fma_f64 v[110:111], -v[106:107], v[108:109], 1.0
	v_fma_f64 v[108:109], v[108:109], v[110:111], v[108:109]
	v_mul_f64 v[110:111], v[112:113], v[108:109]
	v_fma_f64 v[106:107], -v[106:107], v[110:111], v[112:113]
	v_div_fmas_f64 v[106:107], v[106:107], v[108:109], v[110:111]
	v_div_fixup_f64 v[123:124], v[106:107], v[104:105], 1.0
	v_mul_f64 v[121:122], v[102:103], v[123:124]
	v_xor_b32_e32 v124, 0x80000000, v124
.LBB78_721:
	s_andn2_saveexec_b64 s[18:19], s[18:19]
	s_cbranch_execz .LBB78_723
; %bb.722:
	v_div_scale_f64 v[102:103], s[20:21], v[121:122], v[121:122], v[123:124]
	v_rcp_f64_e32 v[104:105], v[102:103]
	v_fma_f64 v[106:107], -v[102:103], v[104:105], 1.0
	v_fma_f64 v[104:105], v[104:105], v[106:107], v[104:105]
	v_div_scale_f64 v[106:107], vcc, v[123:124], v[121:122], v[123:124]
	v_fma_f64 v[108:109], -v[102:103], v[104:105], 1.0
	v_fma_f64 v[104:105], v[104:105], v[108:109], v[104:105]
	v_mul_f64 v[108:109], v[106:107], v[104:105]
	v_fma_f64 v[102:103], -v[102:103], v[108:109], v[106:107]
	v_div_fmas_f64 v[102:103], v[102:103], v[104:105], v[108:109]
	v_div_fixup_f64 v[102:103], v[102:103], v[121:122], v[123:124]
	v_fma_f64 v[104:105], v[123:124], v[102:103], v[121:122]
	v_div_scale_f64 v[106:107], s[20:21], v[104:105], v[104:105], 1.0
	v_div_scale_f64 v[112:113], vcc, 1.0, v[104:105], 1.0
	v_rcp_f64_e32 v[108:109], v[106:107]
	v_fma_f64 v[110:111], -v[106:107], v[108:109], 1.0
	v_fma_f64 v[108:109], v[108:109], v[110:111], v[108:109]
	v_fma_f64 v[110:111], -v[106:107], v[108:109], 1.0
	v_fma_f64 v[108:109], v[108:109], v[110:111], v[108:109]
	v_mul_f64 v[110:111], v[112:113], v[108:109]
	v_fma_f64 v[106:107], -v[106:107], v[110:111], v[112:113]
	v_div_fmas_f64 v[106:107], v[106:107], v[108:109], v[110:111]
	v_div_fixup_f64 v[121:122], v[106:107], v[104:105], 1.0
	v_mul_f64 v[123:124], v[102:103], -v[121:122]
.LBB78_723:
	s_or_b64 exec, exec, s[18:19]
.LBB78_724:
	s_or_b64 exec, exec, s[0:1]
	v_cmp_ne_u32_e32 vcc, v100, v101
	s_and_saveexec_b64 s[0:1], vcc
	s_xor_b64 s[0:1], exec, s[0:1]
	s_cbranch_execz .LBB78_730
; %bb.725:
	v_cmp_eq_u32_e32 vcc, 34, v100
	s_and_saveexec_b64 s[18:19], vcc
	s_cbranch_execz .LBB78_729
; %bb.726:
	v_cmp_ne_u32_e32 vcc, 34, v101
	s_xor_b64 s[20:21], s[6:7], -1
	s_and_b64 s[22:23], s[20:21], vcc
	s_and_saveexec_b64 s[20:21], s[22:23]
	s_cbranch_execz .LBB78_728
; %bb.727:
	v_ashrrev_i32_e32 v102, 31, v101
	v_lshlrev_b64 v[102:103], 2, v[101:102]
	v_add_co_u32_e32 v102, vcc, v115, v102
	v_addc_co_u32_e32 v103, vcc, v116, v103, vcc
	global_load_dword v0, v[102:103], off
	global_load_dword v100, v[115:116], off offset:136
	s_waitcnt vmcnt(1)
	global_store_dword v[115:116], v0, off offset:136
	s_waitcnt vmcnt(1)
	global_store_dword v[102:103], v100, off
.LBB78_728:
	s_or_b64 exec, exec, s[20:21]
	v_mov_b32_e32 v100, v101
	v_mov_b32_e32 v0, v101
.LBB78_729:
	s_or_b64 exec, exec, s[18:19]
.LBB78_730:
	s_andn2_saveexec_b64 s[0:1], s[0:1]
	s_cbranch_execz .LBB78_732
; %bb.731:
	v_mov_b32_e32 v100, 34
	ds_write2_b64 v98, v[13:14], v[15:16] offset0:70 offset1:71
	ds_write2_b64 v98, v[9:10], v[11:12] offset0:72 offset1:73
	;; [unrolled: 1-line block ×5, first 2 shown]
.LBB78_732:
	s_or_b64 exec, exec, s[0:1]
	v_cmp_lt_i32_e32 vcc, 34, v100
	s_waitcnt vmcnt(0) lgkmcnt(0)
	s_barrier
	s_and_saveexec_b64 s[0:1], vcc
	s_cbranch_execz .LBB78_734
; %bb.733:
	v_mul_f64 v[101:102], v[121:122], v[19:20]
	v_mul_f64 v[19:20], v[123:124], v[19:20]
	v_fma_f64 v[105:106], v[123:124], v[17:18], v[101:102]
	ds_read2_b64 v[101:104], v98 offset0:70 offset1:71
	v_fma_f64 v[17:18], v[121:122], v[17:18], -v[19:20]
	s_waitcnt lgkmcnt(0)
	v_mul_f64 v[19:20], v[103:104], v[105:106]
	v_fma_f64 v[19:20], v[101:102], v[17:18], -v[19:20]
	v_mul_f64 v[101:102], v[101:102], v[105:106]
	v_add_f64 v[13:14], v[13:14], -v[19:20]
	v_fma_f64 v[101:102], v[103:104], v[17:18], v[101:102]
	v_add_f64 v[15:16], v[15:16], -v[101:102]
	ds_read2_b64 v[101:104], v98 offset0:72 offset1:73
	s_waitcnt lgkmcnt(0)
	v_mul_f64 v[19:20], v[103:104], v[105:106]
	v_fma_f64 v[19:20], v[101:102], v[17:18], -v[19:20]
	v_mul_f64 v[101:102], v[101:102], v[105:106]
	v_add_f64 v[9:10], v[9:10], -v[19:20]
	v_fma_f64 v[101:102], v[103:104], v[17:18], v[101:102]
	v_add_f64 v[11:12], v[11:12], -v[101:102]
	ds_read2_b64 v[101:104], v98 offset0:74 offset1:75
	;; [unrolled: 8-line block ×4, first 2 shown]
	s_waitcnt lgkmcnt(0)
	v_mul_f64 v[19:20], v[103:104], v[105:106]
	v_fma_f64 v[19:20], v[101:102], v[17:18], -v[19:20]
	v_mul_f64 v[101:102], v[101:102], v[105:106]
	v_add_f64 v[117:118], v[117:118], -v[19:20]
	v_fma_f64 v[101:102], v[103:104], v[17:18], v[101:102]
	v_mov_b32_e32 v19, v105
	v_mov_b32_e32 v20, v106
	v_add_f64 v[119:120], v[119:120], -v[101:102]
.LBB78_734:
	s_or_b64 exec, exec, s[0:1]
	v_lshl_add_u32 v101, v100, 4, v98
	s_barrier
	ds_write2_b64 v101, v[13:14], v[15:16] offset1:1
	s_waitcnt lgkmcnt(0)
	s_barrier
	ds_read2_b64 v[121:124], v98 offset0:70 offset1:71
	s_cmp_lt_i32 s3, 37
	v_mov_b32_e32 v101, 35
	s_cbranch_scc1 .LBB78_737
; %bb.735:
	v_add_u32_e32 v102, 0x240, v98
	s_mov_b32 s0, 36
	v_mov_b32_e32 v101, 35
.LBB78_736:                             ; =>This Inner Loop Header: Depth=1
	s_waitcnt lgkmcnt(0)
	v_cmp_gt_f64_e32 vcc, 0, v[121:122]
	v_xor_b32_e32 v107, 0x80000000, v122
	ds_read2_b64 v[103:106], v102 offset1:1
	v_xor_b32_e32 v109, 0x80000000, v124
	v_add_u32_e32 v102, 16, v102
	s_waitcnt lgkmcnt(0)
	v_xor_b32_e32 v111, 0x80000000, v106
	v_cndmask_b32_e32 v108, v122, v107, vcc
	v_cmp_gt_f64_e32 vcc, 0, v[123:124]
	v_mov_b32_e32 v107, v121
	v_cndmask_b32_e32 v110, v124, v109, vcc
	v_cmp_gt_f64_e32 vcc, 0, v[103:104]
	v_mov_b32_e32 v109, v123
	v_add_f64 v[107:108], v[107:108], v[109:110]
	v_xor_b32_e32 v109, 0x80000000, v104
	v_cndmask_b32_e32 v110, v104, v109, vcc
	v_cmp_gt_f64_e32 vcc, 0, v[105:106]
	v_mov_b32_e32 v109, v103
	v_cndmask_b32_e32 v112, v106, v111, vcc
	v_mov_b32_e32 v111, v105
	v_add_f64 v[109:110], v[109:110], v[111:112]
	v_cmp_lt_f64_e32 vcc, v[107:108], v[109:110]
	v_cndmask_b32_e32 v121, v121, v103, vcc
	v_mov_b32_e32 v103, s0
	s_add_i32 s0, s0, 1
	v_cndmask_b32_e32 v122, v122, v104, vcc
	v_cndmask_b32_e32 v124, v124, v106, vcc
	;; [unrolled: 1-line block ×4, first 2 shown]
	s_cmp_lg_u32 s3, s0
	s_cbranch_scc1 .LBB78_736
.LBB78_737:
	s_waitcnt lgkmcnt(0)
	v_cmp_eq_f64_e32 vcc, 0, v[121:122]
	v_cmp_eq_f64_e64 s[0:1], 0, v[123:124]
	s_and_b64 s[0:1], vcc, s[0:1]
	s_and_saveexec_b64 s[18:19], s[0:1]
	s_xor_b64 s[0:1], exec, s[18:19]
; %bb.738:
	v_cmp_ne_u32_e32 vcc, 0, v99
	v_cndmask_b32_e32 v99, 36, v99, vcc
; %bb.739:
	s_andn2_saveexec_b64 s[0:1], s[0:1]
	s_cbranch_execz .LBB78_745
; %bb.740:
	v_cmp_ngt_f64_e64 s[18:19], |v[121:122]|, |v[123:124]|
	s_and_saveexec_b64 s[20:21], s[18:19]
	s_xor_b64 s[18:19], exec, s[20:21]
	s_cbranch_execz .LBB78_742
; %bb.741:
	v_div_scale_f64 v[102:103], s[20:21], v[123:124], v[123:124], v[121:122]
	v_rcp_f64_e32 v[104:105], v[102:103]
	v_fma_f64 v[106:107], -v[102:103], v[104:105], 1.0
	v_fma_f64 v[104:105], v[104:105], v[106:107], v[104:105]
	v_div_scale_f64 v[106:107], vcc, v[121:122], v[123:124], v[121:122]
	v_fma_f64 v[108:109], -v[102:103], v[104:105], 1.0
	v_fma_f64 v[104:105], v[104:105], v[108:109], v[104:105]
	v_mul_f64 v[108:109], v[106:107], v[104:105]
	v_fma_f64 v[102:103], -v[102:103], v[108:109], v[106:107]
	v_div_fmas_f64 v[102:103], v[102:103], v[104:105], v[108:109]
	v_div_fixup_f64 v[102:103], v[102:103], v[123:124], v[121:122]
	v_fma_f64 v[104:105], v[121:122], v[102:103], v[123:124]
	v_div_scale_f64 v[106:107], s[20:21], v[104:105], v[104:105], 1.0
	v_div_scale_f64 v[112:113], vcc, 1.0, v[104:105], 1.0
	v_rcp_f64_e32 v[108:109], v[106:107]
	v_fma_f64 v[110:111], -v[106:107], v[108:109], 1.0
	v_fma_f64 v[108:109], v[108:109], v[110:111], v[108:109]
	v_fma_f64 v[110:111], -v[106:107], v[108:109], 1.0
	v_fma_f64 v[108:109], v[108:109], v[110:111], v[108:109]
	v_mul_f64 v[110:111], v[112:113], v[108:109]
	v_fma_f64 v[106:107], -v[106:107], v[110:111], v[112:113]
	v_div_fmas_f64 v[106:107], v[106:107], v[108:109], v[110:111]
	v_div_fixup_f64 v[123:124], v[106:107], v[104:105], 1.0
	v_mul_f64 v[121:122], v[102:103], v[123:124]
	v_xor_b32_e32 v124, 0x80000000, v124
.LBB78_742:
	s_andn2_saveexec_b64 s[18:19], s[18:19]
	s_cbranch_execz .LBB78_744
; %bb.743:
	v_div_scale_f64 v[102:103], s[20:21], v[121:122], v[121:122], v[123:124]
	v_rcp_f64_e32 v[104:105], v[102:103]
	v_fma_f64 v[106:107], -v[102:103], v[104:105], 1.0
	v_fma_f64 v[104:105], v[104:105], v[106:107], v[104:105]
	v_div_scale_f64 v[106:107], vcc, v[123:124], v[121:122], v[123:124]
	v_fma_f64 v[108:109], -v[102:103], v[104:105], 1.0
	v_fma_f64 v[104:105], v[104:105], v[108:109], v[104:105]
	v_mul_f64 v[108:109], v[106:107], v[104:105]
	v_fma_f64 v[102:103], -v[102:103], v[108:109], v[106:107]
	v_div_fmas_f64 v[102:103], v[102:103], v[104:105], v[108:109]
	v_div_fixup_f64 v[102:103], v[102:103], v[121:122], v[123:124]
	v_fma_f64 v[104:105], v[123:124], v[102:103], v[121:122]
	v_div_scale_f64 v[106:107], s[20:21], v[104:105], v[104:105], 1.0
	v_div_scale_f64 v[112:113], vcc, 1.0, v[104:105], 1.0
	v_rcp_f64_e32 v[108:109], v[106:107]
	v_fma_f64 v[110:111], -v[106:107], v[108:109], 1.0
	v_fma_f64 v[108:109], v[108:109], v[110:111], v[108:109]
	v_fma_f64 v[110:111], -v[106:107], v[108:109], 1.0
	v_fma_f64 v[108:109], v[108:109], v[110:111], v[108:109]
	v_mul_f64 v[110:111], v[112:113], v[108:109]
	v_fma_f64 v[106:107], -v[106:107], v[110:111], v[112:113]
	v_div_fmas_f64 v[106:107], v[106:107], v[108:109], v[110:111]
	v_div_fixup_f64 v[121:122], v[106:107], v[104:105], 1.0
	v_mul_f64 v[123:124], v[102:103], -v[121:122]
.LBB78_744:
	s_or_b64 exec, exec, s[18:19]
.LBB78_745:
	s_or_b64 exec, exec, s[0:1]
	v_cmp_ne_u32_e32 vcc, v100, v101
	s_and_saveexec_b64 s[0:1], vcc
	s_xor_b64 s[0:1], exec, s[0:1]
	s_cbranch_execz .LBB78_751
; %bb.746:
	v_cmp_eq_u32_e32 vcc, 35, v100
	s_and_saveexec_b64 s[18:19], vcc
	s_cbranch_execz .LBB78_750
; %bb.747:
	v_cmp_ne_u32_e32 vcc, 35, v101
	s_xor_b64 s[20:21], s[6:7], -1
	s_and_b64 s[22:23], s[20:21], vcc
	s_and_saveexec_b64 s[20:21], s[22:23]
	s_cbranch_execz .LBB78_749
; %bb.748:
	v_ashrrev_i32_e32 v102, 31, v101
	v_lshlrev_b64 v[102:103], 2, v[101:102]
	v_add_co_u32_e32 v102, vcc, v115, v102
	v_addc_co_u32_e32 v103, vcc, v116, v103, vcc
	global_load_dword v0, v[102:103], off
	global_load_dword v100, v[115:116], off offset:140
	s_waitcnt vmcnt(1)
	global_store_dword v[115:116], v0, off offset:140
	s_waitcnt vmcnt(1)
	global_store_dword v[102:103], v100, off
.LBB78_749:
	s_or_b64 exec, exec, s[20:21]
	v_mov_b32_e32 v100, v101
	v_mov_b32_e32 v0, v101
.LBB78_750:
	s_or_b64 exec, exec, s[18:19]
.LBB78_751:
	s_andn2_saveexec_b64 s[0:1], s[0:1]
	s_cbranch_execz .LBB78_753
; %bb.752:
	v_mov_b32_e32 v100, 35
	ds_write2_b64 v98, v[9:10], v[11:12] offset0:72 offset1:73
	ds_write2_b64 v98, v[5:6], v[7:8] offset0:74 offset1:75
	;; [unrolled: 1-line block ×4, first 2 shown]
.LBB78_753:
	s_or_b64 exec, exec, s[0:1]
	v_cmp_lt_i32_e32 vcc, 35, v100
	s_waitcnt vmcnt(0) lgkmcnt(0)
	s_barrier
	s_and_saveexec_b64 s[0:1], vcc
	s_cbranch_execz .LBB78_755
; %bb.754:
	v_mul_f64 v[101:102], v[121:122], v[15:16]
	v_mul_f64 v[15:16], v[123:124], v[15:16]
	v_fma_f64 v[105:106], v[123:124], v[13:14], v[101:102]
	ds_read2_b64 v[101:104], v98 offset0:72 offset1:73
	v_fma_f64 v[13:14], v[121:122], v[13:14], -v[15:16]
	s_waitcnt lgkmcnt(0)
	v_mul_f64 v[15:16], v[103:104], v[105:106]
	v_fma_f64 v[15:16], v[101:102], v[13:14], -v[15:16]
	v_mul_f64 v[101:102], v[101:102], v[105:106]
	v_add_f64 v[9:10], v[9:10], -v[15:16]
	v_fma_f64 v[101:102], v[103:104], v[13:14], v[101:102]
	v_add_f64 v[11:12], v[11:12], -v[101:102]
	ds_read2_b64 v[101:104], v98 offset0:74 offset1:75
	s_waitcnt lgkmcnt(0)
	v_mul_f64 v[15:16], v[103:104], v[105:106]
	v_fma_f64 v[15:16], v[101:102], v[13:14], -v[15:16]
	v_mul_f64 v[101:102], v[101:102], v[105:106]
	v_add_f64 v[5:6], v[5:6], -v[15:16]
	v_fma_f64 v[101:102], v[103:104], v[13:14], v[101:102]
	v_add_f64 v[7:8], v[7:8], -v[101:102]
	ds_read2_b64 v[101:104], v98 offset0:76 offset1:77
	;; [unrolled: 8-line block ×3, first 2 shown]
	s_waitcnt lgkmcnt(0)
	v_mul_f64 v[15:16], v[103:104], v[105:106]
	v_fma_f64 v[15:16], v[101:102], v[13:14], -v[15:16]
	v_mul_f64 v[101:102], v[101:102], v[105:106]
	v_add_f64 v[117:118], v[117:118], -v[15:16]
	v_fma_f64 v[101:102], v[103:104], v[13:14], v[101:102]
	v_mov_b32_e32 v15, v105
	v_mov_b32_e32 v16, v106
	v_add_f64 v[119:120], v[119:120], -v[101:102]
.LBB78_755:
	s_or_b64 exec, exec, s[0:1]
	v_lshl_add_u32 v101, v100, 4, v98
	s_barrier
	ds_write2_b64 v101, v[9:10], v[11:12] offset1:1
	s_waitcnt lgkmcnt(0)
	s_barrier
	ds_read2_b64 v[121:124], v98 offset0:72 offset1:73
	s_cmp_lt_i32 s3, 38
	v_mov_b32_e32 v101, 36
	s_cbranch_scc1 .LBB78_758
; %bb.756:
	v_add_u32_e32 v102, 0x250, v98
	s_mov_b32 s0, 37
	v_mov_b32_e32 v101, 36
.LBB78_757:                             ; =>This Inner Loop Header: Depth=1
	s_waitcnt lgkmcnt(0)
	v_cmp_gt_f64_e32 vcc, 0, v[121:122]
	v_xor_b32_e32 v107, 0x80000000, v122
	ds_read2_b64 v[103:106], v102 offset1:1
	v_xor_b32_e32 v109, 0x80000000, v124
	v_add_u32_e32 v102, 16, v102
	s_waitcnt lgkmcnt(0)
	v_xor_b32_e32 v111, 0x80000000, v106
	v_cndmask_b32_e32 v108, v122, v107, vcc
	v_cmp_gt_f64_e32 vcc, 0, v[123:124]
	v_mov_b32_e32 v107, v121
	v_cndmask_b32_e32 v110, v124, v109, vcc
	v_cmp_gt_f64_e32 vcc, 0, v[103:104]
	v_mov_b32_e32 v109, v123
	v_add_f64 v[107:108], v[107:108], v[109:110]
	v_xor_b32_e32 v109, 0x80000000, v104
	v_cndmask_b32_e32 v110, v104, v109, vcc
	v_cmp_gt_f64_e32 vcc, 0, v[105:106]
	v_mov_b32_e32 v109, v103
	v_cndmask_b32_e32 v112, v106, v111, vcc
	v_mov_b32_e32 v111, v105
	v_add_f64 v[109:110], v[109:110], v[111:112]
	v_cmp_lt_f64_e32 vcc, v[107:108], v[109:110]
	v_cndmask_b32_e32 v121, v121, v103, vcc
	v_mov_b32_e32 v103, s0
	s_add_i32 s0, s0, 1
	v_cndmask_b32_e32 v122, v122, v104, vcc
	v_cndmask_b32_e32 v124, v124, v106, vcc
	;; [unrolled: 1-line block ×4, first 2 shown]
	s_cmp_lg_u32 s3, s0
	s_cbranch_scc1 .LBB78_757
.LBB78_758:
	s_waitcnt lgkmcnt(0)
	v_cmp_eq_f64_e32 vcc, 0, v[121:122]
	v_cmp_eq_f64_e64 s[0:1], 0, v[123:124]
	s_and_b64 s[0:1], vcc, s[0:1]
	s_and_saveexec_b64 s[18:19], s[0:1]
	s_xor_b64 s[0:1], exec, s[18:19]
; %bb.759:
	v_cmp_ne_u32_e32 vcc, 0, v99
	v_cndmask_b32_e32 v99, 37, v99, vcc
; %bb.760:
	s_andn2_saveexec_b64 s[0:1], s[0:1]
	s_cbranch_execz .LBB78_766
; %bb.761:
	v_cmp_ngt_f64_e64 s[18:19], |v[121:122]|, |v[123:124]|
	s_and_saveexec_b64 s[20:21], s[18:19]
	s_xor_b64 s[18:19], exec, s[20:21]
	s_cbranch_execz .LBB78_763
; %bb.762:
	v_div_scale_f64 v[102:103], s[20:21], v[123:124], v[123:124], v[121:122]
	v_rcp_f64_e32 v[104:105], v[102:103]
	v_fma_f64 v[106:107], -v[102:103], v[104:105], 1.0
	v_fma_f64 v[104:105], v[104:105], v[106:107], v[104:105]
	v_div_scale_f64 v[106:107], vcc, v[121:122], v[123:124], v[121:122]
	v_fma_f64 v[108:109], -v[102:103], v[104:105], 1.0
	v_fma_f64 v[104:105], v[104:105], v[108:109], v[104:105]
	v_mul_f64 v[108:109], v[106:107], v[104:105]
	v_fma_f64 v[102:103], -v[102:103], v[108:109], v[106:107]
	v_div_fmas_f64 v[102:103], v[102:103], v[104:105], v[108:109]
	v_div_fixup_f64 v[102:103], v[102:103], v[123:124], v[121:122]
	v_fma_f64 v[104:105], v[121:122], v[102:103], v[123:124]
	v_div_scale_f64 v[106:107], s[20:21], v[104:105], v[104:105], 1.0
	v_div_scale_f64 v[112:113], vcc, 1.0, v[104:105], 1.0
	v_rcp_f64_e32 v[108:109], v[106:107]
	v_fma_f64 v[110:111], -v[106:107], v[108:109], 1.0
	v_fma_f64 v[108:109], v[108:109], v[110:111], v[108:109]
	v_fma_f64 v[110:111], -v[106:107], v[108:109], 1.0
	v_fma_f64 v[108:109], v[108:109], v[110:111], v[108:109]
	v_mul_f64 v[110:111], v[112:113], v[108:109]
	v_fma_f64 v[106:107], -v[106:107], v[110:111], v[112:113]
	v_div_fmas_f64 v[106:107], v[106:107], v[108:109], v[110:111]
	v_div_fixup_f64 v[123:124], v[106:107], v[104:105], 1.0
	v_mul_f64 v[121:122], v[102:103], v[123:124]
	v_xor_b32_e32 v124, 0x80000000, v124
.LBB78_763:
	s_andn2_saveexec_b64 s[18:19], s[18:19]
	s_cbranch_execz .LBB78_765
; %bb.764:
	v_div_scale_f64 v[102:103], s[20:21], v[121:122], v[121:122], v[123:124]
	v_rcp_f64_e32 v[104:105], v[102:103]
	v_fma_f64 v[106:107], -v[102:103], v[104:105], 1.0
	v_fma_f64 v[104:105], v[104:105], v[106:107], v[104:105]
	v_div_scale_f64 v[106:107], vcc, v[123:124], v[121:122], v[123:124]
	v_fma_f64 v[108:109], -v[102:103], v[104:105], 1.0
	v_fma_f64 v[104:105], v[104:105], v[108:109], v[104:105]
	v_mul_f64 v[108:109], v[106:107], v[104:105]
	v_fma_f64 v[102:103], -v[102:103], v[108:109], v[106:107]
	v_div_fmas_f64 v[102:103], v[102:103], v[104:105], v[108:109]
	v_div_fixup_f64 v[102:103], v[102:103], v[121:122], v[123:124]
	v_fma_f64 v[104:105], v[123:124], v[102:103], v[121:122]
	v_div_scale_f64 v[106:107], s[20:21], v[104:105], v[104:105], 1.0
	v_div_scale_f64 v[112:113], vcc, 1.0, v[104:105], 1.0
	v_rcp_f64_e32 v[108:109], v[106:107]
	v_fma_f64 v[110:111], -v[106:107], v[108:109], 1.0
	v_fma_f64 v[108:109], v[108:109], v[110:111], v[108:109]
	v_fma_f64 v[110:111], -v[106:107], v[108:109], 1.0
	v_fma_f64 v[108:109], v[108:109], v[110:111], v[108:109]
	v_mul_f64 v[110:111], v[112:113], v[108:109]
	v_fma_f64 v[106:107], -v[106:107], v[110:111], v[112:113]
	v_div_fmas_f64 v[106:107], v[106:107], v[108:109], v[110:111]
	v_div_fixup_f64 v[121:122], v[106:107], v[104:105], 1.0
	v_mul_f64 v[123:124], v[102:103], -v[121:122]
.LBB78_765:
	s_or_b64 exec, exec, s[18:19]
.LBB78_766:
	s_or_b64 exec, exec, s[0:1]
	v_cmp_ne_u32_e32 vcc, v100, v101
	s_and_saveexec_b64 s[0:1], vcc
	s_xor_b64 s[0:1], exec, s[0:1]
	s_cbranch_execz .LBB78_772
; %bb.767:
	v_cmp_eq_u32_e32 vcc, 36, v100
	s_and_saveexec_b64 s[18:19], vcc
	s_cbranch_execz .LBB78_771
; %bb.768:
	v_cmp_ne_u32_e32 vcc, 36, v101
	s_xor_b64 s[20:21], s[6:7], -1
	s_and_b64 s[22:23], s[20:21], vcc
	s_and_saveexec_b64 s[20:21], s[22:23]
	s_cbranch_execz .LBB78_770
; %bb.769:
	v_ashrrev_i32_e32 v102, 31, v101
	v_lshlrev_b64 v[102:103], 2, v[101:102]
	v_add_co_u32_e32 v102, vcc, v115, v102
	v_addc_co_u32_e32 v103, vcc, v116, v103, vcc
	global_load_dword v0, v[102:103], off
	global_load_dword v100, v[115:116], off offset:144
	s_waitcnt vmcnt(1)
	global_store_dword v[115:116], v0, off offset:144
	s_waitcnt vmcnt(1)
	global_store_dword v[102:103], v100, off
.LBB78_770:
	s_or_b64 exec, exec, s[20:21]
	v_mov_b32_e32 v100, v101
	v_mov_b32_e32 v0, v101
.LBB78_771:
	s_or_b64 exec, exec, s[18:19]
.LBB78_772:
	s_andn2_saveexec_b64 s[0:1], s[0:1]
	s_cbranch_execz .LBB78_774
; %bb.773:
	v_mov_b32_e32 v100, 36
	ds_write2_b64 v98, v[5:6], v[7:8] offset0:74 offset1:75
	ds_write2_b64 v98, v[1:2], v[3:4] offset0:76 offset1:77
	;; [unrolled: 1-line block ×3, first 2 shown]
.LBB78_774:
	s_or_b64 exec, exec, s[0:1]
	v_cmp_lt_i32_e32 vcc, 36, v100
	s_waitcnt vmcnt(0) lgkmcnt(0)
	s_barrier
	s_and_saveexec_b64 s[0:1], vcc
	s_cbranch_execz .LBB78_776
; %bb.775:
	v_mul_f64 v[101:102], v[121:122], v[11:12]
	v_mul_f64 v[11:12], v[123:124], v[11:12]
	v_fma_f64 v[105:106], v[123:124], v[9:10], v[101:102]
	ds_read2_b64 v[101:104], v98 offset0:74 offset1:75
	v_fma_f64 v[9:10], v[121:122], v[9:10], -v[11:12]
	s_waitcnt lgkmcnt(0)
	v_mul_f64 v[11:12], v[103:104], v[105:106]
	v_fma_f64 v[11:12], v[101:102], v[9:10], -v[11:12]
	v_mul_f64 v[101:102], v[101:102], v[105:106]
	v_add_f64 v[5:6], v[5:6], -v[11:12]
	v_fma_f64 v[101:102], v[103:104], v[9:10], v[101:102]
	v_add_f64 v[7:8], v[7:8], -v[101:102]
	ds_read2_b64 v[101:104], v98 offset0:76 offset1:77
	s_waitcnt lgkmcnt(0)
	v_mul_f64 v[11:12], v[103:104], v[105:106]
	v_fma_f64 v[11:12], v[101:102], v[9:10], -v[11:12]
	v_mul_f64 v[101:102], v[101:102], v[105:106]
	v_add_f64 v[1:2], v[1:2], -v[11:12]
	v_fma_f64 v[101:102], v[103:104], v[9:10], v[101:102]
	v_add_f64 v[3:4], v[3:4], -v[101:102]
	ds_read2_b64 v[101:104], v98 offset0:78 offset1:79
	s_waitcnt lgkmcnt(0)
	v_mul_f64 v[11:12], v[103:104], v[105:106]
	v_fma_f64 v[11:12], v[101:102], v[9:10], -v[11:12]
	v_mul_f64 v[101:102], v[101:102], v[105:106]
	v_add_f64 v[117:118], v[117:118], -v[11:12]
	v_fma_f64 v[101:102], v[103:104], v[9:10], v[101:102]
	v_mov_b32_e32 v11, v105
	v_mov_b32_e32 v12, v106
	v_add_f64 v[119:120], v[119:120], -v[101:102]
.LBB78_776:
	s_or_b64 exec, exec, s[0:1]
	v_lshl_add_u32 v101, v100, 4, v98
	s_barrier
	ds_write2_b64 v101, v[5:6], v[7:8] offset1:1
	s_waitcnt lgkmcnt(0)
	s_barrier
	ds_read2_b64 v[121:124], v98 offset0:74 offset1:75
	s_cmp_lt_i32 s3, 39
	v_mov_b32_e32 v101, 37
	s_cbranch_scc1 .LBB78_779
; %bb.777:
	v_add_u32_e32 v102, 0x260, v98
	s_mov_b32 s0, 38
	v_mov_b32_e32 v101, 37
.LBB78_778:                             ; =>This Inner Loop Header: Depth=1
	s_waitcnt lgkmcnt(0)
	v_cmp_gt_f64_e32 vcc, 0, v[121:122]
	v_xor_b32_e32 v107, 0x80000000, v122
	ds_read2_b64 v[103:106], v102 offset1:1
	v_xor_b32_e32 v109, 0x80000000, v124
	v_add_u32_e32 v102, 16, v102
	s_waitcnt lgkmcnt(0)
	v_xor_b32_e32 v111, 0x80000000, v106
	v_cndmask_b32_e32 v108, v122, v107, vcc
	v_cmp_gt_f64_e32 vcc, 0, v[123:124]
	v_mov_b32_e32 v107, v121
	v_cndmask_b32_e32 v110, v124, v109, vcc
	v_cmp_gt_f64_e32 vcc, 0, v[103:104]
	v_mov_b32_e32 v109, v123
	v_add_f64 v[107:108], v[107:108], v[109:110]
	v_xor_b32_e32 v109, 0x80000000, v104
	v_cndmask_b32_e32 v110, v104, v109, vcc
	v_cmp_gt_f64_e32 vcc, 0, v[105:106]
	v_mov_b32_e32 v109, v103
	v_cndmask_b32_e32 v112, v106, v111, vcc
	v_mov_b32_e32 v111, v105
	v_add_f64 v[109:110], v[109:110], v[111:112]
	v_cmp_lt_f64_e32 vcc, v[107:108], v[109:110]
	v_cndmask_b32_e32 v121, v121, v103, vcc
	v_mov_b32_e32 v103, s0
	s_add_i32 s0, s0, 1
	v_cndmask_b32_e32 v122, v122, v104, vcc
	v_cndmask_b32_e32 v124, v124, v106, vcc
	;; [unrolled: 1-line block ×4, first 2 shown]
	s_cmp_lg_u32 s3, s0
	s_cbranch_scc1 .LBB78_778
.LBB78_779:
	s_waitcnt lgkmcnt(0)
	v_cmp_eq_f64_e32 vcc, 0, v[121:122]
	v_cmp_eq_f64_e64 s[0:1], 0, v[123:124]
	s_and_b64 s[0:1], vcc, s[0:1]
	s_and_saveexec_b64 s[18:19], s[0:1]
	s_xor_b64 s[0:1], exec, s[18:19]
; %bb.780:
	v_cmp_ne_u32_e32 vcc, 0, v99
	v_cndmask_b32_e32 v99, 38, v99, vcc
; %bb.781:
	s_andn2_saveexec_b64 s[0:1], s[0:1]
	s_cbranch_execz .LBB78_787
; %bb.782:
	v_cmp_ngt_f64_e64 s[18:19], |v[121:122]|, |v[123:124]|
	s_and_saveexec_b64 s[20:21], s[18:19]
	s_xor_b64 s[18:19], exec, s[20:21]
	s_cbranch_execz .LBB78_784
; %bb.783:
	v_div_scale_f64 v[102:103], s[20:21], v[123:124], v[123:124], v[121:122]
	v_rcp_f64_e32 v[104:105], v[102:103]
	v_fma_f64 v[106:107], -v[102:103], v[104:105], 1.0
	v_fma_f64 v[104:105], v[104:105], v[106:107], v[104:105]
	v_div_scale_f64 v[106:107], vcc, v[121:122], v[123:124], v[121:122]
	v_fma_f64 v[108:109], -v[102:103], v[104:105], 1.0
	v_fma_f64 v[104:105], v[104:105], v[108:109], v[104:105]
	v_mul_f64 v[108:109], v[106:107], v[104:105]
	v_fma_f64 v[102:103], -v[102:103], v[108:109], v[106:107]
	v_div_fmas_f64 v[102:103], v[102:103], v[104:105], v[108:109]
	v_div_fixup_f64 v[102:103], v[102:103], v[123:124], v[121:122]
	v_fma_f64 v[104:105], v[121:122], v[102:103], v[123:124]
	v_div_scale_f64 v[106:107], s[20:21], v[104:105], v[104:105], 1.0
	v_div_scale_f64 v[112:113], vcc, 1.0, v[104:105], 1.0
	v_rcp_f64_e32 v[108:109], v[106:107]
	v_fma_f64 v[110:111], -v[106:107], v[108:109], 1.0
	v_fma_f64 v[108:109], v[108:109], v[110:111], v[108:109]
	v_fma_f64 v[110:111], -v[106:107], v[108:109], 1.0
	v_fma_f64 v[108:109], v[108:109], v[110:111], v[108:109]
	v_mul_f64 v[110:111], v[112:113], v[108:109]
	v_fma_f64 v[106:107], -v[106:107], v[110:111], v[112:113]
	v_div_fmas_f64 v[106:107], v[106:107], v[108:109], v[110:111]
	v_div_fixup_f64 v[123:124], v[106:107], v[104:105], 1.0
	v_mul_f64 v[121:122], v[102:103], v[123:124]
	v_xor_b32_e32 v124, 0x80000000, v124
.LBB78_784:
	s_andn2_saveexec_b64 s[18:19], s[18:19]
	s_cbranch_execz .LBB78_786
; %bb.785:
	v_div_scale_f64 v[102:103], s[20:21], v[121:122], v[121:122], v[123:124]
	v_rcp_f64_e32 v[104:105], v[102:103]
	v_fma_f64 v[106:107], -v[102:103], v[104:105], 1.0
	v_fma_f64 v[104:105], v[104:105], v[106:107], v[104:105]
	v_div_scale_f64 v[106:107], vcc, v[123:124], v[121:122], v[123:124]
	v_fma_f64 v[108:109], -v[102:103], v[104:105], 1.0
	v_fma_f64 v[104:105], v[104:105], v[108:109], v[104:105]
	v_mul_f64 v[108:109], v[106:107], v[104:105]
	v_fma_f64 v[102:103], -v[102:103], v[108:109], v[106:107]
	v_div_fmas_f64 v[102:103], v[102:103], v[104:105], v[108:109]
	v_div_fixup_f64 v[102:103], v[102:103], v[121:122], v[123:124]
	v_fma_f64 v[104:105], v[123:124], v[102:103], v[121:122]
	v_div_scale_f64 v[106:107], s[20:21], v[104:105], v[104:105], 1.0
	v_div_scale_f64 v[112:113], vcc, 1.0, v[104:105], 1.0
	v_rcp_f64_e32 v[108:109], v[106:107]
	v_fma_f64 v[110:111], -v[106:107], v[108:109], 1.0
	v_fma_f64 v[108:109], v[108:109], v[110:111], v[108:109]
	v_fma_f64 v[110:111], -v[106:107], v[108:109], 1.0
	v_fma_f64 v[108:109], v[108:109], v[110:111], v[108:109]
	v_mul_f64 v[110:111], v[112:113], v[108:109]
	v_fma_f64 v[106:107], -v[106:107], v[110:111], v[112:113]
	v_div_fmas_f64 v[106:107], v[106:107], v[108:109], v[110:111]
	v_div_fixup_f64 v[121:122], v[106:107], v[104:105], 1.0
	v_mul_f64 v[123:124], v[102:103], -v[121:122]
.LBB78_786:
	s_or_b64 exec, exec, s[18:19]
.LBB78_787:
	s_or_b64 exec, exec, s[0:1]
	v_cmp_ne_u32_e32 vcc, v100, v101
	s_and_saveexec_b64 s[0:1], vcc
	s_xor_b64 s[0:1], exec, s[0:1]
	s_cbranch_execz .LBB78_793
; %bb.788:
	v_cmp_eq_u32_e32 vcc, 37, v100
	s_and_saveexec_b64 s[18:19], vcc
	s_cbranch_execz .LBB78_792
; %bb.789:
	v_cmp_ne_u32_e32 vcc, 37, v101
	s_xor_b64 s[20:21], s[6:7], -1
	s_and_b64 s[22:23], s[20:21], vcc
	s_and_saveexec_b64 s[20:21], s[22:23]
	s_cbranch_execz .LBB78_791
; %bb.790:
	v_ashrrev_i32_e32 v102, 31, v101
	v_lshlrev_b64 v[102:103], 2, v[101:102]
	v_add_co_u32_e32 v102, vcc, v115, v102
	v_addc_co_u32_e32 v103, vcc, v116, v103, vcc
	global_load_dword v0, v[102:103], off
	global_load_dword v100, v[115:116], off offset:148
	s_waitcnt vmcnt(1)
	global_store_dword v[115:116], v0, off offset:148
	s_waitcnt vmcnt(1)
	global_store_dword v[102:103], v100, off
.LBB78_791:
	s_or_b64 exec, exec, s[20:21]
	v_mov_b32_e32 v100, v101
	v_mov_b32_e32 v0, v101
.LBB78_792:
	s_or_b64 exec, exec, s[18:19]
.LBB78_793:
	s_andn2_saveexec_b64 s[0:1], s[0:1]
	s_cbranch_execz .LBB78_795
; %bb.794:
	v_mov_b32_e32 v100, 37
	ds_write2_b64 v98, v[1:2], v[3:4] offset0:76 offset1:77
	ds_write2_b64 v98, v[117:118], v[119:120] offset0:78 offset1:79
.LBB78_795:
	s_or_b64 exec, exec, s[0:1]
	v_cmp_lt_i32_e32 vcc, 37, v100
	s_waitcnt vmcnt(0) lgkmcnt(0)
	s_barrier
	s_and_saveexec_b64 s[0:1], vcc
	s_cbranch_execz .LBB78_797
; %bb.796:
	v_mul_f64 v[101:102], v[121:122], v[7:8]
	v_mul_f64 v[7:8], v[123:124], v[7:8]
	v_fma_f64 v[105:106], v[123:124], v[5:6], v[101:102]
	ds_read2_b64 v[101:104], v98 offset0:76 offset1:77
	v_fma_f64 v[5:6], v[121:122], v[5:6], -v[7:8]
	s_waitcnt lgkmcnt(0)
	v_mul_f64 v[7:8], v[103:104], v[105:106]
	v_fma_f64 v[7:8], v[101:102], v[5:6], -v[7:8]
	v_mul_f64 v[101:102], v[101:102], v[105:106]
	v_add_f64 v[1:2], v[1:2], -v[7:8]
	v_fma_f64 v[101:102], v[103:104], v[5:6], v[101:102]
	v_add_f64 v[3:4], v[3:4], -v[101:102]
	ds_read2_b64 v[101:104], v98 offset0:78 offset1:79
	s_waitcnt lgkmcnt(0)
	v_mul_f64 v[7:8], v[103:104], v[105:106]
	v_fma_f64 v[7:8], v[101:102], v[5:6], -v[7:8]
	v_mul_f64 v[101:102], v[101:102], v[105:106]
	v_add_f64 v[117:118], v[117:118], -v[7:8]
	v_fma_f64 v[101:102], v[103:104], v[5:6], v[101:102]
	v_mov_b32_e32 v7, v105
	v_mov_b32_e32 v8, v106
	v_add_f64 v[119:120], v[119:120], -v[101:102]
.LBB78_797:
	s_or_b64 exec, exec, s[0:1]
	v_lshl_add_u32 v101, v100, 4, v98
	s_barrier
	ds_write2_b64 v101, v[1:2], v[3:4] offset1:1
	s_waitcnt lgkmcnt(0)
	s_barrier
	ds_read2_b64 v[121:124], v98 offset0:76 offset1:77
	s_cmp_lt_i32 s3, 40
	v_mov_b32_e32 v101, 38
	s_cbranch_scc1 .LBB78_800
; %bb.798:
	v_add_u32_e32 v102, 0x270, v98
	s_mov_b32 s0, 39
	v_mov_b32_e32 v101, 38
.LBB78_799:                             ; =>This Inner Loop Header: Depth=1
	s_waitcnt lgkmcnt(0)
	v_cmp_gt_f64_e32 vcc, 0, v[121:122]
	v_xor_b32_e32 v107, 0x80000000, v122
	ds_read2_b64 v[103:106], v102 offset1:1
	v_xor_b32_e32 v109, 0x80000000, v124
	v_add_u32_e32 v102, 16, v102
	s_waitcnt lgkmcnt(0)
	v_xor_b32_e32 v111, 0x80000000, v106
	v_cndmask_b32_e32 v108, v122, v107, vcc
	v_cmp_gt_f64_e32 vcc, 0, v[123:124]
	v_mov_b32_e32 v107, v121
	v_cndmask_b32_e32 v110, v124, v109, vcc
	v_cmp_gt_f64_e32 vcc, 0, v[103:104]
	v_mov_b32_e32 v109, v123
	v_add_f64 v[107:108], v[107:108], v[109:110]
	v_xor_b32_e32 v109, 0x80000000, v104
	v_cndmask_b32_e32 v110, v104, v109, vcc
	v_cmp_gt_f64_e32 vcc, 0, v[105:106]
	v_mov_b32_e32 v109, v103
	v_cndmask_b32_e32 v112, v106, v111, vcc
	v_mov_b32_e32 v111, v105
	v_add_f64 v[109:110], v[109:110], v[111:112]
	v_cmp_lt_f64_e32 vcc, v[107:108], v[109:110]
	v_cndmask_b32_e32 v121, v121, v103, vcc
	v_mov_b32_e32 v103, s0
	s_add_i32 s0, s0, 1
	v_cndmask_b32_e32 v122, v122, v104, vcc
	v_cndmask_b32_e32 v124, v124, v106, vcc
	;; [unrolled: 1-line block ×4, first 2 shown]
	s_cmp_lg_u32 s3, s0
	s_cbranch_scc1 .LBB78_799
.LBB78_800:
	s_waitcnt lgkmcnt(0)
	v_cmp_eq_f64_e32 vcc, 0, v[121:122]
	v_cmp_eq_f64_e64 s[0:1], 0, v[123:124]
	s_and_b64 s[0:1], vcc, s[0:1]
	s_and_saveexec_b64 s[18:19], s[0:1]
	s_xor_b64 s[0:1], exec, s[18:19]
; %bb.801:
	v_cmp_ne_u32_e32 vcc, 0, v99
	v_cndmask_b32_e32 v99, 39, v99, vcc
; %bb.802:
	s_andn2_saveexec_b64 s[0:1], s[0:1]
	s_cbranch_execz .LBB78_808
; %bb.803:
	v_cmp_ngt_f64_e64 s[18:19], |v[121:122]|, |v[123:124]|
	s_and_saveexec_b64 s[20:21], s[18:19]
	s_xor_b64 s[18:19], exec, s[20:21]
	s_cbranch_execz .LBB78_805
; %bb.804:
	v_div_scale_f64 v[102:103], s[20:21], v[123:124], v[123:124], v[121:122]
	v_rcp_f64_e32 v[104:105], v[102:103]
	v_fma_f64 v[106:107], -v[102:103], v[104:105], 1.0
	v_fma_f64 v[104:105], v[104:105], v[106:107], v[104:105]
	v_div_scale_f64 v[106:107], vcc, v[121:122], v[123:124], v[121:122]
	v_fma_f64 v[108:109], -v[102:103], v[104:105], 1.0
	v_fma_f64 v[104:105], v[104:105], v[108:109], v[104:105]
	v_mul_f64 v[108:109], v[106:107], v[104:105]
	v_fma_f64 v[102:103], -v[102:103], v[108:109], v[106:107]
	v_div_fmas_f64 v[102:103], v[102:103], v[104:105], v[108:109]
	v_div_fixup_f64 v[102:103], v[102:103], v[123:124], v[121:122]
	v_fma_f64 v[104:105], v[121:122], v[102:103], v[123:124]
	v_div_scale_f64 v[106:107], s[20:21], v[104:105], v[104:105], 1.0
	v_div_scale_f64 v[112:113], vcc, 1.0, v[104:105], 1.0
	v_rcp_f64_e32 v[108:109], v[106:107]
	v_fma_f64 v[110:111], -v[106:107], v[108:109], 1.0
	v_fma_f64 v[108:109], v[108:109], v[110:111], v[108:109]
	v_fma_f64 v[110:111], -v[106:107], v[108:109], 1.0
	v_fma_f64 v[108:109], v[108:109], v[110:111], v[108:109]
	v_mul_f64 v[110:111], v[112:113], v[108:109]
	v_fma_f64 v[106:107], -v[106:107], v[110:111], v[112:113]
	v_div_fmas_f64 v[106:107], v[106:107], v[108:109], v[110:111]
	v_div_fixup_f64 v[123:124], v[106:107], v[104:105], 1.0
	v_mul_f64 v[121:122], v[102:103], v[123:124]
	v_xor_b32_e32 v124, 0x80000000, v124
.LBB78_805:
	s_andn2_saveexec_b64 s[18:19], s[18:19]
	s_cbranch_execz .LBB78_807
; %bb.806:
	v_div_scale_f64 v[102:103], s[20:21], v[121:122], v[121:122], v[123:124]
	v_rcp_f64_e32 v[104:105], v[102:103]
	v_fma_f64 v[106:107], -v[102:103], v[104:105], 1.0
	v_fma_f64 v[104:105], v[104:105], v[106:107], v[104:105]
	v_div_scale_f64 v[106:107], vcc, v[123:124], v[121:122], v[123:124]
	v_fma_f64 v[108:109], -v[102:103], v[104:105], 1.0
	v_fma_f64 v[104:105], v[104:105], v[108:109], v[104:105]
	v_mul_f64 v[108:109], v[106:107], v[104:105]
	v_fma_f64 v[102:103], -v[102:103], v[108:109], v[106:107]
	v_div_fmas_f64 v[102:103], v[102:103], v[104:105], v[108:109]
	v_div_fixup_f64 v[102:103], v[102:103], v[121:122], v[123:124]
	v_fma_f64 v[104:105], v[123:124], v[102:103], v[121:122]
	v_div_scale_f64 v[106:107], s[20:21], v[104:105], v[104:105], 1.0
	v_div_scale_f64 v[112:113], vcc, 1.0, v[104:105], 1.0
	v_rcp_f64_e32 v[108:109], v[106:107]
	v_fma_f64 v[110:111], -v[106:107], v[108:109], 1.0
	v_fma_f64 v[108:109], v[108:109], v[110:111], v[108:109]
	v_fma_f64 v[110:111], -v[106:107], v[108:109], 1.0
	v_fma_f64 v[108:109], v[108:109], v[110:111], v[108:109]
	v_mul_f64 v[110:111], v[112:113], v[108:109]
	v_fma_f64 v[106:107], -v[106:107], v[110:111], v[112:113]
	v_div_fmas_f64 v[106:107], v[106:107], v[108:109], v[110:111]
	v_div_fixup_f64 v[121:122], v[106:107], v[104:105], 1.0
	v_mul_f64 v[123:124], v[102:103], -v[121:122]
.LBB78_807:
	s_or_b64 exec, exec, s[18:19]
.LBB78_808:
	s_or_b64 exec, exec, s[0:1]
	v_cmp_ne_u32_e32 vcc, v100, v101
	s_and_saveexec_b64 s[0:1], vcc
	s_xor_b64 s[0:1], exec, s[0:1]
	s_cbranch_execz .LBB78_814
; %bb.809:
	v_cmp_eq_u32_e32 vcc, 38, v100
	s_and_saveexec_b64 s[18:19], vcc
	s_cbranch_execz .LBB78_813
; %bb.810:
	v_cmp_ne_u32_e32 vcc, 38, v101
	s_xor_b64 s[20:21], s[6:7], -1
	s_and_b64 s[22:23], s[20:21], vcc
	s_and_saveexec_b64 s[20:21], s[22:23]
	s_cbranch_execz .LBB78_812
; %bb.811:
	v_ashrrev_i32_e32 v102, 31, v101
	v_lshlrev_b64 v[102:103], 2, v[101:102]
	v_add_co_u32_e32 v102, vcc, v115, v102
	v_addc_co_u32_e32 v103, vcc, v116, v103, vcc
	global_load_dword v0, v[102:103], off
	global_load_dword v100, v[115:116], off offset:152
	s_waitcnt vmcnt(1)
	global_store_dword v[115:116], v0, off offset:152
	s_waitcnt vmcnt(1)
	global_store_dword v[102:103], v100, off
.LBB78_812:
	s_or_b64 exec, exec, s[20:21]
	v_mov_b32_e32 v100, v101
	v_mov_b32_e32 v0, v101
.LBB78_813:
	s_or_b64 exec, exec, s[18:19]
.LBB78_814:
	s_andn2_saveexec_b64 s[0:1], s[0:1]
; %bb.815:
	v_mov_b32_e32 v100, 38
	ds_write2_b64 v98, v[117:118], v[119:120] offset0:78 offset1:79
; %bb.816:
	s_or_b64 exec, exec, s[0:1]
	v_cmp_lt_i32_e32 vcc, 38, v100
	s_waitcnt vmcnt(0) lgkmcnt(0)
	s_barrier
	s_and_saveexec_b64 s[0:1], vcc
	s_cbranch_execz .LBB78_818
; %bb.817:
	v_mul_f64 v[101:102], v[121:122], v[3:4]
	v_mul_f64 v[3:4], v[123:124], v[3:4]
	v_fma_f64 v[105:106], v[123:124], v[1:2], v[101:102]
	ds_read2_b64 v[101:104], v98 offset0:78 offset1:79
	v_fma_f64 v[1:2], v[121:122], v[1:2], -v[3:4]
	s_waitcnt lgkmcnt(0)
	v_mul_f64 v[3:4], v[103:104], v[105:106]
	v_fma_f64 v[3:4], v[101:102], v[1:2], -v[3:4]
	v_mul_f64 v[101:102], v[101:102], v[105:106]
	v_add_f64 v[117:118], v[117:118], -v[3:4]
	v_fma_f64 v[101:102], v[103:104], v[1:2], v[101:102]
	v_mov_b32_e32 v3, v105
	v_mov_b32_e32 v4, v106
	v_add_f64 v[119:120], v[119:120], -v[101:102]
.LBB78_818:
	s_or_b64 exec, exec, s[0:1]
	v_lshl_add_u32 v101, v100, 4, v98
	s_barrier
	ds_write2_b64 v101, v[117:118], v[119:120] offset1:1
	s_waitcnt lgkmcnt(0)
	s_barrier
	ds_read2_b64 v[121:124], v98 offset0:78 offset1:79
	s_cmp_lt_i32 s3, 41
	v_mov_b32_e32 v101, 39
	s_cbranch_scc1 .LBB78_821
; %bb.819:
	v_add_u32_e32 v98, 0x280, v98
	s_mov_b32 s0, 40
	v_mov_b32_e32 v101, 39
.LBB78_820:                             ; =>This Inner Loop Header: Depth=1
	s_waitcnt lgkmcnt(0)
	v_cmp_gt_f64_e32 vcc, 0, v[121:122]
	v_xor_b32_e32 v106, 0x80000000, v122
	ds_read2_b64 v[102:105], v98 offset1:1
	v_xor_b32_e32 v108, 0x80000000, v124
	v_add_u32_e32 v98, 16, v98
	s_waitcnt lgkmcnt(0)
	v_xor_b32_e32 v110, 0x80000000, v105
	v_cndmask_b32_e32 v107, v122, v106, vcc
	v_cmp_gt_f64_e32 vcc, 0, v[123:124]
	v_mov_b32_e32 v106, v121
	v_cndmask_b32_e32 v109, v124, v108, vcc
	v_cmp_gt_f64_e32 vcc, 0, v[102:103]
	v_mov_b32_e32 v108, v123
	v_add_f64 v[106:107], v[106:107], v[108:109]
	v_xor_b32_e32 v108, 0x80000000, v103
	v_cndmask_b32_e32 v109, v103, v108, vcc
	v_cmp_gt_f64_e32 vcc, 0, v[104:105]
	v_mov_b32_e32 v108, v102
	v_cndmask_b32_e32 v111, v105, v110, vcc
	v_mov_b32_e32 v110, v104
	v_add_f64 v[108:109], v[108:109], v[110:111]
	v_cmp_lt_f64_e32 vcc, v[106:107], v[108:109]
	v_cndmask_b32_e32 v121, v121, v102, vcc
	v_mov_b32_e32 v102, s0
	s_add_i32 s0, s0, 1
	v_cndmask_b32_e32 v122, v122, v103, vcc
	v_cndmask_b32_e32 v124, v124, v105, vcc
	;; [unrolled: 1-line block ×4, first 2 shown]
	s_cmp_lg_u32 s3, s0
	s_cbranch_scc1 .LBB78_820
.LBB78_821:
	s_waitcnt lgkmcnt(0)
	v_cmp_eq_f64_e32 vcc, 0, v[121:122]
	v_cmp_eq_f64_e64 s[0:1], 0, v[123:124]
	s_and_b64 s[0:1], vcc, s[0:1]
	s_and_saveexec_b64 s[18:19], s[0:1]
	s_xor_b64 s[0:1], exec, s[18:19]
; %bb.822:
	v_cmp_ne_u32_e32 vcc, 0, v99
	v_cndmask_b32_e32 v99, 40, v99, vcc
; %bb.823:
	s_andn2_saveexec_b64 s[0:1], s[0:1]
	s_cbranch_execz .LBB78_829
; %bb.824:
	v_cmp_ngt_f64_e64 s[18:19], |v[121:122]|, |v[123:124]|
	s_and_saveexec_b64 s[20:21], s[18:19]
	s_xor_b64 s[18:19], exec, s[20:21]
	s_cbranch_execz .LBB78_826
; %bb.825:
	v_div_scale_f64 v[102:103], s[20:21], v[123:124], v[123:124], v[121:122]
	v_rcp_f64_e32 v[104:105], v[102:103]
	v_fma_f64 v[106:107], -v[102:103], v[104:105], 1.0
	v_fma_f64 v[104:105], v[104:105], v[106:107], v[104:105]
	v_div_scale_f64 v[106:107], vcc, v[121:122], v[123:124], v[121:122]
	v_fma_f64 v[108:109], -v[102:103], v[104:105], 1.0
	v_fma_f64 v[104:105], v[104:105], v[108:109], v[104:105]
	v_mul_f64 v[108:109], v[106:107], v[104:105]
	v_fma_f64 v[102:103], -v[102:103], v[108:109], v[106:107]
	v_div_fmas_f64 v[102:103], v[102:103], v[104:105], v[108:109]
	v_div_fixup_f64 v[102:103], v[102:103], v[123:124], v[121:122]
	v_fma_f64 v[104:105], v[121:122], v[102:103], v[123:124]
	v_div_scale_f64 v[106:107], s[20:21], v[104:105], v[104:105], 1.0
	v_div_scale_f64 v[112:113], vcc, 1.0, v[104:105], 1.0
	v_rcp_f64_e32 v[108:109], v[106:107]
	v_fma_f64 v[110:111], -v[106:107], v[108:109], 1.0
	v_fma_f64 v[108:109], v[108:109], v[110:111], v[108:109]
	v_fma_f64 v[110:111], -v[106:107], v[108:109], 1.0
	v_fma_f64 v[108:109], v[108:109], v[110:111], v[108:109]
	v_mul_f64 v[110:111], v[112:113], v[108:109]
	v_fma_f64 v[106:107], -v[106:107], v[110:111], v[112:113]
	v_div_fmas_f64 v[106:107], v[106:107], v[108:109], v[110:111]
	v_div_fixup_f64 v[123:124], v[106:107], v[104:105], 1.0
	v_mul_f64 v[121:122], v[102:103], v[123:124]
	v_xor_b32_e32 v124, 0x80000000, v124
.LBB78_826:
	s_andn2_saveexec_b64 s[18:19], s[18:19]
	s_cbranch_execz .LBB78_828
; %bb.827:
	v_div_scale_f64 v[102:103], s[20:21], v[121:122], v[121:122], v[123:124]
	v_rcp_f64_e32 v[104:105], v[102:103]
	v_fma_f64 v[106:107], -v[102:103], v[104:105], 1.0
	v_fma_f64 v[104:105], v[104:105], v[106:107], v[104:105]
	v_div_scale_f64 v[106:107], vcc, v[123:124], v[121:122], v[123:124]
	v_fma_f64 v[108:109], -v[102:103], v[104:105], 1.0
	v_fma_f64 v[104:105], v[104:105], v[108:109], v[104:105]
	v_mul_f64 v[108:109], v[106:107], v[104:105]
	v_fma_f64 v[102:103], -v[102:103], v[108:109], v[106:107]
	v_div_fmas_f64 v[102:103], v[102:103], v[104:105], v[108:109]
	v_div_fixup_f64 v[102:103], v[102:103], v[121:122], v[123:124]
	v_fma_f64 v[104:105], v[123:124], v[102:103], v[121:122]
	v_div_scale_f64 v[106:107], s[20:21], v[104:105], v[104:105], 1.0
	v_div_scale_f64 v[112:113], vcc, 1.0, v[104:105], 1.0
	v_rcp_f64_e32 v[108:109], v[106:107]
	v_fma_f64 v[110:111], -v[106:107], v[108:109], 1.0
	v_fma_f64 v[108:109], v[108:109], v[110:111], v[108:109]
	v_fma_f64 v[110:111], -v[106:107], v[108:109], 1.0
	v_fma_f64 v[108:109], v[108:109], v[110:111], v[108:109]
	v_mul_f64 v[110:111], v[112:113], v[108:109]
	v_fma_f64 v[106:107], -v[106:107], v[110:111], v[112:113]
	v_div_fmas_f64 v[106:107], v[106:107], v[108:109], v[110:111]
	v_div_fixup_f64 v[121:122], v[106:107], v[104:105], 1.0
	v_mul_f64 v[123:124], v[102:103], -v[121:122]
.LBB78_828:
	s_or_b64 exec, exec, s[18:19]
.LBB78_829:
	s_or_b64 exec, exec, s[0:1]
	v_cmp_ne_u32_e32 vcc, v100, v101
	v_mov_b32_e32 v102, 39
	s_and_saveexec_b64 s[0:1], vcc
	s_cbranch_execz .LBB78_835
; %bb.830:
	v_cmp_eq_u32_e32 vcc, 39, v100
	s_and_saveexec_b64 s[18:19], vcc
	s_cbranch_execz .LBB78_834
; %bb.831:
	v_cmp_ne_u32_e32 vcc, 39, v101
	s_xor_b64 s[6:7], s[6:7], -1
	s_and_b64 s[20:21], s[6:7], vcc
	s_and_saveexec_b64 s[6:7], s[20:21]
	s_cbranch_execz .LBB78_833
; %bb.832:
	v_ashrrev_i32_e32 v102, 31, v101
	v_lshlrev_b64 v[102:103], 2, v[101:102]
	v_add_co_u32_e32 v102, vcc, v115, v102
	v_addc_co_u32_e32 v103, vcc, v116, v103, vcc
	global_load_dword v0, v[102:103], off
	global_load_dword v98, v[115:116], off offset:156
	s_waitcnt vmcnt(1)
	global_store_dword v[115:116], v0, off offset:156
	s_waitcnt vmcnt(1)
	global_store_dword v[102:103], v98, off
.LBB78_833:
	s_or_b64 exec, exec, s[6:7]
	v_mov_b32_e32 v100, v101
	v_mov_b32_e32 v0, v101
.LBB78_834:
	s_or_b64 exec, exec, s[18:19]
	v_mov_b32_e32 v102, v100
.LBB78_835:
	s_or_b64 exec, exec, s[0:1]
	v_cmp_gt_i32_e32 vcc, 40, v102
	v_ashrrev_i32_e32 v103, 31, v102
	s_waitcnt vmcnt(0)
	s_barrier
	s_barrier
	s_and_saveexec_b64 s[0:1], vcc
	s_cbranch_execz .LBB78_837
; %bb.836:
	buffer_load_dword v100, off, s[24:27], 0 offset:248 ; 4-byte Folded Reload
	buffer_load_dword v101, off, s[24:27], 0 offset:252 ; 4-byte Folded Reload
	v_add3_u32 v0, v0, s17, 1
	s_waitcnt vmcnt(1)
	v_mul_lo_u32 v98, s15, v100
	s_waitcnt vmcnt(0)
	v_mul_lo_u32 v104, s14, v101
	v_mad_u64_u32 v[100:101], s[6:7], s14, v100, 0
	s_lshl_b64 s[6:7], s[12:13], 2
	v_add3_u32 v101, v101, v104, v98
	v_lshlrev_b64 v[100:101], 2, v[100:101]
	v_mov_b32_e32 v98, s11
	v_add_co_u32_e32 v100, vcc, s10, v100
	v_addc_co_u32_e32 v98, vcc, v98, v101, vcc
	v_mov_b32_e32 v101, s7
	v_add_co_u32_e32 v104, vcc, s6, v100
	v_addc_co_u32_e32 v98, vcc, v98, v101, vcc
	v_lshlrev_b64 v[100:101], 2, v[102:103]
	v_add_co_u32_e32 v100, vcc, v104, v100
	v_addc_co_u32_e32 v101, vcc, v98, v101, vcc
	global_store_dword v[100:101], v0, off
.LBB78_837:
	s_or_b64 exec, exec, s[0:1]
	v_cmp_eq_u32_e32 vcc, 0, v102
	s_and_saveexec_b64 s[6:7], vcc
	s_cbranch_execz .LBB78_840
; %bb.838:
	buffer_load_dword v100, off, s[24:27], 0 offset:248 ; 4-byte Folded Reload
	buffer_load_dword v101, off, s[24:27], 0 offset:252 ; 4-byte Folded Reload
	v_mov_b32_e32 v0, s5
	v_cmp_ne_u32_e64 s[0:1], 0, v99
	s_waitcnt vmcnt(0)
	v_lshlrev_b64 v[100:101], 2, v[100:101]
	v_add_co_u32_e32 v104, vcc, s4, v100
	v_addc_co_u32_e32 v105, vcc, v0, v101, vcc
	global_load_dword v0, v[104:105], off
	s_waitcnt vmcnt(0)
	v_cmp_eq_u32_e32 vcc, 0, v0
	s_and_b64 s[0:1], vcc, s[0:1]
	s_and_b64 exec, exec, s[0:1]
	s_cbranch_execz .LBB78_840
; %bb.839:
	v_add_u32_e32 v0, s17, v99
	global_store_dword v[104:105], v0, off
.LBB78_840:
	s_or_b64 exec, exec, s[6:7]
	v_mul_f64 v[98:99], v[121:122], v[119:120]
	v_cmp_lt_i32_e32 vcc, 39, v102
	v_mul_f64 v[100:101], v[123:124], v[119:120]
	v_mov_b32_e32 v0, s9
	v_fma_f64 v[98:99], v[123:124], v[117:118], v[98:99]
	v_fma_f64 v[100:101], v[121:122], v[117:118], -v[100:101]
	v_cndmask_b32_e32 v120, v120, v99, vcc
	v_cndmask_b32_e32 v119, v119, v98, vcc
	v_lshlrev_b64 v[98:99], 4, v[102:103]
	buffer_load_dword v103, off, s[24:27], 0 offset:232 ; 4-byte Folded Reload
	buffer_load_dword v104, off, s[24:27], 0 offset:236 ; 4-byte Folded Reload
	;; [unrolled: 1-line block ×4, first 2 shown]
	v_cndmask_b32_e32 v118, v118, v101, vcc
	v_cndmask_b32_e32 v117, v117, v100, vcc
	v_add_co_u32_e32 v98, vcc, v127, v98
	v_addc_co_u32_e32 v99, vcc, v97, v99, vcc
	s_waitcnt vmcnt(0)
	global_store_dwordx4 v[98:99], v[103:106], off
	buffer_load_dword v103, off, s[24:27], 0 offset:208 ; 4-byte Folded Reload
	s_nop 0
	buffer_load_dword v104, off, s[24:27], 0 offset:212 ; 4-byte Folded Reload
	buffer_load_dword v105, off, s[24:27], 0 offset:216 ; 4-byte Folded Reload
	;; [unrolled: 1-line block ×3, first 2 shown]
	v_add_co_u32_e32 v98, vcc, s8, v98
	v_addc_co_u32_e32 v99, vcc, v99, v0, vcc
	s_waitcnt vmcnt(0)
	global_store_dwordx4 v[98:99], v[103:106], off
	v_add_u32_e32 v98, s16, v102
	buffer_load_dword v101, off, s[24:27], 0 offset:192 ; 4-byte Folded Reload
	buffer_load_dword v102, off, s[24:27], 0 offset:196 ; 4-byte Folded Reload
	;; [unrolled: 1-line block ×4, first 2 shown]
	v_ashrrev_i32_e32 v99, 31, v98
	v_lshlrev_b64 v[99:100], 4, v[98:99]
	v_add_u32_e32 v98, s2, v98
	v_add_co_u32_e32 v99, vcc, v127, v99
	v_addc_co_u32_e32 v100, vcc, v97, v100, vcc
	s_waitcnt vmcnt(0)
	global_store_dwordx4 v[99:100], v[101:104], off
	buffer_load_dword v101, off, s[24:27], 0 offset:176 ; 4-byte Folded Reload
	s_nop 0
	buffer_load_dword v102, off, s[24:27], 0 offset:180 ; 4-byte Folded Reload
	buffer_load_dword v103, off, s[24:27], 0 offset:184 ; 4-byte Folded Reload
	buffer_load_dword v104, off, s[24:27], 0 offset:188 ; 4-byte Folded Reload
	v_ashrrev_i32_e32 v99, 31, v98
	v_lshlrev_b64 v[99:100], 4, v[98:99]
	v_add_u32_e32 v98, s2, v98
	v_add_co_u32_e32 v99, vcc, v127, v99
	v_addc_co_u32_e32 v100, vcc, v97, v100, vcc
	s_waitcnt vmcnt(0)
	global_store_dwordx4 v[99:100], v[101:104], off
	buffer_load_dword v101, off, s[24:27], 0 offset:160 ; 4-byte Folded Reload
	s_nop 0
	buffer_load_dword v102, off, s[24:27], 0 offset:164 ; 4-byte Folded Reload
	buffer_load_dword v103, off, s[24:27], 0 offset:168 ; 4-byte Folded Reload
	buffer_load_dword v104, off, s[24:27], 0 offset:172 ; 4-byte Folded Reload
	;; [unrolled: 12-line block ×11, first 2 shown]
	v_ashrrev_i32_e32 v99, 31, v98
	v_lshlrev_b64 v[99:100], 4, v[98:99]
	v_add_u32_e32 v98, s2, v98
	v_add_co_u32_e32 v99, vcc, v127, v99
	v_addc_co_u32_e32 v100, vcc, v97, v100, vcc
	s_waitcnt vmcnt(0)
	global_store_dwordx4 v[99:100], v[101:104], off
	buffer_load_dword v101, off, s[24:27], 0 ; 4-byte Folded Reload
	s_nop 0
	buffer_load_dword v102, off, s[24:27], 0 offset:4 ; 4-byte Folded Reload
	buffer_load_dword v103, off, s[24:27], 0 offset:8 ; 4-byte Folded Reload
	;; [unrolled: 1-line block ×3, first 2 shown]
	v_ashrrev_i32_e32 v99, 31, v98
	v_lshlrev_b64 v[99:100], 4, v[98:99]
	v_add_u32_e32 v98, s2, v98
	v_add_co_u32_e32 v99, vcc, v127, v99
	v_addc_co_u32_e32 v100, vcc, v97, v100, vcc
	s_waitcnt vmcnt(0)
	global_store_dwordx4 v[99:100], v[101:104], off
	v_ashrrev_i32_e32 v99, 31, v98
	v_lshlrev_b64 v[99:100], 4, v[98:99]
	v_add_co_u32_e32 v99, vcc, v127, v99
	v_addc_co_u32_e32 v100, vcc, v97, v100, vcc
	global_store_dwordx4 v[99:100], v[93:96], off
	s_nop 0
	v_add_u32_e32 v93, s2, v98
	v_ashrrev_i32_e32 v94, 31, v93
	v_lshlrev_b64 v[94:95], 4, v[93:94]
	v_add_co_u32_e32 v94, vcc, v127, v94
	v_addc_co_u32_e32 v95, vcc, v97, v95, vcc
	global_store_dwordx4 v[94:95], v[89:92], off
	s_nop 0
	v_add_u32_e32 v89, s2, v93
	;; [unrolled: 7-line block ×23, first 2 shown]
	v_ashrrev_i32_e32 v6, 31, v5
	v_lshlrev_b64 v[6:7], 4, v[5:6]
	v_add_u32_e32 v0, s2, v5
	v_add_co_u32_e32 v6, vcc, v127, v6
	v_addc_co_u32_e32 v7, vcc, v97, v7, vcc
	global_store_dwordx4 v[6:7], v[1:4], off
	s_nop 0
	v_ashrrev_i32_e32 v1, 31, v0
	v_lshlrev_b64 v[0:1], 4, v[0:1]
	v_add_co_u32_e32 v0, vcc, v127, v0
	v_addc_co_u32_e32 v1, vcc, v97, v1, vcc
	global_store_dwordx4 v[0:1], v[117:120], off
.LBB78_841:
	s_endpgm
	.section	.rodata,"a",@progbits
	.p2align	6, 0x0
	.amdhsa_kernel _ZN9rocsolver6v33100L18getf2_small_kernelILi40E19rocblas_complex_numIdEiiPS3_EEvT1_T3_lS5_lPS5_llPT2_S5_S5_S7_l
		.amdhsa_group_segment_fixed_size 0
		.amdhsa_private_segment_fixed_size 260
		.amdhsa_kernarg_size 352
		.amdhsa_user_sgpr_count 6
		.amdhsa_user_sgpr_private_segment_buffer 1
		.amdhsa_user_sgpr_dispatch_ptr 0
		.amdhsa_user_sgpr_queue_ptr 0
		.amdhsa_user_sgpr_kernarg_segment_ptr 1
		.amdhsa_user_sgpr_dispatch_id 0
		.amdhsa_user_sgpr_flat_scratch_init 0
		.amdhsa_user_sgpr_private_segment_size 0
		.amdhsa_uses_dynamic_stack 0
		.amdhsa_system_sgpr_private_segment_wavefront_offset 1
		.amdhsa_system_sgpr_workgroup_id_x 1
		.amdhsa_system_sgpr_workgroup_id_y 1
		.amdhsa_system_sgpr_workgroup_id_z 0
		.amdhsa_system_sgpr_workgroup_info 0
		.amdhsa_system_vgpr_workitem_id 1
		.amdhsa_next_free_vgpr 128
		.amdhsa_next_free_sgpr 28
		.amdhsa_reserve_vcc 1
		.amdhsa_reserve_flat_scratch 0
		.amdhsa_float_round_mode_32 0
		.amdhsa_float_round_mode_16_64 0
		.amdhsa_float_denorm_mode_32 3
		.amdhsa_float_denorm_mode_16_64 3
		.amdhsa_dx10_clamp 1
		.amdhsa_ieee_mode 1
		.amdhsa_fp16_overflow 0
		.amdhsa_exception_fp_ieee_invalid_op 0
		.amdhsa_exception_fp_denorm_src 0
		.amdhsa_exception_fp_ieee_div_zero 0
		.amdhsa_exception_fp_ieee_overflow 0
		.amdhsa_exception_fp_ieee_underflow 0
		.amdhsa_exception_fp_ieee_inexact 0
		.amdhsa_exception_int_div_zero 0
	.end_amdhsa_kernel
	.section	.text._ZN9rocsolver6v33100L18getf2_small_kernelILi40E19rocblas_complex_numIdEiiPS3_EEvT1_T3_lS5_lPS5_llPT2_S5_S5_S7_l,"axG",@progbits,_ZN9rocsolver6v33100L18getf2_small_kernelILi40E19rocblas_complex_numIdEiiPS3_EEvT1_T3_lS5_lPS5_llPT2_S5_S5_S7_l,comdat
.Lfunc_end78:
	.size	_ZN9rocsolver6v33100L18getf2_small_kernelILi40E19rocblas_complex_numIdEiiPS3_EEvT1_T3_lS5_lPS5_llPT2_S5_S5_S7_l, .Lfunc_end78-_ZN9rocsolver6v33100L18getf2_small_kernelILi40E19rocblas_complex_numIdEiiPS3_EEvT1_T3_lS5_lPS5_llPT2_S5_S5_S7_l
                                        ; -- End function
	.set _ZN9rocsolver6v33100L18getf2_small_kernelILi40E19rocblas_complex_numIdEiiPS3_EEvT1_T3_lS5_lPS5_llPT2_S5_S5_S7_l.num_vgpr, 128
	.set _ZN9rocsolver6v33100L18getf2_small_kernelILi40E19rocblas_complex_numIdEiiPS3_EEvT1_T3_lS5_lPS5_llPT2_S5_S5_S7_l.num_agpr, 0
	.set _ZN9rocsolver6v33100L18getf2_small_kernelILi40E19rocblas_complex_numIdEiiPS3_EEvT1_T3_lS5_lPS5_llPT2_S5_S5_S7_l.numbered_sgpr, 28
	.set _ZN9rocsolver6v33100L18getf2_small_kernelILi40E19rocblas_complex_numIdEiiPS3_EEvT1_T3_lS5_lPS5_llPT2_S5_S5_S7_l.num_named_barrier, 0
	.set _ZN9rocsolver6v33100L18getf2_small_kernelILi40E19rocblas_complex_numIdEiiPS3_EEvT1_T3_lS5_lPS5_llPT2_S5_S5_S7_l.private_seg_size, 260
	.set _ZN9rocsolver6v33100L18getf2_small_kernelILi40E19rocblas_complex_numIdEiiPS3_EEvT1_T3_lS5_lPS5_llPT2_S5_S5_S7_l.uses_vcc, 1
	.set _ZN9rocsolver6v33100L18getf2_small_kernelILi40E19rocblas_complex_numIdEiiPS3_EEvT1_T3_lS5_lPS5_llPT2_S5_S5_S7_l.uses_flat_scratch, 0
	.set _ZN9rocsolver6v33100L18getf2_small_kernelILi40E19rocblas_complex_numIdEiiPS3_EEvT1_T3_lS5_lPS5_llPT2_S5_S5_S7_l.has_dyn_sized_stack, 0
	.set _ZN9rocsolver6v33100L18getf2_small_kernelILi40E19rocblas_complex_numIdEiiPS3_EEvT1_T3_lS5_lPS5_llPT2_S5_S5_S7_l.has_recursion, 0
	.set _ZN9rocsolver6v33100L18getf2_small_kernelILi40E19rocblas_complex_numIdEiiPS3_EEvT1_T3_lS5_lPS5_llPT2_S5_S5_S7_l.has_indirect_call, 0
	.section	.AMDGPU.csdata,"",@progbits
; Kernel info:
; codeLenInByte = 106136
; TotalNumSgprs: 32
; NumVgprs: 128
; ScratchSize: 260
; MemoryBound: 0
; FloatMode: 240
; IeeeMode: 1
; LDSByteSize: 0 bytes/workgroup (compile time only)
; SGPRBlocks: 3
; VGPRBlocks: 31
; NumSGPRsForWavesPerEU: 32
; NumVGPRsForWavesPerEU: 128
; Occupancy: 2
; WaveLimiterHint : 0
; COMPUTE_PGM_RSRC2:SCRATCH_EN: 1
; COMPUTE_PGM_RSRC2:USER_SGPR: 6
; COMPUTE_PGM_RSRC2:TRAP_HANDLER: 0
; COMPUTE_PGM_RSRC2:TGID_X_EN: 1
; COMPUTE_PGM_RSRC2:TGID_Y_EN: 1
; COMPUTE_PGM_RSRC2:TGID_Z_EN: 0
; COMPUTE_PGM_RSRC2:TIDIG_COMP_CNT: 1
	.section	.text._ZN9rocsolver6v33100L23getf2_npvt_small_kernelILi40E19rocblas_complex_numIdEiiPS3_EEvT1_T3_lS5_lPT2_S5_S5_,"axG",@progbits,_ZN9rocsolver6v33100L23getf2_npvt_small_kernelILi40E19rocblas_complex_numIdEiiPS3_EEvT1_T3_lS5_lPT2_S5_S5_,comdat
	.globl	_ZN9rocsolver6v33100L23getf2_npvt_small_kernelILi40E19rocblas_complex_numIdEiiPS3_EEvT1_T3_lS5_lPT2_S5_S5_ ; -- Begin function _ZN9rocsolver6v33100L23getf2_npvt_small_kernelILi40E19rocblas_complex_numIdEiiPS3_EEvT1_T3_lS5_lPT2_S5_S5_
	.p2align	8
	.type	_ZN9rocsolver6v33100L23getf2_npvt_small_kernelILi40E19rocblas_complex_numIdEiiPS3_EEvT1_T3_lS5_lPT2_S5_S5_,@function
_ZN9rocsolver6v33100L23getf2_npvt_small_kernelILi40E19rocblas_complex_numIdEiiPS3_EEvT1_T3_lS5_lPT2_S5_S5_: ; @_ZN9rocsolver6v33100L23getf2_npvt_small_kernelILi40E19rocblas_complex_numIdEiiPS3_EEvT1_T3_lS5_lPT2_S5_S5_
; %bb.0:
	s_mov_b64 s[22:23], s[2:3]
	s_mov_b64 s[20:21], s[0:1]
	s_add_u32 s20, s20, s8
	s_addc_u32 s21, s21, 0
	buffer_store_dword v0, off, s[20:23], 0 ; 4-byte Folded Spill
	s_load_dword s0, s[4:5], 0x44
	s_load_dwordx2 s[12:13], s[4:5], 0x30
	s_waitcnt lgkmcnt(0)
	s_lshr_b32 s2, s0, 16
	s_mul_i32 s7, s7, s2
	v_add_u32_e32 v3, s7, v1
	v_mov_b32_e32 v2, v3
	v_cmp_gt_i32_e32 vcc, s12, v3
	s_and_saveexec_b64 s[0:1], vcc
	s_cbranch_execz .LBB79_363
; %bb.1:
	s_load_dwordx4 s[8:11], s[4:5], 0x20
	s_load_dwordx4 s[16:19], s[4:5], 0x8
	v_ashrrev_i32_e32 v3, 31, v2
	s_mulk_i32 s2, 0x280
	s_waitcnt lgkmcnt(0)
	v_mul_lo_u32 v4, s9, v2
	v_mul_lo_u32 v5, s8, v3
	buffer_store_dword v2, off, s[20:23], 0 offset:1188 ; 4-byte Folded Spill
	s_nop 0
	buffer_store_dword v3, off, s[20:23], 0 offset:1192 ; 4-byte Folded Spill
	buffer_load_dword v7, off, s[20:23], 0  ; 4-byte Folded Reload
	v_mov_b32_e32 v6, s17
	v_mad_u64_u32 v[2:3], s[0:1], s8, v2, 0
	s_load_dword s0, s[4:5], 0x18
	s_lshl_b64 s[4:5], s[18:19], 4
	v_add3_u32 v3, v3, v5, v4
	v_lshlrev_b64 v[2:3], 4, v[2:3]
	v_mov_b32_e32 v4, s5
	v_add_co_u32_e32 v2, vcc, s16, v2
	v_addc_co_u32_e32 v3, vcc, v6, v3, vcc
	v_add_co_u32_e32 v2, vcc, s4, v2
	s_waitcnt lgkmcnt(0)
	s_add_i32 s1, s0, s0
	v_addc_co_u32_e32 v3, vcc, v3, v4, vcc
	s_waitcnt vmcnt(0)
	v_add_u32_e32 v4, s1, v7
	v_ashrrev_i32_e32 v5, 31, v4
	v_lshlrev_b64 v[5:6], 4, v[4:5]
	v_add_u32_e32 v4, s0, v4
	v_add_co_u32_e32 v27, vcc, v2, v5
	v_ashrrev_i32_e32 v5, 31, v4
	v_addc_co_u32_e32 v28, vcc, v3, v6, vcc
	v_lshlrev_b64 v[5:6], 4, v[4:5]
	v_add_u32_e32 v4, s0, v4
	v_add_co_u32_e32 v29, vcc, v2, v5
	v_ashrrev_i32_e32 v5, 31, v4
	v_addc_co_u32_e32 v30, vcc, v3, v6, vcc
	;; [unrolled: 5-line block ×36, first 2 shown]
	v_lshlrev_b64 v[5:6], 4, v[4:5]
	v_add_u32_e32 v4, s0, v4
	v_add_co_u32_e32 v111, vcc, v2, v5
	v_ashrrev_i32_e32 v5, 31, v4
	v_lshlrev_b64 v[4:5], 4, v[4:5]
	v_addc_co_u32_e32 v112, vcc, v3, v6, vcc
	v_add_co_u32_e32 v113, vcc, v2, v4
	v_addc_co_u32_e32 v114, vcc, v3, v5, vcc
	v_lshlrev_b32_e32 v4, 4, v7
	v_add_co_u32_e32 v4, vcc, v2, v4
	s_ashr_i32 s1, s0, 31
	v_addc_co_u32_e32 v5, vcc, 0, v3, vcc
	s_lshl_b64 s[0:1], s[0:1], 4
	v_mov_b32_e32 v2, s1
	v_add_co_u32_e32 v25, vcc, s0, v4
	v_addc_co_u32_e32 v26, vcc, v5, v2, vcc
	buffer_store_dword v4, off, s[20:23], 0 offset:588 ; 4-byte Folded Spill
	s_nop 0
	buffer_store_dword v5, off, s[20:23], 0 offset:592 ; 4-byte Folded Spill
	s_movk_i32 s0, 0x280
	s_add_i32 s1, s2, 0
	v_mad_u32_u24 v0, v1, s0, 0
	v_lshl_add_u32 v127, v1, 4, s1
	v_cmp_ne_u32_e64 s[2:3], 0, v7
	v_cmp_eq_u32_e64 s[0:1], 0, v7
	global_load_dwordx4 v[1:4], v[4:5], off
	s_waitcnt vmcnt(0)
	buffer_store_dword v1, off, s[20:23], 0 offset:228 ; 4-byte Folded Spill
	s_nop 0
	buffer_store_dword v2, off, s[20:23], 0 offset:232 ; 4-byte Folded Spill
	buffer_store_dword v3, off, s[20:23], 0 offset:236 ; 4-byte Folded Spill
	;; [unrolled: 1-line block ×4, first 2 shown]
	s_nop 0
	buffer_store_dword v26, off, s[20:23], 0 offset:600 ; 4-byte Folded Spill
	global_load_dwordx4 v[1:4], v[25:26], off
	s_waitcnt vmcnt(0)
	buffer_store_dword v1, off, s[20:23], 0 offset:212 ; 4-byte Folded Spill
	s_nop 0
	buffer_store_dword v2, off, s[20:23], 0 offset:216 ; 4-byte Folded Spill
	buffer_store_dword v3, off, s[20:23], 0 offset:220 ; 4-byte Folded Spill
	;; [unrolled: 1-line block ×4, first 2 shown]
	s_nop 0
	buffer_store_dword v28, off, s[20:23], 0 offset:608 ; 4-byte Folded Spill
	global_load_dwordx4 v[5:8], v[27:28], off
	s_nop 0
	buffer_store_dword v29, off, s[20:23], 0 offset:276 ; 4-byte Folded Spill
	s_nop 0
	buffer_store_dword v30, off, s[20:23], 0 offset:280 ; 4-byte Folded Spill
	global_load_dwordx4 v[1:4], v[29:30], off
	s_waitcnt vmcnt(0)
	buffer_store_dword v1, off, s[20:23], 0 offset:196 ; 4-byte Folded Spill
	s_nop 0
	buffer_store_dword v2, off, s[20:23], 0 offset:200 ; 4-byte Folded Spill
	buffer_store_dword v3, off, s[20:23], 0 offset:204 ; 4-byte Folded Spill
	;; [unrolled: 1-line block ×4, first 2 shown]
	s_nop 0
	buffer_store_dword v54, off, s[20:23], 0 offset:568 ; 4-byte Folded Spill
	global_load_dwordx4 v[41:44], v[53:54], off
	s_nop 0
	buffer_store_dword v9, off, s[20:23], 0 offset:284 ; 4-byte Folded Spill
	s_nop 0
	buffer_store_dword v10, off, s[20:23], 0 offset:288 ; 4-byte Folded Spill
	global_load_dwordx4 v[37:40], v[9:10], off
	s_nop 0
	buffer_store_dword v11, off, s[20:23], 0 offset:292 ; 4-byte Folded Spill
	;; [unrolled: 5-line block ×9, first 2 shown]
	s_nop 0
	buffer_store_dword v56, off, s[20:23], 0 offset:352 ; 4-byte Folded Spill
	global_load_dwordx4 v[1:4], v[55:56], off
	s_waitcnt vmcnt(0)
	buffer_store_dword v1, off, s[20:23], 0 offset:180 ; 4-byte Folded Spill
	s_nop 0
	buffer_store_dword v2, off, s[20:23], 0 offset:184 ; 4-byte Folded Spill
	buffer_store_dword v3, off, s[20:23], 0 offset:188 ; 4-byte Folded Spill
	;; [unrolled: 1-line block ×4, first 2 shown]
	s_nop 0
	buffer_store_dword v58, off, s[20:23], 0 offset:360 ; 4-byte Folded Spill
	global_load_dwordx4 v[87:90], v[57:58], off
	s_nop 0
	buffer_store_dword v59, off, s[20:23], 0 offset:364 ; 4-byte Folded Spill
	s_nop 0
	buffer_store_dword v60, off, s[20:23], 0 offset:368 ; 4-byte Folded Spill
	global_load_dwordx4 v[121:124], v[59:60], off
	s_nop 0
	buffer_store_dword v61, off, s[20:23], 0 offset:372 ; 4-byte Folded Spill
	;; [unrolled: 5-line block ×13, first 2 shown]
	s_nop 0
	buffer_store_dword v82, off, s[20:23], 0 offset:456 ; 4-byte Folded Spill
	global_load_dwordx4 v[91:94], v[81:82], off
	s_waitcnt vmcnt(0)
	buffer_store_dword v91, off, s[20:23], 0 offset:132 ; 4-byte Folded Spill
	s_nop 0
	buffer_store_dword v92, off, s[20:23], 0 offset:136 ; 4-byte Folded Spill
	buffer_store_dword v93, off, s[20:23], 0 offset:140 ; 4-byte Folded Spill
	buffer_store_dword v94, off, s[20:23], 0 offset:144 ; 4-byte Folded Spill
	buffer_store_dword v115, off, s[20:23], 0 offset:460 ; 4-byte Folded Spill
	s_nop 0
	buffer_store_dword v116, off, s[20:23], 0 offset:464 ; 4-byte Folded Spill
	global_load_dwordx4 v[91:94], v[115:116], off
	s_waitcnt vmcnt(0)
	buffer_store_dword v91, off, s[20:23], 0 offset:116 ; 4-byte Folded Spill
	s_nop 0
	buffer_store_dword v92, off, s[20:23], 0 offset:120 ; 4-byte Folded Spill
	buffer_store_dword v93, off, s[20:23], 0 offset:124 ; 4-byte Folded Spill
	buffer_store_dword v94, off, s[20:23], 0 offset:128 ; 4-byte Folded Spill
	buffer_store_dword v125, off, s[20:23], 0 offset:468 ; 4-byte Folded Spill
	;; [unrolled: 10-line block ×4, first 2 shown]
	s_nop 0
	buffer_store_dword v98, off, s[20:23], 0 offset:488 ; 4-byte Folded Spill
	v_mov_b32_e32 v96, v4
	v_mov_b32_e32 v95, v3
	;; [unrolled: 1-line block ×4, first 2 shown]
	global_load_dwordx4 v[1:4], v[97:98], off
	s_waitcnt vmcnt(0)
	buffer_store_dword v1, off, s[20:23], 0 offset:68 ; 4-byte Folded Spill
	s_nop 0
	buffer_store_dword v2, off, s[20:23], 0 offset:72 ; 4-byte Folded Spill
	buffer_store_dword v3, off, s[20:23], 0 offset:76 ; 4-byte Folded Spill
	buffer_store_dword v4, off, s[20:23], 0 offset:80 ; 4-byte Folded Spill
	buffer_store_dword v99, off, s[20:23], 0 offset:492 ; 4-byte Folded Spill
	s_nop 0
	buffer_store_dword v100, off, s[20:23], 0 offset:496 ; 4-byte Folded Spill
	global_load_dwordx4 v[1:4], v[99:100], off
	s_waitcnt vmcnt(0)
	buffer_store_dword v1, off, s[20:23], 0 offset:52 ; 4-byte Folded Spill
	s_nop 0
	buffer_store_dword v2, off, s[20:23], 0 offset:56 ; 4-byte Folded Spill
	buffer_store_dword v3, off, s[20:23], 0 offset:60 ; 4-byte Folded Spill
	buffer_store_dword v4, off, s[20:23], 0 offset:64 ; 4-byte Folded Spill
	buffer_store_dword v101, off, s[20:23], 0 offset:500 ; 4-byte Folded Spill
	s_nop 0
	buffer_store_dword v102, off, s[20:23], 0 offset:504 ; 4-byte Folded Spill
	;; [unrolled: 10-line block ×7, first 2 shown]
	global_load_dwordx4 v[1:4], v[111:112], off
	s_nop 0
	buffer_store_dword v113, off, s[20:23], 0 offset:548 ; 4-byte Folded Spill
	s_nop 0
	buffer_store_dword v114, off, s[20:23], 0 offset:552 ; 4-byte Folded Spill
	v_mov_b32_e32 v109, v121
	v_mov_b32_e32 v110, v122
	;; [unrolled: 1-line block ×20, first 2 shown]
	global_load_dwordx4 v[45:48], v[113:114], off
	v_mov_b32_e32 v116, v80
	v_mov_b32_e32 v115, v79
	v_mov_b32_e32 v114, v78
	v_mov_b32_e32 v113, v77
	v_mov_b32_e32 v80, v76
	v_mov_b32_e32 v79, v75
	v_mov_b32_e32 v78, v74
	v_mov_b32_e32 v77, v73
	v_mov_b32_e32 v76, v72
	v_mov_b32_e32 v75, v71
	v_mov_b32_e32 v74, v70
	v_mov_b32_e32 v73, v69
	v_mov_b32_e32 v72, v68
	v_mov_b32_e32 v71, v67
	v_mov_b32_e32 v70, v66
	v_mov_b32_e32 v69, v65
	v_mov_b32_e32 v68, v64
	v_mov_b32_e32 v67, v63
	v_mov_b32_e32 v66, v62
	v_mov_b32_e32 v65, v61
	v_mov_b32_e32 v64, v60
	v_mov_b32_e32 v63, v59
	v_mov_b32_e32 v62, v58
	v_mov_b32_e32 v61, v57
	v_mov_b32_e32 v60, v56
	v_mov_b32_e32 v59, v55
	v_mov_b32_e32 v58, v54
	v_mov_b32_e32 v57, v53
	v_mov_b32_e32 v53, v117
	v_mov_b32_e32 v54, v118
	v_mov_b32_e32 v55, v119
	v_mov_b32_e32 v56, v120
	v_mov_b32_e32 v120, v86
	v_mov_b32_e32 v119, v85
	v_mov_b32_e32 v118, v84
	v_mov_b32_e32 v117, v83
	v_mov_b32_e32 v88, v20
	v_mov_b32_e32 v87, v19
	v_mov_b32_e32 v86, v18
	v_mov_b32_e32 v85, v17
	v_mov_b32_e32 v20, v16
	v_mov_b32_e32 v19, v15
	v_mov_b32_e32 v18, v14
	v_mov_b32_e32 v17, v13
	v_mov_b32_e32 v16, v12
	v_mov_b32_e32 v15, v11
	v_mov_b32_e32 v14, v10
	v_mov_b32_e32 v13, v9
	v_mov_b32_e32 v9, v25
	v_mov_b32_e32 v10, v26
	v_mov_b32_e32 v11, v27
	v_mov_b32_e32 v12, v28
	v_mov_b32_e32 v25, v33
	v_mov_b32_e32 v26, v34
	v_mov_b32_e32 v27, v35
	v_mov_b32_e32 v28, v36
	v_mov_b32_e32 v33, v41
	v_mov_b32_e32 v34, v42
	v_mov_b32_e32 v35, v43
	v_mov_b32_e32 v36, v44
	s_and_saveexec_b64 s[6:7], s[0:1]
	s_cbranch_execz .LBB79_8
; %bb.2:
	buffer_load_dword v41, off, s[20:23], 0 offset:228 ; 4-byte Folded Reload
	buffer_load_dword v42, off, s[20:23], 0 offset:232 ; 4-byte Folded Reload
	;; [unrolled: 1-line block ×4, first 2 shown]
	s_waitcnt vmcnt(0)
	ds_write2_b64 v127, v[41:42], v[43:44] offset1:1
	buffer_load_dword v41, off, s[20:23], 0 offset:212 ; 4-byte Folded Reload
	buffer_load_dword v42, off, s[20:23], 0 offset:216 ; 4-byte Folded Reload
	;; [unrolled: 1-line block ×4, first 2 shown]
	s_waitcnt vmcnt(0)
	ds_write2_b64 v0, v[41:42], v[43:44] offset0:2 offset1:3
	ds_write2_b64 v0, v[89:90], v[91:92] offset0:4 offset1:5
	buffer_load_dword v37, off, s[20:23], 0 offset:196 ; 4-byte Folded Reload
	buffer_load_dword v38, off, s[20:23], 0 offset:200 ; 4-byte Folded Reload
	;; [unrolled: 1-line block ×4, first 2 shown]
	s_waitcnt vmcnt(0)
	ds_write2_b64 v0, v[37:38], v[39:40] offset0:6 offset1:7
	ds_write2_b64 v0, v[33:34], v[35:36] offset0:8 offset1:9
	;; [unrolled: 1-line block ×10, first 2 shown]
	buffer_load_dword v81, off, s[20:23], 0 offset:180 ; 4-byte Folded Reload
	buffer_load_dword v82, off, s[20:23], 0 offset:184 ; 4-byte Folded Reload
	;; [unrolled: 1-line block ×4, first 2 shown]
	s_waitcnt vmcnt(0)
	ds_write2_b64 v0, v[81:82], v[83:84] offset0:26 offset1:27
	ds_write2_b64 v0, v[121:122], v[123:124] offset0:28 offset1:29
	;; [unrolled: 1-line block ×14, first 2 shown]
	buffer_load_dword v41, off, s[20:23], 0 offset:132 ; 4-byte Folded Reload
	buffer_load_dword v42, off, s[20:23], 0 offset:136 ; 4-byte Folded Reload
	buffer_load_dword v43, off, s[20:23], 0 offset:140 ; 4-byte Folded Reload
	buffer_load_dword v44, off, s[20:23], 0 offset:144 ; 4-byte Folded Reload
	s_waitcnt vmcnt(0)
	ds_write2_b64 v0, v[41:42], v[43:44] offset0:54 offset1:55
	buffer_load_dword v41, off, s[20:23], 0 offset:116 ; 4-byte Folded Reload
	buffer_load_dword v42, off, s[20:23], 0 offset:120 ; 4-byte Folded Reload
	buffer_load_dword v43, off, s[20:23], 0 offset:124 ; 4-byte Folded Reload
	buffer_load_dword v44, off, s[20:23], 0 offset:128 ; 4-byte Folded Reload
	s_waitcnt vmcnt(0)
	ds_write2_b64 v0, v[41:42], v[43:44] offset0:56 offset1:57
	;; [unrolled: 6-line block ×11, first 2 shown]
	ds_write2_b64 v0, v[1:2], v[3:4] offset0:76 offset1:77
	ds_write2_b64 v0, v[45:46], v[47:48] offset0:78 offset1:79
	ds_read2_b64 v[97:100], v127 offset1:1
	s_waitcnt lgkmcnt(0)
	v_cmp_neq_f64_e32 vcc, 0, v[97:98]
	v_cmp_neq_f64_e64 s[4:5], 0, v[99:100]
	s_or_b64 s[4:5], vcc, s[4:5]
	s_and_b64 exec, exec, s[4:5]
	s_cbranch_execz .LBB79_8
; %bb.3:
	v_cmp_ngt_f64_e64 s[4:5], |v[97:98]|, |v[99:100]|
                                        ; implicit-def: $vgpr101_vgpr102
	s_and_saveexec_b64 s[8:9], s[4:5]
	s_xor_b64 s[4:5], exec, s[8:9]
                                        ; implicit-def: $vgpr103_vgpr104
	s_cbranch_execz .LBB79_5
; %bb.4:
	v_div_scale_f64 v[101:102], s[8:9], v[99:100], v[99:100], v[97:98]
	v_rcp_f64_e32 v[103:104], v[101:102]
	v_fma_f64 v[105:106], -v[101:102], v[103:104], 1.0
	v_fma_f64 v[103:104], v[103:104], v[105:106], v[103:104]
	v_div_scale_f64 v[105:106], vcc, v[97:98], v[99:100], v[97:98]
	v_fma_f64 v[107:108], -v[101:102], v[103:104], 1.0
	v_fma_f64 v[103:104], v[103:104], v[107:108], v[103:104]
	v_mul_f64 v[107:108], v[105:106], v[103:104]
	v_fma_f64 v[101:102], -v[101:102], v[107:108], v[105:106]
	v_div_fmas_f64 v[101:102], v[101:102], v[103:104], v[107:108]
	v_div_fixup_f64 v[101:102], v[101:102], v[99:100], v[97:98]
	v_fma_f64 v[97:98], v[97:98], v[101:102], v[99:100]
	v_div_scale_f64 v[99:100], s[8:9], v[97:98], v[97:98], 1.0
	v_div_scale_f64 v[107:108], vcc, 1.0, v[97:98], 1.0
	v_rcp_f64_e32 v[103:104], v[99:100]
	v_fma_f64 v[105:106], -v[99:100], v[103:104], 1.0
	v_fma_f64 v[103:104], v[103:104], v[105:106], v[103:104]
	v_fma_f64 v[105:106], -v[99:100], v[103:104], 1.0
	v_fma_f64 v[103:104], v[103:104], v[105:106], v[103:104]
	v_mul_f64 v[105:106], v[107:108], v[103:104]
	v_fma_f64 v[99:100], -v[99:100], v[105:106], v[107:108]
	v_div_fmas_f64 v[99:100], v[99:100], v[103:104], v[105:106]
	v_div_fixup_f64 v[103:104], v[99:100], v[97:98], 1.0
                                        ; implicit-def: $vgpr97_vgpr98
	v_mul_f64 v[101:102], v[101:102], v[103:104]
	v_xor_b32_e32 v104, 0x80000000, v104
.LBB79_5:
	s_andn2_saveexec_b64 s[4:5], s[4:5]
	s_cbranch_execz .LBB79_7
; %bb.6:
	v_div_scale_f64 v[101:102], s[8:9], v[97:98], v[97:98], v[99:100]
	v_rcp_f64_e32 v[103:104], v[101:102]
	v_fma_f64 v[105:106], -v[101:102], v[103:104], 1.0
	v_fma_f64 v[103:104], v[103:104], v[105:106], v[103:104]
	v_div_scale_f64 v[105:106], vcc, v[99:100], v[97:98], v[99:100]
	v_fma_f64 v[107:108], -v[101:102], v[103:104], 1.0
	v_fma_f64 v[103:104], v[103:104], v[107:108], v[103:104]
	v_mul_f64 v[107:108], v[105:106], v[103:104]
	v_fma_f64 v[101:102], -v[101:102], v[107:108], v[105:106]
	v_div_fmas_f64 v[101:102], v[101:102], v[103:104], v[107:108]
	v_div_fixup_f64 v[103:104], v[101:102], v[97:98], v[99:100]
	v_fma_f64 v[97:98], v[99:100], v[103:104], v[97:98]
	v_div_scale_f64 v[99:100], s[8:9], v[97:98], v[97:98], 1.0
	v_div_scale_f64 v[107:108], vcc, 1.0, v[97:98], 1.0
	v_rcp_f64_e32 v[101:102], v[99:100]
	v_fma_f64 v[105:106], -v[99:100], v[101:102], 1.0
	v_fma_f64 v[101:102], v[101:102], v[105:106], v[101:102]
	v_fma_f64 v[105:106], -v[99:100], v[101:102], 1.0
	v_fma_f64 v[101:102], v[101:102], v[105:106], v[101:102]
	v_mul_f64 v[105:106], v[107:108], v[101:102]
	v_fma_f64 v[99:100], -v[99:100], v[105:106], v[107:108]
	v_div_fmas_f64 v[99:100], v[99:100], v[101:102], v[105:106]
	v_div_fixup_f64 v[101:102], v[99:100], v[97:98], 1.0
	v_mul_f64 v[103:104], v[103:104], -v[101:102]
.LBB79_7:
	s_or_b64 exec, exec, s[4:5]
	ds_write2_b64 v127, v[101:102], v[103:104] offset1:1
.LBB79_8:
	s_or_b64 exec, exec, s[6:7]
	s_waitcnt vmcnt(0) lgkmcnt(0)
	s_barrier
	ds_read2_b64 v[41:44], v127 offset1:1
	s_waitcnt lgkmcnt(0)
	buffer_store_dword v41, off, s[20:23], 0 offset:612 ; 4-byte Folded Spill
	s_nop 0
	buffer_store_dword v42, off, s[20:23], 0 offset:616 ; 4-byte Folded Spill
	buffer_store_dword v43, off, s[20:23], 0 offset:620 ; 4-byte Folded Spill
	;; [unrolled: 1-line block ×3, first 2 shown]
	s_and_saveexec_b64 s[4:5], s[2:3]
	s_cbranch_execz .LBB79_10
; %bb.9:
	buffer_load_dword v103, off, s[20:23], 0 offset:228 ; 4-byte Folded Reload
	buffer_load_dword v104, off, s[20:23], 0 offset:232 ; 4-byte Folded Reload
	;; [unrolled: 1-line block ×8, first 2 shown]
	s_waitcnt vmcnt(2)
	v_mul_f64 v[99:100], v[41:42], v[105:106]
	s_waitcnt vmcnt(0)
	v_mul_f64 v[97:98], v[43:44], v[105:106]
	v_fma_f64 v[105:106], v[43:44], v[103:104], v[99:100]
	ds_read2_b64 v[99:102], v0 offset0:2 offset1:3
	v_fma_f64 v[97:98], v[41:42], v[103:104], -v[97:98]
	buffer_load_dword v41, off, s[20:23], 0 offset:212 ; 4-byte Folded Reload
	buffer_load_dword v42, off, s[20:23], 0 offset:216 ; 4-byte Folded Reload
	;; [unrolled: 1-line block ×4, first 2 shown]
	s_waitcnt lgkmcnt(0)
	v_mul_f64 v[103:104], v[101:102], v[105:106]
	v_fma_f64 v[103:104], v[99:100], v[97:98], -v[103:104]
	v_mul_f64 v[99:100], v[99:100], v[105:106]
	v_fma_f64 v[99:100], v[101:102], v[97:98], v[99:100]
	s_waitcnt vmcnt(2)
	v_add_f64 v[41:42], v[41:42], -v[103:104]
	s_waitcnt vmcnt(0)
	v_add_f64 v[43:44], v[43:44], -v[99:100]
	buffer_store_dword v41, off, s[20:23], 0 offset:212 ; 4-byte Folded Spill
	s_nop 0
	buffer_store_dword v42, off, s[20:23], 0 offset:216 ; 4-byte Folded Spill
	buffer_store_dword v43, off, s[20:23], 0 offset:220 ; 4-byte Folded Spill
	;; [unrolled: 1-line block ×3, first 2 shown]
	ds_read2_b64 v[99:102], v0 offset0:4 offset1:5
	s_waitcnt lgkmcnt(0)
	v_mul_f64 v[103:104], v[101:102], v[105:106]
	v_fma_f64 v[103:104], v[99:100], v[97:98], -v[103:104]
	v_mul_f64 v[99:100], v[99:100], v[105:106]
	v_add_f64 v[89:90], v[89:90], -v[103:104]
	v_fma_f64 v[99:100], v[101:102], v[97:98], v[99:100]
	v_add_f64 v[91:92], v[91:92], -v[99:100]
	ds_read2_b64 v[99:102], v0 offset0:6 offset1:7
	buffer_load_dword v37, off, s[20:23], 0 offset:196 ; 4-byte Folded Reload
	buffer_load_dword v38, off, s[20:23], 0 offset:200 ; 4-byte Folded Reload
	buffer_load_dword v39, off, s[20:23], 0 offset:204 ; 4-byte Folded Reload
	buffer_load_dword v40, off, s[20:23], 0 offset:208 ; 4-byte Folded Reload
	s_waitcnt lgkmcnt(0)
	v_mul_f64 v[103:104], v[101:102], v[105:106]
	v_fma_f64 v[103:104], v[99:100], v[97:98], -v[103:104]
	v_mul_f64 v[99:100], v[99:100], v[105:106]
	v_fma_f64 v[99:100], v[101:102], v[97:98], v[99:100]
	s_waitcnt vmcnt(2)
	v_add_f64 v[37:38], v[37:38], -v[103:104]
	s_waitcnt vmcnt(0)
	v_add_f64 v[39:40], v[39:40], -v[99:100]
	buffer_store_dword v37, off, s[20:23], 0 offset:196 ; 4-byte Folded Spill
	s_nop 0
	buffer_store_dword v38, off, s[20:23], 0 offset:200 ; 4-byte Folded Spill
	buffer_store_dword v39, off, s[20:23], 0 offset:204 ; 4-byte Folded Spill
	;; [unrolled: 1-line block ×3, first 2 shown]
	ds_read2_b64 v[99:102], v0 offset0:8 offset1:9
	s_waitcnt lgkmcnt(0)
	v_mul_f64 v[103:104], v[101:102], v[105:106]
	v_fma_f64 v[103:104], v[99:100], v[97:98], -v[103:104]
	v_mul_f64 v[99:100], v[99:100], v[105:106]
	v_add_f64 v[33:34], v[33:34], -v[103:104]
	v_fma_f64 v[99:100], v[101:102], v[97:98], v[99:100]
	v_add_f64 v[35:36], v[35:36], -v[99:100]
	ds_read2_b64 v[99:102], v0 offset0:10 offset1:11
	s_waitcnt lgkmcnt(0)
	v_mul_f64 v[103:104], v[101:102], v[105:106]
	v_fma_f64 v[103:104], v[99:100], v[97:98], -v[103:104]
	v_mul_f64 v[99:100], v[99:100], v[105:106]
	v_add_f64 v[29:30], v[29:30], -v[103:104]
	v_fma_f64 v[99:100], v[101:102], v[97:98], v[99:100]
	v_add_f64 v[31:32], v[31:32], -v[99:100]
	;; [unrolled: 8-line block ×9, first 2 shown]
	ds_read2_b64 v[99:102], v0 offset0:26 offset1:27
	buffer_load_dword v81, off, s[20:23], 0 offset:180 ; 4-byte Folded Reload
	buffer_load_dword v82, off, s[20:23], 0 offset:184 ; 4-byte Folded Reload
	;; [unrolled: 1-line block ×4, first 2 shown]
	s_waitcnt lgkmcnt(0)
	v_mul_f64 v[103:104], v[101:102], v[105:106]
	v_fma_f64 v[103:104], v[99:100], v[97:98], -v[103:104]
	v_mul_f64 v[99:100], v[99:100], v[105:106]
	v_fma_f64 v[99:100], v[101:102], v[97:98], v[99:100]
	s_waitcnt vmcnt(2)
	v_add_f64 v[81:82], v[81:82], -v[103:104]
	s_waitcnt vmcnt(0)
	v_add_f64 v[83:84], v[83:84], -v[99:100]
	buffer_store_dword v81, off, s[20:23], 0 offset:180 ; 4-byte Folded Spill
	s_nop 0
	buffer_store_dword v82, off, s[20:23], 0 offset:184 ; 4-byte Folded Spill
	buffer_store_dword v83, off, s[20:23], 0 offset:188 ; 4-byte Folded Spill
	;; [unrolled: 1-line block ×3, first 2 shown]
	ds_read2_b64 v[99:102], v0 offset0:28 offset1:29
	s_waitcnt lgkmcnt(0)
	v_mul_f64 v[103:104], v[101:102], v[105:106]
	v_fma_f64 v[103:104], v[99:100], v[97:98], -v[103:104]
	v_mul_f64 v[99:100], v[99:100], v[105:106]
	v_add_f64 v[121:122], v[121:122], -v[103:104]
	v_fma_f64 v[99:100], v[101:102], v[97:98], v[99:100]
	v_add_f64 v[123:124], v[123:124], -v[99:100]
	ds_read2_b64 v[99:102], v0 offset0:30 offset1:31
	s_waitcnt lgkmcnt(0)
	v_mul_f64 v[103:104], v[101:102], v[105:106]
	v_fma_f64 v[103:104], v[99:100], v[97:98], -v[103:104]
	v_mul_f64 v[99:100], v[99:100], v[105:106]
	v_add_f64 v[109:110], v[109:110], -v[103:104]
	v_fma_f64 v[99:100], v[101:102], v[97:98], v[99:100]
	v_add_f64 v[111:112], v[111:112], -v[99:100]
	;; [unrolled: 8-line block ×13, first 2 shown]
	ds_read2_b64 v[99:102], v0 offset0:54 offset1:55
	buffer_load_dword v41, off, s[20:23], 0 offset:132 ; 4-byte Folded Reload
	buffer_load_dword v42, off, s[20:23], 0 offset:136 ; 4-byte Folded Reload
	buffer_load_dword v43, off, s[20:23], 0 offset:140 ; 4-byte Folded Reload
	buffer_load_dword v44, off, s[20:23], 0 offset:144 ; 4-byte Folded Reload
	s_waitcnt lgkmcnt(0)
	v_mul_f64 v[103:104], v[101:102], v[105:106]
	v_fma_f64 v[103:104], v[99:100], v[97:98], -v[103:104]
	v_mul_f64 v[99:100], v[99:100], v[105:106]
	v_fma_f64 v[99:100], v[101:102], v[97:98], v[99:100]
	s_waitcnt vmcnt(2)
	v_add_f64 v[41:42], v[41:42], -v[103:104]
	s_waitcnt vmcnt(0)
	v_add_f64 v[43:44], v[43:44], -v[99:100]
	buffer_store_dword v41, off, s[20:23], 0 offset:132 ; 4-byte Folded Spill
	s_nop 0
	buffer_store_dword v42, off, s[20:23], 0 offset:136 ; 4-byte Folded Spill
	buffer_store_dword v43, off, s[20:23], 0 offset:140 ; 4-byte Folded Spill
	buffer_store_dword v44, off, s[20:23], 0 offset:144 ; 4-byte Folded Spill
	ds_read2_b64 v[99:102], v0 offset0:56 offset1:57
	buffer_load_dword v41, off, s[20:23], 0 offset:116 ; 4-byte Folded Reload
	buffer_load_dword v42, off, s[20:23], 0 offset:120 ; 4-byte Folded Reload
	buffer_load_dword v43, off, s[20:23], 0 offset:124 ; 4-byte Folded Reload
	buffer_load_dword v44, off, s[20:23], 0 offset:128 ; 4-byte Folded Reload
	s_waitcnt lgkmcnt(0)
	v_mul_f64 v[103:104], v[101:102], v[105:106]
	v_fma_f64 v[103:104], v[99:100], v[97:98], -v[103:104]
	v_mul_f64 v[99:100], v[99:100], v[105:106]
	v_fma_f64 v[99:100], v[101:102], v[97:98], v[99:100]
	s_waitcnt vmcnt(2)
	v_add_f64 v[41:42], v[41:42], -v[103:104]
	s_waitcnt vmcnt(0)
	v_add_f64 v[43:44], v[43:44], -v[99:100]
	buffer_store_dword v41, off, s[20:23], 0 offset:116 ; 4-byte Folded Spill
	s_nop 0
	buffer_store_dword v42, off, s[20:23], 0 offset:120 ; 4-byte Folded Spill
	buffer_store_dword v43, off, s[20:23], 0 offset:124 ; 4-byte Folded Spill
	buffer_store_dword v44, off, s[20:23], 0 offset:128 ; 4-byte Folded Spill
	;; [unrolled: 19-line block ×11, first 2 shown]
	ds_read2_b64 v[99:102], v0 offset0:76 offset1:77
	s_waitcnt lgkmcnt(0)
	v_mul_f64 v[103:104], v[101:102], v[105:106]
	v_fma_f64 v[103:104], v[99:100], v[97:98], -v[103:104]
	v_mul_f64 v[99:100], v[99:100], v[105:106]
	v_add_f64 v[1:2], v[1:2], -v[103:104]
	v_fma_f64 v[99:100], v[101:102], v[97:98], v[99:100]
	v_add_f64 v[3:4], v[3:4], -v[99:100]
	ds_read2_b64 v[99:102], v0 offset0:78 offset1:79
	s_waitcnt lgkmcnt(0)
	v_mul_f64 v[103:104], v[101:102], v[105:106]
	v_fma_f64 v[103:104], v[99:100], v[97:98], -v[103:104]
	v_mul_f64 v[99:100], v[99:100], v[105:106]
	v_add_f64 v[45:46], v[45:46], -v[103:104]
	v_fma_f64 v[99:100], v[101:102], v[97:98], v[99:100]
	v_mov_b32_e32 v104, v98
	v_mov_b32_e32 v103, v97
	buffer_store_dword v103, off, s[20:23], 0 offset:228 ; 4-byte Folded Spill
	s_nop 0
	buffer_store_dword v104, off, s[20:23], 0 offset:232 ; 4-byte Folded Spill
	buffer_store_dword v105, off, s[20:23], 0 offset:236 ; 4-byte Folded Spill
	;; [unrolled: 1-line block ×3, first 2 shown]
	v_add_f64 v[47:48], v[47:48], -v[99:100]
.LBB79_10:
	s_or_b64 exec, exec, s[4:5]
	s_waitcnt vmcnt(0)
	s_barrier
	buffer_load_dword v41, off, s[20:23], 0 ; 4-byte Folded Reload
	s_waitcnt vmcnt(0)
	v_cmp_eq_u32_e32 vcc, 1, v41
	s_and_saveexec_b64 s[4:5], vcc
	s_cbranch_execz .LBB79_17
; %bb.11:
	buffer_load_dword v41, off, s[20:23], 0 offset:212 ; 4-byte Folded Reload
	buffer_load_dword v42, off, s[20:23], 0 offset:216 ; 4-byte Folded Reload
	;; [unrolled: 1-line block ×4, first 2 shown]
	s_waitcnt vmcnt(0)
	ds_write2_b64 v127, v[41:42], v[43:44] offset1:1
	ds_write2_b64 v0, v[89:90], v[91:92] offset0:4 offset1:5
	buffer_load_dword v37, off, s[20:23], 0 offset:196 ; 4-byte Folded Reload
	buffer_load_dword v38, off, s[20:23], 0 offset:200 ; 4-byte Folded Reload
	;; [unrolled: 1-line block ×4, first 2 shown]
	s_waitcnt vmcnt(0)
	ds_write2_b64 v0, v[37:38], v[39:40] offset0:6 offset1:7
	ds_write2_b64 v0, v[33:34], v[35:36] offset0:8 offset1:9
	;; [unrolled: 1-line block ×10, first 2 shown]
	buffer_load_dword v81, off, s[20:23], 0 offset:180 ; 4-byte Folded Reload
	buffer_load_dword v82, off, s[20:23], 0 offset:184 ; 4-byte Folded Reload
	;; [unrolled: 1-line block ×4, first 2 shown]
	s_waitcnt vmcnt(0)
	ds_write2_b64 v0, v[81:82], v[83:84] offset0:26 offset1:27
	ds_write2_b64 v0, v[121:122], v[123:124] offset0:28 offset1:29
	;; [unrolled: 1-line block ×14, first 2 shown]
	buffer_load_dword v41, off, s[20:23], 0 offset:132 ; 4-byte Folded Reload
	buffer_load_dword v42, off, s[20:23], 0 offset:136 ; 4-byte Folded Reload
	buffer_load_dword v43, off, s[20:23], 0 offset:140 ; 4-byte Folded Reload
	buffer_load_dword v44, off, s[20:23], 0 offset:144 ; 4-byte Folded Reload
	s_waitcnt vmcnt(0)
	ds_write2_b64 v0, v[41:42], v[43:44] offset0:54 offset1:55
	buffer_load_dword v41, off, s[20:23], 0 offset:116 ; 4-byte Folded Reload
	buffer_load_dword v42, off, s[20:23], 0 offset:120 ; 4-byte Folded Reload
	buffer_load_dword v43, off, s[20:23], 0 offset:124 ; 4-byte Folded Reload
	buffer_load_dword v44, off, s[20:23], 0 offset:128 ; 4-byte Folded Reload
	s_waitcnt vmcnt(0)
	ds_write2_b64 v0, v[41:42], v[43:44] offset0:56 offset1:57
	;; [unrolled: 6-line block ×11, first 2 shown]
	ds_write2_b64 v0, v[1:2], v[3:4] offset0:76 offset1:77
	ds_write2_b64 v0, v[45:46], v[47:48] offset0:78 offset1:79
	ds_read2_b64 v[97:100], v127 offset1:1
	s_waitcnt lgkmcnt(0)
	v_cmp_neq_f64_e32 vcc, 0, v[97:98]
	v_cmp_neq_f64_e64 s[2:3], 0, v[99:100]
	s_or_b64 s[2:3], vcc, s[2:3]
	s_and_b64 exec, exec, s[2:3]
	s_cbranch_execz .LBB79_17
; %bb.12:
	v_cmp_ngt_f64_e64 s[2:3], |v[97:98]|, |v[99:100]|
                                        ; implicit-def: $vgpr101_vgpr102
	s_and_saveexec_b64 s[6:7], s[2:3]
	s_xor_b64 s[2:3], exec, s[6:7]
                                        ; implicit-def: $vgpr103_vgpr104
	s_cbranch_execz .LBB79_14
; %bb.13:
	v_div_scale_f64 v[101:102], s[6:7], v[99:100], v[99:100], v[97:98]
	v_rcp_f64_e32 v[103:104], v[101:102]
	v_fma_f64 v[105:106], -v[101:102], v[103:104], 1.0
	v_fma_f64 v[103:104], v[103:104], v[105:106], v[103:104]
	v_div_scale_f64 v[105:106], vcc, v[97:98], v[99:100], v[97:98]
	v_fma_f64 v[107:108], -v[101:102], v[103:104], 1.0
	v_fma_f64 v[103:104], v[103:104], v[107:108], v[103:104]
	v_mul_f64 v[107:108], v[105:106], v[103:104]
	v_fma_f64 v[101:102], -v[101:102], v[107:108], v[105:106]
	v_div_fmas_f64 v[101:102], v[101:102], v[103:104], v[107:108]
	v_div_fixup_f64 v[101:102], v[101:102], v[99:100], v[97:98]
	v_fma_f64 v[97:98], v[97:98], v[101:102], v[99:100]
	v_div_scale_f64 v[99:100], s[6:7], v[97:98], v[97:98], 1.0
	v_div_scale_f64 v[107:108], vcc, 1.0, v[97:98], 1.0
	v_rcp_f64_e32 v[103:104], v[99:100]
	v_fma_f64 v[105:106], -v[99:100], v[103:104], 1.0
	v_fma_f64 v[103:104], v[103:104], v[105:106], v[103:104]
	v_fma_f64 v[105:106], -v[99:100], v[103:104], 1.0
	v_fma_f64 v[103:104], v[103:104], v[105:106], v[103:104]
	v_mul_f64 v[105:106], v[107:108], v[103:104]
	v_fma_f64 v[99:100], -v[99:100], v[105:106], v[107:108]
	v_div_fmas_f64 v[99:100], v[99:100], v[103:104], v[105:106]
	v_div_fixup_f64 v[103:104], v[99:100], v[97:98], 1.0
                                        ; implicit-def: $vgpr97_vgpr98
	v_mul_f64 v[101:102], v[101:102], v[103:104]
	v_xor_b32_e32 v104, 0x80000000, v104
.LBB79_14:
	s_andn2_saveexec_b64 s[2:3], s[2:3]
	s_cbranch_execz .LBB79_16
; %bb.15:
	v_div_scale_f64 v[101:102], s[6:7], v[97:98], v[97:98], v[99:100]
	v_rcp_f64_e32 v[103:104], v[101:102]
	v_fma_f64 v[105:106], -v[101:102], v[103:104], 1.0
	v_fma_f64 v[103:104], v[103:104], v[105:106], v[103:104]
	v_div_scale_f64 v[105:106], vcc, v[99:100], v[97:98], v[99:100]
	v_fma_f64 v[107:108], -v[101:102], v[103:104], 1.0
	v_fma_f64 v[103:104], v[103:104], v[107:108], v[103:104]
	v_mul_f64 v[107:108], v[105:106], v[103:104]
	v_fma_f64 v[101:102], -v[101:102], v[107:108], v[105:106]
	v_div_fmas_f64 v[101:102], v[101:102], v[103:104], v[107:108]
	v_div_fixup_f64 v[103:104], v[101:102], v[97:98], v[99:100]
	v_fma_f64 v[97:98], v[99:100], v[103:104], v[97:98]
	v_div_scale_f64 v[99:100], s[6:7], v[97:98], v[97:98], 1.0
	v_div_scale_f64 v[107:108], vcc, 1.0, v[97:98], 1.0
	v_rcp_f64_e32 v[101:102], v[99:100]
	v_fma_f64 v[105:106], -v[99:100], v[101:102], 1.0
	v_fma_f64 v[101:102], v[101:102], v[105:106], v[101:102]
	v_fma_f64 v[105:106], -v[99:100], v[101:102], 1.0
	v_fma_f64 v[101:102], v[101:102], v[105:106], v[101:102]
	v_mul_f64 v[105:106], v[107:108], v[101:102]
	v_fma_f64 v[99:100], -v[99:100], v[105:106], v[107:108]
	v_div_fmas_f64 v[99:100], v[99:100], v[101:102], v[105:106]
	v_div_fixup_f64 v[101:102], v[99:100], v[97:98], 1.0
	v_mul_f64 v[103:104], v[103:104], -v[101:102]
.LBB79_16:
	s_or_b64 exec, exec, s[2:3]
	ds_write2_b64 v127, v[101:102], v[103:104] offset1:1
.LBB79_17:
	s_or_b64 exec, exec, s[4:5]
	s_waitcnt lgkmcnt(0)
	s_barrier
	ds_read2_b64 v[41:44], v127 offset1:1
	s_waitcnt lgkmcnt(0)
	buffer_store_dword v41, off, s[20:23], 0 offset:628 ; 4-byte Folded Spill
	s_nop 0
	buffer_store_dword v42, off, s[20:23], 0 offset:632 ; 4-byte Folded Spill
	buffer_store_dword v43, off, s[20:23], 0 offset:636 ; 4-byte Folded Spill
	;; [unrolled: 1-line block ×3, first 2 shown]
	buffer_load_dword v41, off, s[20:23], 0 ; 4-byte Folded Reload
	s_waitcnt vmcnt(0)
	v_cmp_lt_u32_e32 vcc, 1, v41
	s_and_saveexec_b64 s[2:3], vcc
	s_cbranch_execz .LBB79_19
; %bb.18:
	buffer_load_dword v103, off, s[20:23], 0 offset:212 ; 4-byte Folded Reload
	buffer_load_dword v104, off, s[20:23], 0 offset:216 ; 4-byte Folded Reload
	;; [unrolled: 1-line block ×8, first 2 shown]
	s_waitcnt vmcnt(2)
	v_mul_f64 v[99:100], v[41:42], v[105:106]
	s_waitcnt vmcnt(0)
	v_mul_f64 v[97:98], v[43:44], v[105:106]
	v_fma_f64 v[105:106], v[43:44], v[103:104], v[99:100]
	ds_read2_b64 v[99:102], v0 offset0:4 offset1:5
	v_fma_f64 v[97:98], v[41:42], v[103:104], -v[97:98]
	s_waitcnt lgkmcnt(0)
	v_mul_f64 v[103:104], v[101:102], v[105:106]
	v_fma_f64 v[103:104], v[99:100], v[97:98], -v[103:104]
	v_mul_f64 v[99:100], v[99:100], v[105:106]
	v_add_f64 v[89:90], v[89:90], -v[103:104]
	v_fma_f64 v[99:100], v[101:102], v[97:98], v[99:100]
	v_add_f64 v[91:92], v[91:92], -v[99:100]
	ds_read2_b64 v[99:102], v0 offset0:6 offset1:7
	buffer_load_dword v37, off, s[20:23], 0 offset:196 ; 4-byte Folded Reload
	buffer_load_dword v38, off, s[20:23], 0 offset:200 ; 4-byte Folded Reload
	;; [unrolled: 1-line block ×4, first 2 shown]
	s_waitcnt lgkmcnt(0)
	v_mul_f64 v[103:104], v[101:102], v[105:106]
	v_fma_f64 v[103:104], v[99:100], v[97:98], -v[103:104]
	v_mul_f64 v[99:100], v[99:100], v[105:106]
	v_fma_f64 v[99:100], v[101:102], v[97:98], v[99:100]
	s_waitcnt vmcnt(2)
	v_add_f64 v[37:38], v[37:38], -v[103:104]
	s_waitcnt vmcnt(0)
	v_add_f64 v[39:40], v[39:40], -v[99:100]
	buffer_store_dword v37, off, s[20:23], 0 offset:196 ; 4-byte Folded Spill
	s_nop 0
	buffer_store_dword v38, off, s[20:23], 0 offset:200 ; 4-byte Folded Spill
	buffer_store_dword v39, off, s[20:23], 0 offset:204 ; 4-byte Folded Spill
	buffer_store_dword v40, off, s[20:23], 0 offset:208 ; 4-byte Folded Spill
	ds_read2_b64 v[99:102], v0 offset0:8 offset1:9
	s_waitcnt lgkmcnt(0)
	v_mul_f64 v[103:104], v[101:102], v[105:106]
	v_fma_f64 v[103:104], v[99:100], v[97:98], -v[103:104]
	v_mul_f64 v[99:100], v[99:100], v[105:106]
	v_add_f64 v[33:34], v[33:34], -v[103:104]
	v_fma_f64 v[99:100], v[101:102], v[97:98], v[99:100]
	v_add_f64 v[35:36], v[35:36], -v[99:100]
	ds_read2_b64 v[99:102], v0 offset0:10 offset1:11
	s_waitcnt lgkmcnt(0)
	v_mul_f64 v[103:104], v[101:102], v[105:106]
	v_fma_f64 v[103:104], v[99:100], v[97:98], -v[103:104]
	v_mul_f64 v[99:100], v[99:100], v[105:106]
	v_add_f64 v[29:30], v[29:30], -v[103:104]
	v_fma_f64 v[99:100], v[101:102], v[97:98], v[99:100]
	v_add_f64 v[31:32], v[31:32], -v[99:100]
	;; [unrolled: 8-line block ×9, first 2 shown]
	ds_read2_b64 v[99:102], v0 offset0:26 offset1:27
	buffer_load_dword v81, off, s[20:23], 0 offset:180 ; 4-byte Folded Reload
	buffer_load_dword v82, off, s[20:23], 0 offset:184 ; 4-byte Folded Reload
	;; [unrolled: 1-line block ×4, first 2 shown]
	s_waitcnt lgkmcnt(0)
	v_mul_f64 v[103:104], v[101:102], v[105:106]
	v_fma_f64 v[103:104], v[99:100], v[97:98], -v[103:104]
	v_mul_f64 v[99:100], v[99:100], v[105:106]
	v_fma_f64 v[99:100], v[101:102], v[97:98], v[99:100]
	s_waitcnt vmcnt(2)
	v_add_f64 v[81:82], v[81:82], -v[103:104]
	s_waitcnt vmcnt(0)
	v_add_f64 v[83:84], v[83:84], -v[99:100]
	buffer_store_dword v81, off, s[20:23], 0 offset:180 ; 4-byte Folded Spill
	s_nop 0
	buffer_store_dword v82, off, s[20:23], 0 offset:184 ; 4-byte Folded Spill
	buffer_store_dword v83, off, s[20:23], 0 offset:188 ; 4-byte Folded Spill
	buffer_store_dword v84, off, s[20:23], 0 offset:192 ; 4-byte Folded Spill
	ds_read2_b64 v[99:102], v0 offset0:28 offset1:29
	s_waitcnt lgkmcnt(0)
	v_mul_f64 v[103:104], v[101:102], v[105:106]
	v_fma_f64 v[103:104], v[99:100], v[97:98], -v[103:104]
	v_mul_f64 v[99:100], v[99:100], v[105:106]
	v_add_f64 v[121:122], v[121:122], -v[103:104]
	v_fma_f64 v[99:100], v[101:102], v[97:98], v[99:100]
	v_add_f64 v[123:124], v[123:124], -v[99:100]
	ds_read2_b64 v[99:102], v0 offset0:30 offset1:31
	s_waitcnt lgkmcnt(0)
	v_mul_f64 v[103:104], v[101:102], v[105:106]
	v_fma_f64 v[103:104], v[99:100], v[97:98], -v[103:104]
	v_mul_f64 v[99:100], v[99:100], v[105:106]
	v_add_f64 v[109:110], v[109:110], -v[103:104]
	v_fma_f64 v[99:100], v[101:102], v[97:98], v[99:100]
	v_add_f64 v[111:112], v[111:112], -v[99:100]
	;; [unrolled: 8-line block ×13, first 2 shown]
	ds_read2_b64 v[99:102], v0 offset0:54 offset1:55
	buffer_load_dword v41, off, s[20:23], 0 offset:132 ; 4-byte Folded Reload
	buffer_load_dword v42, off, s[20:23], 0 offset:136 ; 4-byte Folded Reload
	buffer_load_dword v43, off, s[20:23], 0 offset:140 ; 4-byte Folded Reload
	buffer_load_dword v44, off, s[20:23], 0 offset:144 ; 4-byte Folded Reload
	s_waitcnt lgkmcnt(0)
	v_mul_f64 v[103:104], v[101:102], v[105:106]
	v_fma_f64 v[103:104], v[99:100], v[97:98], -v[103:104]
	v_mul_f64 v[99:100], v[99:100], v[105:106]
	v_fma_f64 v[99:100], v[101:102], v[97:98], v[99:100]
	s_waitcnt vmcnt(2)
	v_add_f64 v[41:42], v[41:42], -v[103:104]
	s_waitcnt vmcnt(0)
	v_add_f64 v[43:44], v[43:44], -v[99:100]
	buffer_store_dword v41, off, s[20:23], 0 offset:132 ; 4-byte Folded Spill
	s_nop 0
	buffer_store_dword v42, off, s[20:23], 0 offset:136 ; 4-byte Folded Spill
	buffer_store_dword v43, off, s[20:23], 0 offset:140 ; 4-byte Folded Spill
	buffer_store_dword v44, off, s[20:23], 0 offset:144 ; 4-byte Folded Spill
	ds_read2_b64 v[99:102], v0 offset0:56 offset1:57
	buffer_load_dword v41, off, s[20:23], 0 offset:116 ; 4-byte Folded Reload
	buffer_load_dword v42, off, s[20:23], 0 offset:120 ; 4-byte Folded Reload
	buffer_load_dword v43, off, s[20:23], 0 offset:124 ; 4-byte Folded Reload
	buffer_load_dword v44, off, s[20:23], 0 offset:128 ; 4-byte Folded Reload
	s_waitcnt lgkmcnt(0)
	v_mul_f64 v[103:104], v[101:102], v[105:106]
	v_fma_f64 v[103:104], v[99:100], v[97:98], -v[103:104]
	v_mul_f64 v[99:100], v[99:100], v[105:106]
	v_fma_f64 v[99:100], v[101:102], v[97:98], v[99:100]
	s_waitcnt vmcnt(2)
	v_add_f64 v[41:42], v[41:42], -v[103:104]
	s_waitcnt vmcnt(0)
	v_add_f64 v[43:44], v[43:44], -v[99:100]
	buffer_store_dword v41, off, s[20:23], 0 offset:116 ; 4-byte Folded Spill
	s_nop 0
	buffer_store_dword v42, off, s[20:23], 0 offset:120 ; 4-byte Folded Spill
	buffer_store_dword v43, off, s[20:23], 0 offset:124 ; 4-byte Folded Spill
	buffer_store_dword v44, off, s[20:23], 0 offset:128 ; 4-byte Folded Spill
	;; [unrolled: 19-line block ×11, first 2 shown]
	ds_read2_b64 v[99:102], v0 offset0:76 offset1:77
	s_waitcnt lgkmcnt(0)
	v_mul_f64 v[103:104], v[101:102], v[105:106]
	v_fma_f64 v[103:104], v[99:100], v[97:98], -v[103:104]
	v_mul_f64 v[99:100], v[99:100], v[105:106]
	v_add_f64 v[1:2], v[1:2], -v[103:104]
	v_fma_f64 v[99:100], v[101:102], v[97:98], v[99:100]
	v_add_f64 v[3:4], v[3:4], -v[99:100]
	ds_read2_b64 v[99:102], v0 offset0:78 offset1:79
	s_waitcnt lgkmcnt(0)
	v_mul_f64 v[103:104], v[101:102], v[105:106]
	v_fma_f64 v[103:104], v[99:100], v[97:98], -v[103:104]
	v_mul_f64 v[99:100], v[99:100], v[105:106]
	v_add_f64 v[45:46], v[45:46], -v[103:104]
	v_fma_f64 v[99:100], v[101:102], v[97:98], v[99:100]
	v_mov_b32_e32 v104, v98
	v_mov_b32_e32 v103, v97
	buffer_store_dword v103, off, s[20:23], 0 offset:212 ; 4-byte Folded Spill
	s_nop 0
	buffer_store_dword v104, off, s[20:23], 0 offset:216 ; 4-byte Folded Spill
	buffer_store_dword v105, off, s[20:23], 0 offset:220 ; 4-byte Folded Spill
	;; [unrolled: 1-line block ×3, first 2 shown]
	v_add_f64 v[47:48], v[47:48], -v[99:100]
.LBB79_19:
	s_or_b64 exec, exec, s[2:3]
	s_waitcnt vmcnt(0)
	s_barrier
	buffer_load_dword v41, off, s[20:23], 0 ; 4-byte Folded Reload
	s_waitcnt vmcnt(0)
	v_cmp_eq_u32_e32 vcc, 2, v41
	s_and_saveexec_b64 s[4:5], vcc
	s_cbranch_execz .LBB79_26
; %bb.20:
	ds_write2_b64 v127, v[89:90], v[91:92] offset1:1
	buffer_load_dword v37, off, s[20:23], 0 offset:196 ; 4-byte Folded Reload
	buffer_load_dword v38, off, s[20:23], 0 offset:200 ; 4-byte Folded Reload
	;; [unrolled: 1-line block ×4, first 2 shown]
	s_waitcnt vmcnt(0)
	ds_write2_b64 v0, v[37:38], v[39:40] offset0:6 offset1:7
	ds_write2_b64 v0, v[33:34], v[35:36] offset0:8 offset1:9
	;; [unrolled: 1-line block ×10, first 2 shown]
	buffer_load_dword v81, off, s[20:23], 0 offset:180 ; 4-byte Folded Reload
	buffer_load_dword v82, off, s[20:23], 0 offset:184 ; 4-byte Folded Reload
	;; [unrolled: 1-line block ×4, first 2 shown]
	s_waitcnt vmcnt(0)
	ds_write2_b64 v0, v[81:82], v[83:84] offset0:26 offset1:27
	ds_write2_b64 v0, v[121:122], v[123:124] offset0:28 offset1:29
	;; [unrolled: 1-line block ×14, first 2 shown]
	buffer_load_dword v41, off, s[20:23], 0 offset:132 ; 4-byte Folded Reload
	buffer_load_dword v42, off, s[20:23], 0 offset:136 ; 4-byte Folded Reload
	buffer_load_dword v43, off, s[20:23], 0 offset:140 ; 4-byte Folded Reload
	buffer_load_dword v44, off, s[20:23], 0 offset:144 ; 4-byte Folded Reload
	s_waitcnt vmcnt(0)
	ds_write2_b64 v0, v[41:42], v[43:44] offset0:54 offset1:55
	buffer_load_dword v41, off, s[20:23], 0 offset:116 ; 4-byte Folded Reload
	buffer_load_dword v42, off, s[20:23], 0 offset:120 ; 4-byte Folded Reload
	buffer_load_dword v43, off, s[20:23], 0 offset:124 ; 4-byte Folded Reload
	buffer_load_dword v44, off, s[20:23], 0 offset:128 ; 4-byte Folded Reload
	s_waitcnt vmcnt(0)
	ds_write2_b64 v0, v[41:42], v[43:44] offset0:56 offset1:57
	;; [unrolled: 6-line block ×11, first 2 shown]
	ds_write2_b64 v0, v[1:2], v[3:4] offset0:76 offset1:77
	ds_write2_b64 v0, v[45:46], v[47:48] offset0:78 offset1:79
	ds_read2_b64 v[97:100], v127 offset1:1
	s_waitcnt lgkmcnt(0)
	v_cmp_neq_f64_e32 vcc, 0, v[97:98]
	v_cmp_neq_f64_e64 s[2:3], 0, v[99:100]
	s_or_b64 s[2:3], vcc, s[2:3]
	s_and_b64 exec, exec, s[2:3]
	s_cbranch_execz .LBB79_26
; %bb.21:
	v_cmp_ngt_f64_e64 s[2:3], |v[97:98]|, |v[99:100]|
                                        ; implicit-def: $vgpr101_vgpr102
	s_and_saveexec_b64 s[6:7], s[2:3]
	s_xor_b64 s[2:3], exec, s[6:7]
                                        ; implicit-def: $vgpr103_vgpr104
	s_cbranch_execz .LBB79_23
; %bb.22:
	v_div_scale_f64 v[101:102], s[6:7], v[99:100], v[99:100], v[97:98]
	v_rcp_f64_e32 v[103:104], v[101:102]
	v_fma_f64 v[105:106], -v[101:102], v[103:104], 1.0
	v_fma_f64 v[103:104], v[103:104], v[105:106], v[103:104]
	v_div_scale_f64 v[105:106], vcc, v[97:98], v[99:100], v[97:98]
	v_fma_f64 v[107:108], -v[101:102], v[103:104], 1.0
	v_fma_f64 v[103:104], v[103:104], v[107:108], v[103:104]
	v_mul_f64 v[107:108], v[105:106], v[103:104]
	v_fma_f64 v[101:102], -v[101:102], v[107:108], v[105:106]
	v_div_fmas_f64 v[101:102], v[101:102], v[103:104], v[107:108]
	v_div_fixup_f64 v[101:102], v[101:102], v[99:100], v[97:98]
	v_fma_f64 v[97:98], v[97:98], v[101:102], v[99:100]
	v_div_scale_f64 v[99:100], s[6:7], v[97:98], v[97:98], 1.0
	v_div_scale_f64 v[107:108], vcc, 1.0, v[97:98], 1.0
	v_rcp_f64_e32 v[103:104], v[99:100]
	v_fma_f64 v[105:106], -v[99:100], v[103:104], 1.0
	v_fma_f64 v[103:104], v[103:104], v[105:106], v[103:104]
	v_fma_f64 v[105:106], -v[99:100], v[103:104], 1.0
	v_fma_f64 v[103:104], v[103:104], v[105:106], v[103:104]
	v_mul_f64 v[105:106], v[107:108], v[103:104]
	v_fma_f64 v[99:100], -v[99:100], v[105:106], v[107:108]
	v_div_fmas_f64 v[99:100], v[99:100], v[103:104], v[105:106]
	v_div_fixup_f64 v[103:104], v[99:100], v[97:98], 1.0
                                        ; implicit-def: $vgpr97_vgpr98
	v_mul_f64 v[101:102], v[101:102], v[103:104]
	v_xor_b32_e32 v104, 0x80000000, v104
.LBB79_23:
	s_andn2_saveexec_b64 s[2:3], s[2:3]
	s_cbranch_execz .LBB79_25
; %bb.24:
	v_div_scale_f64 v[101:102], s[6:7], v[97:98], v[97:98], v[99:100]
	v_rcp_f64_e32 v[103:104], v[101:102]
	v_fma_f64 v[105:106], -v[101:102], v[103:104], 1.0
	v_fma_f64 v[103:104], v[103:104], v[105:106], v[103:104]
	v_div_scale_f64 v[105:106], vcc, v[99:100], v[97:98], v[99:100]
	v_fma_f64 v[107:108], -v[101:102], v[103:104], 1.0
	v_fma_f64 v[103:104], v[103:104], v[107:108], v[103:104]
	v_mul_f64 v[107:108], v[105:106], v[103:104]
	v_fma_f64 v[101:102], -v[101:102], v[107:108], v[105:106]
	v_div_fmas_f64 v[101:102], v[101:102], v[103:104], v[107:108]
	v_div_fixup_f64 v[103:104], v[101:102], v[97:98], v[99:100]
	v_fma_f64 v[97:98], v[99:100], v[103:104], v[97:98]
	v_div_scale_f64 v[99:100], s[6:7], v[97:98], v[97:98], 1.0
	v_div_scale_f64 v[107:108], vcc, 1.0, v[97:98], 1.0
	v_rcp_f64_e32 v[101:102], v[99:100]
	v_fma_f64 v[105:106], -v[99:100], v[101:102], 1.0
	v_fma_f64 v[101:102], v[101:102], v[105:106], v[101:102]
	v_fma_f64 v[105:106], -v[99:100], v[101:102], 1.0
	v_fma_f64 v[101:102], v[101:102], v[105:106], v[101:102]
	v_mul_f64 v[105:106], v[107:108], v[101:102]
	v_fma_f64 v[99:100], -v[99:100], v[105:106], v[107:108]
	v_div_fmas_f64 v[99:100], v[99:100], v[101:102], v[105:106]
	v_div_fixup_f64 v[101:102], v[99:100], v[97:98], 1.0
	v_mul_f64 v[103:104], v[103:104], -v[101:102]
.LBB79_25:
	s_or_b64 exec, exec, s[2:3]
	ds_write2_b64 v127, v[101:102], v[103:104] offset1:1
.LBB79_26:
	s_or_b64 exec, exec, s[4:5]
	s_waitcnt lgkmcnt(0)
	s_barrier
	ds_read2_b64 v[41:44], v127 offset1:1
	s_waitcnt lgkmcnt(0)
	buffer_store_dword v41, off, s[20:23], 0 offset:644 ; 4-byte Folded Spill
	s_nop 0
	buffer_store_dword v42, off, s[20:23], 0 offset:648 ; 4-byte Folded Spill
	buffer_store_dword v43, off, s[20:23], 0 offset:652 ; 4-byte Folded Spill
	;; [unrolled: 1-line block ×3, first 2 shown]
	buffer_load_dword v41, off, s[20:23], 0 ; 4-byte Folded Reload
	s_waitcnt vmcnt(0)
	v_cmp_lt_u32_e32 vcc, 2, v41
	s_and_saveexec_b64 s[2:3], vcc
	s_cbranch_execz .LBB79_28
; %bb.27:
	buffer_load_dword v41, off, s[20:23], 0 offset:644 ; 4-byte Folded Reload
	buffer_load_dword v42, off, s[20:23], 0 offset:648 ; 4-byte Folded Reload
	;; [unrolled: 1-line block ×4, first 2 shown]
	s_waitcnt vmcnt(2)
	v_mul_f64 v[99:100], v[41:42], v[91:92]
	s_waitcnt vmcnt(0)
	v_mul_f64 v[97:98], v[43:44], v[91:92]
	v_fma_f64 v[91:92], v[43:44], v[89:90], v[99:100]
	ds_read2_b64 v[99:102], v0 offset0:6 offset1:7
	buffer_load_dword v37, off, s[20:23], 0 offset:196 ; 4-byte Folded Reload
	buffer_load_dword v38, off, s[20:23], 0 offset:200 ; 4-byte Folded Reload
	;; [unrolled: 1-line block ×4, first 2 shown]
	v_fma_f64 v[97:98], v[41:42], v[89:90], -v[97:98]
	s_waitcnt lgkmcnt(0)
	v_mul_f64 v[103:104], v[101:102], v[91:92]
	v_mov_b32_e32 v89, v97
	v_mov_b32_e32 v90, v98
	v_fma_f64 v[103:104], v[99:100], v[97:98], -v[103:104]
	v_mul_f64 v[99:100], v[99:100], v[91:92]
	v_fma_f64 v[99:100], v[101:102], v[97:98], v[99:100]
	s_waitcnt vmcnt(2)
	v_add_f64 v[37:38], v[37:38], -v[103:104]
	s_waitcnt vmcnt(0)
	v_add_f64 v[39:40], v[39:40], -v[99:100]
	buffer_store_dword v37, off, s[20:23], 0 offset:196 ; 4-byte Folded Spill
	s_nop 0
	buffer_store_dword v38, off, s[20:23], 0 offset:200 ; 4-byte Folded Spill
	buffer_store_dword v39, off, s[20:23], 0 offset:204 ; 4-byte Folded Spill
	;; [unrolled: 1-line block ×3, first 2 shown]
	ds_read2_b64 v[99:102], v0 offset0:8 offset1:9
	s_waitcnt lgkmcnt(0)
	v_mul_f64 v[103:104], v[101:102], v[91:92]
	v_fma_f64 v[103:104], v[99:100], v[97:98], -v[103:104]
	v_mul_f64 v[99:100], v[99:100], v[91:92]
	v_add_f64 v[33:34], v[33:34], -v[103:104]
	v_fma_f64 v[99:100], v[101:102], v[97:98], v[99:100]
	v_add_f64 v[35:36], v[35:36], -v[99:100]
	ds_read2_b64 v[99:102], v0 offset0:10 offset1:11
	s_waitcnt lgkmcnt(0)
	v_mul_f64 v[103:104], v[101:102], v[91:92]
	v_fma_f64 v[103:104], v[99:100], v[97:98], -v[103:104]
	v_mul_f64 v[99:100], v[99:100], v[91:92]
	v_add_f64 v[29:30], v[29:30], -v[103:104]
	v_fma_f64 v[99:100], v[101:102], v[97:98], v[99:100]
	v_add_f64 v[31:32], v[31:32], -v[99:100]
	;; [unrolled: 8-line block ×9, first 2 shown]
	ds_read2_b64 v[99:102], v0 offset0:26 offset1:27
	buffer_load_dword v81, off, s[20:23], 0 offset:180 ; 4-byte Folded Reload
	buffer_load_dword v82, off, s[20:23], 0 offset:184 ; 4-byte Folded Reload
	;; [unrolled: 1-line block ×4, first 2 shown]
	s_waitcnt lgkmcnt(0)
	v_mul_f64 v[103:104], v[101:102], v[91:92]
	v_fma_f64 v[103:104], v[99:100], v[97:98], -v[103:104]
	v_mul_f64 v[99:100], v[99:100], v[91:92]
	v_fma_f64 v[99:100], v[101:102], v[97:98], v[99:100]
	s_waitcnt vmcnt(2)
	v_add_f64 v[81:82], v[81:82], -v[103:104]
	s_waitcnt vmcnt(0)
	v_add_f64 v[83:84], v[83:84], -v[99:100]
	buffer_store_dword v81, off, s[20:23], 0 offset:180 ; 4-byte Folded Spill
	s_nop 0
	buffer_store_dword v82, off, s[20:23], 0 offset:184 ; 4-byte Folded Spill
	buffer_store_dword v83, off, s[20:23], 0 offset:188 ; 4-byte Folded Spill
	;; [unrolled: 1-line block ×3, first 2 shown]
	ds_read2_b64 v[99:102], v0 offset0:28 offset1:29
	s_waitcnt lgkmcnt(0)
	v_mul_f64 v[103:104], v[101:102], v[91:92]
	v_fma_f64 v[103:104], v[99:100], v[97:98], -v[103:104]
	v_mul_f64 v[99:100], v[99:100], v[91:92]
	v_add_f64 v[121:122], v[121:122], -v[103:104]
	v_fma_f64 v[99:100], v[101:102], v[97:98], v[99:100]
	v_add_f64 v[123:124], v[123:124], -v[99:100]
	ds_read2_b64 v[99:102], v0 offset0:30 offset1:31
	s_waitcnt lgkmcnt(0)
	v_mul_f64 v[103:104], v[101:102], v[91:92]
	v_fma_f64 v[103:104], v[99:100], v[97:98], -v[103:104]
	v_mul_f64 v[99:100], v[99:100], v[91:92]
	v_add_f64 v[109:110], v[109:110], -v[103:104]
	v_fma_f64 v[99:100], v[101:102], v[97:98], v[99:100]
	v_add_f64 v[111:112], v[111:112], -v[99:100]
	;; [unrolled: 8-line block ×13, first 2 shown]
	ds_read2_b64 v[99:102], v0 offset0:54 offset1:55
	buffer_load_dword v41, off, s[20:23], 0 offset:132 ; 4-byte Folded Reload
	buffer_load_dword v42, off, s[20:23], 0 offset:136 ; 4-byte Folded Reload
	buffer_load_dword v43, off, s[20:23], 0 offset:140 ; 4-byte Folded Reload
	buffer_load_dword v44, off, s[20:23], 0 offset:144 ; 4-byte Folded Reload
	s_waitcnt lgkmcnt(0)
	v_mul_f64 v[103:104], v[101:102], v[91:92]
	v_fma_f64 v[103:104], v[99:100], v[97:98], -v[103:104]
	v_mul_f64 v[99:100], v[99:100], v[91:92]
	v_fma_f64 v[99:100], v[101:102], v[97:98], v[99:100]
	s_waitcnt vmcnt(2)
	v_add_f64 v[41:42], v[41:42], -v[103:104]
	s_waitcnt vmcnt(0)
	v_add_f64 v[43:44], v[43:44], -v[99:100]
	buffer_store_dword v41, off, s[20:23], 0 offset:132 ; 4-byte Folded Spill
	s_nop 0
	buffer_store_dword v42, off, s[20:23], 0 offset:136 ; 4-byte Folded Spill
	buffer_store_dword v43, off, s[20:23], 0 offset:140 ; 4-byte Folded Spill
	buffer_store_dword v44, off, s[20:23], 0 offset:144 ; 4-byte Folded Spill
	ds_read2_b64 v[99:102], v0 offset0:56 offset1:57
	buffer_load_dword v41, off, s[20:23], 0 offset:116 ; 4-byte Folded Reload
	buffer_load_dword v42, off, s[20:23], 0 offset:120 ; 4-byte Folded Reload
	buffer_load_dword v43, off, s[20:23], 0 offset:124 ; 4-byte Folded Reload
	buffer_load_dword v44, off, s[20:23], 0 offset:128 ; 4-byte Folded Reload
	s_waitcnt lgkmcnt(0)
	v_mul_f64 v[103:104], v[101:102], v[91:92]
	v_fma_f64 v[103:104], v[99:100], v[97:98], -v[103:104]
	v_mul_f64 v[99:100], v[99:100], v[91:92]
	v_fma_f64 v[99:100], v[101:102], v[97:98], v[99:100]
	s_waitcnt vmcnt(2)
	v_add_f64 v[41:42], v[41:42], -v[103:104]
	s_waitcnt vmcnt(0)
	v_add_f64 v[43:44], v[43:44], -v[99:100]
	buffer_store_dword v41, off, s[20:23], 0 offset:116 ; 4-byte Folded Spill
	s_nop 0
	buffer_store_dword v42, off, s[20:23], 0 offset:120 ; 4-byte Folded Spill
	buffer_store_dword v43, off, s[20:23], 0 offset:124 ; 4-byte Folded Spill
	buffer_store_dword v44, off, s[20:23], 0 offset:128 ; 4-byte Folded Spill
	;; [unrolled: 19-line block ×11, first 2 shown]
	ds_read2_b64 v[99:102], v0 offset0:76 offset1:77
	s_waitcnt lgkmcnt(0)
	v_mul_f64 v[103:104], v[101:102], v[91:92]
	v_fma_f64 v[103:104], v[99:100], v[97:98], -v[103:104]
	v_mul_f64 v[99:100], v[99:100], v[91:92]
	v_add_f64 v[1:2], v[1:2], -v[103:104]
	v_fma_f64 v[99:100], v[101:102], v[97:98], v[99:100]
	v_add_f64 v[3:4], v[3:4], -v[99:100]
	ds_read2_b64 v[99:102], v0 offset0:78 offset1:79
	s_waitcnt lgkmcnt(0)
	v_mul_f64 v[103:104], v[101:102], v[91:92]
	v_fma_f64 v[103:104], v[99:100], v[97:98], -v[103:104]
	v_mul_f64 v[99:100], v[99:100], v[91:92]
	v_add_f64 v[45:46], v[45:46], -v[103:104]
	v_fma_f64 v[99:100], v[101:102], v[97:98], v[99:100]
	v_add_f64 v[47:48], v[47:48], -v[99:100]
.LBB79_28:
	s_or_b64 exec, exec, s[2:3]
	s_waitcnt vmcnt(0)
	s_barrier
	buffer_load_dword v41, off, s[20:23], 0 ; 4-byte Folded Reload
	s_waitcnt vmcnt(0)
	v_cmp_eq_u32_e32 vcc, 3, v41
	s_and_saveexec_b64 s[4:5], vcc
	s_cbranch_execz .LBB79_35
; %bb.29:
	buffer_load_dword v37, off, s[20:23], 0 offset:196 ; 4-byte Folded Reload
	buffer_load_dword v38, off, s[20:23], 0 offset:200 ; 4-byte Folded Reload
	buffer_load_dword v39, off, s[20:23], 0 offset:204 ; 4-byte Folded Reload
	buffer_load_dword v40, off, s[20:23], 0 offset:208 ; 4-byte Folded Reload
	s_waitcnt vmcnt(0)
	ds_write2_b64 v127, v[37:38], v[39:40] offset1:1
	ds_write2_b64 v0, v[33:34], v[35:36] offset0:8 offset1:9
	ds_write2_b64 v0, v[29:30], v[31:32] offset0:10 offset1:11
	ds_write2_b64 v0, v[25:26], v[27:28] offset0:12 offset1:13
	ds_write2_b64 v0, v[5:6], v[7:8] offset0:14 offset1:15
	ds_write2_b64 v0, v[9:10], v[11:12] offset0:16 offset1:17
	ds_write2_b64 v0, v[13:14], v[15:16] offset0:18 offset1:19
	ds_write2_b64 v0, v[17:18], v[19:20] offset0:20 offset1:21
	ds_write2_b64 v0, v[85:86], v[87:88] offset0:22 offset1:23
	ds_write2_b64 v0, v[21:22], v[23:24] offset0:24 offset1:25
	buffer_load_dword v81, off, s[20:23], 0 offset:180 ; 4-byte Folded Reload
	buffer_load_dword v82, off, s[20:23], 0 offset:184 ; 4-byte Folded Reload
	;; [unrolled: 1-line block ×4, first 2 shown]
	s_waitcnt vmcnt(0)
	ds_write2_b64 v0, v[81:82], v[83:84] offset0:26 offset1:27
	ds_write2_b64 v0, v[121:122], v[123:124] offset0:28 offset1:29
	;; [unrolled: 1-line block ×14, first 2 shown]
	buffer_load_dword v41, off, s[20:23], 0 offset:132 ; 4-byte Folded Reload
	buffer_load_dword v42, off, s[20:23], 0 offset:136 ; 4-byte Folded Reload
	buffer_load_dword v43, off, s[20:23], 0 offset:140 ; 4-byte Folded Reload
	buffer_load_dword v44, off, s[20:23], 0 offset:144 ; 4-byte Folded Reload
	s_waitcnt vmcnt(0)
	ds_write2_b64 v0, v[41:42], v[43:44] offset0:54 offset1:55
	buffer_load_dword v41, off, s[20:23], 0 offset:116 ; 4-byte Folded Reload
	buffer_load_dword v42, off, s[20:23], 0 offset:120 ; 4-byte Folded Reload
	buffer_load_dword v43, off, s[20:23], 0 offset:124 ; 4-byte Folded Reload
	buffer_load_dword v44, off, s[20:23], 0 offset:128 ; 4-byte Folded Reload
	s_waitcnt vmcnt(0)
	ds_write2_b64 v0, v[41:42], v[43:44] offset0:56 offset1:57
	;; [unrolled: 6-line block ×11, first 2 shown]
	ds_write2_b64 v0, v[1:2], v[3:4] offset0:76 offset1:77
	ds_write2_b64 v0, v[45:46], v[47:48] offset0:78 offset1:79
	ds_read2_b64 v[97:100], v127 offset1:1
	s_waitcnt lgkmcnt(0)
	v_cmp_neq_f64_e32 vcc, 0, v[97:98]
	v_cmp_neq_f64_e64 s[2:3], 0, v[99:100]
	s_or_b64 s[2:3], vcc, s[2:3]
	s_and_b64 exec, exec, s[2:3]
	s_cbranch_execz .LBB79_35
; %bb.30:
	v_cmp_ngt_f64_e64 s[2:3], |v[97:98]|, |v[99:100]|
                                        ; implicit-def: $vgpr101_vgpr102
	s_and_saveexec_b64 s[6:7], s[2:3]
	s_xor_b64 s[2:3], exec, s[6:7]
                                        ; implicit-def: $vgpr103_vgpr104
	s_cbranch_execz .LBB79_32
; %bb.31:
	v_div_scale_f64 v[101:102], s[6:7], v[99:100], v[99:100], v[97:98]
	v_rcp_f64_e32 v[103:104], v[101:102]
	v_fma_f64 v[105:106], -v[101:102], v[103:104], 1.0
	v_fma_f64 v[103:104], v[103:104], v[105:106], v[103:104]
	v_div_scale_f64 v[105:106], vcc, v[97:98], v[99:100], v[97:98]
	v_fma_f64 v[107:108], -v[101:102], v[103:104], 1.0
	v_fma_f64 v[103:104], v[103:104], v[107:108], v[103:104]
	v_mul_f64 v[107:108], v[105:106], v[103:104]
	v_fma_f64 v[101:102], -v[101:102], v[107:108], v[105:106]
	v_div_fmas_f64 v[101:102], v[101:102], v[103:104], v[107:108]
	v_div_fixup_f64 v[101:102], v[101:102], v[99:100], v[97:98]
	v_fma_f64 v[97:98], v[97:98], v[101:102], v[99:100]
	v_div_scale_f64 v[99:100], s[6:7], v[97:98], v[97:98], 1.0
	v_div_scale_f64 v[107:108], vcc, 1.0, v[97:98], 1.0
	v_rcp_f64_e32 v[103:104], v[99:100]
	v_fma_f64 v[105:106], -v[99:100], v[103:104], 1.0
	v_fma_f64 v[103:104], v[103:104], v[105:106], v[103:104]
	v_fma_f64 v[105:106], -v[99:100], v[103:104], 1.0
	v_fma_f64 v[103:104], v[103:104], v[105:106], v[103:104]
	v_mul_f64 v[105:106], v[107:108], v[103:104]
	v_fma_f64 v[99:100], -v[99:100], v[105:106], v[107:108]
	v_div_fmas_f64 v[99:100], v[99:100], v[103:104], v[105:106]
	v_div_fixup_f64 v[103:104], v[99:100], v[97:98], 1.0
                                        ; implicit-def: $vgpr97_vgpr98
	v_mul_f64 v[101:102], v[101:102], v[103:104]
	v_xor_b32_e32 v104, 0x80000000, v104
.LBB79_32:
	s_andn2_saveexec_b64 s[2:3], s[2:3]
	s_cbranch_execz .LBB79_34
; %bb.33:
	v_div_scale_f64 v[101:102], s[6:7], v[97:98], v[97:98], v[99:100]
	v_rcp_f64_e32 v[103:104], v[101:102]
	v_fma_f64 v[105:106], -v[101:102], v[103:104], 1.0
	v_fma_f64 v[103:104], v[103:104], v[105:106], v[103:104]
	v_div_scale_f64 v[105:106], vcc, v[99:100], v[97:98], v[99:100]
	v_fma_f64 v[107:108], -v[101:102], v[103:104], 1.0
	v_fma_f64 v[103:104], v[103:104], v[107:108], v[103:104]
	v_mul_f64 v[107:108], v[105:106], v[103:104]
	v_fma_f64 v[101:102], -v[101:102], v[107:108], v[105:106]
	v_div_fmas_f64 v[101:102], v[101:102], v[103:104], v[107:108]
	v_div_fixup_f64 v[103:104], v[101:102], v[97:98], v[99:100]
	v_fma_f64 v[97:98], v[99:100], v[103:104], v[97:98]
	v_div_scale_f64 v[99:100], s[6:7], v[97:98], v[97:98], 1.0
	v_div_scale_f64 v[107:108], vcc, 1.0, v[97:98], 1.0
	v_rcp_f64_e32 v[101:102], v[99:100]
	v_fma_f64 v[105:106], -v[99:100], v[101:102], 1.0
	v_fma_f64 v[101:102], v[101:102], v[105:106], v[101:102]
	v_fma_f64 v[105:106], -v[99:100], v[101:102], 1.0
	v_fma_f64 v[101:102], v[101:102], v[105:106], v[101:102]
	v_mul_f64 v[105:106], v[107:108], v[101:102]
	v_fma_f64 v[99:100], -v[99:100], v[105:106], v[107:108]
	v_div_fmas_f64 v[99:100], v[99:100], v[101:102], v[105:106]
	v_div_fixup_f64 v[101:102], v[99:100], v[97:98], 1.0
	v_mul_f64 v[103:104], v[103:104], -v[101:102]
.LBB79_34:
	s_or_b64 exec, exec, s[2:3]
	ds_write2_b64 v127, v[101:102], v[103:104] offset1:1
.LBB79_35:
	s_or_b64 exec, exec, s[4:5]
	s_waitcnt lgkmcnt(0)
	s_barrier
	ds_read2_b64 v[41:44], v127 offset1:1
	s_waitcnt lgkmcnt(0)
	buffer_store_dword v41, off, s[20:23], 0 offset:660 ; 4-byte Folded Spill
	s_nop 0
	buffer_store_dword v42, off, s[20:23], 0 offset:664 ; 4-byte Folded Spill
	buffer_store_dword v43, off, s[20:23], 0 offset:668 ; 4-byte Folded Spill
	;; [unrolled: 1-line block ×3, first 2 shown]
	buffer_load_dword v41, off, s[20:23], 0 ; 4-byte Folded Reload
	s_waitcnt vmcnt(0)
	v_cmp_lt_u32_e32 vcc, 3, v41
	s_and_saveexec_b64 s[2:3], vcc
	s_cbranch_execz .LBB79_37
; %bb.36:
	buffer_load_dword v41, off, s[20:23], 0 offset:660 ; 4-byte Folded Reload
	buffer_load_dword v42, off, s[20:23], 0 offset:664 ; 4-byte Folded Reload
	;; [unrolled: 1-line block ×8, first 2 shown]
	s_waitcnt vmcnt(0)
	v_mul_f64 v[99:100], v[41:42], v[39:40]
	v_mul_f64 v[97:98], v[43:44], v[39:40]
	v_fma_f64 v[39:40], v[43:44], v[37:38], v[99:100]
	ds_read2_b64 v[99:102], v0 offset0:8 offset1:9
	v_fma_f64 v[97:98], v[41:42], v[37:38], -v[97:98]
	s_waitcnt lgkmcnt(0)
	v_mul_f64 v[103:104], v[101:102], v[39:40]
	v_mov_b32_e32 v37, v97
	v_mov_b32_e32 v38, v98
	v_fma_f64 v[103:104], v[99:100], v[97:98], -v[103:104]
	v_mul_f64 v[99:100], v[99:100], v[39:40]
	v_add_f64 v[33:34], v[33:34], -v[103:104]
	v_fma_f64 v[99:100], v[101:102], v[97:98], v[99:100]
	v_add_f64 v[35:36], v[35:36], -v[99:100]
	ds_read2_b64 v[99:102], v0 offset0:10 offset1:11
	s_waitcnt lgkmcnt(0)
	v_mul_f64 v[103:104], v[101:102], v[39:40]
	v_fma_f64 v[103:104], v[99:100], v[97:98], -v[103:104]
	v_mul_f64 v[99:100], v[99:100], v[39:40]
	v_add_f64 v[29:30], v[29:30], -v[103:104]
	v_fma_f64 v[99:100], v[101:102], v[97:98], v[99:100]
	v_add_f64 v[31:32], v[31:32], -v[99:100]
	ds_read2_b64 v[99:102], v0 offset0:12 offset1:13
	s_waitcnt lgkmcnt(0)
	v_mul_f64 v[103:104], v[101:102], v[39:40]
	;; [unrolled: 8-line block ×8, first 2 shown]
	v_fma_f64 v[103:104], v[99:100], v[97:98], -v[103:104]
	v_mul_f64 v[99:100], v[99:100], v[39:40]
	v_add_f64 v[21:22], v[21:22], -v[103:104]
	v_fma_f64 v[99:100], v[101:102], v[97:98], v[99:100]
	v_add_f64 v[23:24], v[23:24], -v[99:100]
	ds_read2_b64 v[99:102], v0 offset0:26 offset1:27
	buffer_load_dword v81, off, s[20:23], 0 offset:180 ; 4-byte Folded Reload
	buffer_load_dword v82, off, s[20:23], 0 offset:184 ; 4-byte Folded Reload
	;; [unrolled: 1-line block ×4, first 2 shown]
	s_waitcnt lgkmcnt(0)
	v_mul_f64 v[103:104], v[101:102], v[39:40]
	v_fma_f64 v[103:104], v[99:100], v[97:98], -v[103:104]
	v_mul_f64 v[99:100], v[99:100], v[39:40]
	v_fma_f64 v[99:100], v[101:102], v[97:98], v[99:100]
	s_waitcnt vmcnt(2)
	v_add_f64 v[81:82], v[81:82], -v[103:104]
	s_waitcnt vmcnt(0)
	v_add_f64 v[83:84], v[83:84], -v[99:100]
	buffer_store_dword v81, off, s[20:23], 0 offset:180 ; 4-byte Folded Spill
	s_nop 0
	buffer_store_dword v82, off, s[20:23], 0 offset:184 ; 4-byte Folded Spill
	buffer_store_dword v83, off, s[20:23], 0 offset:188 ; 4-byte Folded Spill
	;; [unrolled: 1-line block ×3, first 2 shown]
	ds_read2_b64 v[99:102], v0 offset0:28 offset1:29
	s_waitcnt lgkmcnt(0)
	v_mul_f64 v[103:104], v[101:102], v[39:40]
	v_fma_f64 v[103:104], v[99:100], v[97:98], -v[103:104]
	v_mul_f64 v[99:100], v[99:100], v[39:40]
	v_add_f64 v[121:122], v[121:122], -v[103:104]
	v_fma_f64 v[99:100], v[101:102], v[97:98], v[99:100]
	v_add_f64 v[123:124], v[123:124], -v[99:100]
	ds_read2_b64 v[99:102], v0 offset0:30 offset1:31
	s_waitcnt lgkmcnt(0)
	v_mul_f64 v[103:104], v[101:102], v[39:40]
	v_fma_f64 v[103:104], v[99:100], v[97:98], -v[103:104]
	v_mul_f64 v[99:100], v[99:100], v[39:40]
	v_add_f64 v[109:110], v[109:110], -v[103:104]
	v_fma_f64 v[99:100], v[101:102], v[97:98], v[99:100]
	v_add_f64 v[111:112], v[111:112], -v[99:100]
	;; [unrolled: 8-line block ×13, first 2 shown]
	ds_read2_b64 v[99:102], v0 offset0:54 offset1:55
	buffer_load_dword v41, off, s[20:23], 0 offset:132 ; 4-byte Folded Reload
	buffer_load_dword v42, off, s[20:23], 0 offset:136 ; 4-byte Folded Reload
	buffer_load_dword v43, off, s[20:23], 0 offset:140 ; 4-byte Folded Reload
	buffer_load_dword v44, off, s[20:23], 0 offset:144 ; 4-byte Folded Reload
	s_waitcnt lgkmcnt(0)
	v_mul_f64 v[103:104], v[101:102], v[39:40]
	v_fma_f64 v[103:104], v[99:100], v[97:98], -v[103:104]
	v_mul_f64 v[99:100], v[99:100], v[39:40]
	v_fma_f64 v[99:100], v[101:102], v[97:98], v[99:100]
	s_waitcnt vmcnt(2)
	v_add_f64 v[41:42], v[41:42], -v[103:104]
	s_waitcnt vmcnt(0)
	v_add_f64 v[43:44], v[43:44], -v[99:100]
	buffer_store_dword v41, off, s[20:23], 0 offset:132 ; 4-byte Folded Spill
	s_nop 0
	buffer_store_dword v42, off, s[20:23], 0 offset:136 ; 4-byte Folded Spill
	buffer_store_dword v43, off, s[20:23], 0 offset:140 ; 4-byte Folded Spill
	buffer_store_dword v44, off, s[20:23], 0 offset:144 ; 4-byte Folded Spill
	ds_read2_b64 v[99:102], v0 offset0:56 offset1:57
	buffer_load_dword v41, off, s[20:23], 0 offset:116 ; 4-byte Folded Reload
	buffer_load_dword v42, off, s[20:23], 0 offset:120 ; 4-byte Folded Reload
	buffer_load_dword v43, off, s[20:23], 0 offset:124 ; 4-byte Folded Reload
	buffer_load_dword v44, off, s[20:23], 0 offset:128 ; 4-byte Folded Reload
	s_waitcnt lgkmcnt(0)
	v_mul_f64 v[103:104], v[101:102], v[39:40]
	v_fma_f64 v[103:104], v[99:100], v[97:98], -v[103:104]
	v_mul_f64 v[99:100], v[99:100], v[39:40]
	v_fma_f64 v[99:100], v[101:102], v[97:98], v[99:100]
	s_waitcnt vmcnt(2)
	v_add_f64 v[41:42], v[41:42], -v[103:104]
	s_waitcnt vmcnt(0)
	v_add_f64 v[43:44], v[43:44], -v[99:100]
	buffer_store_dword v41, off, s[20:23], 0 offset:116 ; 4-byte Folded Spill
	s_nop 0
	buffer_store_dword v42, off, s[20:23], 0 offset:120 ; 4-byte Folded Spill
	buffer_store_dword v43, off, s[20:23], 0 offset:124 ; 4-byte Folded Spill
	buffer_store_dword v44, off, s[20:23], 0 offset:128 ; 4-byte Folded Spill
	;; [unrolled: 19-line block ×11, first 2 shown]
	ds_read2_b64 v[99:102], v0 offset0:76 offset1:77
	s_waitcnt lgkmcnt(0)
	v_mul_f64 v[103:104], v[101:102], v[39:40]
	v_fma_f64 v[103:104], v[99:100], v[97:98], -v[103:104]
	v_mul_f64 v[99:100], v[99:100], v[39:40]
	v_add_f64 v[1:2], v[1:2], -v[103:104]
	v_fma_f64 v[99:100], v[101:102], v[97:98], v[99:100]
	v_add_f64 v[3:4], v[3:4], -v[99:100]
	ds_read2_b64 v[99:102], v0 offset0:78 offset1:79
	s_waitcnt lgkmcnt(0)
	v_mul_f64 v[103:104], v[101:102], v[39:40]
	v_fma_f64 v[103:104], v[99:100], v[97:98], -v[103:104]
	v_mul_f64 v[99:100], v[99:100], v[39:40]
	buffer_store_dword v37, off, s[20:23], 0 offset:196 ; 4-byte Folded Spill
	s_nop 0
	buffer_store_dword v38, off, s[20:23], 0 offset:200 ; 4-byte Folded Spill
	buffer_store_dword v39, off, s[20:23], 0 offset:204 ; 4-byte Folded Spill
	buffer_store_dword v40, off, s[20:23], 0 offset:208 ; 4-byte Folded Spill
	v_add_f64 v[45:46], v[45:46], -v[103:104]
	v_fma_f64 v[99:100], v[101:102], v[97:98], v[99:100]
	v_add_f64 v[47:48], v[47:48], -v[99:100]
.LBB79_37:
	s_or_b64 exec, exec, s[2:3]
	s_waitcnt vmcnt(0)
	s_barrier
	buffer_load_dword v41, off, s[20:23], 0 ; 4-byte Folded Reload
	s_waitcnt vmcnt(0)
	v_cmp_eq_u32_e32 vcc, 4, v41
	s_and_saveexec_b64 s[4:5], vcc
	s_cbranch_execz .LBB79_44
; %bb.38:
	ds_write2_b64 v127, v[33:34], v[35:36] offset1:1
	ds_write2_b64 v0, v[29:30], v[31:32] offset0:10 offset1:11
	ds_write2_b64 v0, v[25:26], v[27:28] offset0:12 offset1:13
	;; [unrolled: 1-line block ×8, first 2 shown]
	buffer_load_dword v81, off, s[20:23], 0 offset:180 ; 4-byte Folded Reload
	buffer_load_dword v82, off, s[20:23], 0 offset:184 ; 4-byte Folded Reload
	;; [unrolled: 1-line block ×4, first 2 shown]
	s_waitcnt vmcnt(0)
	ds_write2_b64 v0, v[81:82], v[83:84] offset0:26 offset1:27
	ds_write2_b64 v0, v[121:122], v[123:124] offset0:28 offset1:29
	;; [unrolled: 1-line block ×14, first 2 shown]
	buffer_load_dword v41, off, s[20:23], 0 offset:132 ; 4-byte Folded Reload
	buffer_load_dword v42, off, s[20:23], 0 offset:136 ; 4-byte Folded Reload
	buffer_load_dword v43, off, s[20:23], 0 offset:140 ; 4-byte Folded Reload
	buffer_load_dword v44, off, s[20:23], 0 offset:144 ; 4-byte Folded Reload
	s_waitcnt vmcnt(0)
	ds_write2_b64 v0, v[41:42], v[43:44] offset0:54 offset1:55
	buffer_load_dword v41, off, s[20:23], 0 offset:116 ; 4-byte Folded Reload
	buffer_load_dword v42, off, s[20:23], 0 offset:120 ; 4-byte Folded Reload
	buffer_load_dword v43, off, s[20:23], 0 offset:124 ; 4-byte Folded Reload
	buffer_load_dword v44, off, s[20:23], 0 offset:128 ; 4-byte Folded Reload
	s_waitcnt vmcnt(0)
	ds_write2_b64 v0, v[41:42], v[43:44] offset0:56 offset1:57
	;; [unrolled: 6-line block ×11, first 2 shown]
	ds_write2_b64 v0, v[1:2], v[3:4] offset0:76 offset1:77
	ds_write2_b64 v0, v[45:46], v[47:48] offset0:78 offset1:79
	ds_read2_b64 v[97:100], v127 offset1:1
	s_waitcnt lgkmcnt(0)
	v_cmp_neq_f64_e32 vcc, 0, v[97:98]
	v_cmp_neq_f64_e64 s[2:3], 0, v[99:100]
	s_or_b64 s[2:3], vcc, s[2:3]
	s_and_b64 exec, exec, s[2:3]
	s_cbranch_execz .LBB79_44
; %bb.39:
	v_cmp_ngt_f64_e64 s[2:3], |v[97:98]|, |v[99:100]|
                                        ; implicit-def: $vgpr101_vgpr102
	s_and_saveexec_b64 s[6:7], s[2:3]
	s_xor_b64 s[2:3], exec, s[6:7]
                                        ; implicit-def: $vgpr103_vgpr104
	s_cbranch_execz .LBB79_41
; %bb.40:
	v_div_scale_f64 v[101:102], s[6:7], v[99:100], v[99:100], v[97:98]
	v_rcp_f64_e32 v[103:104], v[101:102]
	v_fma_f64 v[105:106], -v[101:102], v[103:104], 1.0
	v_fma_f64 v[103:104], v[103:104], v[105:106], v[103:104]
	v_div_scale_f64 v[105:106], vcc, v[97:98], v[99:100], v[97:98]
	v_fma_f64 v[107:108], -v[101:102], v[103:104], 1.0
	v_fma_f64 v[103:104], v[103:104], v[107:108], v[103:104]
	v_mul_f64 v[107:108], v[105:106], v[103:104]
	v_fma_f64 v[101:102], -v[101:102], v[107:108], v[105:106]
	v_div_fmas_f64 v[101:102], v[101:102], v[103:104], v[107:108]
	v_div_fixup_f64 v[101:102], v[101:102], v[99:100], v[97:98]
	v_fma_f64 v[97:98], v[97:98], v[101:102], v[99:100]
	v_div_scale_f64 v[99:100], s[6:7], v[97:98], v[97:98], 1.0
	v_div_scale_f64 v[107:108], vcc, 1.0, v[97:98], 1.0
	v_rcp_f64_e32 v[103:104], v[99:100]
	v_fma_f64 v[105:106], -v[99:100], v[103:104], 1.0
	v_fma_f64 v[103:104], v[103:104], v[105:106], v[103:104]
	v_fma_f64 v[105:106], -v[99:100], v[103:104], 1.0
	v_fma_f64 v[103:104], v[103:104], v[105:106], v[103:104]
	v_mul_f64 v[105:106], v[107:108], v[103:104]
	v_fma_f64 v[99:100], -v[99:100], v[105:106], v[107:108]
	v_div_fmas_f64 v[99:100], v[99:100], v[103:104], v[105:106]
	v_div_fixup_f64 v[103:104], v[99:100], v[97:98], 1.0
                                        ; implicit-def: $vgpr97_vgpr98
	v_mul_f64 v[101:102], v[101:102], v[103:104]
	v_xor_b32_e32 v104, 0x80000000, v104
.LBB79_41:
	s_andn2_saveexec_b64 s[2:3], s[2:3]
	s_cbranch_execz .LBB79_43
; %bb.42:
	v_div_scale_f64 v[101:102], s[6:7], v[97:98], v[97:98], v[99:100]
	v_rcp_f64_e32 v[103:104], v[101:102]
	v_fma_f64 v[105:106], -v[101:102], v[103:104], 1.0
	v_fma_f64 v[103:104], v[103:104], v[105:106], v[103:104]
	v_div_scale_f64 v[105:106], vcc, v[99:100], v[97:98], v[99:100]
	v_fma_f64 v[107:108], -v[101:102], v[103:104], 1.0
	v_fma_f64 v[103:104], v[103:104], v[107:108], v[103:104]
	v_mul_f64 v[107:108], v[105:106], v[103:104]
	v_fma_f64 v[101:102], -v[101:102], v[107:108], v[105:106]
	v_div_fmas_f64 v[101:102], v[101:102], v[103:104], v[107:108]
	v_div_fixup_f64 v[103:104], v[101:102], v[97:98], v[99:100]
	v_fma_f64 v[97:98], v[99:100], v[103:104], v[97:98]
	v_div_scale_f64 v[99:100], s[6:7], v[97:98], v[97:98], 1.0
	v_div_scale_f64 v[107:108], vcc, 1.0, v[97:98], 1.0
	v_rcp_f64_e32 v[101:102], v[99:100]
	v_fma_f64 v[105:106], -v[99:100], v[101:102], 1.0
	v_fma_f64 v[101:102], v[101:102], v[105:106], v[101:102]
	v_fma_f64 v[105:106], -v[99:100], v[101:102], 1.0
	v_fma_f64 v[101:102], v[101:102], v[105:106], v[101:102]
	v_mul_f64 v[105:106], v[107:108], v[101:102]
	v_fma_f64 v[99:100], -v[99:100], v[105:106], v[107:108]
	v_div_fmas_f64 v[99:100], v[99:100], v[101:102], v[105:106]
	v_div_fixup_f64 v[101:102], v[99:100], v[97:98], 1.0
	v_mul_f64 v[103:104], v[103:104], -v[101:102]
.LBB79_43:
	s_or_b64 exec, exec, s[2:3]
	ds_write2_b64 v127, v[101:102], v[103:104] offset1:1
.LBB79_44:
	s_or_b64 exec, exec, s[4:5]
	s_waitcnt lgkmcnt(0)
	s_barrier
	ds_read2_b64 v[41:44], v127 offset1:1
	s_waitcnt lgkmcnt(0)
	buffer_store_dword v41, off, s[20:23], 0 offset:676 ; 4-byte Folded Spill
	s_nop 0
	buffer_store_dword v42, off, s[20:23], 0 offset:680 ; 4-byte Folded Spill
	buffer_store_dword v43, off, s[20:23], 0 offset:684 ; 4-byte Folded Spill
	;; [unrolled: 1-line block ×3, first 2 shown]
	buffer_load_dword v41, off, s[20:23], 0 ; 4-byte Folded Reload
	s_waitcnt vmcnt(0)
	v_cmp_lt_u32_e32 vcc, 4, v41
	s_and_saveexec_b64 s[2:3], vcc
	s_cbranch_execz .LBB79_46
; %bb.45:
	buffer_load_dword v41, off, s[20:23], 0 offset:676 ; 4-byte Folded Reload
	buffer_load_dword v42, off, s[20:23], 0 offset:680 ; 4-byte Folded Reload
	;; [unrolled: 1-line block ×4, first 2 shown]
	s_waitcnt vmcnt(2)
	v_mul_f64 v[99:100], v[41:42], v[35:36]
	s_waitcnt vmcnt(0)
	v_mul_f64 v[97:98], v[43:44], v[35:36]
	v_fma_f64 v[35:36], v[43:44], v[33:34], v[99:100]
	ds_read2_b64 v[99:102], v0 offset0:10 offset1:11
	v_fma_f64 v[97:98], v[41:42], v[33:34], -v[97:98]
	s_waitcnt lgkmcnt(0)
	v_mul_f64 v[103:104], v[101:102], v[35:36]
	v_mov_b32_e32 v33, v97
	v_mov_b32_e32 v34, v98
	v_fma_f64 v[103:104], v[99:100], v[97:98], -v[103:104]
	v_mul_f64 v[99:100], v[99:100], v[35:36]
	v_add_f64 v[29:30], v[29:30], -v[103:104]
	v_fma_f64 v[99:100], v[101:102], v[97:98], v[99:100]
	v_add_f64 v[31:32], v[31:32], -v[99:100]
	ds_read2_b64 v[99:102], v0 offset0:12 offset1:13
	s_waitcnt lgkmcnt(0)
	v_mul_f64 v[103:104], v[101:102], v[35:36]
	v_fma_f64 v[103:104], v[99:100], v[97:98], -v[103:104]
	v_mul_f64 v[99:100], v[99:100], v[35:36]
	v_add_f64 v[25:26], v[25:26], -v[103:104]
	v_fma_f64 v[99:100], v[101:102], v[97:98], v[99:100]
	v_add_f64 v[27:28], v[27:28], -v[99:100]
	ds_read2_b64 v[99:102], v0 offset0:14 offset1:15
	s_waitcnt lgkmcnt(0)
	v_mul_f64 v[103:104], v[101:102], v[35:36]
	v_fma_f64 v[103:104], v[99:100], v[97:98], -v[103:104]
	v_mul_f64 v[99:100], v[99:100], v[35:36]
	v_add_f64 v[5:6], v[5:6], -v[103:104]
	v_fma_f64 v[99:100], v[101:102], v[97:98], v[99:100]
	v_add_f64 v[7:8], v[7:8], -v[99:100]
	ds_read2_b64 v[99:102], v0 offset0:16 offset1:17
	s_waitcnt lgkmcnt(0)
	v_mul_f64 v[103:104], v[101:102], v[35:36]
	v_fma_f64 v[103:104], v[99:100], v[97:98], -v[103:104]
	v_mul_f64 v[99:100], v[99:100], v[35:36]
	v_add_f64 v[9:10], v[9:10], -v[103:104]
	v_fma_f64 v[99:100], v[101:102], v[97:98], v[99:100]
	v_add_f64 v[11:12], v[11:12], -v[99:100]
	ds_read2_b64 v[99:102], v0 offset0:18 offset1:19
	s_waitcnt lgkmcnt(0)
	v_mul_f64 v[103:104], v[101:102], v[35:36]
	v_fma_f64 v[103:104], v[99:100], v[97:98], -v[103:104]
	v_mul_f64 v[99:100], v[99:100], v[35:36]
	v_add_f64 v[13:14], v[13:14], -v[103:104]
	v_fma_f64 v[99:100], v[101:102], v[97:98], v[99:100]
	v_add_f64 v[15:16], v[15:16], -v[99:100]
	ds_read2_b64 v[99:102], v0 offset0:20 offset1:21
	s_waitcnt lgkmcnt(0)
	v_mul_f64 v[103:104], v[101:102], v[35:36]
	v_fma_f64 v[103:104], v[99:100], v[97:98], -v[103:104]
	v_mul_f64 v[99:100], v[99:100], v[35:36]
	v_add_f64 v[17:18], v[17:18], -v[103:104]
	v_fma_f64 v[99:100], v[101:102], v[97:98], v[99:100]
	v_add_f64 v[19:20], v[19:20], -v[99:100]
	ds_read2_b64 v[99:102], v0 offset0:22 offset1:23
	s_waitcnt lgkmcnt(0)
	v_mul_f64 v[103:104], v[101:102], v[35:36]
	v_fma_f64 v[103:104], v[99:100], v[97:98], -v[103:104]
	v_mul_f64 v[99:100], v[99:100], v[35:36]
	v_add_f64 v[85:86], v[85:86], -v[103:104]
	v_fma_f64 v[99:100], v[101:102], v[97:98], v[99:100]
	v_add_f64 v[87:88], v[87:88], -v[99:100]
	ds_read2_b64 v[99:102], v0 offset0:24 offset1:25
	s_waitcnt lgkmcnt(0)
	v_mul_f64 v[103:104], v[101:102], v[35:36]
	v_fma_f64 v[103:104], v[99:100], v[97:98], -v[103:104]
	v_mul_f64 v[99:100], v[99:100], v[35:36]
	v_add_f64 v[21:22], v[21:22], -v[103:104]
	v_fma_f64 v[99:100], v[101:102], v[97:98], v[99:100]
	v_add_f64 v[23:24], v[23:24], -v[99:100]
	ds_read2_b64 v[99:102], v0 offset0:26 offset1:27
	buffer_load_dword v81, off, s[20:23], 0 offset:180 ; 4-byte Folded Reload
	buffer_load_dword v82, off, s[20:23], 0 offset:184 ; 4-byte Folded Reload
	;; [unrolled: 1-line block ×4, first 2 shown]
	s_waitcnt lgkmcnt(0)
	v_mul_f64 v[103:104], v[101:102], v[35:36]
	v_fma_f64 v[103:104], v[99:100], v[97:98], -v[103:104]
	v_mul_f64 v[99:100], v[99:100], v[35:36]
	v_fma_f64 v[99:100], v[101:102], v[97:98], v[99:100]
	s_waitcnt vmcnt(2)
	v_add_f64 v[81:82], v[81:82], -v[103:104]
	s_waitcnt vmcnt(0)
	v_add_f64 v[83:84], v[83:84], -v[99:100]
	buffer_store_dword v81, off, s[20:23], 0 offset:180 ; 4-byte Folded Spill
	s_nop 0
	buffer_store_dword v82, off, s[20:23], 0 offset:184 ; 4-byte Folded Spill
	buffer_store_dword v83, off, s[20:23], 0 offset:188 ; 4-byte Folded Spill
	;; [unrolled: 1-line block ×3, first 2 shown]
	ds_read2_b64 v[99:102], v0 offset0:28 offset1:29
	s_waitcnt lgkmcnt(0)
	v_mul_f64 v[103:104], v[101:102], v[35:36]
	v_fma_f64 v[103:104], v[99:100], v[97:98], -v[103:104]
	v_mul_f64 v[99:100], v[99:100], v[35:36]
	v_add_f64 v[121:122], v[121:122], -v[103:104]
	v_fma_f64 v[99:100], v[101:102], v[97:98], v[99:100]
	v_add_f64 v[123:124], v[123:124], -v[99:100]
	ds_read2_b64 v[99:102], v0 offset0:30 offset1:31
	s_waitcnt lgkmcnt(0)
	v_mul_f64 v[103:104], v[101:102], v[35:36]
	v_fma_f64 v[103:104], v[99:100], v[97:98], -v[103:104]
	v_mul_f64 v[99:100], v[99:100], v[35:36]
	v_add_f64 v[109:110], v[109:110], -v[103:104]
	v_fma_f64 v[99:100], v[101:102], v[97:98], v[99:100]
	v_add_f64 v[111:112], v[111:112], -v[99:100]
	ds_read2_b64 v[99:102], v0 offset0:32 offset1:33
	s_waitcnt lgkmcnt(0)
	v_mul_f64 v[103:104], v[101:102], v[35:36]
	v_fma_f64 v[103:104], v[99:100], v[97:98], -v[103:104]
	v_mul_f64 v[99:100], v[99:100], v[35:36]
	v_add_f64 v[117:118], v[117:118], -v[103:104]
	v_fma_f64 v[99:100], v[101:102], v[97:98], v[99:100]
	v_add_f64 v[119:120], v[119:120], -v[99:100]
	ds_read2_b64 v[99:102], v0 offset0:34 offset1:35
	s_waitcnt lgkmcnt(0)
	v_mul_f64 v[103:104], v[101:102], v[35:36]
	v_fma_f64 v[103:104], v[99:100], v[97:98], -v[103:104]
	v_mul_f64 v[99:100], v[99:100], v[35:36]
	v_add_f64 v[113:114], v[113:114], -v[103:104]
	v_fma_f64 v[99:100], v[101:102], v[97:98], v[99:100]
	v_add_f64 v[115:116], v[115:116], -v[99:100]
	ds_read2_b64 v[99:102], v0 offset0:36 offset1:37
	s_waitcnt lgkmcnt(0)
	v_mul_f64 v[103:104], v[101:102], v[35:36]
	v_fma_f64 v[103:104], v[99:100], v[97:98], -v[103:104]
	v_mul_f64 v[99:100], v[99:100], v[35:36]
	v_add_f64 v[93:94], v[93:94], -v[103:104]
	v_fma_f64 v[99:100], v[101:102], v[97:98], v[99:100]
	v_add_f64 v[95:96], v[95:96], -v[99:100]
	ds_read2_b64 v[99:102], v0 offset0:38 offset1:39
	s_waitcnt lgkmcnt(0)
	v_mul_f64 v[103:104], v[101:102], v[35:36]
	v_fma_f64 v[103:104], v[99:100], v[97:98], -v[103:104]
	v_mul_f64 v[99:100], v[99:100], v[35:36]
	v_add_f64 v[77:78], v[77:78], -v[103:104]
	v_fma_f64 v[99:100], v[101:102], v[97:98], v[99:100]
	v_add_f64 v[79:80], v[79:80], -v[99:100]
	ds_read2_b64 v[99:102], v0 offset0:40 offset1:41
	s_waitcnt lgkmcnt(0)
	v_mul_f64 v[103:104], v[101:102], v[35:36]
	v_fma_f64 v[103:104], v[99:100], v[97:98], -v[103:104]
	v_mul_f64 v[99:100], v[99:100], v[35:36]
	v_add_f64 v[73:74], v[73:74], -v[103:104]
	v_fma_f64 v[99:100], v[101:102], v[97:98], v[99:100]
	v_add_f64 v[75:76], v[75:76], -v[99:100]
	ds_read2_b64 v[99:102], v0 offset0:42 offset1:43
	s_waitcnt lgkmcnt(0)
	v_mul_f64 v[103:104], v[101:102], v[35:36]
	v_fma_f64 v[103:104], v[99:100], v[97:98], -v[103:104]
	v_mul_f64 v[99:100], v[99:100], v[35:36]
	v_add_f64 v[69:70], v[69:70], -v[103:104]
	v_fma_f64 v[99:100], v[101:102], v[97:98], v[99:100]
	v_add_f64 v[71:72], v[71:72], -v[99:100]
	ds_read2_b64 v[99:102], v0 offset0:44 offset1:45
	s_waitcnt lgkmcnt(0)
	v_mul_f64 v[103:104], v[101:102], v[35:36]
	v_fma_f64 v[103:104], v[99:100], v[97:98], -v[103:104]
	v_mul_f64 v[99:100], v[99:100], v[35:36]
	v_add_f64 v[65:66], v[65:66], -v[103:104]
	v_fma_f64 v[99:100], v[101:102], v[97:98], v[99:100]
	v_add_f64 v[67:68], v[67:68], -v[99:100]
	ds_read2_b64 v[99:102], v0 offset0:46 offset1:47
	s_waitcnt lgkmcnt(0)
	v_mul_f64 v[103:104], v[101:102], v[35:36]
	v_fma_f64 v[103:104], v[99:100], v[97:98], -v[103:104]
	v_mul_f64 v[99:100], v[99:100], v[35:36]
	v_add_f64 v[61:62], v[61:62], -v[103:104]
	v_fma_f64 v[99:100], v[101:102], v[97:98], v[99:100]
	v_add_f64 v[63:64], v[63:64], -v[99:100]
	ds_read2_b64 v[99:102], v0 offset0:48 offset1:49
	s_waitcnt lgkmcnt(0)
	v_mul_f64 v[103:104], v[101:102], v[35:36]
	v_fma_f64 v[103:104], v[99:100], v[97:98], -v[103:104]
	v_mul_f64 v[99:100], v[99:100], v[35:36]
	v_add_f64 v[57:58], v[57:58], -v[103:104]
	v_fma_f64 v[99:100], v[101:102], v[97:98], v[99:100]
	v_add_f64 v[59:60], v[59:60], -v[99:100]
	ds_read2_b64 v[99:102], v0 offset0:50 offset1:51
	s_waitcnt lgkmcnt(0)
	v_mul_f64 v[103:104], v[101:102], v[35:36]
	v_fma_f64 v[103:104], v[99:100], v[97:98], -v[103:104]
	v_mul_f64 v[99:100], v[99:100], v[35:36]
	v_add_f64 v[53:54], v[53:54], -v[103:104]
	v_fma_f64 v[99:100], v[101:102], v[97:98], v[99:100]
	v_add_f64 v[55:56], v[55:56], -v[99:100]
	ds_read2_b64 v[99:102], v0 offset0:52 offset1:53
	s_waitcnt lgkmcnt(0)
	v_mul_f64 v[103:104], v[101:102], v[35:36]
	v_fma_f64 v[103:104], v[99:100], v[97:98], -v[103:104]
	v_mul_f64 v[99:100], v[99:100], v[35:36]
	v_add_f64 v[49:50], v[49:50], -v[103:104]
	v_fma_f64 v[99:100], v[101:102], v[97:98], v[99:100]
	v_add_f64 v[51:52], v[51:52], -v[99:100]
	ds_read2_b64 v[99:102], v0 offset0:54 offset1:55
	buffer_load_dword v41, off, s[20:23], 0 offset:132 ; 4-byte Folded Reload
	buffer_load_dword v42, off, s[20:23], 0 offset:136 ; 4-byte Folded Reload
	buffer_load_dword v43, off, s[20:23], 0 offset:140 ; 4-byte Folded Reload
	buffer_load_dword v44, off, s[20:23], 0 offset:144 ; 4-byte Folded Reload
	s_waitcnt lgkmcnt(0)
	v_mul_f64 v[103:104], v[101:102], v[35:36]
	v_fma_f64 v[103:104], v[99:100], v[97:98], -v[103:104]
	v_mul_f64 v[99:100], v[99:100], v[35:36]
	v_fma_f64 v[99:100], v[101:102], v[97:98], v[99:100]
	s_waitcnt vmcnt(2)
	v_add_f64 v[41:42], v[41:42], -v[103:104]
	s_waitcnt vmcnt(0)
	v_add_f64 v[43:44], v[43:44], -v[99:100]
	buffer_store_dword v41, off, s[20:23], 0 offset:132 ; 4-byte Folded Spill
	s_nop 0
	buffer_store_dword v42, off, s[20:23], 0 offset:136 ; 4-byte Folded Spill
	buffer_store_dword v43, off, s[20:23], 0 offset:140 ; 4-byte Folded Spill
	buffer_store_dword v44, off, s[20:23], 0 offset:144 ; 4-byte Folded Spill
	ds_read2_b64 v[99:102], v0 offset0:56 offset1:57
	buffer_load_dword v41, off, s[20:23], 0 offset:116 ; 4-byte Folded Reload
	buffer_load_dword v42, off, s[20:23], 0 offset:120 ; 4-byte Folded Reload
	buffer_load_dword v43, off, s[20:23], 0 offset:124 ; 4-byte Folded Reload
	buffer_load_dword v44, off, s[20:23], 0 offset:128 ; 4-byte Folded Reload
	s_waitcnt lgkmcnt(0)
	v_mul_f64 v[103:104], v[101:102], v[35:36]
	v_fma_f64 v[103:104], v[99:100], v[97:98], -v[103:104]
	v_mul_f64 v[99:100], v[99:100], v[35:36]
	v_fma_f64 v[99:100], v[101:102], v[97:98], v[99:100]
	s_waitcnt vmcnt(2)
	v_add_f64 v[41:42], v[41:42], -v[103:104]
	s_waitcnt vmcnt(0)
	v_add_f64 v[43:44], v[43:44], -v[99:100]
	buffer_store_dword v41, off, s[20:23], 0 offset:116 ; 4-byte Folded Spill
	s_nop 0
	buffer_store_dword v42, off, s[20:23], 0 offset:120 ; 4-byte Folded Spill
	buffer_store_dword v43, off, s[20:23], 0 offset:124 ; 4-byte Folded Spill
	buffer_store_dword v44, off, s[20:23], 0 offset:128 ; 4-byte Folded Spill
	;; [unrolled: 19-line block ×11, first 2 shown]
	ds_read2_b64 v[99:102], v0 offset0:76 offset1:77
	s_waitcnt lgkmcnt(0)
	v_mul_f64 v[103:104], v[101:102], v[35:36]
	v_fma_f64 v[103:104], v[99:100], v[97:98], -v[103:104]
	v_mul_f64 v[99:100], v[99:100], v[35:36]
	v_add_f64 v[1:2], v[1:2], -v[103:104]
	v_fma_f64 v[99:100], v[101:102], v[97:98], v[99:100]
	v_add_f64 v[3:4], v[3:4], -v[99:100]
	ds_read2_b64 v[99:102], v0 offset0:78 offset1:79
	s_waitcnt lgkmcnt(0)
	v_mul_f64 v[103:104], v[101:102], v[35:36]
	v_fma_f64 v[103:104], v[99:100], v[97:98], -v[103:104]
	v_mul_f64 v[99:100], v[99:100], v[35:36]
	v_add_f64 v[45:46], v[45:46], -v[103:104]
	v_fma_f64 v[99:100], v[101:102], v[97:98], v[99:100]
	v_add_f64 v[47:48], v[47:48], -v[99:100]
.LBB79_46:
	s_or_b64 exec, exec, s[2:3]
	s_waitcnt vmcnt(0)
	s_barrier
	buffer_load_dword v41, off, s[20:23], 0 ; 4-byte Folded Reload
	s_waitcnt vmcnt(0)
	v_cmp_eq_u32_e32 vcc, 5, v41
	s_and_saveexec_b64 s[4:5], vcc
	s_cbranch_execz .LBB79_53
; %bb.47:
	ds_write2_b64 v127, v[29:30], v[31:32] offset1:1
	ds_write2_b64 v0, v[25:26], v[27:28] offset0:12 offset1:13
	ds_write2_b64 v0, v[5:6], v[7:8] offset0:14 offset1:15
	;; [unrolled: 1-line block ×7, first 2 shown]
	buffer_load_dword v81, off, s[20:23], 0 offset:180 ; 4-byte Folded Reload
	buffer_load_dword v82, off, s[20:23], 0 offset:184 ; 4-byte Folded Reload
	;; [unrolled: 1-line block ×4, first 2 shown]
	s_waitcnt vmcnt(0)
	ds_write2_b64 v0, v[81:82], v[83:84] offset0:26 offset1:27
	ds_write2_b64 v0, v[121:122], v[123:124] offset0:28 offset1:29
	;; [unrolled: 1-line block ×14, first 2 shown]
	buffer_load_dword v41, off, s[20:23], 0 offset:132 ; 4-byte Folded Reload
	buffer_load_dword v42, off, s[20:23], 0 offset:136 ; 4-byte Folded Reload
	buffer_load_dword v43, off, s[20:23], 0 offset:140 ; 4-byte Folded Reload
	buffer_load_dword v44, off, s[20:23], 0 offset:144 ; 4-byte Folded Reload
	s_waitcnt vmcnt(0)
	ds_write2_b64 v0, v[41:42], v[43:44] offset0:54 offset1:55
	buffer_load_dword v41, off, s[20:23], 0 offset:116 ; 4-byte Folded Reload
	buffer_load_dword v42, off, s[20:23], 0 offset:120 ; 4-byte Folded Reload
	buffer_load_dword v43, off, s[20:23], 0 offset:124 ; 4-byte Folded Reload
	buffer_load_dword v44, off, s[20:23], 0 offset:128 ; 4-byte Folded Reload
	s_waitcnt vmcnt(0)
	ds_write2_b64 v0, v[41:42], v[43:44] offset0:56 offset1:57
	;; [unrolled: 6-line block ×11, first 2 shown]
	ds_write2_b64 v0, v[1:2], v[3:4] offset0:76 offset1:77
	ds_write2_b64 v0, v[45:46], v[47:48] offset0:78 offset1:79
	ds_read2_b64 v[97:100], v127 offset1:1
	s_waitcnt lgkmcnt(0)
	v_cmp_neq_f64_e32 vcc, 0, v[97:98]
	v_cmp_neq_f64_e64 s[2:3], 0, v[99:100]
	s_or_b64 s[2:3], vcc, s[2:3]
	s_and_b64 exec, exec, s[2:3]
	s_cbranch_execz .LBB79_53
; %bb.48:
	v_cmp_ngt_f64_e64 s[2:3], |v[97:98]|, |v[99:100]|
                                        ; implicit-def: $vgpr101_vgpr102
	s_and_saveexec_b64 s[6:7], s[2:3]
	s_xor_b64 s[2:3], exec, s[6:7]
                                        ; implicit-def: $vgpr103_vgpr104
	s_cbranch_execz .LBB79_50
; %bb.49:
	v_div_scale_f64 v[101:102], s[6:7], v[99:100], v[99:100], v[97:98]
	v_rcp_f64_e32 v[103:104], v[101:102]
	v_fma_f64 v[105:106], -v[101:102], v[103:104], 1.0
	v_fma_f64 v[103:104], v[103:104], v[105:106], v[103:104]
	v_div_scale_f64 v[105:106], vcc, v[97:98], v[99:100], v[97:98]
	v_fma_f64 v[107:108], -v[101:102], v[103:104], 1.0
	v_fma_f64 v[103:104], v[103:104], v[107:108], v[103:104]
	v_mul_f64 v[107:108], v[105:106], v[103:104]
	v_fma_f64 v[101:102], -v[101:102], v[107:108], v[105:106]
	v_div_fmas_f64 v[101:102], v[101:102], v[103:104], v[107:108]
	v_div_fixup_f64 v[101:102], v[101:102], v[99:100], v[97:98]
	v_fma_f64 v[97:98], v[97:98], v[101:102], v[99:100]
	v_div_scale_f64 v[99:100], s[6:7], v[97:98], v[97:98], 1.0
	v_div_scale_f64 v[107:108], vcc, 1.0, v[97:98], 1.0
	v_rcp_f64_e32 v[103:104], v[99:100]
	v_fma_f64 v[105:106], -v[99:100], v[103:104], 1.0
	v_fma_f64 v[103:104], v[103:104], v[105:106], v[103:104]
	v_fma_f64 v[105:106], -v[99:100], v[103:104], 1.0
	v_fma_f64 v[103:104], v[103:104], v[105:106], v[103:104]
	v_mul_f64 v[105:106], v[107:108], v[103:104]
	v_fma_f64 v[99:100], -v[99:100], v[105:106], v[107:108]
	v_div_fmas_f64 v[99:100], v[99:100], v[103:104], v[105:106]
	v_div_fixup_f64 v[103:104], v[99:100], v[97:98], 1.0
                                        ; implicit-def: $vgpr97_vgpr98
	v_mul_f64 v[101:102], v[101:102], v[103:104]
	v_xor_b32_e32 v104, 0x80000000, v104
.LBB79_50:
	s_andn2_saveexec_b64 s[2:3], s[2:3]
	s_cbranch_execz .LBB79_52
; %bb.51:
	v_div_scale_f64 v[101:102], s[6:7], v[97:98], v[97:98], v[99:100]
	v_rcp_f64_e32 v[103:104], v[101:102]
	v_fma_f64 v[105:106], -v[101:102], v[103:104], 1.0
	v_fma_f64 v[103:104], v[103:104], v[105:106], v[103:104]
	v_div_scale_f64 v[105:106], vcc, v[99:100], v[97:98], v[99:100]
	v_fma_f64 v[107:108], -v[101:102], v[103:104], 1.0
	v_fma_f64 v[103:104], v[103:104], v[107:108], v[103:104]
	v_mul_f64 v[107:108], v[105:106], v[103:104]
	v_fma_f64 v[101:102], -v[101:102], v[107:108], v[105:106]
	v_div_fmas_f64 v[101:102], v[101:102], v[103:104], v[107:108]
	v_div_fixup_f64 v[103:104], v[101:102], v[97:98], v[99:100]
	v_fma_f64 v[97:98], v[99:100], v[103:104], v[97:98]
	v_div_scale_f64 v[99:100], s[6:7], v[97:98], v[97:98], 1.0
	v_div_scale_f64 v[107:108], vcc, 1.0, v[97:98], 1.0
	v_rcp_f64_e32 v[101:102], v[99:100]
	v_fma_f64 v[105:106], -v[99:100], v[101:102], 1.0
	v_fma_f64 v[101:102], v[101:102], v[105:106], v[101:102]
	v_fma_f64 v[105:106], -v[99:100], v[101:102], 1.0
	v_fma_f64 v[101:102], v[101:102], v[105:106], v[101:102]
	v_mul_f64 v[105:106], v[107:108], v[101:102]
	v_fma_f64 v[99:100], -v[99:100], v[105:106], v[107:108]
	v_div_fmas_f64 v[99:100], v[99:100], v[101:102], v[105:106]
	v_div_fixup_f64 v[101:102], v[99:100], v[97:98], 1.0
	v_mul_f64 v[103:104], v[103:104], -v[101:102]
.LBB79_52:
	s_or_b64 exec, exec, s[2:3]
	ds_write2_b64 v127, v[101:102], v[103:104] offset1:1
.LBB79_53:
	s_or_b64 exec, exec, s[4:5]
	s_waitcnt lgkmcnt(0)
	s_barrier
	ds_read2_b64 v[41:44], v127 offset1:1
	s_waitcnt lgkmcnt(0)
	buffer_store_dword v41, off, s[20:23], 0 offset:692 ; 4-byte Folded Spill
	s_nop 0
	buffer_store_dword v42, off, s[20:23], 0 offset:696 ; 4-byte Folded Spill
	buffer_store_dword v43, off, s[20:23], 0 offset:700 ; 4-byte Folded Spill
	;; [unrolled: 1-line block ×3, first 2 shown]
	buffer_load_dword v41, off, s[20:23], 0 ; 4-byte Folded Reload
	s_waitcnt vmcnt(0)
	v_cmp_lt_u32_e32 vcc, 5, v41
	s_and_saveexec_b64 s[2:3], vcc
	s_cbranch_execz .LBB79_55
; %bb.54:
	buffer_load_dword v41, off, s[20:23], 0 offset:692 ; 4-byte Folded Reload
	buffer_load_dword v42, off, s[20:23], 0 offset:696 ; 4-byte Folded Reload
	;; [unrolled: 1-line block ×4, first 2 shown]
	s_waitcnt vmcnt(2)
	v_mul_f64 v[99:100], v[41:42], v[31:32]
	s_waitcnt vmcnt(0)
	v_mul_f64 v[97:98], v[43:44], v[31:32]
	v_fma_f64 v[31:32], v[43:44], v[29:30], v[99:100]
	ds_read2_b64 v[99:102], v0 offset0:12 offset1:13
	v_fma_f64 v[97:98], v[41:42], v[29:30], -v[97:98]
	s_waitcnt lgkmcnt(0)
	v_mul_f64 v[103:104], v[101:102], v[31:32]
	v_mov_b32_e32 v29, v97
	v_mov_b32_e32 v30, v98
	v_fma_f64 v[103:104], v[99:100], v[97:98], -v[103:104]
	v_mul_f64 v[99:100], v[99:100], v[31:32]
	v_add_f64 v[25:26], v[25:26], -v[103:104]
	v_fma_f64 v[99:100], v[101:102], v[97:98], v[99:100]
	v_add_f64 v[27:28], v[27:28], -v[99:100]
	ds_read2_b64 v[99:102], v0 offset0:14 offset1:15
	s_waitcnt lgkmcnt(0)
	v_mul_f64 v[103:104], v[101:102], v[31:32]
	v_fma_f64 v[103:104], v[99:100], v[97:98], -v[103:104]
	v_mul_f64 v[99:100], v[99:100], v[31:32]
	v_add_f64 v[5:6], v[5:6], -v[103:104]
	v_fma_f64 v[99:100], v[101:102], v[97:98], v[99:100]
	v_add_f64 v[7:8], v[7:8], -v[99:100]
	ds_read2_b64 v[99:102], v0 offset0:16 offset1:17
	s_waitcnt lgkmcnt(0)
	v_mul_f64 v[103:104], v[101:102], v[31:32]
	;; [unrolled: 8-line block ×6, first 2 shown]
	v_fma_f64 v[103:104], v[99:100], v[97:98], -v[103:104]
	v_mul_f64 v[99:100], v[99:100], v[31:32]
	v_add_f64 v[21:22], v[21:22], -v[103:104]
	v_fma_f64 v[99:100], v[101:102], v[97:98], v[99:100]
	v_add_f64 v[23:24], v[23:24], -v[99:100]
	ds_read2_b64 v[99:102], v0 offset0:26 offset1:27
	buffer_load_dword v81, off, s[20:23], 0 offset:180 ; 4-byte Folded Reload
	buffer_load_dword v82, off, s[20:23], 0 offset:184 ; 4-byte Folded Reload
	buffer_load_dword v83, off, s[20:23], 0 offset:188 ; 4-byte Folded Reload
	buffer_load_dword v84, off, s[20:23], 0 offset:192 ; 4-byte Folded Reload
	s_waitcnt lgkmcnt(0)
	v_mul_f64 v[103:104], v[101:102], v[31:32]
	v_fma_f64 v[103:104], v[99:100], v[97:98], -v[103:104]
	v_mul_f64 v[99:100], v[99:100], v[31:32]
	v_fma_f64 v[99:100], v[101:102], v[97:98], v[99:100]
	s_waitcnt vmcnt(2)
	v_add_f64 v[81:82], v[81:82], -v[103:104]
	s_waitcnt vmcnt(0)
	v_add_f64 v[83:84], v[83:84], -v[99:100]
	buffer_store_dword v81, off, s[20:23], 0 offset:180 ; 4-byte Folded Spill
	s_nop 0
	buffer_store_dword v82, off, s[20:23], 0 offset:184 ; 4-byte Folded Spill
	buffer_store_dword v83, off, s[20:23], 0 offset:188 ; 4-byte Folded Spill
	;; [unrolled: 1-line block ×3, first 2 shown]
	ds_read2_b64 v[99:102], v0 offset0:28 offset1:29
	s_waitcnt lgkmcnt(0)
	v_mul_f64 v[103:104], v[101:102], v[31:32]
	v_fma_f64 v[103:104], v[99:100], v[97:98], -v[103:104]
	v_mul_f64 v[99:100], v[99:100], v[31:32]
	v_add_f64 v[121:122], v[121:122], -v[103:104]
	v_fma_f64 v[99:100], v[101:102], v[97:98], v[99:100]
	v_add_f64 v[123:124], v[123:124], -v[99:100]
	ds_read2_b64 v[99:102], v0 offset0:30 offset1:31
	s_waitcnt lgkmcnt(0)
	v_mul_f64 v[103:104], v[101:102], v[31:32]
	v_fma_f64 v[103:104], v[99:100], v[97:98], -v[103:104]
	v_mul_f64 v[99:100], v[99:100], v[31:32]
	v_add_f64 v[109:110], v[109:110], -v[103:104]
	v_fma_f64 v[99:100], v[101:102], v[97:98], v[99:100]
	v_add_f64 v[111:112], v[111:112], -v[99:100]
	ds_read2_b64 v[99:102], v0 offset0:32 offset1:33
	s_waitcnt lgkmcnt(0)
	v_mul_f64 v[103:104], v[101:102], v[31:32]
	v_fma_f64 v[103:104], v[99:100], v[97:98], -v[103:104]
	v_mul_f64 v[99:100], v[99:100], v[31:32]
	v_add_f64 v[117:118], v[117:118], -v[103:104]
	v_fma_f64 v[99:100], v[101:102], v[97:98], v[99:100]
	v_add_f64 v[119:120], v[119:120], -v[99:100]
	ds_read2_b64 v[99:102], v0 offset0:34 offset1:35
	s_waitcnt lgkmcnt(0)
	v_mul_f64 v[103:104], v[101:102], v[31:32]
	v_fma_f64 v[103:104], v[99:100], v[97:98], -v[103:104]
	v_mul_f64 v[99:100], v[99:100], v[31:32]
	v_add_f64 v[113:114], v[113:114], -v[103:104]
	v_fma_f64 v[99:100], v[101:102], v[97:98], v[99:100]
	v_add_f64 v[115:116], v[115:116], -v[99:100]
	ds_read2_b64 v[99:102], v0 offset0:36 offset1:37
	s_waitcnt lgkmcnt(0)
	v_mul_f64 v[103:104], v[101:102], v[31:32]
	v_fma_f64 v[103:104], v[99:100], v[97:98], -v[103:104]
	v_mul_f64 v[99:100], v[99:100], v[31:32]
	v_add_f64 v[93:94], v[93:94], -v[103:104]
	v_fma_f64 v[99:100], v[101:102], v[97:98], v[99:100]
	v_add_f64 v[95:96], v[95:96], -v[99:100]
	ds_read2_b64 v[99:102], v0 offset0:38 offset1:39
	s_waitcnt lgkmcnt(0)
	v_mul_f64 v[103:104], v[101:102], v[31:32]
	v_fma_f64 v[103:104], v[99:100], v[97:98], -v[103:104]
	v_mul_f64 v[99:100], v[99:100], v[31:32]
	v_add_f64 v[77:78], v[77:78], -v[103:104]
	v_fma_f64 v[99:100], v[101:102], v[97:98], v[99:100]
	v_add_f64 v[79:80], v[79:80], -v[99:100]
	ds_read2_b64 v[99:102], v0 offset0:40 offset1:41
	s_waitcnt lgkmcnt(0)
	v_mul_f64 v[103:104], v[101:102], v[31:32]
	v_fma_f64 v[103:104], v[99:100], v[97:98], -v[103:104]
	v_mul_f64 v[99:100], v[99:100], v[31:32]
	v_add_f64 v[73:74], v[73:74], -v[103:104]
	v_fma_f64 v[99:100], v[101:102], v[97:98], v[99:100]
	v_add_f64 v[75:76], v[75:76], -v[99:100]
	ds_read2_b64 v[99:102], v0 offset0:42 offset1:43
	s_waitcnt lgkmcnt(0)
	v_mul_f64 v[103:104], v[101:102], v[31:32]
	v_fma_f64 v[103:104], v[99:100], v[97:98], -v[103:104]
	v_mul_f64 v[99:100], v[99:100], v[31:32]
	v_add_f64 v[69:70], v[69:70], -v[103:104]
	v_fma_f64 v[99:100], v[101:102], v[97:98], v[99:100]
	v_add_f64 v[71:72], v[71:72], -v[99:100]
	ds_read2_b64 v[99:102], v0 offset0:44 offset1:45
	s_waitcnt lgkmcnt(0)
	v_mul_f64 v[103:104], v[101:102], v[31:32]
	v_fma_f64 v[103:104], v[99:100], v[97:98], -v[103:104]
	v_mul_f64 v[99:100], v[99:100], v[31:32]
	v_add_f64 v[65:66], v[65:66], -v[103:104]
	v_fma_f64 v[99:100], v[101:102], v[97:98], v[99:100]
	v_add_f64 v[67:68], v[67:68], -v[99:100]
	ds_read2_b64 v[99:102], v0 offset0:46 offset1:47
	s_waitcnt lgkmcnt(0)
	v_mul_f64 v[103:104], v[101:102], v[31:32]
	v_fma_f64 v[103:104], v[99:100], v[97:98], -v[103:104]
	v_mul_f64 v[99:100], v[99:100], v[31:32]
	v_add_f64 v[61:62], v[61:62], -v[103:104]
	v_fma_f64 v[99:100], v[101:102], v[97:98], v[99:100]
	v_add_f64 v[63:64], v[63:64], -v[99:100]
	ds_read2_b64 v[99:102], v0 offset0:48 offset1:49
	s_waitcnt lgkmcnt(0)
	v_mul_f64 v[103:104], v[101:102], v[31:32]
	v_fma_f64 v[103:104], v[99:100], v[97:98], -v[103:104]
	v_mul_f64 v[99:100], v[99:100], v[31:32]
	v_add_f64 v[57:58], v[57:58], -v[103:104]
	v_fma_f64 v[99:100], v[101:102], v[97:98], v[99:100]
	v_add_f64 v[59:60], v[59:60], -v[99:100]
	ds_read2_b64 v[99:102], v0 offset0:50 offset1:51
	s_waitcnt lgkmcnt(0)
	v_mul_f64 v[103:104], v[101:102], v[31:32]
	v_fma_f64 v[103:104], v[99:100], v[97:98], -v[103:104]
	v_mul_f64 v[99:100], v[99:100], v[31:32]
	v_add_f64 v[53:54], v[53:54], -v[103:104]
	v_fma_f64 v[99:100], v[101:102], v[97:98], v[99:100]
	v_add_f64 v[55:56], v[55:56], -v[99:100]
	ds_read2_b64 v[99:102], v0 offset0:52 offset1:53
	s_waitcnt lgkmcnt(0)
	v_mul_f64 v[103:104], v[101:102], v[31:32]
	v_fma_f64 v[103:104], v[99:100], v[97:98], -v[103:104]
	v_mul_f64 v[99:100], v[99:100], v[31:32]
	v_add_f64 v[49:50], v[49:50], -v[103:104]
	v_fma_f64 v[99:100], v[101:102], v[97:98], v[99:100]
	v_add_f64 v[51:52], v[51:52], -v[99:100]
	ds_read2_b64 v[99:102], v0 offset0:54 offset1:55
	buffer_load_dword v41, off, s[20:23], 0 offset:132 ; 4-byte Folded Reload
	buffer_load_dword v42, off, s[20:23], 0 offset:136 ; 4-byte Folded Reload
	buffer_load_dword v43, off, s[20:23], 0 offset:140 ; 4-byte Folded Reload
	buffer_load_dword v44, off, s[20:23], 0 offset:144 ; 4-byte Folded Reload
	s_waitcnt lgkmcnt(0)
	v_mul_f64 v[103:104], v[101:102], v[31:32]
	v_fma_f64 v[103:104], v[99:100], v[97:98], -v[103:104]
	v_mul_f64 v[99:100], v[99:100], v[31:32]
	v_fma_f64 v[99:100], v[101:102], v[97:98], v[99:100]
	s_waitcnt vmcnt(2)
	v_add_f64 v[41:42], v[41:42], -v[103:104]
	s_waitcnt vmcnt(0)
	v_add_f64 v[43:44], v[43:44], -v[99:100]
	buffer_store_dword v41, off, s[20:23], 0 offset:132 ; 4-byte Folded Spill
	s_nop 0
	buffer_store_dword v42, off, s[20:23], 0 offset:136 ; 4-byte Folded Spill
	buffer_store_dword v43, off, s[20:23], 0 offset:140 ; 4-byte Folded Spill
	buffer_store_dword v44, off, s[20:23], 0 offset:144 ; 4-byte Folded Spill
	ds_read2_b64 v[99:102], v0 offset0:56 offset1:57
	buffer_load_dword v41, off, s[20:23], 0 offset:116 ; 4-byte Folded Reload
	buffer_load_dword v42, off, s[20:23], 0 offset:120 ; 4-byte Folded Reload
	buffer_load_dword v43, off, s[20:23], 0 offset:124 ; 4-byte Folded Reload
	buffer_load_dword v44, off, s[20:23], 0 offset:128 ; 4-byte Folded Reload
	s_waitcnt lgkmcnt(0)
	v_mul_f64 v[103:104], v[101:102], v[31:32]
	v_fma_f64 v[103:104], v[99:100], v[97:98], -v[103:104]
	v_mul_f64 v[99:100], v[99:100], v[31:32]
	v_fma_f64 v[99:100], v[101:102], v[97:98], v[99:100]
	s_waitcnt vmcnt(2)
	v_add_f64 v[41:42], v[41:42], -v[103:104]
	s_waitcnt vmcnt(0)
	v_add_f64 v[43:44], v[43:44], -v[99:100]
	buffer_store_dword v41, off, s[20:23], 0 offset:116 ; 4-byte Folded Spill
	s_nop 0
	buffer_store_dword v42, off, s[20:23], 0 offset:120 ; 4-byte Folded Spill
	buffer_store_dword v43, off, s[20:23], 0 offset:124 ; 4-byte Folded Spill
	buffer_store_dword v44, off, s[20:23], 0 offset:128 ; 4-byte Folded Spill
	;; [unrolled: 19-line block ×11, first 2 shown]
	ds_read2_b64 v[99:102], v0 offset0:76 offset1:77
	s_waitcnt lgkmcnt(0)
	v_mul_f64 v[103:104], v[101:102], v[31:32]
	v_fma_f64 v[103:104], v[99:100], v[97:98], -v[103:104]
	v_mul_f64 v[99:100], v[99:100], v[31:32]
	v_add_f64 v[1:2], v[1:2], -v[103:104]
	v_fma_f64 v[99:100], v[101:102], v[97:98], v[99:100]
	v_add_f64 v[3:4], v[3:4], -v[99:100]
	ds_read2_b64 v[99:102], v0 offset0:78 offset1:79
	s_waitcnt lgkmcnt(0)
	v_mul_f64 v[103:104], v[101:102], v[31:32]
	v_fma_f64 v[103:104], v[99:100], v[97:98], -v[103:104]
	v_mul_f64 v[99:100], v[99:100], v[31:32]
	v_add_f64 v[45:46], v[45:46], -v[103:104]
	v_fma_f64 v[99:100], v[101:102], v[97:98], v[99:100]
	v_add_f64 v[47:48], v[47:48], -v[99:100]
.LBB79_55:
	s_or_b64 exec, exec, s[2:3]
	s_waitcnt vmcnt(0)
	s_barrier
	buffer_load_dword v41, off, s[20:23], 0 ; 4-byte Folded Reload
	s_waitcnt vmcnt(0)
	v_cmp_eq_u32_e32 vcc, 6, v41
	s_and_saveexec_b64 s[4:5], vcc
	s_cbranch_execz .LBB79_62
; %bb.56:
	ds_write2_b64 v127, v[25:26], v[27:28] offset1:1
	ds_write2_b64 v0, v[5:6], v[7:8] offset0:14 offset1:15
	ds_write2_b64 v0, v[9:10], v[11:12] offset0:16 offset1:17
	;; [unrolled: 1-line block ×6, first 2 shown]
	buffer_load_dword v81, off, s[20:23], 0 offset:180 ; 4-byte Folded Reload
	buffer_load_dword v82, off, s[20:23], 0 offset:184 ; 4-byte Folded Reload
	;; [unrolled: 1-line block ×4, first 2 shown]
	s_waitcnt vmcnt(0)
	ds_write2_b64 v0, v[81:82], v[83:84] offset0:26 offset1:27
	ds_write2_b64 v0, v[121:122], v[123:124] offset0:28 offset1:29
	;; [unrolled: 1-line block ×14, first 2 shown]
	buffer_load_dword v41, off, s[20:23], 0 offset:132 ; 4-byte Folded Reload
	buffer_load_dword v42, off, s[20:23], 0 offset:136 ; 4-byte Folded Reload
	buffer_load_dword v43, off, s[20:23], 0 offset:140 ; 4-byte Folded Reload
	buffer_load_dword v44, off, s[20:23], 0 offset:144 ; 4-byte Folded Reload
	s_waitcnt vmcnt(0)
	ds_write2_b64 v0, v[41:42], v[43:44] offset0:54 offset1:55
	buffer_load_dword v41, off, s[20:23], 0 offset:116 ; 4-byte Folded Reload
	buffer_load_dword v42, off, s[20:23], 0 offset:120 ; 4-byte Folded Reload
	buffer_load_dword v43, off, s[20:23], 0 offset:124 ; 4-byte Folded Reload
	buffer_load_dword v44, off, s[20:23], 0 offset:128 ; 4-byte Folded Reload
	s_waitcnt vmcnt(0)
	ds_write2_b64 v0, v[41:42], v[43:44] offset0:56 offset1:57
	;; [unrolled: 6-line block ×11, first 2 shown]
	ds_write2_b64 v0, v[1:2], v[3:4] offset0:76 offset1:77
	ds_write2_b64 v0, v[45:46], v[47:48] offset0:78 offset1:79
	ds_read2_b64 v[97:100], v127 offset1:1
	s_waitcnt lgkmcnt(0)
	v_cmp_neq_f64_e32 vcc, 0, v[97:98]
	v_cmp_neq_f64_e64 s[2:3], 0, v[99:100]
	s_or_b64 s[2:3], vcc, s[2:3]
	s_and_b64 exec, exec, s[2:3]
	s_cbranch_execz .LBB79_62
; %bb.57:
	v_cmp_ngt_f64_e64 s[2:3], |v[97:98]|, |v[99:100]|
                                        ; implicit-def: $vgpr101_vgpr102
	s_and_saveexec_b64 s[6:7], s[2:3]
	s_xor_b64 s[2:3], exec, s[6:7]
                                        ; implicit-def: $vgpr103_vgpr104
	s_cbranch_execz .LBB79_59
; %bb.58:
	v_div_scale_f64 v[101:102], s[6:7], v[99:100], v[99:100], v[97:98]
	v_rcp_f64_e32 v[103:104], v[101:102]
	v_fma_f64 v[105:106], -v[101:102], v[103:104], 1.0
	v_fma_f64 v[103:104], v[103:104], v[105:106], v[103:104]
	v_div_scale_f64 v[105:106], vcc, v[97:98], v[99:100], v[97:98]
	v_fma_f64 v[107:108], -v[101:102], v[103:104], 1.0
	v_fma_f64 v[103:104], v[103:104], v[107:108], v[103:104]
	v_mul_f64 v[107:108], v[105:106], v[103:104]
	v_fma_f64 v[101:102], -v[101:102], v[107:108], v[105:106]
	v_div_fmas_f64 v[101:102], v[101:102], v[103:104], v[107:108]
	v_div_fixup_f64 v[101:102], v[101:102], v[99:100], v[97:98]
	v_fma_f64 v[97:98], v[97:98], v[101:102], v[99:100]
	v_div_scale_f64 v[99:100], s[6:7], v[97:98], v[97:98], 1.0
	v_div_scale_f64 v[107:108], vcc, 1.0, v[97:98], 1.0
	v_rcp_f64_e32 v[103:104], v[99:100]
	v_fma_f64 v[105:106], -v[99:100], v[103:104], 1.0
	v_fma_f64 v[103:104], v[103:104], v[105:106], v[103:104]
	v_fma_f64 v[105:106], -v[99:100], v[103:104], 1.0
	v_fma_f64 v[103:104], v[103:104], v[105:106], v[103:104]
	v_mul_f64 v[105:106], v[107:108], v[103:104]
	v_fma_f64 v[99:100], -v[99:100], v[105:106], v[107:108]
	v_div_fmas_f64 v[99:100], v[99:100], v[103:104], v[105:106]
	v_div_fixup_f64 v[103:104], v[99:100], v[97:98], 1.0
                                        ; implicit-def: $vgpr97_vgpr98
	v_mul_f64 v[101:102], v[101:102], v[103:104]
	v_xor_b32_e32 v104, 0x80000000, v104
.LBB79_59:
	s_andn2_saveexec_b64 s[2:3], s[2:3]
	s_cbranch_execz .LBB79_61
; %bb.60:
	v_div_scale_f64 v[101:102], s[6:7], v[97:98], v[97:98], v[99:100]
	v_rcp_f64_e32 v[103:104], v[101:102]
	v_fma_f64 v[105:106], -v[101:102], v[103:104], 1.0
	v_fma_f64 v[103:104], v[103:104], v[105:106], v[103:104]
	v_div_scale_f64 v[105:106], vcc, v[99:100], v[97:98], v[99:100]
	v_fma_f64 v[107:108], -v[101:102], v[103:104], 1.0
	v_fma_f64 v[103:104], v[103:104], v[107:108], v[103:104]
	v_mul_f64 v[107:108], v[105:106], v[103:104]
	v_fma_f64 v[101:102], -v[101:102], v[107:108], v[105:106]
	v_div_fmas_f64 v[101:102], v[101:102], v[103:104], v[107:108]
	v_div_fixup_f64 v[103:104], v[101:102], v[97:98], v[99:100]
	v_fma_f64 v[97:98], v[99:100], v[103:104], v[97:98]
	v_div_scale_f64 v[99:100], s[6:7], v[97:98], v[97:98], 1.0
	v_div_scale_f64 v[107:108], vcc, 1.0, v[97:98], 1.0
	v_rcp_f64_e32 v[101:102], v[99:100]
	v_fma_f64 v[105:106], -v[99:100], v[101:102], 1.0
	v_fma_f64 v[101:102], v[101:102], v[105:106], v[101:102]
	v_fma_f64 v[105:106], -v[99:100], v[101:102], 1.0
	v_fma_f64 v[101:102], v[101:102], v[105:106], v[101:102]
	v_mul_f64 v[105:106], v[107:108], v[101:102]
	v_fma_f64 v[99:100], -v[99:100], v[105:106], v[107:108]
	v_div_fmas_f64 v[99:100], v[99:100], v[101:102], v[105:106]
	v_div_fixup_f64 v[101:102], v[99:100], v[97:98], 1.0
	v_mul_f64 v[103:104], v[103:104], -v[101:102]
.LBB79_61:
	s_or_b64 exec, exec, s[2:3]
	ds_write2_b64 v127, v[101:102], v[103:104] offset1:1
.LBB79_62:
	s_or_b64 exec, exec, s[4:5]
	s_waitcnt lgkmcnt(0)
	s_barrier
	ds_read2_b64 v[41:44], v127 offset1:1
	s_waitcnt lgkmcnt(0)
	buffer_store_dword v41, off, s[20:23], 0 offset:708 ; 4-byte Folded Spill
	s_nop 0
	buffer_store_dword v42, off, s[20:23], 0 offset:712 ; 4-byte Folded Spill
	buffer_store_dword v43, off, s[20:23], 0 offset:716 ; 4-byte Folded Spill
	;; [unrolled: 1-line block ×3, first 2 shown]
	buffer_load_dword v41, off, s[20:23], 0 ; 4-byte Folded Reload
	s_waitcnt vmcnt(0)
	v_cmp_lt_u32_e32 vcc, 6, v41
	s_and_saveexec_b64 s[2:3], vcc
	s_cbranch_execz .LBB79_64
; %bb.63:
	buffer_load_dword v41, off, s[20:23], 0 offset:708 ; 4-byte Folded Reload
	buffer_load_dword v42, off, s[20:23], 0 offset:712 ; 4-byte Folded Reload
	;; [unrolled: 1-line block ×4, first 2 shown]
	s_waitcnt vmcnt(2)
	v_mul_f64 v[99:100], v[41:42], v[27:28]
	s_waitcnt vmcnt(0)
	v_mul_f64 v[97:98], v[43:44], v[27:28]
	v_fma_f64 v[27:28], v[43:44], v[25:26], v[99:100]
	ds_read2_b64 v[99:102], v0 offset0:14 offset1:15
	v_fma_f64 v[97:98], v[41:42], v[25:26], -v[97:98]
	s_waitcnt lgkmcnt(0)
	v_mul_f64 v[103:104], v[101:102], v[27:28]
	v_mov_b32_e32 v25, v97
	v_mov_b32_e32 v26, v98
	v_fma_f64 v[103:104], v[99:100], v[97:98], -v[103:104]
	v_mul_f64 v[99:100], v[99:100], v[27:28]
	v_add_f64 v[5:6], v[5:6], -v[103:104]
	v_fma_f64 v[99:100], v[101:102], v[97:98], v[99:100]
	v_add_f64 v[7:8], v[7:8], -v[99:100]
	ds_read2_b64 v[99:102], v0 offset0:16 offset1:17
	s_waitcnt lgkmcnt(0)
	v_mul_f64 v[103:104], v[101:102], v[27:28]
	v_fma_f64 v[103:104], v[99:100], v[97:98], -v[103:104]
	v_mul_f64 v[99:100], v[99:100], v[27:28]
	v_add_f64 v[9:10], v[9:10], -v[103:104]
	v_fma_f64 v[99:100], v[101:102], v[97:98], v[99:100]
	v_add_f64 v[11:12], v[11:12], -v[99:100]
	ds_read2_b64 v[99:102], v0 offset0:18 offset1:19
	s_waitcnt lgkmcnt(0)
	v_mul_f64 v[103:104], v[101:102], v[27:28]
	;; [unrolled: 8-line block ×5, first 2 shown]
	v_fma_f64 v[103:104], v[99:100], v[97:98], -v[103:104]
	v_mul_f64 v[99:100], v[99:100], v[27:28]
	v_add_f64 v[21:22], v[21:22], -v[103:104]
	v_fma_f64 v[99:100], v[101:102], v[97:98], v[99:100]
	v_add_f64 v[23:24], v[23:24], -v[99:100]
	ds_read2_b64 v[99:102], v0 offset0:26 offset1:27
	buffer_load_dword v81, off, s[20:23], 0 offset:180 ; 4-byte Folded Reload
	buffer_load_dword v82, off, s[20:23], 0 offset:184 ; 4-byte Folded Reload
	;; [unrolled: 1-line block ×4, first 2 shown]
	s_waitcnt lgkmcnt(0)
	v_mul_f64 v[103:104], v[101:102], v[27:28]
	v_fma_f64 v[103:104], v[99:100], v[97:98], -v[103:104]
	v_mul_f64 v[99:100], v[99:100], v[27:28]
	v_fma_f64 v[99:100], v[101:102], v[97:98], v[99:100]
	s_waitcnt vmcnt(2)
	v_add_f64 v[81:82], v[81:82], -v[103:104]
	s_waitcnt vmcnt(0)
	v_add_f64 v[83:84], v[83:84], -v[99:100]
	buffer_store_dword v81, off, s[20:23], 0 offset:180 ; 4-byte Folded Spill
	s_nop 0
	buffer_store_dword v82, off, s[20:23], 0 offset:184 ; 4-byte Folded Spill
	buffer_store_dword v83, off, s[20:23], 0 offset:188 ; 4-byte Folded Spill
	;; [unrolled: 1-line block ×3, first 2 shown]
	ds_read2_b64 v[99:102], v0 offset0:28 offset1:29
	s_waitcnt lgkmcnt(0)
	v_mul_f64 v[103:104], v[101:102], v[27:28]
	v_fma_f64 v[103:104], v[99:100], v[97:98], -v[103:104]
	v_mul_f64 v[99:100], v[99:100], v[27:28]
	v_add_f64 v[121:122], v[121:122], -v[103:104]
	v_fma_f64 v[99:100], v[101:102], v[97:98], v[99:100]
	v_add_f64 v[123:124], v[123:124], -v[99:100]
	ds_read2_b64 v[99:102], v0 offset0:30 offset1:31
	s_waitcnt lgkmcnt(0)
	v_mul_f64 v[103:104], v[101:102], v[27:28]
	v_fma_f64 v[103:104], v[99:100], v[97:98], -v[103:104]
	v_mul_f64 v[99:100], v[99:100], v[27:28]
	v_add_f64 v[109:110], v[109:110], -v[103:104]
	v_fma_f64 v[99:100], v[101:102], v[97:98], v[99:100]
	v_add_f64 v[111:112], v[111:112], -v[99:100]
	;; [unrolled: 8-line block ×13, first 2 shown]
	ds_read2_b64 v[99:102], v0 offset0:54 offset1:55
	buffer_load_dword v41, off, s[20:23], 0 offset:132 ; 4-byte Folded Reload
	buffer_load_dword v42, off, s[20:23], 0 offset:136 ; 4-byte Folded Reload
	buffer_load_dword v43, off, s[20:23], 0 offset:140 ; 4-byte Folded Reload
	buffer_load_dword v44, off, s[20:23], 0 offset:144 ; 4-byte Folded Reload
	s_waitcnt lgkmcnt(0)
	v_mul_f64 v[103:104], v[101:102], v[27:28]
	v_fma_f64 v[103:104], v[99:100], v[97:98], -v[103:104]
	v_mul_f64 v[99:100], v[99:100], v[27:28]
	v_fma_f64 v[99:100], v[101:102], v[97:98], v[99:100]
	s_waitcnt vmcnt(2)
	v_add_f64 v[41:42], v[41:42], -v[103:104]
	s_waitcnt vmcnt(0)
	v_add_f64 v[43:44], v[43:44], -v[99:100]
	buffer_store_dword v41, off, s[20:23], 0 offset:132 ; 4-byte Folded Spill
	s_nop 0
	buffer_store_dword v42, off, s[20:23], 0 offset:136 ; 4-byte Folded Spill
	buffer_store_dword v43, off, s[20:23], 0 offset:140 ; 4-byte Folded Spill
	buffer_store_dword v44, off, s[20:23], 0 offset:144 ; 4-byte Folded Spill
	ds_read2_b64 v[99:102], v0 offset0:56 offset1:57
	buffer_load_dword v41, off, s[20:23], 0 offset:116 ; 4-byte Folded Reload
	buffer_load_dword v42, off, s[20:23], 0 offset:120 ; 4-byte Folded Reload
	buffer_load_dword v43, off, s[20:23], 0 offset:124 ; 4-byte Folded Reload
	buffer_load_dword v44, off, s[20:23], 0 offset:128 ; 4-byte Folded Reload
	s_waitcnt lgkmcnt(0)
	v_mul_f64 v[103:104], v[101:102], v[27:28]
	v_fma_f64 v[103:104], v[99:100], v[97:98], -v[103:104]
	v_mul_f64 v[99:100], v[99:100], v[27:28]
	v_fma_f64 v[99:100], v[101:102], v[97:98], v[99:100]
	s_waitcnt vmcnt(2)
	v_add_f64 v[41:42], v[41:42], -v[103:104]
	s_waitcnt vmcnt(0)
	v_add_f64 v[43:44], v[43:44], -v[99:100]
	buffer_store_dword v41, off, s[20:23], 0 offset:116 ; 4-byte Folded Spill
	s_nop 0
	buffer_store_dword v42, off, s[20:23], 0 offset:120 ; 4-byte Folded Spill
	buffer_store_dword v43, off, s[20:23], 0 offset:124 ; 4-byte Folded Spill
	buffer_store_dword v44, off, s[20:23], 0 offset:128 ; 4-byte Folded Spill
	;; [unrolled: 19-line block ×11, first 2 shown]
	ds_read2_b64 v[99:102], v0 offset0:76 offset1:77
	s_waitcnt lgkmcnt(0)
	v_mul_f64 v[103:104], v[101:102], v[27:28]
	v_fma_f64 v[103:104], v[99:100], v[97:98], -v[103:104]
	v_mul_f64 v[99:100], v[99:100], v[27:28]
	v_add_f64 v[1:2], v[1:2], -v[103:104]
	v_fma_f64 v[99:100], v[101:102], v[97:98], v[99:100]
	v_add_f64 v[3:4], v[3:4], -v[99:100]
	ds_read2_b64 v[99:102], v0 offset0:78 offset1:79
	s_waitcnt lgkmcnt(0)
	v_mul_f64 v[103:104], v[101:102], v[27:28]
	v_fma_f64 v[103:104], v[99:100], v[97:98], -v[103:104]
	v_mul_f64 v[99:100], v[99:100], v[27:28]
	v_add_f64 v[45:46], v[45:46], -v[103:104]
	v_fma_f64 v[99:100], v[101:102], v[97:98], v[99:100]
	v_add_f64 v[47:48], v[47:48], -v[99:100]
.LBB79_64:
	s_or_b64 exec, exec, s[2:3]
	s_waitcnt vmcnt(0)
	s_barrier
	buffer_load_dword v41, off, s[20:23], 0 ; 4-byte Folded Reload
	s_waitcnt vmcnt(0)
	v_cmp_eq_u32_e32 vcc, 7, v41
	s_and_saveexec_b64 s[4:5], vcc
	s_cbranch_execz .LBB79_71
; %bb.65:
	ds_write2_b64 v127, v[5:6], v[7:8] offset1:1
	ds_write2_b64 v0, v[9:10], v[11:12] offset0:16 offset1:17
	ds_write2_b64 v0, v[13:14], v[15:16] offset0:18 offset1:19
	;; [unrolled: 1-line block ×5, first 2 shown]
	buffer_load_dword v81, off, s[20:23], 0 offset:180 ; 4-byte Folded Reload
	buffer_load_dword v82, off, s[20:23], 0 offset:184 ; 4-byte Folded Reload
	;; [unrolled: 1-line block ×4, first 2 shown]
	s_waitcnt vmcnt(0)
	ds_write2_b64 v0, v[81:82], v[83:84] offset0:26 offset1:27
	ds_write2_b64 v0, v[121:122], v[123:124] offset0:28 offset1:29
	;; [unrolled: 1-line block ×14, first 2 shown]
	buffer_load_dword v41, off, s[20:23], 0 offset:132 ; 4-byte Folded Reload
	buffer_load_dword v42, off, s[20:23], 0 offset:136 ; 4-byte Folded Reload
	buffer_load_dword v43, off, s[20:23], 0 offset:140 ; 4-byte Folded Reload
	buffer_load_dword v44, off, s[20:23], 0 offset:144 ; 4-byte Folded Reload
	s_waitcnt vmcnt(0)
	ds_write2_b64 v0, v[41:42], v[43:44] offset0:54 offset1:55
	buffer_load_dword v41, off, s[20:23], 0 offset:116 ; 4-byte Folded Reload
	buffer_load_dword v42, off, s[20:23], 0 offset:120 ; 4-byte Folded Reload
	buffer_load_dword v43, off, s[20:23], 0 offset:124 ; 4-byte Folded Reload
	buffer_load_dword v44, off, s[20:23], 0 offset:128 ; 4-byte Folded Reload
	s_waitcnt vmcnt(0)
	ds_write2_b64 v0, v[41:42], v[43:44] offset0:56 offset1:57
	;; [unrolled: 6-line block ×11, first 2 shown]
	ds_write2_b64 v0, v[1:2], v[3:4] offset0:76 offset1:77
	ds_write2_b64 v0, v[45:46], v[47:48] offset0:78 offset1:79
	ds_read2_b64 v[97:100], v127 offset1:1
	s_waitcnt lgkmcnt(0)
	v_cmp_neq_f64_e32 vcc, 0, v[97:98]
	v_cmp_neq_f64_e64 s[2:3], 0, v[99:100]
	s_or_b64 s[2:3], vcc, s[2:3]
	s_and_b64 exec, exec, s[2:3]
	s_cbranch_execz .LBB79_71
; %bb.66:
	v_cmp_ngt_f64_e64 s[2:3], |v[97:98]|, |v[99:100]|
                                        ; implicit-def: $vgpr101_vgpr102
	s_and_saveexec_b64 s[6:7], s[2:3]
	s_xor_b64 s[2:3], exec, s[6:7]
                                        ; implicit-def: $vgpr103_vgpr104
	s_cbranch_execz .LBB79_68
; %bb.67:
	v_div_scale_f64 v[101:102], s[6:7], v[99:100], v[99:100], v[97:98]
	v_rcp_f64_e32 v[103:104], v[101:102]
	v_fma_f64 v[105:106], -v[101:102], v[103:104], 1.0
	v_fma_f64 v[103:104], v[103:104], v[105:106], v[103:104]
	v_div_scale_f64 v[105:106], vcc, v[97:98], v[99:100], v[97:98]
	v_fma_f64 v[107:108], -v[101:102], v[103:104], 1.0
	v_fma_f64 v[103:104], v[103:104], v[107:108], v[103:104]
	v_mul_f64 v[107:108], v[105:106], v[103:104]
	v_fma_f64 v[101:102], -v[101:102], v[107:108], v[105:106]
	v_div_fmas_f64 v[101:102], v[101:102], v[103:104], v[107:108]
	v_div_fixup_f64 v[101:102], v[101:102], v[99:100], v[97:98]
	v_fma_f64 v[97:98], v[97:98], v[101:102], v[99:100]
	v_div_scale_f64 v[99:100], s[6:7], v[97:98], v[97:98], 1.0
	v_div_scale_f64 v[107:108], vcc, 1.0, v[97:98], 1.0
	v_rcp_f64_e32 v[103:104], v[99:100]
	v_fma_f64 v[105:106], -v[99:100], v[103:104], 1.0
	v_fma_f64 v[103:104], v[103:104], v[105:106], v[103:104]
	v_fma_f64 v[105:106], -v[99:100], v[103:104], 1.0
	v_fma_f64 v[103:104], v[103:104], v[105:106], v[103:104]
	v_mul_f64 v[105:106], v[107:108], v[103:104]
	v_fma_f64 v[99:100], -v[99:100], v[105:106], v[107:108]
	v_div_fmas_f64 v[99:100], v[99:100], v[103:104], v[105:106]
	v_div_fixup_f64 v[103:104], v[99:100], v[97:98], 1.0
                                        ; implicit-def: $vgpr97_vgpr98
	v_mul_f64 v[101:102], v[101:102], v[103:104]
	v_xor_b32_e32 v104, 0x80000000, v104
.LBB79_68:
	s_andn2_saveexec_b64 s[2:3], s[2:3]
	s_cbranch_execz .LBB79_70
; %bb.69:
	v_div_scale_f64 v[101:102], s[6:7], v[97:98], v[97:98], v[99:100]
	v_rcp_f64_e32 v[103:104], v[101:102]
	v_fma_f64 v[105:106], -v[101:102], v[103:104], 1.0
	v_fma_f64 v[103:104], v[103:104], v[105:106], v[103:104]
	v_div_scale_f64 v[105:106], vcc, v[99:100], v[97:98], v[99:100]
	v_fma_f64 v[107:108], -v[101:102], v[103:104], 1.0
	v_fma_f64 v[103:104], v[103:104], v[107:108], v[103:104]
	v_mul_f64 v[107:108], v[105:106], v[103:104]
	v_fma_f64 v[101:102], -v[101:102], v[107:108], v[105:106]
	v_div_fmas_f64 v[101:102], v[101:102], v[103:104], v[107:108]
	v_div_fixup_f64 v[103:104], v[101:102], v[97:98], v[99:100]
	v_fma_f64 v[97:98], v[99:100], v[103:104], v[97:98]
	v_div_scale_f64 v[99:100], s[6:7], v[97:98], v[97:98], 1.0
	v_div_scale_f64 v[107:108], vcc, 1.0, v[97:98], 1.0
	v_rcp_f64_e32 v[101:102], v[99:100]
	v_fma_f64 v[105:106], -v[99:100], v[101:102], 1.0
	v_fma_f64 v[101:102], v[101:102], v[105:106], v[101:102]
	v_fma_f64 v[105:106], -v[99:100], v[101:102], 1.0
	v_fma_f64 v[101:102], v[101:102], v[105:106], v[101:102]
	v_mul_f64 v[105:106], v[107:108], v[101:102]
	v_fma_f64 v[99:100], -v[99:100], v[105:106], v[107:108]
	v_div_fmas_f64 v[99:100], v[99:100], v[101:102], v[105:106]
	v_div_fixup_f64 v[101:102], v[99:100], v[97:98], 1.0
	v_mul_f64 v[103:104], v[103:104], -v[101:102]
.LBB79_70:
	s_or_b64 exec, exec, s[2:3]
	ds_write2_b64 v127, v[101:102], v[103:104] offset1:1
.LBB79_71:
	s_or_b64 exec, exec, s[4:5]
	s_waitcnt lgkmcnt(0)
	s_barrier
	ds_read2_b64 v[41:44], v127 offset1:1
	s_waitcnt lgkmcnt(0)
	buffer_store_dword v41, off, s[20:23], 0 offset:724 ; 4-byte Folded Spill
	s_nop 0
	buffer_store_dword v42, off, s[20:23], 0 offset:728 ; 4-byte Folded Spill
	buffer_store_dword v43, off, s[20:23], 0 offset:732 ; 4-byte Folded Spill
	;; [unrolled: 1-line block ×3, first 2 shown]
	buffer_load_dword v41, off, s[20:23], 0 ; 4-byte Folded Reload
	s_waitcnt vmcnt(0)
	v_cmp_lt_u32_e32 vcc, 7, v41
	s_and_saveexec_b64 s[2:3], vcc
	s_cbranch_execz .LBB79_73
; %bb.72:
	buffer_load_dword v41, off, s[20:23], 0 offset:724 ; 4-byte Folded Reload
	buffer_load_dword v42, off, s[20:23], 0 offset:728 ; 4-byte Folded Reload
	;; [unrolled: 1-line block ×4, first 2 shown]
	s_waitcnt vmcnt(2)
	v_mul_f64 v[99:100], v[41:42], v[7:8]
	s_waitcnt vmcnt(0)
	v_mul_f64 v[97:98], v[43:44], v[7:8]
	v_fma_f64 v[7:8], v[43:44], v[5:6], v[99:100]
	ds_read2_b64 v[99:102], v0 offset0:16 offset1:17
	v_fma_f64 v[97:98], v[41:42], v[5:6], -v[97:98]
	s_waitcnt lgkmcnt(0)
	v_mul_f64 v[103:104], v[101:102], v[7:8]
	v_mov_b32_e32 v5, v97
	v_mov_b32_e32 v6, v98
	v_fma_f64 v[103:104], v[99:100], v[97:98], -v[103:104]
	v_mul_f64 v[99:100], v[99:100], v[7:8]
	v_add_f64 v[9:10], v[9:10], -v[103:104]
	v_fma_f64 v[99:100], v[101:102], v[97:98], v[99:100]
	v_add_f64 v[11:12], v[11:12], -v[99:100]
	ds_read2_b64 v[99:102], v0 offset0:18 offset1:19
	s_waitcnt lgkmcnt(0)
	v_mul_f64 v[103:104], v[101:102], v[7:8]
	v_fma_f64 v[103:104], v[99:100], v[97:98], -v[103:104]
	v_mul_f64 v[99:100], v[99:100], v[7:8]
	v_add_f64 v[13:14], v[13:14], -v[103:104]
	v_fma_f64 v[99:100], v[101:102], v[97:98], v[99:100]
	v_add_f64 v[15:16], v[15:16], -v[99:100]
	ds_read2_b64 v[99:102], v0 offset0:20 offset1:21
	s_waitcnt lgkmcnt(0)
	v_mul_f64 v[103:104], v[101:102], v[7:8]
	;; [unrolled: 8-line block ×4, first 2 shown]
	v_fma_f64 v[103:104], v[99:100], v[97:98], -v[103:104]
	v_mul_f64 v[99:100], v[99:100], v[7:8]
	v_add_f64 v[21:22], v[21:22], -v[103:104]
	v_fma_f64 v[99:100], v[101:102], v[97:98], v[99:100]
	v_add_f64 v[23:24], v[23:24], -v[99:100]
	ds_read2_b64 v[99:102], v0 offset0:26 offset1:27
	buffer_load_dword v81, off, s[20:23], 0 offset:180 ; 4-byte Folded Reload
	buffer_load_dword v82, off, s[20:23], 0 offset:184 ; 4-byte Folded Reload
	;; [unrolled: 1-line block ×4, first 2 shown]
	s_waitcnt lgkmcnt(0)
	v_mul_f64 v[103:104], v[101:102], v[7:8]
	v_fma_f64 v[103:104], v[99:100], v[97:98], -v[103:104]
	v_mul_f64 v[99:100], v[99:100], v[7:8]
	v_fma_f64 v[99:100], v[101:102], v[97:98], v[99:100]
	s_waitcnt vmcnt(2)
	v_add_f64 v[81:82], v[81:82], -v[103:104]
	s_waitcnt vmcnt(0)
	v_add_f64 v[83:84], v[83:84], -v[99:100]
	buffer_store_dword v81, off, s[20:23], 0 offset:180 ; 4-byte Folded Spill
	s_nop 0
	buffer_store_dword v82, off, s[20:23], 0 offset:184 ; 4-byte Folded Spill
	buffer_store_dword v83, off, s[20:23], 0 offset:188 ; 4-byte Folded Spill
	;; [unrolled: 1-line block ×3, first 2 shown]
	ds_read2_b64 v[99:102], v0 offset0:28 offset1:29
	s_waitcnt lgkmcnt(0)
	v_mul_f64 v[103:104], v[101:102], v[7:8]
	v_fma_f64 v[103:104], v[99:100], v[97:98], -v[103:104]
	v_mul_f64 v[99:100], v[99:100], v[7:8]
	v_add_f64 v[121:122], v[121:122], -v[103:104]
	v_fma_f64 v[99:100], v[101:102], v[97:98], v[99:100]
	v_add_f64 v[123:124], v[123:124], -v[99:100]
	ds_read2_b64 v[99:102], v0 offset0:30 offset1:31
	s_waitcnt lgkmcnt(0)
	v_mul_f64 v[103:104], v[101:102], v[7:8]
	v_fma_f64 v[103:104], v[99:100], v[97:98], -v[103:104]
	v_mul_f64 v[99:100], v[99:100], v[7:8]
	v_add_f64 v[109:110], v[109:110], -v[103:104]
	v_fma_f64 v[99:100], v[101:102], v[97:98], v[99:100]
	v_add_f64 v[111:112], v[111:112], -v[99:100]
	;; [unrolled: 8-line block ×13, first 2 shown]
	ds_read2_b64 v[99:102], v0 offset0:54 offset1:55
	buffer_load_dword v41, off, s[20:23], 0 offset:132 ; 4-byte Folded Reload
	buffer_load_dword v42, off, s[20:23], 0 offset:136 ; 4-byte Folded Reload
	buffer_load_dword v43, off, s[20:23], 0 offset:140 ; 4-byte Folded Reload
	buffer_load_dword v44, off, s[20:23], 0 offset:144 ; 4-byte Folded Reload
	s_waitcnt lgkmcnt(0)
	v_mul_f64 v[103:104], v[101:102], v[7:8]
	v_fma_f64 v[103:104], v[99:100], v[97:98], -v[103:104]
	v_mul_f64 v[99:100], v[99:100], v[7:8]
	v_fma_f64 v[99:100], v[101:102], v[97:98], v[99:100]
	s_waitcnt vmcnt(2)
	v_add_f64 v[41:42], v[41:42], -v[103:104]
	s_waitcnt vmcnt(0)
	v_add_f64 v[43:44], v[43:44], -v[99:100]
	buffer_store_dword v41, off, s[20:23], 0 offset:132 ; 4-byte Folded Spill
	s_nop 0
	buffer_store_dword v42, off, s[20:23], 0 offset:136 ; 4-byte Folded Spill
	buffer_store_dword v43, off, s[20:23], 0 offset:140 ; 4-byte Folded Spill
	buffer_store_dword v44, off, s[20:23], 0 offset:144 ; 4-byte Folded Spill
	ds_read2_b64 v[99:102], v0 offset0:56 offset1:57
	buffer_load_dword v41, off, s[20:23], 0 offset:116 ; 4-byte Folded Reload
	buffer_load_dword v42, off, s[20:23], 0 offset:120 ; 4-byte Folded Reload
	buffer_load_dword v43, off, s[20:23], 0 offset:124 ; 4-byte Folded Reload
	buffer_load_dword v44, off, s[20:23], 0 offset:128 ; 4-byte Folded Reload
	s_waitcnt lgkmcnt(0)
	v_mul_f64 v[103:104], v[101:102], v[7:8]
	v_fma_f64 v[103:104], v[99:100], v[97:98], -v[103:104]
	v_mul_f64 v[99:100], v[99:100], v[7:8]
	v_fma_f64 v[99:100], v[101:102], v[97:98], v[99:100]
	s_waitcnt vmcnt(2)
	v_add_f64 v[41:42], v[41:42], -v[103:104]
	s_waitcnt vmcnt(0)
	v_add_f64 v[43:44], v[43:44], -v[99:100]
	buffer_store_dword v41, off, s[20:23], 0 offset:116 ; 4-byte Folded Spill
	s_nop 0
	buffer_store_dword v42, off, s[20:23], 0 offset:120 ; 4-byte Folded Spill
	buffer_store_dword v43, off, s[20:23], 0 offset:124 ; 4-byte Folded Spill
	buffer_store_dword v44, off, s[20:23], 0 offset:128 ; 4-byte Folded Spill
	;; [unrolled: 19-line block ×11, first 2 shown]
	ds_read2_b64 v[99:102], v0 offset0:76 offset1:77
	s_waitcnt lgkmcnt(0)
	v_mul_f64 v[103:104], v[101:102], v[7:8]
	v_fma_f64 v[103:104], v[99:100], v[97:98], -v[103:104]
	v_mul_f64 v[99:100], v[99:100], v[7:8]
	v_add_f64 v[1:2], v[1:2], -v[103:104]
	v_fma_f64 v[99:100], v[101:102], v[97:98], v[99:100]
	v_add_f64 v[3:4], v[3:4], -v[99:100]
	ds_read2_b64 v[99:102], v0 offset0:78 offset1:79
	s_waitcnt lgkmcnt(0)
	v_mul_f64 v[103:104], v[101:102], v[7:8]
	v_fma_f64 v[103:104], v[99:100], v[97:98], -v[103:104]
	v_mul_f64 v[99:100], v[99:100], v[7:8]
	v_add_f64 v[45:46], v[45:46], -v[103:104]
	v_fma_f64 v[99:100], v[101:102], v[97:98], v[99:100]
	v_add_f64 v[47:48], v[47:48], -v[99:100]
.LBB79_73:
	s_or_b64 exec, exec, s[2:3]
	s_waitcnt vmcnt(0)
	s_barrier
	buffer_load_dword v41, off, s[20:23], 0 ; 4-byte Folded Reload
	s_waitcnt vmcnt(0)
	v_cmp_eq_u32_e32 vcc, 8, v41
	s_and_saveexec_b64 s[4:5], vcc
	s_cbranch_execz .LBB79_80
; %bb.74:
	ds_write2_b64 v127, v[9:10], v[11:12] offset1:1
	ds_write2_b64 v0, v[13:14], v[15:16] offset0:18 offset1:19
	ds_write2_b64 v0, v[17:18], v[19:20] offset0:20 offset1:21
	;; [unrolled: 1-line block ×4, first 2 shown]
	buffer_load_dword v81, off, s[20:23], 0 offset:180 ; 4-byte Folded Reload
	buffer_load_dword v82, off, s[20:23], 0 offset:184 ; 4-byte Folded Reload
	;; [unrolled: 1-line block ×4, first 2 shown]
	s_waitcnt vmcnt(0)
	ds_write2_b64 v0, v[81:82], v[83:84] offset0:26 offset1:27
	ds_write2_b64 v0, v[121:122], v[123:124] offset0:28 offset1:29
	;; [unrolled: 1-line block ×14, first 2 shown]
	buffer_load_dword v41, off, s[20:23], 0 offset:132 ; 4-byte Folded Reload
	buffer_load_dword v42, off, s[20:23], 0 offset:136 ; 4-byte Folded Reload
	buffer_load_dword v43, off, s[20:23], 0 offset:140 ; 4-byte Folded Reload
	buffer_load_dword v44, off, s[20:23], 0 offset:144 ; 4-byte Folded Reload
	s_waitcnt vmcnt(0)
	ds_write2_b64 v0, v[41:42], v[43:44] offset0:54 offset1:55
	buffer_load_dword v41, off, s[20:23], 0 offset:116 ; 4-byte Folded Reload
	buffer_load_dword v42, off, s[20:23], 0 offset:120 ; 4-byte Folded Reload
	buffer_load_dword v43, off, s[20:23], 0 offset:124 ; 4-byte Folded Reload
	buffer_load_dword v44, off, s[20:23], 0 offset:128 ; 4-byte Folded Reload
	s_waitcnt vmcnt(0)
	ds_write2_b64 v0, v[41:42], v[43:44] offset0:56 offset1:57
	;; [unrolled: 6-line block ×11, first 2 shown]
	ds_write2_b64 v0, v[1:2], v[3:4] offset0:76 offset1:77
	ds_write2_b64 v0, v[45:46], v[47:48] offset0:78 offset1:79
	ds_read2_b64 v[97:100], v127 offset1:1
	s_waitcnt lgkmcnt(0)
	v_cmp_neq_f64_e32 vcc, 0, v[97:98]
	v_cmp_neq_f64_e64 s[2:3], 0, v[99:100]
	s_or_b64 s[2:3], vcc, s[2:3]
	s_and_b64 exec, exec, s[2:3]
	s_cbranch_execz .LBB79_80
; %bb.75:
	v_cmp_ngt_f64_e64 s[2:3], |v[97:98]|, |v[99:100]|
                                        ; implicit-def: $vgpr101_vgpr102
	s_and_saveexec_b64 s[6:7], s[2:3]
	s_xor_b64 s[2:3], exec, s[6:7]
                                        ; implicit-def: $vgpr103_vgpr104
	s_cbranch_execz .LBB79_77
; %bb.76:
	v_div_scale_f64 v[101:102], s[6:7], v[99:100], v[99:100], v[97:98]
	v_rcp_f64_e32 v[103:104], v[101:102]
	v_fma_f64 v[105:106], -v[101:102], v[103:104], 1.0
	v_fma_f64 v[103:104], v[103:104], v[105:106], v[103:104]
	v_div_scale_f64 v[105:106], vcc, v[97:98], v[99:100], v[97:98]
	v_fma_f64 v[107:108], -v[101:102], v[103:104], 1.0
	v_fma_f64 v[103:104], v[103:104], v[107:108], v[103:104]
	v_mul_f64 v[107:108], v[105:106], v[103:104]
	v_fma_f64 v[101:102], -v[101:102], v[107:108], v[105:106]
	v_div_fmas_f64 v[101:102], v[101:102], v[103:104], v[107:108]
	v_div_fixup_f64 v[101:102], v[101:102], v[99:100], v[97:98]
	v_fma_f64 v[97:98], v[97:98], v[101:102], v[99:100]
	v_div_scale_f64 v[99:100], s[6:7], v[97:98], v[97:98], 1.0
	v_div_scale_f64 v[107:108], vcc, 1.0, v[97:98], 1.0
	v_rcp_f64_e32 v[103:104], v[99:100]
	v_fma_f64 v[105:106], -v[99:100], v[103:104], 1.0
	v_fma_f64 v[103:104], v[103:104], v[105:106], v[103:104]
	v_fma_f64 v[105:106], -v[99:100], v[103:104], 1.0
	v_fma_f64 v[103:104], v[103:104], v[105:106], v[103:104]
	v_mul_f64 v[105:106], v[107:108], v[103:104]
	v_fma_f64 v[99:100], -v[99:100], v[105:106], v[107:108]
	v_div_fmas_f64 v[99:100], v[99:100], v[103:104], v[105:106]
	v_div_fixup_f64 v[103:104], v[99:100], v[97:98], 1.0
                                        ; implicit-def: $vgpr97_vgpr98
	v_mul_f64 v[101:102], v[101:102], v[103:104]
	v_xor_b32_e32 v104, 0x80000000, v104
.LBB79_77:
	s_andn2_saveexec_b64 s[2:3], s[2:3]
	s_cbranch_execz .LBB79_79
; %bb.78:
	v_div_scale_f64 v[101:102], s[6:7], v[97:98], v[97:98], v[99:100]
	v_rcp_f64_e32 v[103:104], v[101:102]
	v_fma_f64 v[105:106], -v[101:102], v[103:104], 1.0
	v_fma_f64 v[103:104], v[103:104], v[105:106], v[103:104]
	v_div_scale_f64 v[105:106], vcc, v[99:100], v[97:98], v[99:100]
	v_fma_f64 v[107:108], -v[101:102], v[103:104], 1.0
	v_fma_f64 v[103:104], v[103:104], v[107:108], v[103:104]
	v_mul_f64 v[107:108], v[105:106], v[103:104]
	v_fma_f64 v[101:102], -v[101:102], v[107:108], v[105:106]
	v_div_fmas_f64 v[101:102], v[101:102], v[103:104], v[107:108]
	v_div_fixup_f64 v[103:104], v[101:102], v[97:98], v[99:100]
	v_fma_f64 v[97:98], v[99:100], v[103:104], v[97:98]
	v_div_scale_f64 v[99:100], s[6:7], v[97:98], v[97:98], 1.0
	v_div_scale_f64 v[107:108], vcc, 1.0, v[97:98], 1.0
	v_rcp_f64_e32 v[101:102], v[99:100]
	v_fma_f64 v[105:106], -v[99:100], v[101:102], 1.0
	v_fma_f64 v[101:102], v[101:102], v[105:106], v[101:102]
	v_fma_f64 v[105:106], -v[99:100], v[101:102], 1.0
	v_fma_f64 v[101:102], v[101:102], v[105:106], v[101:102]
	v_mul_f64 v[105:106], v[107:108], v[101:102]
	v_fma_f64 v[99:100], -v[99:100], v[105:106], v[107:108]
	v_div_fmas_f64 v[99:100], v[99:100], v[101:102], v[105:106]
	v_div_fixup_f64 v[101:102], v[99:100], v[97:98], 1.0
	v_mul_f64 v[103:104], v[103:104], -v[101:102]
.LBB79_79:
	s_or_b64 exec, exec, s[2:3]
	ds_write2_b64 v127, v[101:102], v[103:104] offset1:1
.LBB79_80:
	s_or_b64 exec, exec, s[4:5]
	s_waitcnt lgkmcnt(0)
	s_barrier
	ds_read2_b64 v[41:44], v127 offset1:1
	s_waitcnt lgkmcnt(0)
	buffer_store_dword v41, off, s[20:23], 0 offset:740 ; 4-byte Folded Spill
	s_nop 0
	buffer_store_dword v42, off, s[20:23], 0 offset:744 ; 4-byte Folded Spill
	buffer_store_dword v43, off, s[20:23], 0 offset:748 ; 4-byte Folded Spill
	;; [unrolled: 1-line block ×3, first 2 shown]
	buffer_load_dword v41, off, s[20:23], 0 ; 4-byte Folded Reload
	s_waitcnt vmcnt(0)
	v_cmp_lt_u32_e32 vcc, 8, v41
	s_and_saveexec_b64 s[2:3], vcc
	s_cbranch_execz .LBB79_82
; %bb.81:
	buffer_load_dword v41, off, s[20:23], 0 offset:740 ; 4-byte Folded Reload
	buffer_load_dword v42, off, s[20:23], 0 offset:744 ; 4-byte Folded Reload
	;; [unrolled: 1-line block ×4, first 2 shown]
	s_waitcnt vmcnt(2)
	v_mul_f64 v[99:100], v[41:42], v[11:12]
	s_waitcnt vmcnt(0)
	v_mul_f64 v[97:98], v[43:44], v[11:12]
	v_fma_f64 v[11:12], v[43:44], v[9:10], v[99:100]
	ds_read2_b64 v[99:102], v0 offset0:18 offset1:19
	v_fma_f64 v[97:98], v[41:42], v[9:10], -v[97:98]
	s_waitcnt lgkmcnt(0)
	v_mul_f64 v[103:104], v[101:102], v[11:12]
	v_mov_b32_e32 v9, v97
	v_mov_b32_e32 v10, v98
	v_fma_f64 v[103:104], v[99:100], v[97:98], -v[103:104]
	v_mul_f64 v[99:100], v[99:100], v[11:12]
	v_add_f64 v[13:14], v[13:14], -v[103:104]
	v_fma_f64 v[99:100], v[101:102], v[97:98], v[99:100]
	v_add_f64 v[15:16], v[15:16], -v[99:100]
	ds_read2_b64 v[99:102], v0 offset0:20 offset1:21
	s_waitcnt lgkmcnt(0)
	v_mul_f64 v[103:104], v[101:102], v[11:12]
	v_fma_f64 v[103:104], v[99:100], v[97:98], -v[103:104]
	v_mul_f64 v[99:100], v[99:100], v[11:12]
	v_add_f64 v[17:18], v[17:18], -v[103:104]
	v_fma_f64 v[99:100], v[101:102], v[97:98], v[99:100]
	v_add_f64 v[19:20], v[19:20], -v[99:100]
	ds_read2_b64 v[99:102], v0 offset0:22 offset1:23
	s_waitcnt lgkmcnt(0)
	v_mul_f64 v[103:104], v[101:102], v[11:12]
	;; [unrolled: 8-line block ×3, first 2 shown]
	v_fma_f64 v[103:104], v[99:100], v[97:98], -v[103:104]
	v_mul_f64 v[99:100], v[99:100], v[11:12]
	v_add_f64 v[21:22], v[21:22], -v[103:104]
	v_fma_f64 v[99:100], v[101:102], v[97:98], v[99:100]
	v_add_f64 v[23:24], v[23:24], -v[99:100]
	ds_read2_b64 v[99:102], v0 offset0:26 offset1:27
	buffer_load_dword v81, off, s[20:23], 0 offset:180 ; 4-byte Folded Reload
	buffer_load_dword v82, off, s[20:23], 0 offset:184 ; 4-byte Folded Reload
	buffer_load_dword v83, off, s[20:23], 0 offset:188 ; 4-byte Folded Reload
	buffer_load_dword v84, off, s[20:23], 0 offset:192 ; 4-byte Folded Reload
	s_waitcnt lgkmcnt(0)
	v_mul_f64 v[103:104], v[101:102], v[11:12]
	v_fma_f64 v[103:104], v[99:100], v[97:98], -v[103:104]
	v_mul_f64 v[99:100], v[99:100], v[11:12]
	v_fma_f64 v[99:100], v[101:102], v[97:98], v[99:100]
	s_waitcnt vmcnt(2)
	v_add_f64 v[81:82], v[81:82], -v[103:104]
	s_waitcnt vmcnt(0)
	v_add_f64 v[83:84], v[83:84], -v[99:100]
	buffer_store_dword v81, off, s[20:23], 0 offset:180 ; 4-byte Folded Spill
	s_nop 0
	buffer_store_dword v82, off, s[20:23], 0 offset:184 ; 4-byte Folded Spill
	buffer_store_dword v83, off, s[20:23], 0 offset:188 ; 4-byte Folded Spill
	buffer_store_dword v84, off, s[20:23], 0 offset:192 ; 4-byte Folded Spill
	ds_read2_b64 v[99:102], v0 offset0:28 offset1:29
	s_waitcnt lgkmcnt(0)
	v_mul_f64 v[103:104], v[101:102], v[11:12]
	v_fma_f64 v[103:104], v[99:100], v[97:98], -v[103:104]
	v_mul_f64 v[99:100], v[99:100], v[11:12]
	v_add_f64 v[121:122], v[121:122], -v[103:104]
	v_fma_f64 v[99:100], v[101:102], v[97:98], v[99:100]
	v_add_f64 v[123:124], v[123:124], -v[99:100]
	ds_read2_b64 v[99:102], v0 offset0:30 offset1:31
	s_waitcnt lgkmcnt(0)
	v_mul_f64 v[103:104], v[101:102], v[11:12]
	v_fma_f64 v[103:104], v[99:100], v[97:98], -v[103:104]
	v_mul_f64 v[99:100], v[99:100], v[11:12]
	v_add_f64 v[109:110], v[109:110], -v[103:104]
	v_fma_f64 v[99:100], v[101:102], v[97:98], v[99:100]
	v_add_f64 v[111:112], v[111:112], -v[99:100]
	;; [unrolled: 8-line block ×13, first 2 shown]
	ds_read2_b64 v[99:102], v0 offset0:54 offset1:55
	buffer_load_dword v41, off, s[20:23], 0 offset:132 ; 4-byte Folded Reload
	buffer_load_dword v42, off, s[20:23], 0 offset:136 ; 4-byte Folded Reload
	buffer_load_dword v43, off, s[20:23], 0 offset:140 ; 4-byte Folded Reload
	buffer_load_dword v44, off, s[20:23], 0 offset:144 ; 4-byte Folded Reload
	s_waitcnt lgkmcnt(0)
	v_mul_f64 v[103:104], v[101:102], v[11:12]
	v_fma_f64 v[103:104], v[99:100], v[97:98], -v[103:104]
	v_mul_f64 v[99:100], v[99:100], v[11:12]
	v_fma_f64 v[99:100], v[101:102], v[97:98], v[99:100]
	s_waitcnt vmcnt(2)
	v_add_f64 v[41:42], v[41:42], -v[103:104]
	s_waitcnt vmcnt(0)
	v_add_f64 v[43:44], v[43:44], -v[99:100]
	buffer_store_dword v41, off, s[20:23], 0 offset:132 ; 4-byte Folded Spill
	s_nop 0
	buffer_store_dword v42, off, s[20:23], 0 offset:136 ; 4-byte Folded Spill
	buffer_store_dword v43, off, s[20:23], 0 offset:140 ; 4-byte Folded Spill
	buffer_store_dword v44, off, s[20:23], 0 offset:144 ; 4-byte Folded Spill
	ds_read2_b64 v[99:102], v0 offset0:56 offset1:57
	buffer_load_dword v41, off, s[20:23], 0 offset:116 ; 4-byte Folded Reload
	buffer_load_dword v42, off, s[20:23], 0 offset:120 ; 4-byte Folded Reload
	buffer_load_dword v43, off, s[20:23], 0 offset:124 ; 4-byte Folded Reload
	buffer_load_dword v44, off, s[20:23], 0 offset:128 ; 4-byte Folded Reload
	s_waitcnt lgkmcnt(0)
	v_mul_f64 v[103:104], v[101:102], v[11:12]
	v_fma_f64 v[103:104], v[99:100], v[97:98], -v[103:104]
	v_mul_f64 v[99:100], v[99:100], v[11:12]
	v_fma_f64 v[99:100], v[101:102], v[97:98], v[99:100]
	s_waitcnt vmcnt(2)
	v_add_f64 v[41:42], v[41:42], -v[103:104]
	s_waitcnt vmcnt(0)
	v_add_f64 v[43:44], v[43:44], -v[99:100]
	buffer_store_dword v41, off, s[20:23], 0 offset:116 ; 4-byte Folded Spill
	s_nop 0
	buffer_store_dword v42, off, s[20:23], 0 offset:120 ; 4-byte Folded Spill
	buffer_store_dword v43, off, s[20:23], 0 offset:124 ; 4-byte Folded Spill
	buffer_store_dword v44, off, s[20:23], 0 offset:128 ; 4-byte Folded Spill
	;; [unrolled: 19-line block ×11, first 2 shown]
	ds_read2_b64 v[99:102], v0 offset0:76 offset1:77
	s_waitcnt lgkmcnt(0)
	v_mul_f64 v[103:104], v[101:102], v[11:12]
	v_fma_f64 v[103:104], v[99:100], v[97:98], -v[103:104]
	v_mul_f64 v[99:100], v[99:100], v[11:12]
	v_add_f64 v[1:2], v[1:2], -v[103:104]
	v_fma_f64 v[99:100], v[101:102], v[97:98], v[99:100]
	v_add_f64 v[3:4], v[3:4], -v[99:100]
	ds_read2_b64 v[99:102], v0 offset0:78 offset1:79
	s_waitcnt lgkmcnt(0)
	v_mul_f64 v[103:104], v[101:102], v[11:12]
	v_fma_f64 v[103:104], v[99:100], v[97:98], -v[103:104]
	v_mul_f64 v[99:100], v[99:100], v[11:12]
	v_add_f64 v[45:46], v[45:46], -v[103:104]
	v_fma_f64 v[99:100], v[101:102], v[97:98], v[99:100]
	v_add_f64 v[47:48], v[47:48], -v[99:100]
.LBB79_82:
	s_or_b64 exec, exec, s[2:3]
	s_waitcnt vmcnt(0)
	s_barrier
	buffer_load_dword v41, off, s[20:23], 0 ; 4-byte Folded Reload
	s_waitcnt vmcnt(0)
	v_cmp_eq_u32_e32 vcc, 9, v41
	s_and_saveexec_b64 s[4:5], vcc
	s_cbranch_execz .LBB79_89
; %bb.83:
	ds_write2_b64 v127, v[13:14], v[15:16] offset1:1
	ds_write2_b64 v0, v[17:18], v[19:20] offset0:20 offset1:21
	ds_write2_b64 v0, v[85:86], v[87:88] offset0:22 offset1:23
	ds_write2_b64 v0, v[21:22], v[23:24] offset0:24 offset1:25
	buffer_load_dword v81, off, s[20:23], 0 offset:180 ; 4-byte Folded Reload
	buffer_load_dword v82, off, s[20:23], 0 offset:184 ; 4-byte Folded Reload
	;; [unrolled: 1-line block ×4, first 2 shown]
	s_waitcnt vmcnt(0)
	ds_write2_b64 v0, v[81:82], v[83:84] offset0:26 offset1:27
	ds_write2_b64 v0, v[121:122], v[123:124] offset0:28 offset1:29
	;; [unrolled: 1-line block ×14, first 2 shown]
	buffer_load_dword v41, off, s[20:23], 0 offset:132 ; 4-byte Folded Reload
	buffer_load_dword v42, off, s[20:23], 0 offset:136 ; 4-byte Folded Reload
	buffer_load_dword v43, off, s[20:23], 0 offset:140 ; 4-byte Folded Reload
	buffer_load_dword v44, off, s[20:23], 0 offset:144 ; 4-byte Folded Reload
	s_waitcnt vmcnt(0)
	ds_write2_b64 v0, v[41:42], v[43:44] offset0:54 offset1:55
	buffer_load_dword v41, off, s[20:23], 0 offset:116 ; 4-byte Folded Reload
	buffer_load_dword v42, off, s[20:23], 0 offset:120 ; 4-byte Folded Reload
	buffer_load_dword v43, off, s[20:23], 0 offset:124 ; 4-byte Folded Reload
	buffer_load_dword v44, off, s[20:23], 0 offset:128 ; 4-byte Folded Reload
	s_waitcnt vmcnt(0)
	ds_write2_b64 v0, v[41:42], v[43:44] offset0:56 offset1:57
	;; [unrolled: 6-line block ×11, first 2 shown]
	ds_write2_b64 v0, v[1:2], v[3:4] offset0:76 offset1:77
	ds_write2_b64 v0, v[45:46], v[47:48] offset0:78 offset1:79
	ds_read2_b64 v[97:100], v127 offset1:1
	s_waitcnt lgkmcnt(0)
	v_cmp_neq_f64_e32 vcc, 0, v[97:98]
	v_cmp_neq_f64_e64 s[2:3], 0, v[99:100]
	s_or_b64 s[2:3], vcc, s[2:3]
	s_and_b64 exec, exec, s[2:3]
	s_cbranch_execz .LBB79_89
; %bb.84:
	v_cmp_ngt_f64_e64 s[2:3], |v[97:98]|, |v[99:100]|
                                        ; implicit-def: $vgpr101_vgpr102
	s_and_saveexec_b64 s[6:7], s[2:3]
	s_xor_b64 s[2:3], exec, s[6:7]
                                        ; implicit-def: $vgpr103_vgpr104
	s_cbranch_execz .LBB79_86
; %bb.85:
	v_div_scale_f64 v[101:102], s[6:7], v[99:100], v[99:100], v[97:98]
	v_rcp_f64_e32 v[103:104], v[101:102]
	v_fma_f64 v[105:106], -v[101:102], v[103:104], 1.0
	v_fma_f64 v[103:104], v[103:104], v[105:106], v[103:104]
	v_div_scale_f64 v[105:106], vcc, v[97:98], v[99:100], v[97:98]
	v_fma_f64 v[107:108], -v[101:102], v[103:104], 1.0
	v_fma_f64 v[103:104], v[103:104], v[107:108], v[103:104]
	v_mul_f64 v[107:108], v[105:106], v[103:104]
	v_fma_f64 v[101:102], -v[101:102], v[107:108], v[105:106]
	v_div_fmas_f64 v[101:102], v[101:102], v[103:104], v[107:108]
	v_div_fixup_f64 v[101:102], v[101:102], v[99:100], v[97:98]
	v_fma_f64 v[97:98], v[97:98], v[101:102], v[99:100]
	v_div_scale_f64 v[99:100], s[6:7], v[97:98], v[97:98], 1.0
	v_div_scale_f64 v[107:108], vcc, 1.0, v[97:98], 1.0
	v_rcp_f64_e32 v[103:104], v[99:100]
	v_fma_f64 v[105:106], -v[99:100], v[103:104], 1.0
	v_fma_f64 v[103:104], v[103:104], v[105:106], v[103:104]
	v_fma_f64 v[105:106], -v[99:100], v[103:104], 1.0
	v_fma_f64 v[103:104], v[103:104], v[105:106], v[103:104]
	v_mul_f64 v[105:106], v[107:108], v[103:104]
	v_fma_f64 v[99:100], -v[99:100], v[105:106], v[107:108]
	v_div_fmas_f64 v[99:100], v[99:100], v[103:104], v[105:106]
	v_div_fixup_f64 v[103:104], v[99:100], v[97:98], 1.0
                                        ; implicit-def: $vgpr97_vgpr98
	v_mul_f64 v[101:102], v[101:102], v[103:104]
	v_xor_b32_e32 v104, 0x80000000, v104
.LBB79_86:
	s_andn2_saveexec_b64 s[2:3], s[2:3]
	s_cbranch_execz .LBB79_88
; %bb.87:
	v_div_scale_f64 v[101:102], s[6:7], v[97:98], v[97:98], v[99:100]
	v_rcp_f64_e32 v[103:104], v[101:102]
	v_fma_f64 v[105:106], -v[101:102], v[103:104], 1.0
	v_fma_f64 v[103:104], v[103:104], v[105:106], v[103:104]
	v_div_scale_f64 v[105:106], vcc, v[99:100], v[97:98], v[99:100]
	v_fma_f64 v[107:108], -v[101:102], v[103:104], 1.0
	v_fma_f64 v[103:104], v[103:104], v[107:108], v[103:104]
	v_mul_f64 v[107:108], v[105:106], v[103:104]
	v_fma_f64 v[101:102], -v[101:102], v[107:108], v[105:106]
	v_div_fmas_f64 v[101:102], v[101:102], v[103:104], v[107:108]
	v_div_fixup_f64 v[103:104], v[101:102], v[97:98], v[99:100]
	v_fma_f64 v[97:98], v[99:100], v[103:104], v[97:98]
	v_div_scale_f64 v[99:100], s[6:7], v[97:98], v[97:98], 1.0
	v_div_scale_f64 v[107:108], vcc, 1.0, v[97:98], 1.0
	v_rcp_f64_e32 v[101:102], v[99:100]
	v_fma_f64 v[105:106], -v[99:100], v[101:102], 1.0
	v_fma_f64 v[101:102], v[101:102], v[105:106], v[101:102]
	v_fma_f64 v[105:106], -v[99:100], v[101:102], 1.0
	v_fma_f64 v[101:102], v[101:102], v[105:106], v[101:102]
	v_mul_f64 v[105:106], v[107:108], v[101:102]
	v_fma_f64 v[99:100], -v[99:100], v[105:106], v[107:108]
	v_div_fmas_f64 v[99:100], v[99:100], v[101:102], v[105:106]
	v_div_fixup_f64 v[101:102], v[99:100], v[97:98], 1.0
	v_mul_f64 v[103:104], v[103:104], -v[101:102]
.LBB79_88:
	s_or_b64 exec, exec, s[2:3]
	ds_write2_b64 v127, v[101:102], v[103:104] offset1:1
.LBB79_89:
	s_or_b64 exec, exec, s[4:5]
	s_waitcnt lgkmcnt(0)
	s_barrier
	ds_read2_b64 v[41:44], v127 offset1:1
	s_waitcnt lgkmcnt(0)
	buffer_store_dword v41, off, s[20:23], 0 offset:756 ; 4-byte Folded Spill
	s_nop 0
	buffer_store_dword v42, off, s[20:23], 0 offset:760 ; 4-byte Folded Spill
	buffer_store_dword v43, off, s[20:23], 0 offset:764 ; 4-byte Folded Spill
	;; [unrolled: 1-line block ×3, first 2 shown]
	buffer_load_dword v41, off, s[20:23], 0 ; 4-byte Folded Reload
	s_waitcnt vmcnt(0)
	v_cmp_lt_u32_e32 vcc, 9, v41
	s_and_saveexec_b64 s[2:3], vcc
	s_cbranch_execz .LBB79_91
; %bb.90:
	buffer_load_dword v41, off, s[20:23], 0 offset:756 ; 4-byte Folded Reload
	buffer_load_dword v42, off, s[20:23], 0 offset:760 ; 4-byte Folded Reload
	buffer_load_dword v43, off, s[20:23], 0 offset:764 ; 4-byte Folded Reload
	buffer_load_dword v44, off, s[20:23], 0 offset:768 ; 4-byte Folded Reload
	s_waitcnt vmcnt(2)
	v_mul_f64 v[99:100], v[41:42], v[15:16]
	s_waitcnt vmcnt(0)
	v_mul_f64 v[97:98], v[43:44], v[15:16]
	v_fma_f64 v[15:16], v[43:44], v[13:14], v[99:100]
	ds_read2_b64 v[99:102], v0 offset0:20 offset1:21
	v_fma_f64 v[97:98], v[41:42], v[13:14], -v[97:98]
	s_waitcnt lgkmcnt(0)
	v_mul_f64 v[103:104], v[101:102], v[15:16]
	v_mov_b32_e32 v13, v97
	v_mov_b32_e32 v14, v98
	v_fma_f64 v[103:104], v[99:100], v[97:98], -v[103:104]
	v_mul_f64 v[99:100], v[99:100], v[15:16]
	v_add_f64 v[17:18], v[17:18], -v[103:104]
	v_fma_f64 v[99:100], v[101:102], v[97:98], v[99:100]
	v_add_f64 v[19:20], v[19:20], -v[99:100]
	ds_read2_b64 v[99:102], v0 offset0:22 offset1:23
	s_waitcnt lgkmcnt(0)
	v_mul_f64 v[103:104], v[101:102], v[15:16]
	v_fma_f64 v[103:104], v[99:100], v[97:98], -v[103:104]
	v_mul_f64 v[99:100], v[99:100], v[15:16]
	v_add_f64 v[85:86], v[85:86], -v[103:104]
	v_fma_f64 v[99:100], v[101:102], v[97:98], v[99:100]
	v_add_f64 v[87:88], v[87:88], -v[99:100]
	ds_read2_b64 v[99:102], v0 offset0:24 offset1:25
	s_waitcnt lgkmcnt(0)
	v_mul_f64 v[103:104], v[101:102], v[15:16]
	v_fma_f64 v[103:104], v[99:100], v[97:98], -v[103:104]
	v_mul_f64 v[99:100], v[99:100], v[15:16]
	v_add_f64 v[21:22], v[21:22], -v[103:104]
	v_fma_f64 v[99:100], v[101:102], v[97:98], v[99:100]
	v_add_f64 v[23:24], v[23:24], -v[99:100]
	ds_read2_b64 v[99:102], v0 offset0:26 offset1:27
	buffer_load_dword v81, off, s[20:23], 0 offset:180 ; 4-byte Folded Reload
	buffer_load_dword v82, off, s[20:23], 0 offset:184 ; 4-byte Folded Reload
	;; [unrolled: 1-line block ×4, first 2 shown]
	s_waitcnt lgkmcnt(0)
	v_mul_f64 v[103:104], v[101:102], v[15:16]
	v_fma_f64 v[103:104], v[99:100], v[97:98], -v[103:104]
	v_mul_f64 v[99:100], v[99:100], v[15:16]
	v_fma_f64 v[99:100], v[101:102], v[97:98], v[99:100]
	s_waitcnt vmcnt(2)
	v_add_f64 v[81:82], v[81:82], -v[103:104]
	s_waitcnt vmcnt(0)
	v_add_f64 v[83:84], v[83:84], -v[99:100]
	buffer_store_dword v81, off, s[20:23], 0 offset:180 ; 4-byte Folded Spill
	s_nop 0
	buffer_store_dword v82, off, s[20:23], 0 offset:184 ; 4-byte Folded Spill
	buffer_store_dword v83, off, s[20:23], 0 offset:188 ; 4-byte Folded Spill
	;; [unrolled: 1-line block ×3, first 2 shown]
	ds_read2_b64 v[99:102], v0 offset0:28 offset1:29
	s_waitcnt lgkmcnt(0)
	v_mul_f64 v[103:104], v[101:102], v[15:16]
	v_fma_f64 v[103:104], v[99:100], v[97:98], -v[103:104]
	v_mul_f64 v[99:100], v[99:100], v[15:16]
	v_add_f64 v[121:122], v[121:122], -v[103:104]
	v_fma_f64 v[99:100], v[101:102], v[97:98], v[99:100]
	v_add_f64 v[123:124], v[123:124], -v[99:100]
	ds_read2_b64 v[99:102], v0 offset0:30 offset1:31
	s_waitcnt lgkmcnt(0)
	v_mul_f64 v[103:104], v[101:102], v[15:16]
	v_fma_f64 v[103:104], v[99:100], v[97:98], -v[103:104]
	v_mul_f64 v[99:100], v[99:100], v[15:16]
	v_add_f64 v[109:110], v[109:110], -v[103:104]
	v_fma_f64 v[99:100], v[101:102], v[97:98], v[99:100]
	v_add_f64 v[111:112], v[111:112], -v[99:100]
	;; [unrolled: 8-line block ×13, first 2 shown]
	ds_read2_b64 v[99:102], v0 offset0:54 offset1:55
	buffer_load_dword v41, off, s[20:23], 0 offset:132 ; 4-byte Folded Reload
	buffer_load_dword v42, off, s[20:23], 0 offset:136 ; 4-byte Folded Reload
	buffer_load_dword v43, off, s[20:23], 0 offset:140 ; 4-byte Folded Reload
	buffer_load_dword v44, off, s[20:23], 0 offset:144 ; 4-byte Folded Reload
	s_waitcnt lgkmcnt(0)
	v_mul_f64 v[103:104], v[101:102], v[15:16]
	v_fma_f64 v[103:104], v[99:100], v[97:98], -v[103:104]
	v_mul_f64 v[99:100], v[99:100], v[15:16]
	v_fma_f64 v[99:100], v[101:102], v[97:98], v[99:100]
	s_waitcnt vmcnt(2)
	v_add_f64 v[41:42], v[41:42], -v[103:104]
	s_waitcnt vmcnt(0)
	v_add_f64 v[43:44], v[43:44], -v[99:100]
	buffer_store_dword v41, off, s[20:23], 0 offset:132 ; 4-byte Folded Spill
	s_nop 0
	buffer_store_dword v42, off, s[20:23], 0 offset:136 ; 4-byte Folded Spill
	buffer_store_dword v43, off, s[20:23], 0 offset:140 ; 4-byte Folded Spill
	buffer_store_dword v44, off, s[20:23], 0 offset:144 ; 4-byte Folded Spill
	ds_read2_b64 v[99:102], v0 offset0:56 offset1:57
	buffer_load_dword v41, off, s[20:23], 0 offset:116 ; 4-byte Folded Reload
	buffer_load_dword v42, off, s[20:23], 0 offset:120 ; 4-byte Folded Reload
	buffer_load_dword v43, off, s[20:23], 0 offset:124 ; 4-byte Folded Reload
	buffer_load_dword v44, off, s[20:23], 0 offset:128 ; 4-byte Folded Reload
	s_waitcnt lgkmcnt(0)
	v_mul_f64 v[103:104], v[101:102], v[15:16]
	v_fma_f64 v[103:104], v[99:100], v[97:98], -v[103:104]
	v_mul_f64 v[99:100], v[99:100], v[15:16]
	v_fma_f64 v[99:100], v[101:102], v[97:98], v[99:100]
	s_waitcnt vmcnt(2)
	v_add_f64 v[41:42], v[41:42], -v[103:104]
	s_waitcnt vmcnt(0)
	v_add_f64 v[43:44], v[43:44], -v[99:100]
	buffer_store_dword v41, off, s[20:23], 0 offset:116 ; 4-byte Folded Spill
	s_nop 0
	buffer_store_dword v42, off, s[20:23], 0 offset:120 ; 4-byte Folded Spill
	buffer_store_dword v43, off, s[20:23], 0 offset:124 ; 4-byte Folded Spill
	buffer_store_dword v44, off, s[20:23], 0 offset:128 ; 4-byte Folded Spill
	;; [unrolled: 19-line block ×11, first 2 shown]
	ds_read2_b64 v[99:102], v0 offset0:76 offset1:77
	s_waitcnt lgkmcnt(0)
	v_mul_f64 v[103:104], v[101:102], v[15:16]
	v_fma_f64 v[103:104], v[99:100], v[97:98], -v[103:104]
	v_mul_f64 v[99:100], v[99:100], v[15:16]
	v_add_f64 v[1:2], v[1:2], -v[103:104]
	v_fma_f64 v[99:100], v[101:102], v[97:98], v[99:100]
	v_add_f64 v[3:4], v[3:4], -v[99:100]
	ds_read2_b64 v[99:102], v0 offset0:78 offset1:79
	s_waitcnt lgkmcnt(0)
	v_mul_f64 v[103:104], v[101:102], v[15:16]
	v_fma_f64 v[103:104], v[99:100], v[97:98], -v[103:104]
	v_mul_f64 v[99:100], v[99:100], v[15:16]
	v_add_f64 v[45:46], v[45:46], -v[103:104]
	v_fma_f64 v[99:100], v[101:102], v[97:98], v[99:100]
	v_add_f64 v[47:48], v[47:48], -v[99:100]
.LBB79_91:
	s_or_b64 exec, exec, s[2:3]
	s_waitcnt vmcnt(0)
	s_barrier
	buffer_load_dword v41, off, s[20:23], 0 ; 4-byte Folded Reload
	s_waitcnt vmcnt(0)
	v_cmp_eq_u32_e32 vcc, 10, v41
	s_and_saveexec_b64 s[4:5], vcc
	s_cbranch_execz .LBB79_98
; %bb.92:
	ds_write2_b64 v127, v[17:18], v[19:20] offset1:1
	ds_write2_b64 v0, v[85:86], v[87:88] offset0:22 offset1:23
	ds_write2_b64 v0, v[21:22], v[23:24] offset0:24 offset1:25
	buffer_load_dword v81, off, s[20:23], 0 offset:180 ; 4-byte Folded Reload
	buffer_load_dword v82, off, s[20:23], 0 offset:184 ; 4-byte Folded Reload
	;; [unrolled: 1-line block ×4, first 2 shown]
	s_waitcnt vmcnt(0)
	ds_write2_b64 v0, v[81:82], v[83:84] offset0:26 offset1:27
	ds_write2_b64 v0, v[121:122], v[123:124] offset0:28 offset1:29
	;; [unrolled: 1-line block ×14, first 2 shown]
	buffer_load_dword v41, off, s[20:23], 0 offset:132 ; 4-byte Folded Reload
	buffer_load_dword v42, off, s[20:23], 0 offset:136 ; 4-byte Folded Reload
	buffer_load_dword v43, off, s[20:23], 0 offset:140 ; 4-byte Folded Reload
	buffer_load_dword v44, off, s[20:23], 0 offset:144 ; 4-byte Folded Reload
	s_waitcnt vmcnt(0)
	ds_write2_b64 v0, v[41:42], v[43:44] offset0:54 offset1:55
	buffer_load_dword v41, off, s[20:23], 0 offset:116 ; 4-byte Folded Reload
	buffer_load_dword v42, off, s[20:23], 0 offset:120 ; 4-byte Folded Reload
	buffer_load_dword v43, off, s[20:23], 0 offset:124 ; 4-byte Folded Reload
	buffer_load_dword v44, off, s[20:23], 0 offset:128 ; 4-byte Folded Reload
	s_waitcnt vmcnt(0)
	ds_write2_b64 v0, v[41:42], v[43:44] offset0:56 offset1:57
	;; [unrolled: 6-line block ×11, first 2 shown]
	ds_write2_b64 v0, v[1:2], v[3:4] offset0:76 offset1:77
	ds_write2_b64 v0, v[45:46], v[47:48] offset0:78 offset1:79
	ds_read2_b64 v[97:100], v127 offset1:1
	s_waitcnt lgkmcnt(0)
	v_cmp_neq_f64_e32 vcc, 0, v[97:98]
	v_cmp_neq_f64_e64 s[2:3], 0, v[99:100]
	s_or_b64 s[2:3], vcc, s[2:3]
	s_and_b64 exec, exec, s[2:3]
	s_cbranch_execz .LBB79_98
; %bb.93:
	v_cmp_ngt_f64_e64 s[2:3], |v[97:98]|, |v[99:100]|
                                        ; implicit-def: $vgpr101_vgpr102
	s_and_saveexec_b64 s[6:7], s[2:3]
	s_xor_b64 s[2:3], exec, s[6:7]
                                        ; implicit-def: $vgpr103_vgpr104
	s_cbranch_execz .LBB79_95
; %bb.94:
	v_div_scale_f64 v[101:102], s[6:7], v[99:100], v[99:100], v[97:98]
	v_rcp_f64_e32 v[103:104], v[101:102]
	v_fma_f64 v[105:106], -v[101:102], v[103:104], 1.0
	v_fma_f64 v[103:104], v[103:104], v[105:106], v[103:104]
	v_div_scale_f64 v[105:106], vcc, v[97:98], v[99:100], v[97:98]
	v_fma_f64 v[107:108], -v[101:102], v[103:104], 1.0
	v_fma_f64 v[103:104], v[103:104], v[107:108], v[103:104]
	v_mul_f64 v[107:108], v[105:106], v[103:104]
	v_fma_f64 v[101:102], -v[101:102], v[107:108], v[105:106]
	v_div_fmas_f64 v[101:102], v[101:102], v[103:104], v[107:108]
	v_div_fixup_f64 v[101:102], v[101:102], v[99:100], v[97:98]
	v_fma_f64 v[97:98], v[97:98], v[101:102], v[99:100]
	v_div_scale_f64 v[99:100], s[6:7], v[97:98], v[97:98], 1.0
	v_div_scale_f64 v[107:108], vcc, 1.0, v[97:98], 1.0
	v_rcp_f64_e32 v[103:104], v[99:100]
	v_fma_f64 v[105:106], -v[99:100], v[103:104], 1.0
	v_fma_f64 v[103:104], v[103:104], v[105:106], v[103:104]
	v_fma_f64 v[105:106], -v[99:100], v[103:104], 1.0
	v_fma_f64 v[103:104], v[103:104], v[105:106], v[103:104]
	v_mul_f64 v[105:106], v[107:108], v[103:104]
	v_fma_f64 v[99:100], -v[99:100], v[105:106], v[107:108]
	v_div_fmas_f64 v[99:100], v[99:100], v[103:104], v[105:106]
	v_div_fixup_f64 v[103:104], v[99:100], v[97:98], 1.0
                                        ; implicit-def: $vgpr97_vgpr98
	v_mul_f64 v[101:102], v[101:102], v[103:104]
	v_xor_b32_e32 v104, 0x80000000, v104
.LBB79_95:
	s_andn2_saveexec_b64 s[2:3], s[2:3]
	s_cbranch_execz .LBB79_97
; %bb.96:
	v_div_scale_f64 v[101:102], s[6:7], v[97:98], v[97:98], v[99:100]
	v_rcp_f64_e32 v[103:104], v[101:102]
	v_fma_f64 v[105:106], -v[101:102], v[103:104], 1.0
	v_fma_f64 v[103:104], v[103:104], v[105:106], v[103:104]
	v_div_scale_f64 v[105:106], vcc, v[99:100], v[97:98], v[99:100]
	v_fma_f64 v[107:108], -v[101:102], v[103:104], 1.0
	v_fma_f64 v[103:104], v[103:104], v[107:108], v[103:104]
	v_mul_f64 v[107:108], v[105:106], v[103:104]
	v_fma_f64 v[101:102], -v[101:102], v[107:108], v[105:106]
	v_div_fmas_f64 v[101:102], v[101:102], v[103:104], v[107:108]
	v_div_fixup_f64 v[103:104], v[101:102], v[97:98], v[99:100]
	v_fma_f64 v[97:98], v[99:100], v[103:104], v[97:98]
	v_div_scale_f64 v[99:100], s[6:7], v[97:98], v[97:98], 1.0
	v_div_scale_f64 v[107:108], vcc, 1.0, v[97:98], 1.0
	v_rcp_f64_e32 v[101:102], v[99:100]
	v_fma_f64 v[105:106], -v[99:100], v[101:102], 1.0
	v_fma_f64 v[101:102], v[101:102], v[105:106], v[101:102]
	v_fma_f64 v[105:106], -v[99:100], v[101:102], 1.0
	v_fma_f64 v[101:102], v[101:102], v[105:106], v[101:102]
	v_mul_f64 v[105:106], v[107:108], v[101:102]
	v_fma_f64 v[99:100], -v[99:100], v[105:106], v[107:108]
	v_div_fmas_f64 v[99:100], v[99:100], v[101:102], v[105:106]
	v_div_fixup_f64 v[101:102], v[99:100], v[97:98], 1.0
	v_mul_f64 v[103:104], v[103:104], -v[101:102]
.LBB79_97:
	s_or_b64 exec, exec, s[2:3]
	ds_write2_b64 v127, v[101:102], v[103:104] offset1:1
.LBB79_98:
	s_or_b64 exec, exec, s[4:5]
	s_waitcnt lgkmcnt(0)
	s_barrier
	ds_read2_b64 v[41:44], v127 offset1:1
	s_waitcnt lgkmcnt(0)
	buffer_store_dword v41, off, s[20:23], 0 offset:772 ; 4-byte Folded Spill
	s_nop 0
	buffer_store_dword v42, off, s[20:23], 0 offset:776 ; 4-byte Folded Spill
	buffer_store_dword v43, off, s[20:23], 0 offset:780 ; 4-byte Folded Spill
	;; [unrolled: 1-line block ×3, first 2 shown]
	buffer_load_dword v41, off, s[20:23], 0 ; 4-byte Folded Reload
	s_waitcnt vmcnt(0)
	v_cmp_lt_u32_e32 vcc, 10, v41
	s_and_saveexec_b64 s[2:3], vcc
	s_cbranch_execz .LBB79_100
; %bb.99:
	buffer_load_dword v41, off, s[20:23], 0 offset:772 ; 4-byte Folded Reload
	buffer_load_dword v42, off, s[20:23], 0 offset:776 ; 4-byte Folded Reload
	;; [unrolled: 1-line block ×4, first 2 shown]
	s_waitcnt vmcnt(2)
	v_mul_f64 v[99:100], v[41:42], v[19:20]
	s_waitcnt vmcnt(0)
	v_mul_f64 v[97:98], v[43:44], v[19:20]
	v_fma_f64 v[19:20], v[43:44], v[17:18], v[99:100]
	ds_read2_b64 v[99:102], v0 offset0:22 offset1:23
	v_fma_f64 v[97:98], v[41:42], v[17:18], -v[97:98]
	s_waitcnt lgkmcnt(0)
	v_mul_f64 v[103:104], v[101:102], v[19:20]
	v_mov_b32_e32 v17, v97
	v_mov_b32_e32 v18, v98
	v_fma_f64 v[103:104], v[99:100], v[97:98], -v[103:104]
	v_mul_f64 v[99:100], v[99:100], v[19:20]
	v_add_f64 v[85:86], v[85:86], -v[103:104]
	v_fma_f64 v[99:100], v[101:102], v[97:98], v[99:100]
	v_add_f64 v[87:88], v[87:88], -v[99:100]
	ds_read2_b64 v[99:102], v0 offset0:24 offset1:25
	s_waitcnt lgkmcnt(0)
	v_mul_f64 v[103:104], v[101:102], v[19:20]
	v_fma_f64 v[103:104], v[99:100], v[97:98], -v[103:104]
	v_mul_f64 v[99:100], v[99:100], v[19:20]
	v_add_f64 v[21:22], v[21:22], -v[103:104]
	v_fma_f64 v[99:100], v[101:102], v[97:98], v[99:100]
	v_add_f64 v[23:24], v[23:24], -v[99:100]
	ds_read2_b64 v[99:102], v0 offset0:26 offset1:27
	buffer_load_dword v81, off, s[20:23], 0 offset:180 ; 4-byte Folded Reload
	buffer_load_dword v82, off, s[20:23], 0 offset:184 ; 4-byte Folded Reload
	;; [unrolled: 1-line block ×4, first 2 shown]
	s_waitcnt lgkmcnt(0)
	v_mul_f64 v[103:104], v[101:102], v[19:20]
	v_fma_f64 v[103:104], v[99:100], v[97:98], -v[103:104]
	v_mul_f64 v[99:100], v[99:100], v[19:20]
	v_fma_f64 v[99:100], v[101:102], v[97:98], v[99:100]
	s_waitcnt vmcnt(2)
	v_add_f64 v[81:82], v[81:82], -v[103:104]
	s_waitcnt vmcnt(0)
	v_add_f64 v[83:84], v[83:84], -v[99:100]
	buffer_store_dword v81, off, s[20:23], 0 offset:180 ; 4-byte Folded Spill
	s_nop 0
	buffer_store_dword v82, off, s[20:23], 0 offset:184 ; 4-byte Folded Spill
	buffer_store_dword v83, off, s[20:23], 0 offset:188 ; 4-byte Folded Spill
	;; [unrolled: 1-line block ×3, first 2 shown]
	ds_read2_b64 v[99:102], v0 offset0:28 offset1:29
	s_waitcnt lgkmcnt(0)
	v_mul_f64 v[103:104], v[101:102], v[19:20]
	v_fma_f64 v[103:104], v[99:100], v[97:98], -v[103:104]
	v_mul_f64 v[99:100], v[99:100], v[19:20]
	v_add_f64 v[121:122], v[121:122], -v[103:104]
	v_fma_f64 v[99:100], v[101:102], v[97:98], v[99:100]
	v_add_f64 v[123:124], v[123:124], -v[99:100]
	ds_read2_b64 v[99:102], v0 offset0:30 offset1:31
	s_waitcnt lgkmcnt(0)
	v_mul_f64 v[103:104], v[101:102], v[19:20]
	v_fma_f64 v[103:104], v[99:100], v[97:98], -v[103:104]
	v_mul_f64 v[99:100], v[99:100], v[19:20]
	v_add_f64 v[109:110], v[109:110], -v[103:104]
	v_fma_f64 v[99:100], v[101:102], v[97:98], v[99:100]
	v_add_f64 v[111:112], v[111:112], -v[99:100]
	;; [unrolled: 8-line block ×13, first 2 shown]
	ds_read2_b64 v[99:102], v0 offset0:54 offset1:55
	buffer_load_dword v41, off, s[20:23], 0 offset:132 ; 4-byte Folded Reload
	buffer_load_dword v42, off, s[20:23], 0 offset:136 ; 4-byte Folded Reload
	buffer_load_dword v43, off, s[20:23], 0 offset:140 ; 4-byte Folded Reload
	buffer_load_dword v44, off, s[20:23], 0 offset:144 ; 4-byte Folded Reload
	s_waitcnt lgkmcnt(0)
	v_mul_f64 v[103:104], v[101:102], v[19:20]
	v_fma_f64 v[103:104], v[99:100], v[97:98], -v[103:104]
	v_mul_f64 v[99:100], v[99:100], v[19:20]
	v_fma_f64 v[99:100], v[101:102], v[97:98], v[99:100]
	s_waitcnt vmcnt(2)
	v_add_f64 v[41:42], v[41:42], -v[103:104]
	s_waitcnt vmcnt(0)
	v_add_f64 v[43:44], v[43:44], -v[99:100]
	buffer_store_dword v41, off, s[20:23], 0 offset:132 ; 4-byte Folded Spill
	s_nop 0
	buffer_store_dword v42, off, s[20:23], 0 offset:136 ; 4-byte Folded Spill
	buffer_store_dword v43, off, s[20:23], 0 offset:140 ; 4-byte Folded Spill
	buffer_store_dword v44, off, s[20:23], 0 offset:144 ; 4-byte Folded Spill
	ds_read2_b64 v[99:102], v0 offset0:56 offset1:57
	buffer_load_dword v41, off, s[20:23], 0 offset:116 ; 4-byte Folded Reload
	buffer_load_dword v42, off, s[20:23], 0 offset:120 ; 4-byte Folded Reload
	buffer_load_dword v43, off, s[20:23], 0 offset:124 ; 4-byte Folded Reload
	buffer_load_dword v44, off, s[20:23], 0 offset:128 ; 4-byte Folded Reload
	s_waitcnt lgkmcnt(0)
	v_mul_f64 v[103:104], v[101:102], v[19:20]
	v_fma_f64 v[103:104], v[99:100], v[97:98], -v[103:104]
	v_mul_f64 v[99:100], v[99:100], v[19:20]
	v_fma_f64 v[99:100], v[101:102], v[97:98], v[99:100]
	s_waitcnt vmcnt(2)
	v_add_f64 v[41:42], v[41:42], -v[103:104]
	s_waitcnt vmcnt(0)
	v_add_f64 v[43:44], v[43:44], -v[99:100]
	buffer_store_dword v41, off, s[20:23], 0 offset:116 ; 4-byte Folded Spill
	s_nop 0
	buffer_store_dword v42, off, s[20:23], 0 offset:120 ; 4-byte Folded Spill
	buffer_store_dword v43, off, s[20:23], 0 offset:124 ; 4-byte Folded Spill
	buffer_store_dword v44, off, s[20:23], 0 offset:128 ; 4-byte Folded Spill
	;; [unrolled: 19-line block ×11, first 2 shown]
	ds_read2_b64 v[99:102], v0 offset0:76 offset1:77
	s_waitcnt lgkmcnt(0)
	v_mul_f64 v[103:104], v[101:102], v[19:20]
	v_fma_f64 v[103:104], v[99:100], v[97:98], -v[103:104]
	v_mul_f64 v[99:100], v[99:100], v[19:20]
	v_add_f64 v[1:2], v[1:2], -v[103:104]
	v_fma_f64 v[99:100], v[101:102], v[97:98], v[99:100]
	v_add_f64 v[3:4], v[3:4], -v[99:100]
	ds_read2_b64 v[99:102], v0 offset0:78 offset1:79
	s_waitcnt lgkmcnt(0)
	v_mul_f64 v[103:104], v[101:102], v[19:20]
	v_fma_f64 v[103:104], v[99:100], v[97:98], -v[103:104]
	v_mul_f64 v[99:100], v[99:100], v[19:20]
	v_add_f64 v[45:46], v[45:46], -v[103:104]
	v_fma_f64 v[99:100], v[101:102], v[97:98], v[99:100]
	v_add_f64 v[47:48], v[47:48], -v[99:100]
.LBB79_100:
	s_or_b64 exec, exec, s[2:3]
	s_waitcnt vmcnt(0)
	s_barrier
	buffer_load_dword v41, off, s[20:23], 0 ; 4-byte Folded Reload
	s_waitcnt vmcnt(0)
	v_cmp_eq_u32_e32 vcc, 11, v41
	s_and_saveexec_b64 s[4:5], vcc
	s_cbranch_execz .LBB79_107
; %bb.101:
	ds_write2_b64 v127, v[85:86], v[87:88] offset1:1
	ds_write2_b64 v0, v[21:22], v[23:24] offset0:24 offset1:25
	buffer_load_dword v81, off, s[20:23], 0 offset:180 ; 4-byte Folded Reload
	buffer_load_dword v82, off, s[20:23], 0 offset:184 ; 4-byte Folded Reload
	;; [unrolled: 1-line block ×4, first 2 shown]
	s_waitcnt vmcnt(0)
	ds_write2_b64 v0, v[81:82], v[83:84] offset0:26 offset1:27
	ds_write2_b64 v0, v[121:122], v[123:124] offset0:28 offset1:29
	;; [unrolled: 1-line block ×14, first 2 shown]
	buffer_load_dword v41, off, s[20:23], 0 offset:132 ; 4-byte Folded Reload
	buffer_load_dword v42, off, s[20:23], 0 offset:136 ; 4-byte Folded Reload
	buffer_load_dword v43, off, s[20:23], 0 offset:140 ; 4-byte Folded Reload
	buffer_load_dword v44, off, s[20:23], 0 offset:144 ; 4-byte Folded Reload
	s_waitcnt vmcnt(0)
	ds_write2_b64 v0, v[41:42], v[43:44] offset0:54 offset1:55
	buffer_load_dword v41, off, s[20:23], 0 offset:116 ; 4-byte Folded Reload
	buffer_load_dword v42, off, s[20:23], 0 offset:120 ; 4-byte Folded Reload
	buffer_load_dword v43, off, s[20:23], 0 offset:124 ; 4-byte Folded Reload
	buffer_load_dword v44, off, s[20:23], 0 offset:128 ; 4-byte Folded Reload
	s_waitcnt vmcnt(0)
	ds_write2_b64 v0, v[41:42], v[43:44] offset0:56 offset1:57
	;; [unrolled: 6-line block ×11, first 2 shown]
	ds_write2_b64 v0, v[1:2], v[3:4] offset0:76 offset1:77
	ds_write2_b64 v0, v[45:46], v[47:48] offset0:78 offset1:79
	ds_read2_b64 v[97:100], v127 offset1:1
	s_waitcnt lgkmcnt(0)
	v_cmp_neq_f64_e32 vcc, 0, v[97:98]
	v_cmp_neq_f64_e64 s[2:3], 0, v[99:100]
	s_or_b64 s[2:3], vcc, s[2:3]
	s_and_b64 exec, exec, s[2:3]
	s_cbranch_execz .LBB79_107
; %bb.102:
	v_cmp_ngt_f64_e64 s[2:3], |v[97:98]|, |v[99:100]|
                                        ; implicit-def: $vgpr101_vgpr102
	s_and_saveexec_b64 s[6:7], s[2:3]
	s_xor_b64 s[2:3], exec, s[6:7]
                                        ; implicit-def: $vgpr103_vgpr104
	s_cbranch_execz .LBB79_104
; %bb.103:
	v_div_scale_f64 v[101:102], s[6:7], v[99:100], v[99:100], v[97:98]
	v_rcp_f64_e32 v[103:104], v[101:102]
	v_fma_f64 v[105:106], -v[101:102], v[103:104], 1.0
	v_fma_f64 v[103:104], v[103:104], v[105:106], v[103:104]
	v_div_scale_f64 v[105:106], vcc, v[97:98], v[99:100], v[97:98]
	v_fma_f64 v[107:108], -v[101:102], v[103:104], 1.0
	v_fma_f64 v[103:104], v[103:104], v[107:108], v[103:104]
	v_mul_f64 v[107:108], v[105:106], v[103:104]
	v_fma_f64 v[101:102], -v[101:102], v[107:108], v[105:106]
	v_div_fmas_f64 v[101:102], v[101:102], v[103:104], v[107:108]
	v_div_fixup_f64 v[101:102], v[101:102], v[99:100], v[97:98]
	v_fma_f64 v[97:98], v[97:98], v[101:102], v[99:100]
	v_div_scale_f64 v[99:100], s[6:7], v[97:98], v[97:98], 1.0
	v_div_scale_f64 v[107:108], vcc, 1.0, v[97:98], 1.0
	v_rcp_f64_e32 v[103:104], v[99:100]
	v_fma_f64 v[105:106], -v[99:100], v[103:104], 1.0
	v_fma_f64 v[103:104], v[103:104], v[105:106], v[103:104]
	v_fma_f64 v[105:106], -v[99:100], v[103:104], 1.0
	v_fma_f64 v[103:104], v[103:104], v[105:106], v[103:104]
	v_mul_f64 v[105:106], v[107:108], v[103:104]
	v_fma_f64 v[99:100], -v[99:100], v[105:106], v[107:108]
	v_div_fmas_f64 v[99:100], v[99:100], v[103:104], v[105:106]
	v_div_fixup_f64 v[103:104], v[99:100], v[97:98], 1.0
                                        ; implicit-def: $vgpr97_vgpr98
	v_mul_f64 v[101:102], v[101:102], v[103:104]
	v_xor_b32_e32 v104, 0x80000000, v104
.LBB79_104:
	s_andn2_saveexec_b64 s[2:3], s[2:3]
	s_cbranch_execz .LBB79_106
; %bb.105:
	v_div_scale_f64 v[101:102], s[6:7], v[97:98], v[97:98], v[99:100]
	v_rcp_f64_e32 v[103:104], v[101:102]
	v_fma_f64 v[105:106], -v[101:102], v[103:104], 1.0
	v_fma_f64 v[103:104], v[103:104], v[105:106], v[103:104]
	v_div_scale_f64 v[105:106], vcc, v[99:100], v[97:98], v[99:100]
	v_fma_f64 v[107:108], -v[101:102], v[103:104], 1.0
	v_fma_f64 v[103:104], v[103:104], v[107:108], v[103:104]
	v_mul_f64 v[107:108], v[105:106], v[103:104]
	v_fma_f64 v[101:102], -v[101:102], v[107:108], v[105:106]
	v_div_fmas_f64 v[101:102], v[101:102], v[103:104], v[107:108]
	v_div_fixup_f64 v[103:104], v[101:102], v[97:98], v[99:100]
	v_fma_f64 v[97:98], v[99:100], v[103:104], v[97:98]
	v_div_scale_f64 v[99:100], s[6:7], v[97:98], v[97:98], 1.0
	v_div_scale_f64 v[107:108], vcc, 1.0, v[97:98], 1.0
	v_rcp_f64_e32 v[101:102], v[99:100]
	v_fma_f64 v[105:106], -v[99:100], v[101:102], 1.0
	v_fma_f64 v[101:102], v[101:102], v[105:106], v[101:102]
	v_fma_f64 v[105:106], -v[99:100], v[101:102], 1.0
	v_fma_f64 v[101:102], v[101:102], v[105:106], v[101:102]
	v_mul_f64 v[105:106], v[107:108], v[101:102]
	v_fma_f64 v[99:100], -v[99:100], v[105:106], v[107:108]
	v_div_fmas_f64 v[99:100], v[99:100], v[101:102], v[105:106]
	v_div_fixup_f64 v[101:102], v[99:100], v[97:98], 1.0
	v_mul_f64 v[103:104], v[103:104], -v[101:102]
.LBB79_106:
	s_or_b64 exec, exec, s[2:3]
	ds_write2_b64 v127, v[101:102], v[103:104] offset1:1
.LBB79_107:
	s_or_b64 exec, exec, s[4:5]
	s_waitcnt lgkmcnt(0)
	s_barrier
	ds_read2_b64 v[41:44], v127 offset1:1
	s_waitcnt lgkmcnt(0)
	buffer_store_dword v41, off, s[20:23], 0 offset:788 ; 4-byte Folded Spill
	s_nop 0
	buffer_store_dword v42, off, s[20:23], 0 offset:792 ; 4-byte Folded Spill
	buffer_store_dword v43, off, s[20:23], 0 offset:796 ; 4-byte Folded Spill
	;; [unrolled: 1-line block ×3, first 2 shown]
	buffer_load_dword v41, off, s[20:23], 0 ; 4-byte Folded Reload
	s_waitcnt vmcnt(0)
	v_cmp_lt_u32_e32 vcc, 11, v41
	s_and_saveexec_b64 s[2:3], vcc
	s_cbranch_execz .LBB79_109
; %bb.108:
	buffer_load_dword v41, off, s[20:23], 0 offset:788 ; 4-byte Folded Reload
	buffer_load_dword v42, off, s[20:23], 0 offset:792 ; 4-byte Folded Reload
	;; [unrolled: 1-line block ×4, first 2 shown]
	s_waitcnt vmcnt(2)
	v_mul_f64 v[99:100], v[41:42], v[87:88]
	s_waitcnt vmcnt(0)
	v_mul_f64 v[97:98], v[43:44], v[87:88]
	v_fma_f64 v[87:88], v[43:44], v[85:86], v[99:100]
	ds_read2_b64 v[99:102], v0 offset0:24 offset1:25
	v_fma_f64 v[97:98], v[41:42], v[85:86], -v[97:98]
	s_waitcnt lgkmcnt(0)
	v_mul_f64 v[103:104], v[101:102], v[87:88]
	v_mov_b32_e32 v85, v97
	v_mov_b32_e32 v86, v98
	v_fma_f64 v[103:104], v[99:100], v[97:98], -v[103:104]
	v_mul_f64 v[99:100], v[99:100], v[87:88]
	v_add_f64 v[21:22], v[21:22], -v[103:104]
	v_fma_f64 v[99:100], v[101:102], v[97:98], v[99:100]
	v_add_f64 v[23:24], v[23:24], -v[99:100]
	ds_read2_b64 v[99:102], v0 offset0:26 offset1:27
	buffer_load_dword v81, off, s[20:23], 0 offset:180 ; 4-byte Folded Reload
	buffer_load_dword v82, off, s[20:23], 0 offset:184 ; 4-byte Folded Reload
	;; [unrolled: 1-line block ×4, first 2 shown]
	s_waitcnt lgkmcnt(0)
	v_mul_f64 v[103:104], v[101:102], v[87:88]
	v_fma_f64 v[103:104], v[99:100], v[97:98], -v[103:104]
	v_mul_f64 v[99:100], v[99:100], v[87:88]
	v_fma_f64 v[99:100], v[101:102], v[97:98], v[99:100]
	s_waitcnt vmcnt(2)
	v_add_f64 v[81:82], v[81:82], -v[103:104]
	s_waitcnt vmcnt(0)
	v_add_f64 v[83:84], v[83:84], -v[99:100]
	buffer_store_dword v81, off, s[20:23], 0 offset:180 ; 4-byte Folded Spill
	s_nop 0
	buffer_store_dword v82, off, s[20:23], 0 offset:184 ; 4-byte Folded Spill
	buffer_store_dword v83, off, s[20:23], 0 offset:188 ; 4-byte Folded Spill
	;; [unrolled: 1-line block ×3, first 2 shown]
	ds_read2_b64 v[99:102], v0 offset0:28 offset1:29
	s_waitcnt lgkmcnt(0)
	v_mul_f64 v[103:104], v[101:102], v[87:88]
	v_fma_f64 v[103:104], v[99:100], v[97:98], -v[103:104]
	v_mul_f64 v[99:100], v[99:100], v[87:88]
	v_add_f64 v[121:122], v[121:122], -v[103:104]
	v_fma_f64 v[99:100], v[101:102], v[97:98], v[99:100]
	v_add_f64 v[123:124], v[123:124], -v[99:100]
	ds_read2_b64 v[99:102], v0 offset0:30 offset1:31
	s_waitcnt lgkmcnt(0)
	v_mul_f64 v[103:104], v[101:102], v[87:88]
	v_fma_f64 v[103:104], v[99:100], v[97:98], -v[103:104]
	v_mul_f64 v[99:100], v[99:100], v[87:88]
	v_add_f64 v[109:110], v[109:110], -v[103:104]
	v_fma_f64 v[99:100], v[101:102], v[97:98], v[99:100]
	v_add_f64 v[111:112], v[111:112], -v[99:100]
	;; [unrolled: 8-line block ×13, first 2 shown]
	ds_read2_b64 v[99:102], v0 offset0:54 offset1:55
	buffer_load_dword v41, off, s[20:23], 0 offset:132 ; 4-byte Folded Reload
	buffer_load_dword v42, off, s[20:23], 0 offset:136 ; 4-byte Folded Reload
	buffer_load_dword v43, off, s[20:23], 0 offset:140 ; 4-byte Folded Reload
	buffer_load_dword v44, off, s[20:23], 0 offset:144 ; 4-byte Folded Reload
	s_waitcnt lgkmcnt(0)
	v_mul_f64 v[103:104], v[101:102], v[87:88]
	v_fma_f64 v[103:104], v[99:100], v[97:98], -v[103:104]
	v_mul_f64 v[99:100], v[99:100], v[87:88]
	v_fma_f64 v[99:100], v[101:102], v[97:98], v[99:100]
	s_waitcnt vmcnt(2)
	v_add_f64 v[41:42], v[41:42], -v[103:104]
	s_waitcnt vmcnt(0)
	v_add_f64 v[43:44], v[43:44], -v[99:100]
	buffer_store_dword v41, off, s[20:23], 0 offset:132 ; 4-byte Folded Spill
	s_nop 0
	buffer_store_dword v42, off, s[20:23], 0 offset:136 ; 4-byte Folded Spill
	buffer_store_dword v43, off, s[20:23], 0 offset:140 ; 4-byte Folded Spill
	buffer_store_dword v44, off, s[20:23], 0 offset:144 ; 4-byte Folded Spill
	ds_read2_b64 v[99:102], v0 offset0:56 offset1:57
	buffer_load_dword v41, off, s[20:23], 0 offset:116 ; 4-byte Folded Reload
	buffer_load_dword v42, off, s[20:23], 0 offset:120 ; 4-byte Folded Reload
	buffer_load_dword v43, off, s[20:23], 0 offset:124 ; 4-byte Folded Reload
	buffer_load_dword v44, off, s[20:23], 0 offset:128 ; 4-byte Folded Reload
	s_waitcnt lgkmcnt(0)
	v_mul_f64 v[103:104], v[101:102], v[87:88]
	v_fma_f64 v[103:104], v[99:100], v[97:98], -v[103:104]
	v_mul_f64 v[99:100], v[99:100], v[87:88]
	v_fma_f64 v[99:100], v[101:102], v[97:98], v[99:100]
	s_waitcnt vmcnt(2)
	v_add_f64 v[41:42], v[41:42], -v[103:104]
	s_waitcnt vmcnt(0)
	v_add_f64 v[43:44], v[43:44], -v[99:100]
	buffer_store_dword v41, off, s[20:23], 0 offset:116 ; 4-byte Folded Spill
	s_nop 0
	buffer_store_dword v42, off, s[20:23], 0 offset:120 ; 4-byte Folded Spill
	buffer_store_dword v43, off, s[20:23], 0 offset:124 ; 4-byte Folded Spill
	buffer_store_dword v44, off, s[20:23], 0 offset:128 ; 4-byte Folded Spill
	;; [unrolled: 19-line block ×11, first 2 shown]
	ds_read2_b64 v[99:102], v0 offset0:76 offset1:77
	s_waitcnt lgkmcnt(0)
	v_mul_f64 v[103:104], v[101:102], v[87:88]
	v_fma_f64 v[103:104], v[99:100], v[97:98], -v[103:104]
	v_mul_f64 v[99:100], v[99:100], v[87:88]
	v_add_f64 v[1:2], v[1:2], -v[103:104]
	v_fma_f64 v[99:100], v[101:102], v[97:98], v[99:100]
	v_add_f64 v[3:4], v[3:4], -v[99:100]
	ds_read2_b64 v[99:102], v0 offset0:78 offset1:79
	s_waitcnt lgkmcnt(0)
	v_mul_f64 v[103:104], v[101:102], v[87:88]
	v_fma_f64 v[103:104], v[99:100], v[97:98], -v[103:104]
	v_mul_f64 v[99:100], v[99:100], v[87:88]
	v_add_f64 v[45:46], v[45:46], -v[103:104]
	v_fma_f64 v[99:100], v[101:102], v[97:98], v[99:100]
	v_add_f64 v[47:48], v[47:48], -v[99:100]
.LBB79_109:
	s_or_b64 exec, exec, s[2:3]
	s_waitcnt vmcnt(0)
	s_barrier
	buffer_load_dword v41, off, s[20:23], 0 ; 4-byte Folded Reload
	s_waitcnt vmcnt(0)
	v_cmp_eq_u32_e32 vcc, 12, v41
	s_and_saveexec_b64 s[4:5], vcc
	s_cbranch_execz .LBB79_116
; %bb.110:
	ds_write2_b64 v127, v[21:22], v[23:24] offset1:1
	buffer_load_dword v81, off, s[20:23], 0 offset:180 ; 4-byte Folded Reload
	buffer_load_dword v82, off, s[20:23], 0 offset:184 ; 4-byte Folded Reload
	;; [unrolled: 1-line block ×4, first 2 shown]
	s_waitcnt vmcnt(0)
	ds_write2_b64 v0, v[81:82], v[83:84] offset0:26 offset1:27
	ds_write2_b64 v0, v[121:122], v[123:124] offset0:28 offset1:29
	;; [unrolled: 1-line block ×14, first 2 shown]
	buffer_load_dword v41, off, s[20:23], 0 offset:132 ; 4-byte Folded Reload
	buffer_load_dword v42, off, s[20:23], 0 offset:136 ; 4-byte Folded Reload
	buffer_load_dword v43, off, s[20:23], 0 offset:140 ; 4-byte Folded Reload
	buffer_load_dword v44, off, s[20:23], 0 offset:144 ; 4-byte Folded Reload
	s_waitcnt vmcnt(0)
	ds_write2_b64 v0, v[41:42], v[43:44] offset0:54 offset1:55
	buffer_load_dword v41, off, s[20:23], 0 offset:116 ; 4-byte Folded Reload
	buffer_load_dword v42, off, s[20:23], 0 offset:120 ; 4-byte Folded Reload
	buffer_load_dword v43, off, s[20:23], 0 offset:124 ; 4-byte Folded Reload
	buffer_load_dword v44, off, s[20:23], 0 offset:128 ; 4-byte Folded Reload
	s_waitcnt vmcnt(0)
	ds_write2_b64 v0, v[41:42], v[43:44] offset0:56 offset1:57
	;; [unrolled: 6-line block ×11, first 2 shown]
	ds_write2_b64 v0, v[1:2], v[3:4] offset0:76 offset1:77
	ds_write2_b64 v0, v[45:46], v[47:48] offset0:78 offset1:79
	ds_read2_b64 v[97:100], v127 offset1:1
	s_waitcnt lgkmcnt(0)
	v_cmp_neq_f64_e32 vcc, 0, v[97:98]
	v_cmp_neq_f64_e64 s[2:3], 0, v[99:100]
	s_or_b64 s[2:3], vcc, s[2:3]
	s_and_b64 exec, exec, s[2:3]
	s_cbranch_execz .LBB79_116
; %bb.111:
	v_cmp_ngt_f64_e64 s[2:3], |v[97:98]|, |v[99:100]|
                                        ; implicit-def: $vgpr101_vgpr102
	s_and_saveexec_b64 s[6:7], s[2:3]
	s_xor_b64 s[2:3], exec, s[6:7]
                                        ; implicit-def: $vgpr103_vgpr104
	s_cbranch_execz .LBB79_113
; %bb.112:
	v_div_scale_f64 v[101:102], s[6:7], v[99:100], v[99:100], v[97:98]
	v_rcp_f64_e32 v[103:104], v[101:102]
	v_fma_f64 v[105:106], -v[101:102], v[103:104], 1.0
	v_fma_f64 v[103:104], v[103:104], v[105:106], v[103:104]
	v_div_scale_f64 v[105:106], vcc, v[97:98], v[99:100], v[97:98]
	v_fma_f64 v[107:108], -v[101:102], v[103:104], 1.0
	v_fma_f64 v[103:104], v[103:104], v[107:108], v[103:104]
	v_mul_f64 v[107:108], v[105:106], v[103:104]
	v_fma_f64 v[101:102], -v[101:102], v[107:108], v[105:106]
	v_div_fmas_f64 v[101:102], v[101:102], v[103:104], v[107:108]
	v_div_fixup_f64 v[101:102], v[101:102], v[99:100], v[97:98]
	v_fma_f64 v[97:98], v[97:98], v[101:102], v[99:100]
	v_div_scale_f64 v[99:100], s[6:7], v[97:98], v[97:98], 1.0
	v_div_scale_f64 v[107:108], vcc, 1.0, v[97:98], 1.0
	v_rcp_f64_e32 v[103:104], v[99:100]
	v_fma_f64 v[105:106], -v[99:100], v[103:104], 1.0
	v_fma_f64 v[103:104], v[103:104], v[105:106], v[103:104]
	v_fma_f64 v[105:106], -v[99:100], v[103:104], 1.0
	v_fma_f64 v[103:104], v[103:104], v[105:106], v[103:104]
	v_mul_f64 v[105:106], v[107:108], v[103:104]
	v_fma_f64 v[99:100], -v[99:100], v[105:106], v[107:108]
	v_div_fmas_f64 v[99:100], v[99:100], v[103:104], v[105:106]
	v_div_fixup_f64 v[103:104], v[99:100], v[97:98], 1.0
                                        ; implicit-def: $vgpr97_vgpr98
	v_mul_f64 v[101:102], v[101:102], v[103:104]
	v_xor_b32_e32 v104, 0x80000000, v104
.LBB79_113:
	s_andn2_saveexec_b64 s[2:3], s[2:3]
	s_cbranch_execz .LBB79_115
; %bb.114:
	v_div_scale_f64 v[101:102], s[6:7], v[97:98], v[97:98], v[99:100]
	v_rcp_f64_e32 v[103:104], v[101:102]
	v_fma_f64 v[105:106], -v[101:102], v[103:104], 1.0
	v_fma_f64 v[103:104], v[103:104], v[105:106], v[103:104]
	v_div_scale_f64 v[105:106], vcc, v[99:100], v[97:98], v[99:100]
	v_fma_f64 v[107:108], -v[101:102], v[103:104], 1.0
	v_fma_f64 v[103:104], v[103:104], v[107:108], v[103:104]
	v_mul_f64 v[107:108], v[105:106], v[103:104]
	v_fma_f64 v[101:102], -v[101:102], v[107:108], v[105:106]
	v_div_fmas_f64 v[101:102], v[101:102], v[103:104], v[107:108]
	v_div_fixup_f64 v[103:104], v[101:102], v[97:98], v[99:100]
	v_fma_f64 v[97:98], v[99:100], v[103:104], v[97:98]
	v_div_scale_f64 v[99:100], s[6:7], v[97:98], v[97:98], 1.0
	v_div_scale_f64 v[107:108], vcc, 1.0, v[97:98], 1.0
	v_rcp_f64_e32 v[101:102], v[99:100]
	v_fma_f64 v[105:106], -v[99:100], v[101:102], 1.0
	v_fma_f64 v[101:102], v[101:102], v[105:106], v[101:102]
	v_fma_f64 v[105:106], -v[99:100], v[101:102], 1.0
	v_fma_f64 v[101:102], v[101:102], v[105:106], v[101:102]
	v_mul_f64 v[105:106], v[107:108], v[101:102]
	v_fma_f64 v[99:100], -v[99:100], v[105:106], v[107:108]
	v_div_fmas_f64 v[99:100], v[99:100], v[101:102], v[105:106]
	v_div_fixup_f64 v[101:102], v[99:100], v[97:98], 1.0
	v_mul_f64 v[103:104], v[103:104], -v[101:102]
.LBB79_115:
	s_or_b64 exec, exec, s[2:3]
	ds_write2_b64 v127, v[101:102], v[103:104] offset1:1
.LBB79_116:
	s_or_b64 exec, exec, s[4:5]
	s_waitcnt lgkmcnt(0)
	s_barrier
	ds_read2_b64 v[41:44], v127 offset1:1
	s_waitcnt lgkmcnt(0)
	buffer_store_dword v41, off, s[20:23], 0 offset:804 ; 4-byte Folded Spill
	s_nop 0
	buffer_store_dword v42, off, s[20:23], 0 offset:808 ; 4-byte Folded Spill
	buffer_store_dword v43, off, s[20:23], 0 offset:812 ; 4-byte Folded Spill
	;; [unrolled: 1-line block ×3, first 2 shown]
	buffer_load_dword v41, off, s[20:23], 0 ; 4-byte Folded Reload
	s_waitcnt vmcnt(0)
	v_cmp_lt_u32_e32 vcc, 12, v41
	s_and_saveexec_b64 s[2:3], vcc
	s_cbranch_execz .LBB79_118
; %bb.117:
	buffer_load_dword v41, off, s[20:23], 0 offset:804 ; 4-byte Folded Reload
	buffer_load_dword v42, off, s[20:23], 0 offset:808 ; 4-byte Folded Reload
	;; [unrolled: 1-line block ×4, first 2 shown]
	s_waitcnt vmcnt(2)
	v_mul_f64 v[99:100], v[41:42], v[23:24]
	s_waitcnt vmcnt(0)
	v_mul_f64 v[97:98], v[43:44], v[23:24]
	v_fma_f64 v[23:24], v[43:44], v[21:22], v[99:100]
	ds_read2_b64 v[99:102], v0 offset0:26 offset1:27
	buffer_load_dword v81, off, s[20:23], 0 offset:180 ; 4-byte Folded Reload
	buffer_load_dword v82, off, s[20:23], 0 offset:184 ; 4-byte Folded Reload
	;; [unrolled: 1-line block ×4, first 2 shown]
	v_fma_f64 v[97:98], v[41:42], v[21:22], -v[97:98]
	s_waitcnt lgkmcnt(0)
	v_mul_f64 v[103:104], v[101:102], v[23:24]
	v_mov_b32_e32 v21, v97
	v_mov_b32_e32 v22, v98
	v_fma_f64 v[103:104], v[99:100], v[97:98], -v[103:104]
	v_mul_f64 v[99:100], v[99:100], v[23:24]
	v_fma_f64 v[99:100], v[101:102], v[97:98], v[99:100]
	s_waitcnt vmcnt(2)
	v_add_f64 v[81:82], v[81:82], -v[103:104]
	s_waitcnt vmcnt(0)
	v_add_f64 v[83:84], v[83:84], -v[99:100]
	buffer_store_dword v81, off, s[20:23], 0 offset:180 ; 4-byte Folded Spill
	s_nop 0
	buffer_store_dword v82, off, s[20:23], 0 offset:184 ; 4-byte Folded Spill
	buffer_store_dword v83, off, s[20:23], 0 offset:188 ; 4-byte Folded Spill
	buffer_store_dword v84, off, s[20:23], 0 offset:192 ; 4-byte Folded Spill
	ds_read2_b64 v[99:102], v0 offset0:28 offset1:29
	s_waitcnt lgkmcnt(0)
	v_mul_f64 v[103:104], v[101:102], v[23:24]
	v_fma_f64 v[103:104], v[99:100], v[97:98], -v[103:104]
	v_mul_f64 v[99:100], v[99:100], v[23:24]
	v_add_f64 v[121:122], v[121:122], -v[103:104]
	v_fma_f64 v[99:100], v[101:102], v[97:98], v[99:100]
	v_add_f64 v[123:124], v[123:124], -v[99:100]
	ds_read2_b64 v[99:102], v0 offset0:30 offset1:31
	s_waitcnt lgkmcnt(0)
	v_mul_f64 v[103:104], v[101:102], v[23:24]
	v_fma_f64 v[103:104], v[99:100], v[97:98], -v[103:104]
	v_mul_f64 v[99:100], v[99:100], v[23:24]
	v_add_f64 v[109:110], v[109:110], -v[103:104]
	v_fma_f64 v[99:100], v[101:102], v[97:98], v[99:100]
	v_add_f64 v[111:112], v[111:112], -v[99:100]
	;; [unrolled: 8-line block ×13, first 2 shown]
	ds_read2_b64 v[99:102], v0 offset0:54 offset1:55
	buffer_load_dword v41, off, s[20:23], 0 offset:132 ; 4-byte Folded Reload
	buffer_load_dword v42, off, s[20:23], 0 offset:136 ; 4-byte Folded Reload
	buffer_load_dword v43, off, s[20:23], 0 offset:140 ; 4-byte Folded Reload
	buffer_load_dword v44, off, s[20:23], 0 offset:144 ; 4-byte Folded Reload
	s_waitcnt lgkmcnt(0)
	v_mul_f64 v[103:104], v[101:102], v[23:24]
	v_fma_f64 v[103:104], v[99:100], v[97:98], -v[103:104]
	v_mul_f64 v[99:100], v[99:100], v[23:24]
	v_fma_f64 v[99:100], v[101:102], v[97:98], v[99:100]
	s_waitcnt vmcnt(2)
	v_add_f64 v[41:42], v[41:42], -v[103:104]
	s_waitcnt vmcnt(0)
	v_add_f64 v[43:44], v[43:44], -v[99:100]
	buffer_store_dword v41, off, s[20:23], 0 offset:132 ; 4-byte Folded Spill
	s_nop 0
	buffer_store_dword v42, off, s[20:23], 0 offset:136 ; 4-byte Folded Spill
	buffer_store_dword v43, off, s[20:23], 0 offset:140 ; 4-byte Folded Spill
	buffer_store_dword v44, off, s[20:23], 0 offset:144 ; 4-byte Folded Spill
	ds_read2_b64 v[99:102], v0 offset0:56 offset1:57
	buffer_load_dword v41, off, s[20:23], 0 offset:116 ; 4-byte Folded Reload
	buffer_load_dword v42, off, s[20:23], 0 offset:120 ; 4-byte Folded Reload
	buffer_load_dword v43, off, s[20:23], 0 offset:124 ; 4-byte Folded Reload
	buffer_load_dword v44, off, s[20:23], 0 offset:128 ; 4-byte Folded Reload
	s_waitcnt lgkmcnt(0)
	v_mul_f64 v[103:104], v[101:102], v[23:24]
	v_fma_f64 v[103:104], v[99:100], v[97:98], -v[103:104]
	v_mul_f64 v[99:100], v[99:100], v[23:24]
	v_fma_f64 v[99:100], v[101:102], v[97:98], v[99:100]
	s_waitcnt vmcnt(2)
	v_add_f64 v[41:42], v[41:42], -v[103:104]
	s_waitcnt vmcnt(0)
	v_add_f64 v[43:44], v[43:44], -v[99:100]
	buffer_store_dword v41, off, s[20:23], 0 offset:116 ; 4-byte Folded Spill
	s_nop 0
	buffer_store_dword v42, off, s[20:23], 0 offset:120 ; 4-byte Folded Spill
	buffer_store_dword v43, off, s[20:23], 0 offset:124 ; 4-byte Folded Spill
	buffer_store_dword v44, off, s[20:23], 0 offset:128 ; 4-byte Folded Spill
	;; [unrolled: 19-line block ×11, first 2 shown]
	ds_read2_b64 v[99:102], v0 offset0:76 offset1:77
	s_waitcnt lgkmcnt(0)
	v_mul_f64 v[103:104], v[101:102], v[23:24]
	v_fma_f64 v[103:104], v[99:100], v[97:98], -v[103:104]
	v_mul_f64 v[99:100], v[99:100], v[23:24]
	v_add_f64 v[1:2], v[1:2], -v[103:104]
	v_fma_f64 v[99:100], v[101:102], v[97:98], v[99:100]
	v_add_f64 v[3:4], v[3:4], -v[99:100]
	ds_read2_b64 v[99:102], v0 offset0:78 offset1:79
	s_waitcnt lgkmcnt(0)
	v_mul_f64 v[103:104], v[101:102], v[23:24]
	v_fma_f64 v[103:104], v[99:100], v[97:98], -v[103:104]
	v_mul_f64 v[99:100], v[99:100], v[23:24]
	v_add_f64 v[45:46], v[45:46], -v[103:104]
	v_fma_f64 v[99:100], v[101:102], v[97:98], v[99:100]
	v_add_f64 v[47:48], v[47:48], -v[99:100]
.LBB79_118:
	s_or_b64 exec, exec, s[2:3]
	s_waitcnt vmcnt(0)
	s_barrier
	buffer_load_dword v41, off, s[20:23], 0 ; 4-byte Folded Reload
	s_waitcnt vmcnt(0)
	v_cmp_eq_u32_e32 vcc, 13, v41
	s_and_saveexec_b64 s[4:5], vcc
	s_cbranch_execz .LBB79_125
; %bb.119:
	buffer_load_dword v81, off, s[20:23], 0 offset:180 ; 4-byte Folded Reload
	buffer_load_dword v82, off, s[20:23], 0 offset:184 ; 4-byte Folded Reload
	buffer_load_dword v83, off, s[20:23], 0 offset:188 ; 4-byte Folded Reload
	buffer_load_dword v84, off, s[20:23], 0 offset:192 ; 4-byte Folded Reload
	s_waitcnt vmcnt(0)
	ds_write2_b64 v127, v[81:82], v[83:84] offset1:1
	ds_write2_b64 v0, v[121:122], v[123:124] offset0:28 offset1:29
	ds_write2_b64 v0, v[109:110], v[111:112] offset0:30 offset1:31
	;; [unrolled: 1-line block ×13, first 2 shown]
	buffer_load_dword v41, off, s[20:23], 0 offset:132 ; 4-byte Folded Reload
	buffer_load_dword v42, off, s[20:23], 0 offset:136 ; 4-byte Folded Reload
	buffer_load_dword v43, off, s[20:23], 0 offset:140 ; 4-byte Folded Reload
	buffer_load_dword v44, off, s[20:23], 0 offset:144 ; 4-byte Folded Reload
	s_waitcnt vmcnt(0)
	ds_write2_b64 v0, v[41:42], v[43:44] offset0:54 offset1:55
	buffer_load_dword v41, off, s[20:23], 0 offset:116 ; 4-byte Folded Reload
	buffer_load_dword v42, off, s[20:23], 0 offset:120 ; 4-byte Folded Reload
	buffer_load_dword v43, off, s[20:23], 0 offset:124 ; 4-byte Folded Reload
	buffer_load_dword v44, off, s[20:23], 0 offset:128 ; 4-byte Folded Reload
	s_waitcnt vmcnt(0)
	ds_write2_b64 v0, v[41:42], v[43:44] offset0:56 offset1:57
	;; [unrolled: 6-line block ×11, first 2 shown]
	ds_write2_b64 v0, v[1:2], v[3:4] offset0:76 offset1:77
	ds_write2_b64 v0, v[45:46], v[47:48] offset0:78 offset1:79
	ds_read2_b64 v[97:100], v127 offset1:1
	s_waitcnt lgkmcnt(0)
	v_cmp_neq_f64_e32 vcc, 0, v[97:98]
	v_cmp_neq_f64_e64 s[2:3], 0, v[99:100]
	s_or_b64 s[2:3], vcc, s[2:3]
	s_and_b64 exec, exec, s[2:3]
	s_cbranch_execz .LBB79_125
; %bb.120:
	v_cmp_ngt_f64_e64 s[2:3], |v[97:98]|, |v[99:100]|
                                        ; implicit-def: $vgpr101_vgpr102
	s_and_saveexec_b64 s[6:7], s[2:3]
	s_xor_b64 s[2:3], exec, s[6:7]
                                        ; implicit-def: $vgpr103_vgpr104
	s_cbranch_execz .LBB79_122
; %bb.121:
	v_div_scale_f64 v[101:102], s[6:7], v[99:100], v[99:100], v[97:98]
	v_rcp_f64_e32 v[103:104], v[101:102]
	v_fma_f64 v[105:106], -v[101:102], v[103:104], 1.0
	v_fma_f64 v[103:104], v[103:104], v[105:106], v[103:104]
	v_div_scale_f64 v[105:106], vcc, v[97:98], v[99:100], v[97:98]
	v_fma_f64 v[107:108], -v[101:102], v[103:104], 1.0
	v_fma_f64 v[103:104], v[103:104], v[107:108], v[103:104]
	v_mul_f64 v[107:108], v[105:106], v[103:104]
	v_fma_f64 v[101:102], -v[101:102], v[107:108], v[105:106]
	v_div_fmas_f64 v[101:102], v[101:102], v[103:104], v[107:108]
	v_div_fixup_f64 v[101:102], v[101:102], v[99:100], v[97:98]
	v_fma_f64 v[97:98], v[97:98], v[101:102], v[99:100]
	v_div_scale_f64 v[99:100], s[6:7], v[97:98], v[97:98], 1.0
	v_div_scale_f64 v[107:108], vcc, 1.0, v[97:98], 1.0
	v_rcp_f64_e32 v[103:104], v[99:100]
	v_fma_f64 v[105:106], -v[99:100], v[103:104], 1.0
	v_fma_f64 v[103:104], v[103:104], v[105:106], v[103:104]
	v_fma_f64 v[105:106], -v[99:100], v[103:104], 1.0
	v_fma_f64 v[103:104], v[103:104], v[105:106], v[103:104]
	v_mul_f64 v[105:106], v[107:108], v[103:104]
	v_fma_f64 v[99:100], -v[99:100], v[105:106], v[107:108]
	v_div_fmas_f64 v[99:100], v[99:100], v[103:104], v[105:106]
	v_div_fixup_f64 v[103:104], v[99:100], v[97:98], 1.0
                                        ; implicit-def: $vgpr97_vgpr98
	v_mul_f64 v[101:102], v[101:102], v[103:104]
	v_xor_b32_e32 v104, 0x80000000, v104
.LBB79_122:
	s_andn2_saveexec_b64 s[2:3], s[2:3]
	s_cbranch_execz .LBB79_124
; %bb.123:
	v_div_scale_f64 v[101:102], s[6:7], v[97:98], v[97:98], v[99:100]
	v_rcp_f64_e32 v[103:104], v[101:102]
	v_fma_f64 v[105:106], -v[101:102], v[103:104], 1.0
	v_fma_f64 v[103:104], v[103:104], v[105:106], v[103:104]
	v_div_scale_f64 v[105:106], vcc, v[99:100], v[97:98], v[99:100]
	v_fma_f64 v[107:108], -v[101:102], v[103:104], 1.0
	v_fma_f64 v[103:104], v[103:104], v[107:108], v[103:104]
	v_mul_f64 v[107:108], v[105:106], v[103:104]
	v_fma_f64 v[101:102], -v[101:102], v[107:108], v[105:106]
	v_div_fmas_f64 v[101:102], v[101:102], v[103:104], v[107:108]
	v_div_fixup_f64 v[103:104], v[101:102], v[97:98], v[99:100]
	v_fma_f64 v[97:98], v[99:100], v[103:104], v[97:98]
	v_div_scale_f64 v[99:100], s[6:7], v[97:98], v[97:98], 1.0
	v_div_scale_f64 v[107:108], vcc, 1.0, v[97:98], 1.0
	v_rcp_f64_e32 v[101:102], v[99:100]
	v_fma_f64 v[105:106], -v[99:100], v[101:102], 1.0
	v_fma_f64 v[101:102], v[101:102], v[105:106], v[101:102]
	v_fma_f64 v[105:106], -v[99:100], v[101:102], 1.0
	v_fma_f64 v[101:102], v[101:102], v[105:106], v[101:102]
	v_mul_f64 v[105:106], v[107:108], v[101:102]
	v_fma_f64 v[99:100], -v[99:100], v[105:106], v[107:108]
	v_div_fmas_f64 v[99:100], v[99:100], v[101:102], v[105:106]
	v_div_fixup_f64 v[101:102], v[99:100], v[97:98], 1.0
	v_mul_f64 v[103:104], v[103:104], -v[101:102]
.LBB79_124:
	s_or_b64 exec, exec, s[2:3]
	ds_write2_b64 v127, v[101:102], v[103:104] offset1:1
.LBB79_125:
	s_or_b64 exec, exec, s[4:5]
	s_waitcnt lgkmcnt(0)
	s_barrier
	ds_read2_b64 v[41:44], v127 offset1:1
	s_waitcnt lgkmcnt(0)
	buffer_store_dword v41, off, s[20:23], 0 offset:820 ; 4-byte Folded Spill
	s_nop 0
	buffer_store_dword v42, off, s[20:23], 0 offset:824 ; 4-byte Folded Spill
	buffer_store_dword v43, off, s[20:23], 0 offset:828 ; 4-byte Folded Spill
	;; [unrolled: 1-line block ×3, first 2 shown]
	buffer_load_dword v41, off, s[20:23], 0 ; 4-byte Folded Reload
	s_waitcnt vmcnt(0)
	v_cmp_lt_u32_e32 vcc, 13, v41
	s_and_saveexec_b64 s[2:3], vcc
	s_cbranch_execz .LBB79_127
; %bb.126:
	buffer_load_dword v81, off, s[20:23], 0 offset:180 ; 4-byte Folded Reload
	buffer_load_dword v82, off, s[20:23], 0 offset:184 ; 4-byte Folded Reload
	buffer_load_dword v83, off, s[20:23], 0 offset:188 ; 4-byte Folded Reload
	buffer_load_dword v84, off, s[20:23], 0 offset:192 ; 4-byte Folded Reload
	buffer_load_dword v41, off, s[20:23], 0 offset:820 ; 4-byte Folded Reload
	buffer_load_dword v42, off, s[20:23], 0 offset:824 ; 4-byte Folded Reload
	buffer_load_dword v43, off, s[20:23], 0 offset:828 ; 4-byte Folded Reload
	buffer_load_dword v44, off, s[20:23], 0 offset:832 ; 4-byte Folded Reload
	s_waitcnt vmcnt(2)
	v_mul_f64 v[99:100], v[41:42], v[83:84]
	s_waitcnt vmcnt(0)
	v_mul_f64 v[97:98], v[43:44], v[83:84]
	v_fma_f64 v[83:84], v[43:44], v[81:82], v[99:100]
	ds_read2_b64 v[99:102], v0 offset0:28 offset1:29
	v_fma_f64 v[97:98], v[41:42], v[81:82], -v[97:98]
	s_waitcnt lgkmcnt(0)
	v_mul_f64 v[103:104], v[101:102], v[83:84]
	v_mov_b32_e32 v81, v97
	v_mov_b32_e32 v82, v98
	v_fma_f64 v[103:104], v[99:100], v[97:98], -v[103:104]
	v_mul_f64 v[99:100], v[99:100], v[83:84]
	v_add_f64 v[121:122], v[121:122], -v[103:104]
	v_fma_f64 v[99:100], v[101:102], v[97:98], v[99:100]
	v_add_f64 v[123:124], v[123:124], -v[99:100]
	ds_read2_b64 v[99:102], v0 offset0:30 offset1:31
	s_waitcnt lgkmcnt(0)
	v_mul_f64 v[103:104], v[101:102], v[83:84]
	v_fma_f64 v[103:104], v[99:100], v[97:98], -v[103:104]
	v_mul_f64 v[99:100], v[99:100], v[83:84]
	v_add_f64 v[109:110], v[109:110], -v[103:104]
	v_fma_f64 v[99:100], v[101:102], v[97:98], v[99:100]
	v_add_f64 v[111:112], v[111:112], -v[99:100]
	ds_read2_b64 v[99:102], v0 offset0:32 offset1:33
	s_waitcnt lgkmcnt(0)
	v_mul_f64 v[103:104], v[101:102], v[83:84]
	;; [unrolled: 8-line block ×12, first 2 shown]
	v_fma_f64 v[103:104], v[99:100], v[97:98], -v[103:104]
	v_mul_f64 v[99:100], v[99:100], v[83:84]
	v_add_f64 v[49:50], v[49:50], -v[103:104]
	v_fma_f64 v[99:100], v[101:102], v[97:98], v[99:100]
	v_add_f64 v[51:52], v[51:52], -v[99:100]
	ds_read2_b64 v[99:102], v0 offset0:54 offset1:55
	buffer_load_dword v41, off, s[20:23], 0 offset:132 ; 4-byte Folded Reload
	buffer_load_dword v42, off, s[20:23], 0 offset:136 ; 4-byte Folded Reload
	buffer_load_dword v43, off, s[20:23], 0 offset:140 ; 4-byte Folded Reload
	buffer_load_dword v44, off, s[20:23], 0 offset:144 ; 4-byte Folded Reload
	s_waitcnt lgkmcnt(0)
	v_mul_f64 v[103:104], v[101:102], v[83:84]
	v_fma_f64 v[103:104], v[99:100], v[97:98], -v[103:104]
	v_mul_f64 v[99:100], v[99:100], v[83:84]
	v_fma_f64 v[99:100], v[101:102], v[97:98], v[99:100]
	s_waitcnt vmcnt(2)
	v_add_f64 v[41:42], v[41:42], -v[103:104]
	s_waitcnt vmcnt(0)
	v_add_f64 v[43:44], v[43:44], -v[99:100]
	buffer_store_dword v41, off, s[20:23], 0 offset:132 ; 4-byte Folded Spill
	s_nop 0
	buffer_store_dword v42, off, s[20:23], 0 offset:136 ; 4-byte Folded Spill
	buffer_store_dword v43, off, s[20:23], 0 offset:140 ; 4-byte Folded Spill
	buffer_store_dword v44, off, s[20:23], 0 offset:144 ; 4-byte Folded Spill
	ds_read2_b64 v[99:102], v0 offset0:56 offset1:57
	buffer_load_dword v41, off, s[20:23], 0 offset:116 ; 4-byte Folded Reload
	buffer_load_dword v42, off, s[20:23], 0 offset:120 ; 4-byte Folded Reload
	buffer_load_dword v43, off, s[20:23], 0 offset:124 ; 4-byte Folded Reload
	buffer_load_dword v44, off, s[20:23], 0 offset:128 ; 4-byte Folded Reload
	s_waitcnt lgkmcnt(0)
	v_mul_f64 v[103:104], v[101:102], v[83:84]
	v_fma_f64 v[103:104], v[99:100], v[97:98], -v[103:104]
	v_mul_f64 v[99:100], v[99:100], v[83:84]
	v_fma_f64 v[99:100], v[101:102], v[97:98], v[99:100]
	s_waitcnt vmcnt(2)
	v_add_f64 v[41:42], v[41:42], -v[103:104]
	s_waitcnt vmcnt(0)
	v_add_f64 v[43:44], v[43:44], -v[99:100]
	buffer_store_dword v41, off, s[20:23], 0 offset:116 ; 4-byte Folded Spill
	s_nop 0
	buffer_store_dword v42, off, s[20:23], 0 offset:120 ; 4-byte Folded Spill
	buffer_store_dword v43, off, s[20:23], 0 offset:124 ; 4-byte Folded Spill
	buffer_store_dword v44, off, s[20:23], 0 offset:128 ; 4-byte Folded Spill
	;; [unrolled: 19-line block ×11, first 2 shown]
	ds_read2_b64 v[99:102], v0 offset0:76 offset1:77
	s_waitcnt lgkmcnt(0)
	v_mul_f64 v[103:104], v[101:102], v[83:84]
	v_fma_f64 v[103:104], v[99:100], v[97:98], -v[103:104]
	v_mul_f64 v[99:100], v[99:100], v[83:84]
	v_add_f64 v[1:2], v[1:2], -v[103:104]
	v_fma_f64 v[99:100], v[101:102], v[97:98], v[99:100]
	v_add_f64 v[3:4], v[3:4], -v[99:100]
	ds_read2_b64 v[99:102], v0 offset0:78 offset1:79
	s_waitcnt lgkmcnt(0)
	v_mul_f64 v[103:104], v[101:102], v[83:84]
	v_fma_f64 v[103:104], v[99:100], v[97:98], -v[103:104]
	v_mul_f64 v[99:100], v[99:100], v[83:84]
	buffer_store_dword v81, off, s[20:23], 0 offset:180 ; 4-byte Folded Spill
	s_nop 0
	buffer_store_dword v82, off, s[20:23], 0 offset:184 ; 4-byte Folded Spill
	buffer_store_dword v83, off, s[20:23], 0 offset:188 ; 4-byte Folded Spill
	;; [unrolled: 1-line block ×3, first 2 shown]
	v_add_f64 v[45:46], v[45:46], -v[103:104]
	v_fma_f64 v[99:100], v[101:102], v[97:98], v[99:100]
	v_add_f64 v[47:48], v[47:48], -v[99:100]
.LBB79_127:
	s_or_b64 exec, exec, s[2:3]
	s_waitcnt vmcnt(0)
	s_barrier
	buffer_load_dword v41, off, s[20:23], 0 ; 4-byte Folded Reload
	s_waitcnt vmcnt(0)
	v_cmp_eq_u32_e32 vcc, 14, v41
	s_mov_b64 s[4:5], exec
	buffer_load_dword v81, off, s[20:23], 0 offset:164 ; 4-byte Folded Reload
	buffer_load_dword v82, off, s[20:23], 0 offset:168 ; 4-byte Folded Reload
	;; [unrolled: 1-line block ×4, first 2 shown]
	s_and_b64 s[2:3], s[4:5], vcc
	s_mov_b64 exec, s[2:3]
	s_cbranch_execz .LBB79_134
; %bb.128:
	ds_write2_b64 v127, v[121:122], v[123:124] offset1:1
	ds_write2_b64 v0, v[109:110], v[111:112] offset0:30 offset1:31
	ds_write2_b64 v0, v[117:118], v[119:120] offset0:32 offset1:33
	;; [unrolled: 1-line block ×12, first 2 shown]
	buffer_load_dword v41, off, s[20:23], 0 offset:132 ; 4-byte Folded Reload
	buffer_load_dword v42, off, s[20:23], 0 offset:136 ; 4-byte Folded Reload
	buffer_load_dword v43, off, s[20:23], 0 offset:140 ; 4-byte Folded Reload
	buffer_load_dword v44, off, s[20:23], 0 offset:144 ; 4-byte Folded Reload
	s_waitcnt vmcnt(0)
	ds_write2_b64 v0, v[41:42], v[43:44] offset0:54 offset1:55
	buffer_load_dword v41, off, s[20:23], 0 offset:116 ; 4-byte Folded Reload
	buffer_load_dword v42, off, s[20:23], 0 offset:120 ; 4-byte Folded Reload
	buffer_load_dword v43, off, s[20:23], 0 offset:124 ; 4-byte Folded Reload
	buffer_load_dword v44, off, s[20:23], 0 offset:128 ; 4-byte Folded Reload
	s_waitcnt vmcnt(0)
	ds_write2_b64 v0, v[41:42], v[43:44] offset0:56 offset1:57
	;; [unrolled: 6-line block ×9, first 2 shown]
	ds_write2_b64 v0, v[81:82], v[83:84] offset0:72 offset1:73
	buffer_load_dword v41, off, s[20:23], 0 offset:148 ; 4-byte Folded Reload
	buffer_load_dword v42, off, s[20:23], 0 offset:152 ; 4-byte Folded Reload
	;; [unrolled: 1-line block ×4, first 2 shown]
	s_waitcnt vmcnt(0)
	ds_write2_b64 v0, v[41:42], v[43:44] offset0:74 offset1:75
	ds_write2_b64 v0, v[1:2], v[3:4] offset0:76 offset1:77
	;; [unrolled: 1-line block ×3, first 2 shown]
	ds_read2_b64 v[97:100], v127 offset1:1
	s_waitcnt lgkmcnt(0)
	v_cmp_neq_f64_e32 vcc, 0, v[97:98]
	v_cmp_neq_f64_e64 s[2:3], 0, v[99:100]
	s_or_b64 s[2:3], vcc, s[2:3]
	s_and_b64 exec, exec, s[2:3]
	s_cbranch_execz .LBB79_134
; %bb.129:
	v_cmp_ngt_f64_e64 s[2:3], |v[97:98]|, |v[99:100]|
                                        ; implicit-def: $vgpr101_vgpr102
	s_and_saveexec_b64 s[6:7], s[2:3]
	s_xor_b64 s[2:3], exec, s[6:7]
                                        ; implicit-def: $vgpr103_vgpr104
	s_cbranch_execz .LBB79_131
; %bb.130:
	v_div_scale_f64 v[101:102], s[6:7], v[99:100], v[99:100], v[97:98]
	v_rcp_f64_e32 v[103:104], v[101:102]
	v_fma_f64 v[105:106], -v[101:102], v[103:104], 1.0
	v_fma_f64 v[103:104], v[103:104], v[105:106], v[103:104]
	v_div_scale_f64 v[105:106], vcc, v[97:98], v[99:100], v[97:98]
	v_fma_f64 v[107:108], -v[101:102], v[103:104], 1.0
	v_fma_f64 v[103:104], v[103:104], v[107:108], v[103:104]
	v_mul_f64 v[107:108], v[105:106], v[103:104]
	v_fma_f64 v[101:102], -v[101:102], v[107:108], v[105:106]
	v_div_fmas_f64 v[101:102], v[101:102], v[103:104], v[107:108]
	v_div_fixup_f64 v[101:102], v[101:102], v[99:100], v[97:98]
	v_fma_f64 v[97:98], v[97:98], v[101:102], v[99:100]
	v_div_scale_f64 v[99:100], s[6:7], v[97:98], v[97:98], 1.0
	v_div_scale_f64 v[107:108], vcc, 1.0, v[97:98], 1.0
	v_rcp_f64_e32 v[103:104], v[99:100]
	v_fma_f64 v[105:106], -v[99:100], v[103:104], 1.0
	v_fma_f64 v[103:104], v[103:104], v[105:106], v[103:104]
	v_fma_f64 v[105:106], -v[99:100], v[103:104], 1.0
	v_fma_f64 v[103:104], v[103:104], v[105:106], v[103:104]
	v_mul_f64 v[105:106], v[107:108], v[103:104]
	v_fma_f64 v[99:100], -v[99:100], v[105:106], v[107:108]
	v_div_fmas_f64 v[99:100], v[99:100], v[103:104], v[105:106]
	v_div_fixup_f64 v[103:104], v[99:100], v[97:98], 1.0
                                        ; implicit-def: $vgpr97_vgpr98
	v_mul_f64 v[101:102], v[101:102], v[103:104]
	v_xor_b32_e32 v104, 0x80000000, v104
.LBB79_131:
	s_andn2_saveexec_b64 s[2:3], s[2:3]
	s_cbranch_execz .LBB79_133
; %bb.132:
	v_div_scale_f64 v[101:102], s[6:7], v[97:98], v[97:98], v[99:100]
	v_rcp_f64_e32 v[103:104], v[101:102]
	v_fma_f64 v[105:106], -v[101:102], v[103:104], 1.0
	v_fma_f64 v[103:104], v[103:104], v[105:106], v[103:104]
	v_div_scale_f64 v[105:106], vcc, v[99:100], v[97:98], v[99:100]
	v_fma_f64 v[107:108], -v[101:102], v[103:104], 1.0
	v_fma_f64 v[103:104], v[103:104], v[107:108], v[103:104]
	v_mul_f64 v[107:108], v[105:106], v[103:104]
	v_fma_f64 v[101:102], -v[101:102], v[107:108], v[105:106]
	v_div_fmas_f64 v[101:102], v[101:102], v[103:104], v[107:108]
	v_div_fixup_f64 v[103:104], v[101:102], v[97:98], v[99:100]
	v_fma_f64 v[97:98], v[99:100], v[103:104], v[97:98]
	v_div_scale_f64 v[99:100], s[6:7], v[97:98], v[97:98], 1.0
	v_div_scale_f64 v[107:108], vcc, 1.0, v[97:98], 1.0
	v_rcp_f64_e32 v[101:102], v[99:100]
	v_fma_f64 v[105:106], -v[99:100], v[101:102], 1.0
	v_fma_f64 v[101:102], v[101:102], v[105:106], v[101:102]
	v_fma_f64 v[105:106], -v[99:100], v[101:102], 1.0
	v_fma_f64 v[101:102], v[101:102], v[105:106], v[101:102]
	v_mul_f64 v[105:106], v[107:108], v[101:102]
	v_fma_f64 v[99:100], -v[99:100], v[105:106], v[107:108]
	v_div_fmas_f64 v[99:100], v[99:100], v[101:102], v[105:106]
	v_div_fixup_f64 v[101:102], v[99:100], v[97:98], 1.0
	v_mul_f64 v[103:104], v[103:104], -v[101:102]
.LBB79_133:
	s_or_b64 exec, exec, s[2:3]
	ds_write2_b64 v127, v[101:102], v[103:104] offset1:1
.LBB79_134:
	s_or_b64 exec, exec, s[4:5]
	s_waitcnt vmcnt(0) lgkmcnt(0)
	s_barrier
	ds_read2_b64 v[41:44], v127 offset1:1
	s_waitcnt lgkmcnt(0)
	buffer_store_dword v41, off, s[20:23], 0 offset:836 ; 4-byte Folded Spill
	s_nop 0
	buffer_store_dword v42, off, s[20:23], 0 offset:840 ; 4-byte Folded Spill
	buffer_store_dword v43, off, s[20:23], 0 offset:844 ; 4-byte Folded Spill
	;; [unrolled: 1-line block ×3, first 2 shown]
	buffer_load_dword v41, off, s[20:23], 0 ; 4-byte Folded Reload
	s_waitcnt vmcnt(0)
	v_cmp_lt_u32_e32 vcc, 14, v41
	s_and_saveexec_b64 s[2:3], vcc
	s_cbranch_execz .LBB79_136
; %bb.135:
	buffer_load_dword v41, off, s[20:23], 0 offset:836 ; 4-byte Folded Reload
	buffer_load_dword v42, off, s[20:23], 0 offset:840 ; 4-byte Folded Reload
	buffer_load_dword v43, off, s[20:23], 0 offset:844 ; 4-byte Folded Reload
	buffer_load_dword v44, off, s[20:23], 0 offset:848 ; 4-byte Folded Reload
	s_waitcnt vmcnt(2)
	v_mul_f64 v[99:100], v[41:42], v[123:124]
	s_waitcnt vmcnt(0)
	v_mul_f64 v[97:98], v[43:44], v[123:124]
	v_fma_f64 v[123:124], v[43:44], v[121:122], v[99:100]
	ds_read2_b64 v[99:102], v0 offset0:30 offset1:31
	v_fma_f64 v[97:98], v[41:42], v[121:122], -v[97:98]
	s_waitcnt lgkmcnt(0)
	v_mul_f64 v[103:104], v[101:102], v[123:124]
	v_mov_b32_e32 v122, v98
	v_mov_b32_e32 v121, v97
	v_fma_f64 v[103:104], v[99:100], v[97:98], -v[103:104]
	v_mul_f64 v[99:100], v[99:100], v[123:124]
	v_add_f64 v[109:110], v[109:110], -v[103:104]
	v_fma_f64 v[99:100], v[101:102], v[97:98], v[99:100]
	v_add_f64 v[111:112], v[111:112], -v[99:100]
	ds_read2_b64 v[99:102], v0 offset0:32 offset1:33
	s_waitcnt lgkmcnt(0)
	v_mul_f64 v[103:104], v[101:102], v[123:124]
	v_fma_f64 v[103:104], v[99:100], v[97:98], -v[103:104]
	v_mul_f64 v[99:100], v[99:100], v[123:124]
	v_add_f64 v[117:118], v[117:118], -v[103:104]
	v_fma_f64 v[99:100], v[101:102], v[97:98], v[99:100]
	v_add_f64 v[119:120], v[119:120], -v[99:100]
	ds_read2_b64 v[99:102], v0 offset0:34 offset1:35
	s_waitcnt lgkmcnt(0)
	v_mul_f64 v[103:104], v[101:102], v[123:124]
	;; [unrolled: 8-line block ×11, first 2 shown]
	v_fma_f64 v[103:104], v[99:100], v[97:98], -v[103:104]
	v_mul_f64 v[99:100], v[99:100], v[123:124]
	v_add_f64 v[49:50], v[49:50], -v[103:104]
	v_fma_f64 v[99:100], v[101:102], v[97:98], v[99:100]
	v_add_f64 v[51:52], v[51:52], -v[99:100]
	ds_read2_b64 v[99:102], v0 offset0:54 offset1:55
	buffer_load_dword v41, off, s[20:23], 0 offset:132 ; 4-byte Folded Reload
	buffer_load_dword v42, off, s[20:23], 0 offset:136 ; 4-byte Folded Reload
	buffer_load_dword v43, off, s[20:23], 0 offset:140 ; 4-byte Folded Reload
	buffer_load_dword v44, off, s[20:23], 0 offset:144 ; 4-byte Folded Reload
	s_waitcnt lgkmcnt(0)
	v_mul_f64 v[103:104], v[101:102], v[123:124]
	v_fma_f64 v[103:104], v[99:100], v[97:98], -v[103:104]
	v_mul_f64 v[99:100], v[99:100], v[123:124]
	v_fma_f64 v[99:100], v[101:102], v[97:98], v[99:100]
	s_waitcnt vmcnt(2)
	v_add_f64 v[41:42], v[41:42], -v[103:104]
	s_waitcnt vmcnt(0)
	v_add_f64 v[43:44], v[43:44], -v[99:100]
	buffer_store_dword v41, off, s[20:23], 0 offset:132 ; 4-byte Folded Spill
	s_nop 0
	buffer_store_dword v42, off, s[20:23], 0 offset:136 ; 4-byte Folded Spill
	buffer_store_dword v43, off, s[20:23], 0 offset:140 ; 4-byte Folded Spill
	buffer_store_dword v44, off, s[20:23], 0 offset:144 ; 4-byte Folded Spill
	ds_read2_b64 v[99:102], v0 offset0:56 offset1:57
	buffer_load_dword v41, off, s[20:23], 0 offset:116 ; 4-byte Folded Reload
	buffer_load_dword v42, off, s[20:23], 0 offset:120 ; 4-byte Folded Reload
	buffer_load_dword v43, off, s[20:23], 0 offset:124 ; 4-byte Folded Reload
	buffer_load_dword v44, off, s[20:23], 0 offset:128 ; 4-byte Folded Reload
	s_waitcnt lgkmcnt(0)
	v_mul_f64 v[103:104], v[101:102], v[123:124]
	v_fma_f64 v[103:104], v[99:100], v[97:98], -v[103:104]
	v_mul_f64 v[99:100], v[99:100], v[123:124]
	v_fma_f64 v[99:100], v[101:102], v[97:98], v[99:100]
	s_waitcnt vmcnt(2)
	v_add_f64 v[41:42], v[41:42], -v[103:104]
	s_waitcnt vmcnt(0)
	v_add_f64 v[43:44], v[43:44], -v[99:100]
	buffer_store_dword v41, off, s[20:23], 0 offset:116 ; 4-byte Folded Spill
	s_nop 0
	buffer_store_dword v42, off, s[20:23], 0 offset:120 ; 4-byte Folded Spill
	buffer_store_dword v43, off, s[20:23], 0 offset:124 ; 4-byte Folded Spill
	buffer_store_dword v44, off, s[20:23], 0 offset:128 ; 4-byte Folded Spill
	;; [unrolled: 19-line block ×9, first 2 shown]
	ds_read2_b64 v[99:102], v0 offset0:72 offset1:73
	s_waitcnt lgkmcnt(0)
	v_mul_f64 v[103:104], v[101:102], v[123:124]
	v_fma_f64 v[103:104], v[99:100], v[97:98], -v[103:104]
	v_mul_f64 v[99:100], v[99:100], v[123:124]
	v_add_f64 v[81:82], v[81:82], -v[103:104]
	v_fma_f64 v[99:100], v[101:102], v[97:98], v[99:100]
	v_add_f64 v[83:84], v[83:84], -v[99:100]
	ds_read2_b64 v[99:102], v0 offset0:74 offset1:75
	buffer_load_dword v41, off, s[20:23], 0 offset:148 ; 4-byte Folded Reload
	buffer_load_dword v42, off, s[20:23], 0 offset:152 ; 4-byte Folded Reload
	;; [unrolled: 1-line block ×4, first 2 shown]
	s_waitcnt lgkmcnt(0)
	v_mul_f64 v[103:104], v[101:102], v[123:124]
	v_fma_f64 v[103:104], v[99:100], v[97:98], -v[103:104]
	v_mul_f64 v[99:100], v[99:100], v[123:124]
	v_fma_f64 v[99:100], v[101:102], v[97:98], v[99:100]
	s_waitcnt vmcnt(2)
	v_add_f64 v[41:42], v[41:42], -v[103:104]
	s_waitcnt vmcnt(0)
	v_add_f64 v[43:44], v[43:44], -v[99:100]
	buffer_store_dword v41, off, s[20:23], 0 offset:148 ; 4-byte Folded Spill
	s_nop 0
	buffer_store_dword v42, off, s[20:23], 0 offset:152 ; 4-byte Folded Spill
	buffer_store_dword v43, off, s[20:23], 0 offset:156 ; 4-byte Folded Spill
	;; [unrolled: 1-line block ×3, first 2 shown]
	ds_read2_b64 v[99:102], v0 offset0:76 offset1:77
	s_waitcnt lgkmcnt(0)
	v_mul_f64 v[103:104], v[101:102], v[123:124]
	v_fma_f64 v[103:104], v[99:100], v[97:98], -v[103:104]
	v_mul_f64 v[99:100], v[99:100], v[123:124]
	v_add_f64 v[1:2], v[1:2], -v[103:104]
	v_fma_f64 v[99:100], v[101:102], v[97:98], v[99:100]
	v_add_f64 v[3:4], v[3:4], -v[99:100]
	ds_read2_b64 v[99:102], v0 offset0:78 offset1:79
	s_waitcnt lgkmcnt(0)
	v_mul_f64 v[103:104], v[101:102], v[123:124]
	v_fma_f64 v[103:104], v[99:100], v[97:98], -v[103:104]
	v_mul_f64 v[99:100], v[99:100], v[123:124]
	v_add_f64 v[45:46], v[45:46], -v[103:104]
	v_fma_f64 v[99:100], v[101:102], v[97:98], v[99:100]
	v_add_f64 v[47:48], v[47:48], -v[99:100]
.LBB79_136:
	s_or_b64 exec, exec, s[2:3]
	s_waitcnt vmcnt(0)
	s_barrier
	buffer_load_dword v41, off, s[20:23], 0 ; 4-byte Folded Reload
	s_waitcnt vmcnt(0)
	v_cmp_eq_u32_e32 vcc, 15, v41
	s_and_saveexec_b64 s[4:5], vcc
	s_cbranch_execz .LBB79_143
; %bb.137:
	ds_write2_b64 v127, v[109:110], v[111:112] offset1:1
	ds_write2_b64 v0, v[117:118], v[119:120] offset0:32 offset1:33
	ds_write2_b64 v0, v[113:114], v[115:116] offset0:34 offset1:35
	;; [unrolled: 1-line block ×11, first 2 shown]
	buffer_load_dword v41, off, s[20:23], 0 offset:132 ; 4-byte Folded Reload
	buffer_load_dword v42, off, s[20:23], 0 offset:136 ; 4-byte Folded Reload
	buffer_load_dword v43, off, s[20:23], 0 offset:140 ; 4-byte Folded Reload
	buffer_load_dword v44, off, s[20:23], 0 offset:144 ; 4-byte Folded Reload
	s_waitcnt vmcnt(0)
	ds_write2_b64 v0, v[41:42], v[43:44] offset0:54 offset1:55
	buffer_load_dword v41, off, s[20:23], 0 offset:116 ; 4-byte Folded Reload
	buffer_load_dword v42, off, s[20:23], 0 offset:120 ; 4-byte Folded Reload
	buffer_load_dword v43, off, s[20:23], 0 offset:124 ; 4-byte Folded Reload
	buffer_load_dword v44, off, s[20:23], 0 offset:128 ; 4-byte Folded Reload
	s_waitcnt vmcnt(0)
	ds_write2_b64 v0, v[41:42], v[43:44] offset0:56 offset1:57
	;; [unrolled: 6-line block ×9, first 2 shown]
	ds_write2_b64 v0, v[81:82], v[83:84] offset0:72 offset1:73
	buffer_load_dword v41, off, s[20:23], 0 offset:148 ; 4-byte Folded Reload
	buffer_load_dword v42, off, s[20:23], 0 offset:152 ; 4-byte Folded Reload
	;; [unrolled: 1-line block ×4, first 2 shown]
	s_waitcnt vmcnt(0)
	ds_write2_b64 v0, v[41:42], v[43:44] offset0:74 offset1:75
	ds_write2_b64 v0, v[1:2], v[3:4] offset0:76 offset1:77
	ds_write2_b64 v0, v[45:46], v[47:48] offset0:78 offset1:79
	ds_read2_b64 v[97:100], v127 offset1:1
	s_waitcnt lgkmcnt(0)
	v_cmp_neq_f64_e32 vcc, 0, v[97:98]
	v_cmp_neq_f64_e64 s[2:3], 0, v[99:100]
	s_or_b64 s[2:3], vcc, s[2:3]
	s_and_b64 exec, exec, s[2:3]
	s_cbranch_execz .LBB79_143
; %bb.138:
	v_cmp_ngt_f64_e64 s[2:3], |v[97:98]|, |v[99:100]|
                                        ; implicit-def: $vgpr101_vgpr102
	s_and_saveexec_b64 s[6:7], s[2:3]
	s_xor_b64 s[2:3], exec, s[6:7]
                                        ; implicit-def: $vgpr103_vgpr104
	s_cbranch_execz .LBB79_140
; %bb.139:
	v_div_scale_f64 v[101:102], s[6:7], v[99:100], v[99:100], v[97:98]
	v_rcp_f64_e32 v[103:104], v[101:102]
	v_fma_f64 v[105:106], -v[101:102], v[103:104], 1.0
	v_fma_f64 v[103:104], v[103:104], v[105:106], v[103:104]
	v_div_scale_f64 v[105:106], vcc, v[97:98], v[99:100], v[97:98]
	v_fma_f64 v[107:108], -v[101:102], v[103:104], 1.0
	v_fma_f64 v[103:104], v[103:104], v[107:108], v[103:104]
	v_mul_f64 v[107:108], v[105:106], v[103:104]
	v_fma_f64 v[101:102], -v[101:102], v[107:108], v[105:106]
	v_div_fmas_f64 v[101:102], v[101:102], v[103:104], v[107:108]
	v_div_fixup_f64 v[101:102], v[101:102], v[99:100], v[97:98]
	v_fma_f64 v[97:98], v[97:98], v[101:102], v[99:100]
	v_div_scale_f64 v[99:100], s[6:7], v[97:98], v[97:98], 1.0
	v_div_scale_f64 v[107:108], vcc, 1.0, v[97:98], 1.0
	v_rcp_f64_e32 v[103:104], v[99:100]
	v_fma_f64 v[105:106], -v[99:100], v[103:104], 1.0
	v_fma_f64 v[103:104], v[103:104], v[105:106], v[103:104]
	v_fma_f64 v[105:106], -v[99:100], v[103:104], 1.0
	v_fma_f64 v[103:104], v[103:104], v[105:106], v[103:104]
	v_mul_f64 v[105:106], v[107:108], v[103:104]
	v_fma_f64 v[99:100], -v[99:100], v[105:106], v[107:108]
	v_div_fmas_f64 v[99:100], v[99:100], v[103:104], v[105:106]
	v_div_fixup_f64 v[103:104], v[99:100], v[97:98], 1.0
                                        ; implicit-def: $vgpr97_vgpr98
	v_mul_f64 v[101:102], v[101:102], v[103:104]
	v_xor_b32_e32 v104, 0x80000000, v104
.LBB79_140:
	s_andn2_saveexec_b64 s[2:3], s[2:3]
	s_cbranch_execz .LBB79_142
; %bb.141:
	v_div_scale_f64 v[101:102], s[6:7], v[97:98], v[97:98], v[99:100]
	v_rcp_f64_e32 v[103:104], v[101:102]
	v_fma_f64 v[105:106], -v[101:102], v[103:104], 1.0
	v_fma_f64 v[103:104], v[103:104], v[105:106], v[103:104]
	v_div_scale_f64 v[105:106], vcc, v[99:100], v[97:98], v[99:100]
	v_fma_f64 v[107:108], -v[101:102], v[103:104], 1.0
	v_fma_f64 v[103:104], v[103:104], v[107:108], v[103:104]
	v_mul_f64 v[107:108], v[105:106], v[103:104]
	v_fma_f64 v[101:102], -v[101:102], v[107:108], v[105:106]
	v_div_fmas_f64 v[101:102], v[101:102], v[103:104], v[107:108]
	v_div_fixup_f64 v[103:104], v[101:102], v[97:98], v[99:100]
	v_fma_f64 v[97:98], v[99:100], v[103:104], v[97:98]
	v_div_scale_f64 v[99:100], s[6:7], v[97:98], v[97:98], 1.0
	v_div_scale_f64 v[107:108], vcc, 1.0, v[97:98], 1.0
	v_rcp_f64_e32 v[101:102], v[99:100]
	v_fma_f64 v[105:106], -v[99:100], v[101:102], 1.0
	v_fma_f64 v[101:102], v[101:102], v[105:106], v[101:102]
	v_fma_f64 v[105:106], -v[99:100], v[101:102], 1.0
	v_fma_f64 v[101:102], v[101:102], v[105:106], v[101:102]
	v_mul_f64 v[105:106], v[107:108], v[101:102]
	v_fma_f64 v[99:100], -v[99:100], v[105:106], v[107:108]
	v_div_fmas_f64 v[99:100], v[99:100], v[101:102], v[105:106]
	v_div_fixup_f64 v[101:102], v[99:100], v[97:98], 1.0
	v_mul_f64 v[103:104], v[103:104], -v[101:102]
.LBB79_142:
	s_or_b64 exec, exec, s[2:3]
	ds_write2_b64 v127, v[101:102], v[103:104] offset1:1
.LBB79_143:
	s_or_b64 exec, exec, s[4:5]
	s_waitcnt lgkmcnt(0)
	s_barrier
	ds_read2_b64 v[41:44], v127 offset1:1
	s_waitcnt lgkmcnt(0)
	buffer_store_dword v41, off, s[20:23], 0 offset:852 ; 4-byte Folded Spill
	s_nop 0
	buffer_store_dword v42, off, s[20:23], 0 offset:856 ; 4-byte Folded Spill
	buffer_store_dword v43, off, s[20:23], 0 offset:860 ; 4-byte Folded Spill
	;; [unrolled: 1-line block ×3, first 2 shown]
	buffer_load_dword v41, off, s[20:23], 0 ; 4-byte Folded Reload
	s_waitcnt vmcnt(0)
	v_cmp_lt_u32_e32 vcc, 15, v41
	s_and_saveexec_b64 s[2:3], vcc
	s_cbranch_execz .LBB79_145
; %bb.144:
	buffer_load_dword v41, off, s[20:23], 0 offset:852 ; 4-byte Folded Reload
	buffer_load_dword v42, off, s[20:23], 0 offset:856 ; 4-byte Folded Reload
	buffer_load_dword v43, off, s[20:23], 0 offset:860 ; 4-byte Folded Reload
	buffer_load_dword v44, off, s[20:23], 0 offset:864 ; 4-byte Folded Reload
	v_mov_b32_e32 v106, v96
	v_mov_b32_e32 v105, v95
	;; [unrolled: 1-line block ×4, first 2 shown]
	ds_read2_b64 v[99:102], v0 offset0:32 offset1:33
	s_waitcnt vmcnt(2)
	v_mul_f64 v[95:96], v[41:42], v[111:112]
	s_waitcnt vmcnt(0)
	v_mul_f64 v[97:98], v[43:44], v[111:112]
	v_fma_f64 v[111:112], v[43:44], v[109:110], v[95:96]
	v_fma_f64 v[97:98], v[41:42], v[109:110], -v[97:98]
	s_waitcnt lgkmcnt(0)
	v_mul_f64 v[93:94], v[101:102], v[111:112]
	v_mov_b32_e32 v110, v98
	v_mov_b32_e32 v109, v97
	v_fma_f64 v[93:94], v[99:100], v[97:98], -v[93:94]
	v_mul_f64 v[99:100], v[99:100], v[111:112]
	v_add_f64 v[117:118], v[117:118], -v[93:94]
	v_fma_f64 v[99:100], v[101:102], v[97:98], v[99:100]
	v_add_f64 v[119:120], v[119:120], -v[99:100]
	ds_read2_b64 v[99:102], v0 offset0:34 offset1:35
	s_waitcnt lgkmcnt(0)
	v_mul_f64 v[93:94], v[101:102], v[111:112]
	v_fma_f64 v[93:94], v[99:100], v[97:98], -v[93:94]
	v_mul_f64 v[99:100], v[99:100], v[111:112]
	v_add_f64 v[113:114], v[113:114], -v[93:94]
	v_fma_f64 v[99:100], v[101:102], v[97:98], v[99:100]
	v_add_f64 v[115:116], v[115:116], -v[99:100]
	ds_read2_b64 v[99:102], v0 offset0:36 offset1:37
	s_waitcnt lgkmcnt(0)
	v_mul_f64 v[93:94], v[101:102], v[111:112]
	;; [unrolled: 8-line block ×10, first 2 shown]
	v_fma_f64 v[93:94], v[99:100], v[97:98], -v[93:94]
	v_mul_f64 v[99:100], v[99:100], v[111:112]
	v_add_f64 v[49:50], v[49:50], -v[93:94]
	v_fma_f64 v[99:100], v[101:102], v[97:98], v[99:100]
	v_add_f64 v[51:52], v[51:52], -v[99:100]
	ds_read2_b64 v[99:102], v0 offset0:54 offset1:55
	buffer_load_dword v41, off, s[20:23], 0 offset:132 ; 4-byte Folded Reload
	buffer_load_dword v42, off, s[20:23], 0 offset:136 ; 4-byte Folded Reload
	buffer_load_dword v43, off, s[20:23], 0 offset:140 ; 4-byte Folded Reload
	buffer_load_dword v44, off, s[20:23], 0 offset:144 ; 4-byte Folded Reload
	s_waitcnt lgkmcnt(0)
	v_mul_f64 v[93:94], v[101:102], v[111:112]
	v_fma_f64 v[93:94], v[99:100], v[97:98], -v[93:94]
	v_mul_f64 v[99:100], v[99:100], v[111:112]
	v_fma_f64 v[99:100], v[101:102], v[97:98], v[99:100]
	s_waitcnt vmcnt(2)
	v_add_f64 v[41:42], v[41:42], -v[93:94]
	s_waitcnt vmcnt(0)
	v_add_f64 v[43:44], v[43:44], -v[99:100]
	buffer_store_dword v41, off, s[20:23], 0 offset:132 ; 4-byte Folded Spill
	s_nop 0
	buffer_store_dword v42, off, s[20:23], 0 offset:136 ; 4-byte Folded Spill
	buffer_store_dword v43, off, s[20:23], 0 offset:140 ; 4-byte Folded Spill
	buffer_store_dword v44, off, s[20:23], 0 offset:144 ; 4-byte Folded Spill
	ds_read2_b64 v[99:102], v0 offset0:56 offset1:57
	buffer_load_dword v41, off, s[20:23], 0 offset:116 ; 4-byte Folded Reload
	buffer_load_dword v42, off, s[20:23], 0 offset:120 ; 4-byte Folded Reload
	buffer_load_dword v43, off, s[20:23], 0 offset:124 ; 4-byte Folded Reload
	buffer_load_dword v44, off, s[20:23], 0 offset:128 ; 4-byte Folded Reload
	s_waitcnt lgkmcnt(0)
	v_mul_f64 v[93:94], v[101:102], v[111:112]
	v_fma_f64 v[93:94], v[99:100], v[97:98], -v[93:94]
	v_mul_f64 v[99:100], v[99:100], v[111:112]
	v_fma_f64 v[99:100], v[101:102], v[97:98], v[99:100]
	s_waitcnt vmcnt(2)
	v_add_f64 v[41:42], v[41:42], -v[93:94]
	s_waitcnt vmcnt(0)
	v_add_f64 v[43:44], v[43:44], -v[99:100]
	buffer_store_dword v41, off, s[20:23], 0 offset:116 ; 4-byte Folded Spill
	s_nop 0
	buffer_store_dword v42, off, s[20:23], 0 offset:120 ; 4-byte Folded Spill
	buffer_store_dword v43, off, s[20:23], 0 offset:124 ; 4-byte Folded Spill
	buffer_store_dword v44, off, s[20:23], 0 offset:128 ; 4-byte Folded Spill
	;; [unrolled: 19-line block ×9, first 2 shown]
	ds_read2_b64 v[99:102], v0 offset0:72 offset1:73
	s_waitcnt lgkmcnt(0)
	v_mul_f64 v[93:94], v[101:102], v[111:112]
	v_fma_f64 v[93:94], v[99:100], v[97:98], -v[93:94]
	v_mul_f64 v[99:100], v[99:100], v[111:112]
	v_add_f64 v[81:82], v[81:82], -v[93:94]
	v_fma_f64 v[99:100], v[101:102], v[97:98], v[99:100]
	v_add_f64 v[83:84], v[83:84], -v[99:100]
	ds_read2_b64 v[99:102], v0 offset0:74 offset1:75
	buffer_load_dword v41, off, s[20:23], 0 offset:148 ; 4-byte Folded Reload
	buffer_load_dword v42, off, s[20:23], 0 offset:152 ; 4-byte Folded Reload
	;; [unrolled: 1-line block ×4, first 2 shown]
	s_waitcnt lgkmcnt(0)
	v_mul_f64 v[93:94], v[101:102], v[111:112]
	v_fma_f64 v[93:94], v[99:100], v[97:98], -v[93:94]
	v_mul_f64 v[99:100], v[99:100], v[111:112]
	v_fma_f64 v[99:100], v[101:102], v[97:98], v[99:100]
	s_waitcnt vmcnt(2)
	v_add_f64 v[41:42], v[41:42], -v[93:94]
	s_waitcnt vmcnt(0)
	v_add_f64 v[43:44], v[43:44], -v[99:100]
	buffer_store_dword v41, off, s[20:23], 0 offset:148 ; 4-byte Folded Spill
	s_nop 0
	buffer_store_dword v42, off, s[20:23], 0 offset:152 ; 4-byte Folded Spill
	buffer_store_dword v43, off, s[20:23], 0 offset:156 ; 4-byte Folded Spill
	buffer_store_dword v44, off, s[20:23], 0 offset:160 ; 4-byte Folded Spill
	ds_read2_b64 v[99:102], v0 offset0:76 offset1:77
	s_waitcnt lgkmcnt(0)
	v_mul_f64 v[93:94], v[101:102], v[111:112]
	v_fma_f64 v[93:94], v[99:100], v[97:98], -v[93:94]
	v_mul_f64 v[99:100], v[99:100], v[111:112]
	v_add_f64 v[1:2], v[1:2], -v[93:94]
	v_fma_f64 v[99:100], v[101:102], v[97:98], v[99:100]
	v_add_f64 v[3:4], v[3:4], -v[99:100]
	ds_read2_b64 v[99:102], v0 offset0:78 offset1:79
	s_waitcnt lgkmcnt(0)
	v_mul_f64 v[93:94], v[101:102], v[111:112]
	v_fma_f64 v[93:94], v[99:100], v[97:98], -v[93:94]
	v_mul_f64 v[99:100], v[99:100], v[111:112]
	v_add_f64 v[45:46], v[45:46], -v[93:94]
	v_fma_f64 v[99:100], v[101:102], v[97:98], v[99:100]
	v_mov_b32_e32 v93, v103
	v_mov_b32_e32 v94, v104
	;; [unrolled: 1-line block ×4, first 2 shown]
	v_add_f64 v[47:48], v[47:48], -v[99:100]
.LBB79_145:
	s_or_b64 exec, exec, s[2:3]
	s_waitcnt vmcnt(0)
	s_barrier
	buffer_load_dword v41, off, s[20:23], 0 ; 4-byte Folded Reload
	s_waitcnt vmcnt(0)
	v_cmp_eq_u32_e32 vcc, 16, v41
	s_and_saveexec_b64 s[4:5], vcc
	s_cbranch_execz .LBB79_152
; %bb.146:
	ds_write2_b64 v127, v[117:118], v[119:120] offset1:1
	ds_write2_b64 v0, v[113:114], v[115:116] offset0:34 offset1:35
	ds_write2_b64 v0, v[93:94], v[95:96] offset0:36 offset1:37
	;; [unrolled: 1-line block ×10, first 2 shown]
	buffer_load_dword v41, off, s[20:23], 0 offset:132 ; 4-byte Folded Reload
	buffer_load_dword v42, off, s[20:23], 0 offset:136 ; 4-byte Folded Reload
	buffer_load_dword v43, off, s[20:23], 0 offset:140 ; 4-byte Folded Reload
	buffer_load_dword v44, off, s[20:23], 0 offset:144 ; 4-byte Folded Reload
	s_waitcnt vmcnt(0)
	ds_write2_b64 v0, v[41:42], v[43:44] offset0:54 offset1:55
	buffer_load_dword v41, off, s[20:23], 0 offset:116 ; 4-byte Folded Reload
	buffer_load_dword v42, off, s[20:23], 0 offset:120 ; 4-byte Folded Reload
	buffer_load_dword v43, off, s[20:23], 0 offset:124 ; 4-byte Folded Reload
	buffer_load_dword v44, off, s[20:23], 0 offset:128 ; 4-byte Folded Reload
	s_waitcnt vmcnt(0)
	ds_write2_b64 v0, v[41:42], v[43:44] offset0:56 offset1:57
	buffer_load_dword v41, off, s[20:23], 0 offset:100 ; 4-byte Folded Reload
	buffer_load_dword v42, off, s[20:23], 0 offset:104 ; 4-byte Folded Reload
	buffer_load_dword v43, off, s[20:23], 0 offset:108 ; 4-byte Folded Reload
	buffer_load_dword v44, off, s[20:23], 0 offset:112 ; 4-byte Folded Reload
	s_waitcnt vmcnt(0)
	ds_write2_b64 v0, v[41:42], v[43:44] offset0:58 offset1:59
	buffer_load_dword v41, off, s[20:23], 0 offset:84 ; 4-byte Folded Reload
	buffer_load_dword v42, off, s[20:23], 0 offset:88 ; 4-byte Folded Reload
	buffer_load_dword v43, off, s[20:23], 0 offset:92 ; 4-byte Folded Reload
	buffer_load_dword v44, off, s[20:23], 0 offset:96 ; 4-byte Folded Reload
	s_waitcnt vmcnt(0)
	ds_write2_b64 v0, v[41:42], v[43:44] offset0:60 offset1:61
	buffer_load_dword v41, off, s[20:23], 0 offset:68 ; 4-byte Folded Reload
	buffer_load_dword v42, off, s[20:23], 0 offset:72 ; 4-byte Folded Reload
	buffer_load_dword v43, off, s[20:23], 0 offset:76 ; 4-byte Folded Reload
	buffer_load_dword v44, off, s[20:23], 0 offset:80 ; 4-byte Folded Reload
	s_waitcnt vmcnt(0)
	ds_write2_b64 v0, v[41:42], v[43:44] offset0:62 offset1:63
	buffer_load_dword v41, off, s[20:23], 0 offset:52 ; 4-byte Folded Reload
	buffer_load_dword v42, off, s[20:23], 0 offset:56 ; 4-byte Folded Reload
	buffer_load_dword v43, off, s[20:23], 0 offset:60 ; 4-byte Folded Reload
	buffer_load_dword v44, off, s[20:23], 0 offset:64 ; 4-byte Folded Reload
	s_waitcnt vmcnt(0)
	ds_write2_b64 v0, v[41:42], v[43:44] offset0:64 offset1:65
	buffer_load_dword v41, off, s[20:23], 0 offset:36 ; 4-byte Folded Reload
	buffer_load_dword v42, off, s[20:23], 0 offset:40 ; 4-byte Folded Reload
	buffer_load_dword v43, off, s[20:23], 0 offset:44 ; 4-byte Folded Reload
	buffer_load_dword v44, off, s[20:23], 0 offset:48 ; 4-byte Folded Reload
	s_waitcnt vmcnt(0)
	ds_write2_b64 v0, v[41:42], v[43:44] offset0:66 offset1:67
	buffer_load_dword v41, off, s[20:23], 0 offset:20 ; 4-byte Folded Reload
	buffer_load_dword v42, off, s[20:23], 0 offset:24 ; 4-byte Folded Reload
	buffer_load_dword v43, off, s[20:23], 0 offset:28 ; 4-byte Folded Reload
	buffer_load_dword v44, off, s[20:23], 0 offset:32 ; 4-byte Folded Reload
	s_waitcnt vmcnt(0)
	ds_write2_b64 v0, v[41:42], v[43:44] offset0:68 offset1:69
	buffer_load_dword v41, off, s[20:23], 0 offset:4 ; 4-byte Folded Reload
	buffer_load_dword v42, off, s[20:23], 0 offset:8 ; 4-byte Folded Reload
	buffer_load_dword v43, off, s[20:23], 0 offset:12 ; 4-byte Folded Reload
	buffer_load_dword v44, off, s[20:23], 0 offset:16 ; 4-byte Folded Reload
	s_waitcnt vmcnt(0)
	ds_write2_b64 v0, v[41:42], v[43:44] offset0:70 offset1:71
	ds_write2_b64 v0, v[81:82], v[83:84] offset0:72 offset1:73
	buffer_load_dword v41, off, s[20:23], 0 offset:148 ; 4-byte Folded Reload
	buffer_load_dword v42, off, s[20:23], 0 offset:152 ; 4-byte Folded Reload
	;; [unrolled: 1-line block ×4, first 2 shown]
	s_waitcnt vmcnt(0)
	ds_write2_b64 v0, v[41:42], v[43:44] offset0:74 offset1:75
	ds_write2_b64 v0, v[1:2], v[3:4] offset0:76 offset1:77
	;; [unrolled: 1-line block ×3, first 2 shown]
	ds_read2_b64 v[97:100], v127 offset1:1
	s_waitcnt lgkmcnt(0)
	v_cmp_neq_f64_e32 vcc, 0, v[97:98]
	v_cmp_neq_f64_e64 s[2:3], 0, v[99:100]
	s_or_b64 s[2:3], vcc, s[2:3]
	s_and_b64 exec, exec, s[2:3]
	s_cbranch_execz .LBB79_152
; %bb.147:
	v_cmp_ngt_f64_e64 s[2:3], |v[97:98]|, |v[99:100]|
                                        ; implicit-def: $vgpr101_vgpr102
	s_and_saveexec_b64 s[6:7], s[2:3]
	s_xor_b64 s[2:3], exec, s[6:7]
                                        ; implicit-def: $vgpr103_vgpr104
	s_cbranch_execz .LBB79_149
; %bb.148:
	v_div_scale_f64 v[101:102], s[6:7], v[99:100], v[99:100], v[97:98]
	v_rcp_f64_e32 v[103:104], v[101:102]
	v_fma_f64 v[105:106], -v[101:102], v[103:104], 1.0
	v_fma_f64 v[103:104], v[103:104], v[105:106], v[103:104]
	v_div_scale_f64 v[105:106], vcc, v[97:98], v[99:100], v[97:98]
	v_fma_f64 v[107:108], -v[101:102], v[103:104], 1.0
	v_fma_f64 v[103:104], v[103:104], v[107:108], v[103:104]
	v_mul_f64 v[107:108], v[105:106], v[103:104]
	v_fma_f64 v[101:102], -v[101:102], v[107:108], v[105:106]
	v_div_fmas_f64 v[101:102], v[101:102], v[103:104], v[107:108]
	v_div_fixup_f64 v[101:102], v[101:102], v[99:100], v[97:98]
	v_fma_f64 v[97:98], v[97:98], v[101:102], v[99:100]
	v_div_scale_f64 v[99:100], s[6:7], v[97:98], v[97:98], 1.0
	v_div_scale_f64 v[107:108], vcc, 1.0, v[97:98], 1.0
	v_rcp_f64_e32 v[103:104], v[99:100]
	v_fma_f64 v[105:106], -v[99:100], v[103:104], 1.0
	v_fma_f64 v[103:104], v[103:104], v[105:106], v[103:104]
	v_fma_f64 v[105:106], -v[99:100], v[103:104], 1.0
	v_fma_f64 v[103:104], v[103:104], v[105:106], v[103:104]
	v_mul_f64 v[105:106], v[107:108], v[103:104]
	v_fma_f64 v[99:100], -v[99:100], v[105:106], v[107:108]
	v_div_fmas_f64 v[99:100], v[99:100], v[103:104], v[105:106]
	v_div_fixup_f64 v[103:104], v[99:100], v[97:98], 1.0
                                        ; implicit-def: $vgpr97_vgpr98
	v_mul_f64 v[101:102], v[101:102], v[103:104]
	v_xor_b32_e32 v104, 0x80000000, v104
.LBB79_149:
	s_andn2_saveexec_b64 s[2:3], s[2:3]
	s_cbranch_execz .LBB79_151
; %bb.150:
	v_div_scale_f64 v[101:102], s[6:7], v[97:98], v[97:98], v[99:100]
	v_rcp_f64_e32 v[103:104], v[101:102]
	v_fma_f64 v[105:106], -v[101:102], v[103:104], 1.0
	v_fma_f64 v[103:104], v[103:104], v[105:106], v[103:104]
	v_div_scale_f64 v[105:106], vcc, v[99:100], v[97:98], v[99:100]
	v_fma_f64 v[107:108], -v[101:102], v[103:104], 1.0
	v_fma_f64 v[103:104], v[103:104], v[107:108], v[103:104]
	v_mul_f64 v[107:108], v[105:106], v[103:104]
	v_fma_f64 v[101:102], -v[101:102], v[107:108], v[105:106]
	v_div_fmas_f64 v[101:102], v[101:102], v[103:104], v[107:108]
	v_div_fixup_f64 v[103:104], v[101:102], v[97:98], v[99:100]
	v_fma_f64 v[97:98], v[99:100], v[103:104], v[97:98]
	v_div_scale_f64 v[99:100], s[6:7], v[97:98], v[97:98], 1.0
	v_div_scale_f64 v[107:108], vcc, 1.0, v[97:98], 1.0
	v_rcp_f64_e32 v[101:102], v[99:100]
	v_fma_f64 v[105:106], -v[99:100], v[101:102], 1.0
	v_fma_f64 v[101:102], v[101:102], v[105:106], v[101:102]
	v_fma_f64 v[105:106], -v[99:100], v[101:102], 1.0
	v_fma_f64 v[101:102], v[101:102], v[105:106], v[101:102]
	v_mul_f64 v[105:106], v[107:108], v[101:102]
	v_fma_f64 v[99:100], -v[99:100], v[105:106], v[107:108]
	v_div_fmas_f64 v[99:100], v[99:100], v[101:102], v[105:106]
	v_div_fixup_f64 v[101:102], v[99:100], v[97:98], 1.0
	v_mul_f64 v[103:104], v[103:104], -v[101:102]
.LBB79_151:
	s_or_b64 exec, exec, s[2:3]
	ds_write2_b64 v127, v[101:102], v[103:104] offset1:1
.LBB79_152:
	s_or_b64 exec, exec, s[4:5]
	s_waitcnt lgkmcnt(0)
	s_barrier
	ds_read2_b64 v[41:44], v127 offset1:1
	s_waitcnt lgkmcnt(0)
	buffer_store_dword v41, off, s[20:23], 0 offset:868 ; 4-byte Folded Spill
	s_nop 0
	buffer_store_dword v42, off, s[20:23], 0 offset:872 ; 4-byte Folded Spill
	buffer_store_dword v43, off, s[20:23], 0 offset:876 ; 4-byte Folded Spill
	;; [unrolled: 1-line block ×3, first 2 shown]
	buffer_load_dword v41, off, s[20:23], 0 ; 4-byte Folded Reload
	s_waitcnt vmcnt(0)
	v_cmp_lt_u32_e32 vcc, 16, v41
	s_mov_b64 s[2:3], exec
	s_and_b64 s[4:5], s[2:3], vcc
	buffer_store_dword v89, off, s[20:23], 0 offset:244 ; 4-byte Folded Spill
	s_nop 0
	buffer_store_dword v90, off, s[20:23], 0 offset:248 ; 4-byte Folded Spill
	buffer_store_dword v91, off, s[20:23], 0 offset:252 ; 4-byte Folded Spill
	;; [unrolled: 1-line block ×3, first 2 shown]
	s_mov_b64 exec, s[4:5]
	s_cbranch_execz .LBB79_154
; %bb.153:
	buffer_load_dword v41, off, s[20:23], 0 offset:868 ; 4-byte Folded Reload
	buffer_load_dword v42, off, s[20:23], 0 offset:872 ; 4-byte Folded Reload
	;; [unrolled: 1-line block ×4, first 2 shown]
	ds_read2_b64 v[99:102], v0 offset0:34 offset1:35
	s_waitcnt vmcnt(2)
	v_mul_f64 v[91:92], v[41:42], v[119:120]
	s_waitcnt vmcnt(0)
	v_mul_f64 v[97:98], v[43:44], v[119:120]
	v_fma_f64 v[119:120], v[43:44], v[117:118], v[91:92]
	v_fma_f64 v[97:98], v[41:42], v[117:118], -v[97:98]
	s_waitcnt lgkmcnt(0)
	v_mul_f64 v[89:90], v[101:102], v[119:120]
	v_mov_b32_e32 v118, v98
	v_mov_b32_e32 v117, v97
	v_fma_f64 v[89:90], v[99:100], v[97:98], -v[89:90]
	v_mul_f64 v[99:100], v[99:100], v[119:120]
	v_add_f64 v[113:114], v[113:114], -v[89:90]
	v_fma_f64 v[99:100], v[101:102], v[97:98], v[99:100]
	v_add_f64 v[115:116], v[115:116], -v[99:100]
	ds_read2_b64 v[99:102], v0 offset0:36 offset1:37
	s_waitcnt lgkmcnt(0)
	v_mul_f64 v[89:90], v[101:102], v[119:120]
	v_fma_f64 v[89:90], v[99:100], v[97:98], -v[89:90]
	v_mul_f64 v[99:100], v[99:100], v[119:120]
	v_add_f64 v[93:94], v[93:94], -v[89:90]
	v_fma_f64 v[99:100], v[101:102], v[97:98], v[99:100]
	v_add_f64 v[95:96], v[95:96], -v[99:100]
	ds_read2_b64 v[99:102], v0 offset0:38 offset1:39
	s_waitcnt lgkmcnt(0)
	v_mul_f64 v[89:90], v[101:102], v[119:120]
	;; [unrolled: 8-line block ×9, first 2 shown]
	v_fma_f64 v[89:90], v[99:100], v[97:98], -v[89:90]
	v_mul_f64 v[99:100], v[99:100], v[119:120]
	v_add_f64 v[49:50], v[49:50], -v[89:90]
	v_fma_f64 v[99:100], v[101:102], v[97:98], v[99:100]
	v_add_f64 v[51:52], v[51:52], -v[99:100]
	ds_read2_b64 v[99:102], v0 offset0:54 offset1:55
	buffer_load_dword v41, off, s[20:23], 0 offset:132 ; 4-byte Folded Reload
	buffer_load_dword v42, off, s[20:23], 0 offset:136 ; 4-byte Folded Reload
	buffer_load_dword v43, off, s[20:23], 0 offset:140 ; 4-byte Folded Reload
	buffer_load_dword v44, off, s[20:23], 0 offset:144 ; 4-byte Folded Reload
	s_waitcnt lgkmcnt(0)
	v_mul_f64 v[89:90], v[101:102], v[119:120]
	v_fma_f64 v[89:90], v[99:100], v[97:98], -v[89:90]
	v_mul_f64 v[99:100], v[99:100], v[119:120]
	v_fma_f64 v[99:100], v[101:102], v[97:98], v[99:100]
	s_waitcnt vmcnt(2)
	v_add_f64 v[41:42], v[41:42], -v[89:90]
	s_waitcnt vmcnt(0)
	v_add_f64 v[43:44], v[43:44], -v[99:100]
	buffer_store_dword v41, off, s[20:23], 0 offset:132 ; 4-byte Folded Spill
	s_nop 0
	buffer_store_dword v42, off, s[20:23], 0 offset:136 ; 4-byte Folded Spill
	buffer_store_dword v43, off, s[20:23], 0 offset:140 ; 4-byte Folded Spill
	buffer_store_dword v44, off, s[20:23], 0 offset:144 ; 4-byte Folded Spill
	ds_read2_b64 v[99:102], v0 offset0:56 offset1:57
	buffer_load_dword v41, off, s[20:23], 0 offset:116 ; 4-byte Folded Reload
	buffer_load_dword v42, off, s[20:23], 0 offset:120 ; 4-byte Folded Reload
	buffer_load_dword v43, off, s[20:23], 0 offset:124 ; 4-byte Folded Reload
	buffer_load_dword v44, off, s[20:23], 0 offset:128 ; 4-byte Folded Reload
	s_waitcnt lgkmcnt(0)
	v_mul_f64 v[89:90], v[101:102], v[119:120]
	v_fma_f64 v[89:90], v[99:100], v[97:98], -v[89:90]
	v_mul_f64 v[99:100], v[99:100], v[119:120]
	v_fma_f64 v[99:100], v[101:102], v[97:98], v[99:100]
	s_waitcnt vmcnt(2)
	v_add_f64 v[41:42], v[41:42], -v[89:90]
	s_waitcnt vmcnt(0)
	v_add_f64 v[43:44], v[43:44], -v[99:100]
	buffer_store_dword v41, off, s[20:23], 0 offset:116 ; 4-byte Folded Spill
	s_nop 0
	buffer_store_dword v42, off, s[20:23], 0 offset:120 ; 4-byte Folded Spill
	buffer_store_dword v43, off, s[20:23], 0 offset:124 ; 4-byte Folded Spill
	buffer_store_dword v44, off, s[20:23], 0 offset:128 ; 4-byte Folded Spill
	;; [unrolled: 19-line block ×9, first 2 shown]
	ds_read2_b64 v[99:102], v0 offset0:72 offset1:73
	s_waitcnt lgkmcnt(0)
	v_mul_f64 v[89:90], v[101:102], v[119:120]
	v_fma_f64 v[89:90], v[99:100], v[97:98], -v[89:90]
	v_mul_f64 v[99:100], v[99:100], v[119:120]
	v_add_f64 v[81:82], v[81:82], -v[89:90]
	v_fma_f64 v[99:100], v[101:102], v[97:98], v[99:100]
	v_add_f64 v[83:84], v[83:84], -v[99:100]
	ds_read2_b64 v[99:102], v0 offset0:74 offset1:75
	buffer_load_dword v41, off, s[20:23], 0 offset:148 ; 4-byte Folded Reload
	buffer_load_dword v42, off, s[20:23], 0 offset:152 ; 4-byte Folded Reload
	;; [unrolled: 1-line block ×4, first 2 shown]
	s_waitcnt lgkmcnt(0)
	v_mul_f64 v[89:90], v[101:102], v[119:120]
	v_fma_f64 v[89:90], v[99:100], v[97:98], -v[89:90]
	v_mul_f64 v[99:100], v[99:100], v[119:120]
	v_fma_f64 v[99:100], v[101:102], v[97:98], v[99:100]
	s_waitcnt vmcnt(2)
	v_add_f64 v[41:42], v[41:42], -v[89:90]
	s_waitcnt vmcnt(0)
	v_add_f64 v[43:44], v[43:44], -v[99:100]
	buffer_store_dword v41, off, s[20:23], 0 offset:148 ; 4-byte Folded Spill
	s_nop 0
	buffer_store_dword v42, off, s[20:23], 0 offset:152 ; 4-byte Folded Spill
	buffer_store_dword v43, off, s[20:23], 0 offset:156 ; 4-byte Folded Spill
	;; [unrolled: 1-line block ×3, first 2 shown]
	ds_read2_b64 v[99:102], v0 offset0:76 offset1:77
	s_waitcnt lgkmcnt(0)
	v_mul_f64 v[89:90], v[101:102], v[119:120]
	v_fma_f64 v[89:90], v[99:100], v[97:98], -v[89:90]
	v_mul_f64 v[99:100], v[99:100], v[119:120]
	v_add_f64 v[1:2], v[1:2], -v[89:90]
	v_fma_f64 v[99:100], v[101:102], v[97:98], v[99:100]
	v_add_f64 v[3:4], v[3:4], -v[99:100]
	ds_read2_b64 v[99:102], v0 offset0:78 offset1:79
	s_waitcnt lgkmcnt(0)
	v_mul_f64 v[89:90], v[101:102], v[119:120]
	v_fma_f64 v[89:90], v[99:100], v[97:98], -v[89:90]
	v_mul_f64 v[99:100], v[99:100], v[119:120]
	v_add_f64 v[45:46], v[45:46], -v[89:90]
	buffer_load_dword v89, off, s[20:23], 0 offset:244 ; 4-byte Folded Reload
	buffer_load_dword v90, off, s[20:23], 0 offset:248 ; 4-byte Folded Reload
	;; [unrolled: 1-line block ×4, first 2 shown]
	v_fma_f64 v[99:100], v[101:102], v[97:98], v[99:100]
	v_add_f64 v[47:48], v[47:48], -v[99:100]
.LBB79_154:
	s_or_b64 exec, exec, s[2:3]
	s_waitcnt vmcnt(0)
	s_barrier
	buffer_load_dword v41, off, s[20:23], 0 ; 4-byte Folded Reload
	s_waitcnt vmcnt(0)
	v_cmp_eq_u32_e32 vcc, 17, v41
	s_and_saveexec_b64 s[4:5], vcc
	s_cbranch_execz .LBB79_161
; %bb.155:
	ds_write2_b64 v127, v[113:114], v[115:116] offset1:1
	ds_write2_b64 v0, v[93:94], v[95:96] offset0:36 offset1:37
	ds_write2_b64 v0, v[77:78], v[79:80] offset0:38 offset1:39
	ds_write2_b64 v0, v[73:74], v[75:76] offset0:40 offset1:41
	ds_write2_b64 v0, v[69:70], v[71:72] offset0:42 offset1:43
	ds_write2_b64 v0, v[65:66], v[67:68] offset0:44 offset1:45
	ds_write2_b64 v0, v[61:62], v[63:64] offset0:46 offset1:47
	ds_write2_b64 v0, v[57:58], v[59:60] offset0:48 offset1:49
	ds_write2_b64 v0, v[53:54], v[55:56] offset0:50 offset1:51
	ds_write2_b64 v0, v[49:50], v[51:52] offset0:52 offset1:53
	buffer_load_dword v41, off, s[20:23], 0 offset:132 ; 4-byte Folded Reload
	buffer_load_dword v42, off, s[20:23], 0 offset:136 ; 4-byte Folded Reload
	buffer_load_dword v43, off, s[20:23], 0 offset:140 ; 4-byte Folded Reload
	buffer_load_dword v44, off, s[20:23], 0 offset:144 ; 4-byte Folded Reload
	s_waitcnt vmcnt(0)
	ds_write2_b64 v0, v[41:42], v[43:44] offset0:54 offset1:55
	buffer_load_dword v41, off, s[20:23], 0 offset:116 ; 4-byte Folded Reload
	buffer_load_dword v42, off, s[20:23], 0 offset:120 ; 4-byte Folded Reload
	buffer_load_dword v43, off, s[20:23], 0 offset:124 ; 4-byte Folded Reload
	buffer_load_dword v44, off, s[20:23], 0 offset:128 ; 4-byte Folded Reload
	s_waitcnt vmcnt(0)
	ds_write2_b64 v0, v[41:42], v[43:44] offset0:56 offset1:57
	;; [unrolled: 6-line block ×9, first 2 shown]
	ds_write2_b64 v0, v[81:82], v[83:84] offset0:72 offset1:73
	buffer_load_dword v41, off, s[20:23], 0 offset:148 ; 4-byte Folded Reload
	buffer_load_dword v42, off, s[20:23], 0 offset:152 ; 4-byte Folded Reload
	;; [unrolled: 1-line block ×4, first 2 shown]
	s_waitcnt vmcnt(0)
	ds_write2_b64 v0, v[41:42], v[43:44] offset0:74 offset1:75
	ds_write2_b64 v0, v[1:2], v[3:4] offset0:76 offset1:77
	;; [unrolled: 1-line block ×3, first 2 shown]
	ds_read2_b64 v[97:100], v127 offset1:1
	s_waitcnt lgkmcnt(0)
	v_cmp_neq_f64_e32 vcc, 0, v[97:98]
	v_cmp_neq_f64_e64 s[2:3], 0, v[99:100]
	s_or_b64 s[2:3], vcc, s[2:3]
	s_and_b64 exec, exec, s[2:3]
	s_cbranch_execz .LBB79_161
; %bb.156:
	v_cmp_ngt_f64_e64 s[2:3], |v[97:98]|, |v[99:100]|
                                        ; implicit-def: $vgpr101_vgpr102
	s_and_saveexec_b64 s[6:7], s[2:3]
	s_xor_b64 s[2:3], exec, s[6:7]
                                        ; implicit-def: $vgpr103_vgpr104
	s_cbranch_execz .LBB79_158
; %bb.157:
	v_div_scale_f64 v[101:102], s[6:7], v[99:100], v[99:100], v[97:98]
	v_rcp_f64_e32 v[103:104], v[101:102]
	v_fma_f64 v[105:106], -v[101:102], v[103:104], 1.0
	v_fma_f64 v[103:104], v[103:104], v[105:106], v[103:104]
	v_div_scale_f64 v[105:106], vcc, v[97:98], v[99:100], v[97:98]
	v_fma_f64 v[107:108], -v[101:102], v[103:104], 1.0
	v_fma_f64 v[103:104], v[103:104], v[107:108], v[103:104]
	v_mul_f64 v[107:108], v[105:106], v[103:104]
	v_fma_f64 v[101:102], -v[101:102], v[107:108], v[105:106]
	v_div_fmas_f64 v[101:102], v[101:102], v[103:104], v[107:108]
	v_div_fixup_f64 v[101:102], v[101:102], v[99:100], v[97:98]
	v_fma_f64 v[97:98], v[97:98], v[101:102], v[99:100]
	v_div_scale_f64 v[99:100], s[6:7], v[97:98], v[97:98], 1.0
	v_div_scale_f64 v[107:108], vcc, 1.0, v[97:98], 1.0
	v_rcp_f64_e32 v[103:104], v[99:100]
	v_fma_f64 v[105:106], -v[99:100], v[103:104], 1.0
	v_fma_f64 v[103:104], v[103:104], v[105:106], v[103:104]
	v_fma_f64 v[105:106], -v[99:100], v[103:104], 1.0
	v_fma_f64 v[103:104], v[103:104], v[105:106], v[103:104]
	v_mul_f64 v[105:106], v[107:108], v[103:104]
	v_fma_f64 v[99:100], -v[99:100], v[105:106], v[107:108]
	v_div_fmas_f64 v[99:100], v[99:100], v[103:104], v[105:106]
	v_div_fixup_f64 v[103:104], v[99:100], v[97:98], 1.0
                                        ; implicit-def: $vgpr97_vgpr98
	v_mul_f64 v[101:102], v[101:102], v[103:104]
	v_xor_b32_e32 v104, 0x80000000, v104
.LBB79_158:
	s_andn2_saveexec_b64 s[2:3], s[2:3]
	s_cbranch_execz .LBB79_160
; %bb.159:
	v_div_scale_f64 v[101:102], s[6:7], v[97:98], v[97:98], v[99:100]
	v_rcp_f64_e32 v[103:104], v[101:102]
	v_fma_f64 v[105:106], -v[101:102], v[103:104], 1.0
	v_fma_f64 v[103:104], v[103:104], v[105:106], v[103:104]
	v_div_scale_f64 v[105:106], vcc, v[99:100], v[97:98], v[99:100]
	v_fma_f64 v[107:108], -v[101:102], v[103:104], 1.0
	v_fma_f64 v[103:104], v[103:104], v[107:108], v[103:104]
	v_mul_f64 v[107:108], v[105:106], v[103:104]
	v_fma_f64 v[101:102], -v[101:102], v[107:108], v[105:106]
	v_div_fmas_f64 v[101:102], v[101:102], v[103:104], v[107:108]
	v_div_fixup_f64 v[103:104], v[101:102], v[97:98], v[99:100]
	v_fma_f64 v[97:98], v[99:100], v[103:104], v[97:98]
	v_div_scale_f64 v[99:100], s[6:7], v[97:98], v[97:98], 1.0
	v_div_scale_f64 v[107:108], vcc, 1.0, v[97:98], 1.0
	v_rcp_f64_e32 v[101:102], v[99:100]
	v_fma_f64 v[105:106], -v[99:100], v[101:102], 1.0
	v_fma_f64 v[101:102], v[101:102], v[105:106], v[101:102]
	v_fma_f64 v[105:106], -v[99:100], v[101:102], 1.0
	v_fma_f64 v[101:102], v[101:102], v[105:106], v[101:102]
	v_mul_f64 v[105:106], v[107:108], v[101:102]
	v_fma_f64 v[99:100], -v[99:100], v[105:106], v[107:108]
	v_div_fmas_f64 v[99:100], v[99:100], v[101:102], v[105:106]
	v_div_fixup_f64 v[101:102], v[99:100], v[97:98], 1.0
	v_mul_f64 v[103:104], v[103:104], -v[101:102]
.LBB79_160:
	s_or_b64 exec, exec, s[2:3]
	ds_write2_b64 v127, v[101:102], v[103:104] offset1:1
.LBB79_161:
	s_or_b64 exec, exec, s[4:5]
	s_waitcnt lgkmcnt(0)
	s_barrier
	ds_read2_b64 v[41:44], v127 offset1:1
	s_waitcnt lgkmcnt(0)
	buffer_store_dword v41, off, s[20:23], 0 offset:884 ; 4-byte Folded Spill
	s_nop 0
	buffer_store_dword v42, off, s[20:23], 0 offset:888 ; 4-byte Folded Spill
	buffer_store_dword v43, off, s[20:23], 0 offset:892 ; 4-byte Folded Spill
	;; [unrolled: 1-line block ×3, first 2 shown]
	buffer_load_dword v41, off, s[20:23], 0 ; 4-byte Folded Reload
	s_waitcnt vmcnt(0)
	v_cmp_lt_u32_e32 vcc, 17, v41
	s_mov_b64 s[2:3], exec
	s_and_b64 s[4:5], s[2:3], vcc
	buffer_store_dword v85, off, s[20:23], 0 offset:572 ; 4-byte Folded Spill
	s_nop 0
	buffer_store_dword v86, off, s[20:23], 0 offset:576 ; 4-byte Folded Spill
	buffer_store_dword v87, off, s[20:23], 0 offset:580 ; 4-byte Folded Spill
	;; [unrolled: 1-line block ×3, first 2 shown]
	s_mov_b64 exec, s[4:5]
	s_cbranch_execz .LBB79_163
; %bb.162:
	buffer_load_dword v41, off, s[20:23], 0 offset:884 ; 4-byte Folded Reload
	buffer_load_dword v42, off, s[20:23], 0 offset:888 ; 4-byte Folded Reload
	buffer_load_dword v43, off, s[20:23], 0 offset:892 ; 4-byte Folded Reload
	buffer_load_dword v44, off, s[20:23], 0 offset:896 ; 4-byte Folded Reload
	ds_read2_b64 v[99:102], v0 offset0:36 offset1:37
	s_waitcnt vmcnt(2)
	v_mul_f64 v[87:88], v[41:42], v[115:116]
	s_waitcnt vmcnt(0)
	v_mul_f64 v[97:98], v[43:44], v[115:116]
	v_fma_f64 v[115:116], v[43:44], v[113:114], v[87:88]
	v_fma_f64 v[97:98], v[41:42], v[113:114], -v[97:98]
	s_waitcnt lgkmcnt(0)
	v_mul_f64 v[85:86], v[101:102], v[115:116]
	v_mov_b32_e32 v114, v98
	v_mov_b32_e32 v113, v97
	v_fma_f64 v[85:86], v[99:100], v[97:98], -v[85:86]
	v_mul_f64 v[99:100], v[99:100], v[115:116]
	v_add_f64 v[93:94], v[93:94], -v[85:86]
	v_fma_f64 v[99:100], v[101:102], v[97:98], v[99:100]
	v_add_f64 v[95:96], v[95:96], -v[99:100]
	ds_read2_b64 v[99:102], v0 offset0:38 offset1:39
	s_waitcnt lgkmcnt(0)
	v_mul_f64 v[85:86], v[101:102], v[115:116]
	v_fma_f64 v[85:86], v[99:100], v[97:98], -v[85:86]
	v_mul_f64 v[99:100], v[99:100], v[115:116]
	v_add_f64 v[77:78], v[77:78], -v[85:86]
	v_fma_f64 v[99:100], v[101:102], v[97:98], v[99:100]
	v_add_f64 v[79:80], v[79:80], -v[99:100]
	ds_read2_b64 v[99:102], v0 offset0:40 offset1:41
	s_waitcnt lgkmcnt(0)
	v_mul_f64 v[85:86], v[101:102], v[115:116]
	;; [unrolled: 8-line block ×8, first 2 shown]
	v_fma_f64 v[85:86], v[99:100], v[97:98], -v[85:86]
	v_mul_f64 v[99:100], v[99:100], v[115:116]
	v_add_f64 v[49:50], v[49:50], -v[85:86]
	v_fma_f64 v[99:100], v[101:102], v[97:98], v[99:100]
	v_add_f64 v[51:52], v[51:52], -v[99:100]
	ds_read2_b64 v[99:102], v0 offset0:54 offset1:55
	buffer_load_dword v41, off, s[20:23], 0 offset:132 ; 4-byte Folded Reload
	buffer_load_dword v42, off, s[20:23], 0 offset:136 ; 4-byte Folded Reload
	buffer_load_dword v43, off, s[20:23], 0 offset:140 ; 4-byte Folded Reload
	buffer_load_dword v44, off, s[20:23], 0 offset:144 ; 4-byte Folded Reload
	s_waitcnt lgkmcnt(0)
	v_mul_f64 v[85:86], v[101:102], v[115:116]
	v_fma_f64 v[85:86], v[99:100], v[97:98], -v[85:86]
	v_mul_f64 v[99:100], v[99:100], v[115:116]
	v_fma_f64 v[99:100], v[101:102], v[97:98], v[99:100]
	s_waitcnt vmcnt(2)
	v_add_f64 v[41:42], v[41:42], -v[85:86]
	s_waitcnt vmcnt(0)
	v_add_f64 v[43:44], v[43:44], -v[99:100]
	buffer_store_dword v41, off, s[20:23], 0 offset:132 ; 4-byte Folded Spill
	s_nop 0
	buffer_store_dword v42, off, s[20:23], 0 offset:136 ; 4-byte Folded Spill
	buffer_store_dword v43, off, s[20:23], 0 offset:140 ; 4-byte Folded Spill
	buffer_store_dword v44, off, s[20:23], 0 offset:144 ; 4-byte Folded Spill
	ds_read2_b64 v[99:102], v0 offset0:56 offset1:57
	buffer_load_dword v41, off, s[20:23], 0 offset:116 ; 4-byte Folded Reload
	buffer_load_dword v42, off, s[20:23], 0 offset:120 ; 4-byte Folded Reload
	buffer_load_dword v43, off, s[20:23], 0 offset:124 ; 4-byte Folded Reload
	buffer_load_dword v44, off, s[20:23], 0 offset:128 ; 4-byte Folded Reload
	s_waitcnt lgkmcnt(0)
	v_mul_f64 v[85:86], v[101:102], v[115:116]
	v_fma_f64 v[85:86], v[99:100], v[97:98], -v[85:86]
	v_mul_f64 v[99:100], v[99:100], v[115:116]
	v_fma_f64 v[99:100], v[101:102], v[97:98], v[99:100]
	s_waitcnt vmcnt(2)
	v_add_f64 v[41:42], v[41:42], -v[85:86]
	s_waitcnt vmcnt(0)
	v_add_f64 v[43:44], v[43:44], -v[99:100]
	buffer_store_dword v41, off, s[20:23], 0 offset:116 ; 4-byte Folded Spill
	s_nop 0
	buffer_store_dword v42, off, s[20:23], 0 offset:120 ; 4-byte Folded Spill
	buffer_store_dword v43, off, s[20:23], 0 offset:124 ; 4-byte Folded Spill
	buffer_store_dword v44, off, s[20:23], 0 offset:128 ; 4-byte Folded Spill
	;; [unrolled: 19-line block ×9, first 2 shown]
	ds_read2_b64 v[99:102], v0 offset0:72 offset1:73
	s_waitcnt lgkmcnt(0)
	v_mul_f64 v[85:86], v[101:102], v[115:116]
	v_fma_f64 v[85:86], v[99:100], v[97:98], -v[85:86]
	v_mul_f64 v[99:100], v[99:100], v[115:116]
	v_add_f64 v[81:82], v[81:82], -v[85:86]
	v_fma_f64 v[99:100], v[101:102], v[97:98], v[99:100]
	v_add_f64 v[83:84], v[83:84], -v[99:100]
	ds_read2_b64 v[99:102], v0 offset0:74 offset1:75
	buffer_load_dword v41, off, s[20:23], 0 offset:148 ; 4-byte Folded Reload
	buffer_load_dword v42, off, s[20:23], 0 offset:152 ; 4-byte Folded Reload
	;; [unrolled: 1-line block ×4, first 2 shown]
	s_waitcnt lgkmcnt(0)
	v_mul_f64 v[85:86], v[101:102], v[115:116]
	v_fma_f64 v[85:86], v[99:100], v[97:98], -v[85:86]
	v_mul_f64 v[99:100], v[99:100], v[115:116]
	v_fma_f64 v[99:100], v[101:102], v[97:98], v[99:100]
	s_waitcnt vmcnt(2)
	v_add_f64 v[41:42], v[41:42], -v[85:86]
	s_waitcnt vmcnt(0)
	v_add_f64 v[43:44], v[43:44], -v[99:100]
	buffer_store_dword v41, off, s[20:23], 0 offset:148 ; 4-byte Folded Spill
	s_nop 0
	buffer_store_dword v42, off, s[20:23], 0 offset:152 ; 4-byte Folded Spill
	buffer_store_dword v43, off, s[20:23], 0 offset:156 ; 4-byte Folded Spill
	;; [unrolled: 1-line block ×3, first 2 shown]
	ds_read2_b64 v[99:102], v0 offset0:76 offset1:77
	s_waitcnt lgkmcnt(0)
	v_mul_f64 v[85:86], v[101:102], v[115:116]
	v_fma_f64 v[85:86], v[99:100], v[97:98], -v[85:86]
	v_mul_f64 v[99:100], v[99:100], v[115:116]
	v_add_f64 v[1:2], v[1:2], -v[85:86]
	v_fma_f64 v[99:100], v[101:102], v[97:98], v[99:100]
	v_add_f64 v[3:4], v[3:4], -v[99:100]
	ds_read2_b64 v[99:102], v0 offset0:78 offset1:79
	s_waitcnt lgkmcnt(0)
	v_mul_f64 v[85:86], v[101:102], v[115:116]
	v_fma_f64 v[85:86], v[99:100], v[97:98], -v[85:86]
	v_mul_f64 v[99:100], v[99:100], v[115:116]
	v_add_f64 v[45:46], v[45:46], -v[85:86]
	v_fma_f64 v[99:100], v[101:102], v[97:98], v[99:100]
	v_add_f64 v[47:48], v[47:48], -v[99:100]
.LBB79_163:
	s_or_b64 exec, exec, s[2:3]
	s_waitcnt vmcnt(0)
	s_barrier
	buffer_load_dword v41, off, s[20:23], 0 ; 4-byte Folded Reload
	s_waitcnt vmcnt(0)
	v_cmp_eq_u32_e32 vcc, 18, v41
	s_mov_b64 s[4:5], exec
	buffer_load_dword v85, off, s[20:23], 0 offset:148 ; 4-byte Folded Reload
	buffer_load_dword v86, off, s[20:23], 0 offset:152 ; 4-byte Folded Reload
	;; [unrolled: 1-line block ×4, first 2 shown]
	s_and_b64 s[2:3], s[4:5], vcc
	s_mov_b64 exec, s[2:3]
	s_cbranch_execz .LBB79_170
; %bb.164:
	ds_write2_b64 v127, v[93:94], v[95:96] offset1:1
	ds_write2_b64 v0, v[77:78], v[79:80] offset0:38 offset1:39
	ds_write2_b64 v0, v[73:74], v[75:76] offset0:40 offset1:41
	;; [unrolled: 1-line block ×8, first 2 shown]
	buffer_load_dword v41, off, s[20:23], 0 offset:132 ; 4-byte Folded Reload
	buffer_load_dword v42, off, s[20:23], 0 offset:136 ; 4-byte Folded Reload
	buffer_load_dword v43, off, s[20:23], 0 offset:140 ; 4-byte Folded Reload
	buffer_load_dword v44, off, s[20:23], 0 offset:144 ; 4-byte Folded Reload
	s_waitcnt vmcnt(0)
	ds_write2_b64 v0, v[41:42], v[43:44] offset0:54 offset1:55
	buffer_load_dword v41, off, s[20:23], 0 offset:116 ; 4-byte Folded Reload
	buffer_load_dword v42, off, s[20:23], 0 offset:120 ; 4-byte Folded Reload
	buffer_load_dword v43, off, s[20:23], 0 offset:124 ; 4-byte Folded Reload
	buffer_load_dword v44, off, s[20:23], 0 offset:128 ; 4-byte Folded Reload
	s_waitcnt vmcnt(0)
	ds_write2_b64 v0, v[41:42], v[43:44] offset0:56 offset1:57
	;; [unrolled: 6-line block ×9, first 2 shown]
	ds_write2_b64 v0, v[81:82], v[83:84] offset0:72 offset1:73
	ds_write2_b64 v0, v[85:86], v[87:88] offset0:74 offset1:75
	;; [unrolled: 1-line block ×4, first 2 shown]
	ds_read2_b64 v[97:100], v127 offset1:1
	s_waitcnt lgkmcnt(0)
	v_cmp_neq_f64_e32 vcc, 0, v[97:98]
	v_cmp_neq_f64_e64 s[2:3], 0, v[99:100]
	s_or_b64 s[2:3], vcc, s[2:3]
	s_and_b64 exec, exec, s[2:3]
	s_cbranch_execz .LBB79_170
; %bb.165:
	v_cmp_ngt_f64_e64 s[2:3], |v[97:98]|, |v[99:100]|
                                        ; implicit-def: $vgpr101_vgpr102
	s_and_saveexec_b64 s[6:7], s[2:3]
	s_xor_b64 s[2:3], exec, s[6:7]
                                        ; implicit-def: $vgpr103_vgpr104
	s_cbranch_execz .LBB79_167
; %bb.166:
	v_div_scale_f64 v[101:102], s[6:7], v[99:100], v[99:100], v[97:98]
	v_rcp_f64_e32 v[103:104], v[101:102]
	v_fma_f64 v[105:106], -v[101:102], v[103:104], 1.0
	v_fma_f64 v[103:104], v[103:104], v[105:106], v[103:104]
	v_div_scale_f64 v[105:106], vcc, v[97:98], v[99:100], v[97:98]
	v_fma_f64 v[107:108], -v[101:102], v[103:104], 1.0
	v_fma_f64 v[103:104], v[103:104], v[107:108], v[103:104]
	v_mul_f64 v[107:108], v[105:106], v[103:104]
	v_fma_f64 v[101:102], -v[101:102], v[107:108], v[105:106]
	v_div_fmas_f64 v[101:102], v[101:102], v[103:104], v[107:108]
	v_div_fixup_f64 v[101:102], v[101:102], v[99:100], v[97:98]
	v_fma_f64 v[97:98], v[97:98], v[101:102], v[99:100]
	v_div_scale_f64 v[99:100], s[6:7], v[97:98], v[97:98], 1.0
	v_div_scale_f64 v[107:108], vcc, 1.0, v[97:98], 1.0
	v_rcp_f64_e32 v[103:104], v[99:100]
	v_fma_f64 v[105:106], -v[99:100], v[103:104], 1.0
	v_fma_f64 v[103:104], v[103:104], v[105:106], v[103:104]
	v_fma_f64 v[105:106], -v[99:100], v[103:104], 1.0
	v_fma_f64 v[103:104], v[103:104], v[105:106], v[103:104]
	v_mul_f64 v[105:106], v[107:108], v[103:104]
	v_fma_f64 v[99:100], -v[99:100], v[105:106], v[107:108]
	v_div_fmas_f64 v[99:100], v[99:100], v[103:104], v[105:106]
	v_div_fixup_f64 v[103:104], v[99:100], v[97:98], 1.0
                                        ; implicit-def: $vgpr97_vgpr98
	v_mul_f64 v[101:102], v[101:102], v[103:104]
	v_xor_b32_e32 v104, 0x80000000, v104
.LBB79_167:
	s_andn2_saveexec_b64 s[2:3], s[2:3]
	s_cbranch_execz .LBB79_169
; %bb.168:
	v_div_scale_f64 v[101:102], s[6:7], v[97:98], v[97:98], v[99:100]
	v_rcp_f64_e32 v[103:104], v[101:102]
	v_fma_f64 v[105:106], -v[101:102], v[103:104], 1.0
	v_fma_f64 v[103:104], v[103:104], v[105:106], v[103:104]
	v_div_scale_f64 v[105:106], vcc, v[99:100], v[97:98], v[99:100]
	v_fma_f64 v[107:108], -v[101:102], v[103:104], 1.0
	v_fma_f64 v[103:104], v[103:104], v[107:108], v[103:104]
	v_mul_f64 v[107:108], v[105:106], v[103:104]
	v_fma_f64 v[101:102], -v[101:102], v[107:108], v[105:106]
	v_div_fmas_f64 v[101:102], v[101:102], v[103:104], v[107:108]
	v_div_fixup_f64 v[103:104], v[101:102], v[97:98], v[99:100]
	v_fma_f64 v[97:98], v[99:100], v[103:104], v[97:98]
	v_div_scale_f64 v[99:100], s[6:7], v[97:98], v[97:98], 1.0
	v_div_scale_f64 v[107:108], vcc, 1.0, v[97:98], 1.0
	v_rcp_f64_e32 v[101:102], v[99:100]
	v_fma_f64 v[105:106], -v[99:100], v[101:102], 1.0
	v_fma_f64 v[101:102], v[101:102], v[105:106], v[101:102]
	v_fma_f64 v[105:106], -v[99:100], v[101:102], 1.0
	v_fma_f64 v[101:102], v[101:102], v[105:106], v[101:102]
	v_mul_f64 v[105:106], v[107:108], v[101:102]
	v_fma_f64 v[99:100], -v[99:100], v[105:106], v[107:108]
	v_div_fmas_f64 v[99:100], v[99:100], v[101:102], v[105:106]
	v_div_fixup_f64 v[101:102], v[99:100], v[97:98], 1.0
	v_mul_f64 v[103:104], v[103:104], -v[101:102]
.LBB79_169:
	s_or_b64 exec, exec, s[2:3]
	ds_write2_b64 v127, v[101:102], v[103:104] offset1:1
.LBB79_170:
	s_or_b64 exec, exec, s[4:5]
	s_waitcnt vmcnt(0) lgkmcnt(0)
	s_barrier
	ds_read2_b64 v[41:44], v127 offset1:1
	s_waitcnt lgkmcnt(0)
	buffer_store_dword v41, off, s[20:23], 0 offset:900 ; 4-byte Folded Spill
	s_nop 0
	buffer_store_dword v42, off, s[20:23], 0 offset:904 ; 4-byte Folded Spill
	buffer_store_dword v43, off, s[20:23], 0 offset:908 ; 4-byte Folded Spill
	;; [unrolled: 1-line block ×3, first 2 shown]
	buffer_load_dword v41, off, s[20:23], 0 ; 4-byte Folded Reload
	s_waitcnt vmcnt(0)
	v_cmp_lt_u32_e32 vcc, 18, v41
	s_and_saveexec_b64 s[2:3], vcc
	s_cbranch_execz .LBB79_172
; %bb.171:
	buffer_load_dword v41, off, s[20:23], 0 offset:900 ; 4-byte Folded Reload
	buffer_load_dword v42, off, s[20:23], 0 offset:904 ; 4-byte Folded Reload
	;; [unrolled: 1-line block ×4, first 2 shown]
	v_mov_b32_e32 v106, v84
	v_mov_b32_e32 v105, v83
	;; [unrolled: 1-line block ×4, first 2 shown]
	ds_read2_b64 v[99:102], v0 offset0:38 offset1:39
	s_waitcnt vmcnt(2)
	v_mul_f64 v[83:84], v[41:42], v[95:96]
	s_waitcnt vmcnt(0)
	v_mul_f64 v[97:98], v[43:44], v[95:96]
	v_fma_f64 v[95:96], v[43:44], v[93:94], v[83:84]
	v_fma_f64 v[97:98], v[41:42], v[93:94], -v[97:98]
	s_waitcnt lgkmcnt(0)
	v_mul_f64 v[81:82], v[101:102], v[95:96]
	v_mov_b32_e32 v93, v97
	v_mov_b32_e32 v94, v98
	v_fma_f64 v[81:82], v[99:100], v[97:98], -v[81:82]
	v_mul_f64 v[99:100], v[99:100], v[95:96]
	v_add_f64 v[77:78], v[77:78], -v[81:82]
	v_fma_f64 v[99:100], v[101:102], v[97:98], v[99:100]
	v_add_f64 v[79:80], v[79:80], -v[99:100]
	ds_read2_b64 v[99:102], v0 offset0:40 offset1:41
	s_waitcnt lgkmcnt(0)
	v_mul_f64 v[81:82], v[101:102], v[95:96]
	v_fma_f64 v[81:82], v[99:100], v[97:98], -v[81:82]
	v_mul_f64 v[99:100], v[99:100], v[95:96]
	v_add_f64 v[73:74], v[73:74], -v[81:82]
	v_fma_f64 v[99:100], v[101:102], v[97:98], v[99:100]
	v_add_f64 v[75:76], v[75:76], -v[99:100]
	ds_read2_b64 v[99:102], v0 offset0:42 offset1:43
	s_waitcnt lgkmcnt(0)
	v_mul_f64 v[81:82], v[101:102], v[95:96]
	;; [unrolled: 8-line block ×7, first 2 shown]
	v_fma_f64 v[81:82], v[99:100], v[97:98], -v[81:82]
	v_mul_f64 v[99:100], v[99:100], v[95:96]
	v_add_f64 v[49:50], v[49:50], -v[81:82]
	v_fma_f64 v[99:100], v[101:102], v[97:98], v[99:100]
	v_add_f64 v[51:52], v[51:52], -v[99:100]
	ds_read2_b64 v[99:102], v0 offset0:54 offset1:55
	buffer_load_dword v41, off, s[20:23], 0 offset:132 ; 4-byte Folded Reload
	buffer_load_dword v42, off, s[20:23], 0 offset:136 ; 4-byte Folded Reload
	buffer_load_dword v43, off, s[20:23], 0 offset:140 ; 4-byte Folded Reload
	buffer_load_dword v44, off, s[20:23], 0 offset:144 ; 4-byte Folded Reload
	s_waitcnt lgkmcnt(0)
	v_mul_f64 v[81:82], v[101:102], v[95:96]
	v_fma_f64 v[81:82], v[99:100], v[97:98], -v[81:82]
	v_mul_f64 v[99:100], v[99:100], v[95:96]
	v_fma_f64 v[99:100], v[101:102], v[97:98], v[99:100]
	s_waitcnt vmcnt(2)
	v_add_f64 v[41:42], v[41:42], -v[81:82]
	s_waitcnt vmcnt(0)
	v_add_f64 v[43:44], v[43:44], -v[99:100]
	buffer_store_dword v41, off, s[20:23], 0 offset:132 ; 4-byte Folded Spill
	s_nop 0
	buffer_store_dword v42, off, s[20:23], 0 offset:136 ; 4-byte Folded Spill
	buffer_store_dword v43, off, s[20:23], 0 offset:140 ; 4-byte Folded Spill
	buffer_store_dword v44, off, s[20:23], 0 offset:144 ; 4-byte Folded Spill
	ds_read2_b64 v[99:102], v0 offset0:56 offset1:57
	buffer_load_dword v41, off, s[20:23], 0 offset:116 ; 4-byte Folded Reload
	buffer_load_dword v42, off, s[20:23], 0 offset:120 ; 4-byte Folded Reload
	buffer_load_dword v43, off, s[20:23], 0 offset:124 ; 4-byte Folded Reload
	buffer_load_dword v44, off, s[20:23], 0 offset:128 ; 4-byte Folded Reload
	s_waitcnt lgkmcnt(0)
	v_mul_f64 v[81:82], v[101:102], v[95:96]
	v_fma_f64 v[81:82], v[99:100], v[97:98], -v[81:82]
	v_mul_f64 v[99:100], v[99:100], v[95:96]
	v_fma_f64 v[99:100], v[101:102], v[97:98], v[99:100]
	s_waitcnt vmcnt(2)
	v_add_f64 v[41:42], v[41:42], -v[81:82]
	s_waitcnt vmcnt(0)
	v_add_f64 v[43:44], v[43:44], -v[99:100]
	buffer_store_dword v41, off, s[20:23], 0 offset:116 ; 4-byte Folded Spill
	s_nop 0
	buffer_store_dword v42, off, s[20:23], 0 offset:120 ; 4-byte Folded Spill
	buffer_store_dword v43, off, s[20:23], 0 offset:124 ; 4-byte Folded Spill
	buffer_store_dword v44, off, s[20:23], 0 offset:128 ; 4-byte Folded Spill
	;; [unrolled: 19-line block ×9, first 2 shown]
	ds_read2_b64 v[99:102], v0 offset0:72 offset1:73
	s_waitcnt lgkmcnt(0)
	v_mul_f64 v[81:82], v[101:102], v[95:96]
	v_fma_f64 v[81:82], v[99:100], v[97:98], -v[81:82]
	v_mul_f64 v[99:100], v[99:100], v[95:96]
	v_add_f64 v[103:104], v[103:104], -v[81:82]
	v_fma_f64 v[99:100], v[101:102], v[97:98], v[99:100]
	v_add_f64 v[105:106], v[105:106], -v[99:100]
	ds_read2_b64 v[99:102], v0 offset0:74 offset1:75
	s_waitcnt lgkmcnt(0)
	v_mul_f64 v[81:82], v[101:102], v[95:96]
	v_fma_f64 v[81:82], v[99:100], v[97:98], -v[81:82]
	v_mul_f64 v[99:100], v[99:100], v[95:96]
	v_add_f64 v[85:86], v[85:86], -v[81:82]
	v_fma_f64 v[99:100], v[101:102], v[97:98], v[99:100]
	v_add_f64 v[87:88], v[87:88], -v[99:100]
	;; [unrolled: 8-line block ×3, first 2 shown]
	ds_read2_b64 v[99:102], v0 offset0:78 offset1:79
	s_waitcnt lgkmcnt(0)
	v_mul_f64 v[81:82], v[101:102], v[95:96]
	v_fma_f64 v[81:82], v[99:100], v[97:98], -v[81:82]
	v_mul_f64 v[99:100], v[99:100], v[95:96]
	v_add_f64 v[45:46], v[45:46], -v[81:82]
	v_fma_f64 v[99:100], v[101:102], v[97:98], v[99:100]
	v_mov_b32_e32 v81, v103
	v_mov_b32_e32 v82, v104
	;; [unrolled: 1-line block ×4, first 2 shown]
	v_add_f64 v[47:48], v[47:48], -v[99:100]
.LBB79_172:
	s_or_b64 exec, exec, s[2:3]
	s_waitcnt vmcnt(0)
	s_barrier
	buffer_load_dword v41, off, s[20:23], 0 ; 4-byte Folded Reload
	s_waitcnt vmcnt(0)
	v_cmp_eq_u32_e32 vcc, 19, v41
	s_and_saveexec_b64 s[4:5], vcc
	s_cbranch_execz .LBB79_179
; %bb.173:
	ds_write2_b64 v127, v[77:78], v[79:80] offset1:1
	ds_write2_b64 v0, v[73:74], v[75:76] offset0:40 offset1:41
	ds_write2_b64 v0, v[69:70], v[71:72] offset0:42 offset1:43
	;; [unrolled: 1-line block ×7, first 2 shown]
	buffer_load_dword v41, off, s[20:23], 0 offset:132 ; 4-byte Folded Reload
	buffer_load_dword v42, off, s[20:23], 0 offset:136 ; 4-byte Folded Reload
	buffer_load_dword v43, off, s[20:23], 0 offset:140 ; 4-byte Folded Reload
	buffer_load_dword v44, off, s[20:23], 0 offset:144 ; 4-byte Folded Reload
	s_waitcnt vmcnt(0)
	ds_write2_b64 v0, v[41:42], v[43:44] offset0:54 offset1:55
	buffer_load_dword v41, off, s[20:23], 0 offset:116 ; 4-byte Folded Reload
	buffer_load_dword v42, off, s[20:23], 0 offset:120 ; 4-byte Folded Reload
	buffer_load_dword v43, off, s[20:23], 0 offset:124 ; 4-byte Folded Reload
	buffer_load_dword v44, off, s[20:23], 0 offset:128 ; 4-byte Folded Reload
	s_waitcnt vmcnt(0)
	ds_write2_b64 v0, v[41:42], v[43:44] offset0:56 offset1:57
	;; [unrolled: 6-line block ×9, first 2 shown]
	ds_write2_b64 v0, v[81:82], v[83:84] offset0:72 offset1:73
	ds_write2_b64 v0, v[85:86], v[87:88] offset0:74 offset1:75
	;; [unrolled: 1-line block ×4, first 2 shown]
	ds_read2_b64 v[97:100], v127 offset1:1
	s_waitcnt lgkmcnt(0)
	v_cmp_neq_f64_e32 vcc, 0, v[97:98]
	v_cmp_neq_f64_e64 s[2:3], 0, v[99:100]
	s_or_b64 s[2:3], vcc, s[2:3]
	s_and_b64 exec, exec, s[2:3]
	s_cbranch_execz .LBB79_179
; %bb.174:
	v_cmp_ngt_f64_e64 s[2:3], |v[97:98]|, |v[99:100]|
                                        ; implicit-def: $vgpr101_vgpr102
	s_and_saveexec_b64 s[6:7], s[2:3]
	s_xor_b64 s[2:3], exec, s[6:7]
                                        ; implicit-def: $vgpr103_vgpr104
	s_cbranch_execz .LBB79_176
; %bb.175:
	v_div_scale_f64 v[101:102], s[6:7], v[99:100], v[99:100], v[97:98]
	v_rcp_f64_e32 v[103:104], v[101:102]
	v_fma_f64 v[105:106], -v[101:102], v[103:104], 1.0
	v_fma_f64 v[103:104], v[103:104], v[105:106], v[103:104]
	v_div_scale_f64 v[105:106], vcc, v[97:98], v[99:100], v[97:98]
	v_fma_f64 v[107:108], -v[101:102], v[103:104], 1.0
	v_fma_f64 v[103:104], v[103:104], v[107:108], v[103:104]
	v_mul_f64 v[107:108], v[105:106], v[103:104]
	v_fma_f64 v[101:102], -v[101:102], v[107:108], v[105:106]
	v_div_fmas_f64 v[101:102], v[101:102], v[103:104], v[107:108]
	v_div_fixup_f64 v[101:102], v[101:102], v[99:100], v[97:98]
	v_fma_f64 v[97:98], v[97:98], v[101:102], v[99:100]
	v_div_scale_f64 v[99:100], s[6:7], v[97:98], v[97:98], 1.0
	v_div_scale_f64 v[107:108], vcc, 1.0, v[97:98], 1.0
	v_rcp_f64_e32 v[103:104], v[99:100]
	v_fma_f64 v[105:106], -v[99:100], v[103:104], 1.0
	v_fma_f64 v[103:104], v[103:104], v[105:106], v[103:104]
	v_fma_f64 v[105:106], -v[99:100], v[103:104], 1.0
	v_fma_f64 v[103:104], v[103:104], v[105:106], v[103:104]
	v_mul_f64 v[105:106], v[107:108], v[103:104]
	v_fma_f64 v[99:100], -v[99:100], v[105:106], v[107:108]
	v_div_fmas_f64 v[99:100], v[99:100], v[103:104], v[105:106]
	v_div_fixup_f64 v[103:104], v[99:100], v[97:98], 1.0
                                        ; implicit-def: $vgpr97_vgpr98
	v_mul_f64 v[101:102], v[101:102], v[103:104]
	v_xor_b32_e32 v104, 0x80000000, v104
.LBB79_176:
	s_andn2_saveexec_b64 s[2:3], s[2:3]
	s_cbranch_execz .LBB79_178
; %bb.177:
	v_div_scale_f64 v[101:102], s[6:7], v[97:98], v[97:98], v[99:100]
	v_rcp_f64_e32 v[103:104], v[101:102]
	v_fma_f64 v[105:106], -v[101:102], v[103:104], 1.0
	v_fma_f64 v[103:104], v[103:104], v[105:106], v[103:104]
	v_div_scale_f64 v[105:106], vcc, v[99:100], v[97:98], v[99:100]
	v_fma_f64 v[107:108], -v[101:102], v[103:104], 1.0
	v_fma_f64 v[103:104], v[103:104], v[107:108], v[103:104]
	v_mul_f64 v[107:108], v[105:106], v[103:104]
	v_fma_f64 v[101:102], -v[101:102], v[107:108], v[105:106]
	v_div_fmas_f64 v[101:102], v[101:102], v[103:104], v[107:108]
	v_div_fixup_f64 v[103:104], v[101:102], v[97:98], v[99:100]
	v_fma_f64 v[97:98], v[99:100], v[103:104], v[97:98]
	v_div_scale_f64 v[99:100], s[6:7], v[97:98], v[97:98], 1.0
	v_div_scale_f64 v[107:108], vcc, 1.0, v[97:98], 1.0
	v_rcp_f64_e32 v[101:102], v[99:100]
	v_fma_f64 v[105:106], -v[99:100], v[101:102], 1.0
	v_fma_f64 v[101:102], v[101:102], v[105:106], v[101:102]
	v_fma_f64 v[105:106], -v[99:100], v[101:102], 1.0
	v_fma_f64 v[101:102], v[101:102], v[105:106], v[101:102]
	v_mul_f64 v[105:106], v[107:108], v[101:102]
	v_fma_f64 v[99:100], -v[99:100], v[105:106], v[107:108]
	v_div_fmas_f64 v[99:100], v[99:100], v[101:102], v[105:106]
	v_div_fixup_f64 v[101:102], v[99:100], v[97:98], 1.0
	v_mul_f64 v[103:104], v[103:104], -v[101:102]
.LBB79_178:
	s_or_b64 exec, exec, s[2:3]
	ds_write2_b64 v127, v[101:102], v[103:104] offset1:1
.LBB79_179:
	s_or_b64 exec, exec, s[4:5]
	s_waitcnt lgkmcnt(0)
	s_barrier
	ds_read2_b64 v[41:44], v127 offset1:1
	s_waitcnt lgkmcnt(0)
	buffer_store_dword v41, off, s[20:23], 0 offset:916 ; 4-byte Folded Spill
	s_nop 0
	buffer_store_dword v42, off, s[20:23], 0 offset:920 ; 4-byte Folded Spill
	buffer_store_dword v43, off, s[20:23], 0 offset:924 ; 4-byte Folded Spill
	;; [unrolled: 1-line block ×3, first 2 shown]
	buffer_load_dword v41, off, s[20:23], 0 ; 4-byte Folded Reload
	s_waitcnt vmcnt(0)
	v_cmp_lt_u32_e32 vcc, 19, v41
	s_and_saveexec_b64 s[2:3], vcc
	s_cbranch_execz .LBB79_181
; %bb.180:
	buffer_load_dword v41, off, s[20:23], 0 offset:916 ; 4-byte Folded Reload
	buffer_load_dword v42, off, s[20:23], 0 offset:920 ; 4-byte Folded Reload
	;; [unrolled: 1-line block ×4, first 2 shown]
	ds_read2_b64 v[99:102], v0 offset0:40 offset1:41
	s_waitcnt vmcnt(0)
	v_mul_f64 v[97:98], v[43:44], v[79:80]
	v_mul_f64 v[79:80], v[41:42], v[79:80]
	v_fma_f64 v[97:98], v[41:42], v[77:78], -v[97:98]
	v_fma_f64 v[79:80], v[43:44], v[77:78], v[79:80]
	s_waitcnt lgkmcnt(0)
	v_mul_f64 v[77:78], v[101:102], v[79:80]
	v_fma_f64 v[77:78], v[99:100], v[97:98], -v[77:78]
	v_mul_f64 v[99:100], v[99:100], v[79:80]
	v_add_f64 v[73:74], v[73:74], -v[77:78]
	v_fma_f64 v[99:100], v[101:102], v[97:98], v[99:100]
	v_add_f64 v[75:76], v[75:76], -v[99:100]
	ds_read2_b64 v[99:102], v0 offset0:42 offset1:43
	s_waitcnt lgkmcnt(0)
	v_mul_f64 v[77:78], v[101:102], v[79:80]
	v_fma_f64 v[77:78], v[99:100], v[97:98], -v[77:78]
	v_mul_f64 v[99:100], v[99:100], v[79:80]
	v_add_f64 v[69:70], v[69:70], -v[77:78]
	v_fma_f64 v[99:100], v[101:102], v[97:98], v[99:100]
	v_add_f64 v[71:72], v[71:72], -v[99:100]
	ds_read2_b64 v[99:102], v0 offset0:44 offset1:45
	;; [unrolled: 8-line block ×7, first 2 shown]
	buffer_load_dword v41, off, s[20:23], 0 offset:132 ; 4-byte Folded Reload
	buffer_load_dword v42, off, s[20:23], 0 offset:136 ; 4-byte Folded Reload
	buffer_load_dword v43, off, s[20:23], 0 offset:140 ; 4-byte Folded Reload
	buffer_load_dword v44, off, s[20:23], 0 offset:144 ; 4-byte Folded Reload
	s_waitcnt lgkmcnt(0)
	v_mul_f64 v[77:78], v[101:102], v[79:80]
	v_fma_f64 v[77:78], v[99:100], v[97:98], -v[77:78]
	v_mul_f64 v[99:100], v[99:100], v[79:80]
	v_fma_f64 v[99:100], v[101:102], v[97:98], v[99:100]
	s_waitcnt vmcnt(2)
	v_add_f64 v[41:42], v[41:42], -v[77:78]
	s_waitcnt vmcnt(0)
	v_add_f64 v[43:44], v[43:44], -v[99:100]
	buffer_store_dword v41, off, s[20:23], 0 offset:132 ; 4-byte Folded Spill
	s_nop 0
	buffer_store_dword v42, off, s[20:23], 0 offset:136 ; 4-byte Folded Spill
	buffer_store_dword v43, off, s[20:23], 0 offset:140 ; 4-byte Folded Spill
	buffer_store_dword v44, off, s[20:23], 0 offset:144 ; 4-byte Folded Spill
	ds_read2_b64 v[99:102], v0 offset0:56 offset1:57
	buffer_load_dword v41, off, s[20:23], 0 offset:116 ; 4-byte Folded Reload
	buffer_load_dword v42, off, s[20:23], 0 offset:120 ; 4-byte Folded Reload
	buffer_load_dword v43, off, s[20:23], 0 offset:124 ; 4-byte Folded Reload
	buffer_load_dword v44, off, s[20:23], 0 offset:128 ; 4-byte Folded Reload
	s_waitcnt lgkmcnt(0)
	v_mul_f64 v[77:78], v[101:102], v[79:80]
	v_fma_f64 v[77:78], v[99:100], v[97:98], -v[77:78]
	v_mul_f64 v[99:100], v[99:100], v[79:80]
	v_fma_f64 v[99:100], v[101:102], v[97:98], v[99:100]
	s_waitcnt vmcnt(2)
	v_add_f64 v[41:42], v[41:42], -v[77:78]
	s_waitcnt vmcnt(0)
	v_add_f64 v[43:44], v[43:44], -v[99:100]
	buffer_store_dword v41, off, s[20:23], 0 offset:116 ; 4-byte Folded Spill
	s_nop 0
	buffer_store_dword v42, off, s[20:23], 0 offset:120 ; 4-byte Folded Spill
	buffer_store_dword v43, off, s[20:23], 0 offset:124 ; 4-byte Folded Spill
	buffer_store_dword v44, off, s[20:23], 0 offset:128 ; 4-byte Folded Spill
	ds_read2_b64 v[99:102], v0 offset0:58 offset1:59
	;; [unrolled: 19-line block ×9, first 2 shown]
	s_waitcnt lgkmcnt(0)
	v_mul_f64 v[77:78], v[101:102], v[79:80]
	v_fma_f64 v[77:78], v[99:100], v[97:98], -v[77:78]
	v_mul_f64 v[99:100], v[99:100], v[79:80]
	v_add_f64 v[81:82], v[81:82], -v[77:78]
	v_fma_f64 v[99:100], v[101:102], v[97:98], v[99:100]
	v_add_f64 v[83:84], v[83:84], -v[99:100]
	ds_read2_b64 v[99:102], v0 offset0:74 offset1:75
	s_waitcnt lgkmcnt(0)
	v_mul_f64 v[77:78], v[101:102], v[79:80]
	v_fma_f64 v[77:78], v[99:100], v[97:98], -v[77:78]
	v_mul_f64 v[99:100], v[99:100], v[79:80]
	v_add_f64 v[85:86], v[85:86], -v[77:78]
	v_fma_f64 v[99:100], v[101:102], v[97:98], v[99:100]
	v_add_f64 v[87:88], v[87:88], -v[99:100]
	ds_read2_b64 v[99:102], v0 offset0:76 offset1:77
	;; [unrolled: 8-line block ×3, first 2 shown]
	s_waitcnt lgkmcnt(0)
	v_mul_f64 v[77:78], v[101:102], v[79:80]
	v_fma_f64 v[77:78], v[99:100], v[97:98], -v[77:78]
	v_mul_f64 v[99:100], v[99:100], v[79:80]
	v_add_f64 v[45:46], v[45:46], -v[77:78]
	v_fma_f64 v[99:100], v[101:102], v[97:98], v[99:100]
	v_mov_b32_e32 v77, v97
	v_mov_b32_e32 v78, v98
	v_add_f64 v[47:48], v[47:48], -v[99:100]
.LBB79_181:
	s_or_b64 exec, exec, s[2:3]
	s_waitcnt vmcnt(0)
	s_barrier
	buffer_load_dword v41, off, s[20:23], 0 ; 4-byte Folded Reload
	s_waitcnt vmcnt(0)
	v_cmp_eq_u32_e32 vcc, 20, v41
	s_and_saveexec_b64 s[4:5], vcc
	s_cbranch_execz .LBB79_188
; %bb.182:
	ds_write2_b64 v127, v[73:74], v[75:76] offset1:1
	ds_write2_b64 v0, v[69:70], v[71:72] offset0:42 offset1:43
	ds_write2_b64 v0, v[65:66], v[67:68] offset0:44 offset1:45
	;; [unrolled: 1-line block ×6, first 2 shown]
	buffer_load_dword v41, off, s[20:23], 0 offset:132 ; 4-byte Folded Reload
	buffer_load_dword v42, off, s[20:23], 0 offset:136 ; 4-byte Folded Reload
	buffer_load_dword v43, off, s[20:23], 0 offset:140 ; 4-byte Folded Reload
	buffer_load_dword v44, off, s[20:23], 0 offset:144 ; 4-byte Folded Reload
	s_waitcnt vmcnt(0)
	ds_write2_b64 v0, v[41:42], v[43:44] offset0:54 offset1:55
	buffer_load_dword v41, off, s[20:23], 0 offset:116 ; 4-byte Folded Reload
	buffer_load_dword v42, off, s[20:23], 0 offset:120 ; 4-byte Folded Reload
	buffer_load_dword v43, off, s[20:23], 0 offset:124 ; 4-byte Folded Reload
	buffer_load_dword v44, off, s[20:23], 0 offset:128 ; 4-byte Folded Reload
	s_waitcnt vmcnt(0)
	ds_write2_b64 v0, v[41:42], v[43:44] offset0:56 offset1:57
	;; [unrolled: 6-line block ×9, first 2 shown]
	ds_write2_b64 v0, v[81:82], v[83:84] offset0:72 offset1:73
	ds_write2_b64 v0, v[85:86], v[87:88] offset0:74 offset1:75
	;; [unrolled: 1-line block ×4, first 2 shown]
	ds_read2_b64 v[97:100], v127 offset1:1
	s_waitcnt lgkmcnt(0)
	v_cmp_neq_f64_e32 vcc, 0, v[97:98]
	v_cmp_neq_f64_e64 s[2:3], 0, v[99:100]
	s_or_b64 s[2:3], vcc, s[2:3]
	s_and_b64 exec, exec, s[2:3]
	s_cbranch_execz .LBB79_188
; %bb.183:
	v_cmp_ngt_f64_e64 s[2:3], |v[97:98]|, |v[99:100]|
                                        ; implicit-def: $vgpr101_vgpr102
	s_and_saveexec_b64 s[6:7], s[2:3]
	s_xor_b64 s[2:3], exec, s[6:7]
                                        ; implicit-def: $vgpr103_vgpr104
	s_cbranch_execz .LBB79_185
; %bb.184:
	v_div_scale_f64 v[101:102], s[6:7], v[99:100], v[99:100], v[97:98]
	v_rcp_f64_e32 v[103:104], v[101:102]
	v_fma_f64 v[105:106], -v[101:102], v[103:104], 1.0
	v_fma_f64 v[103:104], v[103:104], v[105:106], v[103:104]
	v_div_scale_f64 v[105:106], vcc, v[97:98], v[99:100], v[97:98]
	v_fma_f64 v[107:108], -v[101:102], v[103:104], 1.0
	v_fma_f64 v[103:104], v[103:104], v[107:108], v[103:104]
	v_mul_f64 v[107:108], v[105:106], v[103:104]
	v_fma_f64 v[101:102], -v[101:102], v[107:108], v[105:106]
	v_div_fmas_f64 v[101:102], v[101:102], v[103:104], v[107:108]
	v_div_fixup_f64 v[101:102], v[101:102], v[99:100], v[97:98]
	v_fma_f64 v[97:98], v[97:98], v[101:102], v[99:100]
	v_div_scale_f64 v[99:100], s[6:7], v[97:98], v[97:98], 1.0
	v_div_scale_f64 v[107:108], vcc, 1.0, v[97:98], 1.0
	v_rcp_f64_e32 v[103:104], v[99:100]
	v_fma_f64 v[105:106], -v[99:100], v[103:104], 1.0
	v_fma_f64 v[103:104], v[103:104], v[105:106], v[103:104]
	v_fma_f64 v[105:106], -v[99:100], v[103:104], 1.0
	v_fma_f64 v[103:104], v[103:104], v[105:106], v[103:104]
	v_mul_f64 v[105:106], v[107:108], v[103:104]
	v_fma_f64 v[99:100], -v[99:100], v[105:106], v[107:108]
	v_div_fmas_f64 v[99:100], v[99:100], v[103:104], v[105:106]
	v_div_fixup_f64 v[103:104], v[99:100], v[97:98], 1.0
                                        ; implicit-def: $vgpr97_vgpr98
	v_mul_f64 v[101:102], v[101:102], v[103:104]
	v_xor_b32_e32 v104, 0x80000000, v104
.LBB79_185:
	s_andn2_saveexec_b64 s[2:3], s[2:3]
	s_cbranch_execz .LBB79_187
; %bb.186:
	v_div_scale_f64 v[101:102], s[6:7], v[97:98], v[97:98], v[99:100]
	v_rcp_f64_e32 v[103:104], v[101:102]
	v_fma_f64 v[105:106], -v[101:102], v[103:104], 1.0
	v_fma_f64 v[103:104], v[103:104], v[105:106], v[103:104]
	v_div_scale_f64 v[105:106], vcc, v[99:100], v[97:98], v[99:100]
	v_fma_f64 v[107:108], -v[101:102], v[103:104], 1.0
	v_fma_f64 v[103:104], v[103:104], v[107:108], v[103:104]
	v_mul_f64 v[107:108], v[105:106], v[103:104]
	v_fma_f64 v[101:102], -v[101:102], v[107:108], v[105:106]
	v_div_fmas_f64 v[101:102], v[101:102], v[103:104], v[107:108]
	v_div_fixup_f64 v[103:104], v[101:102], v[97:98], v[99:100]
	v_fma_f64 v[97:98], v[99:100], v[103:104], v[97:98]
	v_div_scale_f64 v[99:100], s[6:7], v[97:98], v[97:98], 1.0
	v_div_scale_f64 v[107:108], vcc, 1.0, v[97:98], 1.0
	v_rcp_f64_e32 v[101:102], v[99:100]
	v_fma_f64 v[105:106], -v[99:100], v[101:102], 1.0
	v_fma_f64 v[101:102], v[101:102], v[105:106], v[101:102]
	v_fma_f64 v[105:106], -v[99:100], v[101:102], 1.0
	v_fma_f64 v[101:102], v[101:102], v[105:106], v[101:102]
	v_mul_f64 v[105:106], v[107:108], v[101:102]
	v_fma_f64 v[99:100], -v[99:100], v[105:106], v[107:108]
	v_div_fmas_f64 v[99:100], v[99:100], v[101:102], v[105:106]
	v_div_fixup_f64 v[101:102], v[99:100], v[97:98], 1.0
	v_mul_f64 v[103:104], v[103:104], -v[101:102]
.LBB79_187:
	s_or_b64 exec, exec, s[2:3]
	ds_write2_b64 v127, v[101:102], v[103:104] offset1:1
.LBB79_188:
	s_or_b64 exec, exec, s[4:5]
	s_waitcnt lgkmcnt(0)
	s_barrier
	ds_read2_b64 v[41:44], v127 offset1:1
	s_waitcnt lgkmcnt(0)
	buffer_store_dword v41, off, s[20:23], 0 offset:932 ; 4-byte Folded Spill
	s_nop 0
	buffer_store_dword v42, off, s[20:23], 0 offset:936 ; 4-byte Folded Spill
	buffer_store_dword v43, off, s[20:23], 0 offset:940 ; 4-byte Folded Spill
	;; [unrolled: 1-line block ×3, first 2 shown]
	buffer_load_dword v41, off, s[20:23], 0 ; 4-byte Folded Reload
	s_waitcnt vmcnt(0)
	v_cmp_lt_u32_e32 vcc, 20, v41
	s_and_saveexec_b64 s[2:3], vcc
	s_cbranch_execz .LBB79_190
; %bb.189:
	buffer_load_dword v41, off, s[20:23], 0 offset:932 ; 4-byte Folded Reload
	buffer_load_dword v42, off, s[20:23], 0 offset:936 ; 4-byte Folded Reload
	;; [unrolled: 1-line block ×4, first 2 shown]
	ds_read2_b64 v[99:102], v0 offset0:42 offset1:43
	s_waitcnt vmcnt(0)
	v_mul_f64 v[97:98], v[43:44], v[75:76]
	v_mul_f64 v[75:76], v[41:42], v[75:76]
	v_fma_f64 v[97:98], v[41:42], v[73:74], -v[97:98]
	v_fma_f64 v[75:76], v[43:44], v[73:74], v[75:76]
	s_waitcnt lgkmcnt(0)
	v_mul_f64 v[73:74], v[101:102], v[75:76]
	v_fma_f64 v[73:74], v[99:100], v[97:98], -v[73:74]
	v_mul_f64 v[99:100], v[99:100], v[75:76]
	v_add_f64 v[69:70], v[69:70], -v[73:74]
	v_fma_f64 v[99:100], v[101:102], v[97:98], v[99:100]
	v_add_f64 v[71:72], v[71:72], -v[99:100]
	ds_read2_b64 v[99:102], v0 offset0:44 offset1:45
	s_waitcnt lgkmcnt(0)
	v_mul_f64 v[73:74], v[101:102], v[75:76]
	v_fma_f64 v[73:74], v[99:100], v[97:98], -v[73:74]
	v_mul_f64 v[99:100], v[99:100], v[75:76]
	v_add_f64 v[65:66], v[65:66], -v[73:74]
	v_fma_f64 v[99:100], v[101:102], v[97:98], v[99:100]
	v_add_f64 v[67:68], v[67:68], -v[99:100]
	ds_read2_b64 v[99:102], v0 offset0:46 offset1:47
	;; [unrolled: 8-line block ×6, first 2 shown]
	buffer_load_dword v41, off, s[20:23], 0 offset:132 ; 4-byte Folded Reload
	buffer_load_dword v42, off, s[20:23], 0 offset:136 ; 4-byte Folded Reload
	buffer_load_dword v43, off, s[20:23], 0 offset:140 ; 4-byte Folded Reload
	buffer_load_dword v44, off, s[20:23], 0 offset:144 ; 4-byte Folded Reload
	s_waitcnt lgkmcnt(0)
	v_mul_f64 v[73:74], v[101:102], v[75:76]
	v_fma_f64 v[73:74], v[99:100], v[97:98], -v[73:74]
	v_mul_f64 v[99:100], v[99:100], v[75:76]
	v_fma_f64 v[99:100], v[101:102], v[97:98], v[99:100]
	s_waitcnt vmcnt(2)
	v_add_f64 v[41:42], v[41:42], -v[73:74]
	s_waitcnt vmcnt(0)
	v_add_f64 v[43:44], v[43:44], -v[99:100]
	buffer_store_dword v41, off, s[20:23], 0 offset:132 ; 4-byte Folded Spill
	s_nop 0
	buffer_store_dword v42, off, s[20:23], 0 offset:136 ; 4-byte Folded Spill
	buffer_store_dword v43, off, s[20:23], 0 offset:140 ; 4-byte Folded Spill
	buffer_store_dword v44, off, s[20:23], 0 offset:144 ; 4-byte Folded Spill
	ds_read2_b64 v[99:102], v0 offset0:56 offset1:57
	buffer_load_dword v41, off, s[20:23], 0 offset:116 ; 4-byte Folded Reload
	buffer_load_dword v42, off, s[20:23], 0 offset:120 ; 4-byte Folded Reload
	buffer_load_dword v43, off, s[20:23], 0 offset:124 ; 4-byte Folded Reload
	buffer_load_dword v44, off, s[20:23], 0 offset:128 ; 4-byte Folded Reload
	s_waitcnt lgkmcnt(0)
	v_mul_f64 v[73:74], v[101:102], v[75:76]
	v_fma_f64 v[73:74], v[99:100], v[97:98], -v[73:74]
	v_mul_f64 v[99:100], v[99:100], v[75:76]
	v_fma_f64 v[99:100], v[101:102], v[97:98], v[99:100]
	s_waitcnt vmcnt(2)
	v_add_f64 v[41:42], v[41:42], -v[73:74]
	s_waitcnt vmcnt(0)
	v_add_f64 v[43:44], v[43:44], -v[99:100]
	buffer_store_dword v41, off, s[20:23], 0 offset:116 ; 4-byte Folded Spill
	s_nop 0
	buffer_store_dword v42, off, s[20:23], 0 offset:120 ; 4-byte Folded Spill
	buffer_store_dword v43, off, s[20:23], 0 offset:124 ; 4-byte Folded Spill
	buffer_store_dword v44, off, s[20:23], 0 offset:128 ; 4-byte Folded Spill
	ds_read2_b64 v[99:102], v0 offset0:58 offset1:59
	;; [unrolled: 19-line block ×9, first 2 shown]
	s_waitcnt lgkmcnt(0)
	v_mul_f64 v[73:74], v[101:102], v[75:76]
	v_fma_f64 v[73:74], v[99:100], v[97:98], -v[73:74]
	v_mul_f64 v[99:100], v[99:100], v[75:76]
	v_add_f64 v[81:82], v[81:82], -v[73:74]
	v_fma_f64 v[99:100], v[101:102], v[97:98], v[99:100]
	v_add_f64 v[83:84], v[83:84], -v[99:100]
	ds_read2_b64 v[99:102], v0 offset0:74 offset1:75
	s_waitcnt lgkmcnt(0)
	v_mul_f64 v[73:74], v[101:102], v[75:76]
	v_fma_f64 v[73:74], v[99:100], v[97:98], -v[73:74]
	v_mul_f64 v[99:100], v[99:100], v[75:76]
	v_add_f64 v[85:86], v[85:86], -v[73:74]
	v_fma_f64 v[99:100], v[101:102], v[97:98], v[99:100]
	v_add_f64 v[87:88], v[87:88], -v[99:100]
	ds_read2_b64 v[99:102], v0 offset0:76 offset1:77
	;; [unrolled: 8-line block ×3, first 2 shown]
	s_waitcnt lgkmcnt(0)
	v_mul_f64 v[73:74], v[101:102], v[75:76]
	v_fma_f64 v[73:74], v[99:100], v[97:98], -v[73:74]
	v_mul_f64 v[99:100], v[99:100], v[75:76]
	v_add_f64 v[45:46], v[45:46], -v[73:74]
	v_fma_f64 v[99:100], v[101:102], v[97:98], v[99:100]
	v_mov_b32_e32 v73, v97
	v_mov_b32_e32 v74, v98
	v_add_f64 v[47:48], v[47:48], -v[99:100]
.LBB79_190:
	s_or_b64 exec, exec, s[2:3]
	s_waitcnt vmcnt(0)
	s_barrier
	buffer_load_dword v41, off, s[20:23], 0 ; 4-byte Folded Reload
	s_waitcnt vmcnt(0)
	v_cmp_eq_u32_e32 vcc, 21, v41
	s_and_saveexec_b64 s[4:5], vcc
	s_cbranch_execz .LBB79_197
; %bb.191:
	ds_write2_b64 v127, v[69:70], v[71:72] offset1:1
	ds_write2_b64 v0, v[65:66], v[67:68] offset0:44 offset1:45
	ds_write2_b64 v0, v[61:62], v[63:64] offset0:46 offset1:47
	ds_write2_b64 v0, v[57:58], v[59:60] offset0:48 offset1:49
	ds_write2_b64 v0, v[53:54], v[55:56] offset0:50 offset1:51
	ds_write2_b64 v0, v[49:50], v[51:52] offset0:52 offset1:53
	buffer_load_dword v41, off, s[20:23], 0 offset:132 ; 4-byte Folded Reload
	buffer_load_dword v42, off, s[20:23], 0 offset:136 ; 4-byte Folded Reload
	buffer_load_dword v43, off, s[20:23], 0 offset:140 ; 4-byte Folded Reload
	buffer_load_dword v44, off, s[20:23], 0 offset:144 ; 4-byte Folded Reload
	s_waitcnt vmcnt(0)
	ds_write2_b64 v0, v[41:42], v[43:44] offset0:54 offset1:55
	buffer_load_dword v41, off, s[20:23], 0 offset:116 ; 4-byte Folded Reload
	buffer_load_dword v42, off, s[20:23], 0 offset:120 ; 4-byte Folded Reload
	buffer_load_dword v43, off, s[20:23], 0 offset:124 ; 4-byte Folded Reload
	buffer_load_dword v44, off, s[20:23], 0 offset:128 ; 4-byte Folded Reload
	s_waitcnt vmcnt(0)
	ds_write2_b64 v0, v[41:42], v[43:44] offset0:56 offset1:57
	;; [unrolled: 6-line block ×9, first 2 shown]
	ds_write2_b64 v0, v[81:82], v[83:84] offset0:72 offset1:73
	ds_write2_b64 v0, v[85:86], v[87:88] offset0:74 offset1:75
	;; [unrolled: 1-line block ×4, first 2 shown]
	ds_read2_b64 v[97:100], v127 offset1:1
	s_waitcnt lgkmcnt(0)
	v_cmp_neq_f64_e32 vcc, 0, v[97:98]
	v_cmp_neq_f64_e64 s[2:3], 0, v[99:100]
	s_or_b64 s[2:3], vcc, s[2:3]
	s_and_b64 exec, exec, s[2:3]
	s_cbranch_execz .LBB79_197
; %bb.192:
	v_cmp_ngt_f64_e64 s[2:3], |v[97:98]|, |v[99:100]|
                                        ; implicit-def: $vgpr101_vgpr102
	s_and_saveexec_b64 s[6:7], s[2:3]
	s_xor_b64 s[2:3], exec, s[6:7]
                                        ; implicit-def: $vgpr103_vgpr104
	s_cbranch_execz .LBB79_194
; %bb.193:
	v_div_scale_f64 v[101:102], s[6:7], v[99:100], v[99:100], v[97:98]
	v_rcp_f64_e32 v[103:104], v[101:102]
	v_fma_f64 v[105:106], -v[101:102], v[103:104], 1.0
	v_fma_f64 v[103:104], v[103:104], v[105:106], v[103:104]
	v_div_scale_f64 v[105:106], vcc, v[97:98], v[99:100], v[97:98]
	v_fma_f64 v[107:108], -v[101:102], v[103:104], 1.0
	v_fma_f64 v[103:104], v[103:104], v[107:108], v[103:104]
	v_mul_f64 v[107:108], v[105:106], v[103:104]
	v_fma_f64 v[101:102], -v[101:102], v[107:108], v[105:106]
	v_div_fmas_f64 v[101:102], v[101:102], v[103:104], v[107:108]
	v_div_fixup_f64 v[101:102], v[101:102], v[99:100], v[97:98]
	v_fma_f64 v[97:98], v[97:98], v[101:102], v[99:100]
	v_div_scale_f64 v[99:100], s[6:7], v[97:98], v[97:98], 1.0
	v_div_scale_f64 v[107:108], vcc, 1.0, v[97:98], 1.0
	v_rcp_f64_e32 v[103:104], v[99:100]
	v_fma_f64 v[105:106], -v[99:100], v[103:104], 1.0
	v_fma_f64 v[103:104], v[103:104], v[105:106], v[103:104]
	v_fma_f64 v[105:106], -v[99:100], v[103:104], 1.0
	v_fma_f64 v[103:104], v[103:104], v[105:106], v[103:104]
	v_mul_f64 v[105:106], v[107:108], v[103:104]
	v_fma_f64 v[99:100], -v[99:100], v[105:106], v[107:108]
	v_div_fmas_f64 v[99:100], v[99:100], v[103:104], v[105:106]
	v_div_fixup_f64 v[103:104], v[99:100], v[97:98], 1.0
                                        ; implicit-def: $vgpr97_vgpr98
	v_mul_f64 v[101:102], v[101:102], v[103:104]
	v_xor_b32_e32 v104, 0x80000000, v104
.LBB79_194:
	s_andn2_saveexec_b64 s[2:3], s[2:3]
	s_cbranch_execz .LBB79_196
; %bb.195:
	v_div_scale_f64 v[101:102], s[6:7], v[97:98], v[97:98], v[99:100]
	v_rcp_f64_e32 v[103:104], v[101:102]
	v_fma_f64 v[105:106], -v[101:102], v[103:104], 1.0
	v_fma_f64 v[103:104], v[103:104], v[105:106], v[103:104]
	v_div_scale_f64 v[105:106], vcc, v[99:100], v[97:98], v[99:100]
	v_fma_f64 v[107:108], -v[101:102], v[103:104], 1.0
	v_fma_f64 v[103:104], v[103:104], v[107:108], v[103:104]
	v_mul_f64 v[107:108], v[105:106], v[103:104]
	v_fma_f64 v[101:102], -v[101:102], v[107:108], v[105:106]
	v_div_fmas_f64 v[101:102], v[101:102], v[103:104], v[107:108]
	v_div_fixup_f64 v[103:104], v[101:102], v[97:98], v[99:100]
	v_fma_f64 v[97:98], v[99:100], v[103:104], v[97:98]
	v_div_scale_f64 v[99:100], s[6:7], v[97:98], v[97:98], 1.0
	v_div_scale_f64 v[107:108], vcc, 1.0, v[97:98], 1.0
	v_rcp_f64_e32 v[101:102], v[99:100]
	v_fma_f64 v[105:106], -v[99:100], v[101:102], 1.0
	v_fma_f64 v[101:102], v[101:102], v[105:106], v[101:102]
	v_fma_f64 v[105:106], -v[99:100], v[101:102], 1.0
	v_fma_f64 v[101:102], v[101:102], v[105:106], v[101:102]
	v_mul_f64 v[105:106], v[107:108], v[101:102]
	v_fma_f64 v[99:100], -v[99:100], v[105:106], v[107:108]
	v_div_fmas_f64 v[99:100], v[99:100], v[101:102], v[105:106]
	v_div_fixup_f64 v[101:102], v[99:100], v[97:98], 1.0
	v_mul_f64 v[103:104], v[103:104], -v[101:102]
.LBB79_196:
	s_or_b64 exec, exec, s[2:3]
	ds_write2_b64 v127, v[101:102], v[103:104] offset1:1
.LBB79_197:
	s_or_b64 exec, exec, s[4:5]
	s_waitcnt lgkmcnt(0)
	s_barrier
	ds_read2_b64 v[41:44], v127 offset1:1
	s_waitcnt lgkmcnt(0)
	buffer_store_dword v41, off, s[20:23], 0 offset:948 ; 4-byte Folded Spill
	s_nop 0
	buffer_store_dword v42, off, s[20:23], 0 offset:952 ; 4-byte Folded Spill
	buffer_store_dword v43, off, s[20:23], 0 offset:956 ; 4-byte Folded Spill
	;; [unrolled: 1-line block ×3, first 2 shown]
	buffer_load_dword v41, off, s[20:23], 0 ; 4-byte Folded Reload
	s_waitcnt vmcnt(0)
	v_cmp_lt_u32_e32 vcc, 21, v41
	s_and_saveexec_b64 s[2:3], vcc
	s_cbranch_execz .LBB79_199
; %bb.198:
	buffer_load_dword v41, off, s[20:23], 0 offset:948 ; 4-byte Folded Reload
	buffer_load_dword v42, off, s[20:23], 0 offset:952 ; 4-byte Folded Reload
	;; [unrolled: 1-line block ×4, first 2 shown]
	ds_read2_b64 v[99:102], v0 offset0:44 offset1:45
	s_waitcnt vmcnt(0)
	v_mul_f64 v[97:98], v[43:44], v[71:72]
	v_mul_f64 v[71:72], v[41:42], v[71:72]
	v_fma_f64 v[97:98], v[41:42], v[69:70], -v[97:98]
	v_fma_f64 v[71:72], v[43:44], v[69:70], v[71:72]
	s_waitcnt lgkmcnt(0)
	v_mul_f64 v[69:70], v[101:102], v[71:72]
	v_fma_f64 v[69:70], v[99:100], v[97:98], -v[69:70]
	v_mul_f64 v[99:100], v[99:100], v[71:72]
	v_add_f64 v[65:66], v[65:66], -v[69:70]
	v_fma_f64 v[99:100], v[101:102], v[97:98], v[99:100]
	v_add_f64 v[67:68], v[67:68], -v[99:100]
	ds_read2_b64 v[99:102], v0 offset0:46 offset1:47
	s_waitcnt lgkmcnt(0)
	v_mul_f64 v[69:70], v[101:102], v[71:72]
	v_fma_f64 v[69:70], v[99:100], v[97:98], -v[69:70]
	v_mul_f64 v[99:100], v[99:100], v[71:72]
	v_add_f64 v[61:62], v[61:62], -v[69:70]
	v_fma_f64 v[99:100], v[101:102], v[97:98], v[99:100]
	v_add_f64 v[63:64], v[63:64], -v[99:100]
	ds_read2_b64 v[99:102], v0 offset0:48 offset1:49
	;; [unrolled: 8-line block ×5, first 2 shown]
	buffer_load_dword v41, off, s[20:23], 0 offset:132 ; 4-byte Folded Reload
	buffer_load_dword v42, off, s[20:23], 0 offset:136 ; 4-byte Folded Reload
	buffer_load_dword v43, off, s[20:23], 0 offset:140 ; 4-byte Folded Reload
	buffer_load_dword v44, off, s[20:23], 0 offset:144 ; 4-byte Folded Reload
	s_waitcnt lgkmcnt(0)
	v_mul_f64 v[69:70], v[101:102], v[71:72]
	v_fma_f64 v[69:70], v[99:100], v[97:98], -v[69:70]
	v_mul_f64 v[99:100], v[99:100], v[71:72]
	v_fma_f64 v[99:100], v[101:102], v[97:98], v[99:100]
	s_waitcnt vmcnt(2)
	v_add_f64 v[41:42], v[41:42], -v[69:70]
	s_waitcnt vmcnt(0)
	v_add_f64 v[43:44], v[43:44], -v[99:100]
	buffer_store_dword v41, off, s[20:23], 0 offset:132 ; 4-byte Folded Spill
	s_nop 0
	buffer_store_dword v42, off, s[20:23], 0 offset:136 ; 4-byte Folded Spill
	buffer_store_dword v43, off, s[20:23], 0 offset:140 ; 4-byte Folded Spill
	buffer_store_dword v44, off, s[20:23], 0 offset:144 ; 4-byte Folded Spill
	ds_read2_b64 v[99:102], v0 offset0:56 offset1:57
	buffer_load_dword v41, off, s[20:23], 0 offset:116 ; 4-byte Folded Reload
	buffer_load_dword v42, off, s[20:23], 0 offset:120 ; 4-byte Folded Reload
	buffer_load_dword v43, off, s[20:23], 0 offset:124 ; 4-byte Folded Reload
	buffer_load_dword v44, off, s[20:23], 0 offset:128 ; 4-byte Folded Reload
	s_waitcnt lgkmcnt(0)
	v_mul_f64 v[69:70], v[101:102], v[71:72]
	v_fma_f64 v[69:70], v[99:100], v[97:98], -v[69:70]
	v_mul_f64 v[99:100], v[99:100], v[71:72]
	v_fma_f64 v[99:100], v[101:102], v[97:98], v[99:100]
	s_waitcnt vmcnt(2)
	v_add_f64 v[41:42], v[41:42], -v[69:70]
	s_waitcnt vmcnt(0)
	v_add_f64 v[43:44], v[43:44], -v[99:100]
	buffer_store_dword v41, off, s[20:23], 0 offset:116 ; 4-byte Folded Spill
	s_nop 0
	buffer_store_dword v42, off, s[20:23], 0 offset:120 ; 4-byte Folded Spill
	buffer_store_dword v43, off, s[20:23], 0 offset:124 ; 4-byte Folded Spill
	buffer_store_dword v44, off, s[20:23], 0 offset:128 ; 4-byte Folded Spill
	ds_read2_b64 v[99:102], v0 offset0:58 offset1:59
	buffer_load_dword v41, off, s[20:23], 0 offset:100 ; 4-byte Folded Reload
	buffer_load_dword v42, off, s[20:23], 0 offset:104 ; 4-byte Folded Reload
	buffer_load_dword v43, off, s[20:23], 0 offset:108 ; 4-byte Folded Reload
	buffer_load_dword v44, off, s[20:23], 0 offset:112 ; 4-byte Folded Reload
	s_waitcnt lgkmcnt(0)
	v_mul_f64 v[69:70], v[101:102], v[71:72]
	v_fma_f64 v[69:70], v[99:100], v[97:98], -v[69:70]
	v_mul_f64 v[99:100], v[99:100], v[71:72]
	v_fma_f64 v[99:100], v[101:102], v[97:98], v[99:100]
	s_waitcnt vmcnt(2)
	v_add_f64 v[41:42], v[41:42], -v[69:70]
	s_waitcnt vmcnt(0)
	v_add_f64 v[43:44], v[43:44], -v[99:100]
	buffer_store_dword v41, off, s[20:23], 0 offset:100 ; 4-byte Folded Spill
	s_nop 0
	buffer_store_dword v42, off, s[20:23], 0 offset:104 ; 4-byte Folded Spill
	buffer_store_dword v43, off, s[20:23], 0 offset:108 ; 4-byte Folded Spill
	buffer_store_dword v44, off, s[20:23], 0 offset:112 ; 4-byte Folded Spill
	ds_read2_b64 v[99:102], v0 offset0:60 offset1:61
	buffer_load_dword v41, off, s[20:23], 0 offset:84 ; 4-byte Folded Reload
	buffer_load_dword v42, off, s[20:23], 0 offset:88 ; 4-byte Folded Reload
	buffer_load_dword v43, off, s[20:23], 0 offset:92 ; 4-byte Folded Reload
	buffer_load_dword v44, off, s[20:23], 0 offset:96 ; 4-byte Folded Reload
	s_waitcnt lgkmcnt(0)
	v_mul_f64 v[69:70], v[101:102], v[71:72]
	v_fma_f64 v[69:70], v[99:100], v[97:98], -v[69:70]
	v_mul_f64 v[99:100], v[99:100], v[71:72]
	v_fma_f64 v[99:100], v[101:102], v[97:98], v[99:100]
	s_waitcnt vmcnt(2)
	v_add_f64 v[41:42], v[41:42], -v[69:70]
	s_waitcnt vmcnt(0)
	v_add_f64 v[43:44], v[43:44], -v[99:100]
	buffer_store_dword v41, off, s[20:23], 0 offset:84 ; 4-byte Folded Spill
	s_nop 0
	buffer_store_dword v42, off, s[20:23], 0 offset:88 ; 4-byte Folded Spill
	buffer_store_dword v43, off, s[20:23], 0 offset:92 ; 4-byte Folded Spill
	buffer_store_dword v44, off, s[20:23], 0 offset:96 ; 4-byte Folded Spill
	ds_read2_b64 v[99:102], v0 offset0:62 offset1:63
	buffer_load_dword v41, off, s[20:23], 0 offset:68 ; 4-byte Folded Reload
	buffer_load_dword v42, off, s[20:23], 0 offset:72 ; 4-byte Folded Reload
	buffer_load_dword v43, off, s[20:23], 0 offset:76 ; 4-byte Folded Reload
	buffer_load_dword v44, off, s[20:23], 0 offset:80 ; 4-byte Folded Reload
	s_waitcnt lgkmcnt(0)
	v_mul_f64 v[69:70], v[101:102], v[71:72]
	v_fma_f64 v[69:70], v[99:100], v[97:98], -v[69:70]
	v_mul_f64 v[99:100], v[99:100], v[71:72]
	v_fma_f64 v[99:100], v[101:102], v[97:98], v[99:100]
	s_waitcnt vmcnt(2)
	v_add_f64 v[41:42], v[41:42], -v[69:70]
	s_waitcnt vmcnt(0)
	v_add_f64 v[43:44], v[43:44], -v[99:100]
	buffer_store_dword v41, off, s[20:23], 0 offset:68 ; 4-byte Folded Spill
	s_nop 0
	buffer_store_dword v42, off, s[20:23], 0 offset:72 ; 4-byte Folded Spill
	buffer_store_dword v43, off, s[20:23], 0 offset:76 ; 4-byte Folded Spill
	buffer_store_dword v44, off, s[20:23], 0 offset:80 ; 4-byte Folded Spill
	ds_read2_b64 v[99:102], v0 offset0:64 offset1:65
	buffer_load_dword v41, off, s[20:23], 0 offset:52 ; 4-byte Folded Reload
	buffer_load_dword v42, off, s[20:23], 0 offset:56 ; 4-byte Folded Reload
	buffer_load_dword v43, off, s[20:23], 0 offset:60 ; 4-byte Folded Reload
	buffer_load_dword v44, off, s[20:23], 0 offset:64 ; 4-byte Folded Reload
	s_waitcnt lgkmcnt(0)
	v_mul_f64 v[69:70], v[101:102], v[71:72]
	v_fma_f64 v[69:70], v[99:100], v[97:98], -v[69:70]
	v_mul_f64 v[99:100], v[99:100], v[71:72]
	v_fma_f64 v[99:100], v[101:102], v[97:98], v[99:100]
	s_waitcnt vmcnt(2)
	v_add_f64 v[41:42], v[41:42], -v[69:70]
	s_waitcnt vmcnt(0)
	v_add_f64 v[43:44], v[43:44], -v[99:100]
	buffer_store_dword v41, off, s[20:23], 0 offset:52 ; 4-byte Folded Spill
	s_nop 0
	buffer_store_dword v42, off, s[20:23], 0 offset:56 ; 4-byte Folded Spill
	buffer_store_dword v43, off, s[20:23], 0 offset:60 ; 4-byte Folded Spill
	buffer_store_dword v44, off, s[20:23], 0 offset:64 ; 4-byte Folded Spill
	ds_read2_b64 v[99:102], v0 offset0:66 offset1:67
	buffer_load_dword v41, off, s[20:23], 0 offset:36 ; 4-byte Folded Reload
	buffer_load_dword v42, off, s[20:23], 0 offset:40 ; 4-byte Folded Reload
	buffer_load_dword v43, off, s[20:23], 0 offset:44 ; 4-byte Folded Reload
	buffer_load_dword v44, off, s[20:23], 0 offset:48 ; 4-byte Folded Reload
	s_waitcnt lgkmcnt(0)
	v_mul_f64 v[69:70], v[101:102], v[71:72]
	v_fma_f64 v[69:70], v[99:100], v[97:98], -v[69:70]
	v_mul_f64 v[99:100], v[99:100], v[71:72]
	v_fma_f64 v[99:100], v[101:102], v[97:98], v[99:100]
	s_waitcnt vmcnt(2)
	v_add_f64 v[41:42], v[41:42], -v[69:70]
	s_waitcnt vmcnt(0)
	v_add_f64 v[43:44], v[43:44], -v[99:100]
	buffer_store_dword v41, off, s[20:23], 0 offset:36 ; 4-byte Folded Spill
	s_nop 0
	buffer_store_dword v42, off, s[20:23], 0 offset:40 ; 4-byte Folded Spill
	buffer_store_dword v43, off, s[20:23], 0 offset:44 ; 4-byte Folded Spill
	buffer_store_dword v44, off, s[20:23], 0 offset:48 ; 4-byte Folded Spill
	ds_read2_b64 v[99:102], v0 offset0:68 offset1:69
	buffer_load_dword v41, off, s[20:23], 0 offset:20 ; 4-byte Folded Reload
	buffer_load_dword v42, off, s[20:23], 0 offset:24 ; 4-byte Folded Reload
	buffer_load_dword v43, off, s[20:23], 0 offset:28 ; 4-byte Folded Reload
	buffer_load_dword v44, off, s[20:23], 0 offset:32 ; 4-byte Folded Reload
	s_waitcnt lgkmcnt(0)
	v_mul_f64 v[69:70], v[101:102], v[71:72]
	v_fma_f64 v[69:70], v[99:100], v[97:98], -v[69:70]
	v_mul_f64 v[99:100], v[99:100], v[71:72]
	v_fma_f64 v[99:100], v[101:102], v[97:98], v[99:100]
	s_waitcnt vmcnt(2)
	v_add_f64 v[41:42], v[41:42], -v[69:70]
	s_waitcnt vmcnt(0)
	v_add_f64 v[43:44], v[43:44], -v[99:100]
	buffer_store_dword v41, off, s[20:23], 0 offset:20 ; 4-byte Folded Spill
	s_nop 0
	buffer_store_dword v42, off, s[20:23], 0 offset:24 ; 4-byte Folded Spill
	buffer_store_dword v43, off, s[20:23], 0 offset:28 ; 4-byte Folded Spill
	buffer_store_dword v44, off, s[20:23], 0 offset:32 ; 4-byte Folded Spill
	ds_read2_b64 v[99:102], v0 offset0:70 offset1:71
	buffer_load_dword v41, off, s[20:23], 0 offset:4 ; 4-byte Folded Reload
	buffer_load_dword v42, off, s[20:23], 0 offset:8 ; 4-byte Folded Reload
	buffer_load_dword v43, off, s[20:23], 0 offset:12 ; 4-byte Folded Reload
	buffer_load_dword v44, off, s[20:23], 0 offset:16 ; 4-byte Folded Reload
	s_waitcnt lgkmcnt(0)
	v_mul_f64 v[69:70], v[101:102], v[71:72]
	v_fma_f64 v[69:70], v[99:100], v[97:98], -v[69:70]
	v_mul_f64 v[99:100], v[99:100], v[71:72]
	v_fma_f64 v[99:100], v[101:102], v[97:98], v[99:100]
	s_waitcnt vmcnt(2)
	v_add_f64 v[41:42], v[41:42], -v[69:70]
	s_waitcnt vmcnt(0)
	v_add_f64 v[43:44], v[43:44], -v[99:100]
	buffer_store_dword v41, off, s[20:23], 0 offset:4 ; 4-byte Folded Spill
	s_nop 0
	buffer_store_dword v42, off, s[20:23], 0 offset:8 ; 4-byte Folded Spill
	buffer_store_dword v43, off, s[20:23], 0 offset:12 ; 4-byte Folded Spill
	buffer_store_dword v44, off, s[20:23], 0 offset:16 ; 4-byte Folded Spill
	ds_read2_b64 v[99:102], v0 offset0:72 offset1:73
	s_waitcnt lgkmcnt(0)
	v_mul_f64 v[69:70], v[101:102], v[71:72]
	v_fma_f64 v[69:70], v[99:100], v[97:98], -v[69:70]
	v_mul_f64 v[99:100], v[99:100], v[71:72]
	v_add_f64 v[81:82], v[81:82], -v[69:70]
	v_fma_f64 v[99:100], v[101:102], v[97:98], v[99:100]
	v_add_f64 v[83:84], v[83:84], -v[99:100]
	ds_read2_b64 v[99:102], v0 offset0:74 offset1:75
	s_waitcnt lgkmcnt(0)
	v_mul_f64 v[69:70], v[101:102], v[71:72]
	v_fma_f64 v[69:70], v[99:100], v[97:98], -v[69:70]
	v_mul_f64 v[99:100], v[99:100], v[71:72]
	v_add_f64 v[85:86], v[85:86], -v[69:70]
	v_fma_f64 v[99:100], v[101:102], v[97:98], v[99:100]
	v_add_f64 v[87:88], v[87:88], -v[99:100]
	ds_read2_b64 v[99:102], v0 offset0:76 offset1:77
	;; [unrolled: 8-line block ×3, first 2 shown]
	s_waitcnt lgkmcnt(0)
	v_mul_f64 v[69:70], v[101:102], v[71:72]
	v_fma_f64 v[69:70], v[99:100], v[97:98], -v[69:70]
	v_mul_f64 v[99:100], v[99:100], v[71:72]
	v_add_f64 v[45:46], v[45:46], -v[69:70]
	v_fma_f64 v[99:100], v[101:102], v[97:98], v[99:100]
	v_mov_b32_e32 v69, v97
	v_mov_b32_e32 v70, v98
	v_add_f64 v[47:48], v[47:48], -v[99:100]
.LBB79_199:
	s_or_b64 exec, exec, s[2:3]
	s_waitcnt vmcnt(0)
	s_barrier
	buffer_load_dword v41, off, s[20:23], 0 ; 4-byte Folded Reload
	s_waitcnt vmcnt(0)
	v_cmp_eq_u32_e32 vcc, 22, v41
	s_and_saveexec_b64 s[4:5], vcc
	s_cbranch_execz .LBB79_206
; %bb.200:
	ds_write2_b64 v127, v[65:66], v[67:68] offset1:1
	ds_write2_b64 v0, v[61:62], v[63:64] offset0:46 offset1:47
	ds_write2_b64 v0, v[57:58], v[59:60] offset0:48 offset1:49
	;; [unrolled: 1-line block ×4, first 2 shown]
	buffer_load_dword v41, off, s[20:23], 0 offset:132 ; 4-byte Folded Reload
	buffer_load_dword v42, off, s[20:23], 0 offset:136 ; 4-byte Folded Reload
	buffer_load_dword v43, off, s[20:23], 0 offset:140 ; 4-byte Folded Reload
	buffer_load_dword v44, off, s[20:23], 0 offset:144 ; 4-byte Folded Reload
	s_waitcnt vmcnt(0)
	ds_write2_b64 v0, v[41:42], v[43:44] offset0:54 offset1:55
	buffer_load_dword v41, off, s[20:23], 0 offset:116 ; 4-byte Folded Reload
	buffer_load_dword v42, off, s[20:23], 0 offset:120 ; 4-byte Folded Reload
	buffer_load_dword v43, off, s[20:23], 0 offset:124 ; 4-byte Folded Reload
	buffer_load_dword v44, off, s[20:23], 0 offset:128 ; 4-byte Folded Reload
	s_waitcnt vmcnt(0)
	ds_write2_b64 v0, v[41:42], v[43:44] offset0:56 offset1:57
	;; [unrolled: 6-line block ×9, first 2 shown]
	ds_write2_b64 v0, v[81:82], v[83:84] offset0:72 offset1:73
	ds_write2_b64 v0, v[85:86], v[87:88] offset0:74 offset1:75
	;; [unrolled: 1-line block ×4, first 2 shown]
	ds_read2_b64 v[97:100], v127 offset1:1
	s_waitcnt lgkmcnt(0)
	v_cmp_neq_f64_e32 vcc, 0, v[97:98]
	v_cmp_neq_f64_e64 s[2:3], 0, v[99:100]
	s_or_b64 s[2:3], vcc, s[2:3]
	s_and_b64 exec, exec, s[2:3]
	s_cbranch_execz .LBB79_206
; %bb.201:
	v_cmp_ngt_f64_e64 s[2:3], |v[97:98]|, |v[99:100]|
                                        ; implicit-def: $vgpr101_vgpr102
	s_and_saveexec_b64 s[6:7], s[2:3]
	s_xor_b64 s[2:3], exec, s[6:7]
                                        ; implicit-def: $vgpr103_vgpr104
	s_cbranch_execz .LBB79_203
; %bb.202:
	v_div_scale_f64 v[101:102], s[6:7], v[99:100], v[99:100], v[97:98]
	v_rcp_f64_e32 v[103:104], v[101:102]
	v_fma_f64 v[105:106], -v[101:102], v[103:104], 1.0
	v_fma_f64 v[103:104], v[103:104], v[105:106], v[103:104]
	v_div_scale_f64 v[105:106], vcc, v[97:98], v[99:100], v[97:98]
	v_fma_f64 v[107:108], -v[101:102], v[103:104], 1.0
	v_fma_f64 v[103:104], v[103:104], v[107:108], v[103:104]
	v_mul_f64 v[107:108], v[105:106], v[103:104]
	v_fma_f64 v[101:102], -v[101:102], v[107:108], v[105:106]
	v_div_fmas_f64 v[101:102], v[101:102], v[103:104], v[107:108]
	v_div_fixup_f64 v[101:102], v[101:102], v[99:100], v[97:98]
	v_fma_f64 v[97:98], v[97:98], v[101:102], v[99:100]
	v_div_scale_f64 v[99:100], s[6:7], v[97:98], v[97:98], 1.0
	v_div_scale_f64 v[107:108], vcc, 1.0, v[97:98], 1.0
	v_rcp_f64_e32 v[103:104], v[99:100]
	v_fma_f64 v[105:106], -v[99:100], v[103:104], 1.0
	v_fma_f64 v[103:104], v[103:104], v[105:106], v[103:104]
	v_fma_f64 v[105:106], -v[99:100], v[103:104], 1.0
	v_fma_f64 v[103:104], v[103:104], v[105:106], v[103:104]
	v_mul_f64 v[105:106], v[107:108], v[103:104]
	v_fma_f64 v[99:100], -v[99:100], v[105:106], v[107:108]
	v_div_fmas_f64 v[99:100], v[99:100], v[103:104], v[105:106]
	v_div_fixup_f64 v[103:104], v[99:100], v[97:98], 1.0
                                        ; implicit-def: $vgpr97_vgpr98
	v_mul_f64 v[101:102], v[101:102], v[103:104]
	v_xor_b32_e32 v104, 0x80000000, v104
.LBB79_203:
	s_andn2_saveexec_b64 s[2:3], s[2:3]
	s_cbranch_execz .LBB79_205
; %bb.204:
	v_div_scale_f64 v[101:102], s[6:7], v[97:98], v[97:98], v[99:100]
	v_rcp_f64_e32 v[103:104], v[101:102]
	v_fma_f64 v[105:106], -v[101:102], v[103:104], 1.0
	v_fma_f64 v[103:104], v[103:104], v[105:106], v[103:104]
	v_div_scale_f64 v[105:106], vcc, v[99:100], v[97:98], v[99:100]
	v_fma_f64 v[107:108], -v[101:102], v[103:104], 1.0
	v_fma_f64 v[103:104], v[103:104], v[107:108], v[103:104]
	v_mul_f64 v[107:108], v[105:106], v[103:104]
	v_fma_f64 v[101:102], -v[101:102], v[107:108], v[105:106]
	v_div_fmas_f64 v[101:102], v[101:102], v[103:104], v[107:108]
	v_div_fixup_f64 v[103:104], v[101:102], v[97:98], v[99:100]
	v_fma_f64 v[97:98], v[99:100], v[103:104], v[97:98]
	v_div_scale_f64 v[99:100], s[6:7], v[97:98], v[97:98], 1.0
	v_div_scale_f64 v[107:108], vcc, 1.0, v[97:98], 1.0
	v_rcp_f64_e32 v[101:102], v[99:100]
	v_fma_f64 v[105:106], -v[99:100], v[101:102], 1.0
	v_fma_f64 v[101:102], v[101:102], v[105:106], v[101:102]
	v_fma_f64 v[105:106], -v[99:100], v[101:102], 1.0
	v_fma_f64 v[101:102], v[101:102], v[105:106], v[101:102]
	v_mul_f64 v[105:106], v[107:108], v[101:102]
	v_fma_f64 v[99:100], -v[99:100], v[105:106], v[107:108]
	v_div_fmas_f64 v[99:100], v[99:100], v[101:102], v[105:106]
	v_div_fixup_f64 v[101:102], v[99:100], v[97:98], 1.0
	v_mul_f64 v[103:104], v[103:104], -v[101:102]
.LBB79_205:
	s_or_b64 exec, exec, s[2:3]
	ds_write2_b64 v127, v[101:102], v[103:104] offset1:1
.LBB79_206:
	s_or_b64 exec, exec, s[4:5]
	s_waitcnt lgkmcnt(0)
	s_barrier
	ds_read2_b64 v[41:44], v127 offset1:1
	s_waitcnt lgkmcnt(0)
	buffer_store_dword v41, off, s[20:23], 0 offset:964 ; 4-byte Folded Spill
	s_nop 0
	buffer_store_dword v42, off, s[20:23], 0 offset:968 ; 4-byte Folded Spill
	buffer_store_dword v43, off, s[20:23], 0 offset:972 ; 4-byte Folded Spill
	;; [unrolled: 1-line block ×3, first 2 shown]
	buffer_load_dword v41, off, s[20:23], 0 ; 4-byte Folded Reload
	s_waitcnt vmcnt(0)
	v_cmp_lt_u32_e32 vcc, 22, v41
	s_and_saveexec_b64 s[2:3], vcc
	s_cbranch_execz .LBB79_208
; %bb.207:
	buffer_load_dword v41, off, s[20:23], 0 offset:964 ; 4-byte Folded Reload
	buffer_load_dword v42, off, s[20:23], 0 offset:968 ; 4-byte Folded Reload
	;; [unrolled: 1-line block ×4, first 2 shown]
	ds_read2_b64 v[99:102], v0 offset0:46 offset1:47
	s_waitcnt vmcnt(0)
	v_mul_f64 v[97:98], v[43:44], v[67:68]
	v_mul_f64 v[67:68], v[41:42], v[67:68]
	v_fma_f64 v[97:98], v[41:42], v[65:66], -v[97:98]
	v_fma_f64 v[67:68], v[43:44], v[65:66], v[67:68]
	s_waitcnt lgkmcnt(0)
	v_mul_f64 v[65:66], v[101:102], v[67:68]
	v_fma_f64 v[65:66], v[99:100], v[97:98], -v[65:66]
	v_mul_f64 v[99:100], v[99:100], v[67:68]
	v_add_f64 v[61:62], v[61:62], -v[65:66]
	v_fma_f64 v[99:100], v[101:102], v[97:98], v[99:100]
	v_add_f64 v[63:64], v[63:64], -v[99:100]
	ds_read2_b64 v[99:102], v0 offset0:48 offset1:49
	s_waitcnt lgkmcnt(0)
	v_mul_f64 v[65:66], v[101:102], v[67:68]
	v_fma_f64 v[65:66], v[99:100], v[97:98], -v[65:66]
	v_mul_f64 v[99:100], v[99:100], v[67:68]
	v_add_f64 v[57:58], v[57:58], -v[65:66]
	v_fma_f64 v[99:100], v[101:102], v[97:98], v[99:100]
	v_add_f64 v[59:60], v[59:60], -v[99:100]
	ds_read2_b64 v[99:102], v0 offset0:50 offset1:51
	;; [unrolled: 8-line block ×4, first 2 shown]
	buffer_load_dword v41, off, s[20:23], 0 offset:132 ; 4-byte Folded Reload
	buffer_load_dword v42, off, s[20:23], 0 offset:136 ; 4-byte Folded Reload
	buffer_load_dword v43, off, s[20:23], 0 offset:140 ; 4-byte Folded Reload
	buffer_load_dword v44, off, s[20:23], 0 offset:144 ; 4-byte Folded Reload
	s_waitcnt lgkmcnt(0)
	v_mul_f64 v[65:66], v[101:102], v[67:68]
	v_fma_f64 v[65:66], v[99:100], v[97:98], -v[65:66]
	v_mul_f64 v[99:100], v[99:100], v[67:68]
	v_fma_f64 v[99:100], v[101:102], v[97:98], v[99:100]
	s_waitcnt vmcnt(2)
	v_add_f64 v[41:42], v[41:42], -v[65:66]
	s_waitcnt vmcnt(0)
	v_add_f64 v[43:44], v[43:44], -v[99:100]
	buffer_store_dword v41, off, s[20:23], 0 offset:132 ; 4-byte Folded Spill
	s_nop 0
	buffer_store_dword v42, off, s[20:23], 0 offset:136 ; 4-byte Folded Spill
	buffer_store_dword v43, off, s[20:23], 0 offset:140 ; 4-byte Folded Spill
	buffer_store_dword v44, off, s[20:23], 0 offset:144 ; 4-byte Folded Spill
	ds_read2_b64 v[99:102], v0 offset0:56 offset1:57
	buffer_load_dword v41, off, s[20:23], 0 offset:116 ; 4-byte Folded Reload
	buffer_load_dword v42, off, s[20:23], 0 offset:120 ; 4-byte Folded Reload
	buffer_load_dword v43, off, s[20:23], 0 offset:124 ; 4-byte Folded Reload
	buffer_load_dword v44, off, s[20:23], 0 offset:128 ; 4-byte Folded Reload
	s_waitcnt lgkmcnt(0)
	v_mul_f64 v[65:66], v[101:102], v[67:68]
	v_fma_f64 v[65:66], v[99:100], v[97:98], -v[65:66]
	v_mul_f64 v[99:100], v[99:100], v[67:68]
	v_fma_f64 v[99:100], v[101:102], v[97:98], v[99:100]
	s_waitcnt vmcnt(2)
	v_add_f64 v[41:42], v[41:42], -v[65:66]
	s_waitcnt vmcnt(0)
	v_add_f64 v[43:44], v[43:44], -v[99:100]
	buffer_store_dword v41, off, s[20:23], 0 offset:116 ; 4-byte Folded Spill
	s_nop 0
	buffer_store_dword v42, off, s[20:23], 0 offset:120 ; 4-byte Folded Spill
	buffer_store_dword v43, off, s[20:23], 0 offset:124 ; 4-byte Folded Spill
	buffer_store_dword v44, off, s[20:23], 0 offset:128 ; 4-byte Folded Spill
	ds_read2_b64 v[99:102], v0 offset0:58 offset1:59
	;; [unrolled: 19-line block ×9, first 2 shown]
	s_waitcnt lgkmcnt(0)
	v_mul_f64 v[65:66], v[101:102], v[67:68]
	v_fma_f64 v[65:66], v[99:100], v[97:98], -v[65:66]
	v_mul_f64 v[99:100], v[99:100], v[67:68]
	v_add_f64 v[81:82], v[81:82], -v[65:66]
	v_fma_f64 v[99:100], v[101:102], v[97:98], v[99:100]
	v_add_f64 v[83:84], v[83:84], -v[99:100]
	ds_read2_b64 v[99:102], v0 offset0:74 offset1:75
	s_waitcnt lgkmcnt(0)
	v_mul_f64 v[65:66], v[101:102], v[67:68]
	v_fma_f64 v[65:66], v[99:100], v[97:98], -v[65:66]
	v_mul_f64 v[99:100], v[99:100], v[67:68]
	v_add_f64 v[85:86], v[85:86], -v[65:66]
	v_fma_f64 v[99:100], v[101:102], v[97:98], v[99:100]
	v_add_f64 v[87:88], v[87:88], -v[99:100]
	ds_read2_b64 v[99:102], v0 offset0:76 offset1:77
	;; [unrolled: 8-line block ×3, first 2 shown]
	s_waitcnt lgkmcnt(0)
	v_mul_f64 v[65:66], v[101:102], v[67:68]
	v_fma_f64 v[65:66], v[99:100], v[97:98], -v[65:66]
	v_mul_f64 v[99:100], v[99:100], v[67:68]
	v_add_f64 v[45:46], v[45:46], -v[65:66]
	v_fma_f64 v[99:100], v[101:102], v[97:98], v[99:100]
	v_mov_b32_e32 v65, v97
	v_mov_b32_e32 v66, v98
	v_add_f64 v[47:48], v[47:48], -v[99:100]
.LBB79_208:
	s_or_b64 exec, exec, s[2:3]
	s_waitcnt vmcnt(0)
	s_barrier
	buffer_load_dword v41, off, s[20:23], 0 ; 4-byte Folded Reload
	s_waitcnt vmcnt(0)
	v_cmp_eq_u32_e32 vcc, 23, v41
	s_and_saveexec_b64 s[4:5], vcc
	s_cbranch_execz .LBB79_215
; %bb.209:
	ds_write2_b64 v127, v[61:62], v[63:64] offset1:1
	ds_write2_b64 v0, v[57:58], v[59:60] offset0:48 offset1:49
	ds_write2_b64 v0, v[53:54], v[55:56] offset0:50 offset1:51
	;; [unrolled: 1-line block ×3, first 2 shown]
	buffer_load_dword v41, off, s[20:23], 0 offset:132 ; 4-byte Folded Reload
	buffer_load_dword v42, off, s[20:23], 0 offset:136 ; 4-byte Folded Reload
	buffer_load_dword v43, off, s[20:23], 0 offset:140 ; 4-byte Folded Reload
	buffer_load_dword v44, off, s[20:23], 0 offset:144 ; 4-byte Folded Reload
	s_waitcnt vmcnt(0)
	ds_write2_b64 v0, v[41:42], v[43:44] offset0:54 offset1:55
	buffer_load_dword v41, off, s[20:23], 0 offset:116 ; 4-byte Folded Reload
	buffer_load_dword v42, off, s[20:23], 0 offset:120 ; 4-byte Folded Reload
	buffer_load_dword v43, off, s[20:23], 0 offset:124 ; 4-byte Folded Reload
	buffer_load_dword v44, off, s[20:23], 0 offset:128 ; 4-byte Folded Reload
	s_waitcnt vmcnt(0)
	ds_write2_b64 v0, v[41:42], v[43:44] offset0:56 offset1:57
	;; [unrolled: 6-line block ×9, first 2 shown]
	ds_write2_b64 v0, v[81:82], v[83:84] offset0:72 offset1:73
	ds_write2_b64 v0, v[85:86], v[87:88] offset0:74 offset1:75
	;; [unrolled: 1-line block ×4, first 2 shown]
	ds_read2_b64 v[97:100], v127 offset1:1
	s_waitcnt lgkmcnt(0)
	v_cmp_neq_f64_e32 vcc, 0, v[97:98]
	v_cmp_neq_f64_e64 s[2:3], 0, v[99:100]
	s_or_b64 s[2:3], vcc, s[2:3]
	s_and_b64 exec, exec, s[2:3]
	s_cbranch_execz .LBB79_215
; %bb.210:
	v_cmp_ngt_f64_e64 s[2:3], |v[97:98]|, |v[99:100]|
                                        ; implicit-def: $vgpr101_vgpr102
	s_and_saveexec_b64 s[6:7], s[2:3]
	s_xor_b64 s[2:3], exec, s[6:7]
                                        ; implicit-def: $vgpr103_vgpr104
	s_cbranch_execz .LBB79_212
; %bb.211:
	v_div_scale_f64 v[101:102], s[6:7], v[99:100], v[99:100], v[97:98]
	v_rcp_f64_e32 v[103:104], v[101:102]
	v_fma_f64 v[105:106], -v[101:102], v[103:104], 1.0
	v_fma_f64 v[103:104], v[103:104], v[105:106], v[103:104]
	v_div_scale_f64 v[105:106], vcc, v[97:98], v[99:100], v[97:98]
	v_fma_f64 v[107:108], -v[101:102], v[103:104], 1.0
	v_fma_f64 v[103:104], v[103:104], v[107:108], v[103:104]
	v_mul_f64 v[107:108], v[105:106], v[103:104]
	v_fma_f64 v[101:102], -v[101:102], v[107:108], v[105:106]
	v_div_fmas_f64 v[101:102], v[101:102], v[103:104], v[107:108]
	v_div_fixup_f64 v[101:102], v[101:102], v[99:100], v[97:98]
	v_fma_f64 v[97:98], v[97:98], v[101:102], v[99:100]
	v_div_scale_f64 v[99:100], s[6:7], v[97:98], v[97:98], 1.0
	v_div_scale_f64 v[107:108], vcc, 1.0, v[97:98], 1.0
	v_rcp_f64_e32 v[103:104], v[99:100]
	v_fma_f64 v[105:106], -v[99:100], v[103:104], 1.0
	v_fma_f64 v[103:104], v[103:104], v[105:106], v[103:104]
	v_fma_f64 v[105:106], -v[99:100], v[103:104], 1.0
	v_fma_f64 v[103:104], v[103:104], v[105:106], v[103:104]
	v_mul_f64 v[105:106], v[107:108], v[103:104]
	v_fma_f64 v[99:100], -v[99:100], v[105:106], v[107:108]
	v_div_fmas_f64 v[99:100], v[99:100], v[103:104], v[105:106]
	v_div_fixup_f64 v[103:104], v[99:100], v[97:98], 1.0
                                        ; implicit-def: $vgpr97_vgpr98
	v_mul_f64 v[101:102], v[101:102], v[103:104]
	v_xor_b32_e32 v104, 0x80000000, v104
.LBB79_212:
	s_andn2_saveexec_b64 s[2:3], s[2:3]
	s_cbranch_execz .LBB79_214
; %bb.213:
	v_div_scale_f64 v[101:102], s[6:7], v[97:98], v[97:98], v[99:100]
	v_rcp_f64_e32 v[103:104], v[101:102]
	v_fma_f64 v[105:106], -v[101:102], v[103:104], 1.0
	v_fma_f64 v[103:104], v[103:104], v[105:106], v[103:104]
	v_div_scale_f64 v[105:106], vcc, v[99:100], v[97:98], v[99:100]
	v_fma_f64 v[107:108], -v[101:102], v[103:104], 1.0
	v_fma_f64 v[103:104], v[103:104], v[107:108], v[103:104]
	v_mul_f64 v[107:108], v[105:106], v[103:104]
	v_fma_f64 v[101:102], -v[101:102], v[107:108], v[105:106]
	v_div_fmas_f64 v[101:102], v[101:102], v[103:104], v[107:108]
	v_div_fixup_f64 v[103:104], v[101:102], v[97:98], v[99:100]
	v_fma_f64 v[97:98], v[99:100], v[103:104], v[97:98]
	v_div_scale_f64 v[99:100], s[6:7], v[97:98], v[97:98], 1.0
	v_div_scale_f64 v[107:108], vcc, 1.0, v[97:98], 1.0
	v_rcp_f64_e32 v[101:102], v[99:100]
	v_fma_f64 v[105:106], -v[99:100], v[101:102], 1.0
	v_fma_f64 v[101:102], v[101:102], v[105:106], v[101:102]
	v_fma_f64 v[105:106], -v[99:100], v[101:102], 1.0
	v_fma_f64 v[101:102], v[101:102], v[105:106], v[101:102]
	v_mul_f64 v[105:106], v[107:108], v[101:102]
	v_fma_f64 v[99:100], -v[99:100], v[105:106], v[107:108]
	v_div_fmas_f64 v[99:100], v[99:100], v[101:102], v[105:106]
	v_div_fixup_f64 v[101:102], v[99:100], v[97:98], 1.0
	v_mul_f64 v[103:104], v[103:104], -v[101:102]
.LBB79_214:
	s_or_b64 exec, exec, s[2:3]
	ds_write2_b64 v127, v[101:102], v[103:104] offset1:1
.LBB79_215:
	s_or_b64 exec, exec, s[4:5]
	s_waitcnt lgkmcnt(0)
	s_barrier
	ds_read2_b64 v[41:44], v127 offset1:1
	s_waitcnt lgkmcnt(0)
	buffer_store_dword v41, off, s[20:23], 0 offset:980 ; 4-byte Folded Spill
	s_nop 0
	buffer_store_dword v42, off, s[20:23], 0 offset:984 ; 4-byte Folded Spill
	buffer_store_dword v43, off, s[20:23], 0 offset:988 ; 4-byte Folded Spill
	;; [unrolled: 1-line block ×3, first 2 shown]
	buffer_load_dword v41, off, s[20:23], 0 ; 4-byte Folded Reload
	s_waitcnt vmcnt(0)
	v_cmp_lt_u32_e32 vcc, 23, v41
	s_and_saveexec_b64 s[2:3], vcc
	s_cbranch_execz .LBB79_217
; %bb.216:
	buffer_load_dword v41, off, s[20:23], 0 offset:980 ; 4-byte Folded Reload
	buffer_load_dword v42, off, s[20:23], 0 offset:984 ; 4-byte Folded Reload
	;; [unrolled: 1-line block ×4, first 2 shown]
	ds_read2_b64 v[99:102], v0 offset0:48 offset1:49
	s_waitcnt vmcnt(2)
	v_mul_f64 v[97:98], v[41:42], v[63:64]
	s_waitcnt vmcnt(0)
	v_mul_f64 v[63:64], v[43:44], v[63:64]
	v_fma_f64 v[97:98], v[43:44], v[61:62], v[97:98]
	v_fma_f64 v[61:62], v[41:42], v[61:62], -v[63:64]
	s_waitcnt lgkmcnt(0)
	v_mul_f64 v[63:64], v[101:102], v[97:98]
	v_fma_f64 v[63:64], v[99:100], v[61:62], -v[63:64]
	v_mul_f64 v[99:100], v[99:100], v[97:98]
	v_add_f64 v[57:58], v[57:58], -v[63:64]
	v_fma_f64 v[99:100], v[101:102], v[61:62], v[99:100]
	v_add_f64 v[59:60], v[59:60], -v[99:100]
	ds_read2_b64 v[99:102], v0 offset0:50 offset1:51
	s_waitcnt lgkmcnt(0)
	v_mul_f64 v[63:64], v[101:102], v[97:98]
	v_fma_f64 v[63:64], v[99:100], v[61:62], -v[63:64]
	v_mul_f64 v[99:100], v[99:100], v[97:98]
	v_add_f64 v[53:54], v[53:54], -v[63:64]
	v_fma_f64 v[99:100], v[101:102], v[61:62], v[99:100]
	v_add_f64 v[55:56], v[55:56], -v[99:100]
	ds_read2_b64 v[99:102], v0 offset0:52 offset1:53
	;; [unrolled: 8-line block ×3, first 2 shown]
	buffer_load_dword v41, off, s[20:23], 0 offset:132 ; 4-byte Folded Reload
	buffer_load_dword v42, off, s[20:23], 0 offset:136 ; 4-byte Folded Reload
	buffer_load_dword v43, off, s[20:23], 0 offset:140 ; 4-byte Folded Reload
	buffer_load_dword v44, off, s[20:23], 0 offset:144 ; 4-byte Folded Reload
	s_waitcnt lgkmcnt(0)
	v_mul_f64 v[63:64], v[101:102], v[97:98]
	v_fma_f64 v[63:64], v[99:100], v[61:62], -v[63:64]
	v_mul_f64 v[99:100], v[99:100], v[97:98]
	v_fma_f64 v[99:100], v[101:102], v[61:62], v[99:100]
	s_waitcnt vmcnt(2)
	v_add_f64 v[41:42], v[41:42], -v[63:64]
	s_waitcnt vmcnt(0)
	v_add_f64 v[43:44], v[43:44], -v[99:100]
	buffer_store_dword v41, off, s[20:23], 0 offset:132 ; 4-byte Folded Spill
	s_nop 0
	buffer_store_dword v42, off, s[20:23], 0 offset:136 ; 4-byte Folded Spill
	buffer_store_dword v43, off, s[20:23], 0 offset:140 ; 4-byte Folded Spill
	buffer_store_dword v44, off, s[20:23], 0 offset:144 ; 4-byte Folded Spill
	ds_read2_b64 v[99:102], v0 offset0:56 offset1:57
	buffer_load_dword v41, off, s[20:23], 0 offset:116 ; 4-byte Folded Reload
	buffer_load_dword v42, off, s[20:23], 0 offset:120 ; 4-byte Folded Reload
	buffer_load_dword v43, off, s[20:23], 0 offset:124 ; 4-byte Folded Reload
	buffer_load_dword v44, off, s[20:23], 0 offset:128 ; 4-byte Folded Reload
	s_waitcnt lgkmcnt(0)
	v_mul_f64 v[63:64], v[101:102], v[97:98]
	v_fma_f64 v[63:64], v[99:100], v[61:62], -v[63:64]
	v_mul_f64 v[99:100], v[99:100], v[97:98]
	v_fma_f64 v[99:100], v[101:102], v[61:62], v[99:100]
	s_waitcnt vmcnt(2)
	v_add_f64 v[41:42], v[41:42], -v[63:64]
	s_waitcnt vmcnt(0)
	v_add_f64 v[43:44], v[43:44], -v[99:100]
	buffer_store_dword v41, off, s[20:23], 0 offset:116 ; 4-byte Folded Spill
	s_nop 0
	buffer_store_dword v42, off, s[20:23], 0 offset:120 ; 4-byte Folded Spill
	buffer_store_dword v43, off, s[20:23], 0 offset:124 ; 4-byte Folded Spill
	buffer_store_dword v44, off, s[20:23], 0 offset:128 ; 4-byte Folded Spill
	ds_read2_b64 v[99:102], v0 offset0:58 offset1:59
	;; [unrolled: 19-line block ×9, first 2 shown]
	s_waitcnt lgkmcnt(0)
	v_mul_f64 v[63:64], v[101:102], v[97:98]
	v_fma_f64 v[63:64], v[99:100], v[61:62], -v[63:64]
	v_mul_f64 v[99:100], v[99:100], v[97:98]
	v_add_f64 v[81:82], v[81:82], -v[63:64]
	v_fma_f64 v[99:100], v[101:102], v[61:62], v[99:100]
	v_add_f64 v[83:84], v[83:84], -v[99:100]
	ds_read2_b64 v[99:102], v0 offset0:74 offset1:75
	s_waitcnt lgkmcnt(0)
	v_mul_f64 v[63:64], v[101:102], v[97:98]
	v_fma_f64 v[63:64], v[99:100], v[61:62], -v[63:64]
	v_mul_f64 v[99:100], v[99:100], v[97:98]
	v_add_f64 v[85:86], v[85:86], -v[63:64]
	v_fma_f64 v[99:100], v[101:102], v[61:62], v[99:100]
	v_add_f64 v[87:88], v[87:88], -v[99:100]
	ds_read2_b64 v[99:102], v0 offset0:76 offset1:77
	;; [unrolled: 8-line block ×3, first 2 shown]
	s_waitcnt lgkmcnt(0)
	v_mul_f64 v[63:64], v[101:102], v[97:98]
	v_fma_f64 v[63:64], v[99:100], v[61:62], -v[63:64]
	v_mul_f64 v[99:100], v[99:100], v[97:98]
	v_add_f64 v[45:46], v[45:46], -v[63:64]
	v_fma_f64 v[99:100], v[101:102], v[61:62], v[99:100]
	v_mov_b32_e32 v63, v97
	v_mov_b32_e32 v64, v98
	v_add_f64 v[47:48], v[47:48], -v[99:100]
.LBB79_217:
	s_or_b64 exec, exec, s[2:3]
	s_waitcnt vmcnt(0)
	s_barrier
	buffer_load_dword v41, off, s[20:23], 0 ; 4-byte Folded Reload
	s_waitcnt vmcnt(0)
	v_cmp_eq_u32_e32 vcc, 24, v41
	s_and_saveexec_b64 s[4:5], vcc
	s_cbranch_execz .LBB79_224
; %bb.218:
	ds_write2_b64 v127, v[57:58], v[59:60] offset1:1
	ds_write2_b64 v0, v[53:54], v[55:56] offset0:50 offset1:51
	ds_write2_b64 v0, v[49:50], v[51:52] offset0:52 offset1:53
	buffer_load_dword v41, off, s[20:23], 0 offset:132 ; 4-byte Folded Reload
	buffer_load_dword v42, off, s[20:23], 0 offset:136 ; 4-byte Folded Reload
	buffer_load_dword v43, off, s[20:23], 0 offset:140 ; 4-byte Folded Reload
	buffer_load_dword v44, off, s[20:23], 0 offset:144 ; 4-byte Folded Reload
	s_waitcnt vmcnt(0)
	ds_write2_b64 v0, v[41:42], v[43:44] offset0:54 offset1:55
	buffer_load_dword v41, off, s[20:23], 0 offset:116 ; 4-byte Folded Reload
	buffer_load_dword v42, off, s[20:23], 0 offset:120 ; 4-byte Folded Reload
	buffer_load_dword v43, off, s[20:23], 0 offset:124 ; 4-byte Folded Reload
	buffer_load_dword v44, off, s[20:23], 0 offset:128 ; 4-byte Folded Reload
	s_waitcnt vmcnt(0)
	;; [unrolled: 6-line block ×9, first 2 shown]
	ds_write2_b64 v0, v[41:42], v[43:44] offset0:70 offset1:71
	ds_write2_b64 v0, v[81:82], v[83:84] offset0:72 offset1:73
	;; [unrolled: 1-line block ×5, first 2 shown]
	ds_read2_b64 v[97:100], v127 offset1:1
	s_waitcnt lgkmcnt(0)
	v_cmp_neq_f64_e32 vcc, 0, v[97:98]
	v_cmp_neq_f64_e64 s[2:3], 0, v[99:100]
	s_or_b64 s[2:3], vcc, s[2:3]
	s_and_b64 exec, exec, s[2:3]
	s_cbranch_execz .LBB79_224
; %bb.219:
	v_cmp_ngt_f64_e64 s[2:3], |v[97:98]|, |v[99:100]|
                                        ; implicit-def: $vgpr101_vgpr102
	s_and_saveexec_b64 s[6:7], s[2:3]
	s_xor_b64 s[2:3], exec, s[6:7]
                                        ; implicit-def: $vgpr103_vgpr104
	s_cbranch_execz .LBB79_221
; %bb.220:
	v_div_scale_f64 v[101:102], s[6:7], v[99:100], v[99:100], v[97:98]
	v_rcp_f64_e32 v[103:104], v[101:102]
	v_fma_f64 v[105:106], -v[101:102], v[103:104], 1.0
	v_fma_f64 v[103:104], v[103:104], v[105:106], v[103:104]
	v_div_scale_f64 v[105:106], vcc, v[97:98], v[99:100], v[97:98]
	v_fma_f64 v[107:108], -v[101:102], v[103:104], 1.0
	v_fma_f64 v[103:104], v[103:104], v[107:108], v[103:104]
	v_mul_f64 v[107:108], v[105:106], v[103:104]
	v_fma_f64 v[101:102], -v[101:102], v[107:108], v[105:106]
	v_div_fmas_f64 v[101:102], v[101:102], v[103:104], v[107:108]
	v_div_fixup_f64 v[101:102], v[101:102], v[99:100], v[97:98]
	v_fma_f64 v[97:98], v[97:98], v[101:102], v[99:100]
	v_div_scale_f64 v[99:100], s[6:7], v[97:98], v[97:98], 1.0
	v_div_scale_f64 v[107:108], vcc, 1.0, v[97:98], 1.0
	v_rcp_f64_e32 v[103:104], v[99:100]
	v_fma_f64 v[105:106], -v[99:100], v[103:104], 1.0
	v_fma_f64 v[103:104], v[103:104], v[105:106], v[103:104]
	v_fma_f64 v[105:106], -v[99:100], v[103:104], 1.0
	v_fma_f64 v[103:104], v[103:104], v[105:106], v[103:104]
	v_mul_f64 v[105:106], v[107:108], v[103:104]
	v_fma_f64 v[99:100], -v[99:100], v[105:106], v[107:108]
	v_div_fmas_f64 v[99:100], v[99:100], v[103:104], v[105:106]
	v_div_fixup_f64 v[103:104], v[99:100], v[97:98], 1.0
                                        ; implicit-def: $vgpr97_vgpr98
	v_mul_f64 v[101:102], v[101:102], v[103:104]
	v_xor_b32_e32 v104, 0x80000000, v104
.LBB79_221:
	s_andn2_saveexec_b64 s[2:3], s[2:3]
	s_cbranch_execz .LBB79_223
; %bb.222:
	v_div_scale_f64 v[101:102], s[6:7], v[97:98], v[97:98], v[99:100]
	v_rcp_f64_e32 v[103:104], v[101:102]
	v_fma_f64 v[105:106], -v[101:102], v[103:104], 1.0
	v_fma_f64 v[103:104], v[103:104], v[105:106], v[103:104]
	v_div_scale_f64 v[105:106], vcc, v[99:100], v[97:98], v[99:100]
	v_fma_f64 v[107:108], -v[101:102], v[103:104], 1.0
	v_fma_f64 v[103:104], v[103:104], v[107:108], v[103:104]
	v_mul_f64 v[107:108], v[105:106], v[103:104]
	v_fma_f64 v[101:102], -v[101:102], v[107:108], v[105:106]
	v_div_fmas_f64 v[101:102], v[101:102], v[103:104], v[107:108]
	v_div_fixup_f64 v[103:104], v[101:102], v[97:98], v[99:100]
	v_fma_f64 v[97:98], v[99:100], v[103:104], v[97:98]
	v_div_scale_f64 v[99:100], s[6:7], v[97:98], v[97:98], 1.0
	v_div_scale_f64 v[107:108], vcc, 1.0, v[97:98], 1.0
	v_rcp_f64_e32 v[101:102], v[99:100]
	v_fma_f64 v[105:106], -v[99:100], v[101:102], 1.0
	v_fma_f64 v[101:102], v[101:102], v[105:106], v[101:102]
	v_fma_f64 v[105:106], -v[99:100], v[101:102], 1.0
	v_fma_f64 v[101:102], v[101:102], v[105:106], v[101:102]
	v_mul_f64 v[105:106], v[107:108], v[101:102]
	v_fma_f64 v[99:100], -v[99:100], v[105:106], v[107:108]
	v_div_fmas_f64 v[99:100], v[99:100], v[101:102], v[105:106]
	v_div_fixup_f64 v[101:102], v[99:100], v[97:98], 1.0
	v_mul_f64 v[103:104], v[103:104], -v[101:102]
.LBB79_223:
	s_or_b64 exec, exec, s[2:3]
	ds_write2_b64 v127, v[101:102], v[103:104] offset1:1
.LBB79_224:
	s_or_b64 exec, exec, s[4:5]
	s_waitcnt lgkmcnt(0)
	s_barrier
	ds_read2_b64 v[41:44], v127 offset1:1
	s_waitcnt lgkmcnt(0)
	buffer_store_dword v41, off, s[20:23], 0 offset:996 ; 4-byte Folded Spill
	s_nop 0
	buffer_store_dword v42, off, s[20:23], 0 offset:1000 ; 4-byte Folded Spill
	buffer_store_dword v43, off, s[20:23], 0 offset:1004 ; 4-byte Folded Spill
	buffer_store_dword v44, off, s[20:23], 0 offset:1008 ; 4-byte Folded Spill
	buffer_load_dword v41, off, s[20:23], 0 ; 4-byte Folded Reload
	s_waitcnt vmcnt(0)
	v_cmp_lt_u32_e32 vcc, 24, v41
	s_and_saveexec_b64 s[2:3], vcc
	s_cbranch_execz .LBB79_226
; %bb.225:
	buffer_load_dword v41, off, s[20:23], 0 offset:996 ; 4-byte Folded Reload
	buffer_load_dword v42, off, s[20:23], 0 offset:1000 ; 4-byte Folded Reload
	;; [unrolled: 1-line block ×4, first 2 shown]
	ds_read2_b64 v[99:102], v0 offset0:50 offset1:51
	s_waitcnt vmcnt(2)
	v_mul_f64 v[97:98], v[41:42], v[59:60]
	s_waitcnt vmcnt(0)
	v_mul_f64 v[59:60], v[43:44], v[59:60]
	v_fma_f64 v[97:98], v[43:44], v[57:58], v[97:98]
	v_fma_f64 v[57:58], v[41:42], v[57:58], -v[59:60]
	s_waitcnt lgkmcnt(0)
	v_mul_f64 v[59:60], v[101:102], v[97:98]
	v_fma_f64 v[59:60], v[99:100], v[57:58], -v[59:60]
	v_mul_f64 v[99:100], v[99:100], v[97:98]
	v_add_f64 v[53:54], v[53:54], -v[59:60]
	v_fma_f64 v[99:100], v[101:102], v[57:58], v[99:100]
	v_add_f64 v[55:56], v[55:56], -v[99:100]
	ds_read2_b64 v[99:102], v0 offset0:52 offset1:53
	s_waitcnt lgkmcnt(0)
	v_mul_f64 v[59:60], v[101:102], v[97:98]
	v_fma_f64 v[59:60], v[99:100], v[57:58], -v[59:60]
	v_mul_f64 v[99:100], v[99:100], v[97:98]
	v_add_f64 v[49:50], v[49:50], -v[59:60]
	v_fma_f64 v[99:100], v[101:102], v[57:58], v[99:100]
	v_add_f64 v[51:52], v[51:52], -v[99:100]
	ds_read2_b64 v[99:102], v0 offset0:54 offset1:55
	buffer_load_dword v41, off, s[20:23], 0 offset:132 ; 4-byte Folded Reload
	buffer_load_dword v42, off, s[20:23], 0 offset:136 ; 4-byte Folded Reload
	buffer_load_dword v43, off, s[20:23], 0 offset:140 ; 4-byte Folded Reload
	buffer_load_dword v44, off, s[20:23], 0 offset:144 ; 4-byte Folded Reload
	s_waitcnt lgkmcnt(0)
	v_mul_f64 v[59:60], v[101:102], v[97:98]
	v_fma_f64 v[59:60], v[99:100], v[57:58], -v[59:60]
	v_mul_f64 v[99:100], v[99:100], v[97:98]
	v_fma_f64 v[99:100], v[101:102], v[57:58], v[99:100]
	s_waitcnt vmcnt(2)
	v_add_f64 v[41:42], v[41:42], -v[59:60]
	s_waitcnt vmcnt(0)
	v_add_f64 v[43:44], v[43:44], -v[99:100]
	buffer_store_dword v41, off, s[20:23], 0 offset:132 ; 4-byte Folded Spill
	s_nop 0
	buffer_store_dword v42, off, s[20:23], 0 offset:136 ; 4-byte Folded Spill
	buffer_store_dword v43, off, s[20:23], 0 offset:140 ; 4-byte Folded Spill
	buffer_store_dword v44, off, s[20:23], 0 offset:144 ; 4-byte Folded Spill
	ds_read2_b64 v[99:102], v0 offset0:56 offset1:57
	buffer_load_dword v41, off, s[20:23], 0 offset:116 ; 4-byte Folded Reload
	buffer_load_dword v42, off, s[20:23], 0 offset:120 ; 4-byte Folded Reload
	buffer_load_dword v43, off, s[20:23], 0 offset:124 ; 4-byte Folded Reload
	buffer_load_dword v44, off, s[20:23], 0 offset:128 ; 4-byte Folded Reload
	s_waitcnt lgkmcnt(0)
	v_mul_f64 v[59:60], v[101:102], v[97:98]
	v_fma_f64 v[59:60], v[99:100], v[57:58], -v[59:60]
	v_mul_f64 v[99:100], v[99:100], v[97:98]
	v_fma_f64 v[99:100], v[101:102], v[57:58], v[99:100]
	s_waitcnt vmcnt(2)
	v_add_f64 v[41:42], v[41:42], -v[59:60]
	s_waitcnt vmcnt(0)
	v_add_f64 v[43:44], v[43:44], -v[99:100]
	buffer_store_dword v41, off, s[20:23], 0 offset:116 ; 4-byte Folded Spill
	s_nop 0
	buffer_store_dword v42, off, s[20:23], 0 offset:120 ; 4-byte Folded Spill
	buffer_store_dword v43, off, s[20:23], 0 offset:124 ; 4-byte Folded Spill
	buffer_store_dword v44, off, s[20:23], 0 offset:128 ; 4-byte Folded Spill
	;; [unrolled: 19-line block ×9, first 2 shown]
	ds_read2_b64 v[99:102], v0 offset0:72 offset1:73
	s_waitcnt lgkmcnt(0)
	v_mul_f64 v[59:60], v[101:102], v[97:98]
	v_fma_f64 v[59:60], v[99:100], v[57:58], -v[59:60]
	v_mul_f64 v[99:100], v[99:100], v[97:98]
	v_add_f64 v[81:82], v[81:82], -v[59:60]
	v_fma_f64 v[99:100], v[101:102], v[57:58], v[99:100]
	v_add_f64 v[83:84], v[83:84], -v[99:100]
	ds_read2_b64 v[99:102], v0 offset0:74 offset1:75
	s_waitcnt lgkmcnt(0)
	v_mul_f64 v[59:60], v[101:102], v[97:98]
	v_fma_f64 v[59:60], v[99:100], v[57:58], -v[59:60]
	v_mul_f64 v[99:100], v[99:100], v[97:98]
	v_add_f64 v[85:86], v[85:86], -v[59:60]
	v_fma_f64 v[99:100], v[101:102], v[57:58], v[99:100]
	v_add_f64 v[87:88], v[87:88], -v[99:100]
	;; [unrolled: 8-line block ×3, first 2 shown]
	ds_read2_b64 v[99:102], v0 offset0:78 offset1:79
	s_waitcnt lgkmcnt(0)
	v_mul_f64 v[59:60], v[101:102], v[97:98]
	v_fma_f64 v[59:60], v[99:100], v[57:58], -v[59:60]
	v_mul_f64 v[99:100], v[99:100], v[97:98]
	v_add_f64 v[45:46], v[45:46], -v[59:60]
	v_fma_f64 v[99:100], v[101:102], v[57:58], v[99:100]
	v_mov_b32_e32 v59, v97
	v_mov_b32_e32 v60, v98
	v_add_f64 v[47:48], v[47:48], -v[99:100]
.LBB79_226:
	s_or_b64 exec, exec, s[2:3]
	s_waitcnt vmcnt(0)
	s_barrier
	buffer_load_dword v41, off, s[20:23], 0 ; 4-byte Folded Reload
	s_waitcnt vmcnt(0)
	v_cmp_eq_u32_e32 vcc, 25, v41
	s_and_saveexec_b64 s[4:5], vcc
	s_cbranch_execz .LBB79_233
; %bb.227:
	ds_write2_b64 v127, v[53:54], v[55:56] offset1:1
	ds_write2_b64 v0, v[49:50], v[51:52] offset0:52 offset1:53
	buffer_load_dword v41, off, s[20:23], 0 offset:132 ; 4-byte Folded Reload
	buffer_load_dword v42, off, s[20:23], 0 offset:136 ; 4-byte Folded Reload
	buffer_load_dword v43, off, s[20:23], 0 offset:140 ; 4-byte Folded Reload
	buffer_load_dword v44, off, s[20:23], 0 offset:144 ; 4-byte Folded Reload
	s_waitcnt vmcnt(0)
	ds_write2_b64 v0, v[41:42], v[43:44] offset0:54 offset1:55
	buffer_load_dword v41, off, s[20:23], 0 offset:116 ; 4-byte Folded Reload
	buffer_load_dword v42, off, s[20:23], 0 offset:120 ; 4-byte Folded Reload
	buffer_load_dword v43, off, s[20:23], 0 offset:124 ; 4-byte Folded Reload
	buffer_load_dword v44, off, s[20:23], 0 offset:128 ; 4-byte Folded Reload
	s_waitcnt vmcnt(0)
	;; [unrolled: 6-line block ×9, first 2 shown]
	ds_write2_b64 v0, v[41:42], v[43:44] offset0:70 offset1:71
	ds_write2_b64 v0, v[81:82], v[83:84] offset0:72 offset1:73
	;; [unrolled: 1-line block ×5, first 2 shown]
	ds_read2_b64 v[97:100], v127 offset1:1
	s_waitcnt lgkmcnt(0)
	v_cmp_neq_f64_e32 vcc, 0, v[97:98]
	v_cmp_neq_f64_e64 s[2:3], 0, v[99:100]
	s_or_b64 s[2:3], vcc, s[2:3]
	s_and_b64 exec, exec, s[2:3]
	s_cbranch_execz .LBB79_233
; %bb.228:
	v_cmp_ngt_f64_e64 s[2:3], |v[97:98]|, |v[99:100]|
                                        ; implicit-def: $vgpr101_vgpr102
	s_and_saveexec_b64 s[6:7], s[2:3]
	s_xor_b64 s[2:3], exec, s[6:7]
                                        ; implicit-def: $vgpr103_vgpr104
	s_cbranch_execz .LBB79_230
; %bb.229:
	v_div_scale_f64 v[101:102], s[6:7], v[99:100], v[99:100], v[97:98]
	v_rcp_f64_e32 v[103:104], v[101:102]
	v_fma_f64 v[105:106], -v[101:102], v[103:104], 1.0
	v_fma_f64 v[103:104], v[103:104], v[105:106], v[103:104]
	v_div_scale_f64 v[105:106], vcc, v[97:98], v[99:100], v[97:98]
	v_fma_f64 v[107:108], -v[101:102], v[103:104], 1.0
	v_fma_f64 v[103:104], v[103:104], v[107:108], v[103:104]
	v_mul_f64 v[107:108], v[105:106], v[103:104]
	v_fma_f64 v[101:102], -v[101:102], v[107:108], v[105:106]
	v_div_fmas_f64 v[101:102], v[101:102], v[103:104], v[107:108]
	v_div_fixup_f64 v[101:102], v[101:102], v[99:100], v[97:98]
	v_fma_f64 v[97:98], v[97:98], v[101:102], v[99:100]
	v_div_scale_f64 v[99:100], s[6:7], v[97:98], v[97:98], 1.0
	v_div_scale_f64 v[107:108], vcc, 1.0, v[97:98], 1.0
	v_rcp_f64_e32 v[103:104], v[99:100]
	v_fma_f64 v[105:106], -v[99:100], v[103:104], 1.0
	v_fma_f64 v[103:104], v[103:104], v[105:106], v[103:104]
	v_fma_f64 v[105:106], -v[99:100], v[103:104], 1.0
	v_fma_f64 v[103:104], v[103:104], v[105:106], v[103:104]
	v_mul_f64 v[105:106], v[107:108], v[103:104]
	v_fma_f64 v[99:100], -v[99:100], v[105:106], v[107:108]
	v_div_fmas_f64 v[99:100], v[99:100], v[103:104], v[105:106]
	v_div_fixup_f64 v[103:104], v[99:100], v[97:98], 1.0
                                        ; implicit-def: $vgpr97_vgpr98
	v_mul_f64 v[101:102], v[101:102], v[103:104]
	v_xor_b32_e32 v104, 0x80000000, v104
.LBB79_230:
	s_andn2_saveexec_b64 s[2:3], s[2:3]
	s_cbranch_execz .LBB79_232
; %bb.231:
	v_div_scale_f64 v[101:102], s[6:7], v[97:98], v[97:98], v[99:100]
	v_rcp_f64_e32 v[103:104], v[101:102]
	v_fma_f64 v[105:106], -v[101:102], v[103:104], 1.0
	v_fma_f64 v[103:104], v[103:104], v[105:106], v[103:104]
	v_div_scale_f64 v[105:106], vcc, v[99:100], v[97:98], v[99:100]
	v_fma_f64 v[107:108], -v[101:102], v[103:104], 1.0
	v_fma_f64 v[103:104], v[103:104], v[107:108], v[103:104]
	v_mul_f64 v[107:108], v[105:106], v[103:104]
	v_fma_f64 v[101:102], -v[101:102], v[107:108], v[105:106]
	v_div_fmas_f64 v[101:102], v[101:102], v[103:104], v[107:108]
	v_div_fixup_f64 v[103:104], v[101:102], v[97:98], v[99:100]
	v_fma_f64 v[97:98], v[99:100], v[103:104], v[97:98]
	v_div_scale_f64 v[99:100], s[6:7], v[97:98], v[97:98], 1.0
	v_div_scale_f64 v[107:108], vcc, 1.0, v[97:98], 1.0
	v_rcp_f64_e32 v[101:102], v[99:100]
	v_fma_f64 v[105:106], -v[99:100], v[101:102], 1.0
	v_fma_f64 v[101:102], v[101:102], v[105:106], v[101:102]
	v_fma_f64 v[105:106], -v[99:100], v[101:102], 1.0
	v_fma_f64 v[101:102], v[101:102], v[105:106], v[101:102]
	v_mul_f64 v[105:106], v[107:108], v[101:102]
	v_fma_f64 v[99:100], -v[99:100], v[105:106], v[107:108]
	v_div_fmas_f64 v[99:100], v[99:100], v[101:102], v[105:106]
	v_div_fixup_f64 v[101:102], v[99:100], v[97:98], 1.0
	v_mul_f64 v[103:104], v[103:104], -v[101:102]
.LBB79_232:
	s_or_b64 exec, exec, s[2:3]
	ds_write2_b64 v127, v[101:102], v[103:104] offset1:1
.LBB79_233:
	s_or_b64 exec, exec, s[4:5]
	s_waitcnt lgkmcnt(0)
	s_barrier
	ds_read2_b64 v[41:44], v127 offset1:1
	s_waitcnt lgkmcnt(0)
	buffer_store_dword v41, off, s[20:23], 0 offset:1012 ; 4-byte Folded Spill
	s_nop 0
	buffer_store_dword v42, off, s[20:23], 0 offset:1016 ; 4-byte Folded Spill
	buffer_store_dword v43, off, s[20:23], 0 offset:1020 ; 4-byte Folded Spill
	buffer_store_dword v44, off, s[20:23], 0 offset:1024 ; 4-byte Folded Spill
	buffer_load_dword v41, off, s[20:23], 0 ; 4-byte Folded Reload
	s_waitcnt vmcnt(0)
	v_cmp_lt_u32_e32 vcc, 25, v41
	s_and_saveexec_b64 s[2:3], vcc
	s_cbranch_execz .LBB79_235
; %bb.234:
	buffer_load_dword v41, off, s[20:23], 0 offset:1012 ; 4-byte Folded Reload
	buffer_load_dword v42, off, s[20:23], 0 offset:1016 ; 4-byte Folded Reload
	;; [unrolled: 1-line block ×4, first 2 shown]
	ds_read2_b64 v[99:102], v0 offset0:52 offset1:53
	s_waitcnt vmcnt(2)
	v_mul_f64 v[97:98], v[41:42], v[55:56]
	s_waitcnt vmcnt(0)
	v_mul_f64 v[55:56], v[43:44], v[55:56]
	v_fma_f64 v[97:98], v[43:44], v[53:54], v[97:98]
	v_fma_f64 v[53:54], v[41:42], v[53:54], -v[55:56]
	s_waitcnt lgkmcnt(0)
	v_mul_f64 v[55:56], v[101:102], v[97:98]
	v_fma_f64 v[55:56], v[99:100], v[53:54], -v[55:56]
	v_mul_f64 v[99:100], v[99:100], v[97:98]
	v_add_f64 v[49:50], v[49:50], -v[55:56]
	v_fma_f64 v[99:100], v[101:102], v[53:54], v[99:100]
	v_add_f64 v[51:52], v[51:52], -v[99:100]
	ds_read2_b64 v[99:102], v0 offset0:54 offset1:55
	buffer_load_dword v41, off, s[20:23], 0 offset:132 ; 4-byte Folded Reload
	buffer_load_dword v42, off, s[20:23], 0 offset:136 ; 4-byte Folded Reload
	buffer_load_dword v43, off, s[20:23], 0 offset:140 ; 4-byte Folded Reload
	buffer_load_dword v44, off, s[20:23], 0 offset:144 ; 4-byte Folded Reload
	s_waitcnt lgkmcnt(0)
	v_mul_f64 v[55:56], v[101:102], v[97:98]
	v_fma_f64 v[55:56], v[99:100], v[53:54], -v[55:56]
	v_mul_f64 v[99:100], v[99:100], v[97:98]
	v_fma_f64 v[99:100], v[101:102], v[53:54], v[99:100]
	s_waitcnt vmcnt(2)
	v_add_f64 v[41:42], v[41:42], -v[55:56]
	s_waitcnt vmcnt(0)
	v_add_f64 v[43:44], v[43:44], -v[99:100]
	buffer_store_dword v41, off, s[20:23], 0 offset:132 ; 4-byte Folded Spill
	s_nop 0
	buffer_store_dword v42, off, s[20:23], 0 offset:136 ; 4-byte Folded Spill
	buffer_store_dword v43, off, s[20:23], 0 offset:140 ; 4-byte Folded Spill
	buffer_store_dword v44, off, s[20:23], 0 offset:144 ; 4-byte Folded Spill
	ds_read2_b64 v[99:102], v0 offset0:56 offset1:57
	buffer_load_dword v41, off, s[20:23], 0 offset:116 ; 4-byte Folded Reload
	buffer_load_dword v42, off, s[20:23], 0 offset:120 ; 4-byte Folded Reload
	buffer_load_dword v43, off, s[20:23], 0 offset:124 ; 4-byte Folded Reload
	buffer_load_dword v44, off, s[20:23], 0 offset:128 ; 4-byte Folded Reload
	s_waitcnt lgkmcnt(0)
	v_mul_f64 v[55:56], v[101:102], v[97:98]
	v_fma_f64 v[55:56], v[99:100], v[53:54], -v[55:56]
	v_mul_f64 v[99:100], v[99:100], v[97:98]
	v_fma_f64 v[99:100], v[101:102], v[53:54], v[99:100]
	s_waitcnt vmcnt(2)
	v_add_f64 v[41:42], v[41:42], -v[55:56]
	s_waitcnt vmcnt(0)
	v_add_f64 v[43:44], v[43:44], -v[99:100]
	buffer_store_dword v41, off, s[20:23], 0 offset:116 ; 4-byte Folded Spill
	s_nop 0
	buffer_store_dword v42, off, s[20:23], 0 offset:120 ; 4-byte Folded Spill
	buffer_store_dword v43, off, s[20:23], 0 offset:124 ; 4-byte Folded Spill
	buffer_store_dword v44, off, s[20:23], 0 offset:128 ; 4-byte Folded Spill
	;; [unrolled: 19-line block ×9, first 2 shown]
	ds_read2_b64 v[99:102], v0 offset0:72 offset1:73
	s_waitcnt lgkmcnt(0)
	v_mul_f64 v[55:56], v[101:102], v[97:98]
	v_fma_f64 v[55:56], v[99:100], v[53:54], -v[55:56]
	v_mul_f64 v[99:100], v[99:100], v[97:98]
	v_add_f64 v[81:82], v[81:82], -v[55:56]
	v_fma_f64 v[99:100], v[101:102], v[53:54], v[99:100]
	v_add_f64 v[83:84], v[83:84], -v[99:100]
	ds_read2_b64 v[99:102], v0 offset0:74 offset1:75
	s_waitcnt lgkmcnt(0)
	v_mul_f64 v[55:56], v[101:102], v[97:98]
	v_fma_f64 v[55:56], v[99:100], v[53:54], -v[55:56]
	v_mul_f64 v[99:100], v[99:100], v[97:98]
	v_add_f64 v[85:86], v[85:86], -v[55:56]
	v_fma_f64 v[99:100], v[101:102], v[53:54], v[99:100]
	v_add_f64 v[87:88], v[87:88], -v[99:100]
	;; [unrolled: 8-line block ×3, first 2 shown]
	ds_read2_b64 v[99:102], v0 offset0:78 offset1:79
	s_waitcnt lgkmcnt(0)
	v_mul_f64 v[55:56], v[101:102], v[97:98]
	v_fma_f64 v[55:56], v[99:100], v[53:54], -v[55:56]
	v_mul_f64 v[99:100], v[99:100], v[97:98]
	v_add_f64 v[45:46], v[45:46], -v[55:56]
	v_fma_f64 v[99:100], v[101:102], v[53:54], v[99:100]
	v_mov_b32_e32 v55, v97
	v_mov_b32_e32 v56, v98
	v_add_f64 v[47:48], v[47:48], -v[99:100]
.LBB79_235:
	s_or_b64 exec, exec, s[2:3]
	s_waitcnt vmcnt(0)
	s_barrier
	buffer_load_dword v41, off, s[20:23], 0 ; 4-byte Folded Reload
	s_waitcnt vmcnt(0)
	v_cmp_eq_u32_e32 vcc, 26, v41
	s_and_saveexec_b64 s[4:5], vcc
	s_cbranch_execz .LBB79_242
; %bb.236:
	ds_write2_b64 v127, v[49:50], v[51:52] offset1:1
	buffer_load_dword v41, off, s[20:23], 0 offset:132 ; 4-byte Folded Reload
	buffer_load_dword v42, off, s[20:23], 0 offset:136 ; 4-byte Folded Reload
	buffer_load_dword v43, off, s[20:23], 0 offset:140 ; 4-byte Folded Reload
	buffer_load_dword v44, off, s[20:23], 0 offset:144 ; 4-byte Folded Reload
	s_waitcnt vmcnt(0)
	ds_write2_b64 v0, v[41:42], v[43:44] offset0:54 offset1:55
	buffer_load_dword v41, off, s[20:23], 0 offset:116 ; 4-byte Folded Reload
	buffer_load_dword v42, off, s[20:23], 0 offset:120 ; 4-byte Folded Reload
	buffer_load_dword v43, off, s[20:23], 0 offset:124 ; 4-byte Folded Reload
	buffer_load_dword v44, off, s[20:23], 0 offset:128 ; 4-byte Folded Reload
	s_waitcnt vmcnt(0)
	ds_write2_b64 v0, v[41:42], v[43:44] offset0:56 offset1:57
	;; [unrolled: 6-line block ×9, first 2 shown]
	ds_write2_b64 v0, v[81:82], v[83:84] offset0:72 offset1:73
	ds_write2_b64 v0, v[85:86], v[87:88] offset0:74 offset1:75
	;; [unrolled: 1-line block ×4, first 2 shown]
	ds_read2_b64 v[97:100], v127 offset1:1
	s_waitcnt lgkmcnt(0)
	v_cmp_neq_f64_e32 vcc, 0, v[97:98]
	v_cmp_neq_f64_e64 s[2:3], 0, v[99:100]
	s_or_b64 s[2:3], vcc, s[2:3]
	s_and_b64 exec, exec, s[2:3]
	s_cbranch_execz .LBB79_242
; %bb.237:
	v_cmp_ngt_f64_e64 s[2:3], |v[97:98]|, |v[99:100]|
                                        ; implicit-def: $vgpr101_vgpr102
	s_and_saveexec_b64 s[6:7], s[2:3]
	s_xor_b64 s[2:3], exec, s[6:7]
                                        ; implicit-def: $vgpr103_vgpr104
	s_cbranch_execz .LBB79_239
; %bb.238:
	v_div_scale_f64 v[101:102], s[6:7], v[99:100], v[99:100], v[97:98]
	v_rcp_f64_e32 v[103:104], v[101:102]
	v_fma_f64 v[105:106], -v[101:102], v[103:104], 1.0
	v_fma_f64 v[103:104], v[103:104], v[105:106], v[103:104]
	v_div_scale_f64 v[105:106], vcc, v[97:98], v[99:100], v[97:98]
	v_fma_f64 v[107:108], -v[101:102], v[103:104], 1.0
	v_fma_f64 v[103:104], v[103:104], v[107:108], v[103:104]
	v_mul_f64 v[107:108], v[105:106], v[103:104]
	v_fma_f64 v[101:102], -v[101:102], v[107:108], v[105:106]
	v_div_fmas_f64 v[101:102], v[101:102], v[103:104], v[107:108]
	v_div_fixup_f64 v[101:102], v[101:102], v[99:100], v[97:98]
	v_fma_f64 v[97:98], v[97:98], v[101:102], v[99:100]
	v_div_scale_f64 v[99:100], s[6:7], v[97:98], v[97:98], 1.0
	v_div_scale_f64 v[107:108], vcc, 1.0, v[97:98], 1.0
	v_rcp_f64_e32 v[103:104], v[99:100]
	v_fma_f64 v[105:106], -v[99:100], v[103:104], 1.0
	v_fma_f64 v[103:104], v[103:104], v[105:106], v[103:104]
	v_fma_f64 v[105:106], -v[99:100], v[103:104], 1.0
	v_fma_f64 v[103:104], v[103:104], v[105:106], v[103:104]
	v_mul_f64 v[105:106], v[107:108], v[103:104]
	v_fma_f64 v[99:100], -v[99:100], v[105:106], v[107:108]
	v_div_fmas_f64 v[99:100], v[99:100], v[103:104], v[105:106]
	v_div_fixup_f64 v[103:104], v[99:100], v[97:98], 1.0
                                        ; implicit-def: $vgpr97_vgpr98
	v_mul_f64 v[101:102], v[101:102], v[103:104]
	v_xor_b32_e32 v104, 0x80000000, v104
.LBB79_239:
	s_andn2_saveexec_b64 s[2:3], s[2:3]
	s_cbranch_execz .LBB79_241
; %bb.240:
	v_div_scale_f64 v[101:102], s[6:7], v[97:98], v[97:98], v[99:100]
	v_rcp_f64_e32 v[103:104], v[101:102]
	v_fma_f64 v[105:106], -v[101:102], v[103:104], 1.0
	v_fma_f64 v[103:104], v[103:104], v[105:106], v[103:104]
	v_div_scale_f64 v[105:106], vcc, v[99:100], v[97:98], v[99:100]
	v_fma_f64 v[107:108], -v[101:102], v[103:104], 1.0
	v_fma_f64 v[103:104], v[103:104], v[107:108], v[103:104]
	v_mul_f64 v[107:108], v[105:106], v[103:104]
	v_fma_f64 v[101:102], -v[101:102], v[107:108], v[105:106]
	v_div_fmas_f64 v[101:102], v[101:102], v[103:104], v[107:108]
	v_div_fixup_f64 v[103:104], v[101:102], v[97:98], v[99:100]
	v_fma_f64 v[97:98], v[99:100], v[103:104], v[97:98]
	v_div_scale_f64 v[99:100], s[6:7], v[97:98], v[97:98], 1.0
	v_div_scale_f64 v[107:108], vcc, 1.0, v[97:98], 1.0
	v_rcp_f64_e32 v[101:102], v[99:100]
	v_fma_f64 v[105:106], -v[99:100], v[101:102], 1.0
	v_fma_f64 v[101:102], v[101:102], v[105:106], v[101:102]
	v_fma_f64 v[105:106], -v[99:100], v[101:102], 1.0
	v_fma_f64 v[101:102], v[101:102], v[105:106], v[101:102]
	v_mul_f64 v[105:106], v[107:108], v[101:102]
	v_fma_f64 v[99:100], -v[99:100], v[105:106], v[107:108]
	v_div_fmas_f64 v[99:100], v[99:100], v[101:102], v[105:106]
	v_div_fixup_f64 v[101:102], v[99:100], v[97:98], 1.0
	v_mul_f64 v[103:104], v[103:104], -v[101:102]
.LBB79_241:
	s_or_b64 exec, exec, s[2:3]
	ds_write2_b64 v127, v[101:102], v[103:104] offset1:1
.LBB79_242:
	s_or_b64 exec, exec, s[4:5]
	s_waitcnt lgkmcnt(0)
	s_barrier
	ds_read2_b64 v[41:44], v127 offset1:1
	s_waitcnt lgkmcnt(0)
	buffer_store_dword v41, off, s[20:23], 0 offset:1028 ; 4-byte Folded Spill
	s_nop 0
	buffer_store_dword v42, off, s[20:23], 0 offset:1032 ; 4-byte Folded Spill
	buffer_store_dword v43, off, s[20:23], 0 offset:1036 ; 4-byte Folded Spill
	;; [unrolled: 1-line block ×3, first 2 shown]
	buffer_load_dword v41, off, s[20:23], 0 ; 4-byte Folded Reload
	s_waitcnt vmcnt(0)
	v_cmp_lt_u32_e32 vcc, 26, v41
	s_and_saveexec_b64 s[2:3], vcc
	s_cbranch_execz .LBB79_244
; %bb.243:
	buffer_load_dword v41, off, s[20:23], 0 offset:1028 ; 4-byte Folded Reload
	buffer_load_dword v42, off, s[20:23], 0 offset:1032 ; 4-byte Folded Reload
	;; [unrolled: 1-line block ×4, first 2 shown]
	ds_read2_b64 v[99:102], v0 offset0:54 offset1:55
	s_waitcnt vmcnt(2)
	v_mul_f64 v[97:98], v[41:42], v[51:52]
	s_waitcnt vmcnt(0)
	v_mul_f64 v[51:52], v[43:44], v[51:52]
	v_fma_f64 v[97:98], v[43:44], v[49:50], v[97:98]
	v_fma_f64 v[49:50], v[41:42], v[49:50], -v[51:52]
	buffer_load_dword v41, off, s[20:23], 0 offset:132 ; 4-byte Folded Reload
	buffer_load_dword v42, off, s[20:23], 0 offset:136 ; 4-byte Folded Reload
	buffer_load_dword v43, off, s[20:23], 0 offset:140 ; 4-byte Folded Reload
	buffer_load_dword v44, off, s[20:23], 0 offset:144 ; 4-byte Folded Reload
	s_waitcnt lgkmcnt(0)
	v_mul_f64 v[51:52], v[101:102], v[97:98]
	v_fma_f64 v[51:52], v[99:100], v[49:50], -v[51:52]
	v_mul_f64 v[99:100], v[99:100], v[97:98]
	v_fma_f64 v[99:100], v[101:102], v[49:50], v[99:100]
	s_waitcnt vmcnt(2)
	v_add_f64 v[41:42], v[41:42], -v[51:52]
	s_waitcnt vmcnt(0)
	v_add_f64 v[43:44], v[43:44], -v[99:100]
	buffer_store_dword v41, off, s[20:23], 0 offset:132 ; 4-byte Folded Spill
	s_nop 0
	buffer_store_dword v42, off, s[20:23], 0 offset:136 ; 4-byte Folded Spill
	buffer_store_dword v43, off, s[20:23], 0 offset:140 ; 4-byte Folded Spill
	buffer_store_dword v44, off, s[20:23], 0 offset:144 ; 4-byte Folded Spill
	ds_read2_b64 v[99:102], v0 offset0:56 offset1:57
	buffer_load_dword v41, off, s[20:23], 0 offset:116 ; 4-byte Folded Reload
	buffer_load_dword v42, off, s[20:23], 0 offset:120 ; 4-byte Folded Reload
	buffer_load_dword v43, off, s[20:23], 0 offset:124 ; 4-byte Folded Reload
	buffer_load_dword v44, off, s[20:23], 0 offset:128 ; 4-byte Folded Reload
	s_waitcnt lgkmcnt(0)
	v_mul_f64 v[51:52], v[101:102], v[97:98]
	v_fma_f64 v[51:52], v[99:100], v[49:50], -v[51:52]
	v_mul_f64 v[99:100], v[99:100], v[97:98]
	v_fma_f64 v[99:100], v[101:102], v[49:50], v[99:100]
	s_waitcnt vmcnt(2)
	v_add_f64 v[41:42], v[41:42], -v[51:52]
	s_waitcnt vmcnt(0)
	v_add_f64 v[43:44], v[43:44], -v[99:100]
	buffer_store_dword v41, off, s[20:23], 0 offset:116 ; 4-byte Folded Spill
	s_nop 0
	buffer_store_dword v42, off, s[20:23], 0 offset:120 ; 4-byte Folded Spill
	buffer_store_dword v43, off, s[20:23], 0 offset:124 ; 4-byte Folded Spill
	buffer_store_dword v44, off, s[20:23], 0 offset:128 ; 4-byte Folded Spill
	ds_read2_b64 v[99:102], v0 offset0:58 offset1:59
	;; [unrolled: 19-line block ×9, first 2 shown]
	s_waitcnt lgkmcnt(0)
	v_mul_f64 v[51:52], v[101:102], v[97:98]
	v_fma_f64 v[51:52], v[99:100], v[49:50], -v[51:52]
	v_mul_f64 v[99:100], v[99:100], v[97:98]
	v_add_f64 v[81:82], v[81:82], -v[51:52]
	v_fma_f64 v[99:100], v[101:102], v[49:50], v[99:100]
	v_add_f64 v[83:84], v[83:84], -v[99:100]
	ds_read2_b64 v[99:102], v0 offset0:74 offset1:75
	s_waitcnt lgkmcnt(0)
	v_mul_f64 v[51:52], v[101:102], v[97:98]
	v_fma_f64 v[51:52], v[99:100], v[49:50], -v[51:52]
	v_mul_f64 v[99:100], v[99:100], v[97:98]
	v_add_f64 v[85:86], v[85:86], -v[51:52]
	v_fma_f64 v[99:100], v[101:102], v[49:50], v[99:100]
	v_add_f64 v[87:88], v[87:88], -v[99:100]
	ds_read2_b64 v[99:102], v0 offset0:76 offset1:77
	;; [unrolled: 8-line block ×3, first 2 shown]
	s_waitcnt lgkmcnt(0)
	v_mul_f64 v[51:52], v[101:102], v[97:98]
	v_fma_f64 v[51:52], v[99:100], v[49:50], -v[51:52]
	v_mul_f64 v[99:100], v[99:100], v[97:98]
	v_add_f64 v[45:46], v[45:46], -v[51:52]
	v_fma_f64 v[99:100], v[101:102], v[49:50], v[99:100]
	v_mov_b32_e32 v51, v97
	v_mov_b32_e32 v52, v98
	v_add_f64 v[47:48], v[47:48], -v[99:100]
.LBB79_244:
	s_or_b64 exec, exec, s[2:3]
	s_waitcnt vmcnt(0)
	s_barrier
	buffer_load_dword v41, off, s[20:23], 0 ; 4-byte Folded Reload
	s_waitcnt vmcnt(0)
	v_cmp_eq_u32_e32 vcc, 27, v41
	s_and_saveexec_b64 s[4:5], vcc
	s_cbranch_execz .LBB79_251
; %bb.245:
	buffer_load_dword v41, off, s[20:23], 0 offset:132 ; 4-byte Folded Reload
	buffer_load_dword v42, off, s[20:23], 0 offset:136 ; 4-byte Folded Reload
	;; [unrolled: 1-line block ×4, first 2 shown]
	s_waitcnt vmcnt(0)
	ds_write2_b64 v127, v[41:42], v[43:44] offset1:1
	buffer_load_dword v41, off, s[20:23], 0 offset:116 ; 4-byte Folded Reload
	buffer_load_dword v42, off, s[20:23], 0 offset:120 ; 4-byte Folded Reload
	buffer_load_dword v43, off, s[20:23], 0 offset:124 ; 4-byte Folded Reload
	buffer_load_dword v44, off, s[20:23], 0 offset:128 ; 4-byte Folded Reload
	s_waitcnt vmcnt(0)
	ds_write2_b64 v0, v[41:42], v[43:44] offset0:56 offset1:57
	buffer_load_dword v41, off, s[20:23], 0 offset:100 ; 4-byte Folded Reload
	buffer_load_dword v42, off, s[20:23], 0 offset:104 ; 4-byte Folded Reload
	buffer_load_dword v43, off, s[20:23], 0 offset:108 ; 4-byte Folded Reload
	buffer_load_dword v44, off, s[20:23], 0 offset:112 ; 4-byte Folded Reload
	s_waitcnt vmcnt(0)
	ds_write2_b64 v0, v[41:42], v[43:44] offset0:58 offset1:59
	;; [unrolled: 6-line block ×8, first 2 shown]
	ds_write2_b64 v0, v[81:82], v[83:84] offset0:72 offset1:73
	ds_write2_b64 v0, v[85:86], v[87:88] offset0:74 offset1:75
	ds_write2_b64 v0, v[1:2], v[3:4] offset0:76 offset1:77
	ds_write2_b64 v0, v[45:46], v[47:48] offset0:78 offset1:79
	ds_read2_b64 v[97:100], v127 offset1:1
	s_waitcnt lgkmcnt(0)
	v_cmp_neq_f64_e32 vcc, 0, v[97:98]
	v_cmp_neq_f64_e64 s[2:3], 0, v[99:100]
	s_or_b64 s[2:3], vcc, s[2:3]
	s_and_b64 exec, exec, s[2:3]
	s_cbranch_execz .LBB79_251
; %bb.246:
	v_cmp_ngt_f64_e64 s[2:3], |v[97:98]|, |v[99:100]|
                                        ; implicit-def: $vgpr101_vgpr102
	s_and_saveexec_b64 s[6:7], s[2:3]
	s_xor_b64 s[2:3], exec, s[6:7]
                                        ; implicit-def: $vgpr103_vgpr104
	s_cbranch_execz .LBB79_248
; %bb.247:
	v_div_scale_f64 v[101:102], s[6:7], v[99:100], v[99:100], v[97:98]
	v_rcp_f64_e32 v[103:104], v[101:102]
	v_fma_f64 v[105:106], -v[101:102], v[103:104], 1.0
	v_fma_f64 v[103:104], v[103:104], v[105:106], v[103:104]
	v_div_scale_f64 v[105:106], vcc, v[97:98], v[99:100], v[97:98]
	v_fma_f64 v[107:108], -v[101:102], v[103:104], 1.0
	v_fma_f64 v[103:104], v[103:104], v[107:108], v[103:104]
	v_mul_f64 v[107:108], v[105:106], v[103:104]
	v_fma_f64 v[101:102], -v[101:102], v[107:108], v[105:106]
	v_div_fmas_f64 v[101:102], v[101:102], v[103:104], v[107:108]
	v_div_fixup_f64 v[101:102], v[101:102], v[99:100], v[97:98]
	v_fma_f64 v[97:98], v[97:98], v[101:102], v[99:100]
	v_div_scale_f64 v[99:100], s[6:7], v[97:98], v[97:98], 1.0
	v_div_scale_f64 v[107:108], vcc, 1.0, v[97:98], 1.0
	v_rcp_f64_e32 v[103:104], v[99:100]
	v_fma_f64 v[105:106], -v[99:100], v[103:104], 1.0
	v_fma_f64 v[103:104], v[103:104], v[105:106], v[103:104]
	v_fma_f64 v[105:106], -v[99:100], v[103:104], 1.0
	v_fma_f64 v[103:104], v[103:104], v[105:106], v[103:104]
	v_mul_f64 v[105:106], v[107:108], v[103:104]
	v_fma_f64 v[99:100], -v[99:100], v[105:106], v[107:108]
	v_div_fmas_f64 v[99:100], v[99:100], v[103:104], v[105:106]
	v_div_fixup_f64 v[103:104], v[99:100], v[97:98], 1.0
                                        ; implicit-def: $vgpr97_vgpr98
	v_mul_f64 v[101:102], v[101:102], v[103:104]
	v_xor_b32_e32 v104, 0x80000000, v104
.LBB79_248:
	s_andn2_saveexec_b64 s[2:3], s[2:3]
	s_cbranch_execz .LBB79_250
; %bb.249:
	v_div_scale_f64 v[101:102], s[6:7], v[97:98], v[97:98], v[99:100]
	v_rcp_f64_e32 v[103:104], v[101:102]
	v_fma_f64 v[105:106], -v[101:102], v[103:104], 1.0
	v_fma_f64 v[103:104], v[103:104], v[105:106], v[103:104]
	v_div_scale_f64 v[105:106], vcc, v[99:100], v[97:98], v[99:100]
	v_fma_f64 v[107:108], -v[101:102], v[103:104], 1.0
	v_fma_f64 v[103:104], v[103:104], v[107:108], v[103:104]
	v_mul_f64 v[107:108], v[105:106], v[103:104]
	v_fma_f64 v[101:102], -v[101:102], v[107:108], v[105:106]
	v_div_fmas_f64 v[101:102], v[101:102], v[103:104], v[107:108]
	v_div_fixup_f64 v[103:104], v[101:102], v[97:98], v[99:100]
	v_fma_f64 v[97:98], v[99:100], v[103:104], v[97:98]
	v_div_scale_f64 v[99:100], s[6:7], v[97:98], v[97:98], 1.0
	v_div_scale_f64 v[107:108], vcc, 1.0, v[97:98], 1.0
	v_rcp_f64_e32 v[101:102], v[99:100]
	v_fma_f64 v[105:106], -v[99:100], v[101:102], 1.0
	v_fma_f64 v[101:102], v[101:102], v[105:106], v[101:102]
	v_fma_f64 v[105:106], -v[99:100], v[101:102], 1.0
	v_fma_f64 v[101:102], v[101:102], v[105:106], v[101:102]
	v_mul_f64 v[105:106], v[107:108], v[101:102]
	v_fma_f64 v[99:100], -v[99:100], v[105:106], v[107:108]
	v_div_fmas_f64 v[99:100], v[99:100], v[101:102], v[105:106]
	v_div_fixup_f64 v[101:102], v[99:100], v[97:98], 1.0
	v_mul_f64 v[103:104], v[103:104], -v[101:102]
.LBB79_250:
	s_or_b64 exec, exec, s[2:3]
	ds_write2_b64 v127, v[101:102], v[103:104] offset1:1
.LBB79_251:
	s_or_b64 exec, exec, s[4:5]
	s_waitcnt lgkmcnt(0)
	s_barrier
	ds_read2_b64 v[41:44], v127 offset1:1
	s_waitcnt lgkmcnt(0)
	buffer_store_dword v41, off, s[20:23], 0 offset:1044 ; 4-byte Folded Spill
	s_nop 0
	buffer_store_dword v42, off, s[20:23], 0 offset:1048 ; 4-byte Folded Spill
	buffer_store_dword v43, off, s[20:23], 0 offset:1052 ; 4-byte Folded Spill
	;; [unrolled: 1-line block ×3, first 2 shown]
	buffer_load_dword v41, off, s[20:23], 0 ; 4-byte Folded Reload
	s_waitcnt vmcnt(0)
	v_cmp_lt_u32_e32 vcc, 27, v41
	s_and_saveexec_b64 s[2:3], vcc
	s_cbranch_execz .LBB79_253
; %bb.252:
	v_mov_b32_e32 v106, v84
	v_mov_b32_e32 v105, v83
	;; [unrolled: 1-line block ×8, first 2 shown]
	buffer_load_dword v45, off, s[20:23], 0 offset:132 ; 4-byte Folded Reload
	buffer_load_dword v46, off, s[20:23], 0 offset:136 ; 4-byte Folded Reload
	;; [unrolled: 1-line block ×8, first 2 shown]
	ds_read2_b64 v[99:102], v0 offset0:56 offset1:57
	s_waitcnt vmcnt(2)
	v_mul_f64 v[97:98], v[41:42], v[47:48]
	s_waitcnt vmcnt(0)
	v_mul_f64 v[47:48], v[43:44], v[47:48]
	v_fma_f64 v[97:98], v[43:44], v[45:46], v[97:98]
	v_fma_f64 v[45:46], v[41:42], v[45:46], -v[47:48]
	buffer_load_dword v41, off, s[20:23], 0 offset:116 ; 4-byte Folded Reload
	buffer_load_dword v42, off, s[20:23], 0 offset:120 ; 4-byte Folded Reload
	buffer_load_dword v43, off, s[20:23], 0 offset:124 ; 4-byte Folded Reload
	buffer_load_dword v44, off, s[20:23], 0 offset:128 ; 4-byte Folded Reload
	s_waitcnt lgkmcnt(0)
	v_mul_f64 v[47:48], v[101:102], v[97:98]
	v_fma_f64 v[47:48], v[99:100], v[45:46], -v[47:48]
	v_mul_f64 v[99:100], v[99:100], v[97:98]
	v_fma_f64 v[99:100], v[101:102], v[45:46], v[99:100]
	s_waitcnt vmcnt(2)
	v_add_f64 v[41:42], v[41:42], -v[47:48]
	s_waitcnt vmcnt(0)
	v_add_f64 v[43:44], v[43:44], -v[99:100]
	buffer_store_dword v41, off, s[20:23], 0 offset:116 ; 4-byte Folded Spill
	s_nop 0
	buffer_store_dword v42, off, s[20:23], 0 offset:120 ; 4-byte Folded Spill
	buffer_store_dword v43, off, s[20:23], 0 offset:124 ; 4-byte Folded Spill
	buffer_store_dword v44, off, s[20:23], 0 offset:128 ; 4-byte Folded Spill
	ds_read2_b64 v[99:102], v0 offset0:58 offset1:59
	buffer_load_dword v41, off, s[20:23], 0 offset:100 ; 4-byte Folded Reload
	buffer_load_dword v42, off, s[20:23], 0 offset:104 ; 4-byte Folded Reload
	buffer_load_dword v43, off, s[20:23], 0 offset:108 ; 4-byte Folded Reload
	buffer_load_dword v44, off, s[20:23], 0 offset:112 ; 4-byte Folded Reload
	s_waitcnt lgkmcnt(0)
	v_mul_f64 v[47:48], v[101:102], v[97:98]
	v_fma_f64 v[47:48], v[99:100], v[45:46], -v[47:48]
	v_mul_f64 v[99:100], v[99:100], v[97:98]
	v_fma_f64 v[99:100], v[101:102], v[45:46], v[99:100]
	s_waitcnt vmcnt(2)
	v_add_f64 v[41:42], v[41:42], -v[47:48]
	s_waitcnt vmcnt(0)
	v_add_f64 v[43:44], v[43:44], -v[99:100]
	buffer_store_dword v41, off, s[20:23], 0 offset:100 ; 4-byte Folded Spill
	s_nop 0
	buffer_store_dword v42, off, s[20:23], 0 offset:104 ; 4-byte Folded Spill
	buffer_store_dword v43, off, s[20:23], 0 offset:108 ; 4-byte Folded Spill
	buffer_store_dword v44, off, s[20:23], 0 offset:112 ; 4-byte Folded Spill
	ds_read2_b64 v[99:102], v0 offset0:60 offset1:61
	;; [unrolled: 19-line block ×8, first 2 shown]
	s_waitcnt lgkmcnt(0)
	v_mul_f64 v[47:48], v[101:102], v[97:98]
	v_fma_f64 v[47:48], v[99:100], v[45:46], -v[47:48]
	v_mul_f64 v[99:100], v[99:100], v[97:98]
	v_add_f64 v[103:104], v[103:104], -v[47:48]
	v_fma_f64 v[99:100], v[101:102], v[45:46], v[99:100]
	v_add_f64 v[105:106], v[105:106], -v[99:100]
	ds_read2_b64 v[99:102], v0 offset0:74 offset1:75
	s_waitcnt lgkmcnt(0)
	v_mul_f64 v[47:48], v[101:102], v[97:98]
	v_fma_f64 v[47:48], v[99:100], v[45:46], -v[47:48]
	v_mul_f64 v[99:100], v[99:100], v[97:98]
	v_add_f64 v[85:86], v[85:86], -v[47:48]
	v_fma_f64 v[99:100], v[101:102], v[45:46], v[99:100]
	v_add_f64 v[87:88], v[87:88], -v[99:100]
	ds_read2_b64 v[99:102], v0 offset0:76 offset1:77
	;; [unrolled: 8-line block ×3, first 2 shown]
	s_waitcnt lgkmcnt(0)
	v_mul_f64 v[47:48], v[101:102], v[97:98]
	v_fma_f64 v[47:48], v[99:100], v[45:46], -v[47:48]
	v_mul_f64 v[99:100], v[99:100], v[97:98]
	v_add_f64 v[81:82], v[81:82], -v[47:48]
	v_fma_f64 v[99:100], v[101:102], v[45:46], v[99:100]
	v_mov_b32_e32 v47, v97
	v_mov_b32_e32 v48, v98
	buffer_store_dword v45, off, s[20:23], 0 offset:132 ; 4-byte Folded Spill
	s_nop 0
	buffer_store_dword v46, off, s[20:23], 0 offset:136 ; 4-byte Folded Spill
	buffer_store_dword v47, off, s[20:23], 0 offset:140 ; 4-byte Folded Spill
	;; [unrolled: 1-line block ×3, first 2 shown]
	v_add_f64 v[83:84], v[83:84], -v[99:100]
	v_mov_b32_e32 v45, v81
	v_mov_b32_e32 v46, v82
	;; [unrolled: 1-line block ×8, first 2 shown]
.LBB79_253:
	s_or_b64 exec, exec, s[2:3]
	s_waitcnt vmcnt(0)
	s_barrier
	buffer_load_dword v41, off, s[20:23], 0 ; 4-byte Folded Reload
	s_waitcnt vmcnt(0)
	v_cmp_eq_u32_e32 vcc, 28, v41
	s_and_saveexec_b64 s[4:5], vcc
	s_cbranch_execz .LBB79_260
; %bb.254:
	buffer_load_dword v41, off, s[20:23], 0 offset:116 ; 4-byte Folded Reload
	buffer_load_dword v42, off, s[20:23], 0 offset:120 ; 4-byte Folded Reload
	;; [unrolled: 1-line block ×4, first 2 shown]
	s_waitcnt vmcnt(0)
	ds_write2_b64 v127, v[41:42], v[43:44] offset1:1
	buffer_load_dword v41, off, s[20:23], 0 offset:100 ; 4-byte Folded Reload
	buffer_load_dword v42, off, s[20:23], 0 offset:104 ; 4-byte Folded Reload
	buffer_load_dword v43, off, s[20:23], 0 offset:108 ; 4-byte Folded Reload
	buffer_load_dword v44, off, s[20:23], 0 offset:112 ; 4-byte Folded Reload
	s_waitcnt vmcnt(0)
	ds_write2_b64 v0, v[41:42], v[43:44] offset0:58 offset1:59
	buffer_load_dword v41, off, s[20:23], 0 offset:84 ; 4-byte Folded Reload
	buffer_load_dword v42, off, s[20:23], 0 offset:88 ; 4-byte Folded Reload
	buffer_load_dword v43, off, s[20:23], 0 offset:92 ; 4-byte Folded Reload
	buffer_load_dword v44, off, s[20:23], 0 offset:96 ; 4-byte Folded Reload
	s_waitcnt vmcnt(0)
	ds_write2_b64 v0, v[41:42], v[43:44] offset0:60 offset1:61
	;; [unrolled: 6-line block ×7, first 2 shown]
	ds_write2_b64 v0, v[81:82], v[83:84] offset0:72 offset1:73
	ds_write2_b64 v0, v[85:86], v[87:88] offset0:74 offset1:75
	;; [unrolled: 1-line block ×4, first 2 shown]
	ds_read2_b64 v[97:100], v127 offset1:1
	s_waitcnt lgkmcnt(0)
	v_cmp_neq_f64_e32 vcc, 0, v[97:98]
	v_cmp_neq_f64_e64 s[2:3], 0, v[99:100]
	s_or_b64 s[2:3], vcc, s[2:3]
	s_and_b64 exec, exec, s[2:3]
	s_cbranch_execz .LBB79_260
; %bb.255:
	v_cmp_ngt_f64_e64 s[2:3], |v[97:98]|, |v[99:100]|
                                        ; implicit-def: $vgpr101_vgpr102
	s_and_saveexec_b64 s[6:7], s[2:3]
	s_xor_b64 s[2:3], exec, s[6:7]
                                        ; implicit-def: $vgpr103_vgpr104
	s_cbranch_execz .LBB79_257
; %bb.256:
	v_div_scale_f64 v[101:102], s[6:7], v[99:100], v[99:100], v[97:98]
	v_rcp_f64_e32 v[103:104], v[101:102]
	v_fma_f64 v[105:106], -v[101:102], v[103:104], 1.0
	v_fma_f64 v[103:104], v[103:104], v[105:106], v[103:104]
	v_div_scale_f64 v[105:106], vcc, v[97:98], v[99:100], v[97:98]
	v_fma_f64 v[107:108], -v[101:102], v[103:104], 1.0
	v_fma_f64 v[103:104], v[103:104], v[107:108], v[103:104]
	v_mul_f64 v[107:108], v[105:106], v[103:104]
	v_fma_f64 v[101:102], -v[101:102], v[107:108], v[105:106]
	v_div_fmas_f64 v[101:102], v[101:102], v[103:104], v[107:108]
	v_div_fixup_f64 v[101:102], v[101:102], v[99:100], v[97:98]
	v_fma_f64 v[97:98], v[97:98], v[101:102], v[99:100]
	v_div_scale_f64 v[99:100], s[6:7], v[97:98], v[97:98], 1.0
	v_div_scale_f64 v[107:108], vcc, 1.0, v[97:98], 1.0
	v_rcp_f64_e32 v[103:104], v[99:100]
	v_fma_f64 v[105:106], -v[99:100], v[103:104], 1.0
	v_fma_f64 v[103:104], v[103:104], v[105:106], v[103:104]
	v_fma_f64 v[105:106], -v[99:100], v[103:104], 1.0
	v_fma_f64 v[103:104], v[103:104], v[105:106], v[103:104]
	v_mul_f64 v[105:106], v[107:108], v[103:104]
	v_fma_f64 v[99:100], -v[99:100], v[105:106], v[107:108]
	v_div_fmas_f64 v[99:100], v[99:100], v[103:104], v[105:106]
	v_div_fixup_f64 v[103:104], v[99:100], v[97:98], 1.0
                                        ; implicit-def: $vgpr97_vgpr98
	v_mul_f64 v[101:102], v[101:102], v[103:104]
	v_xor_b32_e32 v104, 0x80000000, v104
.LBB79_257:
	s_andn2_saveexec_b64 s[2:3], s[2:3]
	s_cbranch_execz .LBB79_259
; %bb.258:
	v_div_scale_f64 v[101:102], s[6:7], v[97:98], v[97:98], v[99:100]
	v_rcp_f64_e32 v[103:104], v[101:102]
	v_fma_f64 v[105:106], -v[101:102], v[103:104], 1.0
	v_fma_f64 v[103:104], v[103:104], v[105:106], v[103:104]
	v_div_scale_f64 v[105:106], vcc, v[99:100], v[97:98], v[99:100]
	v_fma_f64 v[107:108], -v[101:102], v[103:104], 1.0
	v_fma_f64 v[103:104], v[103:104], v[107:108], v[103:104]
	v_mul_f64 v[107:108], v[105:106], v[103:104]
	v_fma_f64 v[101:102], -v[101:102], v[107:108], v[105:106]
	v_div_fmas_f64 v[101:102], v[101:102], v[103:104], v[107:108]
	v_div_fixup_f64 v[103:104], v[101:102], v[97:98], v[99:100]
	v_fma_f64 v[97:98], v[99:100], v[103:104], v[97:98]
	v_div_scale_f64 v[99:100], s[6:7], v[97:98], v[97:98], 1.0
	v_div_scale_f64 v[107:108], vcc, 1.0, v[97:98], 1.0
	v_rcp_f64_e32 v[101:102], v[99:100]
	v_fma_f64 v[105:106], -v[99:100], v[101:102], 1.0
	v_fma_f64 v[101:102], v[101:102], v[105:106], v[101:102]
	v_fma_f64 v[105:106], -v[99:100], v[101:102], 1.0
	v_fma_f64 v[101:102], v[101:102], v[105:106], v[101:102]
	v_mul_f64 v[105:106], v[107:108], v[101:102]
	v_fma_f64 v[99:100], -v[99:100], v[105:106], v[107:108]
	v_div_fmas_f64 v[99:100], v[99:100], v[101:102], v[105:106]
	v_div_fixup_f64 v[101:102], v[99:100], v[97:98], 1.0
	v_mul_f64 v[103:104], v[103:104], -v[101:102]
.LBB79_259:
	s_or_b64 exec, exec, s[2:3]
	ds_write2_b64 v127, v[101:102], v[103:104] offset1:1
.LBB79_260:
	s_or_b64 exec, exec, s[4:5]
	s_waitcnt lgkmcnt(0)
	s_barrier
	ds_read2_b64 v[41:44], v127 offset1:1
	s_waitcnt lgkmcnt(0)
	buffer_store_dword v41, off, s[20:23], 0 offset:1060 ; 4-byte Folded Spill
	s_nop 0
	buffer_store_dword v42, off, s[20:23], 0 offset:1064 ; 4-byte Folded Spill
	buffer_store_dword v43, off, s[20:23], 0 offset:1068 ; 4-byte Folded Spill
	;; [unrolled: 1-line block ×3, first 2 shown]
	buffer_load_dword v41, off, s[20:23], 0 ; 4-byte Folded Reload
	s_waitcnt vmcnt(0)
	v_cmp_lt_u32_e32 vcc, 28, v41
	s_and_saveexec_b64 s[2:3], vcc
	s_cbranch_execz .LBB79_262
; %bb.261:
	buffer_load_dword v41, off, s[20:23], 0 offset:116 ; 4-byte Folded Reload
	buffer_load_dword v42, off, s[20:23], 0 offset:120 ; 4-byte Folded Reload
	;; [unrolled: 1-line block ×8, first 2 shown]
	s_waitcnt vmcnt(2)
	v_mul_f64 v[97:98], v[99:100], v[43:44]
	s_waitcnt vmcnt(0)
	v_mul_f64 v[43:44], v[101:102], v[43:44]
	v_fma_f64 v[97:98], v[101:102], v[41:42], v[97:98]
	v_fma_f64 v[41:42], v[99:100], v[41:42], -v[43:44]
	ds_read2_b64 v[99:102], v0 offset0:58 offset1:59
	s_waitcnt lgkmcnt(0)
	v_mul_f64 v[43:44], v[101:102], v[97:98]
	v_fma_f64 v[43:44], v[99:100], v[41:42], -v[43:44]
	v_mul_f64 v[99:100], v[99:100], v[97:98]
	v_fma_f64 v[99:100], v[101:102], v[41:42], v[99:100]
	buffer_load_dword v101, off, s[20:23], 0 offset:100 ; 4-byte Folded Reload
	buffer_load_dword v102, off, s[20:23], 0 offset:104 ; 4-byte Folded Reload
	buffer_load_dword v103, off, s[20:23], 0 offset:108 ; 4-byte Folded Reload
	buffer_load_dword v104, off, s[20:23], 0 offset:112 ; 4-byte Folded Reload
	s_waitcnt vmcnt(2)
	v_add_f64 v[101:102], v[101:102], -v[43:44]
	s_waitcnt vmcnt(0)
	v_add_f64 v[103:104], v[103:104], -v[99:100]
	buffer_store_dword v101, off, s[20:23], 0 offset:100 ; 4-byte Folded Spill
	s_nop 0
	buffer_store_dword v102, off, s[20:23], 0 offset:104 ; 4-byte Folded Spill
	buffer_store_dword v103, off, s[20:23], 0 offset:108 ; 4-byte Folded Spill
	buffer_store_dword v104, off, s[20:23], 0 offset:112 ; 4-byte Folded Spill
	ds_read2_b64 v[99:102], v0 offset0:60 offset1:61
	s_waitcnt lgkmcnt(0)
	v_mul_f64 v[43:44], v[101:102], v[97:98]
	v_fma_f64 v[43:44], v[99:100], v[41:42], -v[43:44]
	v_mul_f64 v[99:100], v[99:100], v[97:98]
	v_fma_f64 v[99:100], v[101:102], v[41:42], v[99:100]
	buffer_load_dword v101, off, s[20:23], 0 offset:84 ; 4-byte Folded Reload
	buffer_load_dword v102, off, s[20:23], 0 offset:88 ; 4-byte Folded Reload
	buffer_load_dword v103, off, s[20:23], 0 offset:92 ; 4-byte Folded Reload
	buffer_load_dword v104, off, s[20:23], 0 offset:96 ; 4-byte Folded Reload
	s_waitcnt vmcnt(2)
	v_add_f64 v[101:102], v[101:102], -v[43:44]
	s_waitcnt vmcnt(0)
	v_add_f64 v[103:104], v[103:104], -v[99:100]
	buffer_store_dword v101, off, s[20:23], 0 offset:84 ; 4-byte Folded Spill
	s_nop 0
	buffer_store_dword v102, off, s[20:23], 0 offset:88 ; 4-byte Folded Spill
	buffer_store_dword v103, off, s[20:23], 0 offset:92 ; 4-byte Folded Spill
	buffer_store_dword v104, off, s[20:23], 0 offset:96 ; 4-byte Folded Spill
	;; [unrolled: 19-line block ×7, first 2 shown]
	ds_read2_b64 v[99:102], v0 offset0:72 offset1:73
	s_waitcnt lgkmcnt(0)
	v_mul_f64 v[43:44], v[101:102], v[97:98]
	v_fma_f64 v[43:44], v[99:100], v[41:42], -v[43:44]
	v_mul_f64 v[99:100], v[99:100], v[97:98]
	v_add_f64 v[81:82], v[81:82], -v[43:44]
	v_fma_f64 v[99:100], v[101:102], v[41:42], v[99:100]
	v_add_f64 v[83:84], v[83:84], -v[99:100]
	ds_read2_b64 v[99:102], v0 offset0:74 offset1:75
	s_waitcnt lgkmcnt(0)
	v_mul_f64 v[43:44], v[101:102], v[97:98]
	v_fma_f64 v[43:44], v[99:100], v[41:42], -v[43:44]
	v_mul_f64 v[99:100], v[99:100], v[97:98]
	v_add_f64 v[85:86], v[85:86], -v[43:44]
	v_fma_f64 v[99:100], v[101:102], v[41:42], v[99:100]
	v_add_f64 v[87:88], v[87:88], -v[99:100]
	;; [unrolled: 8-line block ×3, first 2 shown]
	ds_read2_b64 v[99:102], v0 offset0:78 offset1:79
	s_waitcnt lgkmcnt(0)
	v_mul_f64 v[43:44], v[101:102], v[97:98]
	v_fma_f64 v[43:44], v[99:100], v[41:42], -v[43:44]
	v_mul_f64 v[99:100], v[99:100], v[97:98]
	v_add_f64 v[45:46], v[45:46], -v[43:44]
	v_fma_f64 v[99:100], v[101:102], v[41:42], v[99:100]
	v_mov_b32_e32 v43, v97
	v_mov_b32_e32 v44, v98
	buffer_store_dword v41, off, s[20:23], 0 offset:116 ; 4-byte Folded Spill
	s_nop 0
	buffer_store_dword v42, off, s[20:23], 0 offset:120 ; 4-byte Folded Spill
	buffer_store_dword v43, off, s[20:23], 0 offset:124 ; 4-byte Folded Spill
	;; [unrolled: 1-line block ×3, first 2 shown]
	v_add_f64 v[47:48], v[47:48], -v[99:100]
.LBB79_262:
	s_or_b64 exec, exec, s[2:3]
	s_waitcnt vmcnt(0)
	s_barrier
	buffer_load_dword v41, off, s[20:23], 0 ; 4-byte Folded Reload
	s_waitcnt vmcnt(0)
	v_cmp_eq_u32_e32 vcc, 29, v41
	s_and_saveexec_b64 s[4:5], vcc
	s_cbranch_execz .LBB79_269
; %bb.263:
	buffer_load_dword v41, off, s[20:23], 0 offset:100 ; 4-byte Folded Reload
	buffer_load_dword v42, off, s[20:23], 0 offset:104 ; 4-byte Folded Reload
	;; [unrolled: 1-line block ×4, first 2 shown]
	s_waitcnt vmcnt(0)
	ds_write2_b64 v127, v[41:42], v[43:44] offset1:1
	buffer_load_dword v41, off, s[20:23], 0 offset:84 ; 4-byte Folded Reload
	buffer_load_dword v42, off, s[20:23], 0 offset:88 ; 4-byte Folded Reload
	buffer_load_dword v43, off, s[20:23], 0 offset:92 ; 4-byte Folded Reload
	buffer_load_dword v44, off, s[20:23], 0 offset:96 ; 4-byte Folded Reload
	s_waitcnt vmcnt(0)
	ds_write2_b64 v0, v[41:42], v[43:44] offset0:60 offset1:61
	buffer_load_dword v41, off, s[20:23], 0 offset:68 ; 4-byte Folded Reload
	buffer_load_dword v42, off, s[20:23], 0 offset:72 ; 4-byte Folded Reload
	buffer_load_dword v43, off, s[20:23], 0 offset:76 ; 4-byte Folded Reload
	buffer_load_dword v44, off, s[20:23], 0 offset:80 ; 4-byte Folded Reload
	s_waitcnt vmcnt(0)
	ds_write2_b64 v0, v[41:42], v[43:44] offset0:62 offset1:63
	;; [unrolled: 6-line block ×6, first 2 shown]
	ds_write2_b64 v0, v[81:82], v[83:84] offset0:72 offset1:73
	ds_write2_b64 v0, v[85:86], v[87:88] offset0:74 offset1:75
	;; [unrolled: 1-line block ×4, first 2 shown]
	ds_read2_b64 v[97:100], v127 offset1:1
	s_waitcnt lgkmcnt(0)
	v_cmp_neq_f64_e32 vcc, 0, v[97:98]
	v_cmp_neq_f64_e64 s[2:3], 0, v[99:100]
	s_or_b64 s[2:3], vcc, s[2:3]
	s_and_b64 exec, exec, s[2:3]
	s_cbranch_execz .LBB79_269
; %bb.264:
	v_cmp_ngt_f64_e64 s[2:3], |v[97:98]|, |v[99:100]|
                                        ; implicit-def: $vgpr101_vgpr102
	s_and_saveexec_b64 s[6:7], s[2:3]
	s_xor_b64 s[2:3], exec, s[6:7]
                                        ; implicit-def: $vgpr103_vgpr104
	s_cbranch_execz .LBB79_266
; %bb.265:
	v_div_scale_f64 v[101:102], s[6:7], v[99:100], v[99:100], v[97:98]
	v_rcp_f64_e32 v[103:104], v[101:102]
	v_fma_f64 v[105:106], -v[101:102], v[103:104], 1.0
	v_fma_f64 v[103:104], v[103:104], v[105:106], v[103:104]
	v_div_scale_f64 v[105:106], vcc, v[97:98], v[99:100], v[97:98]
	v_fma_f64 v[107:108], -v[101:102], v[103:104], 1.0
	v_fma_f64 v[103:104], v[103:104], v[107:108], v[103:104]
	v_mul_f64 v[107:108], v[105:106], v[103:104]
	v_fma_f64 v[101:102], -v[101:102], v[107:108], v[105:106]
	v_div_fmas_f64 v[101:102], v[101:102], v[103:104], v[107:108]
	v_div_fixup_f64 v[101:102], v[101:102], v[99:100], v[97:98]
	v_fma_f64 v[97:98], v[97:98], v[101:102], v[99:100]
	v_div_scale_f64 v[99:100], s[6:7], v[97:98], v[97:98], 1.0
	v_div_scale_f64 v[107:108], vcc, 1.0, v[97:98], 1.0
	v_rcp_f64_e32 v[103:104], v[99:100]
	v_fma_f64 v[105:106], -v[99:100], v[103:104], 1.0
	v_fma_f64 v[103:104], v[103:104], v[105:106], v[103:104]
	v_fma_f64 v[105:106], -v[99:100], v[103:104], 1.0
	v_fma_f64 v[103:104], v[103:104], v[105:106], v[103:104]
	v_mul_f64 v[105:106], v[107:108], v[103:104]
	v_fma_f64 v[99:100], -v[99:100], v[105:106], v[107:108]
	v_div_fmas_f64 v[99:100], v[99:100], v[103:104], v[105:106]
	v_div_fixup_f64 v[103:104], v[99:100], v[97:98], 1.0
                                        ; implicit-def: $vgpr97_vgpr98
	v_mul_f64 v[101:102], v[101:102], v[103:104]
	v_xor_b32_e32 v104, 0x80000000, v104
.LBB79_266:
	s_andn2_saveexec_b64 s[2:3], s[2:3]
	s_cbranch_execz .LBB79_268
; %bb.267:
	v_div_scale_f64 v[101:102], s[6:7], v[97:98], v[97:98], v[99:100]
	v_rcp_f64_e32 v[103:104], v[101:102]
	v_fma_f64 v[105:106], -v[101:102], v[103:104], 1.0
	v_fma_f64 v[103:104], v[103:104], v[105:106], v[103:104]
	v_div_scale_f64 v[105:106], vcc, v[99:100], v[97:98], v[99:100]
	v_fma_f64 v[107:108], -v[101:102], v[103:104], 1.0
	v_fma_f64 v[103:104], v[103:104], v[107:108], v[103:104]
	v_mul_f64 v[107:108], v[105:106], v[103:104]
	v_fma_f64 v[101:102], -v[101:102], v[107:108], v[105:106]
	v_div_fmas_f64 v[101:102], v[101:102], v[103:104], v[107:108]
	v_div_fixup_f64 v[103:104], v[101:102], v[97:98], v[99:100]
	v_fma_f64 v[97:98], v[99:100], v[103:104], v[97:98]
	v_div_scale_f64 v[99:100], s[6:7], v[97:98], v[97:98], 1.0
	v_div_scale_f64 v[107:108], vcc, 1.0, v[97:98], 1.0
	v_rcp_f64_e32 v[101:102], v[99:100]
	v_fma_f64 v[105:106], -v[99:100], v[101:102], 1.0
	v_fma_f64 v[101:102], v[101:102], v[105:106], v[101:102]
	v_fma_f64 v[105:106], -v[99:100], v[101:102], 1.0
	v_fma_f64 v[101:102], v[101:102], v[105:106], v[101:102]
	v_mul_f64 v[105:106], v[107:108], v[101:102]
	v_fma_f64 v[99:100], -v[99:100], v[105:106], v[107:108]
	v_div_fmas_f64 v[99:100], v[99:100], v[101:102], v[105:106]
	v_div_fixup_f64 v[101:102], v[99:100], v[97:98], 1.0
	v_mul_f64 v[103:104], v[103:104], -v[101:102]
.LBB79_268:
	s_or_b64 exec, exec, s[2:3]
	ds_write2_b64 v127, v[101:102], v[103:104] offset1:1
.LBB79_269:
	s_or_b64 exec, exec, s[4:5]
	s_waitcnt lgkmcnt(0)
	s_barrier
	ds_read2_b64 v[41:44], v127 offset1:1
	s_waitcnt lgkmcnt(0)
	buffer_store_dword v41, off, s[20:23], 0 offset:1076 ; 4-byte Folded Spill
	s_nop 0
	buffer_store_dword v42, off, s[20:23], 0 offset:1080 ; 4-byte Folded Spill
	buffer_store_dword v43, off, s[20:23], 0 offset:1084 ; 4-byte Folded Spill
	;; [unrolled: 1-line block ×3, first 2 shown]
	buffer_load_dword v41, off, s[20:23], 0 ; 4-byte Folded Reload
	s_waitcnt vmcnt(0)
	v_cmp_lt_u32_e32 vcc, 29, v41
	s_and_saveexec_b64 s[2:3], vcc
	s_cbranch_execz .LBB79_271
; %bb.270:
	buffer_load_dword v99, off, s[20:23], 0 offset:100 ; 4-byte Folded Reload
	buffer_load_dword v100, off, s[20:23], 0 offset:104 ; 4-byte Folded Reload
	;; [unrolled: 1-line block ×8, first 2 shown]
	v_mov_b32_e32 v41, v81
	v_mov_b32_e32 v43, v83
	;; [unrolled: 1-line block ×4, first 2 shown]
	s_waitcnt vmcnt(4)
	v_mov_b32_e32 v37, v99
	v_mov_b32_e32 v39, v101
	s_waitcnt vmcnt(2)
	v_mul_f64 v[97:98], v[103:104], v[101:102]
	v_mov_b32_e32 v40, v102
	s_waitcnt vmcnt(0)
	v_mul_f64 v[39:40], v[105:106], v[39:40]
	v_mov_b32_e32 v38, v100
	v_fma_f64 v[97:98], v[105:106], v[99:100], v[97:98]
	ds_read2_b64 v[99:102], v0 offset0:60 offset1:61
	v_fma_f64 v[37:38], v[103:104], v[37:38], -v[39:40]
	s_waitcnt lgkmcnt(0)
	v_mul_f64 v[39:40], v[101:102], v[97:98]
	v_fma_f64 v[39:40], v[99:100], v[37:38], -v[39:40]
	v_mul_f64 v[99:100], v[99:100], v[97:98]
	v_fma_f64 v[99:100], v[101:102], v[37:38], v[99:100]
	buffer_load_dword v101, off, s[20:23], 0 offset:84 ; 4-byte Folded Reload
	buffer_load_dword v102, off, s[20:23], 0 offset:88 ; 4-byte Folded Reload
	buffer_load_dword v103, off, s[20:23], 0 offset:92 ; 4-byte Folded Reload
	buffer_load_dword v104, off, s[20:23], 0 offset:96 ; 4-byte Folded Reload
	s_waitcnt vmcnt(2)
	v_add_f64 v[101:102], v[101:102], -v[39:40]
	s_waitcnt vmcnt(0)
	v_add_f64 v[103:104], v[103:104], -v[99:100]
	buffer_store_dword v101, off, s[20:23], 0 offset:84 ; 4-byte Folded Spill
	s_nop 0
	buffer_store_dword v102, off, s[20:23], 0 offset:88 ; 4-byte Folded Spill
	buffer_store_dword v103, off, s[20:23], 0 offset:92 ; 4-byte Folded Spill
	buffer_store_dword v104, off, s[20:23], 0 offset:96 ; 4-byte Folded Spill
	ds_read2_b64 v[99:102], v0 offset0:62 offset1:63
	s_waitcnt lgkmcnt(0)
	v_mul_f64 v[39:40], v[101:102], v[97:98]
	v_fma_f64 v[39:40], v[99:100], v[37:38], -v[39:40]
	v_mul_f64 v[99:100], v[99:100], v[97:98]
	v_fma_f64 v[99:100], v[101:102], v[37:38], v[99:100]
	buffer_load_dword v101, off, s[20:23], 0 offset:68 ; 4-byte Folded Reload
	buffer_load_dword v102, off, s[20:23], 0 offset:72 ; 4-byte Folded Reload
	buffer_load_dword v103, off, s[20:23], 0 offset:76 ; 4-byte Folded Reload
	buffer_load_dword v104, off, s[20:23], 0 offset:80 ; 4-byte Folded Reload
	s_waitcnt vmcnt(2)
	v_add_f64 v[101:102], v[101:102], -v[39:40]
	s_waitcnt vmcnt(0)
	v_add_f64 v[103:104], v[103:104], -v[99:100]
	buffer_store_dword v101, off, s[20:23], 0 offset:68 ; 4-byte Folded Spill
	s_nop 0
	buffer_store_dword v102, off, s[20:23], 0 offset:72 ; 4-byte Folded Spill
	buffer_store_dword v103, off, s[20:23], 0 offset:76 ; 4-byte Folded Spill
	buffer_store_dword v104, off, s[20:23], 0 offset:80 ; 4-byte Folded Spill
	ds_read2_b64 v[99:102], v0 offset0:64 offset1:65
	;; [unrolled: 19-line block ×6, first 2 shown]
	v_mov_b32_e32 v104, v98
	v_mov_b32_e32 v103, v97
	s_waitcnt lgkmcnt(0)
	v_mul_f64 v[39:40], v[101:102], v[97:98]
	v_fma_f64 v[39:40], v[99:100], v[37:38], -v[39:40]
	v_mul_f64 v[99:100], v[99:100], v[97:98]
	v_add_f64 v[41:42], v[41:42], -v[39:40]
	v_fma_f64 v[99:100], v[101:102], v[37:38], v[99:100]
	v_add_f64 v[43:44], v[43:44], -v[99:100]
	ds_read2_b64 v[99:102], v0 offset0:74 offset1:75
	s_waitcnt lgkmcnt(0)
	v_mul_f64 v[39:40], v[101:102], v[97:98]
	v_mov_b32_e32 v84, v44
	v_mov_b32_e32 v83, v43
	;; [unrolled: 1-line block ×4, first 2 shown]
	v_fma_f64 v[39:40], v[99:100], v[37:38], -v[39:40]
	v_mul_f64 v[99:100], v[99:100], v[97:98]
	v_add_f64 v[85:86], v[85:86], -v[39:40]
	v_fma_f64 v[99:100], v[101:102], v[37:38], v[99:100]
	v_add_f64 v[87:88], v[87:88], -v[99:100]
	ds_read2_b64 v[99:102], v0 offset0:76 offset1:77
	s_waitcnt lgkmcnt(0)
	v_mul_f64 v[39:40], v[101:102], v[97:98]
	v_fma_f64 v[39:40], v[99:100], v[37:38], -v[39:40]
	v_mul_f64 v[99:100], v[99:100], v[97:98]
	v_add_f64 v[1:2], v[1:2], -v[39:40]
	v_fma_f64 v[99:100], v[101:102], v[37:38], v[99:100]
	v_add_f64 v[3:4], v[3:4], -v[99:100]
	ds_read2_b64 v[99:102], v0 offset0:78 offset1:79
	s_waitcnt lgkmcnt(0)
	v_mul_f64 v[39:40], v[101:102], v[97:98]
	v_fma_f64 v[39:40], v[99:100], v[37:38], -v[39:40]
	v_mul_f64 v[99:100], v[99:100], v[97:98]
	v_add_f64 v[45:46], v[45:46], -v[39:40]
	v_fma_f64 v[99:100], v[101:102], v[37:38], v[99:100]
	v_mov_b32_e32 v102, v38
	v_mov_b32_e32 v101, v37
	buffer_store_dword v101, off, s[20:23], 0 offset:100 ; 4-byte Folded Spill
	s_nop 0
	buffer_store_dword v102, off, s[20:23], 0 offset:104 ; 4-byte Folded Spill
	buffer_store_dword v103, off, s[20:23], 0 offset:108 ; 4-byte Folded Spill
	;; [unrolled: 1-line block ×3, first 2 shown]
	v_add_f64 v[47:48], v[47:48], -v[99:100]
.LBB79_271:
	s_or_b64 exec, exec, s[2:3]
	s_waitcnt vmcnt(0)
	s_barrier
	buffer_load_dword v41, off, s[20:23], 0 ; 4-byte Folded Reload
	s_waitcnt vmcnt(0)
	v_cmp_eq_u32_e32 vcc, 30, v41
	s_and_saveexec_b64 s[4:5], vcc
	s_cbranch_execz .LBB79_278
; %bb.272:
	buffer_load_dword v41, off, s[20:23], 0 offset:84 ; 4-byte Folded Reload
	buffer_load_dword v42, off, s[20:23], 0 offset:88 ; 4-byte Folded Reload
	;; [unrolled: 1-line block ×4, first 2 shown]
	s_waitcnt vmcnt(0)
	ds_write2_b64 v127, v[41:42], v[43:44] offset1:1
	buffer_load_dword v41, off, s[20:23], 0 offset:68 ; 4-byte Folded Reload
	buffer_load_dword v42, off, s[20:23], 0 offset:72 ; 4-byte Folded Reload
	buffer_load_dword v43, off, s[20:23], 0 offset:76 ; 4-byte Folded Reload
	buffer_load_dword v44, off, s[20:23], 0 offset:80 ; 4-byte Folded Reload
	s_waitcnt vmcnt(0)
	ds_write2_b64 v0, v[41:42], v[43:44] offset0:62 offset1:63
	buffer_load_dword v41, off, s[20:23], 0 offset:52 ; 4-byte Folded Reload
	buffer_load_dword v42, off, s[20:23], 0 offset:56 ; 4-byte Folded Reload
	buffer_load_dword v43, off, s[20:23], 0 offset:60 ; 4-byte Folded Reload
	buffer_load_dword v44, off, s[20:23], 0 offset:64 ; 4-byte Folded Reload
	s_waitcnt vmcnt(0)
	ds_write2_b64 v0, v[41:42], v[43:44] offset0:64 offset1:65
	;; [unrolled: 6-line block ×5, first 2 shown]
	ds_write2_b64 v0, v[81:82], v[83:84] offset0:72 offset1:73
	ds_write2_b64 v0, v[85:86], v[87:88] offset0:74 offset1:75
	ds_write2_b64 v0, v[1:2], v[3:4] offset0:76 offset1:77
	ds_write2_b64 v0, v[45:46], v[47:48] offset0:78 offset1:79
	ds_read2_b64 v[97:100], v127 offset1:1
	s_waitcnt lgkmcnt(0)
	v_cmp_neq_f64_e32 vcc, 0, v[97:98]
	v_cmp_neq_f64_e64 s[2:3], 0, v[99:100]
	s_or_b64 s[2:3], vcc, s[2:3]
	s_and_b64 exec, exec, s[2:3]
	s_cbranch_execz .LBB79_278
; %bb.273:
	v_cmp_ngt_f64_e64 s[2:3], |v[97:98]|, |v[99:100]|
                                        ; implicit-def: $vgpr101_vgpr102
	s_and_saveexec_b64 s[6:7], s[2:3]
	s_xor_b64 s[2:3], exec, s[6:7]
                                        ; implicit-def: $vgpr103_vgpr104
	s_cbranch_execz .LBB79_275
; %bb.274:
	v_div_scale_f64 v[101:102], s[6:7], v[99:100], v[99:100], v[97:98]
	v_rcp_f64_e32 v[103:104], v[101:102]
	v_fma_f64 v[105:106], -v[101:102], v[103:104], 1.0
	v_fma_f64 v[103:104], v[103:104], v[105:106], v[103:104]
	v_div_scale_f64 v[105:106], vcc, v[97:98], v[99:100], v[97:98]
	v_fma_f64 v[107:108], -v[101:102], v[103:104], 1.0
	v_fma_f64 v[103:104], v[103:104], v[107:108], v[103:104]
	v_mul_f64 v[107:108], v[105:106], v[103:104]
	v_fma_f64 v[101:102], -v[101:102], v[107:108], v[105:106]
	v_div_fmas_f64 v[101:102], v[101:102], v[103:104], v[107:108]
	v_div_fixup_f64 v[101:102], v[101:102], v[99:100], v[97:98]
	v_fma_f64 v[97:98], v[97:98], v[101:102], v[99:100]
	v_div_scale_f64 v[99:100], s[6:7], v[97:98], v[97:98], 1.0
	v_div_scale_f64 v[107:108], vcc, 1.0, v[97:98], 1.0
	v_rcp_f64_e32 v[103:104], v[99:100]
	v_fma_f64 v[105:106], -v[99:100], v[103:104], 1.0
	v_fma_f64 v[103:104], v[103:104], v[105:106], v[103:104]
	v_fma_f64 v[105:106], -v[99:100], v[103:104], 1.0
	v_fma_f64 v[103:104], v[103:104], v[105:106], v[103:104]
	v_mul_f64 v[105:106], v[107:108], v[103:104]
	v_fma_f64 v[99:100], -v[99:100], v[105:106], v[107:108]
	v_div_fmas_f64 v[99:100], v[99:100], v[103:104], v[105:106]
	v_div_fixup_f64 v[103:104], v[99:100], v[97:98], 1.0
                                        ; implicit-def: $vgpr97_vgpr98
	v_mul_f64 v[101:102], v[101:102], v[103:104]
	v_xor_b32_e32 v104, 0x80000000, v104
.LBB79_275:
	s_andn2_saveexec_b64 s[2:3], s[2:3]
	s_cbranch_execz .LBB79_277
; %bb.276:
	v_div_scale_f64 v[101:102], s[6:7], v[97:98], v[97:98], v[99:100]
	v_rcp_f64_e32 v[103:104], v[101:102]
	v_fma_f64 v[105:106], -v[101:102], v[103:104], 1.0
	v_fma_f64 v[103:104], v[103:104], v[105:106], v[103:104]
	v_div_scale_f64 v[105:106], vcc, v[99:100], v[97:98], v[99:100]
	v_fma_f64 v[107:108], -v[101:102], v[103:104], 1.0
	v_fma_f64 v[103:104], v[103:104], v[107:108], v[103:104]
	v_mul_f64 v[107:108], v[105:106], v[103:104]
	v_fma_f64 v[101:102], -v[101:102], v[107:108], v[105:106]
	v_div_fmas_f64 v[101:102], v[101:102], v[103:104], v[107:108]
	v_div_fixup_f64 v[103:104], v[101:102], v[97:98], v[99:100]
	v_fma_f64 v[97:98], v[99:100], v[103:104], v[97:98]
	v_div_scale_f64 v[99:100], s[6:7], v[97:98], v[97:98], 1.0
	v_div_scale_f64 v[107:108], vcc, 1.0, v[97:98], 1.0
	v_rcp_f64_e32 v[101:102], v[99:100]
	v_fma_f64 v[105:106], -v[99:100], v[101:102], 1.0
	v_fma_f64 v[101:102], v[101:102], v[105:106], v[101:102]
	v_fma_f64 v[105:106], -v[99:100], v[101:102], 1.0
	v_fma_f64 v[101:102], v[101:102], v[105:106], v[101:102]
	v_mul_f64 v[105:106], v[107:108], v[101:102]
	v_fma_f64 v[99:100], -v[99:100], v[105:106], v[107:108]
	v_div_fmas_f64 v[99:100], v[99:100], v[101:102], v[105:106]
	v_div_fixup_f64 v[101:102], v[99:100], v[97:98], 1.0
	v_mul_f64 v[103:104], v[103:104], -v[101:102]
.LBB79_277:
	s_or_b64 exec, exec, s[2:3]
	ds_write2_b64 v127, v[101:102], v[103:104] offset1:1
.LBB79_278:
	s_or_b64 exec, exec, s[4:5]
	s_waitcnt lgkmcnt(0)
	s_barrier
	ds_read2_b64 v[41:44], v127 offset1:1
	s_waitcnt lgkmcnt(0)
	buffer_store_dword v41, off, s[20:23], 0 offset:1092 ; 4-byte Folded Spill
	s_nop 0
	buffer_store_dword v42, off, s[20:23], 0 offset:1096 ; 4-byte Folded Spill
	buffer_store_dword v43, off, s[20:23], 0 offset:1100 ; 4-byte Folded Spill
	;; [unrolled: 1-line block ×3, first 2 shown]
	buffer_load_dword v41, off, s[20:23], 0 ; 4-byte Folded Reload
	s_waitcnt vmcnt(0)
	v_cmp_lt_u32_e32 vcc, 30, v41
	s_and_saveexec_b64 s[2:3], vcc
	s_cbranch_execz .LBB79_280
; %bb.279:
	buffer_load_dword v99, off, s[20:23], 0 offset:84 ; 4-byte Folded Reload
	buffer_load_dword v100, off, s[20:23], 0 offset:88 ; 4-byte Folded Reload
	;; [unrolled: 1-line block ×8, first 2 shown]
	v_mov_b32_e32 v41, v81
	v_mov_b32_e32 v42, v82
	;; [unrolled: 1-line block ×8, first 2 shown]
	s_waitcnt vmcnt(4)
	v_mov_b32_e32 v33, v99
	v_mov_b32_e32 v35, v101
	s_waitcnt vmcnt(2)
	v_mul_f64 v[97:98], v[103:104], v[101:102]
	v_mov_b32_e32 v36, v102
	s_waitcnt vmcnt(0)
	v_mul_f64 v[35:36], v[105:106], v[35:36]
	v_mov_b32_e32 v34, v100
	v_fma_f64 v[97:98], v[105:106], v[99:100], v[97:98]
	ds_read2_b64 v[99:102], v0 offset0:62 offset1:63
	v_fma_f64 v[33:34], v[103:104], v[33:34], -v[35:36]
	s_waitcnt lgkmcnt(0)
	v_mul_f64 v[35:36], v[101:102], v[97:98]
	v_fma_f64 v[35:36], v[99:100], v[33:34], -v[35:36]
	v_mul_f64 v[99:100], v[99:100], v[97:98]
	v_fma_f64 v[99:100], v[101:102], v[33:34], v[99:100]
	buffer_load_dword v101, off, s[20:23], 0 offset:68 ; 4-byte Folded Reload
	buffer_load_dword v102, off, s[20:23], 0 offset:72 ; 4-byte Folded Reload
	buffer_load_dword v103, off, s[20:23], 0 offset:76 ; 4-byte Folded Reload
	buffer_load_dword v104, off, s[20:23], 0 offset:80 ; 4-byte Folded Reload
	s_waitcnt vmcnt(2)
	v_add_f64 v[101:102], v[101:102], -v[35:36]
	s_waitcnt vmcnt(0)
	v_add_f64 v[103:104], v[103:104], -v[99:100]
	buffer_store_dword v101, off, s[20:23], 0 offset:68 ; 4-byte Folded Spill
	s_nop 0
	buffer_store_dword v102, off, s[20:23], 0 offset:72 ; 4-byte Folded Spill
	buffer_store_dword v103, off, s[20:23], 0 offset:76 ; 4-byte Folded Spill
	buffer_store_dword v104, off, s[20:23], 0 offset:80 ; 4-byte Folded Spill
	ds_read2_b64 v[99:102], v0 offset0:64 offset1:65
	s_waitcnt lgkmcnt(0)
	v_mul_f64 v[35:36], v[101:102], v[97:98]
	v_fma_f64 v[35:36], v[99:100], v[33:34], -v[35:36]
	v_mul_f64 v[99:100], v[99:100], v[97:98]
	v_fma_f64 v[99:100], v[101:102], v[33:34], v[99:100]
	buffer_load_dword v101, off, s[20:23], 0 offset:52 ; 4-byte Folded Reload
	buffer_load_dword v102, off, s[20:23], 0 offset:56 ; 4-byte Folded Reload
	buffer_load_dword v103, off, s[20:23], 0 offset:60 ; 4-byte Folded Reload
	buffer_load_dword v104, off, s[20:23], 0 offset:64 ; 4-byte Folded Reload
	s_waitcnt vmcnt(2)
	v_add_f64 v[101:102], v[101:102], -v[35:36]
	s_waitcnt vmcnt(0)
	v_add_f64 v[103:104], v[103:104], -v[99:100]
	buffer_store_dword v101, off, s[20:23], 0 offset:52 ; 4-byte Folded Spill
	s_nop 0
	buffer_store_dword v102, off, s[20:23], 0 offset:56 ; 4-byte Folded Spill
	buffer_store_dword v103, off, s[20:23], 0 offset:60 ; 4-byte Folded Spill
	buffer_store_dword v104, off, s[20:23], 0 offset:64 ; 4-byte Folded Spill
	ds_read2_b64 v[99:102], v0 offset0:66 offset1:67
	;; [unrolled: 19-line block ×5, first 2 shown]
	v_mov_b32_e32 v104, v98
	v_mov_b32_e32 v103, v97
	s_waitcnt lgkmcnt(0)
	v_mul_f64 v[35:36], v[101:102], v[97:98]
	v_fma_f64 v[35:36], v[99:100], v[33:34], -v[35:36]
	v_mul_f64 v[99:100], v[99:100], v[97:98]
	v_add_f64 v[41:42], v[41:42], -v[35:36]
	v_fma_f64 v[99:100], v[101:102], v[33:34], v[99:100]
	v_add_f64 v[43:44], v[43:44], -v[99:100]
	ds_read2_b64 v[99:102], v0 offset0:74 offset1:75
	s_waitcnt lgkmcnt(0)
	v_mul_f64 v[35:36], v[101:102], v[97:98]
	v_fma_f64 v[35:36], v[99:100], v[33:34], -v[35:36]
	v_mul_f64 v[99:100], v[99:100], v[97:98]
	v_add_f64 v[85:86], v[85:86], -v[35:36]
	v_fma_f64 v[99:100], v[101:102], v[33:34], v[99:100]
	v_add_f64 v[87:88], v[87:88], -v[99:100]
	ds_read2_b64 v[99:102], v0 offset0:76 offset1:77
	;; [unrolled: 8-line block ×3, first 2 shown]
	s_waitcnt lgkmcnt(0)
	v_mul_f64 v[35:36], v[101:102], v[97:98]
	v_fma_f64 v[35:36], v[99:100], v[33:34], -v[35:36]
	v_mul_f64 v[99:100], v[99:100], v[97:98]
	v_add_f64 v[45:46], v[45:46], -v[35:36]
	v_fma_f64 v[99:100], v[101:102], v[33:34], v[99:100]
	v_mov_b32_e32 v102, v34
	v_mov_b32_e32 v101, v33
	;; [unrolled: 1-line block ×7, first 2 shown]
	v_add_f64 v[47:48], v[47:48], -v[99:100]
	v_mov_b32_e32 v83, v43
	v_mov_b32_e32 v82, v42
	;; [unrolled: 1-line block ×3, first 2 shown]
	buffer_store_dword v101, off, s[20:23], 0 offset:84 ; 4-byte Folded Spill
	s_nop 0
	buffer_store_dword v102, off, s[20:23], 0 offset:88 ; 4-byte Folded Spill
	buffer_store_dword v103, off, s[20:23], 0 offset:92 ; 4-byte Folded Spill
	;; [unrolled: 1-line block ×3, first 2 shown]
.LBB79_280:
	s_or_b64 exec, exec, s[2:3]
	s_waitcnt vmcnt(0)
	s_barrier
	buffer_load_dword v41, off, s[20:23], 0 ; 4-byte Folded Reload
	s_waitcnt vmcnt(0)
	v_cmp_eq_u32_e32 vcc, 31, v41
	s_and_saveexec_b64 s[4:5], vcc
	s_cbranch_execz .LBB79_287
; %bb.281:
	buffer_load_dword v41, off, s[20:23], 0 offset:68 ; 4-byte Folded Reload
	buffer_load_dword v42, off, s[20:23], 0 offset:72 ; 4-byte Folded Reload
	;; [unrolled: 1-line block ×4, first 2 shown]
	s_waitcnt vmcnt(0)
	ds_write2_b64 v127, v[41:42], v[43:44] offset1:1
	buffer_load_dword v41, off, s[20:23], 0 offset:52 ; 4-byte Folded Reload
	buffer_load_dword v42, off, s[20:23], 0 offset:56 ; 4-byte Folded Reload
	buffer_load_dword v43, off, s[20:23], 0 offset:60 ; 4-byte Folded Reload
	buffer_load_dword v44, off, s[20:23], 0 offset:64 ; 4-byte Folded Reload
	s_waitcnt vmcnt(0)
	ds_write2_b64 v0, v[41:42], v[43:44] offset0:64 offset1:65
	buffer_load_dword v41, off, s[20:23], 0 offset:36 ; 4-byte Folded Reload
	buffer_load_dword v42, off, s[20:23], 0 offset:40 ; 4-byte Folded Reload
	buffer_load_dword v43, off, s[20:23], 0 offset:44 ; 4-byte Folded Reload
	buffer_load_dword v44, off, s[20:23], 0 offset:48 ; 4-byte Folded Reload
	s_waitcnt vmcnt(0)
	ds_write2_b64 v0, v[41:42], v[43:44] offset0:66 offset1:67
	;; [unrolled: 6-line block ×4, first 2 shown]
	ds_write2_b64 v0, v[81:82], v[83:84] offset0:72 offset1:73
	ds_write2_b64 v0, v[85:86], v[87:88] offset0:74 offset1:75
	;; [unrolled: 1-line block ×4, first 2 shown]
	ds_read2_b64 v[97:100], v127 offset1:1
	s_waitcnt lgkmcnt(0)
	v_cmp_neq_f64_e32 vcc, 0, v[97:98]
	v_cmp_neq_f64_e64 s[2:3], 0, v[99:100]
	s_or_b64 s[2:3], vcc, s[2:3]
	s_and_b64 exec, exec, s[2:3]
	s_cbranch_execz .LBB79_287
; %bb.282:
	v_cmp_ngt_f64_e64 s[2:3], |v[97:98]|, |v[99:100]|
                                        ; implicit-def: $vgpr101_vgpr102
	s_and_saveexec_b64 s[6:7], s[2:3]
	s_xor_b64 s[2:3], exec, s[6:7]
                                        ; implicit-def: $vgpr103_vgpr104
	s_cbranch_execz .LBB79_284
; %bb.283:
	v_div_scale_f64 v[101:102], s[6:7], v[99:100], v[99:100], v[97:98]
	v_rcp_f64_e32 v[103:104], v[101:102]
	v_fma_f64 v[105:106], -v[101:102], v[103:104], 1.0
	v_fma_f64 v[103:104], v[103:104], v[105:106], v[103:104]
	v_div_scale_f64 v[105:106], vcc, v[97:98], v[99:100], v[97:98]
	v_fma_f64 v[107:108], -v[101:102], v[103:104], 1.0
	v_fma_f64 v[103:104], v[103:104], v[107:108], v[103:104]
	v_mul_f64 v[107:108], v[105:106], v[103:104]
	v_fma_f64 v[101:102], -v[101:102], v[107:108], v[105:106]
	v_div_fmas_f64 v[101:102], v[101:102], v[103:104], v[107:108]
	v_div_fixup_f64 v[101:102], v[101:102], v[99:100], v[97:98]
	v_fma_f64 v[97:98], v[97:98], v[101:102], v[99:100]
	v_div_scale_f64 v[99:100], s[6:7], v[97:98], v[97:98], 1.0
	v_div_scale_f64 v[107:108], vcc, 1.0, v[97:98], 1.0
	v_rcp_f64_e32 v[103:104], v[99:100]
	v_fma_f64 v[105:106], -v[99:100], v[103:104], 1.0
	v_fma_f64 v[103:104], v[103:104], v[105:106], v[103:104]
	v_fma_f64 v[105:106], -v[99:100], v[103:104], 1.0
	v_fma_f64 v[103:104], v[103:104], v[105:106], v[103:104]
	v_mul_f64 v[105:106], v[107:108], v[103:104]
	v_fma_f64 v[99:100], -v[99:100], v[105:106], v[107:108]
	v_div_fmas_f64 v[99:100], v[99:100], v[103:104], v[105:106]
	v_div_fixup_f64 v[103:104], v[99:100], v[97:98], 1.0
                                        ; implicit-def: $vgpr97_vgpr98
	v_mul_f64 v[101:102], v[101:102], v[103:104]
	v_xor_b32_e32 v104, 0x80000000, v104
.LBB79_284:
	s_andn2_saveexec_b64 s[2:3], s[2:3]
	s_cbranch_execz .LBB79_286
; %bb.285:
	v_div_scale_f64 v[101:102], s[6:7], v[97:98], v[97:98], v[99:100]
	v_rcp_f64_e32 v[103:104], v[101:102]
	v_fma_f64 v[105:106], -v[101:102], v[103:104], 1.0
	v_fma_f64 v[103:104], v[103:104], v[105:106], v[103:104]
	v_div_scale_f64 v[105:106], vcc, v[99:100], v[97:98], v[99:100]
	v_fma_f64 v[107:108], -v[101:102], v[103:104], 1.0
	v_fma_f64 v[103:104], v[103:104], v[107:108], v[103:104]
	v_mul_f64 v[107:108], v[105:106], v[103:104]
	v_fma_f64 v[101:102], -v[101:102], v[107:108], v[105:106]
	v_div_fmas_f64 v[101:102], v[101:102], v[103:104], v[107:108]
	v_div_fixup_f64 v[103:104], v[101:102], v[97:98], v[99:100]
	v_fma_f64 v[97:98], v[99:100], v[103:104], v[97:98]
	v_div_scale_f64 v[99:100], s[6:7], v[97:98], v[97:98], 1.0
	v_div_scale_f64 v[107:108], vcc, 1.0, v[97:98], 1.0
	v_rcp_f64_e32 v[101:102], v[99:100]
	v_fma_f64 v[105:106], -v[99:100], v[101:102], 1.0
	v_fma_f64 v[101:102], v[101:102], v[105:106], v[101:102]
	v_fma_f64 v[105:106], -v[99:100], v[101:102], 1.0
	v_fma_f64 v[101:102], v[101:102], v[105:106], v[101:102]
	v_mul_f64 v[105:106], v[107:108], v[101:102]
	v_fma_f64 v[99:100], -v[99:100], v[105:106], v[107:108]
	v_div_fmas_f64 v[99:100], v[99:100], v[101:102], v[105:106]
	v_div_fixup_f64 v[101:102], v[99:100], v[97:98], 1.0
	v_mul_f64 v[103:104], v[103:104], -v[101:102]
.LBB79_286:
	s_or_b64 exec, exec, s[2:3]
	ds_write2_b64 v127, v[101:102], v[103:104] offset1:1
.LBB79_287:
	s_or_b64 exec, exec, s[4:5]
	s_waitcnt lgkmcnt(0)
	s_barrier
	ds_read2_b64 v[41:44], v127 offset1:1
	s_waitcnt lgkmcnt(0)
	buffer_store_dword v41, off, s[20:23], 0 offset:1108 ; 4-byte Folded Spill
	s_nop 0
	buffer_store_dword v42, off, s[20:23], 0 offset:1112 ; 4-byte Folded Spill
	buffer_store_dword v43, off, s[20:23], 0 offset:1116 ; 4-byte Folded Spill
	;; [unrolled: 1-line block ×3, first 2 shown]
	buffer_load_dword v41, off, s[20:23], 0 ; 4-byte Folded Reload
	s_waitcnt vmcnt(0)
	v_cmp_lt_u32_e32 vcc, 31, v41
	s_and_saveexec_b64 s[2:3], vcc
	s_cbranch_execz .LBB79_289
; %bb.288:
	buffer_load_dword v99, off, s[20:23], 0 offset:68 ; 4-byte Folded Reload
	buffer_load_dword v100, off, s[20:23], 0 offset:72 ; 4-byte Folded Reload
	;; [unrolled: 1-line block ×8, first 2 shown]
	v_mov_b32_e32 v41, v81
	v_mov_b32_e32 v42, v82
	;; [unrolled: 1-line block ×8, first 2 shown]
	s_waitcnt vmcnt(4)
	v_mov_b32_e32 v29, v99
	v_mov_b32_e32 v31, v101
	s_waitcnt vmcnt(2)
	v_mul_f64 v[97:98], v[103:104], v[101:102]
	v_mov_b32_e32 v32, v102
	s_waitcnt vmcnt(0)
	v_mul_f64 v[31:32], v[105:106], v[31:32]
	v_mov_b32_e32 v30, v100
	v_fma_f64 v[97:98], v[105:106], v[99:100], v[97:98]
	ds_read2_b64 v[99:102], v0 offset0:64 offset1:65
	v_fma_f64 v[29:30], v[103:104], v[29:30], -v[31:32]
	s_waitcnt lgkmcnt(0)
	v_mul_f64 v[31:32], v[101:102], v[97:98]
	v_fma_f64 v[31:32], v[99:100], v[29:30], -v[31:32]
	v_mul_f64 v[99:100], v[99:100], v[97:98]
	v_fma_f64 v[99:100], v[101:102], v[29:30], v[99:100]
	buffer_load_dword v101, off, s[20:23], 0 offset:52 ; 4-byte Folded Reload
	buffer_load_dword v102, off, s[20:23], 0 offset:56 ; 4-byte Folded Reload
	buffer_load_dword v103, off, s[20:23], 0 offset:60 ; 4-byte Folded Reload
	buffer_load_dword v104, off, s[20:23], 0 offset:64 ; 4-byte Folded Reload
	s_waitcnt vmcnt(2)
	v_add_f64 v[101:102], v[101:102], -v[31:32]
	s_waitcnt vmcnt(0)
	v_add_f64 v[103:104], v[103:104], -v[99:100]
	buffer_store_dword v101, off, s[20:23], 0 offset:52 ; 4-byte Folded Spill
	s_nop 0
	buffer_store_dword v102, off, s[20:23], 0 offset:56 ; 4-byte Folded Spill
	buffer_store_dword v103, off, s[20:23], 0 offset:60 ; 4-byte Folded Spill
	buffer_store_dword v104, off, s[20:23], 0 offset:64 ; 4-byte Folded Spill
	ds_read2_b64 v[99:102], v0 offset0:66 offset1:67
	s_waitcnt lgkmcnt(0)
	v_mul_f64 v[31:32], v[101:102], v[97:98]
	v_fma_f64 v[31:32], v[99:100], v[29:30], -v[31:32]
	v_mul_f64 v[99:100], v[99:100], v[97:98]
	v_fma_f64 v[99:100], v[101:102], v[29:30], v[99:100]
	buffer_load_dword v101, off, s[20:23], 0 offset:36 ; 4-byte Folded Reload
	buffer_load_dword v102, off, s[20:23], 0 offset:40 ; 4-byte Folded Reload
	buffer_load_dword v103, off, s[20:23], 0 offset:44 ; 4-byte Folded Reload
	buffer_load_dword v104, off, s[20:23], 0 offset:48 ; 4-byte Folded Reload
	s_waitcnt vmcnt(2)
	v_add_f64 v[101:102], v[101:102], -v[31:32]
	s_waitcnt vmcnt(0)
	v_add_f64 v[103:104], v[103:104], -v[99:100]
	buffer_store_dword v101, off, s[20:23], 0 offset:36 ; 4-byte Folded Spill
	s_nop 0
	buffer_store_dword v102, off, s[20:23], 0 offset:40 ; 4-byte Folded Spill
	buffer_store_dword v103, off, s[20:23], 0 offset:44 ; 4-byte Folded Spill
	buffer_store_dword v104, off, s[20:23], 0 offset:48 ; 4-byte Folded Spill
	ds_read2_b64 v[99:102], v0 offset0:68 offset1:69
	;; [unrolled: 19-line block ×4, first 2 shown]
	v_mov_b32_e32 v104, v98
	v_mov_b32_e32 v103, v97
	s_waitcnt lgkmcnt(0)
	v_mul_f64 v[31:32], v[101:102], v[97:98]
	v_fma_f64 v[31:32], v[99:100], v[29:30], -v[31:32]
	v_mul_f64 v[99:100], v[99:100], v[97:98]
	v_add_f64 v[41:42], v[41:42], -v[31:32]
	v_fma_f64 v[99:100], v[101:102], v[29:30], v[99:100]
	v_add_f64 v[43:44], v[43:44], -v[99:100]
	ds_read2_b64 v[99:102], v0 offset0:74 offset1:75
	s_waitcnt lgkmcnt(0)
	v_mul_f64 v[31:32], v[101:102], v[97:98]
	v_fma_f64 v[31:32], v[99:100], v[29:30], -v[31:32]
	v_mul_f64 v[99:100], v[99:100], v[97:98]
	v_add_f64 v[85:86], v[85:86], -v[31:32]
	v_fma_f64 v[99:100], v[101:102], v[29:30], v[99:100]
	v_add_f64 v[87:88], v[87:88], -v[99:100]
	ds_read2_b64 v[99:102], v0 offset0:76 offset1:77
	;; [unrolled: 8-line block ×3, first 2 shown]
	s_waitcnt lgkmcnt(0)
	v_mul_f64 v[31:32], v[101:102], v[97:98]
	v_fma_f64 v[31:32], v[99:100], v[29:30], -v[31:32]
	v_mul_f64 v[99:100], v[99:100], v[97:98]
	v_add_f64 v[45:46], v[45:46], -v[31:32]
	v_fma_f64 v[99:100], v[101:102], v[29:30], v[99:100]
	v_mov_b32_e32 v102, v30
	v_mov_b32_e32 v101, v29
	;; [unrolled: 1-line block ×7, first 2 shown]
	v_add_f64 v[47:48], v[47:48], -v[99:100]
	v_mov_b32_e32 v83, v43
	v_mov_b32_e32 v82, v42
	;; [unrolled: 1-line block ×3, first 2 shown]
	buffer_store_dword v101, off, s[20:23], 0 offset:68 ; 4-byte Folded Spill
	s_nop 0
	buffer_store_dword v102, off, s[20:23], 0 offset:72 ; 4-byte Folded Spill
	buffer_store_dword v103, off, s[20:23], 0 offset:76 ; 4-byte Folded Spill
	;; [unrolled: 1-line block ×3, first 2 shown]
.LBB79_289:
	s_or_b64 exec, exec, s[2:3]
	s_waitcnt vmcnt(0)
	s_barrier
	buffer_load_dword v41, off, s[20:23], 0 ; 4-byte Folded Reload
	s_waitcnt vmcnt(0)
	v_cmp_eq_u32_e32 vcc, 32, v41
	s_and_saveexec_b64 s[4:5], vcc
	s_cbranch_execz .LBB79_296
; %bb.290:
	buffer_load_dword v41, off, s[20:23], 0 offset:52 ; 4-byte Folded Reload
	buffer_load_dword v42, off, s[20:23], 0 offset:56 ; 4-byte Folded Reload
	;; [unrolled: 1-line block ×4, first 2 shown]
	s_waitcnt vmcnt(0)
	ds_write2_b64 v127, v[41:42], v[43:44] offset1:1
	buffer_load_dword v41, off, s[20:23], 0 offset:36 ; 4-byte Folded Reload
	buffer_load_dword v42, off, s[20:23], 0 offset:40 ; 4-byte Folded Reload
	buffer_load_dword v43, off, s[20:23], 0 offset:44 ; 4-byte Folded Reload
	buffer_load_dword v44, off, s[20:23], 0 offset:48 ; 4-byte Folded Reload
	s_waitcnt vmcnt(0)
	ds_write2_b64 v0, v[41:42], v[43:44] offset0:66 offset1:67
	buffer_load_dword v41, off, s[20:23], 0 offset:20 ; 4-byte Folded Reload
	buffer_load_dword v42, off, s[20:23], 0 offset:24 ; 4-byte Folded Reload
	buffer_load_dword v43, off, s[20:23], 0 offset:28 ; 4-byte Folded Reload
	buffer_load_dword v44, off, s[20:23], 0 offset:32 ; 4-byte Folded Reload
	s_waitcnt vmcnt(0)
	ds_write2_b64 v0, v[41:42], v[43:44] offset0:68 offset1:69
	;; [unrolled: 6-line block ×3, first 2 shown]
	ds_write2_b64 v0, v[81:82], v[83:84] offset0:72 offset1:73
	ds_write2_b64 v0, v[85:86], v[87:88] offset0:74 offset1:75
	;; [unrolled: 1-line block ×4, first 2 shown]
	ds_read2_b64 v[97:100], v127 offset1:1
	s_waitcnt lgkmcnt(0)
	v_cmp_neq_f64_e32 vcc, 0, v[97:98]
	v_cmp_neq_f64_e64 s[2:3], 0, v[99:100]
	s_or_b64 s[2:3], vcc, s[2:3]
	s_and_b64 exec, exec, s[2:3]
	s_cbranch_execz .LBB79_296
; %bb.291:
	v_cmp_ngt_f64_e64 s[2:3], |v[97:98]|, |v[99:100]|
                                        ; implicit-def: $vgpr101_vgpr102
	s_and_saveexec_b64 s[6:7], s[2:3]
	s_xor_b64 s[2:3], exec, s[6:7]
                                        ; implicit-def: $vgpr103_vgpr104
	s_cbranch_execz .LBB79_293
; %bb.292:
	v_div_scale_f64 v[101:102], s[6:7], v[99:100], v[99:100], v[97:98]
	v_rcp_f64_e32 v[103:104], v[101:102]
	v_fma_f64 v[105:106], -v[101:102], v[103:104], 1.0
	v_fma_f64 v[103:104], v[103:104], v[105:106], v[103:104]
	v_div_scale_f64 v[105:106], vcc, v[97:98], v[99:100], v[97:98]
	v_fma_f64 v[107:108], -v[101:102], v[103:104], 1.0
	v_fma_f64 v[103:104], v[103:104], v[107:108], v[103:104]
	v_mul_f64 v[107:108], v[105:106], v[103:104]
	v_fma_f64 v[101:102], -v[101:102], v[107:108], v[105:106]
	v_div_fmas_f64 v[101:102], v[101:102], v[103:104], v[107:108]
	v_div_fixup_f64 v[101:102], v[101:102], v[99:100], v[97:98]
	v_fma_f64 v[97:98], v[97:98], v[101:102], v[99:100]
	v_div_scale_f64 v[99:100], s[6:7], v[97:98], v[97:98], 1.0
	v_div_scale_f64 v[107:108], vcc, 1.0, v[97:98], 1.0
	v_rcp_f64_e32 v[103:104], v[99:100]
	v_fma_f64 v[105:106], -v[99:100], v[103:104], 1.0
	v_fma_f64 v[103:104], v[103:104], v[105:106], v[103:104]
	v_fma_f64 v[105:106], -v[99:100], v[103:104], 1.0
	v_fma_f64 v[103:104], v[103:104], v[105:106], v[103:104]
	v_mul_f64 v[105:106], v[107:108], v[103:104]
	v_fma_f64 v[99:100], -v[99:100], v[105:106], v[107:108]
	v_div_fmas_f64 v[99:100], v[99:100], v[103:104], v[105:106]
	v_div_fixup_f64 v[103:104], v[99:100], v[97:98], 1.0
                                        ; implicit-def: $vgpr97_vgpr98
	v_mul_f64 v[101:102], v[101:102], v[103:104]
	v_xor_b32_e32 v104, 0x80000000, v104
.LBB79_293:
	s_andn2_saveexec_b64 s[2:3], s[2:3]
	s_cbranch_execz .LBB79_295
; %bb.294:
	v_div_scale_f64 v[101:102], s[6:7], v[97:98], v[97:98], v[99:100]
	v_rcp_f64_e32 v[103:104], v[101:102]
	v_fma_f64 v[105:106], -v[101:102], v[103:104], 1.0
	v_fma_f64 v[103:104], v[103:104], v[105:106], v[103:104]
	v_div_scale_f64 v[105:106], vcc, v[99:100], v[97:98], v[99:100]
	v_fma_f64 v[107:108], -v[101:102], v[103:104], 1.0
	v_fma_f64 v[103:104], v[103:104], v[107:108], v[103:104]
	v_mul_f64 v[107:108], v[105:106], v[103:104]
	v_fma_f64 v[101:102], -v[101:102], v[107:108], v[105:106]
	v_div_fmas_f64 v[101:102], v[101:102], v[103:104], v[107:108]
	v_div_fixup_f64 v[103:104], v[101:102], v[97:98], v[99:100]
	v_fma_f64 v[97:98], v[99:100], v[103:104], v[97:98]
	v_div_scale_f64 v[99:100], s[6:7], v[97:98], v[97:98], 1.0
	v_div_scale_f64 v[107:108], vcc, 1.0, v[97:98], 1.0
	v_rcp_f64_e32 v[101:102], v[99:100]
	v_fma_f64 v[105:106], -v[99:100], v[101:102], 1.0
	v_fma_f64 v[101:102], v[101:102], v[105:106], v[101:102]
	v_fma_f64 v[105:106], -v[99:100], v[101:102], 1.0
	v_fma_f64 v[101:102], v[101:102], v[105:106], v[101:102]
	v_mul_f64 v[105:106], v[107:108], v[101:102]
	v_fma_f64 v[99:100], -v[99:100], v[105:106], v[107:108]
	v_div_fmas_f64 v[99:100], v[99:100], v[101:102], v[105:106]
	v_div_fixup_f64 v[101:102], v[99:100], v[97:98], 1.0
	v_mul_f64 v[103:104], v[103:104], -v[101:102]
.LBB79_295:
	s_or_b64 exec, exec, s[2:3]
	ds_write2_b64 v127, v[101:102], v[103:104] offset1:1
.LBB79_296:
	s_or_b64 exec, exec, s[4:5]
	s_waitcnt lgkmcnt(0)
	s_barrier
	ds_read2_b64 v[41:44], v127 offset1:1
	s_waitcnt lgkmcnt(0)
	buffer_store_dword v41, off, s[20:23], 0 offset:1124 ; 4-byte Folded Spill
	s_nop 0
	buffer_store_dword v42, off, s[20:23], 0 offset:1128 ; 4-byte Folded Spill
	buffer_store_dword v43, off, s[20:23], 0 offset:1132 ; 4-byte Folded Spill
	;; [unrolled: 1-line block ×3, first 2 shown]
	buffer_load_dword v41, off, s[20:23], 0 ; 4-byte Folded Reload
	s_waitcnt vmcnt(0)
	v_cmp_lt_u32_e32 vcc, 32, v41
	s_and_saveexec_b64 s[2:3], vcc
	s_cbranch_execz .LBB79_298
; %bb.297:
	buffer_load_dword v99, off, s[20:23], 0 offset:52 ; 4-byte Folded Reload
	buffer_load_dword v100, off, s[20:23], 0 offset:56 ; 4-byte Folded Reload
	;; [unrolled: 1-line block ×8, first 2 shown]
	v_mov_b32_e32 v41, v81
	v_mov_b32_e32 v42, v82
	;; [unrolled: 1-line block ×8, first 2 shown]
	s_waitcnt vmcnt(4)
	v_mov_b32_e32 v25, v99
	v_mov_b32_e32 v27, v101
	s_waitcnt vmcnt(2)
	v_mul_f64 v[97:98], v[103:104], v[101:102]
	v_mov_b32_e32 v28, v102
	s_waitcnt vmcnt(0)
	v_mul_f64 v[27:28], v[105:106], v[27:28]
	v_mov_b32_e32 v26, v100
	v_fma_f64 v[97:98], v[105:106], v[99:100], v[97:98]
	ds_read2_b64 v[99:102], v0 offset0:66 offset1:67
	v_fma_f64 v[25:26], v[103:104], v[25:26], -v[27:28]
	s_waitcnt lgkmcnt(0)
	v_mul_f64 v[27:28], v[101:102], v[97:98]
	v_fma_f64 v[27:28], v[99:100], v[25:26], -v[27:28]
	v_mul_f64 v[99:100], v[99:100], v[97:98]
	v_fma_f64 v[99:100], v[101:102], v[25:26], v[99:100]
	buffer_load_dword v101, off, s[20:23], 0 offset:36 ; 4-byte Folded Reload
	buffer_load_dword v102, off, s[20:23], 0 offset:40 ; 4-byte Folded Reload
	buffer_load_dword v103, off, s[20:23], 0 offset:44 ; 4-byte Folded Reload
	buffer_load_dword v104, off, s[20:23], 0 offset:48 ; 4-byte Folded Reload
	s_waitcnt vmcnt(2)
	v_add_f64 v[101:102], v[101:102], -v[27:28]
	s_waitcnt vmcnt(0)
	v_add_f64 v[103:104], v[103:104], -v[99:100]
	buffer_store_dword v101, off, s[20:23], 0 offset:36 ; 4-byte Folded Spill
	s_nop 0
	buffer_store_dword v102, off, s[20:23], 0 offset:40 ; 4-byte Folded Spill
	buffer_store_dword v103, off, s[20:23], 0 offset:44 ; 4-byte Folded Spill
	buffer_store_dword v104, off, s[20:23], 0 offset:48 ; 4-byte Folded Spill
	ds_read2_b64 v[99:102], v0 offset0:68 offset1:69
	s_waitcnt lgkmcnt(0)
	v_mul_f64 v[27:28], v[101:102], v[97:98]
	v_fma_f64 v[27:28], v[99:100], v[25:26], -v[27:28]
	v_mul_f64 v[99:100], v[99:100], v[97:98]
	v_fma_f64 v[99:100], v[101:102], v[25:26], v[99:100]
	buffer_load_dword v101, off, s[20:23], 0 offset:20 ; 4-byte Folded Reload
	buffer_load_dword v102, off, s[20:23], 0 offset:24 ; 4-byte Folded Reload
	buffer_load_dword v103, off, s[20:23], 0 offset:28 ; 4-byte Folded Reload
	buffer_load_dword v104, off, s[20:23], 0 offset:32 ; 4-byte Folded Reload
	s_waitcnt vmcnt(2)
	v_add_f64 v[101:102], v[101:102], -v[27:28]
	s_waitcnt vmcnt(0)
	v_add_f64 v[103:104], v[103:104], -v[99:100]
	buffer_store_dword v101, off, s[20:23], 0 offset:20 ; 4-byte Folded Spill
	s_nop 0
	buffer_store_dword v102, off, s[20:23], 0 offset:24 ; 4-byte Folded Spill
	buffer_store_dword v103, off, s[20:23], 0 offset:28 ; 4-byte Folded Spill
	buffer_store_dword v104, off, s[20:23], 0 offset:32 ; 4-byte Folded Spill
	ds_read2_b64 v[99:102], v0 offset0:70 offset1:71
	;; [unrolled: 19-line block ×3, first 2 shown]
	v_mov_b32_e32 v104, v98
	v_mov_b32_e32 v103, v97
	s_waitcnt lgkmcnt(0)
	v_mul_f64 v[27:28], v[101:102], v[97:98]
	v_fma_f64 v[27:28], v[99:100], v[25:26], -v[27:28]
	v_mul_f64 v[99:100], v[99:100], v[97:98]
	v_add_f64 v[41:42], v[41:42], -v[27:28]
	v_fma_f64 v[99:100], v[101:102], v[25:26], v[99:100]
	v_add_f64 v[43:44], v[43:44], -v[99:100]
	ds_read2_b64 v[99:102], v0 offset0:74 offset1:75
	s_waitcnt lgkmcnt(0)
	v_mul_f64 v[27:28], v[101:102], v[97:98]
	v_fma_f64 v[27:28], v[99:100], v[25:26], -v[27:28]
	v_mul_f64 v[99:100], v[99:100], v[97:98]
	v_add_f64 v[85:86], v[85:86], -v[27:28]
	v_fma_f64 v[99:100], v[101:102], v[25:26], v[99:100]
	v_add_f64 v[87:88], v[87:88], -v[99:100]
	ds_read2_b64 v[99:102], v0 offset0:76 offset1:77
	;; [unrolled: 8-line block ×3, first 2 shown]
	s_waitcnt lgkmcnt(0)
	v_mul_f64 v[27:28], v[101:102], v[97:98]
	v_fma_f64 v[27:28], v[99:100], v[25:26], -v[27:28]
	v_mul_f64 v[99:100], v[99:100], v[97:98]
	v_add_f64 v[45:46], v[45:46], -v[27:28]
	v_fma_f64 v[99:100], v[101:102], v[25:26], v[99:100]
	v_mov_b32_e32 v102, v26
	v_mov_b32_e32 v101, v25
	;; [unrolled: 1-line block ×7, first 2 shown]
	v_add_f64 v[47:48], v[47:48], -v[99:100]
	v_mov_b32_e32 v83, v43
	v_mov_b32_e32 v82, v42
	v_mov_b32_e32 v81, v41
	buffer_store_dword v101, off, s[20:23], 0 offset:52 ; 4-byte Folded Spill
	s_nop 0
	buffer_store_dword v102, off, s[20:23], 0 offset:56 ; 4-byte Folded Spill
	buffer_store_dword v103, off, s[20:23], 0 offset:60 ; 4-byte Folded Spill
	buffer_store_dword v104, off, s[20:23], 0 offset:64 ; 4-byte Folded Spill
.LBB79_298:
	s_or_b64 exec, exec, s[2:3]
	s_waitcnt vmcnt(0)
	s_barrier
	buffer_load_dword v41, off, s[20:23], 0 ; 4-byte Folded Reload
	s_waitcnt vmcnt(0)
	v_cmp_eq_u32_e32 vcc, 33, v41
	s_and_saveexec_b64 s[4:5], vcc
	s_cbranch_execz .LBB79_305
; %bb.299:
	buffer_load_dword v41, off, s[20:23], 0 offset:36 ; 4-byte Folded Reload
	buffer_load_dword v42, off, s[20:23], 0 offset:40 ; 4-byte Folded Reload
	;; [unrolled: 1-line block ×4, first 2 shown]
	s_waitcnt vmcnt(0)
	ds_write2_b64 v127, v[41:42], v[43:44] offset1:1
	buffer_load_dword v41, off, s[20:23], 0 offset:20 ; 4-byte Folded Reload
	buffer_load_dword v42, off, s[20:23], 0 offset:24 ; 4-byte Folded Reload
	;; [unrolled: 1-line block ×4, first 2 shown]
	s_waitcnt vmcnt(0)
	ds_write2_b64 v0, v[41:42], v[43:44] offset0:68 offset1:69
	buffer_load_dword v41, off, s[20:23], 0 offset:4 ; 4-byte Folded Reload
	buffer_load_dword v42, off, s[20:23], 0 offset:8 ; 4-byte Folded Reload
	;; [unrolled: 1-line block ×4, first 2 shown]
	s_waitcnt vmcnt(0)
	ds_write2_b64 v0, v[41:42], v[43:44] offset0:70 offset1:71
	ds_write2_b64 v0, v[81:82], v[83:84] offset0:72 offset1:73
	;; [unrolled: 1-line block ×5, first 2 shown]
	ds_read2_b64 v[97:100], v127 offset1:1
	s_waitcnt lgkmcnt(0)
	v_cmp_neq_f64_e32 vcc, 0, v[97:98]
	v_cmp_neq_f64_e64 s[2:3], 0, v[99:100]
	s_or_b64 s[2:3], vcc, s[2:3]
	s_and_b64 exec, exec, s[2:3]
	s_cbranch_execz .LBB79_305
; %bb.300:
	v_cmp_ngt_f64_e64 s[2:3], |v[97:98]|, |v[99:100]|
                                        ; implicit-def: $vgpr101_vgpr102
	s_and_saveexec_b64 s[6:7], s[2:3]
	s_xor_b64 s[2:3], exec, s[6:7]
                                        ; implicit-def: $vgpr103_vgpr104
	s_cbranch_execz .LBB79_302
; %bb.301:
	v_div_scale_f64 v[101:102], s[6:7], v[99:100], v[99:100], v[97:98]
	v_rcp_f64_e32 v[103:104], v[101:102]
	v_fma_f64 v[105:106], -v[101:102], v[103:104], 1.0
	v_fma_f64 v[103:104], v[103:104], v[105:106], v[103:104]
	v_div_scale_f64 v[105:106], vcc, v[97:98], v[99:100], v[97:98]
	v_fma_f64 v[107:108], -v[101:102], v[103:104], 1.0
	v_fma_f64 v[103:104], v[103:104], v[107:108], v[103:104]
	v_mul_f64 v[107:108], v[105:106], v[103:104]
	v_fma_f64 v[101:102], -v[101:102], v[107:108], v[105:106]
	v_div_fmas_f64 v[101:102], v[101:102], v[103:104], v[107:108]
	v_div_fixup_f64 v[101:102], v[101:102], v[99:100], v[97:98]
	v_fma_f64 v[97:98], v[97:98], v[101:102], v[99:100]
	v_div_scale_f64 v[99:100], s[6:7], v[97:98], v[97:98], 1.0
	v_div_scale_f64 v[107:108], vcc, 1.0, v[97:98], 1.0
	v_rcp_f64_e32 v[103:104], v[99:100]
	v_fma_f64 v[105:106], -v[99:100], v[103:104], 1.0
	v_fma_f64 v[103:104], v[103:104], v[105:106], v[103:104]
	v_fma_f64 v[105:106], -v[99:100], v[103:104], 1.0
	v_fma_f64 v[103:104], v[103:104], v[105:106], v[103:104]
	v_mul_f64 v[105:106], v[107:108], v[103:104]
	v_fma_f64 v[99:100], -v[99:100], v[105:106], v[107:108]
	v_div_fmas_f64 v[99:100], v[99:100], v[103:104], v[105:106]
	v_div_fixup_f64 v[103:104], v[99:100], v[97:98], 1.0
                                        ; implicit-def: $vgpr97_vgpr98
	v_mul_f64 v[101:102], v[101:102], v[103:104]
	v_xor_b32_e32 v104, 0x80000000, v104
.LBB79_302:
	s_andn2_saveexec_b64 s[2:3], s[2:3]
	s_cbranch_execz .LBB79_304
; %bb.303:
	v_div_scale_f64 v[101:102], s[6:7], v[97:98], v[97:98], v[99:100]
	v_rcp_f64_e32 v[103:104], v[101:102]
	v_fma_f64 v[105:106], -v[101:102], v[103:104], 1.0
	v_fma_f64 v[103:104], v[103:104], v[105:106], v[103:104]
	v_div_scale_f64 v[105:106], vcc, v[99:100], v[97:98], v[99:100]
	v_fma_f64 v[107:108], -v[101:102], v[103:104], 1.0
	v_fma_f64 v[103:104], v[103:104], v[107:108], v[103:104]
	v_mul_f64 v[107:108], v[105:106], v[103:104]
	v_fma_f64 v[101:102], -v[101:102], v[107:108], v[105:106]
	v_div_fmas_f64 v[101:102], v[101:102], v[103:104], v[107:108]
	v_div_fixup_f64 v[103:104], v[101:102], v[97:98], v[99:100]
	v_fma_f64 v[97:98], v[99:100], v[103:104], v[97:98]
	v_div_scale_f64 v[99:100], s[6:7], v[97:98], v[97:98], 1.0
	v_div_scale_f64 v[107:108], vcc, 1.0, v[97:98], 1.0
	v_rcp_f64_e32 v[101:102], v[99:100]
	v_fma_f64 v[105:106], -v[99:100], v[101:102], 1.0
	v_fma_f64 v[101:102], v[101:102], v[105:106], v[101:102]
	v_fma_f64 v[105:106], -v[99:100], v[101:102], 1.0
	v_fma_f64 v[101:102], v[101:102], v[105:106], v[101:102]
	v_mul_f64 v[105:106], v[107:108], v[101:102]
	v_fma_f64 v[99:100], -v[99:100], v[105:106], v[107:108]
	v_div_fmas_f64 v[99:100], v[99:100], v[101:102], v[105:106]
	v_div_fixup_f64 v[101:102], v[99:100], v[97:98], 1.0
	v_mul_f64 v[103:104], v[103:104], -v[101:102]
.LBB79_304:
	s_or_b64 exec, exec, s[2:3]
	ds_write2_b64 v127, v[101:102], v[103:104] offset1:1
.LBB79_305:
	s_or_b64 exec, exec, s[4:5]
	s_waitcnt lgkmcnt(0)
	s_barrier
	ds_read2_b64 v[41:44], v127 offset1:1
	s_waitcnt lgkmcnt(0)
	buffer_store_dword v41, off, s[20:23], 0 offset:1140 ; 4-byte Folded Spill
	s_nop 0
	buffer_store_dword v42, off, s[20:23], 0 offset:1144 ; 4-byte Folded Spill
	buffer_store_dword v43, off, s[20:23], 0 offset:1148 ; 4-byte Folded Spill
	;; [unrolled: 1-line block ×3, first 2 shown]
	buffer_load_dword v41, off, s[20:23], 0 ; 4-byte Folded Reload
	s_waitcnt vmcnt(0)
	v_cmp_lt_u32_e32 vcc, 33, v41
	s_and_saveexec_b64 s[2:3], vcc
	s_cbranch_execz .LBB79_307
; %bb.306:
	buffer_load_dword v99, off, s[20:23], 0 offset:36 ; 4-byte Folded Reload
	buffer_load_dword v100, off, s[20:23], 0 offset:40 ; 4-byte Folded Reload
	;; [unrolled: 1-line block ×8, first 2 shown]
	v_mov_b32_e32 v41, v85
	v_mov_b32_e32 v42, v86
	;; [unrolled: 1-line block ×8, first 2 shown]
	s_waitcnt vmcnt(4)
	v_mov_b32_e32 v21, v99
	v_mov_b32_e32 v23, v101
	s_waitcnt vmcnt(2)
	v_mul_f64 v[97:98], v[103:104], v[101:102]
	v_mov_b32_e32 v24, v102
	s_waitcnt vmcnt(0)
	v_mul_f64 v[23:24], v[105:106], v[23:24]
	v_mov_b32_e32 v22, v100
	v_fma_f64 v[97:98], v[105:106], v[99:100], v[97:98]
	ds_read2_b64 v[99:102], v0 offset0:68 offset1:69
	v_fma_f64 v[21:22], v[103:104], v[21:22], -v[23:24]
	s_waitcnt lgkmcnt(0)
	v_mul_f64 v[23:24], v[101:102], v[97:98]
	v_fma_f64 v[23:24], v[99:100], v[21:22], -v[23:24]
	v_mul_f64 v[99:100], v[99:100], v[97:98]
	v_fma_f64 v[99:100], v[101:102], v[21:22], v[99:100]
	buffer_load_dword v101, off, s[20:23], 0 offset:20 ; 4-byte Folded Reload
	buffer_load_dword v102, off, s[20:23], 0 offset:24 ; 4-byte Folded Reload
	;; [unrolled: 1-line block ×4, first 2 shown]
	s_waitcnt vmcnt(2)
	v_add_f64 v[101:102], v[101:102], -v[23:24]
	s_waitcnt vmcnt(0)
	v_add_f64 v[103:104], v[103:104], -v[99:100]
	buffer_store_dword v101, off, s[20:23], 0 offset:20 ; 4-byte Folded Spill
	s_nop 0
	buffer_store_dword v102, off, s[20:23], 0 offset:24 ; 4-byte Folded Spill
	buffer_store_dword v103, off, s[20:23], 0 offset:28 ; 4-byte Folded Spill
	;; [unrolled: 1-line block ×3, first 2 shown]
	ds_read2_b64 v[99:102], v0 offset0:70 offset1:71
	s_waitcnt lgkmcnt(0)
	v_mul_f64 v[23:24], v[101:102], v[97:98]
	v_fma_f64 v[23:24], v[99:100], v[21:22], -v[23:24]
	v_mul_f64 v[99:100], v[99:100], v[97:98]
	v_fma_f64 v[99:100], v[101:102], v[21:22], v[99:100]
	buffer_load_dword v101, off, s[20:23], 0 offset:4 ; 4-byte Folded Reload
	buffer_load_dword v102, off, s[20:23], 0 offset:8 ; 4-byte Folded Reload
	;; [unrolled: 1-line block ×4, first 2 shown]
	s_waitcnt vmcnt(2)
	v_add_f64 v[101:102], v[101:102], -v[23:24]
	s_waitcnt vmcnt(0)
	v_add_f64 v[103:104], v[103:104], -v[99:100]
	buffer_store_dword v101, off, s[20:23], 0 offset:4 ; 4-byte Folded Spill
	s_nop 0
	buffer_store_dword v102, off, s[20:23], 0 offset:8 ; 4-byte Folded Spill
	buffer_store_dword v103, off, s[20:23], 0 offset:12 ; 4-byte Folded Spill
	;; [unrolled: 1-line block ×3, first 2 shown]
	ds_read2_b64 v[99:102], v0 offset0:72 offset1:73
	v_mov_b32_e32 v104, v98
	v_mov_b32_e32 v103, v97
	s_waitcnt lgkmcnt(0)
	v_mul_f64 v[23:24], v[101:102], v[97:98]
	v_fma_f64 v[23:24], v[99:100], v[21:22], -v[23:24]
	v_mul_f64 v[99:100], v[99:100], v[97:98]
	v_add_f64 v[81:82], v[81:82], -v[23:24]
	v_fma_f64 v[99:100], v[101:102], v[21:22], v[99:100]
	v_add_f64 v[83:84], v[83:84], -v[99:100]
	ds_read2_b64 v[99:102], v0 offset0:74 offset1:75
	s_waitcnt lgkmcnt(0)
	v_mul_f64 v[23:24], v[101:102], v[97:98]
	v_fma_f64 v[23:24], v[99:100], v[21:22], -v[23:24]
	v_mul_f64 v[99:100], v[99:100], v[97:98]
	v_add_f64 v[41:42], v[41:42], -v[23:24]
	v_fma_f64 v[99:100], v[101:102], v[21:22], v[99:100]
	v_add_f64 v[43:44], v[43:44], -v[99:100]
	ds_read2_b64 v[99:102], v0 offset0:76 offset1:77
	;; [unrolled: 8-line block ×3, first 2 shown]
	s_waitcnt lgkmcnt(0)
	v_mul_f64 v[23:24], v[101:102], v[97:98]
	v_fma_f64 v[23:24], v[99:100], v[21:22], -v[23:24]
	v_mul_f64 v[99:100], v[99:100], v[97:98]
	v_add_f64 v[45:46], v[45:46], -v[23:24]
	v_fma_f64 v[99:100], v[101:102], v[21:22], v[99:100]
	v_mov_b32_e32 v102, v22
	v_mov_b32_e32 v101, v21
	;; [unrolled: 1-line block ×7, first 2 shown]
	v_add_f64 v[47:48], v[47:48], -v[99:100]
	v_mov_b32_e32 v87, v43
	v_mov_b32_e32 v86, v42
	;; [unrolled: 1-line block ×3, first 2 shown]
	buffer_store_dword v101, off, s[20:23], 0 offset:36 ; 4-byte Folded Spill
	s_nop 0
	buffer_store_dword v102, off, s[20:23], 0 offset:40 ; 4-byte Folded Spill
	buffer_store_dword v103, off, s[20:23], 0 offset:44 ; 4-byte Folded Spill
	;; [unrolled: 1-line block ×3, first 2 shown]
.LBB79_307:
	s_or_b64 exec, exec, s[2:3]
	s_waitcnt vmcnt(0)
	s_barrier
	buffer_load_dword v41, off, s[20:23], 0 ; 4-byte Folded Reload
	s_waitcnt vmcnt(0)
	v_cmp_eq_u32_e32 vcc, 34, v41
	s_and_saveexec_b64 s[4:5], vcc
	s_cbranch_execz .LBB79_314
; %bb.308:
	buffer_load_dword v41, off, s[20:23], 0 offset:20 ; 4-byte Folded Reload
	buffer_load_dword v42, off, s[20:23], 0 offset:24 ; 4-byte Folded Reload
	buffer_load_dword v43, off, s[20:23], 0 offset:28 ; 4-byte Folded Reload
	buffer_load_dword v44, off, s[20:23], 0 offset:32 ; 4-byte Folded Reload
	s_waitcnt vmcnt(0)
	ds_write2_b64 v127, v[41:42], v[43:44] offset1:1
	buffer_load_dword v41, off, s[20:23], 0 offset:4 ; 4-byte Folded Reload
	buffer_load_dword v42, off, s[20:23], 0 offset:8 ; 4-byte Folded Reload
	;; [unrolled: 1-line block ×4, first 2 shown]
	s_waitcnt vmcnt(0)
	ds_write2_b64 v0, v[41:42], v[43:44] offset0:70 offset1:71
	ds_write2_b64 v0, v[81:82], v[83:84] offset0:72 offset1:73
	;; [unrolled: 1-line block ×5, first 2 shown]
	ds_read2_b64 v[97:100], v127 offset1:1
	s_waitcnt lgkmcnt(0)
	v_cmp_neq_f64_e32 vcc, 0, v[97:98]
	v_cmp_neq_f64_e64 s[2:3], 0, v[99:100]
	s_or_b64 s[2:3], vcc, s[2:3]
	s_and_b64 exec, exec, s[2:3]
	s_cbranch_execz .LBB79_314
; %bb.309:
	v_cmp_ngt_f64_e64 s[2:3], |v[97:98]|, |v[99:100]|
                                        ; implicit-def: $vgpr101_vgpr102
	s_and_saveexec_b64 s[6:7], s[2:3]
	s_xor_b64 s[2:3], exec, s[6:7]
                                        ; implicit-def: $vgpr103_vgpr104
	s_cbranch_execz .LBB79_311
; %bb.310:
	v_div_scale_f64 v[101:102], s[6:7], v[99:100], v[99:100], v[97:98]
	v_rcp_f64_e32 v[103:104], v[101:102]
	v_fma_f64 v[105:106], -v[101:102], v[103:104], 1.0
	v_fma_f64 v[103:104], v[103:104], v[105:106], v[103:104]
	v_div_scale_f64 v[105:106], vcc, v[97:98], v[99:100], v[97:98]
	v_fma_f64 v[107:108], -v[101:102], v[103:104], 1.0
	v_fma_f64 v[103:104], v[103:104], v[107:108], v[103:104]
	v_mul_f64 v[107:108], v[105:106], v[103:104]
	v_fma_f64 v[101:102], -v[101:102], v[107:108], v[105:106]
	v_div_fmas_f64 v[101:102], v[101:102], v[103:104], v[107:108]
	v_div_fixup_f64 v[101:102], v[101:102], v[99:100], v[97:98]
	v_fma_f64 v[97:98], v[97:98], v[101:102], v[99:100]
	v_div_scale_f64 v[99:100], s[6:7], v[97:98], v[97:98], 1.0
	v_div_scale_f64 v[107:108], vcc, 1.0, v[97:98], 1.0
	v_rcp_f64_e32 v[103:104], v[99:100]
	v_fma_f64 v[105:106], -v[99:100], v[103:104], 1.0
	v_fma_f64 v[103:104], v[103:104], v[105:106], v[103:104]
	v_fma_f64 v[105:106], -v[99:100], v[103:104], 1.0
	v_fma_f64 v[103:104], v[103:104], v[105:106], v[103:104]
	v_mul_f64 v[105:106], v[107:108], v[103:104]
	v_fma_f64 v[99:100], -v[99:100], v[105:106], v[107:108]
	v_div_fmas_f64 v[99:100], v[99:100], v[103:104], v[105:106]
	v_div_fixup_f64 v[103:104], v[99:100], v[97:98], 1.0
                                        ; implicit-def: $vgpr97_vgpr98
	v_mul_f64 v[101:102], v[101:102], v[103:104]
	v_xor_b32_e32 v104, 0x80000000, v104
.LBB79_311:
	s_andn2_saveexec_b64 s[2:3], s[2:3]
	s_cbranch_execz .LBB79_313
; %bb.312:
	v_div_scale_f64 v[101:102], s[6:7], v[97:98], v[97:98], v[99:100]
	v_rcp_f64_e32 v[103:104], v[101:102]
	v_fma_f64 v[105:106], -v[101:102], v[103:104], 1.0
	v_fma_f64 v[103:104], v[103:104], v[105:106], v[103:104]
	v_div_scale_f64 v[105:106], vcc, v[99:100], v[97:98], v[99:100]
	v_fma_f64 v[107:108], -v[101:102], v[103:104], 1.0
	v_fma_f64 v[103:104], v[103:104], v[107:108], v[103:104]
	v_mul_f64 v[107:108], v[105:106], v[103:104]
	v_fma_f64 v[101:102], -v[101:102], v[107:108], v[105:106]
	v_div_fmas_f64 v[101:102], v[101:102], v[103:104], v[107:108]
	v_div_fixup_f64 v[103:104], v[101:102], v[97:98], v[99:100]
	v_fma_f64 v[97:98], v[99:100], v[103:104], v[97:98]
	v_div_scale_f64 v[99:100], s[6:7], v[97:98], v[97:98], 1.0
	v_div_scale_f64 v[107:108], vcc, 1.0, v[97:98], 1.0
	v_rcp_f64_e32 v[101:102], v[99:100]
	v_fma_f64 v[105:106], -v[99:100], v[101:102], 1.0
	v_fma_f64 v[101:102], v[101:102], v[105:106], v[101:102]
	v_fma_f64 v[105:106], -v[99:100], v[101:102], 1.0
	v_fma_f64 v[101:102], v[101:102], v[105:106], v[101:102]
	v_mul_f64 v[105:106], v[107:108], v[101:102]
	v_fma_f64 v[99:100], -v[99:100], v[105:106], v[107:108]
	v_div_fmas_f64 v[99:100], v[99:100], v[101:102], v[105:106]
	v_div_fixup_f64 v[101:102], v[99:100], v[97:98], 1.0
	v_mul_f64 v[103:104], v[103:104], -v[101:102]
.LBB79_313:
	s_or_b64 exec, exec, s[2:3]
	ds_write2_b64 v127, v[101:102], v[103:104] offset1:1
.LBB79_314:
	s_or_b64 exec, exec, s[4:5]
	s_waitcnt lgkmcnt(0)
	s_barrier
	ds_read2_b64 v[41:44], v127 offset1:1
	s_waitcnt lgkmcnt(0)
	buffer_store_dword v41, off, s[20:23], 0 offset:1156 ; 4-byte Folded Spill
	s_nop 0
	buffer_store_dword v42, off, s[20:23], 0 offset:1160 ; 4-byte Folded Spill
	buffer_store_dword v43, off, s[20:23], 0 offset:1164 ; 4-byte Folded Spill
	;; [unrolled: 1-line block ×3, first 2 shown]
	buffer_load_dword v41, off, s[20:23], 0 ; 4-byte Folded Reload
	s_waitcnt vmcnt(0)
	v_cmp_lt_u32_e32 vcc, 34, v41
	s_and_saveexec_b64 s[2:3], vcc
	s_cbranch_execz .LBB79_316
; %bb.315:
	buffer_load_dword v103, off, s[20:23], 0 offset:20 ; 4-byte Folded Reload
	buffer_load_dword v104, off, s[20:23], 0 offset:24 ; 4-byte Folded Reload
	;; [unrolled: 1-line block ×8, first 2 shown]
	v_mov_b32_e32 v41, v81
	v_mov_b32_e32 v42, v82
	;; [unrolled: 1-line block ×8, first 2 shown]
	s_waitcnt vmcnt(4)
	v_mov_b32_e32 v17, v103
	v_mov_b32_e32 v18, v104
	s_waitcnt vmcnt(2)
	v_mul_f64 v[97:98], v[37:38], v[105:106]
	v_mov_b32_e32 v19, v105
	v_mov_b32_e32 v20, v106
	s_waitcnt vmcnt(0)
	v_mul_f64 v[19:20], v[39:40], v[19:20]
	v_fma_f64 v[101:102], v[39:40], v[103:104], v[97:98]
	ds_read2_b64 v[97:100], v0 offset0:70 offset1:71
	buffer_load_dword v103, off, s[20:23], 0 offset:4 ; 4-byte Folded Reload
	buffer_load_dword v104, off, s[20:23], 0 offset:8 ; 4-byte Folded Reload
	;; [unrolled: 1-line block ×4, first 2 shown]
	v_fma_f64 v[17:18], v[37:38], v[17:18], -v[19:20]
	s_waitcnt lgkmcnt(0)
	v_mul_f64 v[19:20], v[99:100], v[101:102]
	v_fma_f64 v[19:20], v[97:98], v[17:18], -v[19:20]
	v_mul_f64 v[97:98], v[97:98], v[101:102]
	v_fma_f64 v[97:98], v[99:100], v[17:18], v[97:98]
	s_waitcnt vmcnt(2)
	v_add_f64 v[103:104], v[103:104], -v[19:20]
	s_waitcnt vmcnt(0)
	v_add_f64 v[105:106], v[105:106], -v[97:98]
	buffer_store_dword v103, off, s[20:23], 0 offset:4 ; 4-byte Folded Spill
	s_nop 0
	buffer_store_dword v104, off, s[20:23], 0 offset:8 ; 4-byte Folded Spill
	buffer_store_dword v105, off, s[20:23], 0 offset:12 ; 4-byte Folded Spill
	;; [unrolled: 1-line block ×3, first 2 shown]
	ds_read2_b64 v[97:100], v0 offset0:72 offset1:73
	s_waitcnt lgkmcnt(0)
	v_mul_f64 v[19:20], v[99:100], v[101:102]
	v_fma_f64 v[19:20], v[97:98], v[17:18], -v[19:20]
	v_mul_f64 v[97:98], v[97:98], v[101:102]
	v_add_f64 v[41:42], v[41:42], -v[19:20]
	v_fma_f64 v[97:98], v[99:100], v[17:18], v[97:98]
	v_add_f64 v[43:44], v[43:44], -v[97:98]
	ds_read2_b64 v[97:100], v0 offset0:74 offset1:75
	s_waitcnt lgkmcnt(0)
	v_mul_f64 v[19:20], v[99:100], v[101:102]
	v_fma_f64 v[19:20], v[97:98], v[17:18], -v[19:20]
	v_mul_f64 v[97:98], v[97:98], v[101:102]
	v_add_f64 v[85:86], v[85:86], -v[19:20]
	v_fma_f64 v[97:98], v[99:100], v[17:18], v[97:98]
	v_add_f64 v[87:88], v[87:88], -v[97:98]
	;; [unrolled: 8-line block ×3, first 2 shown]
	ds_read2_b64 v[97:100], v0 offset0:78 offset1:79
	s_waitcnt lgkmcnt(0)
	v_mul_f64 v[19:20], v[99:100], v[101:102]
	v_fma_f64 v[19:20], v[97:98], v[17:18], -v[19:20]
	v_mul_f64 v[97:98], v[97:98], v[101:102]
	v_add_f64 v[45:46], v[45:46], -v[19:20]
	v_fma_f64 v[97:98], v[99:100], v[17:18], v[97:98]
	v_mov_b32_e32 v100, v18
	v_mov_b32_e32 v99, v17
	;; [unrolled: 1-line block ×7, first 2 shown]
	v_add_f64 v[47:48], v[47:48], -v[97:98]
	v_mov_b32_e32 v83, v43
	v_mov_b32_e32 v82, v42
	;; [unrolled: 1-line block ×3, first 2 shown]
	buffer_store_dword v99, off, s[20:23], 0 offset:20 ; 4-byte Folded Spill
	s_nop 0
	buffer_store_dword v100, off, s[20:23], 0 offset:24 ; 4-byte Folded Spill
	buffer_store_dword v101, off, s[20:23], 0 offset:28 ; 4-byte Folded Spill
	;; [unrolled: 1-line block ×3, first 2 shown]
.LBB79_316:
	s_or_b64 exec, exec, s[2:3]
	s_waitcnt vmcnt(0)
	s_barrier
	buffer_load_dword v41, off, s[20:23], 0 ; 4-byte Folded Reload
	s_waitcnt vmcnt(0)
	v_cmp_eq_u32_e32 vcc, 35, v41
	s_and_saveexec_b64 s[4:5], vcc
	s_cbranch_execz .LBB79_323
; %bb.317:
	buffer_load_dword v41, off, s[20:23], 0 offset:4 ; 4-byte Folded Reload
	buffer_load_dword v42, off, s[20:23], 0 offset:8 ; 4-byte Folded Reload
	;; [unrolled: 1-line block ×4, first 2 shown]
	s_waitcnt vmcnt(0)
	ds_write2_b64 v127, v[41:42], v[43:44] offset1:1
	ds_write2_b64 v0, v[81:82], v[83:84] offset0:72 offset1:73
	ds_write2_b64 v0, v[85:86], v[87:88] offset0:74 offset1:75
	;; [unrolled: 1-line block ×4, first 2 shown]
	ds_read2_b64 v[97:100], v127 offset1:1
	s_waitcnt lgkmcnt(0)
	v_cmp_neq_f64_e32 vcc, 0, v[97:98]
	v_cmp_neq_f64_e64 s[2:3], 0, v[99:100]
	s_or_b64 s[2:3], vcc, s[2:3]
	s_and_b64 exec, exec, s[2:3]
	s_cbranch_execz .LBB79_323
; %bb.318:
	v_cmp_ngt_f64_e64 s[2:3], |v[97:98]|, |v[99:100]|
                                        ; implicit-def: $vgpr101_vgpr102
	s_and_saveexec_b64 s[6:7], s[2:3]
	s_xor_b64 s[2:3], exec, s[6:7]
                                        ; implicit-def: $vgpr103_vgpr104
	s_cbranch_execz .LBB79_320
; %bb.319:
	v_div_scale_f64 v[101:102], s[6:7], v[99:100], v[99:100], v[97:98]
	v_rcp_f64_e32 v[103:104], v[101:102]
	v_fma_f64 v[105:106], -v[101:102], v[103:104], 1.0
	v_fma_f64 v[103:104], v[103:104], v[105:106], v[103:104]
	v_div_scale_f64 v[105:106], vcc, v[97:98], v[99:100], v[97:98]
	v_fma_f64 v[107:108], -v[101:102], v[103:104], 1.0
	v_fma_f64 v[103:104], v[103:104], v[107:108], v[103:104]
	v_mul_f64 v[107:108], v[105:106], v[103:104]
	v_fma_f64 v[101:102], -v[101:102], v[107:108], v[105:106]
	v_div_fmas_f64 v[101:102], v[101:102], v[103:104], v[107:108]
	v_div_fixup_f64 v[101:102], v[101:102], v[99:100], v[97:98]
	v_fma_f64 v[97:98], v[97:98], v[101:102], v[99:100]
	v_div_scale_f64 v[99:100], s[6:7], v[97:98], v[97:98], 1.0
	v_div_scale_f64 v[107:108], vcc, 1.0, v[97:98], 1.0
	v_rcp_f64_e32 v[103:104], v[99:100]
	v_fma_f64 v[105:106], -v[99:100], v[103:104], 1.0
	v_fma_f64 v[103:104], v[103:104], v[105:106], v[103:104]
	v_fma_f64 v[105:106], -v[99:100], v[103:104], 1.0
	v_fma_f64 v[103:104], v[103:104], v[105:106], v[103:104]
	v_mul_f64 v[105:106], v[107:108], v[103:104]
	v_fma_f64 v[99:100], -v[99:100], v[105:106], v[107:108]
	v_div_fmas_f64 v[99:100], v[99:100], v[103:104], v[105:106]
	v_div_fixup_f64 v[103:104], v[99:100], v[97:98], 1.0
                                        ; implicit-def: $vgpr97_vgpr98
	v_mul_f64 v[101:102], v[101:102], v[103:104]
	v_xor_b32_e32 v104, 0x80000000, v104
.LBB79_320:
	s_andn2_saveexec_b64 s[2:3], s[2:3]
	s_cbranch_execz .LBB79_322
; %bb.321:
	v_div_scale_f64 v[101:102], s[6:7], v[97:98], v[97:98], v[99:100]
	v_rcp_f64_e32 v[103:104], v[101:102]
	v_fma_f64 v[105:106], -v[101:102], v[103:104], 1.0
	v_fma_f64 v[103:104], v[103:104], v[105:106], v[103:104]
	v_div_scale_f64 v[105:106], vcc, v[99:100], v[97:98], v[99:100]
	v_fma_f64 v[107:108], -v[101:102], v[103:104], 1.0
	v_fma_f64 v[103:104], v[103:104], v[107:108], v[103:104]
	v_mul_f64 v[107:108], v[105:106], v[103:104]
	v_fma_f64 v[101:102], -v[101:102], v[107:108], v[105:106]
	v_div_fmas_f64 v[101:102], v[101:102], v[103:104], v[107:108]
	v_div_fixup_f64 v[103:104], v[101:102], v[97:98], v[99:100]
	v_fma_f64 v[97:98], v[99:100], v[103:104], v[97:98]
	v_div_scale_f64 v[99:100], s[6:7], v[97:98], v[97:98], 1.0
	v_div_scale_f64 v[107:108], vcc, 1.0, v[97:98], 1.0
	v_rcp_f64_e32 v[101:102], v[99:100]
	v_fma_f64 v[105:106], -v[99:100], v[101:102], 1.0
	v_fma_f64 v[101:102], v[101:102], v[105:106], v[101:102]
	v_fma_f64 v[105:106], -v[99:100], v[101:102], 1.0
	v_fma_f64 v[101:102], v[101:102], v[105:106], v[101:102]
	v_mul_f64 v[105:106], v[107:108], v[101:102]
	v_fma_f64 v[99:100], -v[99:100], v[105:106], v[107:108]
	v_div_fmas_f64 v[99:100], v[99:100], v[101:102], v[105:106]
	v_div_fixup_f64 v[101:102], v[99:100], v[97:98], 1.0
	v_mul_f64 v[103:104], v[103:104], -v[101:102]
.LBB79_322:
	s_or_b64 exec, exec, s[2:3]
	ds_write2_b64 v127, v[101:102], v[103:104] offset1:1
.LBB79_323:
	s_or_b64 exec, exec, s[4:5]
	s_waitcnt lgkmcnt(0)
	s_barrier
	buffer_load_dword v41, off, s[20:23], 0 ; 4-byte Folded Reload
	ds_read2_b64 v[37:40], v127 offset1:1
	s_waitcnt vmcnt(0)
	v_cmp_lt_u32_e32 vcc, 35, v41
	s_and_saveexec_b64 s[2:3], vcc
	s_cbranch_execz .LBB79_325
; %bb.324:
	buffer_load_dword v103, off, s[20:23], 0 offset:4 ; 4-byte Folded Reload
	buffer_load_dword v104, off, s[20:23], 0 offset:8 ; 4-byte Folded Reload
	;; [unrolled: 1-line block ×4, first 2 shown]
	v_mov_b32_e32 v41, v81
	v_mov_b32_e32 v42, v82
	;; [unrolled: 1-line block ×8, first 2 shown]
	s_waitcnt vmcnt(0) lgkmcnt(0)
	v_mul_f64 v[97:98], v[37:38], v[105:106]
	v_mov_b32_e32 v13, v103
	v_mov_b32_e32 v15, v105
	;; [unrolled: 1-line block ×3, first 2 shown]
	v_mul_f64 v[15:16], v[39:40], v[15:16]
	v_mov_b32_e32 v14, v104
	v_fma_f64 v[101:102], v[39:40], v[103:104], v[97:98]
	ds_read2_b64 v[97:100], v0 offset0:72 offset1:73
	v_fma_f64 v[13:14], v[37:38], v[13:14], -v[15:16]
	s_waitcnt lgkmcnt(0)
	v_mul_f64 v[15:16], v[99:100], v[101:102]
	v_fma_f64 v[15:16], v[97:98], v[13:14], -v[15:16]
	v_mul_f64 v[97:98], v[97:98], v[101:102]
	v_add_f64 v[41:42], v[41:42], -v[15:16]
	v_fma_f64 v[97:98], v[99:100], v[13:14], v[97:98]
	v_add_f64 v[43:44], v[43:44], -v[97:98]
	ds_read2_b64 v[97:100], v0 offset0:74 offset1:75
	s_waitcnt lgkmcnt(0)
	v_mul_f64 v[15:16], v[99:100], v[101:102]
	v_fma_f64 v[15:16], v[97:98], v[13:14], -v[15:16]
	v_mul_f64 v[97:98], v[97:98], v[101:102]
	v_add_f64 v[85:86], v[85:86], -v[15:16]
	v_fma_f64 v[97:98], v[99:100], v[13:14], v[97:98]
	v_add_f64 v[87:88], v[87:88], -v[97:98]
	ds_read2_b64 v[97:100], v0 offset0:76 offset1:77
	;; [unrolled: 8-line block ×3, first 2 shown]
	s_waitcnt lgkmcnt(0)
	v_mul_f64 v[15:16], v[99:100], v[101:102]
	v_fma_f64 v[15:16], v[97:98], v[13:14], -v[15:16]
	v_mul_f64 v[97:98], v[97:98], v[101:102]
	v_add_f64 v[45:46], v[45:46], -v[15:16]
	v_fma_f64 v[97:98], v[99:100], v[13:14], v[97:98]
	v_mov_b32_e32 v100, v14
	v_mov_b32_e32 v99, v13
	;; [unrolled: 1-line block ×7, first 2 shown]
	v_add_f64 v[47:48], v[47:48], -v[97:98]
	v_mov_b32_e32 v83, v43
	v_mov_b32_e32 v82, v42
	;; [unrolled: 1-line block ×3, first 2 shown]
	buffer_store_dword v99, off, s[20:23], 0 offset:4 ; 4-byte Folded Spill
	s_nop 0
	buffer_store_dword v100, off, s[20:23], 0 offset:8 ; 4-byte Folded Spill
	buffer_store_dword v101, off, s[20:23], 0 offset:12 ; 4-byte Folded Spill
	;; [unrolled: 1-line block ×3, first 2 shown]
.LBB79_325:
	s_or_b64 exec, exec, s[2:3]
	s_waitcnt vmcnt(0) lgkmcnt(0)
	s_barrier
	buffer_load_dword v41, off, s[20:23], 0 ; 4-byte Folded Reload
	s_waitcnt vmcnt(0)
	v_cmp_eq_u32_e32 vcc, 36, v41
	s_and_saveexec_b64 s[4:5], vcc
	s_cbranch_execz .LBB79_332
; %bb.326:
	ds_write2_b64 v127, v[81:82], v[83:84] offset1:1
	ds_write2_b64 v0, v[85:86], v[87:88] offset0:74 offset1:75
	ds_write2_b64 v0, v[1:2], v[3:4] offset0:76 offset1:77
	;; [unrolled: 1-line block ×3, first 2 shown]
	ds_read2_b64 v[97:100], v127 offset1:1
	s_waitcnt lgkmcnt(0)
	v_cmp_neq_f64_e32 vcc, 0, v[97:98]
	v_cmp_neq_f64_e64 s[2:3], 0, v[99:100]
	s_or_b64 s[2:3], vcc, s[2:3]
	s_and_b64 exec, exec, s[2:3]
	s_cbranch_execz .LBB79_332
; %bb.327:
	v_cmp_ngt_f64_e64 s[2:3], |v[97:98]|, |v[99:100]|
                                        ; implicit-def: $vgpr101_vgpr102
	s_and_saveexec_b64 s[6:7], s[2:3]
	s_xor_b64 s[2:3], exec, s[6:7]
                                        ; implicit-def: $vgpr103_vgpr104
	s_cbranch_execz .LBB79_329
; %bb.328:
	v_div_scale_f64 v[101:102], s[6:7], v[99:100], v[99:100], v[97:98]
	v_rcp_f64_e32 v[103:104], v[101:102]
	v_fma_f64 v[105:106], -v[101:102], v[103:104], 1.0
	v_fma_f64 v[103:104], v[103:104], v[105:106], v[103:104]
	v_div_scale_f64 v[105:106], vcc, v[97:98], v[99:100], v[97:98]
	v_fma_f64 v[107:108], -v[101:102], v[103:104], 1.0
	v_fma_f64 v[103:104], v[103:104], v[107:108], v[103:104]
	v_mul_f64 v[107:108], v[105:106], v[103:104]
	v_fma_f64 v[101:102], -v[101:102], v[107:108], v[105:106]
	v_div_fmas_f64 v[101:102], v[101:102], v[103:104], v[107:108]
	v_div_fixup_f64 v[101:102], v[101:102], v[99:100], v[97:98]
	v_fma_f64 v[97:98], v[97:98], v[101:102], v[99:100]
	v_div_scale_f64 v[99:100], s[6:7], v[97:98], v[97:98], 1.0
	v_div_scale_f64 v[107:108], vcc, 1.0, v[97:98], 1.0
	v_rcp_f64_e32 v[103:104], v[99:100]
	v_fma_f64 v[105:106], -v[99:100], v[103:104], 1.0
	v_fma_f64 v[103:104], v[103:104], v[105:106], v[103:104]
	v_fma_f64 v[105:106], -v[99:100], v[103:104], 1.0
	v_fma_f64 v[103:104], v[103:104], v[105:106], v[103:104]
	v_mul_f64 v[105:106], v[107:108], v[103:104]
	v_fma_f64 v[99:100], -v[99:100], v[105:106], v[107:108]
	v_div_fmas_f64 v[99:100], v[99:100], v[103:104], v[105:106]
	v_div_fixup_f64 v[103:104], v[99:100], v[97:98], 1.0
                                        ; implicit-def: $vgpr97_vgpr98
	v_mul_f64 v[101:102], v[101:102], v[103:104]
	v_xor_b32_e32 v104, 0x80000000, v104
.LBB79_329:
	s_andn2_saveexec_b64 s[2:3], s[2:3]
	s_cbranch_execz .LBB79_331
; %bb.330:
	v_div_scale_f64 v[101:102], s[6:7], v[97:98], v[97:98], v[99:100]
	v_rcp_f64_e32 v[103:104], v[101:102]
	v_fma_f64 v[105:106], -v[101:102], v[103:104], 1.0
	v_fma_f64 v[103:104], v[103:104], v[105:106], v[103:104]
	v_div_scale_f64 v[105:106], vcc, v[99:100], v[97:98], v[99:100]
	v_fma_f64 v[107:108], -v[101:102], v[103:104], 1.0
	v_fma_f64 v[103:104], v[103:104], v[107:108], v[103:104]
	v_mul_f64 v[107:108], v[105:106], v[103:104]
	v_fma_f64 v[101:102], -v[101:102], v[107:108], v[105:106]
	v_div_fmas_f64 v[101:102], v[101:102], v[103:104], v[107:108]
	v_div_fixup_f64 v[103:104], v[101:102], v[97:98], v[99:100]
	v_fma_f64 v[97:98], v[99:100], v[103:104], v[97:98]
	v_div_scale_f64 v[99:100], s[6:7], v[97:98], v[97:98], 1.0
	v_div_scale_f64 v[107:108], vcc, 1.0, v[97:98], 1.0
	v_rcp_f64_e32 v[101:102], v[99:100]
	v_fma_f64 v[105:106], -v[99:100], v[101:102], 1.0
	v_fma_f64 v[101:102], v[101:102], v[105:106], v[101:102]
	v_fma_f64 v[105:106], -v[99:100], v[101:102], 1.0
	v_fma_f64 v[101:102], v[101:102], v[105:106], v[101:102]
	v_mul_f64 v[105:106], v[107:108], v[101:102]
	v_fma_f64 v[99:100], -v[99:100], v[105:106], v[107:108]
	v_div_fmas_f64 v[99:100], v[99:100], v[101:102], v[105:106]
	v_div_fixup_f64 v[101:102], v[99:100], v[97:98], 1.0
	v_mul_f64 v[103:104], v[103:104], -v[101:102]
.LBB79_331:
	s_or_b64 exec, exec, s[2:3]
	ds_write2_b64 v127, v[101:102], v[103:104] offset1:1
.LBB79_332:
	s_or_b64 exec, exec, s[4:5]
	s_waitcnt lgkmcnt(0)
	s_barrier
	ds_read2_b64 v[41:44], v127 offset1:1
	s_waitcnt lgkmcnt(0)
	buffer_store_dword v41, off, s[20:23], 0 offset:1172 ; 4-byte Folded Spill
	s_nop 0
	buffer_store_dword v42, off, s[20:23], 0 offset:1176 ; 4-byte Folded Spill
	buffer_store_dword v43, off, s[20:23], 0 offset:1180 ; 4-byte Folded Spill
	;; [unrolled: 1-line block ×3, first 2 shown]
	buffer_load_dword v41, off, s[20:23], 0 ; 4-byte Folded Reload
	s_waitcnt vmcnt(0)
	v_cmp_lt_u32_e32 vcc, 36, v41
	s_and_saveexec_b64 s[2:3], vcc
	s_cbranch_execz .LBB79_334
; %bb.333:
	buffer_load_dword v103, off, s[20:23], 0 offset:1172 ; 4-byte Folded Reload
	buffer_load_dword v104, off, s[20:23], 0 offset:1176 ; 4-byte Folded Reload
	buffer_load_dword v105, off, s[20:23], 0 offset:1180 ; 4-byte Folded Reload
	buffer_load_dword v106, off, s[20:23], 0 offset:1184 ; 4-byte Folded Reload
	v_mov_b32_e32 v41, v81
	v_mov_b32_e32 v42, v82
	;; [unrolled: 1-line block ×4, first 2 shown]
	s_waitcnt vmcnt(2)
	v_mul_f64 v[97:98], v[103:104], v[83:84]
	s_waitcnt vmcnt(0)
	v_fma_f64 v[101:102], v[105:106], v[81:82], v[97:98]
	v_mov_b32_e32 v84, v12
	v_mov_b32_e32 v83, v11
	;; [unrolled: 1-line block ×7, first 2 shown]
	v_mul_f64 v[11:12], v[105:106], v[11:12]
	ds_read2_b64 v[97:100], v0 offset0:74 offset1:75
	v_mov_b32_e32 v10, v42
	v_fma_f64 v[9:10], v[103:104], v[9:10], -v[11:12]
	s_waitcnt lgkmcnt(0)
	v_mul_f64 v[11:12], v[99:100], v[101:102]
	v_mov_b32_e32 v42, v10
	v_fma_f64 v[11:12], v[97:98], v[9:10], -v[11:12]
	v_mul_f64 v[97:98], v[97:98], v[101:102]
	v_mov_b32_e32 v41, v9
	v_add_f64 v[85:86], v[85:86], -v[11:12]
	v_fma_f64 v[97:98], v[99:100], v[9:10], v[97:98]
	v_add_f64 v[87:88], v[87:88], -v[97:98]
	ds_read2_b64 v[97:100], v0 offset0:76 offset1:77
	s_waitcnt lgkmcnt(0)
	v_mul_f64 v[11:12], v[99:100], v[101:102]
	v_fma_f64 v[11:12], v[97:98], v[9:10], -v[11:12]
	v_mul_f64 v[97:98], v[97:98], v[101:102]
	v_add_f64 v[1:2], v[1:2], -v[11:12]
	v_fma_f64 v[97:98], v[99:100], v[9:10], v[97:98]
	v_add_f64 v[3:4], v[3:4], -v[97:98]
	ds_read2_b64 v[97:100], v0 offset0:78 offset1:79
	s_waitcnt lgkmcnt(0)
	v_mul_f64 v[11:12], v[99:100], v[101:102]
	v_fma_f64 v[11:12], v[97:98], v[9:10], -v[11:12]
	v_mul_f64 v[97:98], v[97:98], v[101:102]
	v_add_f64 v[45:46], v[45:46], -v[11:12]
	v_fma_f64 v[97:98], v[99:100], v[9:10], v[97:98]
	v_mov_b32_e32 v9, v81
	v_mov_b32_e32 v10, v82
	;; [unrolled: 1-line block ×7, first 2 shown]
	v_add_f64 v[47:48], v[47:48], -v[97:98]
	v_mov_b32_e32 v84, v102
.LBB79_334:
	s_or_b64 exec, exec, s[2:3]
	s_barrier
	buffer_load_dword v41, off, s[20:23], 0 ; 4-byte Folded Reload
	s_waitcnt vmcnt(0)
	v_cmp_eq_u32_e32 vcc, 37, v41
	s_and_saveexec_b64 s[4:5], vcc
	s_cbranch_execz .LBB79_341
; %bb.335:
	ds_write2_b64 v127, v[85:86], v[87:88] offset1:1
	ds_write2_b64 v0, v[1:2], v[3:4] offset0:76 offset1:77
	ds_write2_b64 v0, v[45:46], v[47:48] offset0:78 offset1:79
	ds_read2_b64 v[97:100], v127 offset1:1
	s_waitcnt lgkmcnt(0)
	v_cmp_neq_f64_e32 vcc, 0, v[97:98]
	v_cmp_neq_f64_e64 s[2:3], 0, v[99:100]
	s_or_b64 s[2:3], vcc, s[2:3]
	s_and_b64 exec, exec, s[2:3]
	s_cbranch_execz .LBB79_341
; %bb.336:
	v_cmp_ngt_f64_e64 s[2:3], |v[97:98]|, |v[99:100]|
                                        ; implicit-def: $vgpr101_vgpr102
	s_and_saveexec_b64 s[6:7], s[2:3]
	s_xor_b64 s[2:3], exec, s[6:7]
                                        ; implicit-def: $vgpr103_vgpr104
	s_cbranch_execz .LBB79_338
; %bb.337:
	v_div_scale_f64 v[101:102], s[6:7], v[99:100], v[99:100], v[97:98]
	v_rcp_f64_e32 v[103:104], v[101:102]
	v_fma_f64 v[105:106], -v[101:102], v[103:104], 1.0
	v_fma_f64 v[103:104], v[103:104], v[105:106], v[103:104]
	v_div_scale_f64 v[105:106], vcc, v[97:98], v[99:100], v[97:98]
	v_fma_f64 v[107:108], -v[101:102], v[103:104], 1.0
	v_fma_f64 v[103:104], v[103:104], v[107:108], v[103:104]
	v_mul_f64 v[107:108], v[105:106], v[103:104]
	v_fma_f64 v[101:102], -v[101:102], v[107:108], v[105:106]
	v_div_fmas_f64 v[101:102], v[101:102], v[103:104], v[107:108]
	v_div_fixup_f64 v[101:102], v[101:102], v[99:100], v[97:98]
	v_fma_f64 v[97:98], v[97:98], v[101:102], v[99:100]
	v_div_scale_f64 v[99:100], s[6:7], v[97:98], v[97:98], 1.0
	v_div_scale_f64 v[107:108], vcc, 1.0, v[97:98], 1.0
	v_rcp_f64_e32 v[103:104], v[99:100]
	v_fma_f64 v[105:106], -v[99:100], v[103:104], 1.0
	v_fma_f64 v[103:104], v[103:104], v[105:106], v[103:104]
	v_fma_f64 v[105:106], -v[99:100], v[103:104], 1.0
	v_fma_f64 v[103:104], v[103:104], v[105:106], v[103:104]
	v_mul_f64 v[105:106], v[107:108], v[103:104]
	v_fma_f64 v[99:100], -v[99:100], v[105:106], v[107:108]
	v_div_fmas_f64 v[99:100], v[99:100], v[103:104], v[105:106]
	v_div_fixup_f64 v[103:104], v[99:100], v[97:98], 1.0
                                        ; implicit-def: $vgpr97_vgpr98
	v_mul_f64 v[101:102], v[101:102], v[103:104]
	v_xor_b32_e32 v104, 0x80000000, v104
.LBB79_338:
	s_andn2_saveexec_b64 s[2:3], s[2:3]
	s_cbranch_execz .LBB79_340
; %bb.339:
	v_div_scale_f64 v[101:102], s[6:7], v[97:98], v[97:98], v[99:100]
	v_rcp_f64_e32 v[103:104], v[101:102]
	v_fma_f64 v[105:106], -v[101:102], v[103:104], 1.0
	v_fma_f64 v[103:104], v[103:104], v[105:106], v[103:104]
	v_div_scale_f64 v[105:106], vcc, v[99:100], v[97:98], v[99:100]
	v_fma_f64 v[107:108], -v[101:102], v[103:104], 1.0
	v_fma_f64 v[103:104], v[103:104], v[107:108], v[103:104]
	v_mul_f64 v[107:108], v[105:106], v[103:104]
	v_fma_f64 v[101:102], -v[101:102], v[107:108], v[105:106]
	v_div_fmas_f64 v[101:102], v[101:102], v[103:104], v[107:108]
	v_div_fixup_f64 v[103:104], v[101:102], v[97:98], v[99:100]
	v_fma_f64 v[97:98], v[99:100], v[103:104], v[97:98]
	v_div_scale_f64 v[99:100], s[6:7], v[97:98], v[97:98], 1.0
	v_div_scale_f64 v[107:108], vcc, 1.0, v[97:98], 1.0
	v_rcp_f64_e32 v[101:102], v[99:100]
	v_fma_f64 v[105:106], -v[99:100], v[101:102], 1.0
	v_fma_f64 v[101:102], v[101:102], v[105:106], v[101:102]
	v_fma_f64 v[105:106], -v[99:100], v[101:102], 1.0
	v_fma_f64 v[101:102], v[101:102], v[105:106], v[101:102]
	v_mul_f64 v[105:106], v[107:108], v[101:102]
	v_fma_f64 v[99:100], -v[99:100], v[105:106], v[107:108]
	v_div_fmas_f64 v[99:100], v[99:100], v[101:102], v[105:106]
	v_div_fixup_f64 v[101:102], v[99:100], v[97:98], 1.0
	v_mul_f64 v[103:104], v[103:104], -v[101:102]
.LBB79_340:
	s_or_b64 exec, exec, s[2:3]
	ds_write2_b64 v127, v[101:102], v[103:104] offset1:1
.LBB79_341:
	s_or_b64 exec, exec, s[4:5]
	s_waitcnt lgkmcnt(0)
	s_barrier
	buffer_load_dword v41, off, s[20:23], 0 ; 4-byte Folded Reload
	ds_read2_b64 v[101:104], v127 offset1:1
	s_waitcnt vmcnt(0)
	v_cmp_lt_u32_e32 vcc, 37, v41
	s_and_saveexec_b64 s[2:3], vcc
	s_cbranch_execz .LBB79_343
; %bb.342:
	s_waitcnt lgkmcnt(0)
	v_mul_f64 v[97:98], v[101:102], v[87:88]
	v_mov_b32_e32 v41, v81
	v_mov_b32_e32 v42, v82
	;; [unrolled: 1-line block ×11, first 2 shown]
	v_fma_f64 v[105:106], v[103:104], v[85:86], v[97:98]
	v_mul_f64 v[7:8], v[103:104], v[7:8]
	ds_read2_b64 v[97:100], v0 offset0:76 offset1:77
	v_mov_b32_e32 v6, v86
	v_mov_b32_e32 v87, v105
	v_fma_f64 v[5:6], v[101:102], v[5:6], -v[7:8]
	s_waitcnt lgkmcnt(0)
	v_mul_f64 v[7:8], v[99:100], v[105:106]
	v_mov_b32_e32 v88, v106
	v_mov_b32_e32 v86, v6
	v_fma_f64 v[7:8], v[97:98], v[5:6], -v[7:8]
	v_mul_f64 v[97:98], v[97:98], v[105:106]
	v_mov_b32_e32 v85, v5
	v_add_f64 v[1:2], v[1:2], -v[7:8]
	v_fma_f64 v[97:98], v[99:100], v[5:6], v[97:98]
	v_add_f64 v[3:4], v[3:4], -v[97:98]
	ds_read2_b64 v[97:100], v0 offset0:78 offset1:79
	s_waitcnt lgkmcnt(0)
	v_mul_f64 v[7:8], v[99:100], v[105:106]
	v_fma_f64 v[7:8], v[97:98], v[5:6], -v[7:8]
	v_mul_f64 v[97:98], v[97:98], v[105:106]
	v_add_f64 v[45:46], v[45:46], -v[7:8]
	v_fma_f64 v[97:98], v[99:100], v[5:6], v[97:98]
	v_mov_b32_e32 v5, v81
	v_mov_b32_e32 v6, v82
	;; [unrolled: 1-line block ×7, first 2 shown]
	v_add_f64 v[47:48], v[47:48], -v[97:98]
	v_mov_b32_e32 v81, v41
.LBB79_343:
	s_or_b64 exec, exec, s[2:3]
	s_waitcnt lgkmcnt(0)
	s_barrier
	buffer_load_dword v41, off, s[20:23], 0 ; 4-byte Folded Reload
	s_waitcnt vmcnt(0)
	v_cmp_eq_u32_e32 vcc, 38, v41
	s_and_saveexec_b64 s[4:5], vcc
	s_cbranch_execz .LBB79_350
; %bb.344:
	ds_write2_b64 v127, v[1:2], v[3:4] offset1:1
	ds_write2_b64 v0, v[45:46], v[47:48] offset0:78 offset1:79
	ds_read2_b64 v[97:100], v127 offset1:1
	s_waitcnt lgkmcnt(0)
	v_cmp_neq_f64_e32 vcc, 0, v[97:98]
	v_cmp_neq_f64_e64 s[2:3], 0, v[99:100]
	s_or_b64 s[2:3], vcc, s[2:3]
	s_and_b64 exec, exec, s[2:3]
	s_cbranch_execz .LBB79_350
; %bb.345:
	v_cmp_ngt_f64_e64 s[2:3], |v[97:98]|, |v[99:100]|
                                        ; implicit-def: $vgpr105_vgpr106
	s_and_saveexec_b64 s[6:7], s[2:3]
	s_xor_b64 s[2:3], exec, s[6:7]
                                        ; implicit-def: $vgpr107_vgpr108
	s_cbranch_execz .LBB79_347
; %bb.346:
	v_div_scale_f64 v[105:106], s[6:7], v[99:100], v[99:100], v[97:98]
	v_mov_b32_e32 v41, v81
	v_mov_b32_e32 v42, v82
	v_mov_b32_e32 v43, v83
	v_mov_b32_e32 v44, v84
	v_mov_b32_e32 v81, v93
	v_mov_b32_e32 v82, v94
	v_mov_b32_e32 v83, v95
	v_mov_b32_e32 v84, v96
	v_div_scale_f64 v[95:96], vcc, v[97:98], v[99:100], v[97:98]
	v_rcp_f64_e32 v[107:108], v[105:106]
	v_fma_f64 v[93:94], -v[105:106], v[107:108], 1.0
	v_fma_f64 v[93:94], v[107:108], v[93:94], v[107:108]
	v_fma_f64 v[107:108], -v[105:106], v[93:94], 1.0
	v_fma_f64 v[93:94], v[93:94], v[107:108], v[93:94]
	v_mul_f64 v[107:108], v[95:96], v[93:94]
	v_fma_f64 v[95:96], -v[105:106], v[107:108], v[95:96]
	v_div_fmas_f64 v[93:94], v[95:96], v[93:94], v[107:108]
	v_div_fixup_f64 v[93:94], v[93:94], v[99:100], v[97:98]
	v_fma_f64 v[95:96], v[97:98], v[93:94], v[99:100]
	v_div_scale_f64 v[97:98], s[6:7], v[95:96], v[95:96], 1.0
	v_div_scale_f64 v[107:108], vcc, 1.0, v[95:96], 1.0
	v_rcp_f64_e32 v[99:100], v[97:98]
	v_fma_f64 v[105:106], -v[97:98], v[99:100], 1.0
	v_fma_f64 v[99:100], v[99:100], v[105:106], v[99:100]
	v_fma_f64 v[105:106], -v[97:98], v[99:100], 1.0
	v_fma_f64 v[99:100], v[99:100], v[105:106], v[99:100]
	v_mul_f64 v[105:106], v[107:108], v[99:100]
	v_fma_f64 v[97:98], -v[97:98], v[105:106], v[107:108]
	v_div_fmas_f64 v[97:98], v[97:98], v[99:100], v[105:106]
	v_div_fixup_f64 v[107:108], v[97:98], v[95:96], 1.0
                                        ; implicit-def: $vgpr97_vgpr98
	v_mul_f64 v[105:106], v[93:94], v[107:108]
	v_mov_b32_e32 v96, v84
	v_mov_b32_e32 v95, v83
	;; [unrolled: 1-line block ×8, first 2 shown]
	v_xor_b32_e32 v108, 0x80000000, v108
.LBB79_347:
	s_andn2_saveexec_b64 s[2:3], s[2:3]
	s_cbranch_execz .LBB79_349
; %bb.348:
	v_mov_b32_e32 v41, v81
	v_mov_b32_e32 v42, v82
	;; [unrolled: 1-line block ×8, first 2 shown]
	v_div_scale_f64 v[93:94], s[6:7], v[97:98], v[97:98], v[99:100]
	v_rcp_f64_e32 v[95:96], v[93:94]
	v_fma_f64 v[105:106], -v[93:94], v[95:96], 1.0
	v_fma_f64 v[95:96], v[95:96], v[105:106], v[95:96]
	v_div_scale_f64 v[105:106], vcc, v[99:100], v[97:98], v[99:100]
	v_fma_f64 v[107:108], -v[93:94], v[95:96], 1.0
	v_fma_f64 v[95:96], v[95:96], v[107:108], v[95:96]
	v_mul_f64 v[107:108], v[105:106], v[95:96]
	v_fma_f64 v[93:94], -v[93:94], v[107:108], v[105:106]
	v_div_fmas_f64 v[93:94], v[93:94], v[95:96], v[107:108]
	v_div_fixup_f64 v[93:94], v[93:94], v[97:98], v[99:100]
	v_fma_f64 v[95:96], v[99:100], v[93:94], v[97:98]
	v_div_scale_f64 v[97:98], s[6:7], v[95:96], v[95:96], 1.0
	v_div_scale_f64 v[107:108], vcc, 1.0, v[95:96], 1.0
	v_rcp_f64_e32 v[99:100], v[97:98]
	v_fma_f64 v[105:106], -v[97:98], v[99:100], 1.0
	v_fma_f64 v[99:100], v[99:100], v[105:106], v[99:100]
	v_fma_f64 v[105:106], -v[97:98], v[99:100], 1.0
	v_fma_f64 v[99:100], v[99:100], v[105:106], v[99:100]
	v_mul_f64 v[105:106], v[107:108], v[99:100]
	v_fma_f64 v[97:98], -v[97:98], v[105:106], v[107:108]
	v_div_fmas_f64 v[97:98], v[97:98], v[99:100], v[105:106]
	v_div_fixup_f64 v[105:106], v[97:98], v[95:96], 1.0
	v_mul_f64 v[107:108], v[93:94], -v[105:106]
	v_mov_b32_e32 v96, v84
	v_mov_b32_e32 v95, v83
	;; [unrolled: 1-line block ×8, first 2 shown]
.LBB79_349:
	s_or_b64 exec, exec, s[2:3]
	ds_write2_b64 v127, v[105:106], v[107:108] offset1:1
.LBB79_350:
	s_or_b64 exec, exec, s[4:5]
	s_waitcnt lgkmcnt(0)
	s_barrier
	buffer_load_dword v41, off, s[20:23], 0 ; 4-byte Folded Reload
	ds_read2_b64 v[97:100], v127 offset1:1
	s_waitcnt vmcnt(0)
	v_cmp_lt_u32_e32 vcc, 38, v41
	s_and_saveexec_b64 s[2:3], vcc
	s_cbranch_execz .LBB79_352
; %bb.351:
	v_mov_b32_e32 v41, v81
	v_mov_b32_e32 v42, v82
	;; [unrolled: 1-line block ×8, first 2 shown]
	s_waitcnt lgkmcnt(0)
	v_mul_f64 v[93:94], v[97:98], v[3:4]
	v_mul_f64 v[3:4], v[99:100], v[3:4]
	ds_read2_b64 v[105:108], v0 offset0:78 offset1:79
	v_fma_f64 v[93:94], v[99:100], v[1:2], v[93:94]
	v_fma_f64 v[1:2], v[97:98], v[1:2], -v[3:4]
	s_waitcnt lgkmcnt(0)
	v_mul_f64 v[3:4], v[107:108], v[93:94]
	v_mul_f64 v[95:96], v[105:106], v[93:94]
	v_fma_f64 v[3:4], v[105:106], v[1:2], -v[3:4]
	v_fma_f64 v[95:96], v[107:108], v[1:2], v[95:96]
	v_add_f64 v[45:46], v[45:46], -v[3:4]
	v_add_f64 v[47:48], v[47:48], -v[95:96]
	v_mov_b32_e32 v3, v93
	v_mov_b32_e32 v4, v94
	;; [unrolled: 1-line block ×10, first 2 shown]
.LBB79_352:
	s_or_b64 exec, exec, s[2:3]
	s_waitcnt lgkmcnt(0)
	s_barrier
	buffer_load_dword v0, off, s[20:23], 0  ; 4-byte Folded Reload
	s_waitcnt vmcnt(0)
	v_cmp_eq_u32_e32 vcc, 39, v0
	s_mov_b64 s[4:5], exec
	s_and_b64 s[2:3], s[4:5], vcc
	buffer_store_dword v81, off, s[20:23], 0 offset:164 ; 4-byte Folded Spill
	s_nop 0
	buffer_store_dword v82, off, s[20:23], 0 offset:168 ; 4-byte Folded Spill
	buffer_store_dword v83, off, s[20:23], 0 offset:172 ; 4-byte Folded Spill
	buffer_store_dword v84, off, s[20:23], 0 offset:176 ; 4-byte Folded Spill
	buffer_store_dword v85, off, s[20:23], 0 offset:148 ; 4-byte Folded Spill
	s_nop 0
	buffer_store_dword v86, off, s[20:23], 0 offset:152 ; 4-byte Folded Spill
	buffer_store_dword v87, off, s[20:23], 0 offset:156 ; 4-byte Folded Spill
	buffer_store_dword v88, off, s[20:23], 0 offset:160 ; 4-byte Folded Spill
	buffer_store_dword v1, off, s[20:23], 0 offset:260 ; 4-byte Folded Spill
	s_nop 0
	buffer_store_dword v2, off, s[20:23], 0 offset:264 ; 4-byte Folded Spill
	buffer_store_dword v3, off, s[20:23], 0 offset:268 ; 4-byte Folded Spill
	buffer_store_dword v4, off, s[20:23], 0 offset:272 ; 4-byte Folded Spill
	s_mov_b64 exec, s[2:3]
	s_cbranch_execz .LBB79_359
; %bb.353:
	v_cmp_neq_f64_e32 vcc, 0, v[45:46]
	v_cmp_neq_f64_e64 s[2:3], 0, v[47:48]
	ds_write2_b64 v127, v[45:46], v[47:48] offset1:1
	s_or_b64 s[2:3], vcc, s[2:3]
	s_and_b64 exec, exec, s[2:3]
	s_cbranch_execz .LBB79_359
; %bb.354:
	v_cmp_ngt_f64_e64 s[2:3], |v[45:46]|, |v[47:48]|
                                        ; implicit-def: $vgpr105_vgpr106
	s_and_saveexec_b64 s[6:7], s[2:3]
	s_xor_b64 s[2:3], exec, s[6:7]
                                        ; implicit-def: $vgpr107_vgpr108
	s_cbranch_execz .LBB79_356
; %bb.355:
	v_mov_b32_e32 v41, v45
	v_mov_b32_e32 v42, v46
	;; [unrolled: 1-line block ×44, first 2 shown]
	v_div_scale_f64 v[93:94], s[6:7], v[43:44], v[43:44], v[41:42]
	buffer_store_dword v121, off, s[20:23], 0 offset:1196 ; 4-byte Folded Spill
	s_nop 0
	buffer_store_dword v122, off, s[20:23], 0 offset:1200 ; 4-byte Folded Spill
	buffer_store_dword v123, off, s[20:23], 0 offset:1204 ; 4-byte Folded Spill
	buffer_store_dword v124, off, s[20:23], 0 offset:1208 ; 4-byte Folded Spill
	buffer_store_dword v109, off, s[20:23], 0 offset:1244 ; 4-byte Folded Spill
	s_nop 0
	buffer_store_dword v110, off, s[20:23], 0 offset:1248 ; 4-byte Folded Spill
	buffer_store_dword v111, off, s[20:23], 0 offset:1252 ; 4-byte Folded Spill
	buffer_store_dword v112, off, s[20:23], 0 offset:1256 ; 4-byte Folded Spill
	;; [unrolled: 5-line block ×4, first 2 shown]
	v_rcp_f64_e32 v[95:96], v[93:94]
	v_fma_f64 v[105:106], -v[93:94], v[95:96], 1.0
	v_fma_f64 v[95:96], v[95:96], v[105:106], v[95:96]
	v_div_scale_f64 v[105:106], vcc, v[41:42], v[43:44], v[41:42]
	v_fma_f64 v[107:108], -v[93:94], v[95:96], 1.0
	v_fma_f64 v[95:96], v[95:96], v[107:108], v[95:96]
	v_mul_f64 v[107:108], v[105:106], v[95:96]
	v_fma_f64 v[93:94], -v[93:94], v[107:108], v[105:106]
	v_div_fmas_f64 v[93:94], v[93:94], v[95:96], v[107:108]
	v_div_fixup_f64 v[93:94], v[93:94], v[43:44], v[41:42]
	v_fma_f64 v[95:96], v[41:42], v[93:94], v[43:44]
	v_div_scale_f64 v[105:106], s[6:7], v[95:96], v[95:96], 1.0
	v_div_scale_f64 v[89:90], vcc, 1.0, v[95:96], 1.0
	v_rcp_f64_e32 v[107:108], v[105:106]
	v_fma_f64 v[125:126], -v[105:106], v[107:108], 1.0
	v_fma_f64 v[107:108], v[107:108], v[125:126], v[107:108]
	v_fma_f64 v[125:126], -v[105:106], v[107:108], 1.0
	v_fma_f64 v[91:92], v[107:108], v[125:126], v[107:108]
	v_mul_f64 v[107:108], v[89:90], v[91:92]
	v_fma_f64 v[89:90], -v[105:106], v[107:108], v[89:90]
	v_div_fmas_f64 v[89:90], v[89:90], v[91:92], v[107:108]
	v_div_fixup_f64 v[107:108], v[89:90], v[95:96], 1.0
	buffer_load_dword v89, off, s[20:23], 0 offset:244 ; 4-byte Folded Reload
	buffer_load_dword v90, off, s[20:23], 0 offset:248 ; 4-byte Folded Reload
	;; [unrolled: 1-line block ×32, first 2 shown]
	v_mul_f64 v[105:106], v[93:94], v[107:108]
	v_mov_b32_e32 v93, v113
	v_mov_b32_e32 v94, v114
	;; [unrolled: 1-line block ×44, first 2 shown]
	v_xor_b32_e32 v108, 0x80000000, v108
.LBB79_356:
	s_andn2_saveexec_b64 s[2:3], s[2:3]
	s_cbranch_execz .LBB79_358
; %bb.357:
	s_waitcnt vmcnt(30)
	v_div_scale_f64 v[89:90], s[6:7], v[45:46], v[45:46], v[47:48]
	s_waitcnt vmcnt(20)
	v_mov_b32_e32 v81, v93
	v_mov_b32_e32 v82, v94
	;; [unrolled: 1-line block ×4, first 2 shown]
	v_rcp_f64_e32 v[91:92], v[89:90]
	v_fma_f64 v[93:94], -v[89:90], v[91:92], 1.0
	v_fma_f64 v[91:92], v[91:92], v[93:94], v[91:92]
	v_div_scale_f64 v[93:94], vcc, v[47:48], v[45:46], v[47:48]
	v_fma_f64 v[95:96], -v[89:90], v[91:92], 1.0
	v_fma_f64 v[91:92], v[91:92], v[95:96], v[91:92]
	v_mul_f64 v[95:96], v[93:94], v[91:92]
	v_fma_f64 v[89:90], -v[89:90], v[95:96], v[93:94]
	v_div_fmas_f64 v[89:90], v[89:90], v[91:92], v[95:96]
	v_div_fixup_f64 v[89:90], v[89:90], v[45:46], v[47:48]
	v_fma_f64 v[91:92], v[47:48], v[89:90], v[45:46]
	v_div_scale_f64 v[93:94], s[6:7], v[91:92], v[91:92], 1.0
	v_div_scale_f64 v[107:108], vcc, 1.0, v[91:92], 1.0
	v_rcp_f64_e32 v[95:96], v[93:94]
	v_fma_f64 v[105:106], -v[93:94], v[95:96], 1.0
	v_fma_f64 v[95:96], v[95:96], v[105:106], v[95:96]
	v_fma_f64 v[105:106], -v[93:94], v[95:96], 1.0
	v_fma_f64 v[95:96], v[95:96], v[105:106], v[95:96]
	v_mul_f64 v[105:106], v[107:108], v[95:96]
	v_fma_f64 v[93:94], -v[93:94], v[105:106], v[107:108]
	v_div_fmas_f64 v[93:94], v[93:94], v[95:96], v[105:106]
	v_div_fixup_f64 v[105:106], v[93:94], v[91:92], 1.0
	v_mov_b32_e32 v96, v84
	v_mov_b32_e32 v95, v83
	;; [unrolled: 1-line block ×4, first 2 shown]
	v_mul_f64 v[107:108], v[89:90], -v[105:106]
	buffer_load_dword v89, off, s[20:23], 0 offset:244 ; 4-byte Folded Reload
	buffer_load_dword v90, off, s[20:23], 0 offset:248 ; 4-byte Folded Reload
	buffer_load_dword v91, off, s[20:23], 0 offset:252 ; 4-byte Folded Reload
	buffer_load_dword v92, off, s[20:23], 0 offset:256 ; 4-byte Folded Reload
.LBB79_358:
	s_or_b64 exec, exec, s[2:3]
	ds_write2_b64 v127, v[105:106], v[107:108] offset1:1
.LBB79_359:
	s_or_b64 exec, exec, s[4:5]
	s_waitcnt vmcnt(0) lgkmcnt(0)
	s_barrier
	ds_read2_b64 v[105:108], v127 offset1:1
	s_waitcnt lgkmcnt(0)
	s_barrier
	s_and_saveexec_b64 s[2:3], s[0:1]
	s_cbranch_execz .LBB79_362
; %bb.360:
	buffer_load_dword v0, off, s[20:23], 0 offset:612 ; 4-byte Folded Reload
	buffer_load_dword v1, off, s[20:23], 0 offset:616 ; 4-byte Folded Reload
	;; [unrolled: 1-line block ×4, first 2 shown]
	s_waitcnt vmcnt(2)
	v_cmp_eq_f64_e32 vcc, 0, v[0:1]
	s_waitcnt vmcnt(0)
	v_cmp_eq_f64_e64 s[0:1], 0, v[2:3]
	buffer_load_dword v0, off, s[20:23], 0 offset:628 ; 4-byte Folded Reload
	buffer_load_dword v1, off, s[20:23], 0 offset:632 ; 4-byte Folded Reload
	;; [unrolled: 1-line block ×4, first 2 shown]
	s_and_b64 s[4:5], vcc, s[0:1]
	v_cndmask_b32_e64 v89, 0, 1, s[4:5]
	s_waitcnt vmcnt(2)
	v_cmp_neq_f64_e32 vcc, 0, v[0:1]
	s_waitcnt vmcnt(0)
	v_cmp_neq_f64_e64 s[0:1], 0, v[2:3]
	buffer_load_dword v0, off, s[20:23], 0 offset:644 ; 4-byte Folded Reload
	buffer_load_dword v1, off, s[20:23], 0 offset:648 ; 4-byte Folded Reload
	;; [unrolled: 1-line block ×4, first 2 shown]
	s_or_b64 s[0:1], vcc, s[0:1]
	s_or_b64 vcc, s[0:1], s[4:5]
	v_cndmask_b32_e32 v89, 2, v89, vcc
	s_waitcnt vmcnt(2)
	v_cmp_eq_f64_e32 vcc, 0, v[0:1]
	s_waitcnt vmcnt(0)
	v_cmp_eq_f64_e64 s[0:1], 0, v[2:3]
	buffer_load_dword v0, off, s[20:23], 0 offset:660 ; 4-byte Folded Reload
	buffer_load_dword v1, off, s[20:23], 0 offset:664 ; 4-byte Folded Reload
	buffer_load_dword v2, off, s[20:23], 0 offset:668 ; 4-byte Folded Reload
	buffer_load_dword v3, off, s[20:23], 0 offset:672 ; 4-byte Folded Reload
	s_and_b64 s[0:1], vcc, s[0:1]
	v_cmp_eq_u32_e32 vcc, 0, v89
	s_and_b64 s[0:1], s[0:1], vcc
	v_cndmask_b32_e64 v89, v89, 3, s[0:1]
	s_waitcnt vmcnt(2)
	v_cmp_eq_f64_e32 vcc, 0, v[0:1]
	s_waitcnt vmcnt(0)
	v_cmp_eq_f64_e64 s[0:1], 0, v[2:3]
	buffer_load_dword v0, off, s[20:23], 0 offset:676 ; 4-byte Folded Reload
	buffer_load_dword v1, off, s[20:23], 0 offset:680 ; 4-byte Folded Reload
	buffer_load_dword v2, off, s[20:23], 0 offset:684 ; 4-byte Folded Reload
	buffer_load_dword v3, off, s[20:23], 0 offset:688 ; 4-byte Folded Reload
	s_and_b64 s[0:1], vcc, s[0:1]
	v_cmp_eq_u32_e32 vcc, 0, v89
	s_and_b64 s[0:1], s[0:1], vcc
	v_cndmask_b32_e64 v89, v89, 4, s[0:1]
	s_waitcnt vmcnt(2)
	v_cmp_eq_f64_e32 vcc, 0, v[0:1]
	s_waitcnt vmcnt(0)
	v_cmp_eq_f64_e64 s[0:1], 0, v[2:3]
	buffer_load_dword v0, off, s[20:23], 0 offset:692 ; 4-byte Folded Reload
	buffer_load_dword v1, off, s[20:23], 0 offset:696 ; 4-byte Folded Reload
	buffer_load_dword v2, off, s[20:23], 0 offset:700 ; 4-byte Folded Reload
	buffer_load_dword v3, off, s[20:23], 0 offset:704 ; 4-byte Folded Reload
	s_and_b64 s[0:1], vcc, s[0:1]
	v_cmp_eq_u32_e32 vcc, 0, v89
	s_and_b64 s[0:1], s[0:1], vcc
	v_cndmask_b32_e64 v89, v89, 5, s[0:1]
	s_waitcnt vmcnt(2)
	v_cmp_eq_f64_e32 vcc, 0, v[0:1]
	s_waitcnt vmcnt(0)
	v_cmp_eq_f64_e64 s[0:1], 0, v[2:3]
	buffer_load_dword v0, off, s[20:23], 0 offset:708 ; 4-byte Folded Reload
	buffer_load_dword v1, off, s[20:23], 0 offset:712 ; 4-byte Folded Reload
	buffer_load_dword v2, off, s[20:23], 0 offset:716 ; 4-byte Folded Reload
	buffer_load_dword v3, off, s[20:23], 0 offset:720 ; 4-byte Folded Reload
	s_and_b64 s[0:1], vcc, s[0:1]
	v_cmp_eq_u32_e32 vcc, 0, v89
	s_and_b64 s[0:1], s[0:1], vcc
	v_cndmask_b32_e64 v89, v89, 6, s[0:1]
	s_waitcnt vmcnt(2)
	v_cmp_eq_f64_e32 vcc, 0, v[0:1]
	s_waitcnt vmcnt(0)
	v_cmp_eq_f64_e64 s[0:1], 0, v[2:3]
	buffer_load_dword v0, off, s[20:23], 0 offset:724 ; 4-byte Folded Reload
	buffer_load_dword v1, off, s[20:23], 0 offset:728 ; 4-byte Folded Reload
	buffer_load_dword v2, off, s[20:23], 0 offset:732 ; 4-byte Folded Reload
	buffer_load_dword v3, off, s[20:23], 0 offset:736 ; 4-byte Folded Reload
	s_and_b64 s[0:1], vcc, s[0:1]
	v_cmp_eq_u32_e32 vcc, 0, v89
	s_and_b64 s[0:1], s[0:1], vcc
	v_cndmask_b32_e64 v89, v89, 7, s[0:1]
	s_waitcnt vmcnt(2)
	v_cmp_eq_f64_e32 vcc, 0, v[0:1]
	s_waitcnt vmcnt(0)
	v_cmp_eq_f64_e64 s[0:1], 0, v[2:3]
	buffer_load_dword v0, off, s[20:23], 0 offset:740 ; 4-byte Folded Reload
	buffer_load_dword v1, off, s[20:23], 0 offset:744 ; 4-byte Folded Reload
	buffer_load_dword v2, off, s[20:23], 0 offset:748 ; 4-byte Folded Reload
	buffer_load_dword v3, off, s[20:23], 0 offset:752 ; 4-byte Folded Reload
	s_and_b64 s[0:1], vcc, s[0:1]
	v_cmp_eq_u32_e32 vcc, 0, v89
	s_and_b64 s[0:1], s[0:1], vcc
	v_cndmask_b32_e64 v89, v89, 8, s[0:1]
	s_waitcnt vmcnt(2)
	v_cmp_eq_f64_e32 vcc, 0, v[0:1]
	s_waitcnt vmcnt(0)
	v_cmp_eq_f64_e64 s[0:1], 0, v[2:3]
	buffer_load_dword v0, off, s[20:23], 0 offset:756 ; 4-byte Folded Reload
	buffer_load_dword v1, off, s[20:23], 0 offset:760 ; 4-byte Folded Reload
	buffer_load_dword v2, off, s[20:23], 0 offset:764 ; 4-byte Folded Reload
	buffer_load_dword v3, off, s[20:23], 0 offset:768 ; 4-byte Folded Reload
	s_and_b64 s[0:1], vcc, s[0:1]
	v_cmp_eq_u32_e32 vcc, 0, v89
	s_and_b64 s[0:1], s[0:1], vcc
	v_cndmask_b32_e64 v89, v89, 9, s[0:1]
	s_waitcnt vmcnt(2)
	v_cmp_eq_f64_e32 vcc, 0, v[0:1]
	s_waitcnt vmcnt(0)
	v_cmp_eq_f64_e64 s[0:1], 0, v[2:3]
	buffer_load_dword v0, off, s[20:23], 0 offset:772 ; 4-byte Folded Reload
	buffer_load_dword v1, off, s[20:23], 0 offset:776 ; 4-byte Folded Reload
	buffer_load_dword v2, off, s[20:23], 0 offset:780 ; 4-byte Folded Reload
	buffer_load_dword v3, off, s[20:23], 0 offset:784 ; 4-byte Folded Reload
	s_and_b64 s[0:1], vcc, s[0:1]
	v_cmp_eq_u32_e32 vcc, 0, v89
	s_and_b64 s[0:1], s[0:1], vcc
	v_cndmask_b32_e64 v89, v89, 10, s[0:1]
	s_waitcnt vmcnt(2)
	v_cmp_eq_f64_e32 vcc, 0, v[0:1]
	s_waitcnt vmcnt(0)
	v_cmp_eq_f64_e64 s[0:1], 0, v[2:3]
	buffer_load_dword v0, off, s[20:23], 0 offset:788 ; 4-byte Folded Reload
	buffer_load_dword v1, off, s[20:23], 0 offset:792 ; 4-byte Folded Reload
	buffer_load_dword v2, off, s[20:23], 0 offset:796 ; 4-byte Folded Reload
	buffer_load_dword v3, off, s[20:23], 0 offset:800 ; 4-byte Folded Reload
	s_and_b64 s[0:1], vcc, s[0:1]
	v_cmp_eq_u32_e32 vcc, 0, v89
	s_and_b64 s[0:1], s[0:1], vcc
	v_cndmask_b32_e64 v89, v89, 11, s[0:1]
	s_waitcnt vmcnt(2)
	v_cmp_eq_f64_e32 vcc, 0, v[0:1]
	s_waitcnt vmcnt(0)
	v_cmp_eq_f64_e64 s[0:1], 0, v[2:3]
	buffer_load_dword v0, off, s[20:23], 0 offset:804 ; 4-byte Folded Reload
	buffer_load_dword v1, off, s[20:23], 0 offset:808 ; 4-byte Folded Reload
	buffer_load_dword v2, off, s[20:23], 0 offset:812 ; 4-byte Folded Reload
	buffer_load_dword v3, off, s[20:23], 0 offset:816 ; 4-byte Folded Reload
	s_and_b64 s[0:1], vcc, s[0:1]
	v_cmp_eq_u32_e32 vcc, 0, v89
	s_and_b64 s[0:1], s[0:1], vcc
	v_cndmask_b32_e64 v89, v89, 12, s[0:1]
	s_waitcnt vmcnt(2)
	v_cmp_eq_f64_e32 vcc, 0, v[0:1]
	s_waitcnt vmcnt(0)
	v_cmp_eq_f64_e64 s[0:1], 0, v[2:3]
	buffer_load_dword v0, off, s[20:23], 0 offset:820 ; 4-byte Folded Reload
	buffer_load_dword v1, off, s[20:23], 0 offset:824 ; 4-byte Folded Reload
	buffer_load_dword v2, off, s[20:23], 0 offset:828 ; 4-byte Folded Reload
	buffer_load_dword v3, off, s[20:23], 0 offset:832 ; 4-byte Folded Reload
	s_and_b64 s[0:1], vcc, s[0:1]
	v_cmp_eq_u32_e32 vcc, 0, v89
	s_and_b64 s[0:1], s[0:1], vcc
	v_cndmask_b32_e64 v89, v89, 13, s[0:1]
	s_waitcnt vmcnt(2)
	v_cmp_eq_f64_e32 vcc, 0, v[0:1]
	s_waitcnt vmcnt(0)
	v_cmp_eq_f64_e64 s[0:1], 0, v[2:3]
	buffer_load_dword v0, off, s[20:23], 0 offset:836 ; 4-byte Folded Reload
	buffer_load_dword v1, off, s[20:23], 0 offset:840 ; 4-byte Folded Reload
	buffer_load_dword v2, off, s[20:23], 0 offset:844 ; 4-byte Folded Reload
	buffer_load_dword v3, off, s[20:23], 0 offset:848 ; 4-byte Folded Reload
	s_and_b64 s[0:1], vcc, s[0:1]
	v_cmp_eq_u32_e32 vcc, 0, v89
	s_and_b64 s[0:1], s[0:1], vcc
	v_cndmask_b32_e64 v89, v89, 14, s[0:1]
	s_waitcnt vmcnt(2)
	v_cmp_eq_f64_e32 vcc, 0, v[0:1]
	s_waitcnt vmcnt(0)
	v_cmp_eq_f64_e64 s[0:1], 0, v[2:3]
	buffer_load_dword v0, off, s[20:23], 0 offset:852 ; 4-byte Folded Reload
	buffer_load_dword v1, off, s[20:23], 0 offset:856 ; 4-byte Folded Reload
	buffer_load_dword v2, off, s[20:23], 0 offset:860 ; 4-byte Folded Reload
	buffer_load_dword v3, off, s[20:23], 0 offset:864 ; 4-byte Folded Reload
	s_and_b64 s[0:1], vcc, s[0:1]
	v_cmp_eq_u32_e32 vcc, 0, v89
	s_and_b64 s[0:1], s[0:1], vcc
	v_cndmask_b32_e64 v89, v89, 15, s[0:1]
	s_waitcnt vmcnt(2)
	v_cmp_eq_f64_e32 vcc, 0, v[0:1]
	s_waitcnt vmcnt(0)
	v_cmp_eq_f64_e64 s[0:1], 0, v[2:3]
	buffer_load_dword v0, off, s[20:23], 0 offset:868 ; 4-byte Folded Reload
	buffer_load_dword v1, off, s[20:23], 0 offset:872 ; 4-byte Folded Reload
	buffer_load_dword v2, off, s[20:23], 0 offset:876 ; 4-byte Folded Reload
	buffer_load_dword v3, off, s[20:23], 0 offset:880 ; 4-byte Folded Reload
	s_and_b64 s[0:1], vcc, s[0:1]
	v_cmp_eq_u32_e32 vcc, 0, v89
	s_and_b64 s[0:1], s[0:1], vcc
	v_cndmask_b32_e64 v89, v89, 16, s[0:1]
	s_waitcnt vmcnt(2)
	v_cmp_eq_f64_e32 vcc, 0, v[0:1]
	s_waitcnt vmcnt(0)
	v_cmp_eq_f64_e64 s[0:1], 0, v[2:3]
	buffer_load_dword v0, off, s[20:23], 0 offset:884 ; 4-byte Folded Reload
	buffer_load_dword v1, off, s[20:23], 0 offset:888 ; 4-byte Folded Reload
	buffer_load_dword v2, off, s[20:23], 0 offset:892 ; 4-byte Folded Reload
	buffer_load_dword v3, off, s[20:23], 0 offset:896 ; 4-byte Folded Reload
	s_and_b64 s[0:1], vcc, s[0:1]
	v_cmp_eq_u32_e32 vcc, 0, v89
	s_and_b64 s[0:1], s[0:1], vcc
	v_cndmask_b32_e64 v89, v89, 17, s[0:1]
	s_waitcnt vmcnt(2)
	v_cmp_eq_f64_e32 vcc, 0, v[0:1]
	s_waitcnt vmcnt(0)
	v_cmp_eq_f64_e64 s[0:1], 0, v[2:3]
	buffer_load_dword v0, off, s[20:23], 0 offset:900 ; 4-byte Folded Reload
	buffer_load_dword v1, off, s[20:23], 0 offset:904 ; 4-byte Folded Reload
	buffer_load_dword v2, off, s[20:23], 0 offset:908 ; 4-byte Folded Reload
	buffer_load_dword v3, off, s[20:23], 0 offset:912 ; 4-byte Folded Reload
	s_and_b64 s[0:1], vcc, s[0:1]
	v_cmp_eq_u32_e32 vcc, 0, v89
	s_and_b64 s[0:1], s[0:1], vcc
	v_cndmask_b32_e64 v89, v89, 18, s[0:1]
	s_waitcnt vmcnt(2)
	v_cmp_eq_f64_e32 vcc, 0, v[0:1]
	s_waitcnt vmcnt(0)
	v_cmp_eq_f64_e64 s[0:1], 0, v[2:3]
	buffer_load_dword v0, off, s[20:23], 0 offset:916 ; 4-byte Folded Reload
	buffer_load_dword v1, off, s[20:23], 0 offset:920 ; 4-byte Folded Reload
	buffer_load_dword v2, off, s[20:23], 0 offset:924 ; 4-byte Folded Reload
	buffer_load_dword v3, off, s[20:23], 0 offset:928 ; 4-byte Folded Reload
	s_and_b64 s[0:1], vcc, s[0:1]
	v_cmp_eq_u32_e32 vcc, 0, v89
	s_and_b64 s[0:1], s[0:1], vcc
	v_cndmask_b32_e64 v89, v89, 19, s[0:1]
	s_waitcnt vmcnt(2)
	v_cmp_eq_f64_e32 vcc, 0, v[0:1]
	s_waitcnt vmcnt(0)
	v_cmp_eq_f64_e64 s[0:1], 0, v[2:3]
	buffer_load_dword v0, off, s[20:23], 0 offset:932 ; 4-byte Folded Reload
	buffer_load_dword v1, off, s[20:23], 0 offset:936 ; 4-byte Folded Reload
	buffer_load_dword v2, off, s[20:23], 0 offset:940 ; 4-byte Folded Reload
	buffer_load_dword v3, off, s[20:23], 0 offset:944 ; 4-byte Folded Reload
	s_and_b64 s[0:1], vcc, s[0:1]
	v_cmp_eq_u32_e32 vcc, 0, v89
	s_and_b64 s[0:1], s[0:1], vcc
	v_cndmask_b32_e64 v89, v89, 20, s[0:1]
	s_waitcnt vmcnt(2)
	v_cmp_eq_f64_e32 vcc, 0, v[0:1]
	s_waitcnt vmcnt(0)
	v_cmp_eq_f64_e64 s[0:1], 0, v[2:3]
	buffer_load_dword v0, off, s[20:23], 0 offset:948 ; 4-byte Folded Reload
	buffer_load_dword v1, off, s[20:23], 0 offset:952 ; 4-byte Folded Reload
	buffer_load_dword v2, off, s[20:23], 0 offset:956 ; 4-byte Folded Reload
	buffer_load_dword v3, off, s[20:23], 0 offset:960 ; 4-byte Folded Reload
	s_and_b64 s[0:1], vcc, s[0:1]
	v_cmp_eq_u32_e32 vcc, 0, v89
	s_and_b64 s[0:1], s[0:1], vcc
	v_cndmask_b32_e64 v89, v89, 21, s[0:1]
	s_waitcnt vmcnt(2)
	v_cmp_eq_f64_e32 vcc, 0, v[0:1]
	s_waitcnt vmcnt(0)
	v_cmp_eq_f64_e64 s[0:1], 0, v[2:3]
	buffer_load_dword v0, off, s[20:23], 0 offset:964 ; 4-byte Folded Reload
	buffer_load_dword v1, off, s[20:23], 0 offset:968 ; 4-byte Folded Reload
	buffer_load_dword v2, off, s[20:23], 0 offset:972 ; 4-byte Folded Reload
	buffer_load_dword v3, off, s[20:23], 0 offset:976 ; 4-byte Folded Reload
	s_and_b64 s[0:1], vcc, s[0:1]
	v_cmp_eq_u32_e32 vcc, 0, v89
	s_and_b64 s[0:1], s[0:1], vcc
	v_cndmask_b32_e64 v89, v89, 22, s[0:1]
	s_waitcnt vmcnt(2)
	v_cmp_eq_f64_e32 vcc, 0, v[0:1]
	s_waitcnt vmcnt(0)
	v_cmp_eq_f64_e64 s[0:1], 0, v[2:3]
	buffer_load_dword v0, off, s[20:23], 0 offset:980 ; 4-byte Folded Reload
	buffer_load_dword v1, off, s[20:23], 0 offset:984 ; 4-byte Folded Reload
	buffer_load_dword v2, off, s[20:23], 0 offset:988 ; 4-byte Folded Reload
	buffer_load_dword v3, off, s[20:23], 0 offset:992 ; 4-byte Folded Reload
	s_and_b64 s[0:1], vcc, s[0:1]
	v_cmp_eq_u32_e32 vcc, 0, v89
	s_and_b64 s[0:1], s[0:1], vcc
	v_cndmask_b32_e64 v89, v89, 23, s[0:1]
	s_waitcnt vmcnt(2)
	v_cmp_eq_f64_e32 vcc, 0, v[0:1]
	s_waitcnt vmcnt(0)
	v_cmp_eq_f64_e64 s[0:1], 0, v[2:3]
	buffer_load_dword v0, off, s[20:23], 0 offset:996 ; 4-byte Folded Reload
	buffer_load_dword v1, off, s[20:23], 0 offset:1000 ; 4-byte Folded Reload
	buffer_load_dword v2, off, s[20:23], 0 offset:1004 ; 4-byte Folded Reload
	buffer_load_dword v3, off, s[20:23], 0 offset:1008 ; 4-byte Folded Reload
	s_and_b64 s[0:1], vcc, s[0:1]
	v_cmp_eq_u32_e32 vcc, 0, v89
	s_and_b64 s[0:1], s[0:1], vcc
	v_cndmask_b32_e64 v89, v89, 24, s[0:1]
	s_waitcnt vmcnt(2)
	v_cmp_eq_f64_e32 vcc, 0, v[0:1]
	s_waitcnt vmcnt(0)
	v_cmp_eq_f64_e64 s[0:1], 0, v[2:3]
	buffer_load_dword v0, off, s[20:23], 0 offset:1012 ; 4-byte Folded Reload
	buffer_load_dword v1, off, s[20:23], 0 offset:1016 ; 4-byte Folded Reload
	buffer_load_dword v2, off, s[20:23], 0 offset:1020 ; 4-byte Folded Reload
	buffer_load_dword v3, off, s[20:23], 0 offset:1024 ; 4-byte Folded Reload
	s_and_b64 s[0:1], vcc, s[0:1]
	v_cmp_eq_u32_e32 vcc, 0, v89
	s_and_b64 s[0:1], s[0:1], vcc
	v_cndmask_b32_e64 v89, v89, 25, s[0:1]
	s_waitcnt vmcnt(2)
	v_cmp_eq_f64_e32 vcc, 0, v[0:1]
	s_waitcnt vmcnt(0)
	v_cmp_eq_f64_e64 s[0:1], 0, v[2:3]
	buffer_load_dword v0, off, s[20:23], 0 offset:1028 ; 4-byte Folded Reload
	buffer_load_dword v1, off, s[20:23], 0 offset:1032 ; 4-byte Folded Reload
	buffer_load_dword v2, off, s[20:23], 0 offset:1036 ; 4-byte Folded Reload
	buffer_load_dword v3, off, s[20:23], 0 offset:1040 ; 4-byte Folded Reload
	s_and_b64 s[0:1], vcc, s[0:1]
	v_cmp_eq_u32_e32 vcc, 0, v89
	s_and_b64 s[0:1], s[0:1], vcc
	v_cndmask_b32_e64 v89, v89, 26, s[0:1]
	s_waitcnt vmcnt(2)
	v_cmp_eq_f64_e32 vcc, 0, v[0:1]
	s_waitcnt vmcnt(0)
	v_cmp_eq_f64_e64 s[0:1], 0, v[2:3]
	buffer_load_dword v0, off, s[20:23], 0 offset:1044 ; 4-byte Folded Reload
	buffer_load_dword v1, off, s[20:23], 0 offset:1048 ; 4-byte Folded Reload
	buffer_load_dword v2, off, s[20:23], 0 offset:1052 ; 4-byte Folded Reload
	buffer_load_dword v3, off, s[20:23], 0 offset:1056 ; 4-byte Folded Reload
	s_and_b64 s[0:1], vcc, s[0:1]
	v_cmp_eq_u32_e32 vcc, 0, v89
	s_and_b64 s[0:1], s[0:1], vcc
	v_cndmask_b32_e64 v89, v89, 27, s[0:1]
	s_waitcnt vmcnt(2)
	v_cmp_eq_f64_e32 vcc, 0, v[0:1]
	s_waitcnt vmcnt(0)
	v_cmp_eq_f64_e64 s[0:1], 0, v[2:3]
	buffer_load_dword v0, off, s[20:23], 0 offset:1060 ; 4-byte Folded Reload
	buffer_load_dword v1, off, s[20:23], 0 offset:1064 ; 4-byte Folded Reload
	buffer_load_dword v2, off, s[20:23], 0 offset:1068 ; 4-byte Folded Reload
	buffer_load_dword v3, off, s[20:23], 0 offset:1072 ; 4-byte Folded Reload
	s_and_b64 s[0:1], vcc, s[0:1]
	v_cmp_eq_u32_e32 vcc, 0, v89
	s_and_b64 s[0:1], s[0:1], vcc
	v_cndmask_b32_e64 v89, v89, 28, s[0:1]
	s_waitcnt vmcnt(2)
	v_cmp_eq_f64_e32 vcc, 0, v[0:1]
	s_waitcnt vmcnt(0)
	v_cmp_eq_f64_e64 s[0:1], 0, v[2:3]
	buffer_load_dword v0, off, s[20:23], 0 offset:1076 ; 4-byte Folded Reload
	buffer_load_dword v1, off, s[20:23], 0 offset:1080 ; 4-byte Folded Reload
	buffer_load_dword v2, off, s[20:23], 0 offset:1084 ; 4-byte Folded Reload
	buffer_load_dword v3, off, s[20:23], 0 offset:1088 ; 4-byte Folded Reload
	s_and_b64 s[0:1], vcc, s[0:1]
	v_cmp_eq_u32_e32 vcc, 0, v89
	s_and_b64 s[0:1], s[0:1], vcc
	v_cndmask_b32_e64 v89, v89, 29, s[0:1]
	s_waitcnt vmcnt(2)
	v_cmp_eq_f64_e32 vcc, 0, v[0:1]
	s_waitcnt vmcnt(0)
	v_cmp_eq_f64_e64 s[0:1], 0, v[2:3]
	buffer_load_dword v0, off, s[20:23], 0 offset:1092 ; 4-byte Folded Reload
	buffer_load_dword v1, off, s[20:23], 0 offset:1096 ; 4-byte Folded Reload
	buffer_load_dword v2, off, s[20:23], 0 offset:1100 ; 4-byte Folded Reload
	buffer_load_dword v3, off, s[20:23], 0 offset:1104 ; 4-byte Folded Reload
	s_and_b64 s[0:1], vcc, s[0:1]
	v_cmp_eq_u32_e32 vcc, 0, v89
	s_and_b64 s[0:1], s[0:1], vcc
	v_cndmask_b32_e64 v89, v89, 30, s[0:1]
	s_waitcnt vmcnt(2)
	v_cmp_eq_f64_e32 vcc, 0, v[0:1]
	s_waitcnt vmcnt(0)
	v_cmp_eq_f64_e64 s[0:1], 0, v[2:3]
	buffer_load_dword v0, off, s[20:23], 0 offset:1108 ; 4-byte Folded Reload
	buffer_load_dword v1, off, s[20:23], 0 offset:1112 ; 4-byte Folded Reload
	buffer_load_dword v2, off, s[20:23], 0 offset:1116 ; 4-byte Folded Reload
	buffer_load_dword v3, off, s[20:23], 0 offset:1120 ; 4-byte Folded Reload
	s_and_b64 s[0:1], vcc, s[0:1]
	v_cmp_eq_u32_e32 vcc, 0, v89
	s_and_b64 s[0:1], s[0:1], vcc
	v_cndmask_b32_e64 v89, v89, 31, s[0:1]
	s_waitcnt vmcnt(2)
	v_cmp_eq_f64_e32 vcc, 0, v[0:1]
	s_waitcnt vmcnt(0)
	v_cmp_eq_f64_e64 s[0:1], 0, v[2:3]
	buffer_load_dword v0, off, s[20:23], 0 offset:1124 ; 4-byte Folded Reload
	buffer_load_dword v1, off, s[20:23], 0 offset:1128 ; 4-byte Folded Reload
	buffer_load_dword v2, off, s[20:23], 0 offset:1132 ; 4-byte Folded Reload
	buffer_load_dword v3, off, s[20:23], 0 offset:1136 ; 4-byte Folded Reload
	s_and_b64 s[0:1], vcc, s[0:1]
	v_cmp_eq_u32_e32 vcc, 0, v89
	s_and_b64 s[0:1], s[0:1], vcc
	v_cndmask_b32_e64 v89, v89, 32, s[0:1]
	s_waitcnt vmcnt(2)
	v_cmp_eq_f64_e32 vcc, 0, v[0:1]
	s_waitcnt vmcnt(0)
	v_cmp_eq_f64_e64 s[0:1], 0, v[2:3]
	buffer_load_dword v0, off, s[20:23], 0 offset:1140 ; 4-byte Folded Reload
	buffer_load_dword v1, off, s[20:23], 0 offset:1144 ; 4-byte Folded Reload
	buffer_load_dword v2, off, s[20:23], 0 offset:1148 ; 4-byte Folded Reload
	buffer_load_dword v3, off, s[20:23], 0 offset:1152 ; 4-byte Folded Reload
	s_and_b64 s[0:1], vcc, s[0:1]
	v_cmp_eq_u32_e32 vcc, 0, v89
	s_and_b64 s[0:1], s[0:1], vcc
	v_cndmask_b32_e64 v89, v89, 33, s[0:1]
	s_waitcnt vmcnt(2)
	v_cmp_eq_f64_e32 vcc, 0, v[0:1]
	s_waitcnt vmcnt(0)
	v_cmp_eq_f64_e64 s[0:1], 0, v[2:3]
	buffer_load_dword v0, off, s[20:23], 0 offset:1156 ; 4-byte Folded Reload
	buffer_load_dword v1, off, s[20:23], 0 offset:1160 ; 4-byte Folded Reload
	buffer_load_dword v2, off, s[20:23], 0 offset:1164 ; 4-byte Folded Reload
	buffer_load_dword v3, off, s[20:23], 0 offset:1168 ; 4-byte Folded Reload
	s_and_b64 s[0:1], vcc, s[0:1]
	v_cmp_eq_u32_e32 vcc, 0, v89
	s_and_b64 s[0:1], s[0:1], vcc
	v_cndmask_b32_e64 v89, v89, 34, s[0:1]
	s_waitcnt vmcnt(2)
	v_cmp_eq_f64_e32 vcc, 0, v[0:1]
	s_waitcnt vmcnt(0)
	v_cmp_eq_f64_e64 s[0:1], 0, v[2:3]
	buffer_load_dword v0, off, s[20:23], 0 offset:1172 ; 4-byte Folded Reload
	buffer_load_dword v1, off, s[20:23], 0 offset:1176 ; 4-byte Folded Reload
	buffer_load_dword v2, off, s[20:23], 0 offset:1180 ; 4-byte Folded Reload
	buffer_load_dword v3, off, s[20:23], 0 offset:1184 ; 4-byte Folded Reload
	s_and_b64 s[0:1], vcc, s[0:1]
	v_cmp_eq_u32_e32 vcc, 0, v89
	s_and_b64 s[0:1], s[0:1], vcc
	v_cndmask_b32_e64 v89, v89, 35, s[0:1]
	v_cmp_eq_f64_e32 vcc, 0, v[37:38]
	v_cmp_eq_f64_e64 s[0:1], 0, v[39:40]
	s_and_b64 s[0:1], vcc, s[0:1]
	v_cmp_eq_u32_e32 vcc, 0, v89
	s_and_b64 s[0:1], s[0:1], vcc
	v_cndmask_b32_e64 v89, v89, 36, s[0:1]
	s_waitcnt vmcnt(2)
	v_cmp_eq_f64_e32 vcc, 0, v[0:1]
	s_waitcnt vmcnt(0)
	v_cmp_eq_f64_e64 s[0:1], 0, v[2:3]
	buffer_load_dword v1, off, s[20:23], 0 offset:1188 ; 4-byte Folded Reload
	buffer_load_dword v2, off, s[20:23], 0 offset:1192 ; 4-byte Folded Reload
	s_and_b64 s[0:1], vcc, s[0:1]
	v_cmp_eq_u32_e32 vcc, 0, v89
	s_and_b64 s[0:1], s[0:1], vcc
	v_cndmask_b32_e64 v89, v89, 37, s[0:1]
	v_cmp_eq_f64_e32 vcc, 0, v[101:102]
	v_cmp_eq_f64_e64 s[0:1], 0, v[103:104]
	s_and_b64 s[0:1], vcc, s[0:1]
	v_cmp_eq_u32_e32 vcc, 0, v89
	s_and_b64 s[0:1], s[0:1], vcc
	v_cndmask_b32_e64 v89, v89, 38, s[0:1]
	v_cmp_eq_f64_e32 vcc, 0, v[97:98]
	v_cmp_eq_f64_e64 s[0:1], 0, v[99:100]
	;; [unrolled: 6-line block ×3, first 2 shown]
	s_and_b64 s[0:1], vcc, s[0:1]
	v_cmp_eq_u32_e32 vcc, 0, v89
	s_and_b64 s[0:1], s[0:1], vcc
	v_cndmask_b32_e64 v99, v89, 40, s[0:1]
	v_cmp_ne_u32_e64 s[0:1], 0, v99
	s_waitcnt vmcnt(0)
	v_lshlrev_b64 v[89:90], 2, v[1:2]
	v_add_co_u32_e32 v97, vcc, s10, v89
	v_mov_b32_e32 v89, s11
	v_addc_co_u32_e32 v98, vcc, v89, v90, vcc
	global_load_dword v89, v[97:98], off
	s_waitcnt vmcnt(0)
	v_cmp_eq_u32_e32 vcc, 0, v89
	buffer_load_dword v89, off, s[20:23], 0 offset:244 ; 4-byte Folded Reload
	buffer_load_dword v90, off, s[20:23], 0 offset:248 ; 4-byte Folded Reload
	;; [unrolled: 1-line block ×4, first 2 shown]
	s_and_b64 s[0:1], vcc, s[0:1]
	s_and_b64 exec, exec, s[0:1]
	s_cbranch_execz .LBB79_362
; %bb.361:
	s_waitcnt vmcnt(3)
	v_add_u32_e32 v89, s13, v99
	global_store_dword v[97:98], v89, off
	buffer_load_dword v89, off, s[20:23], 0 offset:244 ; 4-byte Folded Reload
	s_nop 0
	buffer_load_dword v90, off, s[20:23], 0 offset:248 ; 4-byte Folded Reload
	buffer_load_dword v91, off, s[20:23], 0 offset:252 ; 4-byte Folded Reload
	;; [unrolled: 1-line block ×3, first 2 shown]
.LBB79_362:
	s_or_b64 exec, exec, s[2:3]
	buffer_load_dword v1, off, s[20:23], 0 offset:588 ; 4-byte Folded Reload
	buffer_load_dword v2, off, s[20:23], 0 offset:592 ; 4-byte Folded Reload
	;; [unrolled: 1-line block ×6, first 2 shown]
	s_waitcnt vmcnt(0)
	global_store_dwordx4 v[1:2], v[41:44], off
	buffer_load_dword v1, off, s[20:23], 0 offset:596 ; 4-byte Folded Reload
	s_nop 0
	buffer_load_dword v2, off, s[20:23], 0 offset:600 ; 4-byte Folded Reload
	buffer_load_dword v41, off, s[20:23], 0 offset:212 ; 4-byte Folded Reload
	;; [unrolled: 1-line block ×5, first 2 shown]
	s_waitcnt vmcnt(0)
	global_store_dwordx4 v[1:2], v[41:44], off
	buffer_load_dword v1, off, s[20:23], 0 offset:604 ; 4-byte Folded Reload
	s_nop 0
	buffer_load_dword v2, off, s[20:23], 0 offset:608 ; 4-byte Folded Reload
	s_waitcnt vmcnt(0)
	global_store_dwordx4 v[1:2], v[89:92], off
	buffer_load_dword v87, off, s[20:23], 0 offset:276 ; 4-byte Folded Reload
	buffer_load_dword v88, off, s[20:23], 0 offset:280 ; 4-byte Folded Reload
	s_nop 0
	buffer_load_dword v0, off, s[20:23], 0 offset:196 ; 4-byte Folded Reload
	buffer_load_dword v1, off, s[20:23], 0 offset:200 ; 4-byte Folded Reload
	;; [unrolled: 1-line block ×4, first 2 shown]
	v_mul_f64 v[91:92], v[107:108], v[47:48]
	v_mul_f64 v[89:90], v[105:106], v[47:48]
	v_fma_f64 v[91:92], v[105:106], v[45:46], -v[91:92]
	v_fma_f64 v[89:90], v[107:108], v[45:46], v[89:90]
	s_waitcnt vmcnt(0)
	global_store_dwordx4 v[87:88], v[0:3], off
	buffer_load_dword v37, off, s[20:23], 0 offset:564 ; 4-byte Folded Reload
	buffer_load_dword v38, off, s[20:23], 0 offset:568 ; 4-byte Folded Reload
	s_waitcnt vmcnt(0)
	global_store_dwordx4 v[37:38], v[33:36], off
	buffer_load_dword v85, off, s[20:23], 0 offset:284 ; 4-byte Folded Reload
	buffer_load_dword v86, off, s[20:23], 0 offset:288 ; 4-byte Folded Reload
	s_waitcnt vmcnt(0)
	global_store_dwordx4 v[85:86], v[29:32], off
	buffer_load_dword v85, off, s[20:23], 0 offset:292 ; 4-byte Folded Reload
	s_nop 0
	buffer_load_dword v86, off, s[20:23], 0 offset:296 ; 4-byte Folded Reload
	s_waitcnt vmcnt(0)
	global_store_dwordx4 v[85:86], v[25:28], off
	buffer_load_dword v85, off, s[20:23], 0 offset:300 ; 4-byte Folded Reload
	s_nop 0
	buffer_load_dword v86, off, s[20:23], 0 offset:304 ; 4-byte Folded Reload
	buffer_load_dword v0, off, s[20:23], 0  ; 4-byte Folded Reload
	s_waitcnt vmcnt(0)
	v_cmp_lt_u32_e32 vcc, 39, v0
	global_store_dwordx4 v[85:86], v[5:8], off
	buffer_load_dword v85, off, s[20:23], 0 offset:308 ; 4-byte Folded Reload
	s_nop 0
	buffer_load_dword v86, off, s[20:23], 0 offset:312 ; 4-byte Folded Reload
	v_cndmask_b32_e32 v98, v46, v92, vcc
	v_cndmask_b32_e32 v97, v45, v91, vcc
	v_cndmask_b32_e32 v100, v48, v90, vcc
	v_cndmask_b32_e32 v99, v47, v89, vcc
	s_waitcnt vmcnt(0)
	global_store_dwordx4 v[85:86], v[9:12], off
	buffer_load_dword v85, off, s[20:23], 0 offset:316 ; 4-byte Folded Reload
	s_nop 0
	buffer_load_dword v86, off, s[20:23], 0 offset:320 ; 4-byte Folded Reload
	s_waitcnt vmcnt(0)
	global_store_dwordx4 v[85:86], v[13:16], off
	buffer_load_dword v85, off, s[20:23], 0 offset:324 ; 4-byte Folded Reload
	s_nop 0
	buffer_load_dword v86, off, s[20:23], 0 offset:328 ; 4-byte Folded Reload
	;; [unrolled: 5-line block ×3, first 2 shown]
	buffer_load_dword v0, off, s[20:23], 0 offset:572 ; 4-byte Folded Reload
	buffer_load_dword v1, off, s[20:23], 0 offset:576 ; 4-byte Folded Reload
	buffer_load_dword v2, off, s[20:23], 0 offset:580 ; 4-byte Folded Reload
	buffer_load_dword v3, off, s[20:23], 0 offset:584 ; 4-byte Folded Reload
	s_waitcnt vmcnt(0)
	global_store_dwordx4 v[85:86], v[0:3], off
	buffer_load_dword v85, off, s[20:23], 0 offset:340 ; 4-byte Folded Reload
	s_nop 0
	buffer_load_dword v86, off, s[20:23], 0 offset:344 ; 4-byte Folded Reload
	s_waitcnt vmcnt(0)
	global_store_dwordx4 v[85:86], v[21:24], off
	buffer_load_dword v85, off, s[20:23], 0 offset:348 ; 4-byte Folded Reload
	s_nop 0
	buffer_load_dword v86, off, s[20:23], 0 offset:352 ; 4-byte Folded Reload
	buffer_load_dword v0, off, s[20:23], 0 offset:180 ; 4-byte Folded Reload
	;; [unrolled: 1-line block ×5, first 2 shown]
	s_waitcnt vmcnt(0)
	global_store_dwordx4 v[85:86], v[0:3], off
	buffer_load_dword v85, off, s[20:23], 0 offset:356 ; 4-byte Folded Reload
	s_nop 0
	buffer_load_dword v86, off, s[20:23], 0 offset:360 ; 4-byte Folded Reload
	s_waitcnt vmcnt(0)
	global_store_dwordx4 v[85:86], v[121:124], off
	buffer_load_dword v85, off, s[20:23], 0 offset:364 ; 4-byte Folded Reload
	s_nop 0
	buffer_load_dword v86, off, s[20:23], 0 offset:368 ; 4-byte Folded Reload
	;; [unrolled: 5-line block ×5, first 2 shown]
	s_waitcnt vmcnt(0)
	global_store_dwordx4 v[85:86], v[93:96], off
	buffer_load_dword v81, off, s[20:23], 0 offset:396 ; 4-byte Folded Reload
	buffer_load_dword v82, off, s[20:23], 0 offset:400 ; 4-byte Folded Reload
	s_waitcnt vmcnt(0)
	global_store_dwordx4 v[81:82], v[77:80], off
	buffer_load_dword v77, off, s[20:23], 0 offset:404 ; 4-byte Folded Reload
	s_nop 0
	buffer_load_dword v78, off, s[20:23], 0 offset:408 ; 4-byte Folded Reload
	s_waitcnt vmcnt(0)
	global_store_dwordx4 v[77:78], v[73:76], off
	buffer_load_dword v73, off, s[20:23], 0 offset:412 ; 4-byte Folded Reload
	s_nop 0
	;; [unrolled: 5-line block ×8, first 2 shown]
	buffer_load_dword v50, off, s[20:23], 0 offset:456 ; 4-byte Folded Reload
	buffer_load_dword v0, off, s[20:23], 0 offset:132 ; 4-byte Folded Reload
	;; [unrolled: 1-line block ×5, first 2 shown]
	s_waitcnt vmcnt(0)
	global_store_dwordx4 v[49:50], v[0:3], off
	buffer_load_dword v45, off, s[20:23], 0 offset:460 ; 4-byte Folded Reload
	buffer_load_dword v46, off, s[20:23], 0 offset:464 ; 4-byte Folded Reload
	s_nop 0
	buffer_load_dword v0, off, s[20:23], 0 offset:116 ; 4-byte Folded Reload
	buffer_load_dword v1, off, s[20:23], 0 offset:120 ; 4-byte Folded Reload
	buffer_load_dword v2, off, s[20:23], 0 offset:124 ; 4-byte Folded Reload
	buffer_load_dword v3, off, s[20:23], 0 offset:128 ; 4-byte Folded Reload
	s_waitcnt vmcnt(0)
	global_store_dwordx4 v[45:46], v[0:3], off
	buffer_load_dword v41, off, s[20:23], 0 offset:468 ; 4-byte Folded Reload
	buffer_load_dword v42, off, s[20:23], 0 offset:472 ; 4-byte Folded Reload
	buffer_load_dword v33, off, s[20:23], 0 offset:100 ; 4-byte Folded Reload
	buffer_load_dword v34, off, s[20:23], 0 offset:104 ; 4-byte Folded Reload
	buffer_load_dword v35, off, s[20:23], 0 offset:108 ; 4-byte Folded Reload
	buffer_load_dword v36, off, s[20:23], 0 offset:112 ; 4-byte Folded Reload
	s_waitcnt vmcnt(0)
	global_store_dwordx4 v[41:42], v[33:36], off
	buffer_load_dword v37, off, s[20:23], 0 offset:476 ; 4-byte Folded Reload
	buffer_load_dword v38, off, s[20:23], 0 offset:480 ; 4-byte Folded Reload
	;; [unrolled: 8-line block ×10, first 2 shown]
	s_nop 0
	buffer_load_dword v0, off, s[20:23], 0 offset:260 ; 4-byte Folded Reload
	buffer_load_dword v1, off, s[20:23], 0 offset:264 ; 4-byte Folded Reload
	;; [unrolled: 1-line block ×4, first 2 shown]
	s_waitcnt vmcnt(0)
	global_store_dwordx4 v[5:6], v[0:3], off
	buffer_load_dword v0, off, s[20:23], 0 offset:548 ; 4-byte Folded Reload
	s_nop 0
	buffer_load_dword v1, off, s[20:23], 0 offset:552 ; 4-byte Folded Reload
	s_waitcnt vmcnt(0)
	global_store_dwordx4 v[0:1], v[97:100], off
.LBB79_363:
	s_endpgm
	.section	.rodata,"a",@progbits
	.p2align	6, 0x0
	.amdhsa_kernel _ZN9rocsolver6v33100L23getf2_npvt_small_kernelILi40E19rocblas_complex_numIdEiiPS3_EEvT1_T3_lS5_lPT2_S5_S5_
		.amdhsa_group_segment_fixed_size 0
		.amdhsa_private_segment_fixed_size 1264
		.amdhsa_kernarg_size 312
		.amdhsa_user_sgpr_count 6
		.amdhsa_user_sgpr_private_segment_buffer 1
		.amdhsa_user_sgpr_dispatch_ptr 0
		.amdhsa_user_sgpr_queue_ptr 0
		.amdhsa_user_sgpr_kernarg_segment_ptr 1
		.amdhsa_user_sgpr_dispatch_id 0
		.amdhsa_user_sgpr_flat_scratch_init 0
		.amdhsa_user_sgpr_private_segment_size 0
		.amdhsa_uses_dynamic_stack 0
		.amdhsa_system_sgpr_private_segment_wavefront_offset 1
		.amdhsa_system_sgpr_workgroup_id_x 1
		.amdhsa_system_sgpr_workgroup_id_y 1
		.amdhsa_system_sgpr_workgroup_id_z 0
		.amdhsa_system_sgpr_workgroup_info 0
		.amdhsa_system_vgpr_workitem_id 1
		.amdhsa_next_free_vgpr 128
		.amdhsa_next_free_sgpr 24
		.amdhsa_reserve_vcc 1
		.amdhsa_reserve_flat_scratch 0
		.amdhsa_float_round_mode_32 0
		.amdhsa_float_round_mode_16_64 0
		.amdhsa_float_denorm_mode_32 3
		.amdhsa_float_denorm_mode_16_64 3
		.amdhsa_dx10_clamp 1
		.amdhsa_ieee_mode 1
		.amdhsa_fp16_overflow 0
		.amdhsa_exception_fp_ieee_invalid_op 0
		.amdhsa_exception_fp_denorm_src 0
		.amdhsa_exception_fp_ieee_div_zero 0
		.amdhsa_exception_fp_ieee_overflow 0
		.amdhsa_exception_fp_ieee_underflow 0
		.amdhsa_exception_fp_ieee_inexact 0
		.amdhsa_exception_int_div_zero 0
	.end_amdhsa_kernel
	.section	.text._ZN9rocsolver6v33100L23getf2_npvt_small_kernelILi40E19rocblas_complex_numIdEiiPS3_EEvT1_T3_lS5_lPT2_S5_S5_,"axG",@progbits,_ZN9rocsolver6v33100L23getf2_npvt_small_kernelILi40E19rocblas_complex_numIdEiiPS3_EEvT1_T3_lS5_lPT2_S5_S5_,comdat
.Lfunc_end79:
	.size	_ZN9rocsolver6v33100L23getf2_npvt_small_kernelILi40E19rocblas_complex_numIdEiiPS3_EEvT1_T3_lS5_lPT2_S5_S5_, .Lfunc_end79-_ZN9rocsolver6v33100L23getf2_npvt_small_kernelILi40E19rocblas_complex_numIdEiiPS3_EEvT1_T3_lS5_lPT2_S5_S5_
                                        ; -- End function
	.set _ZN9rocsolver6v33100L23getf2_npvt_small_kernelILi40E19rocblas_complex_numIdEiiPS3_EEvT1_T3_lS5_lPT2_S5_S5_.num_vgpr, 128
	.set _ZN9rocsolver6v33100L23getf2_npvt_small_kernelILi40E19rocblas_complex_numIdEiiPS3_EEvT1_T3_lS5_lPT2_S5_S5_.num_agpr, 0
	.set _ZN9rocsolver6v33100L23getf2_npvt_small_kernelILi40E19rocblas_complex_numIdEiiPS3_EEvT1_T3_lS5_lPT2_S5_S5_.numbered_sgpr, 24
	.set _ZN9rocsolver6v33100L23getf2_npvt_small_kernelILi40E19rocblas_complex_numIdEiiPS3_EEvT1_T3_lS5_lPT2_S5_S5_.num_named_barrier, 0
	.set _ZN9rocsolver6v33100L23getf2_npvt_small_kernelILi40E19rocblas_complex_numIdEiiPS3_EEvT1_T3_lS5_lPT2_S5_S5_.private_seg_size, 1264
	.set _ZN9rocsolver6v33100L23getf2_npvt_small_kernelILi40E19rocblas_complex_numIdEiiPS3_EEvT1_T3_lS5_lPT2_S5_S5_.uses_vcc, 1
	.set _ZN9rocsolver6v33100L23getf2_npvt_small_kernelILi40E19rocblas_complex_numIdEiiPS3_EEvT1_T3_lS5_lPT2_S5_S5_.uses_flat_scratch, 0
	.set _ZN9rocsolver6v33100L23getf2_npvt_small_kernelILi40E19rocblas_complex_numIdEiiPS3_EEvT1_T3_lS5_lPT2_S5_S5_.has_dyn_sized_stack, 0
	.set _ZN9rocsolver6v33100L23getf2_npvt_small_kernelILi40E19rocblas_complex_numIdEiiPS3_EEvT1_T3_lS5_lPT2_S5_S5_.has_recursion, 0
	.set _ZN9rocsolver6v33100L23getf2_npvt_small_kernelILi40E19rocblas_complex_numIdEiiPS3_EEvT1_T3_lS5_lPT2_S5_S5_.has_indirect_call, 0
	.section	.AMDGPU.csdata,"",@progbits
; Kernel info:
; codeLenInByte = 127368
; TotalNumSgprs: 28
; NumVgprs: 128
; ScratchSize: 1264
; MemoryBound: 1
; FloatMode: 240
; IeeeMode: 1
; LDSByteSize: 0 bytes/workgroup (compile time only)
; SGPRBlocks: 3
; VGPRBlocks: 31
; NumSGPRsForWavesPerEU: 28
; NumVGPRsForWavesPerEU: 128
; Occupancy: 2
; WaveLimiterHint : 0
; COMPUTE_PGM_RSRC2:SCRATCH_EN: 1
; COMPUTE_PGM_RSRC2:USER_SGPR: 6
; COMPUTE_PGM_RSRC2:TRAP_HANDLER: 0
; COMPUTE_PGM_RSRC2:TGID_X_EN: 1
; COMPUTE_PGM_RSRC2:TGID_Y_EN: 1
; COMPUTE_PGM_RSRC2:TGID_Z_EN: 0
; COMPUTE_PGM_RSRC2:TIDIG_COMP_CNT: 1
	.section	.text._ZN9rocsolver6v33100L18getf2_small_kernelILi41E19rocblas_complex_numIdEiiPS3_EEvT1_T3_lS5_lPS5_llPT2_S5_S5_S7_l,"axG",@progbits,_ZN9rocsolver6v33100L18getf2_small_kernelILi41E19rocblas_complex_numIdEiiPS3_EEvT1_T3_lS5_lPS5_llPT2_S5_S5_S7_l,comdat
	.globl	_ZN9rocsolver6v33100L18getf2_small_kernelILi41E19rocblas_complex_numIdEiiPS3_EEvT1_T3_lS5_lPS5_llPT2_S5_S5_S7_l ; -- Begin function _ZN9rocsolver6v33100L18getf2_small_kernelILi41E19rocblas_complex_numIdEiiPS3_EEvT1_T3_lS5_lPS5_llPT2_S5_S5_S7_l
	.p2align	8
	.type	_ZN9rocsolver6v33100L18getf2_small_kernelILi41E19rocblas_complex_numIdEiiPS3_EEvT1_T3_lS5_lPS5_llPT2_S5_S5_S7_l,@function
_ZN9rocsolver6v33100L18getf2_small_kernelILi41E19rocblas_complex_numIdEiiPS3_EEvT1_T3_lS5_lPS5_llPT2_S5_S5_S7_l: ; @_ZN9rocsolver6v33100L18getf2_small_kernelILi41E19rocblas_complex_numIdEiiPS3_EEvT1_T3_lS5_lPS5_llPT2_S5_S5_S7_l
; %bb.0:
	s_mov_b64 s[26:27], s[2:3]
	s_mov_b64 s[24:25], s[0:1]
	s_load_dword s0, s[4:5], 0x6c
	s_load_dwordx2 s[16:17], s[4:5], 0x48
	s_add_u32 s24, s24, s8
	s_addc_u32 s25, s25, 0
	s_waitcnt lgkmcnt(0)
	s_lshr_b32 s0, s0, 16
	s_mul_i32 s7, s7, s0
	v_add_u32_e32 v6, s7, v1
	v_cmp_gt_i32_e32 vcc, s16, v6
	s_and_saveexec_b64 s[0:1], vcc
	s_cbranch_execz .LBB80_862
; %bb.1:
	s_load_dwordx4 s[0:3], s[4:5], 0x50
	v_mov_b32_e32 v91, 0
	v_ashrrev_i32_e32 v7, 31, v6
	v_mov_b32_e32 v92, 0
	s_waitcnt lgkmcnt(0)
	s_cmp_eq_u64 s[0:1], 0
	s_cselect_b64 s[6:7], -1, 0
	s_and_b64 vcc, exec, s[6:7]
	s_cbranch_vccnz .LBB80_3
; %bb.2:
	v_mul_lo_u32 v4, s3, v6
	v_mul_lo_u32 v5, s2, v7
	v_mad_u64_u32 v[2:3], s[2:3], s2, v6, 0
	v_add3_u32 v3, v3, v5, v4
	v_lshlrev_b64 v[2:3], 2, v[2:3]
	v_mov_b32_e32 v4, s1
	v_add_co_u32_e32 v91, vcc, s0, v2
	v_addc_co_u32_e32 v92, vcc, v4, v3, vcc
.LBB80_3:
	s_load_dwordx8 s[8:15], s[4:5], 0x20
	s_load_dwordx4 s[20:23], s[4:5], 0x8
	s_load_dword s2, s[4:5], 0x18
	v_mov_b32_e32 v90, v7
	v_mov_b32_e32 v89, v6
	s_waitcnt lgkmcnt(0)
	v_mul_lo_u32 v4, s9, v6
	v_mul_lo_u32 v5, s8, v7
	v_mad_u64_u32 v[2:3], s[0:1], s8, v6, 0
	v_mov_b32_e32 v6, s21
	s_lshl_b64 s[0:1], s[22:23], 4
	v_add3_u32 v3, v3, v5, v4
	v_lshlrev_b64 v[2:3], 4, v[2:3]
	v_mov_b32_e32 v4, s1
	v_add_co_u32_e32 v2, vcc, s20, v2
	v_addc_co_u32_e32 v3, vcc, v6, v3, vcc
	v_add_co_u32_e32 v127, vcc, s0, v2
	s_add_i32 s16, s2, s2
	v_addc_co_u32_e32 v93, vcc, v3, v4, vcc
	v_add_u32_e32 v4, s16, v0
	v_ashrrev_i32_e32 v5, 31, v4
	v_lshlrev_b64 v[2:3], 4, v[4:5]
	v_add_u32_e32 v6, s2, v4
	v_ashrrev_i32_e32 v7, 31, v6
	v_add_co_u32_e32 v2, vcc, v127, v2
	v_lshlrev_b64 v[4:5], 4, v[6:7]
	v_add_u32_e32 v8, s2, v6
	v_addc_co_u32_e32 v3, vcc, v93, v3, vcc
	v_ashrrev_i32_e32 v9, 31, v8
	v_add_co_u32_e32 v4, vcc, v127, v4
	v_lshlrev_b64 v[6:7], 4, v[8:9]
	v_add_u32_e32 v10, s2, v8
	v_addc_co_u32_e32 v5, vcc, v93, v5, vcc
	v_ashrrev_i32_e32 v11, 31, v10
	v_add_co_u32_e32 v6, vcc, v127, v6
	v_lshlrev_b64 v[8:9], 4, v[10:11]
	v_add_u32_e32 v12, s2, v10
	v_addc_co_u32_e32 v7, vcc, v93, v7, vcc
	v_ashrrev_i32_e32 v13, 31, v12
	v_add_co_u32_e32 v8, vcc, v127, v8
	v_lshlrev_b64 v[10:11], 4, v[12:13]
	v_add_u32_e32 v14, s2, v12
	v_addc_co_u32_e32 v9, vcc, v93, v9, vcc
	v_ashrrev_i32_e32 v15, 31, v14
	v_add_co_u32_e32 v10, vcc, v127, v10
	v_lshlrev_b64 v[12:13], 4, v[14:15]
	v_add_u32_e32 v16, s2, v14
	v_addc_co_u32_e32 v11, vcc, v93, v11, vcc
	v_ashrrev_i32_e32 v17, 31, v16
	v_add_co_u32_e32 v12, vcc, v127, v12
	v_lshlrev_b64 v[14:15], 4, v[16:17]
	v_add_u32_e32 v18, s2, v16
	v_addc_co_u32_e32 v13, vcc, v93, v13, vcc
	v_ashrrev_i32_e32 v19, 31, v18
	v_add_co_u32_e32 v14, vcc, v127, v14
	v_lshlrev_b64 v[16:17], 4, v[18:19]
	v_add_u32_e32 v20, s2, v18
	v_addc_co_u32_e32 v15, vcc, v93, v15, vcc
	v_ashrrev_i32_e32 v21, 31, v20
	v_add_co_u32_e32 v16, vcc, v127, v16
	v_lshlrev_b64 v[18:19], 4, v[20:21]
	v_add_u32_e32 v22, s2, v20
	v_addc_co_u32_e32 v17, vcc, v93, v17, vcc
	v_ashrrev_i32_e32 v23, 31, v22
	v_add_co_u32_e32 v18, vcc, v127, v18
	v_lshlrev_b64 v[20:21], 4, v[22:23]
	v_add_u32_e32 v24, s2, v22
	v_addc_co_u32_e32 v19, vcc, v93, v19, vcc
	v_ashrrev_i32_e32 v25, 31, v24
	v_add_co_u32_e32 v20, vcc, v127, v20
	v_lshlrev_b64 v[22:23], 4, v[24:25]
	v_add_u32_e32 v26, s2, v24
	v_addc_co_u32_e32 v21, vcc, v93, v21, vcc
	v_ashrrev_i32_e32 v27, 31, v26
	v_add_co_u32_e32 v22, vcc, v127, v22
	v_lshlrev_b64 v[24:25], 4, v[26:27]
	v_add_u32_e32 v28, s2, v26
	v_addc_co_u32_e32 v23, vcc, v93, v23, vcc
	v_ashrrev_i32_e32 v29, 31, v28
	v_add_co_u32_e32 v24, vcc, v127, v24
	v_lshlrev_b64 v[26:27], 4, v[28:29]
	v_add_u32_e32 v30, s2, v28
	v_addc_co_u32_e32 v25, vcc, v93, v25, vcc
	v_ashrrev_i32_e32 v31, 31, v30
	v_add_co_u32_e32 v26, vcc, v127, v26
	v_lshlrev_b64 v[28:29], 4, v[30:31]
	v_add_u32_e32 v32, s2, v30
	v_addc_co_u32_e32 v27, vcc, v93, v27, vcc
	v_ashrrev_i32_e32 v33, 31, v32
	v_add_co_u32_e32 v28, vcc, v127, v28
	v_lshlrev_b64 v[30:31], 4, v[32:33]
	v_add_u32_e32 v34, s2, v32
	v_addc_co_u32_e32 v29, vcc, v93, v29, vcc
	v_ashrrev_i32_e32 v35, 31, v34
	v_add_co_u32_e32 v30, vcc, v127, v30
	v_lshlrev_b64 v[32:33], 4, v[34:35]
	v_add_u32_e32 v36, s2, v34
	v_addc_co_u32_e32 v31, vcc, v93, v31, vcc
	v_ashrrev_i32_e32 v37, 31, v36
	v_add_co_u32_e32 v32, vcc, v127, v32
	v_lshlrev_b64 v[34:35], 4, v[36:37]
	v_add_u32_e32 v38, s2, v36
	v_addc_co_u32_e32 v33, vcc, v93, v33, vcc
	v_ashrrev_i32_e32 v39, 31, v38
	v_add_co_u32_e32 v34, vcc, v127, v34
	v_lshlrev_b64 v[36:37], 4, v[38:39]
	v_add_u32_e32 v40, s2, v38
	v_addc_co_u32_e32 v35, vcc, v93, v35, vcc
	v_ashrrev_i32_e32 v41, 31, v40
	v_add_co_u32_e32 v36, vcc, v127, v36
	v_lshlrev_b64 v[38:39], 4, v[40:41]
	v_add_u32_e32 v42, s2, v40
	v_addc_co_u32_e32 v37, vcc, v93, v37, vcc
	v_ashrrev_i32_e32 v43, 31, v42
	v_add_co_u32_e32 v38, vcc, v127, v38
	v_lshlrev_b64 v[40:41], 4, v[42:43]
	v_add_u32_e32 v44, s2, v42
	v_addc_co_u32_e32 v39, vcc, v93, v39, vcc
	v_ashrrev_i32_e32 v45, 31, v44
	v_add_co_u32_e32 v40, vcc, v127, v40
	v_lshlrev_b64 v[42:43], 4, v[44:45]
	v_add_u32_e32 v46, s2, v44
	v_addc_co_u32_e32 v41, vcc, v93, v41, vcc
	v_ashrrev_i32_e32 v47, 31, v46
	v_add_co_u32_e32 v42, vcc, v127, v42
	v_lshlrev_b64 v[44:45], 4, v[46:47]
	v_add_u32_e32 v48, s2, v46
	v_addc_co_u32_e32 v43, vcc, v93, v43, vcc
	v_ashrrev_i32_e32 v49, 31, v48
	v_add_co_u32_e32 v44, vcc, v127, v44
	v_lshlrev_b64 v[46:47], 4, v[48:49]
	v_add_u32_e32 v50, s2, v48
	v_addc_co_u32_e32 v45, vcc, v93, v45, vcc
	v_ashrrev_i32_e32 v51, 31, v50
	v_add_co_u32_e32 v46, vcc, v127, v46
	v_lshlrev_b64 v[48:49], 4, v[50:51]
	v_add_u32_e32 v52, s2, v50
	v_addc_co_u32_e32 v47, vcc, v93, v47, vcc
	v_ashrrev_i32_e32 v53, 31, v52
	v_add_co_u32_e32 v48, vcc, v127, v48
	v_lshlrev_b64 v[50:51], 4, v[52:53]
	v_add_u32_e32 v52, s2, v52
	v_addc_co_u32_e32 v49, vcc, v93, v49, vcc
	v_ashrrev_i32_e32 v53, 31, v52
	v_add_co_u32_e32 v50, vcc, v127, v50
	v_lshlrev_b64 v[53:54], 4, v[52:53]
	v_addc_co_u32_e32 v51, vcc, v93, v51, vcc
	v_add_u32_e32 v52, s2, v52
	v_add_co_u32_e32 v117, vcc, v127, v53
	v_ashrrev_i32_e32 v53, 31, v52
	v_addc_co_u32_e32 v118, vcc, v93, v54, vcc
	v_lshlrev_b64 v[53:54], 4, v[52:53]
	v_add_u32_e32 v52, s2, v52
	v_add_co_u32_e32 v119, vcc, v127, v53
	v_ashrrev_i32_e32 v53, 31, v52
	v_addc_co_u32_e32 v120, vcc, v93, v54, vcc
	v_lshlrev_b64 v[53:54], 4, v[52:53]
	v_add_u32_e32 v52, s2, v52
	v_add_co_u32_e32 v121, vcc, v127, v53
	v_ashrrev_i32_e32 v53, 31, v52
	v_addc_co_u32_e32 v122, vcc, v93, v54, vcc
	v_lshlrev_b64 v[53:54], 4, v[52:53]
	v_add_u32_e32 v52, s2, v52
	v_add_co_u32_e32 v123, vcc, v127, v53
	v_ashrrev_i32_e32 v53, 31, v52
	v_addc_co_u32_e32 v124, vcc, v93, v54, vcc
	v_lshlrev_b64 v[53:54], 4, v[52:53]
	v_add_u32_e32 v52, s2, v52
	v_add_co_u32_e32 v125, vcc, v127, v53
	v_ashrrev_i32_e32 v53, 31, v52
	v_addc_co_u32_e32 v126, vcc, v93, v54, vcc
	v_lshlrev_b64 v[53:54], 4, v[52:53]
	v_add_u32_e32 v52, s2, v52
	v_add_co_u32_e32 v113, vcc, v127, v53
	v_ashrrev_i32_e32 v53, 31, v52
	v_addc_co_u32_e32 v114, vcc, v93, v54, vcc
	v_lshlrev_b64 v[53:54], 4, v[52:53]
	v_add_u32_e32 v52, s2, v52
	v_add_co_u32_e32 v115, vcc, v127, v53
	v_ashrrev_i32_e32 v53, 31, v52
	v_addc_co_u32_e32 v116, vcc, v93, v54, vcc
	v_lshlrev_b64 v[53:54], 4, v[52:53]
	v_add_u32_e32 v52, s2, v52
	v_add_co_u32_e32 v109, vcc, v127, v53
	v_ashrrev_i32_e32 v53, 31, v52
	v_addc_co_u32_e32 v110, vcc, v93, v54, vcc
	v_lshlrev_b64 v[53:54], 4, v[52:53]
	v_add_u32_e32 v52, s2, v52
	v_add_co_u32_e32 v111, vcc, v127, v53
	v_ashrrev_i32_e32 v53, 31, v52
	v_addc_co_u32_e32 v112, vcc, v93, v54, vcc
	v_lshlrev_b64 v[53:54], 4, v[52:53]
	v_add_u32_e32 v52, s2, v52
	v_add_co_u32_e32 v105, vcc, v127, v53
	v_ashrrev_i32_e32 v53, 31, v52
	v_addc_co_u32_e32 v106, vcc, v93, v54, vcc
	v_lshlrev_b64 v[53:54], 4, v[52:53]
	v_add_u32_e32 v52, s2, v52
	v_add_co_u32_e32 v107, vcc, v127, v53
	v_ashrrev_i32_e32 v53, 31, v52
	v_addc_co_u32_e32 v108, vcc, v93, v54, vcc
	v_lshlrev_b64 v[53:54], 4, v[52:53]
	v_add_u32_e32 v52, s2, v52
	s_ashr_i32 s3, s2, 31
	v_add_co_u32_e32 v101, vcc, v127, v53
	v_ashrrev_i32_e32 v53, 31, v52
	s_lshl_b64 s[8:9], s[2:3], 4
	s_load_dword s3, s[4:5], 0x0
	v_addc_co_u32_e32 v102, vcc, v93, v54, vcc
	v_lshlrev_b64 v[53:54], 4, v[52:53]
	v_add_u32_e32 v52, s2, v52
	v_add_co_u32_e32 v103, vcc, v127, v53
	v_ashrrev_i32_e32 v53, 31, v52
	v_lshlrev_b64 v[52:53], 4, v[52:53]
	v_addc_co_u32_e32 v104, vcc, v93, v54, vcc
	s_waitcnt lgkmcnt(0)
	s_max_i32 s0, s3, 41
	v_add_co_u32_e32 v97, vcc, v127, v52
	v_mul_lo_u32 v95, s0, v1
	v_addc_co_u32_e32 v98, vcc, v93, v53, vcc
	v_lshlrev_b32_e32 v56, 4, v0
	v_add_co_u32_e32 v54, vcc, v127, v56
	v_addc_co_u32_e32 v55, vcc, 0, v93, vcc
	v_mov_b32_e32 v53, s9
	v_add_co_u32_e32 v52, vcc, s8, v54
	v_lshl_add_u32 v94, v95, 4, 0
	v_addc_co_u32_e32 v53, vcc, v55, v53, vcc
	v_add_u32_e32 v1, v94, v56
	global_load_dwordx4 v[54:57], v[54:55], off
	s_nop 0
	global_load_dwordx4 v[58:61], v[52:53], off
	s_waitcnt vmcnt(0)
	buffer_store_dword v58, off, s[24:27], 0 offset:256 ; 4-byte Folded Spill
	s_nop 0
	buffer_store_dword v59, off, s[24:27], 0 offset:260 ; 4-byte Folded Spill
	buffer_store_dword v60, off, s[24:27], 0 offset:264 ; 4-byte Folded Spill
	;; [unrolled: 1-line block ×4, first 2 shown]
	s_nop 0
	buffer_store_dword v55, off, s[24:27], 0 offset:276 ; 4-byte Folded Spill
	buffer_store_dword v56, off, s[24:27], 0 offset:280 ; 4-byte Folded Spill
	;; [unrolled: 1-line block ×3, first 2 shown]
	s_load_dwordx2 s[4:5], s[4:5], 0x40
	s_cmp_lt_i32 s3, 2
	v_lshlrev_b32_e32 v99, 4, v95
	ds_write2_b64 v1, v[54:55], v[56:57] offset1:1
	global_load_dwordx4 v[52:55], v[2:3], off
	s_waitcnt vmcnt(0)
	buffer_store_dword v52, off, s[24:27], 0 offset:240 ; 4-byte Folded Spill
	s_nop 0
	buffer_store_dword v53, off, s[24:27], 0 offset:244 ; 4-byte Folded Spill
	buffer_store_dword v54, off, s[24:27], 0 offset:248 ; 4-byte Folded Spill
	buffer_store_dword v55, off, s[24:27], 0 offset:252 ; 4-byte Folded Spill
	global_load_dwordx4 v[1:4], v[4:5], off
	s_waitcnt vmcnt(0)
	buffer_store_dword v1, off, s[24:27], 0 offset:224 ; 4-byte Folded Spill
	s_nop 0
	buffer_store_dword v2, off, s[24:27], 0 offset:228 ; 4-byte Folded Spill
	buffer_store_dword v3, off, s[24:27], 0 offset:232 ; 4-byte Folded Spill
	buffer_store_dword v4, off, s[24:27], 0 offset:236 ; 4-byte Folded Spill
	;; [unrolled: 7-line block ×15, first 2 shown]
	global_load_dwordx4 v[1:4], v[32:33], off
	s_waitcnt vmcnt(0)
	buffer_store_dword v1, off, s[24:27], 0 ; 4-byte Folded Spill
	s_nop 0
	buffer_store_dword v2, off, s[24:27], 0 offset:4 ; 4-byte Folded Spill
	buffer_store_dword v3, off, s[24:27], 0 offset:8 ; 4-byte Folded Spill
	;; [unrolled: 1-line block ×3, first 2 shown]
	global_load_dwordx4 v[85:88], v[34:35], off
	global_load_dwordx4 v[81:84], v[36:37], off
	;; [unrolled: 1-line block ×9, first 2 shown]
	s_nop 0
	global_load_dwordx4 v[49:52], v[117:118], off
	global_load_dwordx4 v[45:48], v[119:120], off
	;; [unrolled: 1-line block ×14, first 2 shown]
	s_waitcnt vmcnt(0) lgkmcnt(0)
	s_barrier
	ds_read2_b64 v[117:120], v94 offset1:1
	v_mov_b32_e32 v97, 0
	s_cbranch_scc1 .LBB80_6
; %bb.4:
	v_add3_u32 v95, v99, 0, 16
	s_mov_b32 s0, 1
	v_mov_b32_e32 v97, 0
.LBB80_5:                               ; =>This Inner Loop Header: Depth=1
	s_waitcnt lgkmcnt(0)
	v_cmp_gt_f64_e32 vcc, 0, v[117:118]
	v_xor_b32_e32 v96, 0x80000000, v118
	ds_read2_b64 v[100:103], v95 offset1:1
	v_mov_b32_e32 v104, v117
	v_mov_b32_e32 v106, v119
	v_add_u32_e32 v95, 16, v95
	s_waitcnt lgkmcnt(0)
	v_mov_b32_e32 v108, v102
	v_cndmask_b32_e32 v105, v118, v96, vcc
	v_cmp_gt_f64_e32 vcc, 0, v[119:120]
	v_xor_b32_e32 v96, 0x80000000, v120
	v_cndmask_b32_e32 v107, v120, v96, vcc
	v_cmp_gt_f64_e32 vcc, 0, v[100:101]
	v_xor_b32_e32 v96, 0x80000000, v101
	v_add_f64 v[104:105], v[104:105], v[106:107]
	v_mov_b32_e32 v106, v100
	v_cndmask_b32_e32 v107, v101, v96, vcc
	v_cmp_gt_f64_e32 vcc, 0, v[102:103]
	v_xor_b32_e32 v96, 0x80000000, v103
	v_cndmask_b32_e32 v109, v103, v96, vcc
	v_add_f64 v[106:107], v[106:107], v[108:109]
	v_mov_b32_e32 v96, s0
	s_add_i32 s0, s0, 1
	s_cmp_eq_u32 s3, s0
	v_cmp_lt_f64_e32 vcc, v[104:105], v[106:107]
	v_cndmask_b32_e32 v118, v118, v101, vcc
	v_cndmask_b32_e32 v117, v117, v100, vcc
	;; [unrolled: 1-line block ×5, first 2 shown]
	s_cbranch_scc0 .LBB80_5
.LBB80_6:
	s_waitcnt lgkmcnt(0)
	v_cmp_neq_f64_e32 vcc, 0, v[117:118]
	v_cmp_neq_f64_e64 s[0:1], 0, v[119:120]
	v_mov_b32_e32 v114, v90
	v_mov_b32_e32 v113, v89
	;; [unrolled: 1-line block ×4, first 2 shown]
	s_or_b64 s[18:19], vcc, s[0:1]
	s_and_saveexec_b64 s[0:1], s[18:19]
	s_cbranch_execz .LBB80_12
; %bb.7:
	v_cmp_ngt_f64_e64 s[18:19], |v[117:118]|, |v[119:120]|
	s_and_saveexec_b64 s[20:21], s[18:19]
	s_xor_b64 s[18:19], exec, s[20:21]
	s_cbranch_execz .LBB80_9
; %bb.8:
	v_div_scale_f64 v[95:96], s[20:21], v[119:120], v[119:120], v[117:118]
	v_rcp_f64_e32 v[100:101], v[95:96]
	v_fma_f64 v[102:103], -v[95:96], v[100:101], 1.0
	v_fma_f64 v[100:101], v[100:101], v[102:103], v[100:101]
	v_div_scale_f64 v[102:103], vcc, v[117:118], v[119:120], v[117:118]
	v_fma_f64 v[104:105], -v[95:96], v[100:101], 1.0
	v_fma_f64 v[100:101], v[100:101], v[104:105], v[100:101]
	v_mul_f64 v[104:105], v[102:103], v[100:101]
	v_fma_f64 v[95:96], -v[95:96], v[104:105], v[102:103]
	v_div_fmas_f64 v[95:96], v[95:96], v[100:101], v[104:105]
	v_div_fixup_f64 v[95:96], v[95:96], v[119:120], v[117:118]
	v_fma_f64 v[100:101], v[117:118], v[95:96], v[119:120]
	v_div_scale_f64 v[102:103], s[20:21], v[100:101], v[100:101], 1.0
	v_div_scale_f64 v[108:109], vcc, 1.0, v[100:101], 1.0
	v_rcp_f64_e32 v[104:105], v[102:103]
	v_fma_f64 v[106:107], -v[102:103], v[104:105], 1.0
	v_fma_f64 v[104:105], v[104:105], v[106:107], v[104:105]
	v_fma_f64 v[106:107], -v[102:103], v[104:105], 1.0
	v_fma_f64 v[104:105], v[104:105], v[106:107], v[104:105]
	v_mul_f64 v[106:107], v[108:109], v[104:105]
	v_fma_f64 v[102:103], -v[102:103], v[106:107], v[108:109]
	v_div_fmas_f64 v[102:103], v[102:103], v[104:105], v[106:107]
	v_div_fixup_f64 v[119:120], v[102:103], v[100:101], 1.0
	v_mul_f64 v[117:118], v[95:96], v[119:120]
	v_xor_b32_e32 v120, 0x80000000, v120
.LBB80_9:
	s_andn2_saveexec_b64 s[18:19], s[18:19]
	s_cbranch_execz .LBB80_11
; %bb.10:
	v_div_scale_f64 v[95:96], s[20:21], v[117:118], v[117:118], v[119:120]
	v_rcp_f64_e32 v[100:101], v[95:96]
	v_fma_f64 v[102:103], -v[95:96], v[100:101], 1.0
	v_fma_f64 v[100:101], v[100:101], v[102:103], v[100:101]
	v_div_scale_f64 v[102:103], vcc, v[119:120], v[117:118], v[119:120]
	v_fma_f64 v[104:105], -v[95:96], v[100:101], 1.0
	v_fma_f64 v[100:101], v[100:101], v[104:105], v[100:101]
	v_mul_f64 v[104:105], v[102:103], v[100:101]
	v_fma_f64 v[95:96], -v[95:96], v[104:105], v[102:103]
	v_div_fmas_f64 v[95:96], v[95:96], v[100:101], v[104:105]
	v_div_fixup_f64 v[95:96], v[95:96], v[117:118], v[119:120]
	v_fma_f64 v[100:101], v[119:120], v[95:96], v[117:118]
	v_div_scale_f64 v[102:103], s[20:21], v[100:101], v[100:101], 1.0
	v_div_scale_f64 v[108:109], vcc, 1.0, v[100:101], 1.0
	v_rcp_f64_e32 v[104:105], v[102:103]
	v_fma_f64 v[106:107], -v[102:103], v[104:105], 1.0
	v_fma_f64 v[104:105], v[104:105], v[106:107], v[104:105]
	v_fma_f64 v[106:107], -v[102:103], v[104:105], 1.0
	v_fma_f64 v[104:105], v[104:105], v[106:107], v[104:105]
	v_mul_f64 v[106:107], v[108:109], v[104:105]
	v_fma_f64 v[102:103], -v[102:103], v[106:107], v[108:109]
	v_div_fmas_f64 v[102:103], v[102:103], v[104:105], v[106:107]
	v_div_fixup_f64 v[117:118], v[102:103], v[100:101], 1.0
	v_mul_f64 v[119:120], v[95:96], -v[117:118]
.LBB80_11:
	s_or_b64 exec, exec, s[18:19]
	v_mov_b32_e32 v100, 0
	v_mov_b32_e32 v95, 2
.LBB80_12:
	s_or_b64 exec, exec, s[0:1]
	v_cmp_ne_u32_e32 vcc, v0, v97
	s_and_saveexec_b64 s[0:1], vcc
	s_xor_b64 s[0:1], exec, s[0:1]
	s_cbranch_execz .LBB80_18
; %bb.13:
	v_cmp_eq_u32_e32 vcc, 0, v0
	s_and_saveexec_b64 s[18:19], vcc
	s_cbranch_execz .LBB80_17
; %bb.14:
	v_cmp_ne_u32_e32 vcc, 0, v97
	s_xor_b64 s[20:21], s[6:7], -1
	s_and_b64 s[22:23], s[20:21], vcc
	s_and_saveexec_b64 s[20:21], s[22:23]
	s_cbranch_execz .LBB80_16
; %bb.15:
	v_ashrrev_i32_e32 v98, 31, v97
	v_lshlrev_b64 v[101:102], 2, v[97:98]
	v_add_co_u32_e32 v101, vcc, v91, v101
	v_addc_co_u32_e32 v102, vcc, v92, v102, vcc
	global_load_dword v0, v[101:102], off
	global_load_dword v96, v[91:92], off
	s_waitcnt vmcnt(1)
	global_store_dword v[91:92], v0, off
	s_waitcnt vmcnt(1)
	global_store_dword v[101:102], v96, off
.LBB80_16:
	s_or_b64 exec, exec, s[20:21]
	v_mov_b32_e32 v0, v97
.LBB80_17:
	s_or_b64 exec, exec, s[18:19]
.LBB80_18:
	s_or_saveexec_b64 s[0:1], s[0:1]
	v_mov_b32_e32 v96, v0
	s_xor_b64 exec, exec, s[0:1]
	s_cbranch_execz .LBB80_20
; %bb.19:
	buffer_load_dword v101, off, s[24:27], 0 offset:256 ; 4-byte Folded Reload
	buffer_load_dword v102, off, s[24:27], 0 offset:260 ; 4-byte Folded Reload
	;; [unrolled: 1-line block ×4, first 2 shown]
	v_mov_b32_e32 v96, 0
	s_waitcnt vmcnt(0)
	ds_write2_b64 v94, v[101:102], v[103:104] offset0:2 offset1:3
	buffer_load_dword v101, off, s[24:27], 0 offset:240 ; 4-byte Folded Reload
	buffer_load_dword v102, off, s[24:27], 0 offset:244 ; 4-byte Folded Reload
	buffer_load_dword v103, off, s[24:27], 0 offset:248 ; 4-byte Folded Reload
	buffer_load_dword v104, off, s[24:27], 0 offset:252 ; 4-byte Folded Reload
	s_waitcnt vmcnt(0)
	ds_write2_b64 v94, v[101:102], v[103:104] offset0:4 offset1:5
	buffer_load_dword v101, off, s[24:27], 0 offset:224 ; 4-byte Folded Reload
	buffer_load_dword v102, off, s[24:27], 0 offset:228 ; 4-byte Folded Reload
	buffer_load_dword v103, off, s[24:27], 0 offset:232 ; 4-byte Folded Reload
	buffer_load_dword v104, off, s[24:27], 0 offset:236 ; 4-byte Folded Reload
	;; [unrolled: 6-line block ×15, first 2 shown]
	s_waitcnt vmcnt(0)
	ds_write2_b64 v94, v[101:102], v[103:104] offset0:32 offset1:33
	buffer_load_dword v101, off, s[24:27], 0 ; 4-byte Folded Reload
	buffer_load_dword v102, off, s[24:27], 0 offset:4 ; 4-byte Folded Reload
	buffer_load_dword v103, off, s[24:27], 0 offset:8 ; 4-byte Folded Reload
	;; [unrolled: 1-line block ×3, first 2 shown]
	s_waitcnt vmcnt(0)
	ds_write2_b64 v94, v[101:102], v[103:104] offset0:34 offset1:35
	ds_write2_b64 v94, v[85:86], v[87:88] offset0:36 offset1:37
	;; [unrolled: 1-line block ×24, first 2 shown]
.LBB80_20:
	s_or_b64 exec, exec, s[0:1]
	v_cmp_lt_i32_e32 vcc, 0, v96
	s_waitcnt vmcnt(0) lgkmcnt(0)
	s_barrier
	s_and_saveexec_b64 s[0:1], vcc
	s_cbranch_execz .LBB80_22
; %bb.21:
	buffer_load_dword v105, off, s[24:27], 0 offset:272 ; 4-byte Folded Reload
	buffer_load_dword v106, off, s[24:27], 0 offset:276 ; 4-byte Folded Reload
	;; [unrolled: 1-line block ×4, first 2 shown]
	ds_read2_b64 v[101:104], v94 offset0:2 offset1:3
	s_waitcnt vmcnt(0)
	v_mul_f64 v[97:98], v[119:120], v[107:108]
	v_fma_f64 v[125:126], v[117:118], v[105:106], -v[97:98]
	v_mul_f64 v[97:98], v[117:118], v[107:108]
	v_fma_f64 v[107:108], v[119:120], v[105:106], v[97:98]
	s_waitcnt lgkmcnt(0)
	v_mul_f64 v[97:98], v[103:104], v[107:108]
	v_fma_f64 v[97:98], v[101:102], v[125:126], -v[97:98]
	v_mul_f64 v[101:102], v[101:102], v[107:108]
	v_fma_f64 v[101:102], v[103:104], v[125:126], v[101:102]
	buffer_load_dword v103, off, s[24:27], 0 offset:256 ; 4-byte Folded Reload
	buffer_load_dword v104, off, s[24:27], 0 offset:260 ; 4-byte Folded Reload
	buffer_load_dword v105, off, s[24:27], 0 offset:264 ; 4-byte Folded Reload
	buffer_load_dword v106, off, s[24:27], 0 offset:268 ; 4-byte Folded Reload
	s_waitcnt vmcnt(2)
	v_add_f64 v[103:104], v[103:104], -v[97:98]
	s_waitcnt vmcnt(0)
	v_add_f64 v[105:106], v[105:106], -v[101:102]
	buffer_store_dword v103, off, s[24:27], 0 offset:256 ; 4-byte Folded Spill
	s_nop 0
	buffer_store_dword v104, off, s[24:27], 0 offset:260 ; 4-byte Folded Spill
	buffer_store_dword v105, off, s[24:27], 0 offset:264 ; 4-byte Folded Spill
	buffer_store_dword v106, off, s[24:27], 0 offset:268 ; 4-byte Folded Spill
	ds_read2_b64 v[101:104], v94 offset0:4 offset1:5
	s_waitcnt lgkmcnt(0)
	v_mul_f64 v[97:98], v[103:104], v[107:108]
	v_fma_f64 v[97:98], v[101:102], v[125:126], -v[97:98]
	v_mul_f64 v[101:102], v[101:102], v[107:108]
	v_fma_f64 v[101:102], v[103:104], v[125:126], v[101:102]
	buffer_load_dword v103, off, s[24:27], 0 offset:240 ; 4-byte Folded Reload
	buffer_load_dword v104, off, s[24:27], 0 offset:244 ; 4-byte Folded Reload
	buffer_load_dword v105, off, s[24:27], 0 offset:248 ; 4-byte Folded Reload
	buffer_load_dword v106, off, s[24:27], 0 offset:252 ; 4-byte Folded Reload
	s_waitcnt vmcnt(2)
	v_add_f64 v[103:104], v[103:104], -v[97:98]
	s_waitcnt vmcnt(0)
	v_add_f64 v[105:106], v[105:106], -v[101:102]
	buffer_store_dword v103, off, s[24:27], 0 offset:240 ; 4-byte Folded Spill
	s_nop 0
	buffer_store_dword v104, off, s[24:27], 0 offset:244 ; 4-byte Folded Spill
	buffer_store_dword v105, off, s[24:27], 0 offset:248 ; 4-byte Folded Spill
	buffer_store_dword v106, off, s[24:27], 0 offset:252 ; 4-byte Folded Spill
	ds_read2_b64 v[101:104], v94 offset0:6 offset1:7
	;; [unrolled: 19-line block ×16, first 2 shown]
	s_waitcnt lgkmcnt(0)
	v_mul_f64 v[97:98], v[103:104], v[107:108]
	v_fma_f64 v[97:98], v[101:102], v[125:126], -v[97:98]
	v_mul_f64 v[101:102], v[101:102], v[107:108]
	v_fma_f64 v[101:102], v[103:104], v[125:126], v[101:102]
	buffer_load_dword v103, off, s[24:27], 0 ; 4-byte Folded Reload
	buffer_load_dword v104, off, s[24:27], 0 offset:4 ; 4-byte Folded Reload
	buffer_load_dword v105, off, s[24:27], 0 offset:8 ; 4-byte Folded Reload
	;; [unrolled: 1-line block ×3, first 2 shown]
	s_waitcnt vmcnt(2)
	v_add_f64 v[103:104], v[103:104], -v[97:98]
	s_waitcnt vmcnt(0)
	v_add_f64 v[105:106], v[105:106], -v[101:102]
	buffer_store_dword v103, off, s[24:27], 0 ; 4-byte Folded Spill
	s_nop 0
	buffer_store_dword v104, off, s[24:27], 0 offset:4 ; 4-byte Folded Spill
	buffer_store_dword v105, off, s[24:27], 0 offset:8 ; 4-byte Folded Spill
	;; [unrolled: 1-line block ×3, first 2 shown]
	ds_read2_b64 v[101:104], v94 offset0:36 offset1:37
	v_mov_b32_e32 v105, v125
	v_mov_b32_e32 v106, v126
	s_waitcnt lgkmcnt(0)
	v_mul_f64 v[97:98], v[103:104], v[107:108]
	v_fma_f64 v[97:98], v[101:102], v[125:126], -v[97:98]
	v_mul_f64 v[101:102], v[101:102], v[107:108]
	v_add_f64 v[85:86], v[85:86], -v[97:98]
	v_fma_f64 v[101:102], v[103:104], v[125:126], v[101:102]
	v_add_f64 v[87:88], v[87:88], -v[101:102]
	ds_read2_b64 v[101:104], v94 offset0:38 offset1:39
	s_waitcnt lgkmcnt(0)
	v_mul_f64 v[97:98], v[103:104], v[107:108]
	v_fma_f64 v[97:98], v[101:102], v[125:126], -v[97:98]
	v_mul_f64 v[101:102], v[101:102], v[107:108]
	v_add_f64 v[81:82], v[81:82], -v[97:98]
	v_fma_f64 v[101:102], v[103:104], v[125:126], v[101:102]
	v_add_f64 v[83:84], v[83:84], -v[101:102]
	ds_read2_b64 v[101:104], v94 offset0:40 offset1:41
	;; [unrolled: 8-line block ×22, first 2 shown]
	s_waitcnt lgkmcnt(0)
	v_mul_f64 v[97:98], v[103:104], v[107:108]
	v_fma_f64 v[97:98], v[101:102], v[125:126], -v[97:98]
	v_mul_f64 v[101:102], v[101:102], v[107:108]
	buffer_store_dword v105, off, s[24:27], 0 offset:272 ; 4-byte Folded Spill
	s_nop 0
	buffer_store_dword v106, off, s[24:27], 0 offset:276 ; 4-byte Folded Spill
	buffer_store_dword v107, off, s[24:27], 0 offset:280 ; 4-byte Folded Spill
	;; [unrolled: 1-line block ×3, first 2 shown]
	v_add_f64 v[121:122], v[121:122], -v[97:98]
	v_fma_f64 v[101:102], v[103:104], v[125:126], v[101:102]
	v_add_f64 v[123:124], v[123:124], -v[101:102]
.LBB80_22:
	s_or_b64 exec, exec, s[0:1]
	s_waitcnt vmcnt(0)
	s_barrier
	buffer_load_dword v101, off, s[24:27], 0 offset:256 ; 4-byte Folded Reload
	buffer_load_dword v102, off, s[24:27], 0 offset:260 ; 4-byte Folded Reload
	;; [unrolled: 1-line block ×4, first 2 shown]
	v_lshl_add_u32 v97, v96, 4, v94
	s_cmp_lt_i32 s3, 3
	s_waitcnt vmcnt(0)
	ds_write2_b64 v97, v[101:102], v[103:104] offset1:1
	s_waitcnt lgkmcnt(0)
	s_barrier
	ds_read2_b64 v[117:120], v94 offset0:2 offset1:3
	v_mov_b32_e32 v97, 1
	s_cbranch_scc1 .LBB80_25
; %bb.23:
	v_add3_u32 v98, v99, 0, 32
	s_mov_b32 s0, 2
	v_mov_b32_e32 v97, 1
.LBB80_24:                              ; =>This Inner Loop Header: Depth=1
	s_waitcnt lgkmcnt(0)
	v_cmp_gt_f64_e32 vcc, 0, v[117:118]
	v_xor_b32_e32 v105, 0x80000000, v118
	ds_read2_b64 v[101:104], v98 offset1:1
	v_xor_b32_e32 v107, 0x80000000, v120
	v_add_u32_e32 v98, 16, v98
	s_waitcnt lgkmcnt(0)
	v_xor_b32_e32 v109, 0x80000000, v104
	v_cndmask_b32_e32 v106, v118, v105, vcc
	v_cmp_gt_f64_e32 vcc, 0, v[119:120]
	v_mov_b32_e32 v105, v117
	v_cndmask_b32_e32 v108, v120, v107, vcc
	v_cmp_gt_f64_e32 vcc, 0, v[101:102]
	v_mov_b32_e32 v107, v119
	v_add_f64 v[105:106], v[105:106], v[107:108]
	v_xor_b32_e32 v107, 0x80000000, v102
	v_cndmask_b32_e32 v108, v102, v107, vcc
	v_cmp_gt_f64_e32 vcc, 0, v[103:104]
	v_mov_b32_e32 v107, v101
	v_cndmask_b32_e32 v110, v104, v109, vcc
	v_mov_b32_e32 v109, v103
	v_add_f64 v[107:108], v[107:108], v[109:110]
	v_cmp_lt_f64_e32 vcc, v[105:106], v[107:108]
	v_cndmask_b32_e32 v117, v117, v101, vcc
	v_mov_b32_e32 v101, s0
	s_add_i32 s0, s0, 1
	v_cndmask_b32_e32 v118, v118, v102, vcc
	v_cndmask_b32_e32 v120, v120, v104, vcc
	;; [unrolled: 1-line block ×4, first 2 shown]
	s_cmp_lg_u32 s3, s0
	s_cbranch_scc1 .LBB80_24
.LBB80_25:
	s_waitcnt lgkmcnt(0)
	v_cmp_neq_f64_e32 vcc, 0, v[117:118]
	v_cmp_neq_f64_e64 s[0:1], 0, v[119:120]
	s_or_b64 s[18:19], vcc, s[0:1]
	s_and_saveexec_b64 s[0:1], s[18:19]
	s_cbranch_execz .LBB80_31
; %bb.26:
	v_cmp_ngt_f64_e64 s[18:19], |v[117:118]|, |v[119:120]|
	s_and_saveexec_b64 s[20:21], s[18:19]
	s_xor_b64 s[18:19], exec, s[20:21]
	s_cbranch_execz .LBB80_28
; %bb.27:
	v_div_scale_f64 v[101:102], s[20:21], v[119:120], v[119:120], v[117:118]
	v_rcp_f64_e32 v[103:104], v[101:102]
	v_fma_f64 v[105:106], -v[101:102], v[103:104], 1.0
	v_fma_f64 v[103:104], v[103:104], v[105:106], v[103:104]
	v_div_scale_f64 v[105:106], vcc, v[117:118], v[119:120], v[117:118]
	v_fma_f64 v[107:108], -v[101:102], v[103:104], 1.0
	v_fma_f64 v[103:104], v[103:104], v[107:108], v[103:104]
	v_mul_f64 v[107:108], v[105:106], v[103:104]
	v_fma_f64 v[101:102], -v[101:102], v[107:108], v[105:106]
	v_div_fmas_f64 v[101:102], v[101:102], v[103:104], v[107:108]
	v_div_fixup_f64 v[101:102], v[101:102], v[119:120], v[117:118]
	v_fma_f64 v[103:104], v[117:118], v[101:102], v[119:120]
	v_div_scale_f64 v[105:106], s[20:21], v[103:104], v[103:104], 1.0
	v_div_scale_f64 v[111:112], vcc, 1.0, v[103:104], 1.0
	v_rcp_f64_e32 v[107:108], v[105:106]
	v_fma_f64 v[109:110], -v[105:106], v[107:108], 1.0
	v_fma_f64 v[107:108], v[107:108], v[109:110], v[107:108]
	v_fma_f64 v[109:110], -v[105:106], v[107:108], 1.0
	v_fma_f64 v[107:108], v[107:108], v[109:110], v[107:108]
	v_mul_f64 v[109:110], v[111:112], v[107:108]
	v_fma_f64 v[105:106], -v[105:106], v[109:110], v[111:112]
	v_div_fmas_f64 v[105:106], v[105:106], v[107:108], v[109:110]
	v_div_fixup_f64 v[119:120], v[105:106], v[103:104], 1.0
	v_mul_f64 v[117:118], v[101:102], v[119:120]
	v_xor_b32_e32 v120, 0x80000000, v120
.LBB80_28:
	s_andn2_saveexec_b64 s[18:19], s[18:19]
	s_cbranch_execz .LBB80_30
; %bb.29:
	v_div_scale_f64 v[101:102], s[20:21], v[117:118], v[117:118], v[119:120]
	v_rcp_f64_e32 v[103:104], v[101:102]
	v_fma_f64 v[105:106], -v[101:102], v[103:104], 1.0
	v_fma_f64 v[103:104], v[103:104], v[105:106], v[103:104]
	v_div_scale_f64 v[105:106], vcc, v[119:120], v[117:118], v[119:120]
	v_fma_f64 v[107:108], -v[101:102], v[103:104], 1.0
	v_fma_f64 v[103:104], v[103:104], v[107:108], v[103:104]
	v_mul_f64 v[107:108], v[105:106], v[103:104]
	v_fma_f64 v[101:102], -v[101:102], v[107:108], v[105:106]
	v_div_fmas_f64 v[101:102], v[101:102], v[103:104], v[107:108]
	v_div_fixup_f64 v[101:102], v[101:102], v[117:118], v[119:120]
	v_fma_f64 v[103:104], v[119:120], v[101:102], v[117:118]
	v_div_scale_f64 v[105:106], s[20:21], v[103:104], v[103:104], 1.0
	v_div_scale_f64 v[111:112], vcc, 1.0, v[103:104], 1.0
	v_rcp_f64_e32 v[107:108], v[105:106]
	v_fma_f64 v[109:110], -v[105:106], v[107:108], 1.0
	v_fma_f64 v[107:108], v[107:108], v[109:110], v[107:108]
	v_fma_f64 v[109:110], -v[105:106], v[107:108], 1.0
	v_fma_f64 v[107:108], v[107:108], v[109:110], v[107:108]
	v_mul_f64 v[109:110], v[111:112], v[107:108]
	v_fma_f64 v[105:106], -v[105:106], v[109:110], v[111:112]
	v_div_fmas_f64 v[105:106], v[105:106], v[107:108], v[109:110]
	v_div_fixup_f64 v[117:118], v[105:106], v[103:104], 1.0
	v_mul_f64 v[119:120], v[101:102], -v[117:118]
.LBB80_30:
	s_or_b64 exec, exec, s[18:19]
	v_mov_b32_e32 v95, v100
.LBB80_31:
	s_or_b64 exec, exec, s[0:1]
	v_cmp_ne_u32_e32 vcc, v96, v97
	s_and_saveexec_b64 s[0:1], vcc
	s_xor_b64 s[0:1], exec, s[0:1]
	s_cbranch_execz .LBB80_37
; %bb.32:
	v_cmp_eq_u32_e32 vcc, 1, v96
	s_and_saveexec_b64 s[18:19], vcc
	s_cbranch_execz .LBB80_36
; %bb.33:
	v_cmp_ne_u32_e32 vcc, 1, v97
	s_xor_b64 s[20:21], s[6:7], -1
	s_and_b64 s[22:23], s[20:21], vcc
	s_and_saveexec_b64 s[20:21], s[22:23]
	s_cbranch_execz .LBB80_35
; %bb.34:
	v_ashrrev_i32_e32 v98, 31, v97
	v_lshlrev_b64 v[100:101], 2, v[97:98]
	v_add_co_u32_e32 v100, vcc, v91, v100
	v_addc_co_u32_e32 v101, vcc, v92, v101, vcc
	global_load_dword v0, v[100:101], off
	global_load_dword v96, v[91:92], off offset:4
	s_waitcnt vmcnt(1)
	global_store_dword v[91:92], v0, off offset:4
	s_waitcnt vmcnt(1)
	global_store_dword v[100:101], v96, off
.LBB80_35:
	s_or_b64 exec, exec, s[20:21]
	v_mov_b32_e32 v96, v97
	v_mov_b32_e32 v0, v97
.LBB80_36:
	s_or_b64 exec, exec, s[18:19]
.LBB80_37:
	s_andn2_saveexec_b64 s[0:1], s[0:1]
	s_cbranch_execz .LBB80_39
; %bb.38:
	buffer_load_dword v100, off, s[24:27], 0 offset:240 ; 4-byte Folded Reload
	buffer_load_dword v101, off, s[24:27], 0 offset:244 ; 4-byte Folded Reload
	;; [unrolled: 1-line block ×4, first 2 shown]
	v_mov_b32_e32 v96, 1
	s_waitcnt vmcnt(0)
	ds_write2_b64 v94, v[100:101], v[102:103] offset0:4 offset1:5
	buffer_load_dword v100, off, s[24:27], 0 offset:224 ; 4-byte Folded Reload
	buffer_load_dword v101, off, s[24:27], 0 offset:228 ; 4-byte Folded Reload
	buffer_load_dword v102, off, s[24:27], 0 offset:232 ; 4-byte Folded Reload
	buffer_load_dword v103, off, s[24:27], 0 offset:236 ; 4-byte Folded Reload
	s_waitcnt vmcnt(0)
	ds_write2_b64 v94, v[100:101], v[102:103] offset0:6 offset1:7
	buffer_load_dword v100, off, s[24:27], 0 offset:208 ; 4-byte Folded Reload
	buffer_load_dword v101, off, s[24:27], 0 offset:212 ; 4-byte Folded Reload
	buffer_load_dword v102, off, s[24:27], 0 offset:216 ; 4-byte Folded Reload
	buffer_load_dword v103, off, s[24:27], 0 offset:220 ; 4-byte Folded Reload
	;; [unrolled: 6-line block ×14, first 2 shown]
	s_waitcnt vmcnt(0)
	ds_write2_b64 v94, v[100:101], v[102:103] offset0:32 offset1:33
	buffer_load_dword v100, off, s[24:27], 0 ; 4-byte Folded Reload
	buffer_load_dword v101, off, s[24:27], 0 offset:4 ; 4-byte Folded Reload
	buffer_load_dword v102, off, s[24:27], 0 offset:8 ; 4-byte Folded Reload
	;; [unrolled: 1-line block ×3, first 2 shown]
	s_waitcnt vmcnt(0)
	ds_write2_b64 v94, v[100:101], v[102:103] offset0:34 offset1:35
	ds_write2_b64 v94, v[85:86], v[87:88] offset0:36 offset1:37
	;; [unrolled: 1-line block ×24, first 2 shown]
.LBB80_39:
	s_or_b64 exec, exec, s[0:1]
	v_cmp_lt_i32_e32 vcc, 1, v96
	s_waitcnt vmcnt(0) lgkmcnt(0)
	s_barrier
	s_and_saveexec_b64 s[0:1], vcc
	s_cbranch_execz .LBB80_41
; %bb.40:
	buffer_load_dword v104, off, s[24:27], 0 offset:256 ; 4-byte Folded Reload
	buffer_load_dword v105, off, s[24:27], 0 offset:260 ; 4-byte Folded Reload
	;; [unrolled: 1-line block ×4, first 2 shown]
	ds_read2_b64 v[100:103], v94 offset0:4 offset1:5
	s_waitcnt vmcnt(0)
	v_mul_f64 v[97:98], v[119:120], v[106:107]
	v_fma_f64 v[125:126], v[117:118], v[104:105], -v[97:98]
	v_mul_f64 v[97:98], v[117:118], v[106:107]
	v_fma_f64 v[106:107], v[119:120], v[104:105], v[97:98]
	s_waitcnt lgkmcnt(0)
	v_mul_f64 v[97:98], v[102:103], v[106:107]
	v_fma_f64 v[97:98], v[100:101], v[125:126], -v[97:98]
	v_mul_f64 v[100:101], v[100:101], v[106:107]
	v_fma_f64 v[100:101], v[102:103], v[125:126], v[100:101]
	buffer_load_dword v102, off, s[24:27], 0 offset:240 ; 4-byte Folded Reload
	buffer_load_dword v103, off, s[24:27], 0 offset:244 ; 4-byte Folded Reload
	buffer_load_dword v104, off, s[24:27], 0 offset:248 ; 4-byte Folded Reload
	buffer_load_dword v105, off, s[24:27], 0 offset:252 ; 4-byte Folded Reload
	s_waitcnt vmcnt(2)
	v_add_f64 v[102:103], v[102:103], -v[97:98]
	s_waitcnt vmcnt(0)
	v_add_f64 v[104:105], v[104:105], -v[100:101]
	buffer_store_dword v102, off, s[24:27], 0 offset:240 ; 4-byte Folded Spill
	s_nop 0
	buffer_store_dword v103, off, s[24:27], 0 offset:244 ; 4-byte Folded Spill
	buffer_store_dword v104, off, s[24:27], 0 offset:248 ; 4-byte Folded Spill
	buffer_store_dword v105, off, s[24:27], 0 offset:252 ; 4-byte Folded Spill
	ds_read2_b64 v[100:103], v94 offset0:6 offset1:7
	s_waitcnt lgkmcnt(0)
	v_mul_f64 v[97:98], v[102:103], v[106:107]
	v_fma_f64 v[97:98], v[100:101], v[125:126], -v[97:98]
	v_mul_f64 v[100:101], v[100:101], v[106:107]
	v_fma_f64 v[100:101], v[102:103], v[125:126], v[100:101]
	buffer_load_dword v102, off, s[24:27], 0 offset:224 ; 4-byte Folded Reload
	buffer_load_dword v103, off, s[24:27], 0 offset:228 ; 4-byte Folded Reload
	buffer_load_dword v104, off, s[24:27], 0 offset:232 ; 4-byte Folded Reload
	buffer_load_dword v105, off, s[24:27], 0 offset:236 ; 4-byte Folded Reload
	s_waitcnt vmcnt(2)
	v_add_f64 v[102:103], v[102:103], -v[97:98]
	s_waitcnt vmcnt(0)
	v_add_f64 v[104:105], v[104:105], -v[100:101]
	buffer_store_dword v102, off, s[24:27], 0 offset:224 ; 4-byte Folded Spill
	s_nop 0
	buffer_store_dword v103, off, s[24:27], 0 offset:228 ; 4-byte Folded Spill
	buffer_store_dword v104, off, s[24:27], 0 offset:232 ; 4-byte Folded Spill
	buffer_store_dword v105, off, s[24:27], 0 offset:236 ; 4-byte Folded Spill
	ds_read2_b64 v[100:103], v94 offset0:8 offset1:9
	;; [unrolled: 19-line block ×15, first 2 shown]
	s_waitcnt lgkmcnt(0)
	v_mul_f64 v[97:98], v[102:103], v[106:107]
	v_fma_f64 v[97:98], v[100:101], v[125:126], -v[97:98]
	v_mul_f64 v[100:101], v[100:101], v[106:107]
	v_fma_f64 v[100:101], v[102:103], v[125:126], v[100:101]
	buffer_load_dword v102, off, s[24:27], 0 ; 4-byte Folded Reload
	buffer_load_dword v103, off, s[24:27], 0 offset:4 ; 4-byte Folded Reload
	buffer_load_dword v104, off, s[24:27], 0 offset:8 ; 4-byte Folded Reload
	;; [unrolled: 1-line block ×3, first 2 shown]
	s_waitcnt vmcnt(2)
	v_add_f64 v[102:103], v[102:103], -v[97:98]
	s_waitcnt vmcnt(0)
	v_add_f64 v[104:105], v[104:105], -v[100:101]
	buffer_store_dword v102, off, s[24:27], 0 ; 4-byte Folded Spill
	s_nop 0
	buffer_store_dword v103, off, s[24:27], 0 offset:4 ; 4-byte Folded Spill
	buffer_store_dword v104, off, s[24:27], 0 offset:8 ; 4-byte Folded Spill
	;; [unrolled: 1-line block ×3, first 2 shown]
	ds_read2_b64 v[100:103], v94 offset0:36 offset1:37
	v_mov_b32_e32 v104, v125
	v_mov_b32_e32 v105, v126
	s_waitcnt lgkmcnt(0)
	v_mul_f64 v[97:98], v[102:103], v[106:107]
	v_fma_f64 v[97:98], v[100:101], v[125:126], -v[97:98]
	v_mul_f64 v[100:101], v[100:101], v[106:107]
	v_add_f64 v[85:86], v[85:86], -v[97:98]
	v_fma_f64 v[100:101], v[102:103], v[125:126], v[100:101]
	v_add_f64 v[87:88], v[87:88], -v[100:101]
	ds_read2_b64 v[100:103], v94 offset0:38 offset1:39
	s_waitcnt lgkmcnt(0)
	v_mul_f64 v[97:98], v[102:103], v[106:107]
	v_fma_f64 v[97:98], v[100:101], v[125:126], -v[97:98]
	v_mul_f64 v[100:101], v[100:101], v[106:107]
	v_add_f64 v[81:82], v[81:82], -v[97:98]
	v_fma_f64 v[100:101], v[102:103], v[125:126], v[100:101]
	v_add_f64 v[83:84], v[83:84], -v[100:101]
	ds_read2_b64 v[100:103], v94 offset0:40 offset1:41
	;; [unrolled: 8-line block ×22, first 2 shown]
	s_waitcnt lgkmcnt(0)
	v_mul_f64 v[97:98], v[102:103], v[106:107]
	v_fma_f64 v[97:98], v[100:101], v[125:126], -v[97:98]
	v_mul_f64 v[100:101], v[100:101], v[106:107]
	buffer_store_dword v104, off, s[24:27], 0 offset:256 ; 4-byte Folded Spill
	s_nop 0
	buffer_store_dword v105, off, s[24:27], 0 offset:260 ; 4-byte Folded Spill
	buffer_store_dword v106, off, s[24:27], 0 offset:264 ; 4-byte Folded Spill
	;; [unrolled: 1-line block ×3, first 2 shown]
	v_add_f64 v[121:122], v[121:122], -v[97:98]
	v_fma_f64 v[100:101], v[102:103], v[125:126], v[100:101]
	v_add_f64 v[123:124], v[123:124], -v[100:101]
.LBB80_41:
	s_or_b64 exec, exec, s[0:1]
	s_waitcnt vmcnt(0)
	s_barrier
	buffer_load_dword v100, off, s[24:27], 0 offset:240 ; 4-byte Folded Reload
	buffer_load_dword v101, off, s[24:27], 0 offset:244 ; 4-byte Folded Reload
	;; [unrolled: 1-line block ×4, first 2 shown]
	v_lshl_add_u32 v97, v96, 4, v94
	s_cmp_lt_i32 s3, 4
	s_waitcnt vmcnt(0)
	ds_write2_b64 v97, v[100:101], v[102:103] offset1:1
	s_waitcnt lgkmcnt(0)
	s_barrier
	ds_read2_b64 v[117:120], v94 offset0:4 offset1:5
	v_mov_b32_e32 v97, 2
	s_cbranch_scc1 .LBB80_44
; %bb.42:
	v_add3_u32 v98, v99, 0, 48
	s_mov_b32 s0, 3
	v_mov_b32_e32 v97, 2
.LBB80_43:                              ; =>This Inner Loop Header: Depth=1
	s_waitcnt lgkmcnt(0)
	v_cmp_gt_f64_e32 vcc, 0, v[117:118]
	v_xor_b32_e32 v104, 0x80000000, v118
	ds_read2_b64 v[100:103], v98 offset1:1
	v_xor_b32_e32 v106, 0x80000000, v120
	v_add_u32_e32 v98, 16, v98
	s_waitcnt lgkmcnt(0)
	v_xor_b32_e32 v108, 0x80000000, v103
	v_cndmask_b32_e32 v105, v118, v104, vcc
	v_cmp_gt_f64_e32 vcc, 0, v[119:120]
	v_mov_b32_e32 v104, v117
	v_cndmask_b32_e32 v107, v120, v106, vcc
	v_cmp_gt_f64_e32 vcc, 0, v[100:101]
	v_mov_b32_e32 v106, v119
	v_add_f64 v[104:105], v[104:105], v[106:107]
	v_xor_b32_e32 v106, 0x80000000, v101
	v_cndmask_b32_e32 v107, v101, v106, vcc
	v_cmp_gt_f64_e32 vcc, 0, v[102:103]
	v_mov_b32_e32 v106, v100
	v_cndmask_b32_e32 v109, v103, v108, vcc
	v_mov_b32_e32 v108, v102
	v_add_f64 v[106:107], v[106:107], v[108:109]
	v_cmp_lt_f64_e32 vcc, v[104:105], v[106:107]
	v_cndmask_b32_e32 v117, v117, v100, vcc
	v_mov_b32_e32 v100, s0
	s_add_i32 s0, s0, 1
	v_cndmask_b32_e32 v118, v118, v101, vcc
	v_cndmask_b32_e32 v120, v120, v103, vcc
	;; [unrolled: 1-line block ×4, first 2 shown]
	s_cmp_lg_u32 s3, s0
	s_cbranch_scc1 .LBB80_43
.LBB80_44:
	s_waitcnt lgkmcnt(0)
	v_cmp_eq_f64_e32 vcc, 0, v[117:118]
	v_cmp_eq_f64_e64 s[0:1], 0, v[119:120]
	s_and_b64 s[0:1], vcc, s[0:1]
	s_and_saveexec_b64 s[18:19], s[0:1]
	s_xor_b64 s[0:1], exec, s[18:19]
; %bb.45:
	v_cmp_ne_u32_e32 vcc, 0, v95
	v_cndmask_b32_e32 v95, 3, v95, vcc
; %bb.46:
	s_andn2_saveexec_b64 s[0:1], s[0:1]
	s_cbranch_execz .LBB80_52
; %bb.47:
	v_cmp_ngt_f64_e64 s[18:19], |v[117:118]|, |v[119:120]|
	s_and_saveexec_b64 s[20:21], s[18:19]
	s_xor_b64 s[18:19], exec, s[20:21]
	s_cbranch_execz .LBB80_49
; %bb.48:
	v_div_scale_f64 v[100:101], s[20:21], v[119:120], v[119:120], v[117:118]
	v_rcp_f64_e32 v[102:103], v[100:101]
	v_fma_f64 v[104:105], -v[100:101], v[102:103], 1.0
	v_fma_f64 v[102:103], v[102:103], v[104:105], v[102:103]
	v_div_scale_f64 v[104:105], vcc, v[117:118], v[119:120], v[117:118]
	v_fma_f64 v[106:107], -v[100:101], v[102:103], 1.0
	v_fma_f64 v[102:103], v[102:103], v[106:107], v[102:103]
	v_mul_f64 v[106:107], v[104:105], v[102:103]
	v_fma_f64 v[100:101], -v[100:101], v[106:107], v[104:105]
	v_div_fmas_f64 v[100:101], v[100:101], v[102:103], v[106:107]
	v_div_fixup_f64 v[100:101], v[100:101], v[119:120], v[117:118]
	v_fma_f64 v[102:103], v[117:118], v[100:101], v[119:120]
	v_div_scale_f64 v[104:105], s[20:21], v[102:103], v[102:103], 1.0
	v_div_scale_f64 v[110:111], vcc, 1.0, v[102:103], 1.0
	v_rcp_f64_e32 v[106:107], v[104:105]
	v_fma_f64 v[108:109], -v[104:105], v[106:107], 1.0
	v_fma_f64 v[106:107], v[106:107], v[108:109], v[106:107]
	v_fma_f64 v[108:109], -v[104:105], v[106:107], 1.0
	v_fma_f64 v[106:107], v[106:107], v[108:109], v[106:107]
	v_mul_f64 v[108:109], v[110:111], v[106:107]
	v_fma_f64 v[104:105], -v[104:105], v[108:109], v[110:111]
	v_div_fmas_f64 v[104:105], v[104:105], v[106:107], v[108:109]
	v_div_fixup_f64 v[119:120], v[104:105], v[102:103], 1.0
	v_mul_f64 v[117:118], v[100:101], v[119:120]
	v_xor_b32_e32 v120, 0x80000000, v120
.LBB80_49:
	s_andn2_saveexec_b64 s[18:19], s[18:19]
	s_cbranch_execz .LBB80_51
; %bb.50:
	v_div_scale_f64 v[100:101], s[20:21], v[117:118], v[117:118], v[119:120]
	v_rcp_f64_e32 v[102:103], v[100:101]
	v_fma_f64 v[104:105], -v[100:101], v[102:103], 1.0
	v_fma_f64 v[102:103], v[102:103], v[104:105], v[102:103]
	v_div_scale_f64 v[104:105], vcc, v[119:120], v[117:118], v[119:120]
	v_fma_f64 v[106:107], -v[100:101], v[102:103], 1.0
	v_fma_f64 v[102:103], v[102:103], v[106:107], v[102:103]
	v_mul_f64 v[106:107], v[104:105], v[102:103]
	v_fma_f64 v[100:101], -v[100:101], v[106:107], v[104:105]
	v_div_fmas_f64 v[100:101], v[100:101], v[102:103], v[106:107]
	v_div_fixup_f64 v[100:101], v[100:101], v[117:118], v[119:120]
	v_fma_f64 v[102:103], v[119:120], v[100:101], v[117:118]
	v_div_scale_f64 v[104:105], s[20:21], v[102:103], v[102:103], 1.0
	v_div_scale_f64 v[110:111], vcc, 1.0, v[102:103], 1.0
	v_rcp_f64_e32 v[106:107], v[104:105]
	v_fma_f64 v[108:109], -v[104:105], v[106:107], 1.0
	v_fma_f64 v[106:107], v[106:107], v[108:109], v[106:107]
	v_fma_f64 v[108:109], -v[104:105], v[106:107], 1.0
	v_fma_f64 v[106:107], v[106:107], v[108:109], v[106:107]
	v_mul_f64 v[108:109], v[110:111], v[106:107]
	v_fma_f64 v[104:105], -v[104:105], v[108:109], v[110:111]
	v_div_fmas_f64 v[104:105], v[104:105], v[106:107], v[108:109]
	v_div_fixup_f64 v[117:118], v[104:105], v[102:103], 1.0
	v_mul_f64 v[119:120], v[100:101], -v[117:118]
.LBB80_51:
	s_or_b64 exec, exec, s[18:19]
.LBB80_52:
	s_or_b64 exec, exec, s[0:1]
	v_cmp_ne_u32_e32 vcc, v96, v97
	s_and_saveexec_b64 s[0:1], vcc
	s_xor_b64 s[0:1], exec, s[0:1]
	s_cbranch_execz .LBB80_58
; %bb.53:
	v_cmp_eq_u32_e32 vcc, 2, v96
	s_and_saveexec_b64 s[18:19], vcc
	s_cbranch_execz .LBB80_57
; %bb.54:
	v_cmp_ne_u32_e32 vcc, 2, v97
	s_xor_b64 s[20:21], s[6:7], -1
	s_and_b64 s[22:23], s[20:21], vcc
	s_and_saveexec_b64 s[20:21], s[22:23]
	s_cbranch_execz .LBB80_56
; %bb.55:
	v_ashrrev_i32_e32 v98, 31, v97
	v_lshlrev_b64 v[100:101], 2, v[97:98]
	v_add_co_u32_e32 v100, vcc, v91, v100
	v_addc_co_u32_e32 v101, vcc, v92, v101, vcc
	global_load_dword v0, v[100:101], off
	global_load_dword v96, v[91:92], off offset:8
	s_waitcnt vmcnt(1)
	global_store_dword v[91:92], v0, off offset:8
	s_waitcnt vmcnt(1)
	global_store_dword v[100:101], v96, off
.LBB80_56:
	s_or_b64 exec, exec, s[20:21]
	v_mov_b32_e32 v96, v97
	v_mov_b32_e32 v0, v97
.LBB80_57:
	s_or_b64 exec, exec, s[18:19]
.LBB80_58:
	s_andn2_saveexec_b64 s[0:1], s[0:1]
	s_cbranch_execz .LBB80_60
; %bb.59:
	buffer_load_dword v100, off, s[24:27], 0 offset:224 ; 4-byte Folded Reload
	buffer_load_dword v101, off, s[24:27], 0 offset:228 ; 4-byte Folded Reload
	;; [unrolled: 1-line block ×4, first 2 shown]
	v_mov_b32_e32 v96, 2
	s_waitcnt vmcnt(0)
	ds_write2_b64 v94, v[100:101], v[102:103] offset0:6 offset1:7
	buffer_load_dword v100, off, s[24:27], 0 offset:208 ; 4-byte Folded Reload
	buffer_load_dword v101, off, s[24:27], 0 offset:212 ; 4-byte Folded Reload
	buffer_load_dword v102, off, s[24:27], 0 offset:216 ; 4-byte Folded Reload
	buffer_load_dword v103, off, s[24:27], 0 offset:220 ; 4-byte Folded Reload
	s_waitcnt vmcnt(0)
	ds_write2_b64 v94, v[100:101], v[102:103] offset0:8 offset1:9
	buffer_load_dword v100, off, s[24:27], 0 offset:192 ; 4-byte Folded Reload
	buffer_load_dword v101, off, s[24:27], 0 offset:196 ; 4-byte Folded Reload
	buffer_load_dword v102, off, s[24:27], 0 offset:200 ; 4-byte Folded Reload
	buffer_load_dword v103, off, s[24:27], 0 offset:204 ; 4-byte Folded Reload
	;; [unrolled: 6-line block ×13, first 2 shown]
	s_waitcnt vmcnt(0)
	ds_write2_b64 v94, v[100:101], v[102:103] offset0:32 offset1:33
	buffer_load_dword v100, off, s[24:27], 0 ; 4-byte Folded Reload
	buffer_load_dword v101, off, s[24:27], 0 offset:4 ; 4-byte Folded Reload
	buffer_load_dword v102, off, s[24:27], 0 offset:8 ; 4-byte Folded Reload
	;; [unrolled: 1-line block ×3, first 2 shown]
	s_waitcnt vmcnt(0)
	ds_write2_b64 v94, v[100:101], v[102:103] offset0:34 offset1:35
	ds_write2_b64 v94, v[85:86], v[87:88] offset0:36 offset1:37
	ds_write2_b64 v94, v[81:82], v[83:84] offset0:38 offset1:39
	ds_write2_b64 v94, v[77:78], v[79:80] offset0:40 offset1:41
	ds_write2_b64 v94, v[73:74], v[75:76] offset0:42 offset1:43
	ds_write2_b64 v94, v[69:70], v[71:72] offset0:44 offset1:45
	ds_write2_b64 v94, v[65:66], v[67:68] offset0:46 offset1:47
	ds_write2_b64 v94, v[61:62], v[63:64] offset0:48 offset1:49
	ds_write2_b64 v94, v[57:58], v[59:60] offset0:50 offset1:51
	ds_write2_b64 v94, v[53:54], v[55:56] offset0:52 offset1:53
	ds_write2_b64 v94, v[49:50], v[51:52] offset0:54 offset1:55
	ds_write2_b64 v94, v[45:46], v[47:48] offset0:56 offset1:57
	ds_write2_b64 v94, v[41:42], v[43:44] offset0:58 offset1:59
	ds_write2_b64 v94, v[37:38], v[39:40] offset0:60 offset1:61
	ds_write2_b64 v94, v[33:34], v[35:36] offset0:62 offset1:63
	ds_write2_b64 v94, v[29:30], v[31:32] offset0:64 offset1:65
	ds_write2_b64 v94, v[25:26], v[27:28] offset0:66 offset1:67
	ds_write2_b64 v94, v[21:22], v[23:24] offset0:68 offset1:69
	ds_write2_b64 v94, v[17:18], v[19:20] offset0:70 offset1:71
	ds_write2_b64 v94, v[13:14], v[15:16] offset0:72 offset1:73
	ds_write2_b64 v94, v[9:10], v[11:12] offset0:74 offset1:75
	ds_write2_b64 v94, v[5:6], v[7:8] offset0:76 offset1:77
	ds_write2_b64 v94, v[1:2], v[3:4] offset0:78 offset1:79
	ds_write2_b64 v94, v[121:122], v[123:124] offset0:80 offset1:81
.LBB80_60:
	s_or_b64 exec, exec, s[0:1]
	v_cmp_lt_i32_e32 vcc, 2, v96
	s_waitcnt vmcnt(0) lgkmcnt(0)
	s_barrier
	s_and_saveexec_b64 s[0:1], vcc
	s_cbranch_execz .LBB80_62
; %bb.61:
	buffer_load_dword v104, off, s[24:27], 0 offset:240 ; 4-byte Folded Reload
	buffer_load_dword v105, off, s[24:27], 0 offset:244 ; 4-byte Folded Reload
	;; [unrolled: 1-line block ×4, first 2 shown]
	ds_read2_b64 v[100:103], v94 offset0:6 offset1:7
	s_waitcnt vmcnt(0)
	v_mul_f64 v[97:98], v[119:120], v[106:107]
	v_fma_f64 v[125:126], v[117:118], v[104:105], -v[97:98]
	v_mul_f64 v[97:98], v[117:118], v[106:107]
	v_fma_f64 v[106:107], v[119:120], v[104:105], v[97:98]
	s_waitcnt lgkmcnt(0)
	v_mul_f64 v[97:98], v[102:103], v[106:107]
	v_fma_f64 v[97:98], v[100:101], v[125:126], -v[97:98]
	v_mul_f64 v[100:101], v[100:101], v[106:107]
	v_fma_f64 v[100:101], v[102:103], v[125:126], v[100:101]
	buffer_load_dword v102, off, s[24:27], 0 offset:224 ; 4-byte Folded Reload
	buffer_load_dword v103, off, s[24:27], 0 offset:228 ; 4-byte Folded Reload
	buffer_load_dword v104, off, s[24:27], 0 offset:232 ; 4-byte Folded Reload
	buffer_load_dword v105, off, s[24:27], 0 offset:236 ; 4-byte Folded Reload
	s_waitcnt vmcnt(2)
	v_add_f64 v[102:103], v[102:103], -v[97:98]
	s_waitcnt vmcnt(0)
	v_add_f64 v[104:105], v[104:105], -v[100:101]
	buffer_store_dword v102, off, s[24:27], 0 offset:224 ; 4-byte Folded Spill
	s_nop 0
	buffer_store_dword v103, off, s[24:27], 0 offset:228 ; 4-byte Folded Spill
	buffer_store_dword v104, off, s[24:27], 0 offset:232 ; 4-byte Folded Spill
	buffer_store_dword v105, off, s[24:27], 0 offset:236 ; 4-byte Folded Spill
	ds_read2_b64 v[100:103], v94 offset0:8 offset1:9
	s_waitcnt lgkmcnt(0)
	v_mul_f64 v[97:98], v[102:103], v[106:107]
	v_fma_f64 v[97:98], v[100:101], v[125:126], -v[97:98]
	v_mul_f64 v[100:101], v[100:101], v[106:107]
	v_fma_f64 v[100:101], v[102:103], v[125:126], v[100:101]
	buffer_load_dword v102, off, s[24:27], 0 offset:208 ; 4-byte Folded Reload
	buffer_load_dword v103, off, s[24:27], 0 offset:212 ; 4-byte Folded Reload
	buffer_load_dword v104, off, s[24:27], 0 offset:216 ; 4-byte Folded Reload
	buffer_load_dword v105, off, s[24:27], 0 offset:220 ; 4-byte Folded Reload
	s_waitcnt vmcnt(2)
	v_add_f64 v[102:103], v[102:103], -v[97:98]
	s_waitcnt vmcnt(0)
	v_add_f64 v[104:105], v[104:105], -v[100:101]
	buffer_store_dword v102, off, s[24:27], 0 offset:208 ; 4-byte Folded Spill
	s_nop 0
	buffer_store_dword v103, off, s[24:27], 0 offset:212 ; 4-byte Folded Spill
	buffer_store_dword v104, off, s[24:27], 0 offset:216 ; 4-byte Folded Spill
	buffer_store_dword v105, off, s[24:27], 0 offset:220 ; 4-byte Folded Spill
	ds_read2_b64 v[100:103], v94 offset0:10 offset1:11
	;; [unrolled: 19-line block ×14, first 2 shown]
	s_waitcnt lgkmcnt(0)
	v_mul_f64 v[97:98], v[102:103], v[106:107]
	v_fma_f64 v[97:98], v[100:101], v[125:126], -v[97:98]
	v_mul_f64 v[100:101], v[100:101], v[106:107]
	v_fma_f64 v[100:101], v[102:103], v[125:126], v[100:101]
	buffer_load_dword v102, off, s[24:27], 0 ; 4-byte Folded Reload
	buffer_load_dword v103, off, s[24:27], 0 offset:4 ; 4-byte Folded Reload
	buffer_load_dword v104, off, s[24:27], 0 offset:8 ; 4-byte Folded Reload
	;; [unrolled: 1-line block ×3, first 2 shown]
	s_waitcnt vmcnt(2)
	v_add_f64 v[102:103], v[102:103], -v[97:98]
	s_waitcnt vmcnt(0)
	v_add_f64 v[104:105], v[104:105], -v[100:101]
	buffer_store_dword v102, off, s[24:27], 0 ; 4-byte Folded Spill
	s_nop 0
	buffer_store_dword v103, off, s[24:27], 0 offset:4 ; 4-byte Folded Spill
	buffer_store_dword v104, off, s[24:27], 0 offset:8 ; 4-byte Folded Spill
	;; [unrolled: 1-line block ×3, first 2 shown]
	ds_read2_b64 v[100:103], v94 offset0:36 offset1:37
	v_mov_b32_e32 v104, v125
	v_mov_b32_e32 v105, v126
	s_waitcnt lgkmcnt(0)
	v_mul_f64 v[97:98], v[102:103], v[106:107]
	v_fma_f64 v[97:98], v[100:101], v[125:126], -v[97:98]
	v_mul_f64 v[100:101], v[100:101], v[106:107]
	v_add_f64 v[85:86], v[85:86], -v[97:98]
	v_fma_f64 v[100:101], v[102:103], v[125:126], v[100:101]
	v_add_f64 v[87:88], v[87:88], -v[100:101]
	ds_read2_b64 v[100:103], v94 offset0:38 offset1:39
	s_waitcnt lgkmcnt(0)
	v_mul_f64 v[97:98], v[102:103], v[106:107]
	v_fma_f64 v[97:98], v[100:101], v[125:126], -v[97:98]
	v_mul_f64 v[100:101], v[100:101], v[106:107]
	v_add_f64 v[81:82], v[81:82], -v[97:98]
	v_fma_f64 v[100:101], v[102:103], v[125:126], v[100:101]
	v_add_f64 v[83:84], v[83:84], -v[100:101]
	ds_read2_b64 v[100:103], v94 offset0:40 offset1:41
	;; [unrolled: 8-line block ×22, first 2 shown]
	s_waitcnt lgkmcnt(0)
	v_mul_f64 v[97:98], v[102:103], v[106:107]
	v_fma_f64 v[97:98], v[100:101], v[125:126], -v[97:98]
	v_mul_f64 v[100:101], v[100:101], v[106:107]
	buffer_store_dword v104, off, s[24:27], 0 offset:240 ; 4-byte Folded Spill
	s_nop 0
	buffer_store_dword v105, off, s[24:27], 0 offset:244 ; 4-byte Folded Spill
	buffer_store_dword v106, off, s[24:27], 0 offset:248 ; 4-byte Folded Spill
	;; [unrolled: 1-line block ×3, first 2 shown]
	v_add_f64 v[121:122], v[121:122], -v[97:98]
	v_fma_f64 v[100:101], v[102:103], v[125:126], v[100:101]
	v_add_f64 v[123:124], v[123:124], -v[100:101]
.LBB80_62:
	s_or_b64 exec, exec, s[0:1]
	s_waitcnt vmcnt(0)
	s_barrier
	buffer_load_dword v100, off, s[24:27], 0 offset:224 ; 4-byte Folded Reload
	buffer_load_dword v101, off, s[24:27], 0 offset:228 ; 4-byte Folded Reload
	;; [unrolled: 1-line block ×4, first 2 shown]
	v_lshl_add_u32 v97, v96, 4, v94
	s_mov_b32 s0, 4
	s_cmp_lt_i32 s3, 5
	s_waitcnt vmcnt(0)
	ds_write2_b64 v97, v[100:101], v[102:103] offset1:1
	s_waitcnt lgkmcnt(0)
	s_barrier
	ds_read2_b64 v[117:120], v94 offset0:6 offset1:7
	v_mov_b32_e32 v97, 3
	s_cbranch_scc1 .LBB80_65
; %bb.63:
	v_add3_u32 v98, v99, 0, 64
	v_mov_b32_e32 v97, 3
.LBB80_64:                              ; =>This Inner Loop Header: Depth=1
	s_waitcnt lgkmcnt(0)
	v_cmp_gt_f64_e32 vcc, 0, v[117:118]
	v_xor_b32_e32 v103, 0x80000000, v118
	ds_read2_b64 v[99:102], v98 offset1:1
	v_xor_b32_e32 v105, 0x80000000, v120
	v_add_u32_e32 v98, 16, v98
	s_waitcnt lgkmcnt(0)
	v_xor_b32_e32 v107, 0x80000000, v102
	v_cndmask_b32_e32 v104, v118, v103, vcc
	v_cmp_gt_f64_e32 vcc, 0, v[119:120]
	v_mov_b32_e32 v103, v117
	v_cndmask_b32_e32 v106, v120, v105, vcc
	v_cmp_gt_f64_e32 vcc, 0, v[99:100]
	v_mov_b32_e32 v105, v119
	v_add_f64 v[103:104], v[103:104], v[105:106]
	v_xor_b32_e32 v105, 0x80000000, v100
	v_cndmask_b32_e32 v106, v100, v105, vcc
	v_cmp_gt_f64_e32 vcc, 0, v[101:102]
	v_mov_b32_e32 v105, v99
	v_cndmask_b32_e32 v108, v102, v107, vcc
	v_mov_b32_e32 v107, v101
	v_add_f64 v[105:106], v[105:106], v[107:108]
	v_cmp_lt_f64_e32 vcc, v[103:104], v[105:106]
	v_cndmask_b32_e32 v117, v117, v99, vcc
	v_mov_b32_e32 v99, s0
	s_add_i32 s0, s0, 1
	v_cndmask_b32_e32 v118, v118, v100, vcc
	v_cndmask_b32_e32 v120, v120, v102, vcc
	;; [unrolled: 1-line block ×4, first 2 shown]
	s_cmp_lg_u32 s3, s0
	s_cbranch_scc1 .LBB80_64
.LBB80_65:
	s_waitcnt lgkmcnt(0)
	v_cmp_eq_f64_e32 vcc, 0, v[117:118]
	v_cmp_eq_f64_e64 s[0:1], 0, v[119:120]
	s_and_b64 s[0:1], vcc, s[0:1]
	s_and_saveexec_b64 s[18:19], s[0:1]
	s_xor_b64 s[0:1], exec, s[18:19]
; %bb.66:
	v_cmp_ne_u32_e32 vcc, 0, v95
	v_cndmask_b32_e32 v95, 4, v95, vcc
; %bb.67:
	s_andn2_saveexec_b64 s[0:1], s[0:1]
	s_cbranch_execz .LBB80_73
; %bb.68:
	v_cmp_ngt_f64_e64 s[18:19], |v[117:118]|, |v[119:120]|
	s_and_saveexec_b64 s[20:21], s[18:19]
	s_xor_b64 s[18:19], exec, s[20:21]
	s_cbranch_execz .LBB80_70
; %bb.69:
	v_div_scale_f64 v[98:99], s[20:21], v[119:120], v[119:120], v[117:118]
	v_rcp_f64_e32 v[100:101], v[98:99]
	v_fma_f64 v[102:103], -v[98:99], v[100:101], 1.0
	v_fma_f64 v[100:101], v[100:101], v[102:103], v[100:101]
	v_div_scale_f64 v[102:103], vcc, v[117:118], v[119:120], v[117:118]
	v_fma_f64 v[104:105], -v[98:99], v[100:101], 1.0
	v_fma_f64 v[100:101], v[100:101], v[104:105], v[100:101]
	v_mul_f64 v[104:105], v[102:103], v[100:101]
	v_fma_f64 v[98:99], -v[98:99], v[104:105], v[102:103]
	v_div_fmas_f64 v[98:99], v[98:99], v[100:101], v[104:105]
	v_div_fixup_f64 v[98:99], v[98:99], v[119:120], v[117:118]
	v_fma_f64 v[100:101], v[117:118], v[98:99], v[119:120]
	v_div_scale_f64 v[102:103], s[20:21], v[100:101], v[100:101], 1.0
	v_div_scale_f64 v[108:109], vcc, 1.0, v[100:101], 1.0
	v_rcp_f64_e32 v[104:105], v[102:103]
	v_fma_f64 v[106:107], -v[102:103], v[104:105], 1.0
	v_fma_f64 v[104:105], v[104:105], v[106:107], v[104:105]
	v_fma_f64 v[106:107], -v[102:103], v[104:105], 1.0
	v_fma_f64 v[104:105], v[104:105], v[106:107], v[104:105]
	v_mul_f64 v[106:107], v[108:109], v[104:105]
	v_fma_f64 v[102:103], -v[102:103], v[106:107], v[108:109]
	v_div_fmas_f64 v[102:103], v[102:103], v[104:105], v[106:107]
	v_div_fixup_f64 v[119:120], v[102:103], v[100:101], 1.0
	v_mul_f64 v[117:118], v[98:99], v[119:120]
	v_xor_b32_e32 v120, 0x80000000, v120
.LBB80_70:
	s_andn2_saveexec_b64 s[18:19], s[18:19]
	s_cbranch_execz .LBB80_72
; %bb.71:
	v_div_scale_f64 v[98:99], s[20:21], v[117:118], v[117:118], v[119:120]
	v_rcp_f64_e32 v[100:101], v[98:99]
	v_fma_f64 v[102:103], -v[98:99], v[100:101], 1.0
	v_fma_f64 v[100:101], v[100:101], v[102:103], v[100:101]
	v_div_scale_f64 v[102:103], vcc, v[119:120], v[117:118], v[119:120]
	v_fma_f64 v[104:105], -v[98:99], v[100:101], 1.0
	v_fma_f64 v[100:101], v[100:101], v[104:105], v[100:101]
	v_mul_f64 v[104:105], v[102:103], v[100:101]
	v_fma_f64 v[98:99], -v[98:99], v[104:105], v[102:103]
	v_div_fmas_f64 v[98:99], v[98:99], v[100:101], v[104:105]
	v_div_fixup_f64 v[98:99], v[98:99], v[117:118], v[119:120]
	v_fma_f64 v[100:101], v[119:120], v[98:99], v[117:118]
	v_div_scale_f64 v[102:103], s[20:21], v[100:101], v[100:101], 1.0
	v_div_scale_f64 v[108:109], vcc, 1.0, v[100:101], 1.0
	v_rcp_f64_e32 v[104:105], v[102:103]
	v_fma_f64 v[106:107], -v[102:103], v[104:105], 1.0
	v_fma_f64 v[104:105], v[104:105], v[106:107], v[104:105]
	v_fma_f64 v[106:107], -v[102:103], v[104:105], 1.0
	v_fma_f64 v[104:105], v[104:105], v[106:107], v[104:105]
	v_mul_f64 v[106:107], v[108:109], v[104:105]
	v_fma_f64 v[102:103], -v[102:103], v[106:107], v[108:109]
	v_div_fmas_f64 v[102:103], v[102:103], v[104:105], v[106:107]
	v_div_fixup_f64 v[117:118], v[102:103], v[100:101], 1.0
	v_mul_f64 v[119:120], v[98:99], -v[117:118]
.LBB80_72:
	s_or_b64 exec, exec, s[18:19]
.LBB80_73:
	s_or_b64 exec, exec, s[0:1]
	v_cmp_ne_u32_e32 vcc, v96, v97
	s_and_saveexec_b64 s[0:1], vcc
	s_xor_b64 s[0:1], exec, s[0:1]
	s_cbranch_execz .LBB80_79
; %bb.74:
	v_cmp_eq_u32_e32 vcc, 3, v96
	s_and_saveexec_b64 s[18:19], vcc
	s_cbranch_execz .LBB80_78
; %bb.75:
	v_cmp_ne_u32_e32 vcc, 3, v97
	s_xor_b64 s[20:21], s[6:7], -1
	s_and_b64 s[22:23], s[20:21], vcc
	s_and_saveexec_b64 s[20:21], s[22:23]
	s_cbranch_execz .LBB80_77
; %bb.76:
	v_ashrrev_i32_e32 v98, 31, v97
	v_lshlrev_b64 v[98:99], 2, v[97:98]
	v_add_co_u32_e32 v98, vcc, v91, v98
	v_addc_co_u32_e32 v99, vcc, v92, v99, vcc
	global_load_dword v0, v[98:99], off
	global_load_dword v96, v[91:92], off offset:12
	s_waitcnt vmcnt(1)
	global_store_dword v[91:92], v0, off offset:12
	s_waitcnt vmcnt(1)
	global_store_dword v[98:99], v96, off
.LBB80_77:
	s_or_b64 exec, exec, s[20:21]
	v_mov_b32_e32 v96, v97
	v_mov_b32_e32 v0, v97
.LBB80_78:
	s_or_b64 exec, exec, s[18:19]
.LBB80_79:
	s_andn2_saveexec_b64 s[0:1], s[0:1]
	s_cbranch_execz .LBB80_81
; %bb.80:
	buffer_load_dword v96, off, s[24:27], 0 offset:208 ; 4-byte Folded Reload
	buffer_load_dword v97, off, s[24:27], 0 offset:212 ; 4-byte Folded Reload
	buffer_load_dword v98, off, s[24:27], 0 offset:216 ; 4-byte Folded Reload
	buffer_load_dword v99, off, s[24:27], 0 offset:220 ; 4-byte Folded Reload
	s_waitcnt vmcnt(0)
	ds_write2_b64 v94, v[96:97], v[98:99] offset0:8 offset1:9
	buffer_load_dword v96, off, s[24:27], 0 offset:192 ; 4-byte Folded Reload
	buffer_load_dword v97, off, s[24:27], 0 offset:196 ; 4-byte Folded Reload
	buffer_load_dword v98, off, s[24:27], 0 offset:200 ; 4-byte Folded Reload
	buffer_load_dword v99, off, s[24:27], 0 offset:204 ; 4-byte Folded Reload
	s_waitcnt vmcnt(0)
	ds_write2_b64 v94, v[96:97], v[98:99] offset0:10 offset1:11
	;; [unrolled: 6-line block ×13, first 2 shown]
	buffer_load_dword v96, off, s[24:27], 0 ; 4-byte Folded Reload
	buffer_load_dword v97, off, s[24:27], 0 offset:4 ; 4-byte Folded Reload
	buffer_load_dword v98, off, s[24:27], 0 offset:8 ; 4-byte Folded Reload
	;; [unrolled: 1-line block ×3, first 2 shown]
	s_waitcnt vmcnt(0)
	ds_write2_b64 v94, v[96:97], v[98:99] offset0:34 offset1:35
	ds_write2_b64 v94, v[85:86], v[87:88] offset0:36 offset1:37
	;; [unrolled: 1-line block ×24, first 2 shown]
	v_mov_b32_e32 v96, 3
.LBB80_81:
	s_or_b64 exec, exec, s[0:1]
	v_cmp_lt_i32_e32 vcc, 3, v96
	s_waitcnt vmcnt(0) lgkmcnt(0)
	s_barrier
	s_and_saveexec_b64 s[0:1], vcc
	s_cbranch_execz .LBB80_83
; %bb.82:
	buffer_load_dword v105, off, s[24:27], 0 offset:224 ; 4-byte Folded Reload
	buffer_load_dword v106, off, s[24:27], 0 offset:228 ; 4-byte Folded Reload
	;; [unrolled: 1-line block ×4, first 2 shown]
	s_waitcnt vmcnt(0)
	v_mul_f64 v[97:98], v[119:120], v[107:108]
	v_fma_f64 v[125:126], v[117:118], v[105:106], -v[97:98]
	v_mul_f64 v[97:98], v[117:118], v[107:108]
	v_fma_f64 v[107:108], v[119:120], v[105:106], v[97:98]
	ds_read2_b64 v[97:100], v94 offset0:8 offset1:9
	buffer_load_dword v103, off, s[24:27], 0 offset:208 ; 4-byte Folded Reload
	buffer_load_dword v104, off, s[24:27], 0 offset:212 ; 4-byte Folded Reload
	buffer_load_dword v105, off, s[24:27], 0 offset:216 ; 4-byte Folded Reload
	buffer_load_dword v106, off, s[24:27], 0 offset:220 ; 4-byte Folded Reload
	s_waitcnt lgkmcnt(0)
	v_mul_f64 v[101:102], v[99:100], v[107:108]
	v_fma_f64 v[101:102], v[97:98], v[125:126], -v[101:102]
	v_mul_f64 v[97:98], v[97:98], v[107:108]
	v_fma_f64 v[97:98], v[99:100], v[125:126], v[97:98]
	s_waitcnt vmcnt(2)
	v_add_f64 v[103:104], v[103:104], -v[101:102]
	s_waitcnt vmcnt(0)
	v_add_f64 v[105:106], v[105:106], -v[97:98]
	buffer_store_dword v103, off, s[24:27], 0 offset:208 ; 4-byte Folded Spill
	s_nop 0
	buffer_store_dword v104, off, s[24:27], 0 offset:212 ; 4-byte Folded Spill
	buffer_store_dword v105, off, s[24:27], 0 offset:216 ; 4-byte Folded Spill
	buffer_store_dword v106, off, s[24:27], 0 offset:220 ; 4-byte Folded Spill
	ds_read2_b64 v[97:100], v94 offset0:10 offset1:11
	buffer_load_dword v103, off, s[24:27], 0 offset:192 ; 4-byte Folded Reload
	buffer_load_dword v104, off, s[24:27], 0 offset:196 ; 4-byte Folded Reload
	buffer_load_dword v105, off, s[24:27], 0 offset:200 ; 4-byte Folded Reload
	buffer_load_dword v106, off, s[24:27], 0 offset:204 ; 4-byte Folded Reload
	s_waitcnt lgkmcnt(0)
	v_mul_f64 v[101:102], v[99:100], v[107:108]
	v_fma_f64 v[101:102], v[97:98], v[125:126], -v[101:102]
	v_mul_f64 v[97:98], v[97:98], v[107:108]
	v_fma_f64 v[97:98], v[99:100], v[125:126], v[97:98]
	s_waitcnt vmcnt(2)
	v_add_f64 v[103:104], v[103:104], -v[101:102]
	s_waitcnt vmcnt(0)
	v_add_f64 v[105:106], v[105:106], -v[97:98]
	buffer_store_dword v103, off, s[24:27], 0 offset:192 ; 4-byte Folded Spill
	s_nop 0
	buffer_store_dword v104, off, s[24:27], 0 offset:196 ; 4-byte Folded Spill
	buffer_store_dword v105, off, s[24:27], 0 offset:200 ; 4-byte Folded Spill
	buffer_store_dword v106, off, s[24:27], 0 offset:204 ; 4-byte Folded Spill
	;; [unrolled: 19-line block ×13, first 2 shown]
	ds_read2_b64 v[97:100], v94 offset0:34 offset1:35
	buffer_load_dword v103, off, s[24:27], 0 ; 4-byte Folded Reload
	buffer_load_dword v104, off, s[24:27], 0 offset:4 ; 4-byte Folded Reload
	buffer_load_dword v105, off, s[24:27], 0 offset:8 ; 4-byte Folded Reload
	;; [unrolled: 1-line block ×3, first 2 shown]
	s_waitcnt lgkmcnt(0)
	v_mul_f64 v[101:102], v[99:100], v[107:108]
	v_fma_f64 v[101:102], v[97:98], v[125:126], -v[101:102]
	v_mul_f64 v[97:98], v[97:98], v[107:108]
	v_fma_f64 v[97:98], v[99:100], v[125:126], v[97:98]
	s_waitcnt vmcnt(2)
	v_add_f64 v[103:104], v[103:104], -v[101:102]
	s_waitcnt vmcnt(0)
	v_add_f64 v[105:106], v[105:106], -v[97:98]
	buffer_store_dword v103, off, s[24:27], 0 ; 4-byte Folded Spill
	s_nop 0
	buffer_store_dword v104, off, s[24:27], 0 offset:4 ; 4-byte Folded Spill
	buffer_store_dword v105, off, s[24:27], 0 offset:8 ; 4-byte Folded Spill
	;; [unrolled: 1-line block ×3, first 2 shown]
	ds_read2_b64 v[97:100], v94 offset0:36 offset1:37
	v_mov_b32_e32 v105, v125
	v_mov_b32_e32 v106, v126
	s_waitcnt lgkmcnt(0)
	v_mul_f64 v[101:102], v[99:100], v[107:108]
	v_fma_f64 v[101:102], v[97:98], v[125:126], -v[101:102]
	v_mul_f64 v[97:98], v[97:98], v[107:108]
	v_add_f64 v[85:86], v[85:86], -v[101:102]
	v_fma_f64 v[97:98], v[99:100], v[125:126], v[97:98]
	v_add_f64 v[87:88], v[87:88], -v[97:98]
	ds_read2_b64 v[97:100], v94 offset0:38 offset1:39
	s_waitcnt lgkmcnt(0)
	v_mul_f64 v[101:102], v[99:100], v[107:108]
	v_fma_f64 v[101:102], v[97:98], v[125:126], -v[101:102]
	v_mul_f64 v[97:98], v[97:98], v[107:108]
	v_add_f64 v[81:82], v[81:82], -v[101:102]
	v_fma_f64 v[97:98], v[99:100], v[125:126], v[97:98]
	v_add_f64 v[83:84], v[83:84], -v[97:98]
	ds_read2_b64 v[97:100], v94 offset0:40 offset1:41
	;; [unrolled: 8-line block ×22, first 2 shown]
	s_waitcnt lgkmcnt(0)
	v_mul_f64 v[101:102], v[99:100], v[107:108]
	v_fma_f64 v[101:102], v[97:98], v[125:126], -v[101:102]
	v_mul_f64 v[97:98], v[97:98], v[107:108]
	buffer_store_dword v105, off, s[24:27], 0 offset:224 ; 4-byte Folded Spill
	s_nop 0
	buffer_store_dword v106, off, s[24:27], 0 offset:228 ; 4-byte Folded Spill
	buffer_store_dword v107, off, s[24:27], 0 offset:232 ; 4-byte Folded Spill
	;; [unrolled: 1-line block ×3, first 2 shown]
	v_add_f64 v[121:122], v[121:122], -v[101:102]
	v_fma_f64 v[97:98], v[99:100], v[125:126], v[97:98]
	v_add_f64 v[123:124], v[123:124], -v[97:98]
.LBB80_83:
	s_or_b64 exec, exec, s[0:1]
	s_waitcnt vmcnt(0)
	s_barrier
	buffer_load_dword v98, off, s[24:27], 0 offset:208 ; 4-byte Folded Reload
	buffer_load_dword v99, off, s[24:27], 0 offset:212 ; 4-byte Folded Reload
	;; [unrolled: 1-line block ×4, first 2 shown]
	v_lshl_add_u32 v97, v96, 4, v94
	s_cmp_lt_i32 s3, 6
	s_waitcnt vmcnt(0)
	ds_write2_b64 v97, v[98:99], v[100:101] offset1:1
	s_waitcnt lgkmcnt(0)
	s_barrier
	ds_read2_b64 v[117:120], v94 offset0:8 offset1:9
	v_mov_b32_e32 v97, 4
	s_cbranch_scc1 .LBB80_86
; %bb.84:
	v_mov_b32_e32 v97, 4
	v_add_u32_e32 v98, 0x50, v94
	s_mov_b32 s0, 5
.LBB80_85:                              ; =>This Inner Loop Header: Depth=1
	s_waitcnt lgkmcnt(0)
	v_cmp_gt_f64_e32 vcc, 0, v[117:118]
	v_xor_b32_e32 v103, 0x80000000, v118
	ds_read2_b64 v[99:102], v98 offset1:1
	v_xor_b32_e32 v105, 0x80000000, v120
	v_add_u32_e32 v98, 16, v98
	s_waitcnt lgkmcnt(0)
	v_xor_b32_e32 v107, 0x80000000, v102
	v_cndmask_b32_e32 v104, v118, v103, vcc
	v_cmp_gt_f64_e32 vcc, 0, v[119:120]
	v_mov_b32_e32 v103, v117
	v_cndmask_b32_e32 v106, v120, v105, vcc
	v_cmp_gt_f64_e32 vcc, 0, v[99:100]
	v_mov_b32_e32 v105, v119
	v_add_f64 v[103:104], v[103:104], v[105:106]
	v_xor_b32_e32 v105, 0x80000000, v100
	v_cndmask_b32_e32 v106, v100, v105, vcc
	v_cmp_gt_f64_e32 vcc, 0, v[101:102]
	v_mov_b32_e32 v105, v99
	v_cndmask_b32_e32 v108, v102, v107, vcc
	v_mov_b32_e32 v107, v101
	v_add_f64 v[105:106], v[105:106], v[107:108]
	v_cmp_lt_f64_e32 vcc, v[103:104], v[105:106]
	v_cndmask_b32_e32 v117, v117, v99, vcc
	v_mov_b32_e32 v99, s0
	s_add_i32 s0, s0, 1
	v_cndmask_b32_e32 v118, v118, v100, vcc
	v_cndmask_b32_e32 v120, v120, v102, vcc
	;; [unrolled: 1-line block ×4, first 2 shown]
	s_cmp_lg_u32 s3, s0
	s_cbranch_scc1 .LBB80_85
.LBB80_86:
	s_waitcnt lgkmcnt(0)
	v_cmp_eq_f64_e32 vcc, 0, v[117:118]
	v_cmp_eq_f64_e64 s[0:1], 0, v[119:120]
	s_and_b64 s[0:1], vcc, s[0:1]
	s_and_saveexec_b64 s[18:19], s[0:1]
	s_xor_b64 s[0:1], exec, s[18:19]
; %bb.87:
	v_cmp_ne_u32_e32 vcc, 0, v95
	v_cndmask_b32_e32 v95, 5, v95, vcc
; %bb.88:
	s_andn2_saveexec_b64 s[0:1], s[0:1]
	s_cbranch_execz .LBB80_94
; %bb.89:
	v_cmp_ngt_f64_e64 s[18:19], |v[117:118]|, |v[119:120]|
	s_and_saveexec_b64 s[20:21], s[18:19]
	s_xor_b64 s[18:19], exec, s[20:21]
	s_cbranch_execz .LBB80_91
; %bb.90:
	v_div_scale_f64 v[98:99], s[20:21], v[119:120], v[119:120], v[117:118]
	v_rcp_f64_e32 v[100:101], v[98:99]
	v_fma_f64 v[102:103], -v[98:99], v[100:101], 1.0
	v_fma_f64 v[100:101], v[100:101], v[102:103], v[100:101]
	v_div_scale_f64 v[102:103], vcc, v[117:118], v[119:120], v[117:118]
	v_fma_f64 v[104:105], -v[98:99], v[100:101], 1.0
	v_fma_f64 v[100:101], v[100:101], v[104:105], v[100:101]
	v_mul_f64 v[104:105], v[102:103], v[100:101]
	v_fma_f64 v[98:99], -v[98:99], v[104:105], v[102:103]
	v_div_fmas_f64 v[98:99], v[98:99], v[100:101], v[104:105]
	v_div_fixup_f64 v[98:99], v[98:99], v[119:120], v[117:118]
	v_fma_f64 v[100:101], v[117:118], v[98:99], v[119:120]
	v_div_scale_f64 v[102:103], s[20:21], v[100:101], v[100:101], 1.0
	v_div_scale_f64 v[108:109], vcc, 1.0, v[100:101], 1.0
	v_rcp_f64_e32 v[104:105], v[102:103]
	v_fma_f64 v[106:107], -v[102:103], v[104:105], 1.0
	v_fma_f64 v[104:105], v[104:105], v[106:107], v[104:105]
	v_fma_f64 v[106:107], -v[102:103], v[104:105], 1.0
	v_fma_f64 v[104:105], v[104:105], v[106:107], v[104:105]
	v_mul_f64 v[106:107], v[108:109], v[104:105]
	v_fma_f64 v[102:103], -v[102:103], v[106:107], v[108:109]
	v_div_fmas_f64 v[102:103], v[102:103], v[104:105], v[106:107]
	v_div_fixup_f64 v[119:120], v[102:103], v[100:101], 1.0
	v_mul_f64 v[117:118], v[98:99], v[119:120]
	v_xor_b32_e32 v120, 0x80000000, v120
.LBB80_91:
	s_andn2_saveexec_b64 s[18:19], s[18:19]
	s_cbranch_execz .LBB80_93
; %bb.92:
	v_div_scale_f64 v[98:99], s[20:21], v[117:118], v[117:118], v[119:120]
	v_rcp_f64_e32 v[100:101], v[98:99]
	v_fma_f64 v[102:103], -v[98:99], v[100:101], 1.0
	v_fma_f64 v[100:101], v[100:101], v[102:103], v[100:101]
	v_div_scale_f64 v[102:103], vcc, v[119:120], v[117:118], v[119:120]
	v_fma_f64 v[104:105], -v[98:99], v[100:101], 1.0
	v_fma_f64 v[100:101], v[100:101], v[104:105], v[100:101]
	v_mul_f64 v[104:105], v[102:103], v[100:101]
	v_fma_f64 v[98:99], -v[98:99], v[104:105], v[102:103]
	v_div_fmas_f64 v[98:99], v[98:99], v[100:101], v[104:105]
	v_div_fixup_f64 v[98:99], v[98:99], v[117:118], v[119:120]
	v_fma_f64 v[100:101], v[119:120], v[98:99], v[117:118]
	v_div_scale_f64 v[102:103], s[20:21], v[100:101], v[100:101], 1.0
	v_div_scale_f64 v[108:109], vcc, 1.0, v[100:101], 1.0
	v_rcp_f64_e32 v[104:105], v[102:103]
	v_fma_f64 v[106:107], -v[102:103], v[104:105], 1.0
	v_fma_f64 v[104:105], v[104:105], v[106:107], v[104:105]
	v_fma_f64 v[106:107], -v[102:103], v[104:105], 1.0
	v_fma_f64 v[104:105], v[104:105], v[106:107], v[104:105]
	v_mul_f64 v[106:107], v[108:109], v[104:105]
	v_fma_f64 v[102:103], -v[102:103], v[106:107], v[108:109]
	v_div_fmas_f64 v[102:103], v[102:103], v[104:105], v[106:107]
	v_div_fixup_f64 v[117:118], v[102:103], v[100:101], 1.0
	v_mul_f64 v[119:120], v[98:99], -v[117:118]
.LBB80_93:
	s_or_b64 exec, exec, s[18:19]
.LBB80_94:
	s_or_b64 exec, exec, s[0:1]
	v_cmp_ne_u32_e32 vcc, v96, v97
	s_and_saveexec_b64 s[0:1], vcc
	s_xor_b64 s[0:1], exec, s[0:1]
	s_cbranch_execz .LBB80_100
; %bb.95:
	v_cmp_eq_u32_e32 vcc, 4, v96
	s_and_saveexec_b64 s[18:19], vcc
	s_cbranch_execz .LBB80_99
; %bb.96:
	v_cmp_ne_u32_e32 vcc, 4, v97
	s_xor_b64 s[20:21], s[6:7], -1
	s_and_b64 s[22:23], s[20:21], vcc
	s_and_saveexec_b64 s[20:21], s[22:23]
	s_cbranch_execz .LBB80_98
; %bb.97:
	v_ashrrev_i32_e32 v98, 31, v97
	v_lshlrev_b64 v[98:99], 2, v[97:98]
	v_add_co_u32_e32 v98, vcc, v91, v98
	v_addc_co_u32_e32 v99, vcc, v92, v99, vcc
	global_load_dword v0, v[98:99], off
	global_load_dword v96, v[91:92], off offset:16
	s_waitcnt vmcnt(1)
	global_store_dword v[91:92], v0, off offset:16
	s_waitcnt vmcnt(1)
	global_store_dword v[98:99], v96, off
.LBB80_98:
	s_or_b64 exec, exec, s[20:21]
	v_mov_b32_e32 v96, v97
	v_mov_b32_e32 v0, v97
.LBB80_99:
	s_or_b64 exec, exec, s[18:19]
.LBB80_100:
	s_andn2_saveexec_b64 s[0:1], s[0:1]
	s_cbranch_execz .LBB80_102
; %bb.101:
	buffer_load_dword v96, off, s[24:27], 0 offset:192 ; 4-byte Folded Reload
	buffer_load_dword v97, off, s[24:27], 0 offset:196 ; 4-byte Folded Reload
	buffer_load_dword v98, off, s[24:27], 0 offset:200 ; 4-byte Folded Reload
	buffer_load_dword v99, off, s[24:27], 0 offset:204 ; 4-byte Folded Reload
	s_waitcnt vmcnt(0)
	ds_write2_b64 v94, v[96:97], v[98:99] offset0:10 offset1:11
	buffer_load_dword v96, off, s[24:27], 0 offset:176 ; 4-byte Folded Reload
	buffer_load_dword v97, off, s[24:27], 0 offset:180 ; 4-byte Folded Reload
	buffer_load_dword v98, off, s[24:27], 0 offset:184 ; 4-byte Folded Reload
	buffer_load_dword v99, off, s[24:27], 0 offset:188 ; 4-byte Folded Reload
	s_waitcnt vmcnt(0)
	ds_write2_b64 v94, v[96:97], v[98:99] offset0:12 offset1:13
	;; [unrolled: 6-line block ×12, first 2 shown]
	buffer_load_dword v96, off, s[24:27], 0 ; 4-byte Folded Reload
	buffer_load_dword v97, off, s[24:27], 0 offset:4 ; 4-byte Folded Reload
	buffer_load_dword v98, off, s[24:27], 0 offset:8 ; 4-byte Folded Reload
	;; [unrolled: 1-line block ×3, first 2 shown]
	s_waitcnt vmcnt(0)
	ds_write2_b64 v94, v[96:97], v[98:99] offset0:34 offset1:35
	ds_write2_b64 v94, v[85:86], v[87:88] offset0:36 offset1:37
	;; [unrolled: 1-line block ×24, first 2 shown]
	v_mov_b32_e32 v96, 4
.LBB80_102:
	s_or_b64 exec, exec, s[0:1]
	v_cmp_lt_i32_e32 vcc, 4, v96
	s_waitcnt vmcnt(0) lgkmcnt(0)
	s_barrier
	s_and_saveexec_b64 s[0:1], vcc
	s_cbranch_execz .LBB80_104
; %bb.103:
	buffer_load_dword v105, off, s[24:27], 0 offset:208 ; 4-byte Folded Reload
	buffer_load_dword v106, off, s[24:27], 0 offset:212 ; 4-byte Folded Reload
	;; [unrolled: 1-line block ×4, first 2 shown]
	s_waitcnt vmcnt(0)
	v_mul_f64 v[97:98], v[119:120], v[107:108]
	v_fma_f64 v[125:126], v[117:118], v[105:106], -v[97:98]
	v_mul_f64 v[97:98], v[117:118], v[107:108]
	v_fma_f64 v[107:108], v[119:120], v[105:106], v[97:98]
	ds_read2_b64 v[97:100], v94 offset0:10 offset1:11
	buffer_load_dword v103, off, s[24:27], 0 offset:192 ; 4-byte Folded Reload
	buffer_load_dword v104, off, s[24:27], 0 offset:196 ; 4-byte Folded Reload
	buffer_load_dword v105, off, s[24:27], 0 offset:200 ; 4-byte Folded Reload
	buffer_load_dword v106, off, s[24:27], 0 offset:204 ; 4-byte Folded Reload
	s_waitcnt lgkmcnt(0)
	v_mul_f64 v[101:102], v[99:100], v[107:108]
	v_fma_f64 v[101:102], v[97:98], v[125:126], -v[101:102]
	v_mul_f64 v[97:98], v[97:98], v[107:108]
	v_fma_f64 v[97:98], v[99:100], v[125:126], v[97:98]
	s_waitcnt vmcnt(2)
	v_add_f64 v[103:104], v[103:104], -v[101:102]
	s_waitcnt vmcnt(0)
	v_add_f64 v[105:106], v[105:106], -v[97:98]
	buffer_store_dword v103, off, s[24:27], 0 offset:192 ; 4-byte Folded Spill
	s_nop 0
	buffer_store_dword v104, off, s[24:27], 0 offset:196 ; 4-byte Folded Spill
	buffer_store_dword v105, off, s[24:27], 0 offset:200 ; 4-byte Folded Spill
	buffer_store_dword v106, off, s[24:27], 0 offset:204 ; 4-byte Folded Spill
	ds_read2_b64 v[97:100], v94 offset0:12 offset1:13
	buffer_load_dword v103, off, s[24:27], 0 offset:176 ; 4-byte Folded Reload
	buffer_load_dword v104, off, s[24:27], 0 offset:180 ; 4-byte Folded Reload
	buffer_load_dword v105, off, s[24:27], 0 offset:184 ; 4-byte Folded Reload
	buffer_load_dword v106, off, s[24:27], 0 offset:188 ; 4-byte Folded Reload
	s_waitcnt lgkmcnt(0)
	v_mul_f64 v[101:102], v[99:100], v[107:108]
	v_fma_f64 v[101:102], v[97:98], v[125:126], -v[101:102]
	v_mul_f64 v[97:98], v[97:98], v[107:108]
	v_fma_f64 v[97:98], v[99:100], v[125:126], v[97:98]
	s_waitcnt vmcnt(2)
	v_add_f64 v[103:104], v[103:104], -v[101:102]
	s_waitcnt vmcnt(0)
	v_add_f64 v[105:106], v[105:106], -v[97:98]
	buffer_store_dword v103, off, s[24:27], 0 offset:176 ; 4-byte Folded Spill
	s_nop 0
	buffer_store_dword v104, off, s[24:27], 0 offset:180 ; 4-byte Folded Spill
	buffer_store_dword v105, off, s[24:27], 0 offset:184 ; 4-byte Folded Spill
	buffer_store_dword v106, off, s[24:27], 0 offset:188 ; 4-byte Folded Spill
	;; [unrolled: 19-line block ×12, first 2 shown]
	ds_read2_b64 v[97:100], v94 offset0:34 offset1:35
	buffer_load_dword v103, off, s[24:27], 0 ; 4-byte Folded Reload
	buffer_load_dword v104, off, s[24:27], 0 offset:4 ; 4-byte Folded Reload
	buffer_load_dword v105, off, s[24:27], 0 offset:8 ; 4-byte Folded Reload
	buffer_load_dword v106, off, s[24:27], 0 offset:12 ; 4-byte Folded Reload
	s_waitcnt lgkmcnt(0)
	v_mul_f64 v[101:102], v[99:100], v[107:108]
	v_fma_f64 v[101:102], v[97:98], v[125:126], -v[101:102]
	v_mul_f64 v[97:98], v[97:98], v[107:108]
	v_fma_f64 v[97:98], v[99:100], v[125:126], v[97:98]
	s_waitcnt vmcnt(2)
	v_add_f64 v[103:104], v[103:104], -v[101:102]
	s_waitcnt vmcnt(0)
	v_add_f64 v[105:106], v[105:106], -v[97:98]
	buffer_store_dword v103, off, s[24:27], 0 ; 4-byte Folded Spill
	s_nop 0
	buffer_store_dword v104, off, s[24:27], 0 offset:4 ; 4-byte Folded Spill
	buffer_store_dword v105, off, s[24:27], 0 offset:8 ; 4-byte Folded Spill
	;; [unrolled: 1-line block ×3, first 2 shown]
	ds_read2_b64 v[97:100], v94 offset0:36 offset1:37
	v_mov_b32_e32 v105, v125
	v_mov_b32_e32 v106, v126
	s_waitcnt lgkmcnt(0)
	v_mul_f64 v[101:102], v[99:100], v[107:108]
	v_fma_f64 v[101:102], v[97:98], v[125:126], -v[101:102]
	v_mul_f64 v[97:98], v[97:98], v[107:108]
	v_add_f64 v[85:86], v[85:86], -v[101:102]
	v_fma_f64 v[97:98], v[99:100], v[125:126], v[97:98]
	v_add_f64 v[87:88], v[87:88], -v[97:98]
	ds_read2_b64 v[97:100], v94 offset0:38 offset1:39
	s_waitcnt lgkmcnt(0)
	v_mul_f64 v[101:102], v[99:100], v[107:108]
	v_fma_f64 v[101:102], v[97:98], v[125:126], -v[101:102]
	v_mul_f64 v[97:98], v[97:98], v[107:108]
	v_add_f64 v[81:82], v[81:82], -v[101:102]
	v_fma_f64 v[97:98], v[99:100], v[125:126], v[97:98]
	v_add_f64 v[83:84], v[83:84], -v[97:98]
	ds_read2_b64 v[97:100], v94 offset0:40 offset1:41
	;; [unrolled: 8-line block ×22, first 2 shown]
	s_waitcnt lgkmcnt(0)
	v_mul_f64 v[101:102], v[99:100], v[107:108]
	v_fma_f64 v[101:102], v[97:98], v[125:126], -v[101:102]
	v_mul_f64 v[97:98], v[97:98], v[107:108]
	buffer_store_dword v105, off, s[24:27], 0 offset:208 ; 4-byte Folded Spill
	s_nop 0
	buffer_store_dword v106, off, s[24:27], 0 offset:212 ; 4-byte Folded Spill
	buffer_store_dword v107, off, s[24:27], 0 offset:216 ; 4-byte Folded Spill
	;; [unrolled: 1-line block ×3, first 2 shown]
	v_add_f64 v[121:122], v[121:122], -v[101:102]
	v_fma_f64 v[97:98], v[99:100], v[125:126], v[97:98]
	v_add_f64 v[123:124], v[123:124], -v[97:98]
.LBB80_104:
	s_or_b64 exec, exec, s[0:1]
	s_waitcnt vmcnt(0)
	s_barrier
	buffer_load_dword v98, off, s[24:27], 0 offset:192 ; 4-byte Folded Reload
	buffer_load_dword v99, off, s[24:27], 0 offset:196 ; 4-byte Folded Reload
	buffer_load_dword v100, off, s[24:27], 0 offset:200 ; 4-byte Folded Reload
	buffer_load_dword v101, off, s[24:27], 0 offset:204 ; 4-byte Folded Reload
	v_lshl_add_u32 v97, v96, 4, v94
	s_cmp_lt_i32 s3, 7
	s_waitcnt vmcnt(0)
	ds_write2_b64 v97, v[98:99], v[100:101] offset1:1
	s_waitcnt lgkmcnt(0)
	s_barrier
	ds_read2_b64 v[117:120], v94 offset0:10 offset1:11
	v_mov_b32_e32 v97, 5
	s_cbranch_scc1 .LBB80_107
; %bb.105:
	v_add_u32_e32 v98, 0x60, v94
	s_mov_b32 s0, 6
	v_mov_b32_e32 v97, 5
.LBB80_106:                             ; =>This Inner Loop Header: Depth=1
	s_waitcnt lgkmcnt(0)
	v_cmp_gt_f64_e32 vcc, 0, v[117:118]
	v_xor_b32_e32 v103, 0x80000000, v118
	ds_read2_b64 v[99:102], v98 offset1:1
	v_xor_b32_e32 v105, 0x80000000, v120
	v_add_u32_e32 v98, 16, v98
	s_waitcnt lgkmcnt(0)
	v_xor_b32_e32 v107, 0x80000000, v102
	v_cndmask_b32_e32 v104, v118, v103, vcc
	v_cmp_gt_f64_e32 vcc, 0, v[119:120]
	v_mov_b32_e32 v103, v117
	v_cndmask_b32_e32 v106, v120, v105, vcc
	v_cmp_gt_f64_e32 vcc, 0, v[99:100]
	v_mov_b32_e32 v105, v119
	v_add_f64 v[103:104], v[103:104], v[105:106]
	v_xor_b32_e32 v105, 0x80000000, v100
	v_cndmask_b32_e32 v106, v100, v105, vcc
	v_cmp_gt_f64_e32 vcc, 0, v[101:102]
	v_mov_b32_e32 v105, v99
	v_cndmask_b32_e32 v108, v102, v107, vcc
	v_mov_b32_e32 v107, v101
	v_add_f64 v[105:106], v[105:106], v[107:108]
	v_cmp_lt_f64_e32 vcc, v[103:104], v[105:106]
	v_cndmask_b32_e32 v117, v117, v99, vcc
	v_mov_b32_e32 v99, s0
	s_add_i32 s0, s0, 1
	v_cndmask_b32_e32 v118, v118, v100, vcc
	v_cndmask_b32_e32 v120, v120, v102, vcc
	;; [unrolled: 1-line block ×4, first 2 shown]
	s_cmp_lg_u32 s3, s0
	s_cbranch_scc1 .LBB80_106
.LBB80_107:
	s_waitcnt lgkmcnt(0)
	v_cmp_eq_f64_e32 vcc, 0, v[117:118]
	v_cmp_eq_f64_e64 s[0:1], 0, v[119:120]
	s_and_b64 s[0:1], vcc, s[0:1]
	s_and_saveexec_b64 s[18:19], s[0:1]
	s_xor_b64 s[0:1], exec, s[18:19]
; %bb.108:
	v_cmp_ne_u32_e32 vcc, 0, v95
	v_cndmask_b32_e32 v95, 6, v95, vcc
; %bb.109:
	s_andn2_saveexec_b64 s[0:1], s[0:1]
	s_cbranch_execz .LBB80_115
; %bb.110:
	v_cmp_ngt_f64_e64 s[18:19], |v[117:118]|, |v[119:120]|
	s_and_saveexec_b64 s[20:21], s[18:19]
	s_xor_b64 s[18:19], exec, s[20:21]
	s_cbranch_execz .LBB80_112
; %bb.111:
	v_div_scale_f64 v[98:99], s[20:21], v[119:120], v[119:120], v[117:118]
	v_rcp_f64_e32 v[100:101], v[98:99]
	v_fma_f64 v[102:103], -v[98:99], v[100:101], 1.0
	v_fma_f64 v[100:101], v[100:101], v[102:103], v[100:101]
	v_div_scale_f64 v[102:103], vcc, v[117:118], v[119:120], v[117:118]
	v_fma_f64 v[104:105], -v[98:99], v[100:101], 1.0
	v_fma_f64 v[100:101], v[100:101], v[104:105], v[100:101]
	v_mul_f64 v[104:105], v[102:103], v[100:101]
	v_fma_f64 v[98:99], -v[98:99], v[104:105], v[102:103]
	v_div_fmas_f64 v[98:99], v[98:99], v[100:101], v[104:105]
	v_div_fixup_f64 v[98:99], v[98:99], v[119:120], v[117:118]
	v_fma_f64 v[100:101], v[117:118], v[98:99], v[119:120]
	v_div_scale_f64 v[102:103], s[20:21], v[100:101], v[100:101], 1.0
	v_div_scale_f64 v[108:109], vcc, 1.0, v[100:101], 1.0
	v_rcp_f64_e32 v[104:105], v[102:103]
	v_fma_f64 v[106:107], -v[102:103], v[104:105], 1.0
	v_fma_f64 v[104:105], v[104:105], v[106:107], v[104:105]
	v_fma_f64 v[106:107], -v[102:103], v[104:105], 1.0
	v_fma_f64 v[104:105], v[104:105], v[106:107], v[104:105]
	v_mul_f64 v[106:107], v[108:109], v[104:105]
	v_fma_f64 v[102:103], -v[102:103], v[106:107], v[108:109]
	v_div_fmas_f64 v[102:103], v[102:103], v[104:105], v[106:107]
	v_div_fixup_f64 v[119:120], v[102:103], v[100:101], 1.0
	v_mul_f64 v[117:118], v[98:99], v[119:120]
	v_xor_b32_e32 v120, 0x80000000, v120
.LBB80_112:
	s_andn2_saveexec_b64 s[18:19], s[18:19]
	s_cbranch_execz .LBB80_114
; %bb.113:
	v_div_scale_f64 v[98:99], s[20:21], v[117:118], v[117:118], v[119:120]
	v_rcp_f64_e32 v[100:101], v[98:99]
	v_fma_f64 v[102:103], -v[98:99], v[100:101], 1.0
	v_fma_f64 v[100:101], v[100:101], v[102:103], v[100:101]
	v_div_scale_f64 v[102:103], vcc, v[119:120], v[117:118], v[119:120]
	v_fma_f64 v[104:105], -v[98:99], v[100:101], 1.0
	v_fma_f64 v[100:101], v[100:101], v[104:105], v[100:101]
	v_mul_f64 v[104:105], v[102:103], v[100:101]
	v_fma_f64 v[98:99], -v[98:99], v[104:105], v[102:103]
	v_div_fmas_f64 v[98:99], v[98:99], v[100:101], v[104:105]
	v_div_fixup_f64 v[98:99], v[98:99], v[117:118], v[119:120]
	v_fma_f64 v[100:101], v[119:120], v[98:99], v[117:118]
	v_div_scale_f64 v[102:103], s[20:21], v[100:101], v[100:101], 1.0
	v_div_scale_f64 v[108:109], vcc, 1.0, v[100:101], 1.0
	v_rcp_f64_e32 v[104:105], v[102:103]
	v_fma_f64 v[106:107], -v[102:103], v[104:105], 1.0
	v_fma_f64 v[104:105], v[104:105], v[106:107], v[104:105]
	v_fma_f64 v[106:107], -v[102:103], v[104:105], 1.0
	v_fma_f64 v[104:105], v[104:105], v[106:107], v[104:105]
	v_mul_f64 v[106:107], v[108:109], v[104:105]
	v_fma_f64 v[102:103], -v[102:103], v[106:107], v[108:109]
	v_div_fmas_f64 v[102:103], v[102:103], v[104:105], v[106:107]
	v_div_fixup_f64 v[117:118], v[102:103], v[100:101], 1.0
	v_mul_f64 v[119:120], v[98:99], -v[117:118]
.LBB80_114:
	s_or_b64 exec, exec, s[18:19]
.LBB80_115:
	s_or_b64 exec, exec, s[0:1]
	v_cmp_ne_u32_e32 vcc, v96, v97
	s_and_saveexec_b64 s[0:1], vcc
	s_xor_b64 s[0:1], exec, s[0:1]
	s_cbranch_execz .LBB80_121
; %bb.116:
	v_cmp_eq_u32_e32 vcc, 5, v96
	s_and_saveexec_b64 s[18:19], vcc
	s_cbranch_execz .LBB80_120
; %bb.117:
	v_cmp_ne_u32_e32 vcc, 5, v97
	s_xor_b64 s[20:21], s[6:7], -1
	s_and_b64 s[22:23], s[20:21], vcc
	s_and_saveexec_b64 s[20:21], s[22:23]
	s_cbranch_execz .LBB80_119
; %bb.118:
	v_ashrrev_i32_e32 v98, 31, v97
	v_lshlrev_b64 v[98:99], 2, v[97:98]
	v_add_co_u32_e32 v98, vcc, v91, v98
	v_addc_co_u32_e32 v99, vcc, v92, v99, vcc
	global_load_dword v0, v[98:99], off
	global_load_dword v96, v[91:92], off offset:20
	s_waitcnt vmcnt(1)
	global_store_dword v[91:92], v0, off offset:20
	s_waitcnt vmcnt(1)
	global_store_dword v[98:99], v96, off
.LBB80_119:
	s_or_b64 exec, exec, s[20:21]
	v_mov_b32_e32 v96, v97
	v_mov_b32_e32 v0, v97
.LBB80_120:
	s_or_b64 exec, exec, s[18:19]
.LBB80_121:
	s_andn2_saveexec_b64 s[0:1], s[0:1]
	s_cbranch_execz .LBB80_123
; %bb.122:
	buffer_load_dword v96, off, s[24:27], 0 offset:176 ; 4-byte Folded Reload
	buffer_load_dword v97, off, s[24:27], 0 offset:180 ; 4-byte Folded Reload
	buffer_load_dword v98, off, s[24:27], 0 offset:184 ; 4-byte Folded Reload
	buffer_load_dword v99, off, s[24:27], 0 offset:188 ; 4-byte Folded Reload
	s_waitcnt vmcnt(0)
	ds_write2_b64 v94, v[96:97], v[98:99] offset0:12 offset1:13
	buffer_load_dword v96, off, s[24:27], 0 offset:160 ; 4-byte Folded Reload
	buffer_load_dword v97, off, s[24:27], 0 offset:164 ; 4-byte Folded Reload
	buffer_load_dword v98, off, s[24:27], 0 offset:168 ; 4-byte Folded Reload
	buffer_load_dword v99, off, s[24:27], 0 offset:172 ; 4-byte Folded Reload
	s_waitcnt vmcnt(0)
	ds_write2_b64 v94, v[96:97], v[98:99] offset0:14 offset1:15
	;; [unrolled: 6-line block ×11, first 2 shown]
	buffer_load_dword v96, off, s[24:27], 0 ; 4-byte Folded Reload
	buffer_load_dword v97, off, s[24:27], 0 offset:4 ; 4-byte Folded Reload
	buffer_load_dword v98, off, s[24:27], 0 offset:8 ; 4-byte Folded Reload
	;; [unrolled: 1-line block ×3, first 2 shown]
	s_waitcnt vmcnt(0)
	ds_write2_b64 v94, v[96:97], v[98:99] offset0:34 offset1:35
	ds_write2_b64 v94, v[85:86], v[87:88] offset0:36 offset1:37
	;; [unrolled: 1-line block ×24, first 2 shown]
	v_mov_b32_e32 v96, 5
.LBB80_123:
	s_or_b64 exec, exec, s[0:1]
	v_cmp_lt_i32_e32 vcc, 5, v96
	s_waitcnt vmcnt(0) lgkmcnt(0)
	s_barrier
	s_and_saveexec_b64 s[0:1], vcc
	s_cbranch_execz .LBB80_125
; %bb.124:
	buffer_load_dword v105, off, s[24:27], 0 offset:192 ; 4-byte Folded Reload
	buffer_load_dword v106, off, s[24:27], 0 offset:196 ; 4-byte Folded Reload
	;; [unrolled: 1-line block ×4, first 2 shown]
	s_waitcnt vmcnt(0)
	v_mul_f64 v[97:98], v[119:120], v[107:108]
	v_fma_f64 v[125:126], v[117:118], v[105:106], -v[97:98]
	v_mul_f64 v[97:98], v[117:118], v[107:108]
	v_fma_f64 v[107:108], v[119:120], v[105:106], v[97:98]
	ds_read2_b64 v[97:100], v94 offset0:12 offset1:13
	buffer_load_dword v103, off, s[24:27], 0 offset:176 ; 4-byte Folded Reload
	buffer_load_dword v104, off, s[24:27], 0 offset:180 ; 4-byte Folded Reload
	buffer_load_dword v105, off, s[24:27], 0 offset:184 ; 4-byte Folded Reload
	buffer_load_dword v106, off, s[24:27], 0 offset:188 ; 4-byte Folded Reload
	s_waitcnt lgkmcnt(0)
	v_mul_f64 v[101:102], v[99:100], v[107:108]
	v_fma_f64 v[101:102], v[97:98], v[125:126], -v[101:102]
	v_mul_f64 v[97:98], v[97:98], v[107:108]
	v_fma_f64 v[97:98], v[99:100], v[125:126], v[97:98]
	s_waitcnt vmcnt(2)
	v_add_f64 v[103:104], v[103:104], -v[101:102]
	s_waitcnt vmcnt(0)
	v_add_f64 v[105:106], v[105:106], -v[97:98]
	buffer_store_dword v103, off, s[24:27], 0 offset:176 ; 4-byte Folded Spill
	s_nop 0
	buffer_store_dword v104, off, s[24:27], 0 offset:180 ; 4-byte Folded Spill
	buffer_store_dword v105, off, s[24:27], 0 offset:184 ; 4-byte Folded Spill
	buffer_store_dword v106, off, s[24:27], 0 offset:188 ; 4-byte Folded Spill
	ds_read2_b64 v[97:100], v94 offset0:14 offset1:15
	buffer_load_dword v103, off, s[24:27], 0 offset:160 ; 4-byte Folded Reload
	buffer_load_dword v104, off, s[24:27], 0 offset:164 ; 4-byte Folded Reload
	buffer_load_dword v105, off, s[24:27], 0 offset:168 ; 4-byte Folded Reload
	buffer_load_dword v106, off, s[24:27], 0 offset:172 ; 4-byte Folded Reload
	s_waitcnt lgkmcnt(0)
	v_mul_f64 v[101:102], v[99:100], v[107:108]
	v_fma_f64 v[101:102], v[97:98], v[125:126], -v[101:102]
	v_mul_f64 v[97:98], v[97:98], v[107:108]
	v_fma_f64 v[97:98], v[99:100], v[125:126], v[97:98]
	s_waitcnt vmcnt(2)
	v_add_f64 v[103:104], v[103:104], -v[101:102]
	s_waitcnt vmcnt(0)
	v_add_f64 v[105:106], v[105:106], -v[97:98]
	buffer_store_dword v103, off, s[24:27], 0 offset:160 ; 4-byte Folded Spill
	s_nop 0
	buffer_store_dword v104, off, s[24:27], 0 offset:164 ; 4-byte Folded Spill
	buffer_store_dword v105, off, s[24:27], 0 offset:168 ; 4-byte Folded Spill
	buffer_store_dword v106, off, s[24:27], 0 offset:172 ; 4-byte Folded Spill
	;; [unrolled: 19-line block ×11, first 2 shown]
	ds_read2_b64 v[97:100], v94 offset0:34 offset1:35
	buffer_load_dword v103, off, s[24:27], 0 ; 4-byte Folded Reload
	buffer_load_dword v104, off, s[24:27], 0 offset:4 ; 4-byte Folded Reload
	buffer_load_dword v105, off, s[24:27], 0 offset:8 ; 4-byte Folded Reload
	;; [unrolled: 1-line block ×3, first 2 shown]
	s_waitcnt lgkmcnt(0)
	v_mul_f64 v[101:102], v[99:100], v[107:108]
	v_fma_f64 v[101:102], v[97:98], v[125:126], -v[101:102]
	v_mul_f64 v[97:98], v[97:98], v[107:108]
	v_fma_f64 v[97:98], v[99:100], v[125:126], v[97:98]
	s_waitcnt vmcnt(2)
	v_add_f64 v[103:104], v[103:104], -v[101:102]
	s_waitcnt vmcnt(0)
	v_add_f64 v[105:106], v[105:106], -v[97:98]
	buffer_store_dword v103, off, s[24:27], 0 ; 4-byte Folded Spill
	s_nop 0
	buffer_store_dword v104, off, s[24:27], 0 offset:4 ; 4-byte Folded Spill
	buffer_store_dword v105, off, s[24:27], 0 offset:8 ; 4-byte Folded Spill
	;; [unrolled: 1-line block ×3, first 2 shown]
	ds_read2_b64 v[97:100], v94 offset0:36 offset1:37
	v_mov_b32_e32 v105, v125
	v_mov_b32_e32 v106, v126
	s_waitcnt lgkmcnt(0)
	v_mul_f64 v[101:102], v[99:100], v[107:108]
	v_fma_f64 v[101:102], v[97:98], v[125:126], -v[101:102]
	v_mul_f64 v[97:98], v[97:98], v[107:108]
	v_add_f64 v[85:86], v[85:86], -v[101:102]
	v_fma_f64 v[97:98], v[99:100], v[125:126], v[97:98]
	v_add_f64 v[87:88], v[87:88], -v[97:98]
	ds_read2_b64 v[97:100], v94 offset0:38 offset1:39
	s_waitcnt lgkmcnt(0)
	v_mul_f64 v[101:102], v[99:100], v[107:108]
	v_fma_f64 v[101:102], v[97:98], v[125:126], -v[101:102]
	v_mul_f64 v[97:98], v[97:98], v[107:108]
	v_add_f64 v[81:82], v[81:82], -v[101:102]
	v_fma_f64 v[97:98], v[99:100], v[125:126], v[97:98]
	v_add_f64 v[83:84], v[83:84], -v[97:98]
	ds_read2_b64 v[97:100], v94 offset0:40 offset1:41
	;; [unrolled: 8-line block ×22, first 2 shown]
	s_waitcnt lgkmcnt(0)
	v_mul_f64 v[101:102], v[99:100], v[107:108]
	v_fma_f64 v[101:102], v[97:98], v[125:126], -v[101:102]
	v_mul_f64 v[97:98], v[97:98], v[107:108]
	buffer_store_dword v105, off, s[24:27], 0 offset:192 ; 4-byte Folded Spill
	s_nop 0
	buffer_store_dword v106, off, s[24:27], 0 offset:196 ; 4-byte Folded Spill
	buffer_store_dword v107, off, s[24:27], 0 offset:200 ; 4-byte Folded Spill
	;; [unrolled: 1-line block ×3, first 2 shown]
	v_add_f64 v[121:122], v[121:122], -v[101:102]
	v_fma_f64 v[97:98], v[99:100], v[125:126], v[97:98]
	v_add_f64 v[123:124], v[123:124], -v[97:98]
.LBB80_125:
	s_or_b64 exec, exec, s[0:1]
	s_waitcnt vmcnt(0)
	s_barrier
	buffer_load_dword v98, off, s[24:27], 0 offset:176 ; 4-byte Folded Reload
	buffer_load_dword v99, off, s[24:27], 0 offset:180 ; 4-byte Folded Reload
	;; [unrolled: 1-line block ×4, first 2 shown]
	v_lshl_add_u32 v97, v96, 4, v94
	s_cmp_lt_i32 s3, 8
	s_waitcnt vmcnt(0)
	ds_write2_b64 v97, v[98:99], v[100:101] offset1:1
	s_waitcnt lgkmcnt(0)
	s_barrier
	ds_read2_b64 v[117:120], v94 offset0:12 offset1:13
	v_mov_b32_e32 v97, 6
	s_cbranch_scc1 .LBB80_128
; %bb.126:
	v_add_u32_e32 v98, 0x70, v94
	s_mov_b32 s0, 7
	v_mov_b32_e32 v97, 6
.LBB80_127:                             ; =>This Inner Loop Header: Depth=1
	s_waitcnt lgkmcnt(0)
	v_cmp_gt_f64_e32 vcc, 0, v[117:118]
	v_xor_b32_e32 v103, 0x80000000, v118
	ds_read2_b64 v[99:102], v98 offset1:1
	v_xor_b32_e32 v105, 0x80000000, v120
	v_add_u32_e32 v98, 16, v98
	s_waitcnt lgkmcnt(0)
	v_xor_b32_e32 v107, 0x80000000, v102
	v_cndmask_b32_e32 v104, v118, v103, vcc
	v_cmp_gt_f64_e32 vcc, 0, v[119:120]
	v_mov_b32_e32 v103, v117
	v_cndmask_b32_e32 v106, v120, v105, vcc
	v_cmp_gt_f64_e32 vcc, 0, v[99:100]
	v_mov_b32_e32 v105, v119
	v_add_f64 v[103:104], v[103:104], v[105:106]
	v_xor_b32_e32 v105, 0x80000000, v100
	v_cndmask_b32_e32 v106, v100, v105, vcc
	v_cmp_gt_f64_e32 vcc, 0, v[101:102]
	v_mov_b32_e32 v105, v99
	v_cndmask_b32_e32 v108, v102, v107, vcc
	v_mov_b32_e32 v107, v101
	v_add_f64 v[105:106], v[105:106], v[107:108]
	v_cmp_lt_f64_e32 vcc, v[103:104], v[105:106]
	v_cndmask_b32_e32 v117, v117, v99, vcc
	v_mov_b32_e32 v99, s0
	s_add_i32 s0, s0, 1
	v_cndmask_b32_e32 v118, v118, v100, vcc
	v_cndmask_b32_e32 v120, v120, v102, vcc
	;; [unrolled: 1-line block ×4, first 2 shown]
	s_cmp_lg_u32 s3, s0
	s_cbranch_scc1 .LBB80_127
.LBB80_128:
	s_waitcnt lgkmcnt(0)
	v_cmp_eq_f64_e32 vcc, 0, v[117:118]
	v_cmp_eq_f64_e64 s[0:1], 0, v[119:120]
	s_and_b64 s[0:1], vcc, s[0:1]
	s_and_saveexec_b64 s[18:19], s[0:1]
	s_xor_b64 s[0:1], exec, s[18:19]
; %bb.129:
	v_cmp_ne_u32_e32 vcc, 0, v95
	v_cndmask_b32_e32 v95, 7, v95, vcc
; %bb.130:
	s_andn2_saveexec_b64 s[0:1], s[0:1]
	s_cbranch_execz .LBB80_136
; %bb.131:
	v_cmp_ngt_f64_e64 s[18:19], |v[117:118]|, |v[119:120]|
	s_and_saveexec_b64 s[20:21], s[18:19]
	s_xor_b64 s[18:19], exec, s[20:21]
	s_cbranch_execz .LBB80_133
; %bb.132:
	v_div_scale_f64 v[98:99], s[20:21], v[119:120], v[119:120], v[117:118]
	v_rcp_f64_e32 v[100:101], v[98:99]
	v_fma_f64 v[102:103], -v[98:99], v[100:101], 1.0
	v_fma_f64 v[100:101], v[100:101], v[102:103], v[100:101]
	v_div_scale_f64 v[102:103], vcc, v[117:118], v[119:120], v[117:118]
	v_fma_f64 v[104:105], -v[98:99], v[100:101], 1.0
	v_fma_f64 v[100:101], v[100:101], v[104:105], v[100:101]
	v_mul_f64 v[104:105], v[102:103], v[100:101]
	v_fma_f64 v[98:99], -v[98:99], v[104:105], v[102:103]
	v_div_fmas_f64 v[98:99], v[98:99], v[100:101], v[104:105]
	v_div_fixup_f64 v[98:99], v[98:99], v[119:120], v[117:118]
	v_fma_f64 v[100:101], v[117:118], v[98:99], v[119:120]
	v_div_scale_f64 v[102:103], s[20:21], v[100:101], v[100:101], 1.0
	v_div_scale_f64 v[108:109], vcc, 1.0, v[100:101], 1.0
	v_rcp_f64_e32 v[104:105], v[102:103]
	v_fma_f64 v[106:107], -v[102:103], v[104:105], 1.0
	v_fma_f64 v[104:105], v[104:105], v[106:107], v[104:105]
	v_fma_f64 v[106:107], -v[102:103], v[104:105], 1.0
	v_fma_f64 v[104:105], v[104:105], v[106:107], v[104:105]
	v_mul_f64 v[106:107], v[108:109], v[104:105]
	v_fma_f64 v[102:103], -v[102:103], v[106:107], v[108:109]
	v_div_fmas_f64 v[102:103], v[102:103], v[104:105], v[106:107]
	v_div_fixup_f64 v[119:120], v[102:103], v[100:101], 1.0
	v_mul_f64 v[117:118], v[98:99], v[119:120]
	v_xor_b32_e32 v120, 0x80000000, v120
.LBB80_133:
	s_andn2_saveexec_b64 s[18:19], s[18:19]
	s_cbranch_execz .LBB80_135
; %bb.134:
	v_div_scale_f64 v[98:99], s[20:21], v[117:118], v[117:118], v[119:120]
	v_rcp_f64_e32 v[100:101], v[98:99]
	v_fma_f64 v[102:103], -v[98:99], v[100:101], 1.0
	v_fma_f64 v[100:101], v[100:101], v[102:103], v[100:101]
	v_div_scale_f64 v[102:103], vcc, v[119:120], v[117:118], v[119:120]
	v_fma_f64 v[104:105], -v[98:99], v[100:101], 1.0
	v_fma_f64 v[100:101], v[100:101], v[104:105], v[100:101]
	v_mul_f64 v[104:105], v[102:103], v[100:101]
	v_fma_f64 v[98:99], -v[98:99], v[104:105], v[102:103]
	v_div_fmas_f64 v[98:99], v[98:99], v[100:101], v[104:105]
	v_div_fixup_f64 v[98:99], v[98:99], v[117:118], v[119:120]
	v_fma_f64 v[100:101], v[119:120], v[98:99], v[117:118]
	v_div_scale_f64 v[102:103], s[20:21], v[100:101], v[100:101], 1.0
	v_div_scale_f64 v[108:109], vcc, 1.0, v[100:101], 1.0
	v_rcp_f64_e32 v[104:105], v[102:103]
	v_fma_f64 v[106:107], -v[102:103], v[104:105], 1.0
	v_fma_f64 v[104:105], v[104:105], v[106:107], v[104:105]
	v_fma_f64 v[106:107], -v[102:103], v[104:105], 1.0
	v_fma_f64 v[104:105], v[104:105], v[106:107], v[104:105]
	v_mul_f64 v[106:107], v[108:109], v[104:105]
	v_fma_f64 v[102:103], -v[102:103], v[106:107], v[108:109]
	v_div_fmas_f64 v[102:103], v[102:103], v[104:105], v[106:107]
	v_div_fixup_f64 v[117:118], v[102:103], v[100:101], 1.0
	v_mul_f64 v[119:120], v[98:99], -v[117:118]
.LBB80_135:
	s_or_b64 exec, exec, s[18:19]
.LBB80_136:
	s_or_b64 exec, exec, s[0:1]
	v_cmp_ne_u32_e32 vcc, v96, v97
	s_and_saveexec_b64 s[0:1], vcc
	s_xor_b64 s[0:1], exec, s[0:1]
	s_cbranch_execz .LBB80_142
; %bb.137:
	v_cmp_eq_u32_e32 vcc, 6, v96
	s_and_saveexec_b64 s[18:19], vcc
	s_cbranch_execz .LBB80_141
; %bb.138:
	v_cmp_ne_u32_e32 vcc, 6, v97
	s_xor_b64 s[20:21], s[6:7], -1
	s_and_b64 s[22:23], s[20:21], vcc
	s_and_saveexec_b64 s[20:21], s[22:23]
	s_cbranch_execz .LBB80_140
; %bb.139:
	v_ashrrev_i32_e32 v98, 31, v97
	v_lshlrev_b64 v[98:99], 2, v[97:98]
	v_add_co_u32_e32 v98, vcc, v91, v98
	v_addc_co_u32_e32 v99, vcc, v92, v99, vcc
	global_load_dword v0, v[98:99], off
	global_load_dword v96, v[91:92], off offset:24
	s_waitcnt vmcnt(1)
	global_store_dword v[91:92], v0, off offset:24
	s_waitcnt vmcnt(1)
	global_store_dword v[98:99], v96, off
.LBB80_140:
	s_or_b64 exec, exec, s[20:21]
	v_mov_b32_e32 v96, v97
	v_mov_b32_e32 v0, v97
.LBB80_141:
	s_or_b64 exec, exec, s[18:19]
.LBB80_142:
	s_andn2_saveexec_b64 s[0:1], s[0:1]
	s_cbranch_execz .LBB80_144
; %bb.143:
	buffer_load_dword v96, off, s[24:27], 0 offset:160 ; 4-byte Folded Reload
	buffer_load_dword v97, off, s[24:27], 0 offset:164 ; 4-byte Folded Reload
	buffer_load_dword v98, off, s[24:27], 0 offset:168 ; 4-byte Folded Reload
	buffer_load_dword v99, off, s[24:27], 0 offset:172 ; 4-byte Folded Reload
	s_waitcnt vmcnt(0)
	ds_write2_b64 v94, v[96:97], v[98:99] offset0:14 offset1:15
	buffer_load_dword v96, off, s[24:27], 0 offset:144 ; 4-byte Folded Reload
	buffer_load_dword v97, off, s[24:27], 0 offset:148 ; 4-byte Folded Reload
	buffer_load_dword v98, off, s[24:27], 0 offset:152 ; 4-byte Folded Reload
	buffer_load_dword v99, off, s[24:27], 0 offset:156 ; 4-byte Folded Reload
	s_waitcnt vmcnt(0)
	ds_write2_b64 v94, v[96:97], v[98:99] offset0:16 offset1:17
	;; [unrolled: 6-line block ×10, first 2 shown]
	buffer_load_dword v96, off, s[24:27], 0 ; 4-byte Folded Reload
	buffer_load_dword v97, off, s[24:27], 0 offset:4 ; 4-byte Folded Reload
	buffer_load_dword v98, off, s[24:27], 0 offset:8 ; 4-byte Folded Reload
	;; [unrolled: 1-line block ×3, first 2 shown]
	s_waitcnt vmcnt(0)
	ds_write2_b64 v94, v[96:97], v[98:99] offset0:34 offset1:35
	ds_write2_b64 v94, v[85:86], v[87:88] offset0:36 offset1:37
	;; [unrolled: 1-line block ×24, first 2 shown]
	v_mov_b32_e32 v96, 6
.LBB80_144:
	s_or_b64 exec, exec, s[0:1]
	v_cmp_lt_i32_e32 vcc, 6, v96
	s_waitcnt vmcnt(0) lgkmcnt(0)
	s_barrier
	s_and_saveexec_b64 s[0:1], vcc
	s_cbranch_execz .LBB80_146
; %bb.145:
	buffer_load_dword v105, off, s[24:27], 0 offset:176 ; 4-byte Folded Reload
	buffer_load_dword v106, off, s[24:27], 0 offset:180 ; 4-byte Folded Reload
	;; [unrolled: 1-line block ×4, first 2 shown]
	s_waitcnt vmcnt(0)
	v_mul_f64 v[97:98], v[119:120], v[107:108]
	v_fma_f64 v[125:126], v[117:118], v[105:106], -v[97:98]
	v_mul_f64 v[97:98], v[117:118], v[107:108]
	v_fma_f64 v[107:108], v[119:120], v[105:106], v[97:98]
	ds_read2_b64 v[97:100], v94 offset0:14 offset1:15
	buffer_load_dword v103, off, s[24:27], 0 offset:160 ; 4-byte Folded Reload
	buffer_load_dword v104, off, s[24:27], 0 offset:164 ; 4-byte Folded Reload
	buffer_load_dword v105, off, s[24:27], 0 offset:168 ; 4-byte Folded Reload
	buffer_load_dword v106, off, s[24:27], 0 offset:172 ; 4-byte Folded Reload
	s_waitcnt lgkmcnt(0)
	v_mul_f64 v[101:102], v[99:100], v[107:108]
	v_fma_f64 v[101:102], v[97:98], v[125:126], -v[101:102]
	v_mul_f64 v[97:98], v[97:98], v[107:108]
	v_fma_f64 v[97:98], v[99:100], v[125:126], v[97:98]
	s_waitcnt vmcnt(2)
	v_add_f64 v[103:104], v[103:104], -v[101:102]
	s_waitcnt vmcnt(0)
	v_add_f64 v[105:106], v[105:106], -v[97:98]
	buffer_store_dword v103, off, s[24:27], 0 offset:160 ; 4-byte Folded Spill
	s_nop 0
	buffer_store_dword v104, off, s[24:27], 0 offset:164 ; 4-byte Folded Spill
	buffer_store_dword v105, off, s[24:27], 0 offset:168 ; 4-byte Folded Spill
	buffer_store_dword v106, off, s[24:27], 0 offset:172 ; 4-byte Folded Spill
	ds_read2_b64 v[97:100], v94 offset0:16 offset1:17
	buffer_load_dword v103, off, s[24:27], 0 offset:144 ; 4-byte Folded Reload
	buffer_load_dword v104, off, s[24:27], 0 offset:148 ; 4-byte Folded Reload
	buffer_load_dword v105, off, s[24:27], 0 offset:152 ; 4-byte Folded Reload
	buffer_load_dword v106, off, s[24:27], 0 offset:156 ; 4-byte Folded Reload
	s_waitcnt lgkmcnt(0)
	v_mul_f64 v[101:102], v[99:100], v[107:108]
	v_fma_f64 v[101:102], v[97:98], v[125:126], -v[101:102]
	v_mul_f64 v[97:98], v[97:98], v[107:108]
	v_fma_f64 v[97:98], v[99:100], v[125:126], v[97:98]
	s_waitcnt vmcnt(2)
	v_add_f64 v[103:104], v[103:104], -v[101:102]
	s_waitcnt vmcnt(0)
	v_add_f64 v[105:106], v[105:106], -v[97:98]
	buffer_store_dword v103, off, s[24:27], 0 offset:144 ; 4-byte Folded Spill
	s_nop 0
	buffer_store_dword v104, off, s[24:27], 0 offset:148 ; 4-byte Folded Spill
	buffer_store_dword v105, off, s[24:27], 0 offset:152 ; 4-byte Folded Spill
	buffer_store_dword v106, off, s[24:27], 0 offset:156 ; 4-byte Folded Spill
	;; [unrolled: 19-line block ×10, first 2 shown]
	ds_read2_b64 v[97:100], v94 offset0:34 offset1:35
	buffer_load_dword v103, off, s[24:27], 0 ; 4-byte Folded Reload
	buffer_load_dword v104, off, s[24:27], 0 offset:4 ; 4-byte Folded Reload
	buffer_load_dword v105, off, s[24:27], 0 offset:8 ; 4-byte Folded Reload
	;; [unrolled: 1-line block ×3, first 2 shown]
	s_waitcnt lgkmcnt(0)
	v_mul_f64 v[101:102], v[99:100], v[107:108]
	v_fma_f64 v[101:102], v[97:98], v[125:126], -v[101:102]
	v_mul_f64 v[97:98], v[97:98], v[107:108]
	v_fma_f64 v[97:98], v[99:100], v[125:126], v[97:98]
	s_waitcnt vmcnt(2)
	v_add_f64 v[103:104], v[103:104], -v[101:102]
	s_waitcnt vmcnt(0)
	v_add_f64 v[105:106], v[105:106], -v[97:98]
	buffer_store_dword v103, off, s[24:27], 0 ; 4-byte Folded Spill
	s_nop 0
	buffer_store_dword v104, off, s[24:27], 0 offset:4 ; 4-byte Folded Spill
	buffer_store_dword v105, off, s[24:27], 0 offset:8 ; 4-byte Folded Spill
	;; [unrolled: 1-line block ×3, first 2 shown]
	ds_read2_b64 v[97:100], v94 offset0:36 offset1:37
	v_mov_b32_e32 v105, v125
	v_mov_b32_e32 v106, v126
	s_waitcnt lgkmcnt(0)
	v_mul_f64 v[101:102], v[99:100], v[107:108]
	v_fma_f64 v[101:102], v[97:98], v[125:126], -v[101:102]
	v_mul_f64 v[97:98], v[97:98], v[107:108]
	v_add_f64 v[85:86], v[85:86], -v[101:102]
	v_fma_f64 v[97:98], v[99:100], v[125:126], v[97:98]
	v_add_f64 v[87:88], v[87:88], -v[97:98]
	ds_read2_b64 v[97:100], v94 offset0:38 offset1:39
	s_waitcnt lgkmcnt(0)
	v_mul_f64 v[101:102], v[99:100], v[107:108]
	v_fma_f64 v[101:102], v[97:98], v[125:126], -v[101:102]
	v_mul_f64 v[97:98], v[97:98], v[107:108]
	v_add_f64 v[81:82], v[81:82], -v[101:102]
	v_fma_f64 v[97:98], v[99:100], v[125:126], v[97:98]
	v_add_f64 v[83:84], v[83:84], -v[97:98]
	ds_read2_b64 v[97:100], v94 offset0:40 offset1:41
	;; [unrolled: 8-line block ×22, first 2 shown]
	s_waitcnt lgkmcnt(0)
	v_mul_f64 v[101:102], v[99:100], v[107:108]
	v_fma_f64 v[101:102], v[97:98], v[125:126], -v[101:102]
	v_mul_f64 v[97:98], v[97:98], v[107:108]
	buffer_store_dword v105, off, s[24:27], 0 offset:176 ; 4-byte Folded Spill
	s_nop 0
	buffer_store_dword v106, off, s[24:27], 0 offset:180 ; 4-byte Folded Spill
	buffer_store_dword v107, off, s[24:27], 0 offset:184 ; 4-byte Folded Spill
	;; [unrolled: 1-line block ×3, first 2 shown]
	v_add_f64 v[121:122], v[121:122], -v[101:102]
	v_fma_f64 v[97:98], v[99:100], v[125:126], v[97:98]
	v_add_f64 v[123:124], v[123:124], -v[97:98]
.LBB80_146:
	s_or_b64 exec, exec, s[0:1]
	s_waitcnt vmcnt(0)
	s_barrier
	buffer_load_dword v98, off, s[24:27], 0 offset:160 ; 4-byte Folded Reload
	buffer_load_dword v99, off, s[24:27], 0 offset:164 ; 4-byte Folded Reload
	;; [unrolled: 1-line block ×4, first 2 shown]
	v_lshl_add_u32 v97, v96, 4, v94
	s_cmp_lt_i32 s3, 9
	s_waitcnt vmcnt(0)
	ds_write2_b64 v97, v[98:99], v[100:101] offset1:1
	s_waitcnt lgkmcnt(0)
	s_barrier
	ds_read2_b64 v[117:120], v94 offset0:14 offset1:15
	v_mov_b32_e32 v97, 7
	s_cbranch_scc1 .LBB80_149
; %bb.147:
	v_add_u32_e32 v98, 0x80, v94
	s_mov_b32 s0, 8
	v_mov_b32_e32 v97, 7
.LBB80_148:                             ; =>This Inner Loop Header: Depth=1
	s_waitcnt lgkmcnt(0)
	v_cmp_gt_f64_e32 vcc, 0, v[117:118]
	v_xor_b32_e32 v103, 0x80000000, v118
	ds_read2_b64 v[99:102], v98 offset1:1
	v_xor_b32_e32 v105, 0x80000000, v120
	v_add_u32_e32 v98, 16, v98
	s_waitcnt lgkmcnt(0)
	v_xor_b32_e32 v107, 0x80000000, v102
	v_cndmask_b32_e32 v104, v118, v103, vcc
	v_cmp_gt_f64_e32 vcc, 0, v[119:120]
	v_mov_b32_e32 v103, v117
	v_cndmask_b32_e32 v106, v120, v105, vcc
	v_cmp_gt_f64_e32 vcc, 0, v[99:100]
	v_mov_b32_e32 v105, v119
	v_add_f64 v[103:104], v[103:104], v[105:106]
	v_xor_b32_e32 v105, 0x80000000, v100
	v_cndmask_b32_e32 v106, v100, v105, vcc
	v_cmp_gt_f64_e32 vcc, 0, v[101:102]
	v_mov_b32_e32 v105, v99
	v_cndmask_b32_e32 v108, v102, v107, vcc
	v_mov_b32_e32 v107, v101
	v_add_f64 v[105:106], v[105:106], v[107:108]
	v_cmp_lt_f64_e32 vcc, v[103:104], v[105:106]
	v_cndmask_b32_e32 v117, v117, v99, vcc
	v_mov_b32_e32 v99, s0
	s_add_i32 s0, s0, 1
	v_cndmask_b32_e32 v118, v118, v100, vcc
	v_cndmask_b32_e32 v120, v120, v102, vcc
	;; [unrolled: 1-line block ×4, first 2 shown]
	s_cmp_lg_u32 s3, s0
	s_cbranch_scc1 .LBB80_148
.LBB80_149:
	s_waitcnt lgkmcnt(0)
	v_cmp_eq_f64_e32 vcc, 0, v[117:118]
	v_cmp_eq_f64_e64 s[0:1], 0, v[119:120]
	s_and_b64 s[0:1], vcc, s[0:1]
	s_and_saveexec_b64 s[18:19], s[0:1]
	s_xor_b64 s[0:1], exec, s[18:19]
; %bb.150:
	v_cmp_ne_u32_e32 vcc, 0, v95
	v_cndmask_b32_e32 v95, 8, v95, vcc
; %bb.151:
	s_andn2_saveexec_b64 s[0:1], s[0:1]
	s_cbranch_execz .LBB80_157
; %bb.152:
	v_cmp_ngt_f64_e64 s[18:19], |v[117:118]|, |v[119:120]|
	s_and_saveexec_b64 s[20:21], s[18:19]
	s_xor_b64 s[18:19], exec, s[20:21]
	s_cbranch_execz .LBB80_154
; %bb.153:
	v_div_scale_f64 v[98:99], s[20:21], v[119:120], v[119:120], v[117:118]
	v_rcp_f64_e32 v[100:101], v[98:99]
	v_fma_f64 v[102:103], -v[98:99], v[100:101], 1.0
	v_fma_f64 v[100:101], v[100:101], v[102:103], v[100:101]
	v_div_scale_f64 v[102:103], vcc, v[117:118], v[119:120], v[117:118]
	v_fma_f64 v[104:105], -v[98:99], v[100:101], 1.0
	v_fma_f64 v[100:101], v[100:101], v[104:105], v[100:101]
	v_mul_f64 v[104:105], v[102:103], v[100:101]
	v_fma_f64 v[98:99], -v[98:99], v[104:105], v[102:103]
	v_div_fmas_f64 v[98:99], v[98:99], v[100:101], v[104:105]
	v_div_fixup_f64 v[98:99], v[98:99], v[119:120], v[117:118]
	v_fma_f64 v[100:101], v[117:118], v[98:99], v[119:120]
	v_div_scale_f64 v[102:103], s[20:21], v[100:101], v[100:101], 1.0
	v_div_scale_f64 v[108:109], vcc, 1.0, v[100:101], 1.0
	v_rcp_f64_e32 v[104:105], v[102:103]
	v_fma_f64 v[106:107], -v[102:103], v[104:105], 1.0
	v_fma_f64 v[104:105], v[104:105], v[106:107], v[104:105]
	v_fma_f64 v[106:107], -v[102:103], v[104:105], 1.0
	v_fma_f64 v[104:105], v[104:105], v[106:107], v[104:105]
	v_mul_f64 v[106:107], v[108:109], v[104:105]
	v_fma_f64 v[102:103], -v[102:103], v[106:107], v[108:109]
	v_div_fmas_f64 v[102:103], v[102:103], v[104:105], v[106:107]
	v_div_fixup_f64 v[119:120], v[102:103], v[100:101], 1.0
	v_mul_f64 v[117:118], v[98:99], v[119:120]
	v_xor_b32_e32 v120, 0x80000000, v120
.LBB80_154:
	s_andn2_saveexec_b64 s[18:19], s[18:19]
	s_cbranch_execz .LBB80_156
; %bb.155:
	v_div_scale_f64 v[98:99], s[20:21], v[117:118], v[117:118], v[119:120]
	v_rcp_f64_e32 v[100:101], v[98:99]
	v_fma_f64 v[102:103], -v[98:99], v[100:101], 1.0
	v_fma_f64 v[100:101], v[100:101], v[102:103], v[100:101]
	v_div_scale_f64 v[102:103], vcc, v[119:120], v[117:118], v[119:120]
	v_fma_f64 v[104:105], -v[98:99], v[100:101], 1.0
	v_fma_f64 v[100:101], v[100:101], v[104:105], v[100:101]
	v_mul_f64 v[104:105], v[102:103], v[100:101]
	v_fma_f64 v[98:99], -v[98:99], v[104:105], v[102:103]
	v_div_fmas_f64 v[98:99], v[98:99], v[100:101], v[104:105]
	v_div_fixup_f64 v[98:99], v[98:99], v[117:118], v[119:120]
	v_fma_f64 v[100:101], v[119:120], v[98:99], v[117:118]
	v_div_scale_f64 v[102:103], s[20:21], v[100:101], v[100:101], 1.0
	v_div_scale_f64 v[108:109], vcc, 1.0, v[100:101], 1.0
	v_rcp_f64_e32 v[104:105], v[102:103]
	v_fma_f64 v[106:107], -v[102:103], v[104:105], 1.0
	v_fma_f64 v[104:105], v[104:105], v[106:107], v[104:105]
	v_fma_f64 v[106:107], -v[102:103], v[104:105], 1.0
	v_fma_f64 v[104:105], v[104:105], v[106:107], v[104:105]
	v_mul_f64 v[106:107], v[108:109], v[104:105]
	v_fma_f64 v[102:103], -v[102:103], v[106:107], v[108:109]
	v_div_fmas_f64 v[102:103], v[102:103], v[104:105], v[106:107]
	v_div_fixup_f64 v[117:118], v[102:103], v[100:101], 1.0
	v_mul_f64 v[119:120], v[98:99], -v[117:118]
.LBB80_156:
	s_or_b64 exec, exec, s[18:19]
.LBB80_157:
	s_or_b64 exec, exec, s[0:1]
	v_cmp_ne_u32_e32 vcc, v96, v97
	s_and_saveexec_b64 s[0:1], vcc
	s_xor_b64 s[0:1], exec, s[0:1]
	s_cbranch_execz .LBB80_163
; %bb.158:
	v_cmp_eq_u32_e32 vcc, 7, v96
	s_and_saveexec_b64 s[18:19], vcc
	s_cbranch_execz .LBB80_162
; %bb.159:
	v_cmp_ne_u32_e32 vcc, 7, v97
	s_xor_b64 s[20:21], s[6:7], -1
	s_and_b64 s[22:23], s[20:21], vcc
	s_and_saveexec_b64 s[20:21], s[22:23]
	s_cbranch_execz .LBB80_161
; %bb.160:
	v_ashrrev_i32_e32 v98, 31, v97
	v_lshlrev_b64 v[98:99], 2, v[97:98]
	v_add_co_u32_e32 v98, vcc, v91, v98
	v_addc_co_u32_e32 v99, vcc, v92, v99, vcc
	global_load_dword v0, v[98:99], off
	global_load_dword v96, v[91:92], off offset:28
	s_waitcnt vmcnt(1)
	global_store_dword v[91:92], v0, off offset:28
	s_waitcnt vmcnt(1)
	global_store_dword v[98:99], v96, off
.LBB80_161:
	s_or_b64 exec, exec, s[20:21]
	v_mov_b32_e32 v96, v97
	v_mov_b32_e32 v0, v97
.LBB80_162:
	s_or_b64 exec, exec, s[18:19]
.LBB80_163:
	s_andn2_saveexec_b64 s[0:1], s[0:1]
	s_cbranch_execz .LBB80_165
; %bb.164:
	buffer_load_dword v96, off, s[24:27], 0 offset:144 ; 4-byte Folded Reload
	buffer_load_dword v97, off, s[24:27], 0 offset:148 ; 4-byte Folded Reload
	buffer_load_dword v98, off, s[24:27], 0 offset:152 ; 4-byte Folded Reload
	buffer_load_dword v99, off, s[24:27], 0 offset:156 ; 4-byte Folded Reload
	s_waitcnt vmcnt(0)
	ds_write2_b64 v94, v[96:97], v[98:99] offset0:16 offset1:17
	buffer_load_dword v96, off, s[24:27], 0 offset:128 ; 4-byte Folded Reload
	buffer_load_dword v97, off, s[24:27], 0 offset:132 ; 4-byte Folded Reload
	buffer_load_dword v98, off, s[24:27], 0 offset:136 ; 4-byte Folded Reload
	buffer_load_dword v99, off, s[24:27], 0 offset:140 ; 4-byte Folded Reload
	s_waitcnt vmcnt(0)
	ds_write2_b64 v94, v[96:97], v[98:99] offset0:18 offset1:19
	;; [unrolled: 6-line block ×9, first 2 shown]
	buffer_load_dword v96, off, s[24:27], 0 ; 4-byte Folded Reload
	buffer_load_dword v97, off, s[24:27], 0 offset:4 ; 4-byte Folded Reload
	buffer_load_dword v98, off, s[24:27], 0 offset:8 ; 4-byte Folded Reload
	;; [unrolled: 1-line block ×3, first 2 shown]
	s_waitcnt vmcnt(0)
	ds_write2_b64 v94, v[96:97], v[98:99] offset0:34 offset1:35
	ds_write2_b64 v94, v[85:86], v[87:88] offset0:36 offset1:37
	;; [unrolled: 1-line block ×24, first 2 shown]
	v_mov_b32_e32 v96, 7
.LBB80_165:
	s_or_b64 exec, exec, s[0:1]
	v_cmp_lt_i32_e32 vcc, 7, v96
	s_waitcnt vmcnt(0) lgkmcnt(0)
	s_barrier
	s_and_saveexec_b64 s[0:1], vcc
	s_cbranch_execz .LBB80_167
; %bb.166:
	buffer_load_dword v105, off, s[24:27], 0 offset:160 ; 4-byte Folded Reload
	buffer_load_dword v106, off, s[24:27], 0 offset:164 ; 4-byte Folded Reload
	;; [unrolled: 1-line block ×4, first 2 shown]
	s_waitcnt vmcnt(0)
	v_mul_f64 v[97:98], v[119:120], v[107:108]
	v_fma_f64 v[125:126], v[117:118], v[105:106], -v[97:98]
	v_mul_f64 v[97:98], v[117:118], v[107:108]
	v_fma_f64 v[107:108], v[119:120], v[105:106], v[97:98]
	ds_read2_b64 v[97:100], v94 offset0:16 offset1:17
	buffer_load_dword v103, off, s[24:27], 0 offset:144 ; 4-byte Folded Reload
	buffer_load_dword v104, off, s[24:27], 0 offset:148 ; 4-byte Folded Reload
	buffer_load_dword v105, off, s[24:27], 0 offset:152 ; 4-byte Folded Reload
	buffer_load_dword v106, off, s[24:27], 0 offset:156 ; 4-byte Folded Reload
	s_waitcnt lgkmcnt(0)
	v_mul_f64 v[101:102], v[99:100], v[107:108]
	v_fma_f64 v[101:102], v[97:98], v[125:126], -v[101:102]
	v_mul_f64 v[97:98], v[97:98], v[107:108]
	v_fma_f64 v[97:98], v[99:100], v[125:126], v[97:98]
	s_waitcnt vmcnt(2)
	v_add_f64 v[103:104], v[103:104], -v[101:102]
	s_waitcnt vmcnt(0)
	v_add_f64 v[105:106], v[105:106], -v[97:98]
	buffer_store_dword v103, off, s[24:27], 0 offset:144 ; 4-byte Folded Spill
	s_nop 0
	buffer_store_dword v104, off, s[24:27], 0 offset:148 ; 4-byte Folded Spill
	buffer_store_dword v105, off, s[24:27], 0 offset:152 ; 4-byte Folded Spill
	buffer_store_dword v106, off, s[24:27], 0 offset:156 ; 4-byte Folded Spill
	ds_read2_b64 v[97:100], v94 offset0:18 offset1:19
	buffer_load_dword v103, off, s[24:27], 0 offset:128 ; 4-byte Folded Reload
	buffer_load_dword v104, off, s[24:27], 0 offset:132 ; 4-byte Folded Reload
	buffer_load_dword v105, off, s[24:27], 0 offset:136 ; 4-byte Folded Reload
	buffer_load_dword v106, off, s[24:27], 0 offset:140 ; 4-byte Folded Reload
	s_waitcnt lgkmcnt(0)
	v_mul_f64 v[101:102], v[99:100], v[107:108]
	v_fma_f64 v[101:102], v[97:98], v[125:126], -v[101:102]
	v_mul_f64 v[97:98], v[97:98], v[107:108]
	v_fma_f64 v[97:98], v[99:100], v[125:126], v[97:98]
	s_waitcnt vmcnt(2)
	v_add_f64 v[103:104], v[103:104], -v[101:102]
	s_waitcnt vmcnt(0)
	v_add_f64 v[105:106], v[105:106], -v[97:98]
	buffer_store_dword v103, off, s[24:27], 0 offset:128 ; 4-byte Folded Spill
	s_nop 0
	buffer_store_dword v104, off, s[24:27], 0 offset:132 ; 4-byte Folded Spill
	buffer_store_dword v105, off, s[24:27], 0 offset:136 ; 4-byte Folded Spill
	buffer_store_dword v106, off, s[24:27], 0 offset:140 ; 4-byte Folded Spill
	ds_read2_b64 v[97:100], v94 offset0:20 offset1:21
	buffer_load_dword v103, off, s[24:27], 0 offset:112 ; 4-byte Folded Reload
	buffer_load_dword v104, off, s[24:27], 0 offset:116 ; 4-byte Folded Reload
	buffer_load_dword v105, off, s[24:27], 0 offset:120 ; 4-byte Folded Reload
	buffer_load_dword v106, off, s[24:27], 0 offset:124 ; 4-byte Folded Reload
	s_waitcnt lgkmcnt(0)
	v_mul_f64 v[101:102], v[99:100], v[107:108]
	v_fma_f64 v[101:102], v[97:98], v[125:126], -v[101:102]
	v_mul_f64 v[97:98], v[97:98], v[107:108]
	v_fma_f64 v[97:98], v[99:100], v[125:126], v[97:98]
	s_waitcnt vmcnt(2)
	v_add_f64 v[103:104], v[103:104], -v[101:102]
	s_waitcnt vmcnt(0)
	v_add_f64 v[105:106], v[105:106], -v[97:98]
	buffer_store_dword v103, off, s[24:27], 0 offset:112 ; 4-byte Folded Spill
	s_nop 0
	buffer_store_dword v104, off, s[24:27], 0 offset:116 ; 4-byte Folded Spill
	buffer_store_dword v105, off, s[24:27], 0 offset:120 ; 4-byte Folded Spill
	buffer_store_dword v106, off, s[24:27], 0 offset:124 ; 4-byte Folded Spill
	ds_read2_b64 v[97:100], v94 offset0:22 offset1:23
	buffer_load_dword v103, off, s[24:27], 0 offset:96 ; 4-byte Folded Reload
	buffer_load_dword v104, off, s[24:27], 0 offset:100 ; 4-byte Folded Reload
	buffer_load_dword v105, off, s[24:27], 0 offset:104 ; 4-byte Folded Reload
	buffer_load_dword v106, off, s[24:27], 0 offset:108 ; 4-byte Folded Reload
	s_waitcnt lgkmcnt(0)
	v_mul_f64 v[101:102], v[99:100], v[107:108]
	v_fma_f64 v[101:102], v[97:98], v[125:126], -v[101:102]
	v_mul_f64 v[97:98], v[97:98], v[107:108]
	v_fma_f64 v[97:98], v[99:100], v[125:126], v[97:98]
	s_waitcnt vmcnt(2)
	v_add_f64 v[103:104], v[103:104], -v[101:102]
	s_waitcnt vmcnt(0)
	v_add_f64 v[105:106], v[105:106], -v[97:98]
	buffer_store_dword v103, off, s[24:27], 0 offset:96 ; 4-byte Folded Spill
	s_nop 0
	buffer_store_dword v104, off, s[24:27], 0 offset:100 ; 4-byte Folded Spill
	buffer_store_dword v105, off, s[24:27], 0 offset:104 ; 4-byte Folded Spill
	buffer_store_dword v106, off, s[24:27], 0 offset:108 ; 4-byte Folded Spill
	ds_read2_b64 v[97:100], v94 offset0:24 offset1:25
	buffer_load_dword v103, off, s[24:27], 0 offset:80 ; 4-byte Folded Reload
	buffer_load_dword v104, off, s[24:27], 0 offset:84 ; 4-byte Folded Reload
	buffer_load_dword v105, off, s[24:27], 0 offset:88 ; 4-byte Folded Reload
	buffer_load_dword v106, off, s[24:27], 0 offset:92 ; 4-byte Folded Reload
	s_waitcnt lgkmcnt(0)
	v_mul_f64 v[101:102], v[99:100], v[107:108]
	v_fma_f64 v[101:102], v[97:98], v[125:126], -v[101:102]
	v_mul_f64 v[97:98], v[97:98], v[107:108]
	v_fma_f64 v[97:98], v[99:100], v[125:126], v[97:98]
	s_waitcnt vmcnt(2)
	v_add_f64 v[103:104], v[103:104], -v[101:102]
	s_waitcnt vmcnt(0)
	v_add_f64 v[105:106], v[105:106], -v[97:98]
	buffer_store_dword v103, off, s[24:27], 0 offset:80 ; 4-byte Folded Spill
	s_nop 0
	buffer_store_dword v104, off, s[24:27], 0 offset:84 ; 4-byte Folded Spill
	buffer_store_dword v105, off, s[24:27], 0 offset:88 ; 4-byte Folded Spill
	buffer_store_dword v106, off, s[24:27], 0 offset:92 ; 4-byte Folded Spill
	ds_read2_b64 v[97:100], v94 offset0:26 offset1:27
	buffer_load_dword v103, off, s[24:27], 0 offset:64 ; 4-byte Folded Reload
	buffer_load_dword v104, off, s[24:27], 0 offset:68 ; 4-byte Folded Reload
	buffer_load_dword v105, off, s[24:27], 0 offset:72 ; 4-byte Folded Reload
	buffer_load_dword v106, off, s[24:27], 0 offset:76 ; 4-byte Folded Reload
	s_waitcnt lgkmcnt(0)
	v_mul_f64 v[101:102], v[99:100], v[107:108]
	v_fma_f64 v[101:102], v[97:98], v[125:126], -v[101:102]
	v_mul_f64 v[97:98], v[97:98], v[107:108]
	v_fma_f64 v[97:98], v[99:100], v[125:126], v[97:98]
	s_waitcnt vmcnt(2)
	v_add_f64 v[103:104], v[103:104], -v[101:102]
	s_waitcnt vmcnt(0)
	v_add_f64 v[105:106], v[105:106], -v[97:98]
	buffer_store_dword v103, off, s[24:27], 0 offset:64 ; 4-byte Folded Spill
	s_nop 0
	buffer_store_dword v104, off, s[24:27], 0 offset:68 ; 4-byte Folded Spill
	buffer_store_dword v105, off, s[24:27], 0 offset:72 ; 4-byte Folded Spill
	buffer_store_dword v106, off, s[24:27], 0 offset:76 ; 4-byte Folded Spill
	ds_read2_b64 v[97:100], v94 offset0:28 offset1:29
	buffer_load_dword v103, off, s[24:27], 0 offset:48 ; 4-byte Folded Reload
	buffer_load_dword v104, off, s[24:27], 0 offset:52 ; 4-byte Folded Reload
	buffer_load_dword v105, off, s[24:27], 0 offset:56 ; 4-byte Folded Reload
	buffer_load_dword v106, off, s[24:27], 0 offset:60 ; 4-byte Folded Reload
	s_waitcnt lgkmcnt(0)
	v_mul_f64 v[101:102], v[99:100], v[107:108]
	v_fma_f64 v[101:102], v[97:98], v[125:126], -v[101:102]
	v_mul_f64 v[97:98], v[97:98], v[107:108]
	v_fma_f64 v[97:98], v[99:100], v[125:126], v[97:98]
	s_waitcnt vmcnt(2)
	v_add_f64 v[103:104], v[103:104], -v[101:102]
	s_waitcnt vmcnt(0)
	v_add_f64 v[105:106], v[105:106], -v[97:98]
	buffer_store_dword v103, off, s[24:27], 0 offset:48 ; 4-byte Folded Spill
	s_nop 0
	buffer_store_dword v104, off, s[24:27], 0 offset:52 ; 4-byte Folded Spill
	buffer_store_dword v105, off, s[24:27], 0 offset:56 ; 4-byte Folded Spill
	buffer_store_dword v106, off, s[24:27], 0 offset:60 ; 4-byte Folded Spill
	ds_read2_b64 v[97:100], v94 offset0:30 offset1:31
	buffer_load_dword v103, off, s[24:27], 0 offset:32 ; 4-byte Folded Reload
	buffer_load_dword v104, off, s[24:27], 0 offset:36 ; 4-byte Folded Reload
	buffer_load_dword v105, off, s[24:27], 0 offset:40 ; 4-byte Folded Reload
	buffer_load_dword v106, off, s[24:27], 0 offset:44 ; 4-byte Folded Reload
	s_waitcnt lgkmcnt(0)
	v_mul_f64 v[101:102], v[99:100], v[107:108]
	v_fma_f64 v[101:102], v[97:98], v[125:126], -v[101:102]
	v_mul_f64 v[97:98], v[97:98], v[107:108]
	v_fma_f64 v[97:98], v[99:100], v[125:126], v[97:98]
	s_waitcnt vmcnt(2)
	v_add_f64 v[103:104], v[103:104], -v[101:102]
	s_waitcnt vmcnt(0)
	v_add_f64 v[105:106], v[105:106], -v[97:98]
	buffer_store_dword v103, off, s[24:27], 0 offset:32 ; 4-byte Folded Spill
	s_nop 0
	buffer_store_dword v104, off, s[24:27], 0 offset:36 ; 4-byte Folded Spill
	buffer_store_dword v105, off, s[24:27], 0 offset:40 ; 4-byte Folded Spill
	buffer_store_dword v106, off, s[24:27], 0 offset:44 ; 4-byte Folded Spill
	ds_read2_b64 v[97:100], v94 offset0:32 offset1:33
	buffer_load_dword v103, off, s[24:27], 0 offset:16 ; 4-byte Folded Reload
	buffer_load_dword v104, off, s[24:27], 0 offset:20 ; 4-byte Folded Reload
	buffer_load_dword v105, off, s[24:27], 0 offset:24 ; 4-byte Folded Reload
	buffer_load_dword v106, off, s[24:27], 0 offset:28 ; 4-byte Folded Reload
	s_waitcnt lgkmcnt(0)
	v_mul_f64 v[101:102], v[99:100], v[107:108]
	v_fma_f64 v[101:102], v[97:98], v[125:126], -v[101:102]
	v_mul_f64 v[97:98], v[97:98], v[107:108]
	v_fma_f64 v[97:98], v[99:100], v[125:126], v[97:98]
	s_waitcnt vmcnt(2)
	v_add_f64 v[103:104], v[103:104], -v[101:102]
	s_waitcnt vmcnt(0)
	v_add_f64 v[105:106], v[105:106], -v[97:98]
	buffer_store_dword v103, off, s[24:27], 0 offset:16 ; 4-byte Folded Spill
	s_nop 0
	buffer_store_dword v104, off, s[24:27], 0 offset:20 ; 4-byte Folded Spill
	buffer_store_dword v105, off, s[24:27], 0 offset:24 ; 4-byte Folded Spill
	buffer_store_dword v106, off, s[24:27], 0 offset:28 ; 4-byte Folded Spill
	ds_read2_b64 v[97:100], v94 offset0:34 offset1:35
	buffer_load_dword v103, off, s[24:27], 0 ; 4-byte Folded Reload
	buffer_load_dword v104, off, s[24:27], 0 offset:4 ; 4-byte Folded Reload
	buffer_load_dword v105, off, s[24:27], 0 offset:8 ; 4-byte Folded Reload
	;; [unrolled: 1-line block ×3, first 2 shown]
	s_waitcnt lgkmcnt(0)
	v_mul_f64 v[101:102], v[99:100], v[107:108]
	v_fma_f64 v[101:102], v[97:98], v[125:126], -v[101:102]
	v_mul_f64 v[97:98], v[97:98], v[107:108]
	v_fma_f64 v[97:98], v[99:100], v[125:126], v[97:98]
	s_waitcnt vmcnt(2)
	v_add_f64 v[103:104], v[103:104], -v[101:102]
	s_waitcnt vmcnt(0)
	v_add_f64 v[105:106], v[105:106], -v[97:98]
	buffer_store_dword v103, off, s[24:27], 0 ; 4-byte Folded Spill
	s_nop 0
	buffer_store_dword v104, off, s[24:27], 0 offset:4 ; 4-byte Folded Spill
	buffer_store_dword v105, off, s[24:27], 0 offset:8 ; 4-byte Folded Spill
	;; [unrolled: 1-line block ×3, first 2 shown]
	ds_read2_b64 v[97:100], v94 offset0:36 offset1:37
	v_mov_b32_e32 v105, v125
	v_mov_b32_e32 v106, v126
	s_waitcnt lgkmcnt(0)
	v_mul_f64 v[101:102], v[99:100], v[107:108]
	v_fma_f64 v[101:102], v[97:98], v[125:126], -v[101:102]
	v_mul_f64 v[97:98], v[97:98], v[107:108]
	v_add_f64 v[85:86], v[85:86], -v[101:102]
	v_fma_f64 v[97:98], v[99:100], v[125:126], v[97:98]
	v_add_f64 v[87:88], v[87:88], -v[97:98]
	ds_read2_b64 v[97:100], v94 offset0:38 offset1:39
	s_waitcnt lgkmcnt(0)
	v_mul_f64 v[101:102], v[99:100], v[107:108]
	v_fma_f64 v[101:102], v[97:98], v[125:126], -v[101:102]
	v_mul_f64 v[97:98], v[97:98], v[107:108]
	v_add_f64 v[81:82], v[81:82], -v[101:102]
	v_fma_f64 v[97:98], v[99:100], v[125:126], v[97:98]
	v_add_f64 v[83:84], v[83:84], -v[97:98]
	ds_read2_b64 v[97:100], v94 offset0:40 offset1:41
	s_waitcnt lgkmcnt(0)
	v_mul_f64 v[101:102], v[99:100], v[107:108]
	v_fma_f64 v[101:102], v[97:98], v[125:126], -v[101:102]
	v_mul_f64 v[97:98], v[97:98], v[107:108]
	v_add_f64 v[77:78], v[77:78], -v[101:102]
	v_fma_f64 v[97:98], v[99:100], v[125:126], v[97:98]
	v_add_f64 v[79:80], v[79:80], -v[97:98]
	ds_read2_b64 v[97:100], v94 offset0:42 offset1:43
	s_waitcnt lgkmcnt(0)
	v_mul_f64 v[101:102], v[99:100], v[107:108]
	v_fma_f64 v[101:102], v[97:98], v[125:126], -v[101:102]
	v_mul_f64 v[97:98], v[97:98], v[107:108]
	v_add_f64 v[73:74], v[73:74], -v[101:102]
	v_fma_f64 v[97:98], v[99:100], v[125:126], v[97:98]
	v_add_f64 v[75:76], v[75:76], -v[97:98]
	ds_read2_b64 v[97:100], v94 offset0:44 offset1:45
	s_waitcnt lgkmcnt(0)
	v_mul_f64 v[101:102], v[99:100], v[107:108]
	v_fma_f64 v[101:102], v[97:98], v[125:126], -v[101:102]
	v_mul_f64 v[97:98], v[97:98], v[107:108]
	v_add_f64 v[69:70], v[69:70], -v[101:102]
	v_fma_f64 v[97:98], v[99:100], v[125:126], v[97:98]
	v_add_f64 v[71:72], v[71:72], -v[97:98]
	ds_read2_b64 v[97:100], v94 offset0:46 offset1:47
	s_waitcnt lgkmcnt(0)
	v_mul_f64 v[101:102], v[99:100], v[107:108]
	v_fma_f64 v[101:102], v[97:98], v[125:126], -v[101:102]
	v_mul_f64 v[97:98], v[97:98], v[107:108]
	v_add_f64 v[65:66], v[65:66], -v[101:102]
	v_fma_f64 v[97:98], v[99:100], v[125:126], v[97:98]
	v_add_f64 v[67:68], v[67:68], -v[97:98]
	ds_read2_b64 v[97:100], v94 offset0:48 offset1:49
	s_waitcnt lgkmcnt(0)
	v_mul_f64 v[101:102], v[99:100], v[107:108]
	v_fma_f64 v[101:102], v[97:98], v[125:126], -v[101:102]
	v_mul_f64 v[97:98], v[97:98], v[107:108]
	v_add_f64 v[61:62], v[61:62], -v[101:102]
	v_fma_f64 v[97:98], v[99:100], v[125:126], v[97:98]
	v_add_f64 v[63:64], v[63:64], -v[97:98]
	ds_read2_b64 v[97:100], v94 offset0:50 offset1:51
	s_waitcnt lgkmcnt(0)
	v_mul_f64 v[101:102], v[99:100], v[107:108]
	v_fma_f64 v[101:102], v[97:98], v[125:126], -v[101:102]
	v_mul_f64 v[97:98], v[97:98], v[107:108]
	v_add_f64 v[57:58], v[57:58], -v[101:102]
	v_fma_f64 v[97:98], v[99:100], v[125:126], v[97:98]
	v_add_f64 v[59:60], v[59:60], -v[97:98]
	ds_read2_b64 v[97:100], v94 offset0:52 offset1:53
	s_waitcnt lgkmcnt(0)
	v_mul_f64 v[101:102], v[99:100], v[107:108]
	v_fma_f64 v[101:102], v[97:98], v[125:126], -v[101:102]
	v_mul_f64 v[97:98], v[97:98], v[107:108]
	v_add_f64 v[53:54], v[53:54], -v[101:102]
	v_fma_f64 v[97:98], v[99:100], v[125:126], v[97:98]
	v_add_f64 v[55:56], v[55:56], -v[97:98]
	ds_read2_b64 v[97:100], v94 offset0:54 offset1:55
	s_waitcnt lgkmcnt(0)
	v_mul_f64 v[101:102], v[99:100], v[107:108]
	v_fma_f64 v[101:102], v[97:98], v[125:126], -v[101:102]
	v_mul_f64 v[97:98], v[97:98], v[107:108]
	v_add_f64 v[49:50], v[49:50], -v[101:102]
	v_fma_f64 v[97:98], v[99:100], v[125:126], v[97:98]
	v_add_f64 v[51:52], v[51:52], -v[97:98]
	ds_read2_b64 v[97:100], v94 offset0:56 offset1:57
	s_waitcnt lgkmcnt(0)
	v_mul_f64 v[101:102], v[99:100], v[107:108]
	v_fma_f64 v[101:102], v[97:98], v[125:126], -v[101:102]
	v_mul_f64 v[97:98], v[97:98], v[107:108]
	v_add_f64 v[45:46], v[45:46], -v[101:102]
	v_fma_f64 v[97:98], v[99:100], v[125:126], v[97:98]
	v_add_f64 v[47:48], v[47:48], -v[97:98]
	ds_read2_b64 v[97:100], v94 offset0:58 offset1:59
	s_waitcnt lgkmcnt(0)
	v_mul_f64 v[101:102], v[99:100], v[107:108]
	v_fma_f64 v[101:102], v[97:98], v[125:126], -v[101:102]
	v_mul_f64 v[97:98], v[97:98], v[107:108]
	v_add_f64 v[41:42], v[41:42], -v[101:102]
	v_fma_f64 v[97:98], v[99:100], v[125:126], v[97:98]
	v_add_f64 v[43:44], v[43:44], -v[97:98]
	ds_read2_b64 v[97:100], v94 offset0:60 offset1:61
	s_waitcnt lgkmcnt(0)
	v_mul_f64 v[101:102], v[99:100], v[107:108]
	v_fma_f64 v[101:102], v[97:98], v[125:126], -v[101:102]
	v_mul_f64 v[97:98], v[97:98], v[107:108]
	v_add_f64 v[37:38], v[37:38], -v[101:102]
	v_fma_f64 v[97:98], v[99:100], v[125:126], v[97:98]
	v_add_f64 v[39:40], v[39:40], -v[97:98]
	ds_read2_b64 v[97:100], v94 offset0:62 offset1:63
	s_waitcnt lgkmcnt(0)
	v_mul_f64 v[101:102], v[99:100], v[107:108]
	v_fma_f64 v[101:102], v[97:98], v[125:126], -v[101:102]
	v_mul_f64 v[97:98], v[97:98], v[107:108]
	v_add_f64 v[33:34], v[33:34], -v[101:102]
	v_fma_f64 v[97:98], v[99:100], v[125:126], v[97:98]
	v_add_f64 v[35:36], v[35:36], -v[97:98]
	ds_read2_b64 v[97:100], v94 offset0:64 offset1:65
	s_waitcnt lgkmcnt(0)
	v_mul_f64 v[101:102], v[99:100], v[107:108]
	v_fma_f64 v[101:102], v[97:98], v[125:126], -v[101:102]
	v_mul_f64 v[97:98], v[97:98], v[107:108]
	v_add_f64 v[29:30], v[29:30], -v[101:102]
	v_fma_f64 v[97:98], v[99:100], v[125:126], v[97:98]
	v_add_f64 v[31:32], v[31:32], -v[97:98]
	ds_read2_b64 v[97:100], v94 offset0:66 offset1:67
	s_waitcnt lgkmcnt(0)
	v_mul_f64 v[101:102], v[99:100], v[107:108]
	v_fma_f64 v[101:102], v[97:98], v[125:126], -v[101:102]
	v_mul_f64 v[97:98], v[97:98], v[107:108]
	v_add_f64 v[25:26], v[25:26], -v[101:102]
	v_fma_f64 v[97:98], v[99:100], v[125:126], v[97:98]
	v_add_f64 v[27:28], v[27:28], -v[97:98]
	ds_read2_b64 v[97:100], v94 offset0:68 offset1:69
	s_waitcnt lgkmcnt(0)
	v_mul_f64 v[101:102], v[99:100], v[107:108]
	v_fma_f64 v[101:102], v[97:98], v[125:126], -v[101:102]
	v_mul_f64 v[97:98], v[97:98], v[107:108]
	v_add_f64 v[21:22], v[21:22], -v[101:102]
	v_fma_f64 v[97:98], v[99:100], v[125:126], v[97:98]
	v_add_f64 v[23:24], v[23:24], -v[97:98]
	ds_read2_b64 v[97:100], v94 offset0:70 offset1:71
	s_waitcnt lgkmcnt(0)
	v_mul_f64 v[101:102], v[99:100], v[107:108]
	v_fma_f64 v[101:102], v[97:98], v[125:126], -v[101:102]
	v_mul_f64 v[97:98], v[97:98], v[107:108]
	v_add_f64 v[17:18], v[17:18], -v[101:102]
	v_fma_f64 v[97:98], v[99:100], v[125:126], v[97:98]
	v_add_f64 v[19:20], v[19:20], -v[97:98]
	ds_read2_b64 v[97:100], v94 offset0:72 offset1:73
	s_waitcnt lgkmcnt(0)
	v_mul_f64 v[101:102], v[99:100], v[107:108]
	v_fma_f64 v[101:102], v[97:98], v[125:126], -v[101:102]
	v_mul_f64 v[97:98], v[97:98], v[107:108]
	v_add_f64 v[13:14], v[13:14], -v[101:102]
	v_fma_f64 v[97:98], v[99:100], v[125:126], v[97:98]
	v_add_f64 v[15:16], v[15:16], -v[97:98]
	ds_read2_b64 v[97:100], v94 offset0:74 offset1:75
	s_waitcnt lgkmcnt(0)
	v_mul_f64 v[101:102], v[99:100], v[107:108]
	v_fma_f64 v[101:102], v[97:98], v[125:126], -v[101:102]
	v_mul_f64 v[97:98], v[97:98], v[107:108]
	v_add_f64 v[9:10], v[9:10], -v[101:102]
	v_fma_f64 v[97:98], v[99:100], v[125:126], v[97:98]
	v_add_f64 v[11:12], v[11:12], -v[97:98]
	ds_read2_b64 v[97:100], v94 offset0:76 offset1:77
	s_waitcnt lgkmcnt(0)
	v_mul_f64 v[101:102], v[99:100], v[107:108]
	v_fma_f64 v[101:102], v[97:98], v[125:126], -v[101:102]
	v_mul_f64 v[97:98], v[97:98], v[107:108]
	v_add_f64 v[5:6], v[5:6], -v[101:102]
	v_fma_f64 v[97:98], v[99:100], v[125:126], v[97:98]
	v_add_f64 v[7:8], v[7:8], -v[97:98]
	ds_read2_b64 v[97:100], v94 offset0:78 offset1:79
	s_waitcnt lgkmcnt(0)
	v_mul_f64 v[101:102], v[99:100], v[107:108]
	v_fma_f64 v[101:102], v[97:98], v[125:126], -v[101:102]
	v_mul_f64 v[97:98], v[97:98], v[107:108]
	v_add_f64 v[1:2], v[1:2], -v[101:102]
	v_fma_f64 v[97:98], v[99:100], v[125:126], v[97:98]
	v_add_f64 v[3:4], v[3:4], -v[97:98]
	ds_read2_b64 v[97:100], v94 offset0:80 offset1:81
	s_waitcnt lgkmcnt(0)
	v_mul_f64 v[101:102], v[99:100], v[107:108]
	v_fma_f64 v[101:102], v[97:98], v[125:126], -v[101:102]
	v_mul_f64 v[97:98], v[97:98], v[107:108]
	buffer_store_dword v105, off, s[24:27], 0 offset:160 ; 4-byte Folded Spill
	s_nop 0
	buffer_store_dword v106, off, s[24:27], 0 offset:164 ; 4-byte Folded Spill
	buffer_store_dword v107, off, s[24:27], 0 offset:168 ; 4-byte Folded Spill
	;; [unrolled: 1-line block ×3, first 2 shown]
	v_add_f64 v[121:122], v[121:122], -v[101:102]
	v_fma_f64 v[97:98], v[99:100], v[125:126], v[97:98]
	v_add_f64 v[123:124], v[123:124], -v[97:98]
.LBB80_167:
	s_or_b64 exec, exec, s[0:1]
	s_waitcnt vmcnt(0)
	s_barrier
	buffer_load_dword v98, off, s[24:27], 0 offset:144 ; 4-byte Folded Reload
	buffer_load_dword v99, off, s[24:27], 0 offset:148 ; 4-byte Folded Reload
	;; [unrolled: 1-line block ×4, first 2 shown]
	v_lshl_add_u32 v97, v96, 4, v94
	s_cmp_lt_i32 s3, 10
	s_waitcnt vmcnt(0)
	ds_write2_b64 v97, v[98:99], v[100:101] offset1:1
	s_waitcnt lgkmcnt(0)
	s_barrier
	ds_read2_b64 v[117:120], v94 offset0:16 offset1:17
	v_mov_b32_e32 v97, 8
	s_cbranch_scc1 .LBB80_170
; %bb.168:
	v_add_u32_e32 v98, 0x90, v94
	s_mov_b32 s0, 9
	v_mov_b32_e32 v97, 8
.LBB80_169:                             ; =>This Inner Loop Header: Depth=1
	s_waitcnt lgkmcnt(0)
	v_cmp_gt_f64_e32 vcc, 0, v[117:118]
	v_xor_b32_e32 v103, 0x80000000, v118
	ds_read2_b64 v[99:102], v98 offset1:1
	v_xor_b32_e32 v105, 0x80000000, v120
	v_add_u32_e32 v98, 16, v98
	s_waitcnt lgkmcnt(0)
	v_xor_b32_e32 v107, 0x80000000, v102
	v_cndmask_b32_e32 v104, v118, v103, vcc
	v_cmp_gt_f64_e32 vcc, 0, v[119:120]
	v_mov_b32_e32 v103, v117
	v_cndmask_b32_e32 v106, v120, v105, vcc
	v_cmp_gt_f64_e32 vcc, 0, v[99:100]
	v_mov_b32_e32 v105, v119
	v_add_f64 v[103:104], v[103:104], v[105:106]
	v_xor_b32_e32 v105, 0x80000000, v100
	v_cndmask_b32_e32 v106, v100, v105, vcc
	v_cmp_gt_f64_e32 vcc, 0, v[101:102]
	v_mov_b32_e32 v105, v99
	v_cndmask_b32_e32 v108, v102, v107, vcc
	v_mov_b32_e32 v107, v101
	v_add_f64 v[105:106], v[105:106], v[107:108]
	v_cmp_lt_f64_e32 vcc, v[103:104], v[105:106]
	v_cndmask_b32_e32 v117, v117, v99, vcc
	v_mov_b32_e32 v99, s0
	s_add_i32 s0, s0, 1
	v_cndmask_b32_e32 v118, v118, v100, vcc
	v_cndmask_b32_e32 v120, v120, v102, vcc
	;; [unrolled: 1-line block ×4, first 2 shown]
	s_cmp_lg_u32 s3, s0
	s_cbranch_scc1 .LBB80_169
.LBB80_170:
	s_waitcnt lgkmcnt(0)
	v_cmp_eq_f64_e32 vcc, 0, v[117:118]
	v_cmp_eq_f64_e64 s[0:1], 0, v[119:120]
	s_and_b64 s[0:1], vcc, s[0:1]
	s_and_saveexec_b64 s[18:19], s[0:1]
	s_xor_b64 s[0:1], exec, s[18:19]
; %bb.171:
	v_cmp_ne_u32_e32 vcc, 0, v95
	v_cndmask_b32_e32 v95, 9, v95, vcc
; %bb.172:
	s_andn2_saveexec_b64 s[0:1], s[0:1]
	s_cbranch_execz .LBB80_178
; %bb.173:
	v_cmp_ngt_f64_e64 s[18:19], |v[117:118]|, |v[119:120]|
	s_and_saveexec_b64 s[20:21], s[18:19]
	s_xor_b64 s[18:19], exec, s[20:21]
	s_cbranch_execz .LBB80_175
; %bb.174:
	v_div_scale_f64 v[98:99], s[20:21], v[119:120], v[119:120], v[117:118]
	v_rcp_f64_e32 v[100:101], v[98:99]
	v_fma_f64 v[102:103], -v[98:99], v[100:101], 1.0
	v_fma_f64 v[100:101], v[100:101], v[102:103], v[100:101]
	v_div_scale_f64 v[102:103], vcc, v[117:118], v[119:120], v[117:118]
	v_fma_f64 v[104:105], -v[98:99], v[100:101], 1.0
	v_fma_f64 v[100:101], v[100:101], v[104:105], v[100:101]
	v_mul_f64 v[104:105], v[102:103], v[100:101]
	v_fma_f64 v[98:99], -v[98:99], v[104:105], v[102:103]
	v_div_fmas_f64 v[98:99], v[98:99], v[100:101], v[104:105]
	v_div_fixup_f64 v[98:99], v[98:99], v[119:120], v[117:118]
	v_fma_f64 v[100:101], v[117:118], v[98:99], v[119:120]
	v_div_scale_f64 v[102:103], s[20:21], v[100:101], v[100:101], 1.0
	v_div_scale_f64 v[108:109], vcc, 1.0, v[100:101], 1.0
	v_rcp_f64_e32 v[104:105], v[102:103]
	v_fma_f64 v[106:107], -v[102:103], v[104:105], 1.0
	v_fma_f64 v[104:105], v[104:105], v[106:107], v[104:105]
	v_fma_f64 v[106:107], -v[102:103], v[104:105], 1.0
	v_fma_f64 v[104:105], v[104:105], v[106:107], v[104:105]
	v_mul_f64 v[106:107], v[108:109], v[104:105]
	v_fma_f64 v[102:103], -v[102:103], v[106:107], v[108:109]
	v_div_fmas_f64 v[102:103], v[102:103], v[104:105], v[106:107]
	v_div_fixup_f64 v[119:120], v[102:103], v[100:101], 1.0
	v_mul_f64 v[117:118], v[98:99], v[119:120]
	v_xor_b32_e32 v120, 0x80000000, v120
.LBB80_175:
	s_andn2_saveexec_b64 s[18:19], s[18:19]
	s_cbranch_execz .LBB80_177
; %bb.176:
	v_div_scale_f64 v[98:99], s[20:21], v[117:118], v[117:118], v[119:120]
	v_rcp_f64_e32 v[100:101], v[98:99]
	v_fma_f64 v[102:103], -v[98:99], v[100:101], 1.0
	v_fma_f64 v[100:101], v[100:101], v[102:103], v[100:101]
	v_div_scale_f64 v[102:103], vcc, v[119:120], v[117:118], v[119:120]
	v_fma_f64 v[104:105], -v[98:99], v[100:101], 1.0
	v_fma_f64 v[100:101], v[100:101], v[104:105], v[100:101]
	v_mul_f64 v[104:105], v[102:103], v[100:101]
	v_fma_f64 v[98:99], -v[98:99], v[104:105], v[102:103]
	v_div_fmas_f64 v[98:99], v[98:99], v[100:101], v[104:105]
	v_div_fixup_f64 v[98:99], v[98:99], v[117:118], v[119:120]
	v_fma_f64 v[100:101], v[119:120], v[98:99], v[117:118]
	v_div_scale_f64 v[102:103], s[20:21], v[100:101], v[100:101], 1.0
	v_div_scale_f64 v[108:109], vcc, 1.0, v[100:101], 1.0
	v_rcp_f64_e32 v[104:105], v[102:103]
	v_fma_f64 v[106:107], -v[102:103], v[104:105], 1.0
	v_fma_f64 v[104:105], v[104:105], v[106:107], v[104:105]
	v_fma_f64 v[106:107], -v[102:103], v[104:105], 1.0
	v_fma_f64 v[104:105], v[104:105], v[106:107], v[104:105]
	v_mul_f64 v[106:107], v[108:109], v[104:105]
	v_fma_f64 v[102:103], -v[102:103], v[106:107], v[108:109]
	v_div_fmas_f64 v[102:103], v[102:103], v[104:105], v[106:107]
	v_div_fixup_f64 v[117:118], v[102:103], v[100:101], 1.0
	v_mul_f64 v[119:120], v[98:99], -v[117:118]
.LBB80_177:
	s_or_b64 exec, exec, s[18:19]
.LBB80_178:
	s_or_b64 exec, exec, s[0:1]
	v_cmp_ne_u32_e32 vcc, v96, v97
	s_and_saveexec_b64 s[0:1], vcc
	s_xor_b64 s[0:1], exec, s[0:1]
	s_cbranch_execz .LBB80_184
; %bb.179:
	v_cmp_eq_u32_e32 vcc, 8, v96
	s_and_saveexec_b64 s[18:19], vcc
	s_cbranch_execz .LBB80_183
; %bb.180:
	v_cmp_ne_u32_e32 vcc, 8, v97
	s_xor_b64 s[20:21], s[6:7], -1
	s_and_b64 s[22:23], s[20:21], vcc
	s_and_saveexec_b64 s[20:21], s[22:23]
	s_cbranch_execz .LBB80_182
; %bb.181:
	v_ashrrev_i32_e32 v98, 31, v97
	v_lshlrev_b64 v[98:99], 2, v[97:98]
	v_add_co_u32_e32 v98, vcc, v91, v98
	v_addc_co_u32_e32 v99, vcc, v92, v99, vcc
	global_load_dword v0, v[98:99], off
	global_load_dword v96, v[91:92], off offset:32
	s_waitcnt vmcnt(1)
	global_store_dword v[91:92], v0, off offset:32
	s_waitcnt vmcnt(1)
	global_store_dword v[98:99], v96, off
.LBB80_182:
	s_or_b64 exec, exec, s[20:21]
	v_mov_b32_e32 v96, v97
	v_mov_b32_e32 v0, v97
.LBB80_183:
	s_or_b64 exec, exec, s[18:19]
.LBB80_184:
	s_andn2_saveexec_b64 s[0:1], s[0:1]
	s_cbranch_execz .LBB80_186
; %bb.185:
	buffer_load_dword v96, off, s[24:27], 0 offset:128 ; 4-byte Folded Reload
	buffer_load_dword v97, off, s[24:27], 0 offset:132 ; 4-byte Folded Reload
	buffer_load_dword v98, off, s[24:27], 0 offset:136 ; 4-byte Folded Reload
	buffer_load_dword v99, off, s[24:27], 0 offset:140 ; 4-byte Folded Reload
	s_waitcnt vmcnt(0)
	ds_write2_b64 v94, v[96:97], v[98:99] offset0:18 offset1:19
	buffer_load_dword v96, off, s[24:27], 0 offset:112 ; 4-byte Folded Reload
	buffer_load_dword v97, off, s[24:27], 0 offset:116 ; 4-byte Folded Reload
	buffer_load_dword v98, off, s[24:27], 0 offset:120 ; 4-byte Folded Reload
	buffer_load_dword v99, off, s[24:27], 0 offset:124 ; 4-byte Folded Reload
	s_waitcnt vmcnt(0)
	ds_write2_b64 v94, v[96:97], v[98:99] offset0:20 offset1:21
	;; [unrolled: 6-line block ×8, first 2 shown]
	buffer_load_dword v96, off, s[24:27], 0 ; 4-byte Folded Reload
	buffer_load_dword v97, off, s[24:27], 0 offset:4 ; 4-byte Folded Reload
	buffer_load_dword v98, off, s[24:27], 0 offset:8 ; 4-byte Folded Reload
	;; [unrolled: 1-line block ×3, first 2 shown]
	s_waitcnt vmcnt(0)
	ds_write2_b64 v94, v[96:97], v[98:99] offset0:34 offset1:35
	ds_write2_b64 v94, v[85:86], v[87:88] offset0:36 offset1:37
	;; [unrolled: 1-line block ×24, first 2 shown]
	v_mov_b32_e32 v96, 8
.LBB80_186:
	s_or_b64 exec, exec, s[0:1]
	v_cmp_lt_i32_e32 vcc, 8, v96
	s_waitcnt vmcnt(0) lgkmcnt(0)
	s_barrier
	s_and_saveexec_b64 s[0:1], vcc
	s_cbranch_execz .LBB80_188
; %bb.187:
	buffer_load_dword v105, off, s[24:27], 0 offset:144 ; 4-byte Folded Reload
	buffer_load_dword v106, off, s[24:27], 0 offset:148 ; 4-byte Folded Reload
	;; [unrolled: 1-line block ×4, first 2 shown]
	s_waitcnt vmcnt(0)
	v_mul_f64 v[97:98], v[119:120], v[107:108]
	v_fma_f64 v[125:126], v[117:118], v[105:106], -v[97:98]
	v_mul_f64 v[97:98], v[117:118], v[107:108]
	v_fma_f64 v[107:108], v[119:120], v[105:106], v[97:98]
	ds_read2_b64 v[97:100], v94 offset0:18 offset1:19
	buffer_load_dword v103, off, s[24:27], 0 offset:128 ; 4-byte Folded Reload
	buffer_load_dword v104, off, s[24:27], 0 offset:132 ; 4-byte Folded Reload
	buffer_load_dword v105, off, s[24:27], 0 offset:136 ; 4-byte Folded Reload
	buffer_load_dword v106, off, s[24:27], 0 offset:140 ; 4-byte Folded Reload
	s_waitcnt lgkmcnt(0)
	v_mul_f64 v[101:102], v[99:100], v[107:108]
	v_fma_f64 v[101:102], v[97:98], v[125:126], -v[101:102]
	v_mul_f64 v[97:98], v[97:98], v[107:108]
	v_fma_f64 v[97:98], v[99:100], v[125:126], v[97:98]
	s_waitcnt vmcnt(2)
	v_add_f64 v[103:104], v[103:104], -v[101:102]
	s_waitcnt vmcnt(0)
	v_add_f64 v[105:106], v[105:106], -v[97:98]
	buffer_store_dword v103, off, s[24:27], 0 offset:128 ; 4-byte Folded Spill
	s_nop 0
	buffer_store_dword v104, off, s[24:27], 0 offset:132 ; 4-byte Folded Spill
	buffer_store_dword v105, off, s[24:27], 0 offset:136 ; 4-byte Folded Spill
	buffer_store_dword v106, off, s[24:27], 0 offset:140 ; 4-byte Folded Spill
	ds_read2_b64 v[97:100], v94 offset0:20 offset1:21
	buffer_load_dword v103, off, s[24:27], 0 offset:112 ; 4-byte Folded Reload
	buffer_load_dword v104, off, s[24:27], 0 offset:116 ; 4-byte Folded Reload
	buffer_load_dword v105, off, s[24:27], 0 offset:120 ; 4-byte Folded Reload
	buffer_load_dword v106, off, s[24:27], 0 offset:124 ; 4-byte Folded Reload
	s_waitcnt lgkmcnt(0)
	v_mul_f64 v[101:102], v[99:100], v[107:108]
	v_fma_f64 v[101:102], v[97:98], v[125:126], -v[101:102]
	v_mul_f64 v[97:98], v[97:98], v[107:108]
	v_fma_f64 v[97:98], v[99:100], v[125:126], v[97:98]
	s_waitcnt vmcnt(2)
	v_add_f64 v[103:104], v[103:104], -v[101:102]
	s_waitcnt vmcnt(0)
	v_add_f64 v[105:106], v[105:106], -v[97:98]
	buffer_store_dword v103, off, s[24:27], 0 offset:112 ; 4-byte Folded Spill
	s_nop 0
	buffer_store_dword v104, off, s[24:27], 0 offset:116 ; 4-byte Folded Spill
	buffer_store_dword v105, off, s[24:27], 0 offset:120 ; 4-byte Folded Spill
	buffer_store_dword v106, off, s[24:27], 0 offset:124 ; 4-byte Folded Spill
	;; [unrolled: 19-line block ×8, first 2 shown]
	ds_read2_b64 v[97:100], v94 offset0:34 offset1:35
	buffer_load_dword v103, off, s[24:27], 0 ; 4-byte Folded Reload
	buffer_load_dword v104, off, s[24:27], 0 offset:4 ; 4-byte Folded Reload
	buffer_load_dword v105, off, s[24:27], 0 offset:8 ; 4-byte Folded Reload
	;; [unrolled: 1-line block ×3, first 2 shown]
	s_waitcnt lgkmcnt(0)
	v_mul_f64 v[101:102], v[99:100], v[107:108]
	v_fma_f64 v[101:102], v[97:98], v[125:126], -v[101:102]
	v_mul_f64 v[97:98], v[97:98], v[107:108]
	v_fma_f64 v[97:98], v[99:100], v[125:126], v[97:98]
	s_waitcnt vmcnt(2)
	v_add_f64 v[103:104], v[103:104], -v[101:102]
	s_waitcnt vmcnt(0)
	v_add_f64 v[105:106], v[105:106], -v[97:98]
	buffer_store_dword v103, off, s[24:27], 0 ; 4-byte Folded Spill
	s_nop 0
	buffer_store_dword v104, off, s[24:27], 0 offset:4 ; 4-byte Folded Spill
	buffer_store_dword v105, off, s[24:27], 0 offset:8 ; 4-byte Folded Spill
	;; [unrolled: 1-line block ×3, first 2 shown]
	ds_read2_b64 v[97:100], v94 offset0:36 offset1:37
	v_mov_b32_e32 v105, v125
	v_mov_b32_e32 v106, v126
	s_waitcnt lgkmcnt(0)
	v_mul_f64 v[101:102], v[99:100], v[107:108]
	v_fma_f64 v[101:102], v[97:98], v[125:126], -v[101:102]
	v_mul_f64 v[97:98], v[97:98], v[107:108]
	v_add_f64 v[85:86], v[85:86], -v[101:102]
	v_fma_f64 v[97:98], v[99:100], v[125:126], v[97:98]
	v_add_f64 v[87:88], v[87:88], -v[97:98]
	ds_read2_b64 v[97:100], v94 offset0:38 offset1:39
	s_waitcnt lgkmcnt(0)
	v_mul_f64 v[101:102], v[99:100], v[107:108]
	v_fma_f64 v[101:102], v[97:98], v[125:126], -v[101:102]
	v_mul_f64 v[97:98], v[97:98], v[107:108]
	v_add_f64 v[81:82], v[81:82], -v[101:102]
	v_fma_f64 v[97:98], v[99:100], v[125:126], v[97:98]
	v_add_f64 v[83:84], v[83:84], -v[97:98]
	ds_read2_b64 v[97:100], v94 offset0:40 offset1:41
	s_waitcnt lgkmcnt(0)
	v_mul_f64 v[101:102], v[99:100], v[107:108]
	v_fma_f64 v[101:102], v[97:98], v[125:126], -v[101:102]
	v_mul_f64 v[97:98], v[97:98], v[107:108]
	v_add_f64 v[77:78], v[77:78], -v[101:102]
	v_fma_f64 v[97:98], v[99:100], v[125:126], v[97:98]
	v_add_f64 v[79:80], v[79:80], -v[97:98]
	ds_read2_b64 v[97:100], v94 offset0:42 offset1:43
	s_waitcnt lgkmcnt(0)
	v_mul_f64 v[101:102], v[99:100], v[107:108]
	v_fma_f64 v[101:102], v[97:98], v[125:126], -v[101:102]
	v_mul_f64 v[97:98], v[97:98], v[107:108]
	v_add_f64 v[73:74], v[73:74], -v[101:102]
	v_fma_f64 v[97:98], v[99:100], v[125:126], v[97:98]
	v_add_f64 v[75:76], v[75:76], -v[97:98]
	ds_read2_b64 v[97:100], v94 offset0:44 offset1:45
	s_waitcnt lgkmcnt(0)
	v_mul_f64 v[101:102], v[99:100], v[107:108]
	v_fma_f64 v[101:102], v[97:98], v[125:126], -v[101:102]
	v_mul_f64 v[97:98], v[97:98], v[107:108]
	v_add_f64 v[69:70], v[69:70], -v[101:102]
	v_fma_f64 v[97:98], v[99:100], v[125:126], v[97:98]
	v_add_f64 v[71:72], v[71:72], -v[97:98]
	ds_read2_b64 v[97:100], v94 offset0:46 offset1:47
	s_waitcnt lgkmcnt(0)
	v_mul_f64 v[101:102], v[99:100], v[107:108]
	v_fma_f64 v[101:102], v[97:98], v[125:126], -v[101:102]
	v_mul_f64 v[97:98], v[97:98], v[107:108]
	v_add_f64 v[65:66], v[65:66], -v[101:102]
	v_fma_f64 v[97:98], v[99:100], v[125:126], v[97:98]
	v_add_f64 v[67:68], v[67:68], -v[97:98]
	ds_read2_b64 v[97:100], v94 offset0:48 offset1:49
	s_waitcnt lgkmcnt(0)
	v_mul_f64 v[101:102], v[99:100], v[107:108]
	v_fma_f64 v[101:102], v[97:98], v[125:126], -v[101:102]
	v_mul_f64 v[97:98], v[97:98], v[107:108]
	v_add_f64 v[61:62], v[61:62], -v[101:102]
	v_fma_f64 v[97:98], v[99:100], v[125:126], v[97:98]
	v_add_f64 v[63:64], v[63:64], -v[97:98]
	ds_read2_b64 v[97:100], v94 offset0:50 offset1:51
	s_waitcnt lgkmcnt(0)
	v_mul_f64 v[101:102], v[99:100], v[107:108]
	v_fma_f64 v[101:102], v[97:98], v[125:126], -v[101:102]
	v_mul_f64 v[97:98], v[97:98], v[107:108]
	v_add_f64 v[57:58], v[57:58], -v[101:102]
	v_fma_f64 v[97:98], v[99:100], v[125:126], v[97:98]
	v_add_f64 v[59:60], v[59:60], -v[97:98]
	ds_read2_b64 v[97:100], v94 offset0:52 offset1:53
	s_waitcnt lgkmcnt(0)
	v_mul_f64 v[101:102], v[99:100], v[107:108]
	v_fma_f64 v[101:102], v[97:98], v[125:126], -v[101:102]
	v_mul_f64 v[97:98], v[97:98], v[107:108]
	v_add_f64 v[53:54], v[53:54], -v[101:102]
	v_fma_f64 v[97:98], v[99:100], v[125:126], v[97:98]
	v_add_f64 v[55:56], v[55:56], -v[97:98]
	ds_read2_b64 v[97:100], v94 offset0:54 offset1:55
	s_waitcnt lgkmcnt(0)
	v_mul_f64 v[101:102], v[99:100], v[107:108]
	v_fma_f64 v[101:102], v[97:98], v[125:126], -v[101:102]
	v_mul_f64 v[97:98], v[97:98], v[107:108]
	v_add_f64 v[49:50], v[49:50], -v[101:102]
	v_fma_f64 v[97:98], v[99:100], v[125:126], v[97:98]
	v_add_f64 v[51:52], v[51:52], -v[97:98]
	ds_read2_b64 v[97:100], v94 offset0:56 offset1:57
	s_waitcnt lgkmcnt(0)
	v_mul_f64 v[101:102], v[99:100], v[107:108]
	v_fma_f64 v[101:102], v[97:98], v[125:126], -v[101:102]
	v_mul_f64 v[97:98], v[97:98], v[107:108]
	v_add_f64 v[45:46], v[45:46], -v[101:102]
	v_fma_f64 v[97:98], v[99:100], v[125:126], v[97:98]
	v_add_f64 v[47:48], v[47:48], -v[97:98]
	ds_read2_b64 v[97:100], v94 offset0:58 offset1:59
	s_waitcnt lgkmcnt(0)
	v_mul_f64 v[101:102], v[99:100], v[107:108]
	v_fma_f64 v[101:102], v[97:98], v[125:126], -v[101:102]
	v_mul_f64 v[97:98], v[97:98], v[107:108]
	v_add_f64 v[41:42], v[41:42], -v[101:102]
	v_fma_f64 v[97:98], v[99:100], v[125:126], v[97:98]
	v_add_f64 v[43:44], v[43:44], -v[97:98]
	ds_read2_b64 v[97:100], v94 offset0:60 offset1:61
	s_waitcnt lgkmcnt(0)
	v_mul_f64 v[101:102], v[99:100], v[107:108]
	v_fma_f64 v[101:102], v[97:98], v[125:126], -v[101:102]
	v_mul_f64 v[97:98], v[97:98], v[107:108]
	v_add_f64 v[37:38], v[37:38], -v[101:102]
	v_fma_f64 v[97:98], v[99:100], v[125:126], v[97:98]
	v_add_f64 v[39:40], v[39:40], -v[97:98]
	ds_read2_b64 v[97:100], v94 offset0:62 offset1:63
	s_waitcnt lgkmcnt(0)
	v_mul_f64 v[101:102], v[99:100], v[107:108]
	v_fma_f64 v[101:102], v[97:98], v[125:126], -v[101:102]
	v_mul_f64 v[97:98], v[97:98], v[107:108]
	v_add_f64 v[33:34], v[33:34], -v[101:102]
	v_fma_f64 v[97:98], v[99:100], v[125:126], v[97:98]
	v_add_f64 v[35:36], v[35:36], -v[97:98]
	ds_read2_b64 v[97:100], v94 offset0:64 offset1:65
	s_waitcnt lgkmcnt(0)
	v_mul_f64 v[101:102], v[99:100], v[107:108]
	v_fma_f64 v[101:102], v[97:98], v[125:126], -v[101:102]
	v_mul_f64 v[97:98], v[97:98], v[107:108]
	v_add_f64 v[29:30], v[29:30], -v[101:102]
	v_fma_f64 v[97:98], v[99:100], v[125:126], v[97:98]
	v_add_f64 v[31:32], v[31:32], -v[97:98]
	ds_read2_b64 v[97:100], v94 offset0:66 offset1:67
	s_waitcnt lgkmcnt(0)
	v_mul_f64 v[101:102], v[99:100], v[107:108]
	v_fma_f64 v[101:102], v[97:98], v[125:126], -v[101:102]
	v_mul_f64 v[97:98], v[97:98], v[107:108]
	v_add_f64 v[25:26], v[25:26], -v[101:102]
	v_fma_f64 v[97:98], v[99:100], v[125:126], v[97:98]
	v_add_f64 v[27:28], v[27:28], -v[97:98]
	ds_read2_b64 v[97:100], v94 offset0:68 offset1:69
	s_waitcnt lgkmcnt(0)
	v_mul_f64 v[101:102], v[99:100], v[107:108]
	v_fma_f64 v[101:102], v[97:98], v[125:126], -v[101:102]
	v_mul_f64 v[97:98], v[97:98], v[107:108]
	v_add_f64 v[21:22], v[21:22], -v[101:102]
	v_fma_f64 v[97:98], v[99:100], v[125:126], v[97:98]
	v_add_f64 v[23:24], v[23:24], -v[97:98]
	ds_read2_b64 v[97:100], v94 offset0:70 offset1:71
	s_waitcnt lgkmcnt(0)
	v_mul_f64 v[101:102], v[99:100], v[107:108]
	v_fma_f64 v[101:102], v[97:98], v[125:126], -v[101:102]
	v_mul_f64 v[97:98], v[97:98], v[107:108]
	v_add_f64 v[17:18], v[17:18], -v[101:102]
	v_fma_f64 v[97:98], v[99:100], v[125:126], v[97:98]
	v_add_f64 v[19:20], v[19:20], -v[97:98]
	ds_read2_b64 v[97:100], v94 offset0:72 offset1:73
	s_waitcnt lgkmcnt(0)
	v_mul_f64 v[101:102], v[99:100], v[107:108]
	v_fma_f64 v[101:102], v[97:98], v[125:126], -v[101:102]
	v_mul_f64 v[97:98], v[97:98], v[107:108]
	v_add_f64 v[13:14], v[13:14], -v[101:102]
	v_fma_f64 v[97:98], v[99:100], v[125:126], v[97:98]
	v_add_f64 v[15:16], v[15:16], -v[97:98]
	ds_read2_b64 v[97:100], v94 offset0:74 offset1:75
	s_waitcnt lgkmcnt(0)
	v_mul_f64 v[101:102], v[99:100], v[107:108]
	v_fma_f64 v[101:102], v[97:98], v[125:126], -v[101:102]
	v_mul_f64 v[97:98], v[97:98], v[107:108]
	v_add_f64 v[9:10], v[9:10], -v[101:102]
	v_fma_f64 v[97:98], v[99:100], v[125:126], v[97:98]
	v_add_f64 v[11:12], v[11:12], -v[97:98]
	ds_read2_b64 v[97:100], v94 offset0:76 offset1:77
	s_waitcnt lgkmcnt(0)
	v_mul_f64 v[101:102], v[99:100], v[107:108]
	v_fma_f64 v[101:102], v[97:98], v[125:126], -v[101:102]
	v_mul_f64 v[97:98], v[97:98], v[107:108]
	v_add_f64 v[5:6], v[5:6], -v[101:102]
	v_fma_f64 v[97:98], v[99:100], v[125:126], v[97:98]
	v_add_f64 v[7:8], v[7:8], -v[97:98]
	ds_read2_b64 v[97:100], v94 offset0:78 offset1:79
	s_waitcnt lgkmcnt(0)
	v_mul_f64 v[101:102], v[99:100], v[107:108]
	v_fma_f64 v[101:102], v[97:98], v[125:126], -v[101:102]
	v_mul_f64 v[97:98], v[97:98], v[107:108]
	v_add_f64 v[1:2], v[1:2], -v[101:102]
	v_fma_f64 v[97:98], v[99:100], v[125:126], v[97:98]
	v_add_f64 v[3:4], v[3:4], -v[97:98]
	ds_read2_b64 v[97:100], v94 offset0:80 offset1:81
	s_waitcnt lgkmcnt(0)
	v_mul_f64 v[101:102], v[99:100], v[107:108]
	v_fma_f64 v[101:102], v[97:98], v[125:126], -v[101:102]
	v_mul_f64 v[97:98], v[97:98], v[107:108]
	buffer_store_dword v105, off, s[24:27], 0 offset:144 ; 4-byte Folded Spill
	s_nop 0
	buffer_store_dword v106, off, s[24:27], 0 offset:148 ; 4-byte Folded Spill
	buffer_store_dword v107, off, s[24:27], 0 offset:152 ; 4-byte Folded Spill
	;; [unrolled: 1-line block ×3, first 2 shown]
	v_add_f64 v[121:122], v[121:122], -v[101:102]
	v_fma_f64 v[97:98], v[99:100], v[125:126], v[97:98]
	v_add_f64 v[123:124], v[123:124], -v[97:98]
.LBB80_188:
	s_or_b64 exec, exec, s[0:1]
	s_waitcnt vmcnt(0)
	s_barrier
	buffer_load_dword v98, off, s[24:27], 0 offset:128 ; 4-byte Folded Reload
	buffer_load_dword v99, off, s[24:27], 0 offset:132 ; 4-byte Folded Reload
	;; [unrolled: 1-line block ×4, first 2 shown]
	v_lshl_add_u32 v97, v96, 4, v94
	s_cmp_lt_i32 s3, 11
	s_waitcnt vmcnt(0)
	ds_write2_b64 v97, v[98:99], v[100:101] offset1:1
	s_waitcnt lgkmcnt(0)
	s_barrier
	ds_read2_b64 v[117:120], v94 offset0:18 offset1:19
	v_mov_b32_e32 v97, 9
	s_cbranch_scc1 .LBB80_191
; %bb.189:
	v_add_u32_e32 v98, 0xa0, v94
	s_mov_b32 s0, 10
	v_mov_b32_e32 v97, 9
.LBB80_190:                             ; =>This Inner Loop Header: Depth=1
	s_waitcnt lgkmcnt(0)
	v_cmp_gt_f64_e32 vcc, 0, v[117:118]
	v_xor_b32_e32 v103, 0x80000000, v118
	ds_read2_b64 v[99:102], v98 offset1:1
	v_xor_b32_e32 v105, 0x80000000, v120
	v_add_u32_e32 v98, 16, v98
	s_waitcnt lgkmcnt(0)
	v_xor_b32_e32 v107, 0x80000000, v102
	v_cndmask_b32_e32 v104, v118, v103, vcc
	v_cmp_gt_f64_e32 vcc, 0, v[119:120]
	v_mov_b32_e32 v103, v117
	v_cndmask_b32_e32 v106, v120, v105, vcc
	v_cmp_gt_f64_e32 vcc, 0, v[99:100]
	v_mov_b32_e32 v105, v119
	v_add_f64 v[103:104], v[103:104], v[105:106]
	v_xor_b32_e32 v105, 0x80000000, v100
	v_cndmask_b32_e32 v106, v100, v105, vcc
	v_cmp_gt_f64_e32 vcc, 0, v[101:102]
	v_mov_b32_e32 v105, v99
	v_cndmask_b32_e32 v108, v102, v107, vcc
	v_mov_b32_e32 v107, v101
	v_add_f64 v[105:106], v[105:106], v[107:108]
	v_cmp_lt_f64_e32 vcc, v[103:104], v[105:106]
	v_cndmask_b32_e32 v117, v117, v99, vcc
	v_mov_b32_e32 v99, s0
	s_add_i32 s0, s0, 1
	v_cndmask_b32_e32 v118, v118, v100, vcc
	v_cndmask_b32_e32 v120, v120, v102, vcc
	;; [unrolled: 1-line block ×4, first 2 shown]
	s_cmp_lg_u32 s3, s0
	s_cbranch_scc1 .LBB80_190
.LBB80_191:
	s_waitcnt lgkmcnt(0)
	v_cmp_eq_f64_e32 vcc, 0, v[117:118]
	v_cmp_eq_f64_e64 s[0:1], 0, v[119:120]
	s_and_b64 s[0:1], vcc, s[0:1]
	s_and_saveexec_b64 s[18:19], s[0:1]
	s_xor_b64 s[0:1], exec, s[18:19]
; %bb.192:
	v_cmp_ne_u32_e32 vcc, 0, v95
	v_cndmask_b32_e32 v95, 10, v95, vcc
; %bb.193:
	s_andn2_saveexec_b64 s[0:1], s[0:1]
	s_cbranch_execz .LBB80_199
; %bb.194:
	v_cmp_ngt_f64_e64 s[18:19], |v[117:118]|, |v[119:120]|
	s_and_saveexec_b64 s[20:21], s[18:19]
	s_xor_b64 s[18:19], exec, s[20:21]
	s_cbranch_execz .LBB80_196
; %bb.195:
	v_div_scale_f64 v[98:99], s[20:21], v[119:120], v[119:120], v[117:118]
	v_rcp_f64_e32 v[100:101], v[98:99]
	v_fma_f64 v[102:103], -v[98:99], v[100:101], 1.0
	v_fma_f64 v[100:101], v[100:101], v[102:103], v[100:101]
	v_div_scale_f64 v[102:103], vcc, v[117:118], v[119:120], v[117:118]
	v_fma_f64 v[104:105], -v[98:99], v[100:101], 1.0
	v_fma_f64 v[100:101], v[100:101], v[104:105], v[100:101]
	v_mul_f64 v[104:105], v[102:103], v[100:101]
	v_fma_f64 v[98:99], -v[98:99], v[104:105], v[102:103]
	v_div_fmas_f64 v[98:99], v[98:99], v[100:101], v[104:105]
	v_div_fixup_f64 v[98:99], v[98:99], v[119:120], v[117:118]
	v_fma_f64 v[100:101], v[117:118], v[98:99], v[119:120]
	v_div_scale_f64 v[102:103], s[20:21], v[100:101], v[100:101], 1.0
	v_div_scale_f64 v[108:109], vcc, 1.0, v[100:101], 1.0
	v_rcp_f64_e32 v[104:105], v[102:103]
	v_fma_f64 v[106:107], -v[102:103], v[104:105], 1.0
	v_fma_f64 v[104:105], v[104:105], v[106:107], v[104:105]
	v_fma_f64 v[106:107], -v[102:103], v[104:105], 1.0
	v_fma_f64 v[104:105], v[104:105], v[106:107], v[104:105]
	v_mul_f64 v[106:107], v[108:109], v[104:105]
	v_fma_f64 v[102:103], -v[102:103], v[106:107], v[108:109]
	v_div_fmas_f64 v[102:103], v[102:103], v[104:105], v[106:107]
	v_div_fixup_f64 v[119:120], v[102:103], v[100:101], 1.0
	v_mul_f64 v[117:118], v[98:99], v[119:120]
	v_xor_b32_e32 v120, 0x80000000, v120
.LBB80_196:
	s_andn2_saveexec_b64 s[18:19], s[18:19]
	s_cbranch_execz .LBB80_198
; %bb.197:
	v_div_scale_f64 v[98:99], s[20:21], v[117:118], v[117:118], v[119:120]
	v_rcp_f64_e32 v[100:101], v[98:99]
	v_fma_f64 v[102:103], -v[98:99], v[100:101], 1.0
	v_fma_f64 v[100:101], v[100:101], v[102:103], v[100:101]
	v_div_scale_f64 v[102:103], vcc, v[119:120], v[117:118], v[119:120]
	v_fma_f64 v[104:105], -v[98:99], v[100:101], 1.0
	v_fma_f64 v[100:101], v[100:101], v[104:105], v[100:101]
	v_mul_f64 v[104:105], v[102:103], v[100:101]
	v_fma_f64 v[98:99], -v[98:99], v[104:105], v[102:103]
	v_div_fmas_f64 v[98:99], v[98:99], v[100:101], v[104:105]
	v_div_fixup_f64 v[98:99], v[98:99], v[117:118], v[119:120]
	v_fma_f64 v[100:101], v[119:120], v[98:99], v[117:118]
	v_div_scale_f64 v[102:103], s[20:21], v[100:101], v[100:101], 1.0
	v_div_scale_f64 v[108:109], vcc, 1.0, v[100:101], 1.0
	v_rcp_f64_e32 v[104:105], v[102:103]
	v_fma_f64 v[106:107], -v[102:103], v[104:105], 1.0
	v_fma_f64 v[104:105], v[104:105], v[106:107], v[104:105]
	v_fma_f64 v[106:107], -v[102:103], v[104:105], 1.0
	v_fma_f64 v[104:105], v[104:105], v[106:107], v[104:105]
	v_mul_f64 v[106:107], v[108:109], v[104:105]
	v_fma_f64 v[102:103], -v[102:103], v[106:107], v[108:109]
	v_div_fmas_f64 v[102:103], v[102:103], v[104:105], v[106:107]
	v_div_fixup_f64 v[117:118], v[102:103], v[100:101], 1.0
	v_mul_f64 v[119:120], v[98:99], -v[117:118]
.LBB80_198:
	s_or_b64 exec, exec, s[18:19]
.LBB80_199:
	s_or_b64 exec, exec, s[0:1]
	v_cmp_ne_u32_e32 vcc, v96, v97
	s_and_saveexec_b64 s[0:1], vcc
	s_xor_b64 s[0:1], exec, s[0:1]
	s_cbranch_execz .LBB80_205
; %bb.200:
	v_cmp_eq_u32_e32 vcc, 9, v96
	s_and_saveexec_b64 s[18:19], vcc
	s_cbranch_execz .LBB80_204
; %bb.201:
	v_cmp_ne_u32_e32 vcc, 9, v97
	s_xor_b64 s[20:21], s[6:7], -1
	s_and_b64 s[22:23], s[20:21], vcc
	s_and_saveexec_b64 s[20:21], s[22:23]
	s_cbranch_execz .LBB80_203
; %bb.202:
	v_ashrrev_i32_e32 v98, 31, v97
	v_lshlrev_b64 v[98:99], 2, v[97:98]
	v_add_co_u32_e32 v98, vcc, v91, v98
	v_addc_co_u32_e32 v99, vcc, v92, v99, vcc
	global_load_dword v0, v[98:99], off
	global_load_dword v96, v[91:92], off offset:36
	s_waitcnt vmcnt(1)
	global_store_dword v[91:92], v0, off offset:36
	s_waitcnt vmcnt(1)
	global_store_dword v[98:99], v96, off
.LBB80_203:
	s_or_b64 exec, exec, s[20:21]
	v_mov_b32_e32 v96, v97
	v_mov_b32_e32 v0, v97
.LBB80_204:
	s_or_b64 exec, exec, s[18:19]
.LBB80_205:
	s_andn2_saveexec_b64 s[0:1], s[0:1]
	s_cbranch_execz .LBB80_207
; %bb.206:
	buffer_load_dword v96, off, s[24:27], 0 offset:112 ; 4-byte Folded Reload
	buffer_load_dword v97, off, s[24:27], 0 offset:116 ; 4-byte Folded Reload
	buffer_load_dword v98, off, s[24:27], 0 offset:120 ; 4-byte Folded Reload
	buffer_load_dword v99, off, s[24:27], 0 offset:124 ; 4-byte Folded Reload
	s_waitcnt vmcnt(0)
	ds_write2_b64 v94, v[96:97], v[98:99] offset0:20 offset1:21
	buffer_load_dword v96, off, s[24:27], 0 offset:96 ; 4-byte Folded Reload
	buffer_load_dword v97, off, s[24:27], 0 offset:100 ; 4-byte Folded Reload
	buffer_load_dword v98, off, s[24:27], 0 offset:104 ; 4-byte Folded Reload
	buffer_load_dword v99, off, s[24:27], 0 offset:108 ; 4-byte Folded Reload
	s_waitcnt vmcnt(0)
	ds_write2_b64 v94, v[96:97], v[98:99] offset0:22 offset1:23
	;; [unrolled: 6-line block ×7, first 2 shown]
	buffer_load_dword v96, off, s[24:27], 0 ; 4-byte Folded Reload
	buffer_load_dword v97, off, s[24:27], 0 offset:4 ; 4-byte Folded Reload
	buffer_load_dword v98, off, s[24:27], 0 offset:8 ; 4-byte Folded Reload
	;; [unrolled: 1-line block ×3, first 2 shown]
	s_waitcnt vmcnt(0)
	ds_write2_b64 v94, v[96:97], v[98:99] offset0:34 offset1:35
	ds_write2_b64 v94, v[85:86], v[87:88] offset0:36 offset1:37
	;; [unrolled: 1-line block ×24, first 2 shown]
	v_mov_b32_e32 v96, 9
.LBB80_207:
	s_or_b64 exec, exec, s[0:1]
	v_cmp_lt_i32_e32 vcc, 9, v96
	s_waitcnt vmcnt(0) lgkmcnt(0)
	s_barrier
	s_and_saveexec_b64 s[0:1], vcc
	s_cbranch_execz .LBB80_209
; %bb.208:
	buffer_load_dword v105, off, s[24:27], 0 offset:128 ; 4-byte Folded Reload
	buffer_load_dword v106, off, s[24:27], 0 offset:132 ; 4-byte Folded Reload
	;; [unrolled: 1-line block ×4, first 2 shown]
	s_waitcnt vmcnt(0)
	v_mul_f64 v[97:98], v[119:120], v[107:108]
	v_fma_f64 v[125:126], v[117:118], v[105:106], -v[97:98]
	v_mul_f64 v[97:98], v[117:118], v[107:108]
	v_fma_f64 v[107:108], v[119:120], v[105:106], v[97:98]
	ds_read2_b64 v[97:100], v94 offset0:20 offset1:21
	buffer_load_dword v103, off, s[24:27], 0 offset:112 ; 4-byte Folded Reload
	buffer_load_dword v104, off, s[24:27], 0 offset:116 ; 4-byte Folded Reload
	buffer_load_dword v105, off, s[24:27], 0 offset:120 ; 4-byte Folded Reload
	buffer_load_dword v106, off, s[24:27], 0 offset:124 ; 4-byte Folded Reload
	s_waitcnt lgkmcnt(0)
	v_mul_f64 v[101:102], v[99:100], v[107:108]
	v_fma_f64 v[101:102], v[97:98], v[125:126], -v[101:102]
	v_mul_f64 v[97:98], v[97:98], v[107:108]
	v_fma_f64 v[97:98], v[99:100], v[125:126], v[97:98]
	s_waitcnt vmcnt(2)
	v_add_f64 v[103:104], v[103:104], -v[101:102]
	s_waitcnt vmcnt(0)
	v_add_f64 v[105:106], v[105:106], -v[97:98]
	buffer_store_dword v103, off, s[24:27], 0 offset:112 ; 4-byte Folded Spill
	s_nop 0
	buffer_store_dword v104, off, s[24:27], 0 offset:116 ; 4-byte Folded Spill
	buffer_store_dword v105, off, s[24:27], 0 offset:120 ; 4-byte Folded Spill
	buffer_store_dword v106, off, s[24:27], 0 offset:124 ; 4-byte Folded Spill
	ds_read2_b64 v[97:100], v94 offset0:22 offset1:23
	buffer_load_dword v103, off, s[24:27], 0 offset:96 ; 4-byte Folded Reload
	buffer_load_dword v104, off, s[24:27], 0 offset:100 ; 4-byte Folded Reload
	buffer_load_dword v105, off, s[24:27], 0 offset:104 ; 4-byte Folded Reload
	buffer_load_dword v106, off, s[24:27], 0 offset:108 ; 4-byte Folded Reload
	s_waitcnt lgkmcnt(0)
	v_mul_f64 v[101:102], v[99:100], v[107:108]
	v_fma_f64 v[101:102], v[97:98], v[125:126], -v[101:102]
	v_mul_f64 v[97:98], v[97:98], v[107:108]
	v_fma_f64 v[97:98], v[99:100], v[125:126], v[97:98]
	s_waitcnt vmcnt(2)
	v_add_f64 v[103:104], v[103:104], -v[101:102]
	s_waitcnt vmcnt(0)
	v_add_f64 v[105:106], v[105:106], -v[97:98]
	buffer_store_dword v103, off, s[24:27], 0 offset:96 ; 4-byte Folded Spill
	s_nop 0
	buffer_store_dword v104, off, s[24:27], 0 offset:100 ; 4-byte Folded Spill
	buffer_store_dword v105, off, s[24:27], 0 offset:104 ; 4-byte Folded Spill
	buffer_store_dword v106, off, s[24:27], 0 offset:108 ; 4-byte Folded Spill
	;; [unrolled: 19-line block ×7, first 2 shown]
	ds_read2_b64 v[97:100], v94 offset0:34 offset1:35
	buffer_load_dword v103, off, s[24:27], 0 ; 4-byte Folded Reload
	buffer_load_dword v104, off, s[24:27], 0 offset:4 ; 4-byte Folded Reload
	buffer_load_dword v105, off, s[24:27], 0 offset:8 ; 4-byte Folded Reload
	;; [unrolled: 1-line block ×3, first 2 shown]
	s_waitcnt lgkmcnt(0)
	v_mul_f64 v[101:102], v[99:100], v[107:108]
	v_fma_f64 v[101:102], v[97:98], v[125:126], -v[101:102]
	v_mul_f64 v[97:98], v[97:98], v[107:108]
	v_fma_f64 v[97:98], v[99:100], v[125:126], v[97:98]
	s_waitcnt vmcnt(2)
	v_add_f64 v[103:104], v[103:104], -v[101:102]
	s_waitcnt vmcnt(0)
	v_add_f64 v[105:106], v[105:106], -v[97:98]
	buffer_store_dword v103, off, s[24:27], 0 ; 4-byte Folded Spill
	s_nop 0
	buffer_store_dword v104, off, s[24:27], 0 offset:4 ; 4-byte Folded Spill
	buffer_store_dword v105, off, s[24:27], 0 offset:8 ; 4-byte Folded Spill
	;; [unrolled: 1-line block ×3, first 2 shown]
	ds_read2_b64 v[97:100], v94 offset0:36 offset1:37
	v_mov_b32_e32 v105, v125
	v_mov_b32_e32 v106, v126
	s_waitcnt lgkmcnt(0)
	v_mul_f64 v[101:102], v[99:100], v[107:108]
	v_fma_f64 v[101:102], v[97:98], v[125:126], -v[101:102]
	v_mul_f64 v[97:98], v[97:98], v[107:108]
	v_add_f64 v[85:86], v[85:86], -v[101:102]
	v_fma_f64 v[97:98], v[99:100], v[125:126], v[97:98]
	v_add_f64 v[87:88], v[87:88], -v[97:98]
	ds_read2_b64 v[97:100], v94 offset0:38 offset1:39
	s_waitcnt lgkmcnt(0)
	v_mul_f64 v[101:102], v[99:100], v[107:108]
	v_fma_f64 v[101:102], v[97:98], v[125:126], -v[101:102]
	v_mul_f64 v[97:98], v[97:98], v[107:108]
	v_add_f64 v[81:82], v[81:82], -v[101:102]
	v_fma_f64 v[97:98], v[99:100], v[125:126], v[97:98]
	v_add_f64 v[83:84], v[83:84], -v[97:98]
	ds_read2_b64 v[97:100], v94 offset0:40 offset1:41
	;; [unrolled: 8-line block ×22, first 2 shown]
	s_waitcnt lgkmcnt(0)
	v_mul_f64 v[101:102], v[99:100], v[107:108]
	v_fma_f64 v[101:102], v[97:98], v[125:126], -v[101:102]
	v_mul_f64 v[97:98], v[97:98], v[107:108]
	buffer_store_dword v105, off, s[24:27], 0 offset:128 ; 4-byte Folded Spill
	s_nop 0
	buffer_store_dword v106, off, s[24:27], 0 offset:132 ; 4-byte Folded Spill
	buffer_store_dword v107, off, s[24:27], 0 offset:136 ; 4-byte Folded Spill
	;; [unrolled: 1-line block ×3, first 2 shown]
	v_add_f64 v[121:122], v[121:122], -v[101:102]
	v_fma_f64 v[97:98], v[99:100], v[125:126], v[97:98]
	v_add_f64 v[123:124], v[123:124], -v[97:98]
.LBB80_209:
	s_or_b64 exec, exec, s[0:1]
	s_waitcnt vmcnt(0)
	s_barrier
	buffer_load_dword v98, off, s[24:27], 0 offset:112 ; 4-byte Folded Reload
	buffer_load_dword v99, off, s[24:27], 0 offset:116 ; 4-byte Folded Reload
	buffer_load_dword v100, off, s[24:27], 0 offset:120 ; 4-byte Folded Reload
	buffer_load_dword v101, off, s[24:27], 0 offset:124 ; 4-byte Folded Reload
	v_lshl_add_u32 v97, v96, 4, v94
	s_cmp_lt_i32 s3, 12
	s_waitcnt vmcnt(0)
	ds_write2_b64 v97, v[98:99], v[100:101] offset1:1
	s_waitcnt lgkmcnt(0)
	s_barrier
	ds_read2_b64 v[117:120], v94 offset0:20 offset1:21
	v_mov_b32_e32 v97, 10
	s_cbranch_scc1 .LBB80_212
; %bb.210:
	v_add_u32_e32 v98, 0xb0, v94
	s_mov_b32 s0, 11
	v_mov_b32_e32 v97, 10
.LBB80_211:                             ; =>This Inner Loop Header: Depth=1
	s_waitcnt lgkmcnt(0)
	v_cmp_gt_f64_e32 vcc, 0, v[117:118]
	v_xor_b32_e32 v103, 0x80000000, v118
	ds_read2_b64 v[99:102], v98 offset1:1
	v_xor_b32_e32 v105, 0x80000000, v120
	v_add_u32_e32 v98, 16, v98
	s_waitcnt lgkmcnt(0)
	v_xor_b32_e32 v107, 0x80000000, v102
	v_cndmask_b32_e32 v104, v118, v103, vcc
	v_cmp_gt_f64_e32 vcc, 0, v[119:120]
	v_mov_b32_e32 v103, v117
	v_cndmask_b32_e32 v106, v120, v105, vcc
	v_cmp_gt_f64_e32 vcc, 0, v[99:100]
	v_mov_b32_e32 v105, v119
	v_add_f64 v[103:104], v[103:104], v[105:106]
	v_xor_b32_e32 v105, 0x80000000, v100
	v_cndmask_b32_e32 v106, v100, v105, vcc
	v_cmp_gt_f64_e32 vcc, 0, v[101:102]
	v_mov_b32_e32 v105, v99
	v_cndmask_b32_e32 v108, v102, v107, vcc
	v_mov_b32_e32 v107, v101
	v_add_f64 v[105:106], v[105:106], v[107:108]
	v_cmp_lt_f64_e32 vcc, v[103:104], v[105:106]
	v_cndmask_b32_e32 v117, v117, v99, vcc
	v_mov_b32_e32 v99, s0
	s_add_i32 s0, s0, 1
	v_cndmask_b32_e32 v118, v118, v100, vcc
	v_cndmask_b32_e32 v120, v120, v102, vcc
	v_cndmask_b32_e32 v119, v119, v101, vcc
	v_cndmask_b32_e32 v97, v97, v99, vcc
	s_cmp_lg_u32 s3, s0
	s_cbranch_scc1 .LBB80_211
.LBB80_212:
	s_waitcnt lgkmcnt(0)
	v_cmp_eq_f64_e32 vcc, 0, v[117:118]
	v_cmp_eq_f64_e64 s[0:1], 0, v[119:120]
	s_and_b64 s[0:1], vcc, s[0:1]
	s_and_saveexec_b64 s[18:19], s[0:1]
	s_xor_b64 s[0:1], exec, s[18:19]
; %bb.213:
	v_cmp_ne_u32_e32 vcc, 0, v95
	v_cndmask_b32_e32 v95, 11, v95, vcc
; %bb.214:
	s_andn2_saveexec_b64 s[0:1], s[0:1]
	s_cbranch_execz .LBB80_220
; %bb.215:
	v_cmp_ngt_f64_e64 s[18:19], |v[117:118]|, |v[119:120]|
	s_and_saveexec_b64 s[20:21], s[18:19]
	s_xor_b64 s[18:19], exec, s[20:21]
	s_cbranch_execz .LBB80_217
; %bb.216:
	v_div_scale_f64 v[98:99], s[20:21], v[119:120], v[119:120], v[117:118]
	v_rcp_f64_e32 v[100:101], v[98:99]
	v_fma_f64 v[102:103], -v[98:99], v[100:101], 1.0
	v_fma_f64 v[100:101], v[100:101], v[102:103], v[100:101]
	v_div_scale_f64 v[102:103], vcc, v[117:118], v[119:120], v[117:118]
	v_fma_f64 v[104:105], -v[98:99], v[100:101], 1.0
	v_fma_f64 v[100:101], v[100:101], v[104:105], v[100:101]
	v_mul_f64 v[104:105], v[102:103], v[100:101]
	v_fma_f64 v[98:99], -v[98:99], v[104:105], v[102:103]
	v_div_fmas_f64 v[98:99], v[98:99], v[100:101], v[104:105]
	v_div_fixup_f64 v[98:99], v[98:99], v[119:120], v[117:118]
	v_fma_f64 v[100:101], v[117:118], v[98:99], v[119:120]
	v_div_scale_f64 v[102:103], s[20:21], v[100:101], v[100:101], 1.0
	v_div_scale_f64 v[108:109], vcc, 1.0, v[100:101], 1.0
	v_rcp_f64_e32 v[104:105], v[102:103]
	v_fma_f64 v[106:107], -v[102:103], v[104:105], 1.0
	v_fma_f64 v[104:105], v[104:105], v[106:107], v[104:105]
	v_fma_f64 v[106:107], -v[102:103], v[104:105], 1.0
	v_fma_f64 v[104:105], v[104:105], v[106:107], v[104:105]
	v_mul_f64 v[106:107], v[108:109], v[104:105]
	v_fma_f64 v[102:103], -v[102:103], v[106:107], v[108:109]
	v_div_fmas_f64 v[102:103], v[102:103], v[104:105], v[106:107]
	v_div_fixup_f64 v[119:120], v[102:103], v[100:101], 1.0
	v_mul_f64 v[117:118], v[98:99], v[119:120]
	v_xor_b32_e32 v120, 0x80000000, v120
.LBB80_217:
	s_andn2_saveexec_b64 s[18:19], s[18:19]
	s_cbranch_execz .LBB80_219
; %bb.218:
	v_div_scale_f64 v[98:99], s[20:21], v[117:118], v[117:118], v[119:120]
	v_rcp_f64_e32 v[100:101], v[98:99]
	v_fma_f64 v[102:103], -v[98:99], v[100:101], 1.0
	v_fma_f64 v[100:101], v[100:101], v[102:103], v[100:101]
	v_div_scale_f64 v[102:103], vcc, v[119:120], v[117:118], v[119:120]
	v_fma_f64 v[104:105], -v[98:99], v[100:101], 1.0
	v_fma_f64 v[100:101], v[100:101], v[104:105], v[100:101]
	v_mul_f64 v[104:105], v[102:103], v[100:101]
	v_fma_f64 v[98:99], -v[98:99], v[104:105], v[102:103]
	v_div_fmas_f64 v[98:99], v[98:99], v[100:101], v[104:105]
	v_div_fixup_f64 v[98:99], v[98:99], v[117:118], v[119:120]
	v_fma_f64 v[100:101], v[119:120], v[98:99], v[117:118]
	v_div_scale_f64 v[102:103], s[20:21], v[100:101], v[100:101], 1.0
	v_div_scale_f64 v[108:109], vcc, 1.0, v[100:101], 1.0
	v_rcp_f64_e32 v[104:105], v[102:103]
	v_fma_f64 v[106:107], -v[102:103], v[104:105], 1.0
	v_fma_f64 v[104:105], v[104:105], v[106:107], v[104:105]
	v_fma_f64 v[106:107], -v[102:103], v[104:105], 1.0
	v_fma_f64 v[104:105], v[104:105], v[106:107], v[104:105]
	v_mul_f64 v[106:107], v[108:109], v[104:105]
	v_fma_f64 v[102:103], -v[102:103], v[106:107], v[108:109]
	v_div_fmas_f64 v[102:103], v[102:103], v[104:105], v[106:107]
	v_div_fixup_f64 v[117:118], v[102:103], v[100:101], 1.0
	v_mul_f64 v[119:120], v[98:99], -v[117:118]
.LBB80_219:
	s_or_b64 exec, exec, s[18:19]
.LBB80_220:
	s_or_b64 exec, exec, s[0:1]
	v_cmp_ne_u32_e32 vcc, v96, v97
	s_and_saveexec_b64 s[0:1], vcc
	s_xor_b64 s[0:1], exec, s[0:1]
	s_cbranch_execz .LBB80_226
; %bb.221:
	v_cmp_eq_u32_e32 vcc, 10, v96
	s_and_saveexec_b64 s[18:19], vcc
	s_cbranch_execz .LBB80_225
; %bb.222:
	v_cmp_ne_u32_e32 vcc, 10, v97
	s_xor_b64 s[20:21], s[6:7], -1
	s_and_b64 s[22:23], s[20:21], vcc
	s_and_saveexec_b64 s[20:21], s[22:23]
	s_cbranch_execz .LBB80_224
; %bb.223:
	v_ashrrev_i32_e32 v98, 31, v97
	v_lshlrev_b64 v[98:99], 2, v[97:98]
	v_add_co_u32_e32 v98, vcc, v91, v98
	v_addc_co_u32_e32 v99, vcc, v92, v99, vcc
	global_load_dword v0, v[98:99], off
	global_load_dword v96, v[91:92], off offset:40
	s_waitcnt vmcnt(1)
	global_store_dword v[91:92], v0, off offset:40
	s_waitcnt vmcnt(1)
	global_store_dword v[98:99], v96, off
.LBB80_224:
	s_or_b64 exec, exec, s[20:21]
	v_mov_b32_e32 v96, v97
	v_mov_b32_e32 v0, v97
.LBB80_225:
	s_or_b64 exec, exec, s[18:19]
.LBB80_226:
	s_andn2_saveexec_b64 s[0:1], s[0:1]
	s_cbranch_execz .LBB80_228
; %bb.227:
	buffer_load_dword v96, off, s[24:27], 0 offset:96 ; 4-byte Folded Reload
	buffer_load_dword v97, off, s[24:27], 0 offset:100 ; 4-byte Folded Reload
	buffer_load_dword v98, off, s[24:27], 0 offset:104 ; 4-byte Folded Reload
	buffer_load_dword v99, off, s[24:27], 0 offset:108 ; 4-byte Folded Reload
	s_waitcnt vmcnt(0)
	ds_write2_b64 v94, v[96:97], v[98:99] offset0:22 offset1:23
	buffer_load_dword v96, off, s[24:27], 0 offset:80 ; 4-byte Folded Reload
	buffer_load_dword v97, off, s[24:27], 0 offset:84 ; 4-byte Folded Reload
	buffer_load_dword v98, off, s[24:27], 0 offset:88 ; 4-byte Folded Reload
	buffer_load_dword v99, off, s[24:27], 0 offset:92 ; 4-byte Folded Reload
	s_waitcnt vmcnt(0)
	ds_write2_b64 v94, v[96:97], v[98:99] offset0:24 offset1:25
	;; [unrolled: 6-line block ×6, first 2 shown]
	buffer_load_dword v96, off, s[24:27], 0 ; 4-byte Folded Reload
	buffer_load_dword v97, off, s[24:27], 0 offset:4 ; 4-byte Folded Reload
	buffer_load_dword v98, off, s[24:27], 0 offset:8 ; 4-byte Folded Reload
	;; [unrolled: 1-line block ×3, first 2 shown]
	s_waitcnt vmcnt(0)
	ds_write2_b64 v94, v[96:97], v[98:99] offset0:34 offset1:35
	ds_write2_b64 v94, v[85:86], v[87:88] offset0:36 offset1:37
	ds_write2_b64 v94, v[81:82], v[83:84] offset0:38 offset1:39
	ds_write2_b64 v94, v[77:78], v[79:80] offset0:40 offset1:41
	ds_write2_b64 v94, v[73:74], v[75:76] offset0:42 offset1:43
	ds_write2_b64 v94, v[69:70], v[71:72] offset0:44 offset1:45
	ds_write2_b64 v94, v[65:66], v[67:68] offset0:46 offset1:47
	ds_write2_b64 v94, v[61:62], v[63:64] offset0:48 offset1:49
	ds_write2_b64 v94, v[57:58], v[59:60] offset0:50 offset1:51
	ds_write2_b64 v94, v[53:54], v[55:56] offset0:52 offset1:53
	ds_write2_b64 v94, v[49:50], v[51:52] offset0:54 offset1:55
	ds_write2_b64 v94, v[45:46], v[47:48] offset0:56 offset1:57
	ds_write2_b64 v94, v[41:42], v[43:44] offset0:58 offset1:59
	ds_write2_b64 v94, v[37:38], v[39:40] offset0:60 offset1:61
	ds_write2_b64 v94, v[33:34], v[35:36] offset0:62 offset1:63
	ds_write2_b64 v94, v[29:30], v[31:32] offset0:64 offset1:65
	ds_write2_b64 v94, v[25:26], v[27:28] offset0:66 offset1:67
	ds_write2_b64 v94, v[21:22], v[23:24] offset0:68 offset1:69
	ds_write2_b64 v94, v[17:18], v[19:20] offset0:70 offset1:71
	ds_write2_b64 v94, v[13:14], v[15:16] offset0:72 offset1:73
	ds_write2_b64 v94, v[9:10], v[11:12] offset0:74 offset1:75
	ds_write2_b64 v94, v[5:6], v[7:8] offset0:76 offset1:77
	ds_write2_b64 v94, v[1:2], v[3:4] offset0:78 offset1:79
	ds_write2_b64 v94, v[121:122], v[123:124] offset0:80 offset1:81
	v_mov_b32_e32 v96, 10
.LBB80_228:
	s_or_b64 exec, exec, s[0:1]
	v_cmp_lt_i32_e32 vcc, 10, v96
	s_waitcnt vmcnt(0) lgkmcnt(0)
	s_barrier
	s_and_saveexec_b64 s[0:1], vcc
	s_cbranch_execz .LBB80_230
; %bb.229:
	buffer_load_dword v105, off, s[24:27], 0 offset:112 ; 4-byte Folded Reload
	buffer_load_dword v106, off, s[24:27], 0 offset:116 ; 4-byte Folded Reload
	;; [unrolled: 1-line block ×4, first 2 shown]
	s_waitcnt vmcnt(0)
	v_mul_f64 v[97:98], v[119:120], v[107:108]
	v_fma_f64 v[125:126], v[117:118], v[105:106], -v[97:98]
	v_mul_f64 v[97:98], v[117:118], v[107:108]
	v_fma_f64 v[107:108], v[119:120], v[105:106], v[97:98]
	ds_read2_b64 v[97:100], v94 offset0:22 offset1:23
	buffer_load_dword v103, off, s[24:27], 0 offset:96 ; 4-byte Folded Reload
	buffer_load_dword v104, off, s[24:27], 0 offset:100 ; 4-byte Folded Reload
	buffer_load_dword v105, off, s[24:27], 0 offset:104 ; 4-byte Folded Reload
	buffer_load_dword v106, off, s[24:27], 0 offset:108 ; 4-byte Folded Reload
	s_waitcnt lgkmcnt(0)
	v_mul_f64 v[101:102], v[99:100], v[107:108]
	v_fma_f64 v[101:102], v[97:98], v[125:126], -v[101:102]
	v_mul_f64 v[97:98], v[97:98], v[107:108]
	v_fma_f64 v[97:98], v[99:100], v[125:126], v[97:98]
	s_waitcnt vmcnt(2)
	v_add_f64 v[103:104], v[103:104], -v[101:102]
	s_waitcnt vmcnt(0)
	v_add_f64 v[105:106], v[105:106], -v[97:98]
	buffer_store_dword v103, off, s[24:27], 0 offset:96 ; 4-byte Folded Spill
	s_nop 0
	buffer_store_dword v104, off, s[24:27], 0 offset:100 ; 4-byte Folded Spill
	buffer_store_dword v105, off, s[24:27], 0 offset:104 ; 4-byte Folded Spill
	buffer_store_dword v106, off, s[24:27], 0 offset:108 ; 4-byte Folded Spill
	ds_read2_b64 v[97:100], v94 offset0:24 offset1:25
	buffer_load_dword v103, off, s[24:27], 0 offset:80 ; 4-byte Folded Reload
	buffer_load_dword v104, off, s[24:27], 0 offset:84 ; 4-byte Folded Reload
	buffer_load_dword v105, off, s[24:27], 0 offset:88 ; 4-byte Folded Reload
	buffer_load_dword v106, off, s[24:27], 0 offset:92 ; 4-byte Folded Reload
	s_waitcnt lgkmcnt(0)
	v_mul_f64 v[101:102], v[99:100], v[107:108]
	v_fma_f64 v[101:102], v[97:98], v[125:126], -v[101:102]
	v_mul_f64 v[97:98], v[97:98], v[107:108]
	v_fma_f64 v[97:98], v[99:100], v[125:126], v[97:98]
	s_waitcnt vmcnt(2)
	v_add_f64 v[103:104], v[103:104], -v[101:102]
	s_waitcnt vmcnt(0)
	v_add_f64 v[105:106], v[105:106], -v[97:98]
	buffer_store_dword v103, off, s[24:27], 0 offset:80 ; 4-byte Folded Spill
	s_nop 0
	buffer_store_dword v104, off, s[24:27], 0 offset:84 ; 4-byte Folded Spill
	buffer_store_dword v105, off, s[24:27], 0 offset:88 ; 4-byte Folded Spill
	buffer_store_dword v106, off, s[24:27], 0 offset:92 ; 4-byte Folded Spill
	;; [unrolled: 19-line block ×6, first 2 shown]
	ds_read2_b64 v[97:100], v94 offset0:34 offset1:35
	buffer_load_dword v103, off, s[24:27], 0 ; 4-byte Folded Reload
	buffer_load_dword v104, off, s[24:27], 0 offset:4 ; 4-byte Folded Reload
	buffer_load_dword v105, off, s[24:27], 0 offset:8 ; 4-byte Folded Reload
	;; [unrolled: 1-line block ×3, first 2 shown]
	s_waitcnt lgkmcnt(0)
	v_mul_f64 v[101:102], v[99:100], v[107:108]
	v_fma_f64 v[101:102], v[97:98], v[125:126], -v[101:102]
	v_mul_f64 v[97:98], v[97:98], v[107:108]
	v_fma_f64 v[97:98], v[99:100], v[125:126], v[97:98]
	s_waitcnt vmcnt(2)
	v_add_f64 v[103:104], v[103:104], -v[101:102]
	s_waitcnt vmcnt(0)
	v_add_f64 v[105:106], v[105:106], -v[97:98]
	buffer_store_dword v103, off, s[24:27], 0 ; 4-byte Folded Spill
	s_nop 0
	buffer_store_dword v104, off, s[24:27], 0 offset:4 ; 4-byte Folded Spill
	buffer_store_dword v105, off, s[24:27], 0 offset:8 ; 4-byte Folded Spill
	buffer_store_dword v106, off, s[24:27], 0 offset:12 ; 4-byte Folded Spill
	ds_read2_b64 v[97:100], v94 offset0:36 offset1:37
	v_mov_b32_e32 v105, v125
	v_mov_b32_e32 v106, v126
	s_waitcnt lgkmcnt(0)
	v_mul_f64 v[101:102], v[99:100], v[107:108]
	v_fma_f64 v[101:102], v[97:98], v[125:126], -v[101:102]
	v_mul_f64 v[97:98], v[97:98], v[107:108]
	v_add_f64 v[85:86], v[85:86], -v[101:102]
	v_fma_f64 v[97:98], v[99:100], v[125:126], v[97:98]
	v_add_f64 v[87:88], v[87:88], -v[97:98]
	ds_read2_b64 v[97:100], v94 offset0:38 offset1:39
	s_waitcnt lgkmcnt(0)
	v_mul_f64 v[101:102], v[99:100], v[107:108]
	v_fma_f64 v[101:102], v[97:98], v[125:126], -v[101:102]
	v_mul_f64 v[97:98], v[97:98], v[107:108]
	v_add_f64 v[81:82], v[81:82], -v[101:102]
	v_fma_f64 v[97:98], v[99:100], v[125:126], v[97:98]
	v_add_f64 v[83:84], v[83:84], -v[97:98]
	ds_read2_b64 v[97:100], v94 offset0:40 offset1:41
	;; [unrolled: 8-line block ×22, first 2 shown]
	s_waitcnt lgkmcnt(0)
	v_mul_f64 v[101:102], v[99:100], v[107:108]
	v_fma_f64 v[101:102], v[97:98], v[125:126], -v[101:102]
	v_mul_f64 v[97:98], v[97:98], v[107:108]
	buffer_store_dword v105, off, s[24:27], 0 offset:112 ; 4-byte Folded Spill
	s_nop 0
	buffer_store_dword v106, off, s[24:27], 0 offset:116 ; 4-byte Folded Spill
	buffer_store_dword v107, off, s[24:27], 0 offset:120 ; 4-byte Folded Spill
	;; [unrolled: 1-line block ×3, first 2 shown]
	v_add_f64 v[121:122], v[121:122], -v[101:102]
	v_fma_f64 v[97:98], v[99:100], v[125:126], v[97:98]
	v_add_f64 v[123:124], v[123:124], -v[97:98]
.LBB80_230:
	s_or_b64 exec, exec, s[0:1]
	s_waitcnt vmcnt(0)
	s_barrier
	buffer_load_dword v98, off, s[24:27], 0 offset:96 ; 4-byte Folded Reload
	buffer_load_dword v99, off, s[24:27], 0 offset:100 ; 4-byte Folded Reload
	;; [unrolled: 1-line block ×4, first 2 shown]
	v_lshl_add_u32 v97, v96, 4, v94
	s_cmp_lt_i32 s3, 13
	s_waitcnt vmcnt(0)
	ds_write2_b64 v97, v[98:99], v[100:101] offset1:1
	s_waitcnt lgkmcnt(0)
	s_barrier
	ds_read2_b64 v[117:120], v94 offset0:22 offset1:23
	v_mov_b32_e32 v97, 11
	s_cbranch_scc1 .LBB80_233
; %bb.231:
	v_add_u32_e32 v98, 0xc0, v94
	s_mov_b32 s0, 12
	v_mov_b32_e32 v97, 11
.LBB80_232:                             ; =>This Inner Loop Header: Depth=1
	s_waitcnt lgkmcnt(0)
	v_cmp_gt_f64_e32 vcc, 0, v[117:118]
	v_xor_b32_e32 v103, 0x80000000, v118
	ds_read2_b64 v[99:102], v98 offset1:1
	v_xor_b32_e32 v105, 0x80000000, v120
	v_add_u32_e32 v98, 16, v98
	s_waitcnt lgkmcnt(0)
	v_xor_b32_e32 v107, 0x80000000, v102
	v_cndmask_b32_e32 v104, v118, v103, vcc
	v_cmp_gt_f64_e32 vcc, 0, v[119:120]
	v_mov_b32_e32 v103, v117
	v_cndmask_b32_e32 v106, v120, v105, vcc
	v_cmp_gt_f64_e32 vcc, 0, v[99:100]
	v_mov_b32_e32 v105, v119
	v_add_f64 v[103:104], v[103:104], v[105:106]
	v_xor_b32_e32 v105, 0x80000000, v100
	v_cndmask_b32_e32 v106, v100, v105, vcc
	v_cmp_gt_f64_e32 vcc, 0, v[101:102]
	v_mov_b32_e32 v105, v99
	v_cndmask_b32_e32 v108, v102, v107, vcc
	v_mov_b32_e32 v107, v101
	v_add_f64 v[105:106], v[105:106], v[107:108]
	v_cmp_lt_f64_e32 vcc, v[103:104], v[105:106]
	v_cndmask_b32_e32 v117, v117, v99, vcc
	v_mov_b32_e32 v99, s0
	s_add_i32 s0, s0, 1
	v_cndmask_b32_e32 v118, v118, v100, vcc
	v_cndmask_b32_e32 v120, v120, v102, vcc
	;; [unrolled: 1-line block ×4, first 2 shown]
	s_cmp_lg_u32 s3, s0
	s_cbranch_scc1 .LBB80_232
.LBB80_233:
	s_waitcnt lgkmcnt(0)
	v_cmp_eq_f64_e32 vcc, 0, v[117:118]
	v_cmp_eq_f64_e64 s[0:1], 0, v[119:120]
	s_and_b64 s[0:1], vcc, s[0:1]
	s_and_saveexec_b64 s[18:19], s[0:1]
	s_xor_b64 s[0:1], exec, s[18:19]
; %bb.234:
	v_cmp_ne_u32_e32 vcc, 0, v95
	v_cndmask_b32_e32 v95, 12, v95, vcc
; %bb.235:
	s_andn2_saveexec_b64 s[0:1], s[0:1]
	s_cbranch_execz .LBB80_241
; %bb.236:
	v_cmp_ngt_f64_e64 s[18:19], |v[117:118]|, |v[119:120]|
	s_and_saveexec_b64 s[20:21], s[18:19]
	s_xor_b64 s[18:19], exec, s[20:21]
	s_cbranch_execz .LBB80_238
; %bb.237:
	v_div_scale_f64 v[98:99], s[20:21], v[119:120], v[119:120], v[117:118]
	v_rcp_f64_e32 v[100:101], v[98:99]
	v_fma_f64 v[102:103], -v[98:99], v[100:101], 1.0
	v_fma_f64 v[100:101], v[100:101], v[102:103], v[100:101]
	v_div_scale_f64 v[102:103], vcc, v[117:118], v[119:120], v[117:118]
	v_fma_f64 v[104:105], -v[98:99], v[100:101], 1.0
	v_fma_f64 v[100:101], v[100:101], v[104:105], v[100:101]
	v_mul_f64 v[104:105], v[102:103], v[100:101]
	v_fma_f64 v[98:99], -v[98:99], v[104:105], v[102:103]
	v_div_fmas_f64 v[98:99], v[98:99], v[100:101], v[104:105]
	v_div_fixup_f64 v[98:99], v[98:99], v[119:120], v[117:118]
	v_fma_f64 v[100:101], v[117:118], v[98:99], v[119:120]
	v_div_scale_f64 v[102:103], s[20:21], v[100:101], v[100:101], 1.0
	v_div_scale_f64 v[108:109], vcc, 1.0, v[100:101], 1.0
	v_rcp_f64_e32 v[104:105], v[102:103]
	v_fma_f64 v[106:107], -v[102:103], v[104:105], 1.0
	v_fma_f64 v[104:105], v[104:105], v[106:107], v[104:105]
	v_fma_f64 v[106:107], -v[102:103], v[104:105], 1.0
	v_fma_f64 v[104:105], v[104:105], v[106:107], v[104:105]
	v_mul_f64 v[106:107], v[108:109], v[104:105]
	v_fma_f64 v[102:103], -v[102:103], v[106:107], v[108:109]
	v_div_fmas_f64 v[102:103], v[102:103], v[104:105], v[106:107]
	v_div_fixup_f64 v[119:120], v[102:103], v[100:101], 1.0
	v_mul_f64 v[117:118], v[98:99], v[119:120]
	v_xor_b32_e32 v120, 0x80000000, v120
.LBB80_238:
	s_andn2_saveexec_b64 s[18:19], s[18:19]
	s_cbranch_execz .LBB80_240
; %bb.239:
	v_div_scale_f64 v[98:99], s[20:21], v[117:118], v[117:118], v[119:120]
	v_rcp_f64_e32 v[100:101], v[98:99]
	v_fma_f64 v[102:103], -v[98:99], v[100:101], 1.0
	v_fma_f64 v[100:101], v[100:101], v[102:103], v[100:101]
	v_div_scale_f64 v[102:103], vcc, v[119:120], v[117:118], v[119:120]
	v_fma_f64 v[104:105], -v[98:99], v[100:101], 1.0
	v_fma_f64 v[100:101], v[100:101], v[104:105], v[100:101]
	v_mul_f64 v[104:105], v[102:103], v[100:101]
	v_fma_f64 v[98:99], -v[98:99], v[104:105], v[102:103]
	v_div_fmas_f64 v[98:99], v[98:99], v[100:101], v[104:105]
	v_div_fixup_f64 v[98:99], v[98:99], v[117:118], v[119:120]
	v_fma_f64 v[100:101], v[119:120], v[98:99], v[117:118]
	v_div_scale_f64 v[102:103], s[20:21], v[100:101], v[100:101], 1.0
	v_div_scale_f64 v[108:109], vcc, 1.0, v[100:101], 1.0
	v_rcp_f64_e32 v[104:105], v[102:103]
	v_fma_f64 v[106:107], -v[102:103], v[104:105], 1.0
	v_fma_f64 v[104:105], v[104:105], v[106:107], v[104:105]
	v_fma_f64 v[106:107], -v[102:103], v[104:105], 1.0
	v_fma_f64 v[104:105], v[104:105], v[106:107], v[104:105]
	v_mul_f64 v[106:107], v[108:109], v[104:105]
	v_fma_f64 v[102:103], -v[102:103], v[106:107], v[108:109]
	v_div_fmas_f64 v[102:103], v[102:103], v[104:105], v[106:107]
	v_div_fixup_f64 v[117:118], v[102:103], v[100:101], 1.0
	v_mul_f64 v[119:120], v[98:99], -v[117:118]
.LBB80_240:
	s_or_b64 exec, exec, s[18:19]
.LBB80_241:
	s_or_b64 exec, exec, s[0:1]
	v_cmp_ne_u32_e32 vcc, v96, v97
	s_and_saveexec_b64 s[0:1], vcc
	s_xor_b64 s[0:1], exec, s[0:1]
	s_cbranch_execz .LBB80_247
; %bb.242:
	v_cmp_eq_u32_e32 vcc, 11, v96
	s_and_saveexec_b64 s[18:19], vcc
	s_cbranch_execz .LBB80_246
; %bb.243:
	v_cmp_ne_u32_e32 vcc, 11, v97
	s_xor_b64 s[20:21], s[6:7], -1
	s_and_b64 s[22:23], s[20:21], vcc
	s_and_saveexec_b64 s[20:21], s[22:23]
	s_cbranch_execz .LBB80_245
; %bb.244:
	v_ashrrev_i32_e32 v98, 31, v97
	v_lshlrev_b64 v[98:99], 2, v[97:98]
	v_add_co_u32_e32 v98, vcc, v91, v98
	v_addc_co_u32_e32 v99, vcc, v92, v99, vcc
	global_load_dword v0, v[98:99], off
	global_load_dword v96, v[91:92], off offset:44
	s_waitcnt vmcnt(1)
	global_store_dword v[91:92], v0, off offset:44
	s_waitcnt vmcnt(1)
	global_store_dword v[98:99], v96, off
.LBB80_245:
	s_or_b64 exec, exec, s[20:21]
	v_mov_b32_e32 v96, v97
	v_mov_b32_e32 v0, v97
.LBB80_246:
	s_or_b64 exec, exec, s[18:19]
.LBB80_247:
	s_andn2_saveexec_b64 s[0:1], s[0:1]
	s_cbranch_execz .LBB80_249
; %bb.248:
	buffer_load_dword v96, off, s[24:27], 0 offset:80 ; 4-byte Folded Reload
	buffer_load_dword v97, off, s[24:27], 0 offset:84 ; 4-byte Folded Reload
	buffer_load_dword v98, off, s[24:27], 0 offset:88 ; 4-byte Folded Reload
	buffer_load_dword v99, off, s[24:27], 0 offset:92 ; 4-byte Folded Reload
	s_waitcnt vmcnt(0)
	ds_write2_b64 v94, v[96:97], v[98:99] offset0:24 offset1:25
	buffer_load_dword v96, off, s[24:27], 0 offset:64 ; 4-byte Folded Reload
	buffer_load_dword v97, off, s[24:27], 0 offset:68 ; 4-byte Folded Reload
	buffer_load_dword v98, off, s[24:27], 0 offset:72 ; 4-byte Folded Reload
	buffer_load_dword v99, off, s[24:27], 0 offset:76 ; 4-byte Folded Reload
	s_waitcnt vmcnt(0)
	ds_write2_b64 v94, v[96:97], v[98:99] offset0:26 offset1:27
	;; [unrolled: 6-line block ×5, first 2 shown]
	buffer_load_dword v96, off, s[24:27], 0 ; 4-byte Folded Reload
	buffer_load_dword v97, off, s[24:27], 0 offset:4 ; 4-byte Folded Reload
	buffer_load_dword v98, off, s[24:27], 0 offset:8 ; 4-byte Folded Reload
	;; [unrolled: 1-line block ×3, first 2 shown]
	s_waitcnt vmcnt(0)
	ds_write2_b64 v94, v[96:97], v[98:99] offset0:34 offset1:35
	ds_write2_b64 v94, v[85:86], v[87:88] offset0:36 offset1:37
	;; [unrolled: 1-line block ×24, first 2 shown]
	v_mov_b32_e32 v96, 11
.LBB80_249:
	s_or_b64 exec, exec, s[0:1]
	v_cmp_lt_i32_e32 vcc, 11, v96
	s_waitcnt vmcnt(0) lgkmcnt(0)
	s_barrier
	s_and_saveexec_b64 s[0:1], vcc
	s_cbranch_execz .LBB80_251
; %bb.250:
	buffer_load_dword v105, off, s[24:27], 0 offset:96 ; 4-byte Folded Reload
	buffer_load_dword v106, off, s[24:27], 0 offset:100 ; 4-byte Folded Reload
	;; [unrolled: 1-line block ×4, first 2 shown]
	s_waitcnt vmcnt(0)
	v_mul_f64 v[97:98], v[119:120], v[107:108]
	v_fma_f64 v[125:126], v[117:118], v[105:106], -v[97:98]
	v_mul_f64 v[97:98], v[117:118], v[107:108]
	v_fma_f64 v[107:108], v[119:120], v[105:106], v[97:98]
	ds_read2_b64 v[97:100], v94 offset0:24 offset1:25
	buffer_load_dword v103, off, s[24:27], 0 offset:80 ; 4-byte Folded Reload
	buffer_load_dword v104, off, s[24:27], 0 offset:84 ; 4-byte Folded Reload
	buffer_load_dword v105, off, s[24:27], 0 offset:88 ; 4-byte Folded Reload
	buffer_load_dword v106, off, s[24:27], 0 offset:92 ; 4-byte Folded Reload
	s_waitcnt lgkmcnt(0)
	v_mul_f64 v[101:102], v[99:100], v[107:108]
	v_fma_f64 v[101:102], v[97:98], v[125:126], -v[101:102]
	v_mul_f64 v[97:98], v[97:98], v[107:108]
	v_fma_f64 v[97:98], v[99:100], v[125:126], v[97:98]
	s_waitcnt vmcnt(2)
	v_add_f64 v[103:104], v[103:104], -v[101:102]
	s_waitcnt vmcnt(0)
	v_add_f64 v[105:106], v[105:106], -v[97:98]
	buffer_store_dword v103, off, s[24:27], 0 offset:80 ; 4-byte Folded Spill
	s_nop 0
	buffer_store_dword v104, off, s[24:27], 0 offset:84 ; 4-byte Folded Spill
	buffer_store_dword v105, off, s[24:27], 0 offset:88 ; 4-byte Folded Spill
	buffer_store_dword v106, off, s[24:27], 0 offset:92 ; 4-byte Folded Spill
	ds_read2_b64 v[97:100], v94 offset0:26 offset1:27
	buffer_load_dword v103, off, s[24:27], 0 offset:64 ; 4-byte Folded Reload
	buffer_load_dword v104, off, s[24:27], 0 offset:68 ; 4-byte Folded Reload
	buffer_load_dword v105, off, s[24:27], 0 offset:72 ; 4-byte Folded Reload
	buffer_load_dword v106, off, s[24:27], 0 offset:76 ; 4-byte Folded Reload
	s_waitcnt lgkmcnt(0)
	v_mul_f64 v[101:102], v[99:100], v[107:108]
	v_fma_f64 v[101:102], v[97:98], v[125:126], -v[101:102]
	v_mul_f64 v[97:98], v[97:98], v[107:108]
	v_fma_f64 v[97:98], v[99:100], v[125:126], v[97:98]
	s_waitcnt vmcnt(2)
	v_add_f64 v[103:104], v[103:104], -v[101:102]
	s_waitcnt vmcnt(0)
	v_add_f64 v[105:106], v[105:106], -v[97:98]
	buffer_store_dword v103, off, s[24:27], 0 offset:64 ; 4-byte Folded Spill
	s_nop 0
	buffer_store_dword v104, off, s[24:27], 0 offset:68 ; 4-byte Folded Spill
	buffer_store_dword v105, off, s[24:27], 0 offset:72 ; 4-byte Folded Spill
	buffer_store_dword v106, off, s[24:27], 0 offset:76 ; 4-byte Folded Spill
	;; [unrolled: 19-line block ×5, first 2 shown]
	ds_read2_b64 v[97:100], v94 offset0:34 offset1:35
	buffer_load_dword v103, off, s[24:27], 0 ; 4-byte Folded Reload
	buffer_load_dword v104, off, s[24:27], 0 offset:4 ; 4-byte Folded Reload
	buffer_load_dword v105, off, s[24:27], 0 offset:8 ; 4-byte Folded Reload
	;; [unrolled: 1-line block ×3, first 2 shown]
	s_waitcnt lgkmcnt(0)
	v_mul_f64 v[101:102], v[99:100], v[107:108]
	v_fma_f64 v[101:102], v[97:98], v[125:126], -v[101:102]
	v_mul_f64 v[97:98], v[97:98], v[107:108]
	v_fma_f64 v[97:98], v[99:100], v[125:126], v[97:98]
	s_waitcnt vmcnt(2)
	v_add_f64 v[103:104], v[103:104], -v[101:102]
	s_waitcnt vmcnt(0)
	v_add_f64 v[105:106], v[105:106], -v[97:98]
	buffer_store_dword v103, off, s[24:27], 0 ; 4-byte Folded Spill
	s_nop 0
	buffer_store_dword v104, off, s[24:27], 0 offset:4 ; 4-byte Folded Spill
	buffer_store_dword v105, off, s[24:27], 0 offset:8 ; 4-byte Folded Spill
	buffer_store_dword v106, off, s[24:27], 0 offset:12 ; 4-byte Folded Spill
	ds_read2_b64 v[97:100], v94 offset0:36 offset1:37
	v_mov_b32_e32 v105, v125
	v_mov_b32_e32 v106, v126
	s_waitcnt lgkmcnt(0)
	v_mul_f64 v[101:102], v[99:100], v[107:108]
	v_fma_f64 v[101:102], v[97:98], v[125:126], -v[101:102]
	v_mul_f64 v[97:98], v[97:98], v[107:108]
	v_add_f64 v[85:86], v[85:86], -v[101:102]
	v_fma_f64 v[97:98], v[99:100], v[125:126], v[97:98]
	v_add_f64 v[87:88], v[87:88], -v[97:98]
	ds_read2_b64 v[97:100], v94 offset0:38 offset1:39
	s_waitcnt lgkmcnt(0)
	v_mul_f64 v[101:102], v[99:100], v[107:108]
	v_fma_f64 v[101:102], v[97:98], v[125:126], -v[101:102]
	v_mul_f64 v[97:98], v[97:98], v[107:108]
	v_add_f64 v[81:82], v[81:82], -v[101:102]
	v_fma_f64 v[97:98], v[99:100], v[125:126], v[97:98]
	v_add_f64 v[83:84], v[83:84], -v[97:98]
	ds_read2_b64 v[97:100], v94 offset0:40 offset1:41
	;; [unrolled: 8-line block ×22, first 2 shown]
	s_waitcnt lgkmcnt(0)
	v_mul_f64 v[101:102], v[99:100], v[107:108]
	v_fma_f64 v[101:102], v[97:98], v[125:126], -v[101:102]
	v_mul_f64 v[97:98], v[97:98], v[107:108]
	buffer_store_dword v105, off, s[24:27], 0 offset:96 ; 4-byte Folded Spill
	s_nop 0
	buffer_store_dword v106, off, s[24:27], 0 offset:100 ; 4-byte Folded Spill
	buffer_store_dword v107, off, s[24:27], 0 offset:104 ; 4-byte Folded Spill
	;; [unrolled: 1-line block ×3, first 2 shown]
	v_add_f64 v[121:122], v[121:122], -v[101:102]
	v_fma_f64 v[97:98], v[99:100], v[125:126], v[97:98]
	v_add_f64 v[123:124], v[123:124], -v[97:98]
.LBB80_251:
	s_or_b64 exec, exec, s[0:1]
	s_waitcnt vmcnt(0)
	s_barrier
	buffer_load_dword v98, off, s[24:27], 0 offset:80 ; 4-byte Folded Reload
	buffer_load_dword v99, off, s[24:27], 0 offset:84 ; 4-byte Folded Reload
	;; [unrolled: 1-line block ×4, first 2 shown]
	v_lshl_add_u32 v97, v96, 4, v94
	s_cmp_lt_i32 s3, 14
	s_waitcnt vmcnt(0)
	ds_write2_b64 v97, v[98:99], v[100:101] offset1:1
	s_waitcnt lgkmcnt(0)
	s_barrier
	ds_read2_b64 v[117:120], v94 offset0:24 offset1:25
	v_mov_b32_e32 v97, 12
	s_cbranch_scc1 .LBB80_254
; %bb.252:
	v_add_u32_e32 v98, 0xd0, v94
	s_mov_b32 s0, 13
	v_mov_b32_e32 v97, 12
.LBB80_253:                             ; =>This Inner Loop Header: Depth=1
	s_waitcnt lgkmcnt(0)
	v_cmp_gt_f64_e32 vcc, 0, v[117:118]
	v_xor_b32_e32 v103, 0x80000000, v118
	ds_read2_b64 v[99:102], v98 offset1:1
	v_xor_b32_e32 v105, 0x80000000, v120
	v_add_u32_e32 v98, 16, v98
	s_waitcnt lgkmcnt(0)
	v_xor_b32_e32 v107, 0x80000000, v102
	v_cndmask_b32_e32 v104, v118, v103, vcc
	v_cmp_gt_f64_e32 vcc, 0, v[119:120]
	v_mov_b32_e32 v103, v117
	v_cndmask_b32_e32 v106, v120, v105, vcc
	v_cmp_gt_f64_e32 vcc, 0, v[99:100]
	v_mov_b32_e32 v105, v119
	v_add_f64 v[103:104], v[103:104], v[105:106]
	v_xor_b32_e32 v105, 0x80000000, v100
	v_cndmask_b32_e32 v106, v100, v105, vcc
	v_cmp_gt_f64_e32 vcc, 0, v[101:102]
	v_mov_b32_e32 v105, v99
	v_cndmask_b32_e32 v108, v102, v107, vcc
	v_mov_b32_e32 v107, v101
	v_add_f64 v[105:106], v[105:106], v[107:108]
	v_cmp_lt_f64_e32 vcc, v[103:104], v[105:106]
	v_cndmask_b32_e32 v117, v117, v99, vcc
	v_mov_b32_e32 v99, s0
	s_add_i32 s0, s0, 1
	v_cndmask_b32_e32 v118, v118, v100, vcc
	v_cndmask_b32_e32 v120, v120, v102, vcc
	;; [unrolled: 1-line block ×4, first 2 shown]
	s_cmp_lg_u32 s3, s0
	s_cbranch_scc1 .LBB80_253
.LBB80_254:
	s_waitcnt lgkmcnt(0)
	v_cmp_eq_f64_e32 vcc, 0, v[117:118]
	v_cmp_eq_f64_e64 s[0:1], 0, v[119:120]
	s_and_b64 s[0:1], vcc, s[0:1]
	s_and_saveexec_b64 s[18:19], s[0:1]
	s_xor_b64 s[0:1], exec, s[18:19]
; %bb.255:
	v_cmp_ne_u32_e32 vcc, 0, v95
	v_cndmask_b32_e32 v95, 13, v95, vcc
; %bb.256:
	s_andn2_saveexec_b64 s[0:1], s[0:1]
	s_cbranch_execz .LBB80_262
; %bb.257:
	v_cmp_ngt_f64_e64 s[18:19], |v[117:118]|, |v[119:120]|
	s_and_saveexec_b64 s[20:21], s[18:19]
	s_xor_b64 s[18:19], exec, s[20:21]
	s_cbranch_execz .LBB80_259
; %bb.258:
	v_div_scale_f64 v[98:99], s[20:21], v[119:120], v[119:120], v[117:118]
	v_rcp_f64_e32 v[100:101], v[98:99]
	v_fma_f64 v[102:103], -v[98:99], v[100:101], 1.0
	v_fma_f64 v[100:101], v[100:101], v[102:103], v[100:101]
	v_div_scale_f64 v[102:103], vcc, v[117:118], v[119:120], v[117:118]
	v_fma_f64 v[104:105], -v[98:99], v[100:101], 1.0
	v_fma_f64 v[100:101], v[100:101], v[104:105], v[100:101]
	v_mul_f64 v[104:105], v[102:103], v[100:101]
	v_fma_f64 v[98:99], -v[98:99], v[104:105], v[102:103]
	v_div_fmas_f64 v[98:99], v[98:99], v[100:101], v[104:105]
	v_div_fixup_f64 v[98:99], v[98:99], v[119:120], v[117:118]
	v_fma_f64 v[100:101], v[117:118], v[98:99], v[119:120]
	v_div_scale_f64 v[102:103], s[20:21], v[100:101], v[100:101], 1.0
	v_div_scale_f64 v[108:109], vcc, 1.0, v[100:101], 1.0
	v_rcp_f64_e32 v[104:105], v[102:103]
	v_fma_f64 v[106:107], -v[102:103], v[104:105], 1.0
	v_fma_f64 v[104:105], v[104:105], v[106:107], v[104:105]
	v_fma_f64 v[106:107], -v[102:103], v[104:105], 1.0
	v_fma_f64 v[104:105], v[104:105], v[106:107], v[104:105]
	v_mul_f64 v[106:107], v[108:109], v[104:105]
	v_fma_f64 v[102:103], -v[102:103], v[106:107], v[108:109]
	v_div_fmas_f64 v[102:103], v[102:103], v[104:105], v[106:107]
	v_div_fixup_f64 v[119:120], v[102:103], v[100:101], 1.0
	v_mul_f64 v[117:118], v[98:99], v[119:120]
	v_xor_b32_e32 v120, 0x80000000, v120
.LBB80_259:
	s_andn2_saveexec_b64 s[18:19], s[18:19]
	s_cbranch_execz .LBB80_261
; %bb.260:
	v_div_scale_f64 v[98:99], s[20:21], v[117:118], v[117:118], v[119:120]
	v_rcp_f64_e32 v[100:101], v[98:99]
	v_fma_f64 v[102:103], -v[98:99], v[100:101], 1.0
	v_fma_f64 v[100:101], v[100:101], v[102:103], v[100:101]
	v_div_scale_f64 v[102:103], vcc, v[119:120], v[117:118], v[119:120]
	v_fma_f64 v[104:105], -v[98:99], v[100:101], 1.0
	v_fma_f64 v[100:101], v[100:101], v[104:105], v[100:101]
	v_mul_f64 v[104:105], v[102:103], v[100:101]
	v_fma_f64 v[98:99], -v[98:99], v[104:105], v[102:103]
	v_div_fmas_f64 v[98:99], v[98:99], v[100:101], v[104:105]
	v_div_fixup_f64 v[98:99], v[98:99], v[117:118], v[119:120]
	v_fma_f64 v[100:101], v[119:120], v[98:99], v[117:118]
	v_div_scale_f64 v[102:103], s[20:21], v[100:101], v[100:101], 1.0
	v_div_scale_f64 v[108:109], vcc, 1.0, v[100:101], 1.0
	v_rcp_f64_e32 v[104:105], v[102:103]
	v_fma_f64 v[106:107], -v[102:103], v[104:105], 1.0
	v_fma_f64 v[104:105], v[104:105], v[106:107], v[104:105]
	v_fma_f64 v[106:107], -v[102:103], v[104:105], 1.0
	v_fma_f64 v[104:105], v[104:105], v[106:107], v[104:105]
	v_mul_f64 v[106:107], v[108:109], v[104:105]
	v_fma_f64 v[102:103], -v[102:103], v[106:107], v[108:109]
	v_div_fmas_f64 v[102:103], v[102:103], v[104:105], v[106:107]
	v_div_fixup_f64 v[117:118], v[102:103], v[100:101], 1.0
	v_mul_f64 v[119:120], v[98:99], -v[117:118]
.LBB80_261:
	s_or_b64 exec, exec, s[18:19]
.LBB80_262:
	s_or_b64 exec, exec, s[0:1]
	v_cmp_ne_u32_e32 vcc, v96, v97
	s_and_saveexec_b64 s[0:1], vcc
	s_xor_b64 s[0:1], exec, s[0:1]
	s_cbranch_execz .LBB80_268
; %bb.263:
	v_cmp_eq_u32_e32 vcc, 12, v96
	s_and_saveexec_b64 s[18:19], vcc
	s_cbranch_execz .LBB80_267
; %bb.264:
	v_cmp_ne_u32_e32 vcc, 12, v97
	s_xor_b64 s[20:21], s[6:7], -1
	s_and_b64 s[22:23], s[20:21], vcc
	s_and_saveexec_b64 s[20:21], s[22:23]
	s_cbranch_execz .LBB80_266
; %bb.265:
	v_ashrrev_i32_e32 v98, 31, v97
	v_lshlrev_b64 v[98:99], 2, v[97:98]
	v_add_co_u32_e32 v98, vcc, v91, v98
	v_addc_co_u32_e32 v99, vcc, v92, v99, vcc
	global_load_dword v0, v[98:99], off
	global_load_dword v96, v[91:92], off offset:48
	s_waitcnt vmcnt(1)
	global_store_dword v[91:92], v0, off offset:48
	s_waitcnt vmcnt(1)
	global_store_dword v[98:99], v96, off
.LBB80_266:
	s_or_b64 exec, exec, s[20:21]
	v_mov_b32_e32 v96, v97
	v_mov_b32_e32 v0, v97
.LBB80_267:
	s_or_b64 exec, exec, s[18:19]
.LBB80_268:
	s_andn2_saveexec_b64 s[0:1], s[0:1]
	s_cbranch_execz .LBB80_270
; %bb.269:
	buffer_load_dword v96, off, s[24:27], 0 offset:64 ; 4-byte Folded Reload
	buffer_load_dword v97, off, s[24:27], 0 offset:68 ; 4-byte Folded Reload
	buffer_load_dword v98, off, s[24:27], 0 offset:72 ; 4-byte Folded Reload
	buffer_load_dword v99, off, s[24:27], 0 offset:76 ; 4-byte Folded Reload
	s_waitcnt vmcnt(0)
	ds_write2_b64 v94, v[96:97], v[98:99] offset0:26 offset1:27
	buffer_load_dword v96, off, s[24:27], 0 offset:48 ; 4-byte Folded Reload
	buffer_load_dword v97, off, s[24:27], 0 offset:52 ; 4-byte Folded Reload
	buffer_load_dword v98, off, s[24:27], 0 offset:56 ; 4-byte Folded Reload
	buffer_load_dword v99, off, s[24:27], 0 offset:60 ; 4-byte Folded Reload
	s_waitcnt vmcnt(0)
	ds_write2_b64 v94, v[96:97], v[98:99] offset0:28 offset1:29
	buffer_load_dword v96, off, s[24:27], 0 offset:32 ; 4-byte Folded Reload
	buffer_load_dword v97, off, s[24:27], 0 offset:36 ; 4-byte Folded Reload
	buffer_load_dword v98, off, s[24:27], 0 offset:40 ; 4-byte Folded Reload
	buffer_load_dword v99, off, s[24:27], 0 offset:44 ; 4-byte Folded Reload
	s_waitcnt vmcnt(0)
	ds_write2_b64 v94, v[96:97], v[98:99] offset0:30 offset1:31
	buffer_load_dword v96, off, s[24:27], 0 offset:16 ; 4-byte Folded Reload
	buffer_load_dword v97, off, s[24:27], 0 offset:20 ; 4-byte Folded Reload
	buffer_load_dword v98, off, s[24:27], 0 offset:24 ; 4-byte Folded Reload
	buffer_load_dword v99, off, s[24:27], 0 offset:28 ; 4-byte Folded Reload
	s_waitcnt vmcnt(0)
	ds_write2_b64 v94, v[96:97], v[98:99] offset0:32 offset1:33
	buffer_load_dword v96, off, s[24:27], 0 ; 4-byte Folded Reload
	buffer_load_dword v97, off, s[24:27], 0 offset:4 ; 4-byte Folded Reload
	buffer_load_dword v98, off, s[24:27], 0 offset:8 ; 4-byte Folded Reload
	;; [unrolled: 1-line block ×3, first 2 shown]
	s_waitcnt vmcnt(0)
	ds_write2_b64 v94, v[96:97], v[98:99] offset0:34 offset1:35
	ds_write2_b64 v94, v[85:86], v[87:88] offset0:36 offset1:37
	;; [unrolled: 1-line block ×24, first 2 shown]
	v_mov_b32_e32 v96, 12
.LBB80_270:
	s_or_b64 exec, exec, s[0:1]
	v_cmp_lt_i32_e32 vcc, 12, v96
	s_waitcnt vmcnt(0) lgkmcnt(0)
	s_barrier
	s_and_saveexec_b64 s[0:1], vcc
	s_cbranch_execz .LBB80_272
; %bb.271:
	buffer_load_dword v105, off, s[24:27], 0 offset:80 ; 4-byte Folded Reload
	buffer_load_dword v106, off, s[24:27], 0 offset:84 ; 4-byte Folded Reload
	;; [unrolled: 1-line block ×4, first 2 shown]
	s_waitcnt vmcnt(0)
	v_mul_f64 v[97:98], v[119:120], v[107:108]
	v_fma_f64 v[125:126], v[117:118], v[105:106], -v[97:98]
	v_mul_f64 v[97:98], v[117:118], v[107:108]
	v_fma_f64 v[107:108], v[119:120], v[105:106], v[97:98]
	ds_read2_b64 v[97:100], v94 offset0:26 offset1:27
	buffer_load_dword v103, off, s[24:27], 0 offset:64 ; 4-byte Folded Reload
	buffer_load_dword v104, off, s[24:27], 0 offset:68 ; 4-byte Folded Reload
	buffer_load_dword v105, off, s[24:27], 0 offset:72 ; 4-byte Folded Reload
	buffer_load_dword v106, off, s[24:27], 0 offset:76 ; 4-byte Folded Reload
	s_waitcnt lgkmcnt(0)
	v_mul_f64 v[101:102], v[99:100], v[107:108]
	v_fma_f64 v[101:102], v[97:98], v[125:126], -v[101:102]
	v_mul_f64 v[97:98], v[97:98], v[107:108]
	v_fma_f64 v[97:98], v[99:100], v[125:126], v[97:98]
	s_waitcnt vmcnt(2)
	v_add_f64 v[103:104], v[103:104], -v[101:102]
	s_waitcnt vmcnt(0)
	v_add_f64 v[105:106], v[105:106], -v[97:98]
	buffer_store_dword v103, off, s[24:27], 0 offset:64 ; 4-byte Folded Spill
	s_nop 0
	buffer_store_dword v104, off, s[24:27], 0 offset:68 ; 4-byte Folded Spill
	buffer_store_dword v105, off, s[24:27], 0 offset:72 ; 4-byte Folded Spill
	buffer_store_dword v106, off, s[24:27], 0 offset:76 ; 4-byte Folded Spill
	ds_read2_b64 v[97:100], v94 offset0:28 offset1:29
	buffer_load_dword v103, off, s[24:27], 0 offset:48 ; 4-byte Folded Reload
	buffer_load_dword v104, off, s[24:27], 0 offset:52 ; 4-byte Folded Reload
	buffer_load_dword v105, off, s[24:27], 0 offset:56 ; 4-byte Folded Reload
	buffer_load_dword v106, off, s[24:27], 0 offset:60 ; 4-byte Folded Reload
	s_waitcnt lgkmcnt(0)
	v_mul_f64 v[101:102], v[99:100], v[107:108]
	v_fma_f64 v[101:102], v[97:98], v[125:126], -v[101:102]
	v_mul_f64 v[97:98], v[97:98], v[107:108]
	v_fma_f64 v[97:98], v[99:100], v[125:126], v[97:98]
	s_waitcnt vmcnt(2)
	v_add_f64 v[103:104], v[103:104], -v[101:102]
	s_waitcnt vmcnt(0)
	v_add_f64 v[105:106], v[105:106], -v[97:98]
	buffer_store_dword v103, off, s[24:27], 0 offset:48 ; 4-byte Folded Spill
	s_nop 0
	buffer_store_dword v104, off, s[24:27], 0 offset:52 ; 4-byte Folded Spill
	buffer_store_dword v105, off, s[24:27], 0 offset:56 ; 4-byte Folded Spill
	buffer_store_dword v106, off, s[24:27], 0 offset:60 ; 4-byte Folded Spill
	;; [unrolled: 19-line block ×4, first 2 shown]
	ds_read2_b64 v[97:100], v94 offset0:34 offset1:35
	buffer_load_dword v103, off, s[24:27], 0 ; 4-byte Folded Reload
	buffer_load_dword v104, off, s[24:27], 0 offset:4 ; 4-byte Folded Reload
	buffer_load_dword v105, off, s[24:27], 0 offset:8 ; 4-byte Folded Reload
	;; [unrolled: 1-line block ×3, first 2 shown]
	s_waitcnt lgkmcnt(0)
	v_mul_f64 v[101:102], v[99:100], v[107:108]
	v_fma_f64 v[101:102], v[97:98], v[125:126], -v[101:102]
	v_mul_f64 v[97:98], v[97:98], v[107:108]
	v_fma_f64 v[97:98], v[99:100], v[125:126], v[97:98]
	s_waitcnt vmcnt(2)
	v_add_f64 v[103:104], v[103:104], -v[101:102]
	s_waitcnt vmcnt(0)
	v_add_f64 v[105:106], v[105:106], -v[97:98]
	buffer_store_dword v103, off, s[24:27], 0 ; 4-byte Folded Spill
	s_nop 0
	buffer_store_dword v104, off, s[24:27], 0 offset:4 ; 4-byte Folded Spill
	buffer_store_dword v105, off, s[24:27], 0 offset:8 ; 4-byte Folded Spill
	;; [unrolled: 1-line block ×3, first 2 shown]
	ds_read2_b64 v[97:100], v94 offset0:36 offset1:37
	v_mov_b32_e32 v105, v125
	v_mov_b32_e32 v106, v126
	s_waitcnt lgkmcnt(0)
	v_mul_f64 v[101:102], v[99:100], v[107:108]
	v_fma_f64 v[101:102], v[97:98], v[125:126], -v[101:102]
	v_mul_f64 v[97:98], v[97:98], v[107:108]
	v_add_f64 v[85:86], v[85:86], -v[101:102]
	v_fma_f64 v[97:98], v[99:100], v[125:126], v[97:98]
	v_add_f64 v[87:88], v[87:88], -v[97:98]
	ds_read2_b64 v[97:100], v94 offset0:38 offset1:39
	s_waitcnt lgkmcnt(0)
	v_mul_f64 v[101:102], v[99:100], v[107:108]
	v_fma_f64 v[101:102], v[97:98], v[125:126], -v[101:102]
	v_mul_f64 v[97:98], v[97:98], v[107:108]
	v_add_f64 v[81:82], v[81:82], -v[101:102]
	v_fma_f64 v[97:98], v[99:100], v[125:126], v[97:98]
	v_add_f64 v[83:84], v[83:84], -v[97:98]
	ds_read2_b64 v[97:100], v94 offset0:40 offset1:41
	;; [unrolled: 8-line block ×22, first 2 shown]
	s_waitcnt lgkmcnt(0)
	v_mul_f64 v[101:102], v[99:100], v[107:108]
	v_fma_f64 v[101:102], v[97:98], v[125:126], -v[101:102]
	v_mul_f64 v[97:98], v[97:98], v[107:108]
	buffer_store_dword v105, off, s[24:27], 0 offset:80 ; 4-byte Folded Spill
	s_nop 0
	buffer_store_dword v106, off, s[24:27], 0 offset:84 ; 4-byte Folded Spill
	buffer_store_dword v107, off, s[24:27], 0 offset:88 ; 4-byte Folded Spill
	;; [unrolled: 1-line block ×3, first 2 shown]
	v_add_f64 v[121:122], v[121:122], -v[101:102]
	v_fma_f64 v[97:98], v[99:100], v[125:126], v[97:98]
	v_add_f64 v[123:124], v[123:124], -v[97:98]
.LBB80_272:
	s_or_b64 exec, exec, s[0:1]
	s_waitcnt vmcnt(0)
	s_barrier
	buffer_load_dword v98, off, s[24:27], 0 offset:64 ; 4-byte Folded Reload
	buffer_load_dword v99, off, s[24:27], 0 offset:68 ; 4-byte Folded Reload
	;; [unrolled: 1-line block ×4, first 2 shown]
	v_lshl_add_u32 v97, v96, 4, v94
	s_cmp_lt_i32 s3, 15
	s_waitcnt vmcnt(0)
	ds_write2_b64 v97, v[98:99], v[100:101] offset1:1
	s_waitcnt lgkmcnt(0)
	s_barrier
	ds_read2_b64 v[117:120], v94 offset0:26 offset1:27
	v_mov_b32_e32 v97, 13
	s_cbranch_scc1 .LBB80_275
; %bb.273:
	v_add_u32_e32 v98, 0xe0, v94
	s_mov_b32 s0, 14
	v_mov_b32_e32 v97, 13
.LBB80_274:                             ; =>This Inner Loop Header: Depth=1
	s_waitcnt lgkmcnt(0)
	v_cmp_gt_f64_e32 vcc, 0, v[117:118]
	v_xor_b32_e32 v103, 0x80000000, v118
	ds_read2_b64 v[99:102], v98 offset1:1
	v_xor_b32_e32 v105, 0x80000000, v120
	v_add_u32_e32 v98, 16, v98
	s_waitcnt lgkmcnt(0)
	v_xor_b32_e32 v107, 0x80000000, v102
	v_cndmask_b32_e32 v104, v118, v103, vcc
	v_cmp_gt_f64_e32 vcc, 0, v[119:120]
	v_mov_b32_e32 v103, v117
	v_cndmask_b32_e32 v106, v120, v105, vcc
	v_cmp_gt_f64_e32 vcc, 0, v[99:100]
	v_mov_b32_e32 v105, v119
	v_add_f64 v[103:104], v[103:104], v[105:106]
	v_xor_b32_e32 v105, 0x80000000, v100
	v_cndmask_b32_e32 v106, v100, v105, vcc
	v_cmp_gt_f64_e32 vcc, 0, v[101:102]
	v_mov_b32_e32 v105, v99
	v_cndmask_b32_e32 v108, v102, v107, vcc
	v_mov_b32_e32 v107, v101
	v_add_f64 v[105:106], v[105:106], v[107:108]
	v_cmp_lt_f64_e32 vcc, v[103:104], v[105:106]
	v_cndmask_b32_e32 v117, v117, v99, vcc
	v_mov_b32_e32 v99, s0
	s_add_i32 s0, s0, 1
	v_cndmask_b32_e32 v118, v118, v100, vcc
	v_cndmask_b32_e32 v120, v120, v102, vcc
	;; [unrolled: 1-line block ×4, first 2 shown]
	s_cmp_lg_u32 s3, s0
	s_cbranch_scc1 .LBB80_274
.LBB80_275:
	s_waitcnt lgkmcnt(0)
	v_cmp_eq_f64_e32 vcc, 0, v[117:118]
	v_cmp_eq_f64_e64 s[0:1], 0, v[119:120]
	s_and_b64 s[0:1], vcc, s[0:1]
	s_and_saveexec_b64 s[18:19], s[0:1]
	s_xor_b64 s[0:1], exec, s[18:19]
; %bb.276:
	v_cmp_ne_u32_e32 vcc, 0, v95
	v_cndmask_b32_e32 v95, 14, v95, vcc
; %bb.277:
	s_andn2_saveexec_b64 s[0:1], s[0:1]
	s_cbranch_execz .LBB80_283
; %bb.278:
	v_cmp_ngt_f64_e64 s[18:19], |v[117:118]|, |v[119:120]|
	s_and_saveexec_b64 s[20:21], s[18:19]
	s_xor_b64 s[18:19], exec, s[20:21]
	s_cbranch_execz .LBB80_280
; %bb.279:
	v_div_scale_f64 v[98:99], s[20:21], v[119:120], v[119:120], v[117:118]
	v_rcp_f64_e32 v[100:101], v[98:99]
	v_fma_f64 v[102:103], -v[98:99], v[100:101], 1.0
	v_fma_f64 v[100:101], v[100:101], v[102:103], v[100:101]
	v_div_scale_f64 v[102:103], vcc, v[117:118], v[119:120], v[117:118]
	v_fma_f64 v[104:105], -v[98:99], v[100:101], 1.0
	v_fma_f64 v[100:101], v[100:101], v[104:105], v[100:101]
	v_mul_f64 v[104:105], v[102:103], v[100:101]
	v_fma_f64 v[98:99], -v[98:99], v[104:105], v[102:103]
	v_div_fmas_f64 v[98:99], v[98:99], v[100:101], v[104:105]
	v_div_fixup_f64 v[98:99], v[98:99], v[119:120], v[117:118]
	v_fma_f64 v[100:101], v[117:118], v[98:99], v[119:120]
	v_div_scale_f64 v[102:103], s[20:21], v[100:101], v[100:101], 1.0
	v_div_scale_f64 v[108:109], vcc, 1.0, v[100:101], 1.0
	v_rcp_f64_e32 v[104:105], v[102:103]
	v_fma_f64 v[106:107], -v[102:103], v[104:105], 1.0
	v_fma_f64 v[104:105], v[104:105], v[106:107], v[104:105]
	v_fma_f64 v[106:107], -v[102:103], v[104:105], 1.0
	v_fma_f64 v[104:105], v[104:105], v[106:107], v[104:105]
	v_mul_f64 v[106:107], v[108:109], v[104:105]
	v_fma_f64 v[102:103], -v[102:103], v[106:107], v[108:109]
	v_div_fmas_f64 v[102:103], v[102:103], v[104:105], v[106:107]
	v_div_fixup_f64 v[119:120], v[102:103], v[100:101], 1.0
	v_mul_f64 v[117:118], v[98:99], v[119:120]
	v_xor_b32_e32 v120, 0x80000000, v120
.LBB80_280:
	s_andn2_saveexec_b64 s[18:19], s[18:19]
	s_cbranch_execz .LBB80_282
; %bb.281:
	v_div_scale_f64 v[98:99], s[20:21], v[117:118], v[117:118], v[119:120]
	v_rcp_f64_e32 v[100:101], v[98:99]
	v_fma_f64 v[102:103], -v[98:99], v[100:101], 1.0
	v_fma_f64 v[100:101], v[100:101], v[102:103], v[100:101]
	v_div_scale_f64 v[102:103], vcc, v[119:120], v[117:118], v[119:120]
	v_fma_f64 v[104:105], -v[98:99], v[100:101], 1.0
	v_fma_f64 v[100:101], v[100:101], v[104:105], v[100:101]
	v_mul_f64 v[104:105], v[102:103], v[100:101]
	v_fma_f64 v[98:99], -v[98:99], v[104:105], v[102:103]
	v_div_fmas_f64 v[98:99], v[98:99], v[100:101], v[104:105]
	v_div_fixup_f64 v[98:99], v[98:99], v[117:118], v[119:120]
	v_fma_f64 v[100:101], v[119:120], v[98:99], v[117:118]
	v_div_scale_f64 v[102:103], s[20:21], v[100:101], v[100:101], 1.0
	v_div_scale_f64 v[108:109], vcc, 1.0, v[100:101], 1.0
	v_rcp_f64_e32 v[104:105], v[102:103]
	v_fma_f64 v[106:107], -v[102:103], v[104:105], 1.0
	v_fma_f64 v[104:105], v[104:105], v[106:107], v[104:105]
	v_fma_f64 v[106:107], -v[102:103], v[104:105], 1.0
	v_fma_f64 v[104:105], v[104:105], v[106:107], v[104:105]
	v_mul_f64 v[106:107], v[108:109], v[104:105]
	v_fma_f64 v[102:103], -v[102:103], v[106:107], v[108:109]
	v_div_fmas_f64 v[102:103], v[102:103], v[104:105], v[106:107]
	v_div_fixup_f64 v[117:118], v[102:103], v[100:101], 1.0
	v_mul_f64 v[119:120], v[98:99], -v[117:118]
.LBB80_282:
	s_or_b64 exec, exec, s[18:19]
.LBB80_283:
	s_or_b64 exec, exec, s[0:1]
	v_cmp_ne_u32_e32 vcc, v96, v97
	s_and_saveexec_b64 s[0:1], vcc
	s_xor_b64 s[0:1], exec, s[0:1]
	s_cbranch_execz .LBB80_289
; %bb.284:
	v_cmp_eq_u32_e32 vcc, 13, v96
	s_and_saveexec_b64 s[18:19], vcc
	s_cbranch_execz .LBB80_288
; %bb.285:
	v_cmp_ne_u32_e32 vcc, 13, v97
	s_xor_b64 s[20:21], s[6:7], -1
	s_and_b64 s[22:23], s[20:21], vcc
	s_and_saveexec_b64 s[20:21], s[22:23]
	s_cbranch_execz .LBB80_287
; %bb.286:
	v_ashrrev_i32_e32 v98, 31, v97
	v_lshlrev_b64 v[98:99], 2, v[97:98]
	v_add_co_u32_e32 v98, vcc, v91, v98
	v_addc_co_u32_e32 v99, vcc, v92, v99, vcc
	global_load_dword v0, v[98:99], off
	global_load_dword v96, v[91:92], off offset:52
	s_waitcnt vmcnt(1)
	global_store_dword v[91:92], v0, off offset:52
	s_waitcnt vmcnt(1)
	global_store_dword v[98:99], v96, off
.LBB80_287:
	s_or_b64 exec, exec, s[20:21]
	v_mov_b32_e32 v96, v97
	v_mov_b32_e32 v0, v97
.LBB80_288:
	s_or_b64 exec, exec, s[18:19]
.LBB80_289:
	s_andn2_saveexec_b64 s[0:1], s[0:1]
	s_cbranch_execz .LBB80_291
; %bb.290:
	buffer_load_dword v96, off, s[24:27], 0 offset:48 ; 4-byte Folded Reload
	buffer_load_dword v97, off, s[24:27], 0 offset:52 ; 4-byte Folded Reload
	buffer_load_dword v98, off, s[24:27], 0 offset:56 ; 4-byte Folded Reload
	buffer_load_dword v99, off, s[24:27], 0 offset:60 ; 4-byte Folded Reload
	s_waitcnt vmcnt(0)
	ds_write2_b64 v94, v[96:97], v[98:99] offset0:28 offset1:29
	buffer_load_dword v96, off, s[24:27], 0 offset:32 ; 4-byte Folded Reload
	buffer_load_dword v97, off, s[24:27], 0 offset:36 ; 4-byte Folded Reload
	buffer_load_dword v98, off, s[24:27], 0 offset:40 ; 4-byte Folded Reload
	buffer_load_dword v99, off, s[24:27], 0 offset:44 ; 4-byte Folded Reload
	s_waitcnt vmcnt(0)
	ds_write2_b64 v94, v[96:97], v[98:99] offset0:30 offset1:31
	;; [unrolled: 6-line block ×3, first 2 shown]
	buffer_load_dword v96, off, s[24:27], 0 ; 4-byte Folded Reload
	buffer_load_dword v97, off, s[24:27], 0 offset:4 ; 4-byte Folded Reload
	buffer_load_dword v98, off, s[24:27], 0 offset:8 ; 4-byte Folded Reload
	;; [unrolled: 1-line block ×3, first 2 shown]
	s_waitcnt vmcnt(0)
	ds_write2_b64 v94, v[96:97], v[98:99] offset0:34 offset1:35
	ds_write2_b64 v94, v[85:86], v[87:88] offset0:36 offset1:37
	;; [unrolled: 1-line block ×24, first 2 shown]
	v_mov_b32_e32 v96, 13
.LBB80_291:
	s_or_b64 exec, exec, s[0:1]
	v_cmp_lt_i32_e32 vcc, 13, v96
	s_waitcnt vmcnt(0) lgkmcnt(0)
	s_barrier
	s_and_saveexec_b64 s[0:1], vcc
	s_cbranch_execz .LBB80_293
; %bb.292:
	buffer_load_dword v105, off, s[24:27], 0 offset:64 ; 4-byte Folded Reload
	buffer_load_dword v106, off, s[24:27], 0 offset:68 ; 4-byte Folded Reload
	;; [unrolled: 1-line block ×4, first 2 shown]
	s_waitcnt vmcnt(0)
	v_mul_f64 v[97:98], v[119:120], v[107:108]
	v_fma_f64 v[125:126], v[117:118], v[105:106], -v[97:98]
	v_mul_f64 v[97:98], v[117:118], v[107:108]
	v_fma_f64 v[107:108], v[119:120], v[105:106], v[97:98]
	ds_read2_b64 v[97:100], v94 offset0:28 offset1:29
	buffer_load_dword v103, off, s[24:27], 0 offset:48 ; 4-byte Folded Reload
	buffer_load_dword v104, off, s[24:27], 0 offset:52 ; 4-byte Folded Reload
	buffer_load_dword v105, off, s[24:27], 0 offset:56 ; 4-byte Folded Reload
	buffer_load_dword v106, off, s[24:27], 0 offset:60 ; 4-byte Folded Reload
	s_waitcnt lgkmcnt(0)
	v_mul_f64 v[101:102], v[99:100], v[107:108]
	v_fma_f64 v[101:102], v[97:98], v[125:126], -v[101:102]
	v_mul_f64 v[97:98], v[97:98], v[107:108]
	v_fma_f64 v[97:98], v[99:100], v[125:126], v[97:98]
	s_waitcnt vmcnt(2)
	v_add_f64 v[103:104], v[103:104], -v[101:102]
	s_waitcnt vmcnt(0)
	v_add_f64 v[105:106], v[105:106], -v[97:98]
	buffer_store_dword v103, off, s[24:27], 0 offset:48 ; 4-byte Folded Spill
	s_nop 0
	buffer_store_dword v104, off, s[24:27], 0 offset:52 ; 4-byte Folded Spill
	buffer_store_dword v105, off, s[24:27], 0 offset:56 ; 4-byte Folded Spill
	buffer_store_dword v106, off, s[24:27], 0 offset:60 ; 4-byte Folded Spill
	ds_read2_b64 v[97:100], v94 offset0:30 offset1:31
	buffer_load_dword v103, off, s[24:27], 0 offset:32 ; 4-byte Folded Reload
	buffer_load_dword v104, off, s[24:27], 0 offset:36 ; 4-byte Folded Reload
	buffer_load_dword v105, off, s[24:27], 0 offset:40 ; 4-byte Folded Reload
	buffer_load_dword v106, off, s[24:27], 0 offset:44 ; 4-byte Folded Reload
	s_waitcnt lgkmcnt(0)
	v_mul_f64 v[101:102], v[99:100], v[107:108]
	v_fma_f64 v[101:102], v[97:98], v[125:126], -v[101:102]
	v_mul_f64 v[97:98], v[97:98], v[107:108]
	v_fma_f64 v[97:98], v[99:100], v[125:126], v[97:98]
	s_waitcnt vmcnt(2)
	v_add_f64 v[103:104], v[103:104], -v[101:102]
	s_waitcnt vmcnt(0)
	v_add_f64 v[105:106], v[105:106], -v[97:98]
	buffer_store_dword v103, off, s[24:27], 0 offset:32 ; 4-byte Folded Spill
	s_nop 0
	buffer_store_dword v104, off, s[24:27], 0 offset:36 ; 4-byte Folded Spill
	buffer_store_dword v105, off, s[24:27], 0 offset:40 ; 4-byte Folded Spill
	buffer_store_dword v106, off, s[24:27], 0 offset:44 ; 4-byte Folded Spill
	;; [unrolled: 19-line block ×3, first 2 shown]
	ds_read2_b64 v[97:100], v94 offset0:34 offset1:35
	buffer_load_dword v103, off, s[24:27], 0 ; 4-byte Folded Reload
	buffer_load_dword v104, off, s[24:27], 0 offset:4 ; 4-byte Folded Reload
	buffer_load_dword v105, off, s[24:27], 0 offset:8 ; 4-byte Folded Reload
	;; [unrolled: 1-line block ×3, first 2 shown]
	s_waitcnt lgkmcnt(0)
	v_mul_f64 v[101:102], v[99:100], v[107:108]
	v_fma_f64 v[101:102], v[97:98], v[125:126], -v[101:102]
	v_mul_f64 v[97:98], v[97:98], v[107:108]
	v_fma_f64 v[97:98], v[99:100], v[125:126], v[97:98]
	s_waitcnt vmcnt(2)
	v_add_f64 v[103:104], v[103:104], -v[101:102]
	s_waitcnt vmcnt(0)
	v_add_f64 v[105:106], v[105:106], -v[97:98]
	buffer_store_dword v103, off, s[24:27], 0 ; 4-byte Folded Spill
	s_nop 0
	buffer_store_dword v104, off, s[24:27], 0 offset:4 ; 4-byte Folded Spill
	buffer_store_dword v105, off, s[24:27], 0 offset:8 ; 4-byte Folded Spill
	;; [unrolled: 1-line block ×3, first 2 shown]
	ds_read2_b64 v[97:100], v94 offset0:36 offset1:37
	v_mov_b32_e32 v105, v125
	v_mov_b32_e32 v106, v126
	s_waitcnt lgkmcnt(0)
	v_mul_f64 v[101:102], v[99:100], v[107:108]
	v_fma_f64 v[101:102], v[97:98], v[125:126], -v[101:102]
	v_mul_f64 v[97:98], v[97:98], v[107:108]
	v_add_f64 v[85:86], v[85:86], -v[101:102]
	v_fma_f64 v[97:98], v[99:100], v[125:126], v[97:98]
	v_add_f64 v[87:88], v[87:88], -v[97:98]
	ds_read2_b64 v[97:100], v94 offset0:38 offset1:39
	s_waitcnt lgkmcnt(0)
	v_mul_f64 v[101:102], v[99:100], v[107:108]
	v_fma_f64 v[101:102], v[97:98], v[125:126], -v[101:102]
	v_mul_f64 v[97:98], v[97:98], v[107:108]
	v_add_f64 v[81:82], v[81:82], -v[101:102]
	v_fma_f64 v[97:98], v[99:100], v[125:126], v[97:98]
	v_add_f64 v[83:84], v[83:84], -v[97:98]
	ds_read2_b64 v[97:100], v94 offset0:40 offset1:41
	;; [unrolled: 8-line block ×22, first 2 shown]
	s_waitcnt lgkmcnt(0)
	v_mul_f64 v[101:102], v[99:100], v[107:108]
	v_fma_f64 v[101:102], v[97:98], v[125:126], -v[101:102]
	v_mul_f64 v[97:98], v[97:98], v[107:108]
	buffer_store_dword v105, off, s[24:27], 0 offset:64 ; 4-byte Folded Spill
	s_nop 0
	buffer_store_dword v106, off, s[24:27], 0 offset:68 ; 4-byte Folded Spill
	buffer_store_dword v107, off, s[24:27], 0 offset:72 ; 4-byte Folded Spill
	;; [unrolled: 1-line block ×3, first 2 shown]
	v_add_f64 v[121:122], v[121:122], -v[101:102]
	v_fma_f64 v[97:98], v[99:100], v[125:126], v[97:98]
	v_add_f64 v[123:124], v[123:124], -v[97:98]
.LBB80_293:
	s_or_b64 exec, exec, s[0:1]
	s_waitcnt vmcnt(0)
	s_barrier
	buffer_load_dword v98, off, s[24:27], 0 offset:48 ; 4-byte Folded Reload
	buffer_load_dword v99, off, s[24:27], 0 offset:52 ; 4-byte Folded Reload
	;; [unrolled: 1-line block ×4, first 2 shown]
	v_lshl_add_u32 v97, v96, 4, v94
	s_cmp_lt_i32 s3, 16
	s_waitcnt vmcnt(0)
	ds_write2_b64 v97, v[98:99], v[100:101] offset1:1
	s_waitcnt lgkmcnt(0)
	s_barrier
	ds_read2_b64 v[117:120], v94 offset0:28 offset1:29
	v_mov_b32_e32 v97, 14
	s_cbranch_scc1 .LBB80_296
; %bb.294:
	v_add_u32_e32 v98, 0xf0, v94
	s_mov_b32 s0, 15
	v_mov_b32_e32 v97, 14
.LBB80_295:                             ; =>This Inner Loop Header: Depth=1
	s_waitcnt lgkmcnt(0)
	v_cmp_gt_f64_e32 vcc, 0, v[117:118]
	v_xor_b32_e32 v103, 0x80000000, v118
	ds_read2_b64 v[99:102], v98 offset1:1
	v_xor_b32_e32 v105, 0x80000000, v120
	v_add_u32_e32 v98, 16, v98
	s_waitcnt lgkmcnt(0)
	v_xor_b32_e32 v107, 0x80000000, v102
	v_cndmask_b32_e32 v104, v118, v103, vcc
	v_cmp_gt_f64_e32 vcc, 0, v[119:120]
	v_mov_b32_e32 v103, v117
	v_cndmask_b32_e32 v106, v120, v105, vcc
	v_cmp_gt_f64_e32 vcc, 0, v[99:100]
	v_mov_b32_e32 v105, v119
	v_add_f64 v[103:104], v[103:104], v[105:106]
	v_xor_b32_e32 v105, 0x80000000, v100
	v_cndmask_b32_e32 v106, v100, v105, vcc
	v_cmp_gt_f64_e32 vcc, 0, v[101:102]
	v_mov_b32_e32 v105, v99
	v_cndmask_b32_e32 v108, v102, v107, vcc
	v_mov_b32_e32 v107, v101
	v_add_f64 v[105:106], v[105:106], v[107:108]
	v_cmp_lt_f64_e32 vcc, v[103:104], v[105:106]
	v_cndmask_b32_e32 v117, v117, v99, vcc
	v_mov_b32_e32 v99, s0
	s_add_i32 s0, s0, 1
	v_cndmask_b32_e32 v118, v118, v100, vcc
	v_cndmask_b32_e32 v120, v120, v102, vcc
	;; [unrolled: 1-line block ×4, first 2 shown]
	s_cmp_lg_u32 s3, s0
	s_cbranch_scc1 .LBB80_295
.LBB80_296:
	s_waitcnt lgkmcnt(0)
	v_cmp_eq_f64_e32 vcc, 0, v[117:118]
	v_cmp_eq_f64_e64 s[0:1], 0, v[119:120]
	s_and_b64 s[0:1], vcc, s[0:1]
	s_and_saveexec_b64 s[18:19], s[0:1]
	s_xor_b64 s[0:1], exec, s[18:19]
; %bb.297:
	v_cmp_ne_u32_e32 vcc, 0, v95
	v_cndmask_b32_e32 v95, 15, v95, vcc
; %bb.298:
	s_andn2_saveexec_b64 s[0:1], s[0:1]
	s_cbranch_execz .LBB80_304
; %bb.299:
	v_cmp_ngt_f64_e64 s[18:19], |v[117:118]|, |v[119:120]|
	s_and_saveexec_b64 s[20:21], s[18:19]
	s_xor_b64 s[18:19], exec, s[20:21]
	s_cbranch_execz .LBB80_301
; %bb.300:
	v_div_scale_f64 v[98:99], s[20:21], v[119:120], v[119:120], v[117:118]
	v_rcp_f64_e32 v[100:101], v[98:99]
	v_fma_f64 v[102:103], -v[98:99], v[100:101], 1.0
	v_fma_f64 v[100:101], v[100:101], v[102:103], v[100:101]
	v_div_scale_f64 v[102:103], vcc, v[117:118], v[119:120], v[117:118]
	v_fma_f64 v[104:105], -v[98:99], v[100:101], 1.0
	v_fma_f64 v[100:101], v[100:101], v[104:105], v[100:101]
	v_mul_f64 v[104:105], v[102:103], v[100:101]
	v_fma_f64 v[98:99], -v[98:99], v[104:105], v[102:103]
	v_div_fmas_f64 v[98:99], v[98:99], v[100:101], v[104:105]
	v_div_fixup_f64 v[98:99], v[98:99], v[119:120], v[117:118]
	v_fma_f64 v[100:101], v[117:118], v[98:99], v[119:120]
	v_div_scale_f64 v[102:103], s[20:21], v[100:101], v[100:101], 1.0
	v_div_scale_f64 v[108:109], vcc, 1.0, v[100:101], 1.0
	v_rcp_f64_e32 v[104:105], v[102:103]
	v_fma_f64 v[106:107], -v[102:103], v[104:105], 1.0
	v_fma_f64 v[104:105], v[104:105], v[106:107], v[104:105]
	v_fma_f64 v[106:107], -v[102:103], v[104:105], 1.0
	v_fma_f64 v[104:105], v[104:105], v[106:107], v[104:105]
	v_mul_f64 v[106:107], v[108:109], v[104:105]
	v_fma_f64 v[102:103], -v[102:103], v[106:107], v[108:109]
	v_div_fmas_f64 v[102:103], v[102:103], v[104:105], v[106:107]
	v_div_fixup_f64 v[119:120], v[102:103], v[100:101], 1.0
	v_mul_f64 v[117:118], v[98:99], v[119:120]
	v_xor_b32_e32 v120, 0x80000000, v120
.LBB80_301:
	s_andn2_saveexec_b64 s[18:19], s[18:19]
	s_cbranch_execz .LBB80_303
; %bb.302:
	v_div_scale_f64 v[98:99], s[20:21], v[117:118], v[117:118], v[119:120]
	v_rcp_f64_e32 v[100:101], v[98:99]
	v_fma_f64 v[102:103], -v[98:99], v[100:101], 1.0
	v_fma_f64 v[100:101], v[100:101], v[102:103], v[100:101]
	v_div_scale_f64 v[102:103], vcc, v[119:120], v[117:118], v[119:120]
	v_fma_f64 v[104:105], -v[98:99], v[100:101], 1.0
	v_fma_f64 v[100:101], v[100:101], v[104:105], v[100:101]
	v_mul_f64 v[104:105], v[102:103], v[100:101]
	v_fma_f64 v[98:99], -v[98:99], v[104:105], v[102:103]
	v_div_fmas_f64 v[98:99], v[98:99], v[100:101], v[104:105]
	v_div_fixup_f64 v[98:99], v[98:99], v[117:118], v[119:120]
	v_fma_f64 v[100:101], v[119:120], v[98:99], v[117:118]
	v_div_scale_f64 v[102:103], s[20:21], v[100:101], v[100:101], 1.0
	v_div_scale_f64 v[108:109], vcc, 1.0, v[100:101], 1.0
	v_rcp_f64_e32 v[104:105], v[102:103]
	v_fma_f64 v[106:107], -v[102:103], v[104:105], 1.0
	v_fma_f64 v[104:105], v[104:105], v[106:107], v[104:105]
	v_fma_f64 v[106:107], -v[102:103], v[104:105], 1.0
	v_fma_f64 v[104:105], v[104:105], v[106:107], v[104:105]
	v_mul_f64 v[106:107], v[108:109], v[104:105]
	v_fma_f64 v[102:103], -v[102:103], v[106:107], v[108:109]
	v_div_fmas_f64 v[102:103], v[102:103], v[104:105], v[106:107]
	v_div_fixup_f64 v[117:118], v[102:103], v[100:101], 1.0
	v_mul_f64 v[119:120], v[98:99], -v[117:118]
.LBB80_303:
	s_or_b64 exec, exec, s[18:19]
.LBB80_304:
	s_or_b64 exec, exec, s[0:1]
	v_cmp_ne_u32_e32 vcc, v96, v97
	s_and_saveexec_b64 s[0:1], vcc
	s_xor_b64 s[0:1], exec, s[0:1]
	s_cbranch_execz .LBB80_310
; %bb.305:
	v_cmp_eq_u32_e32 vcc, 14, v96
	s_and_saveexec_b64 s[18:19], vcc
	s_cbranch_execz .LBB80_309
; %bb.306:
	v_cmp_ne_u32_e32 vcc, 14, v97
	s_xor_b64 s[20:21], s[6:7], -1
	s_and_b64 s[22:23], s[20:21], vcc
	s_and_saveexec_b64 s[20:21], s[22:23]
	s_cbranch_execz .LBB80_308
; %bb.307:
	v_ashrrev_i32_e32 v98, 31, v97
	v_lshlrev_b64 v[98:99], 2, v[97:98]
	v_add_co_u32_e32 v98, vcc, v91, v98
	v_addc_co_u32_e32 v99, vcc, v92, v99, vcc
	global_load_dword v0, v[98:99], off
	global_load_dword v96, v[91:92], off offset:56
	s_waitcnt vmcnt(1)
	global_store_dword v[91:92], v0, off offset:56
	s_waitcnt vmcnt(1)
	global_store_dword v[98:99], v96, off
.LBB80_308:
	s_or_b64 exec, exec, s[20:21]
	v_mov_b32_e32 v96, v97
	v_mov_b32_e32 v0, v97
.LBB80_309:
	s_or_b64 exec, exec, s[18:19]
.LBB80_310:
	s_andn2_saveexec_b64 s[0:1], s[0:1]
	s_cbranch_execz .LBB80_312
; %bb.311:
	buffer_load_dword v96, off, s[24:27], 0 offset:32 ; 4-byte Folded Reload
	buffer_load_dword v97, off, s[24:27], 0 offset:36 ; 4-byte Folded Reload
	;; [unrolled: 1-line block ×4, first 2 shown]
	s_waitcnt vmcnt(0)
	ds_write2_b64 v94, v[96:97], v[98:99] offset0:30 offset1:31
	buffer_load_dword v96, off, s[24:27], 0 offset:16 ; 4-byte Folded Reload
	buffer_load_dword v97, off, s[24:27], 0 offset:20 ; 4-byte Folded Reload
	buffer_load_dword v98, off, s[24:27], 0 offset:24 ; 4-byte Folded Reload
	buffer_load_dword v99, off, s[24:27], 0 offset:28 ; 4-byte Folded Reload
	s_waitcnt vmcnt(0)
	ds_write2_b64 v94, v[96:97], v[98:99] offset0:32 offset1:33
	buffer_load_dword v96, off, s[24:27], 0 ; 4-byte Folded Reload
	buffer_load_dword v97, off, s[24:27], 0 offset:4 ; 4-byte Folded Reload
	buffer_load_dword v98, off, s[24:27], 0 offset:8 ; 4-byte Folded Reload
	;; [unrolled: 1-line block ×3, first 2 shown]
	s_waitcnt vmcnt(0)
	ds_write2_b64 v94, v[96:97], v[98:99] offset0:34 offset1:35
	ds_write2_b64 v94, v[85:86], v[87:88] offset0:36 offset1:37
	;; [unrolled: 1-line block ×24, first 2 shown]
	v_mov_b32_e32 v96, 14
.LBB80_312:
	s_or_b64 exec, exec, s[0:1]
	v_cmp_lt_i32_e32 vcc, 14, v96
	s_waitcnt vmcnt(0) lgkmcnt(0)
	s_barrier
	s_and_saveexec_b64 s[0:1], vcc
	s_cbranch_execz .LBB80_314
; %bb.313:
	buffer_load_dword v105, off, s[24:27], 0 offset:48 ; 4-byte Folded Reload
	buffer_load_dword v106, off, s[24:27], 0 offset:52 ; 4-byte Folded Reload
	buffer_load_dword v107, off, s[24:27], 0 offset:56 ; 4-byte Folded Reload
	buffer_load_dword v108, off, s[24:27], 0 offset:60 ; 4-byte Folded Reload
	s_waitcnt vmcnt(0)
	v_mul_f64 v[97:98], v[119:120], v[107:108]
	v_fma_f64 v[125:126], v[117:118], v[105:106], -v[97:98]
	v_mul_f64 v[97:98], v[117:118], v[107:108]
	v_fma_f64 v[107:108], v[119:120], v[105:106], v[97:98]
	ds_read2_b64 v[97:100], v94 offset0:30 offset1:31
	buffer_load_dword v103, off, s[24:27], 0 offset:32 ; 4-byte Folded Reload
	buffer_load_dword v104, off, s[24:27], 0 offset:36 ; 4-byte Folded Reload
	;; [unrolled: 1-line block ×4, first 2 shown]
	s_waitcnt lgkmcnt(0)
	v_mul_f64 v[101:102], v[99:100], v[107:108]
	v_fma_f64 v[101:102], v[97:98], v[125:126], -v[101:102]
	v_mul_f64 v[97:98], v[97:98], v[107:108]
	v_fma_f64 v[97:98], v[99:100], v[125:126], v[97:98]
	s_waitcnt vmcnt(2)
	v_add_f64 v[103:104], v[103:104], -v[101:102]
	s_waitcnt vmcnt(0)
	v_add_f64 v[105:106], v[105:106], -v[97:98]
	buffer_store_dword v103, off, s[24:27], 0 offset:32 ; 4-byte Folded Spill
	s_nop 0
	buffer_store_dword v104, off, s[24:27], 0 offset:36 ; 4-byte Folded Spill
	buffer_store_dword v105, off, s[24:27], 0 offset:40 ; 4-byte Folded Spill
	;; [unrolled: 1-line block ×3, first 2 shown]
	ds_read2_b64 v[97:100], v94 offset0:32 offset1:33
	buffer_load_dword v103, off, s[24:27], 0 offset:16 ; 4-byte Folded Reload
	buffer_load_dword v104, off, s[24:27], 0 offset:20 ; 4-byte Folded Reload
	;; [unrolled: 1-line block ×4, first 2 shown]
	s_waitcnt lgkmcnt(0)
	v_mul_f64 v[101:102], v[99:100], v[107:108]
	v_fma_f64 v[101:102], v[97:98], v[125:126], -v[101:102]
	v_mul_f64 v[97:98], v[97:98], v[107:108]
	v_fma_f64 v[97:98], v[99:100], v[125:126], v[97:98]
	s_waitcnt vmcnt(2)
	v_add_f64 v[103:104], v[103:104], -v[101:102]
	s_waitcnt vmcnt(0)
	v_add_f64 v[105:106], v[105:106], -v[97:98]
	buffer_store_dword v103, off, s[24:27], 0 offset:16 ; 4-byte Folded Spill
	s_nop 0
	buffer_store_dword v104, off, s[24:27], 0 offset:20 ; 4-byte Folded Spill
	buffer_store_dword v105, off, s[24:27], 0 offset:24 ; 4-byte Folded Spill
	;; [unrolled: 1-line block ×3, first 2 shown]
	ds_read2_b64 v[97:100], v94 offset0:34 offset1:35
	buffer_load_dword v103, off, s[24:27], 0 ; 4-byte Folded Reload
	buffer_load_dword v104, off, s[24:27], 0 offset:4 ; 4-byte Folded Reload
	buffer_load_dword v105, off, s[24:27], 0 offset:8 ; 4-byte Folded Reload
	;; [unrolled: 1-line block ×3, first 2 shown]
	s_waitcnt lgkmcnt(0)
	v_mul_f64 v[101:102], v[99:100], v[107:108]
	v_fma_f64 v[101:102], v[97:98], v[125:126], -v[101:102]
	v_mul_f64 v[97:98], v[97:98], v[107:108]
	v_fma_f64 v[97:98], v[99:100], v[125:126], v[97:98]
	s_waitcnt vmcnt(2)
	v_add_f64 v[103:104], v[103:104], -v[101:102]
	s_waitcnt vmcnt(0)
	v_add_f64 v[105:106], v[105:106], -v[97:98]
	buffer_store_dword v103, off, s[24:27], 0 ; 4-byte Folded Spill
	s_nop 0
	buffer_store_dword v104, off, s[24:27], 0 offset:4 ; 4-byte Folded Spill
	buffer_store_dword v105, off, s[24:27], 0 offset:8 ; 4-byte Folded Spill
	;; [unrolled: 1-line block ×3, first 2 shown]
	ds_read2_b64 v[97:100], v94 offset0:36 offset1:37
	v_mov_b32_e32 v105, v125
	v_mov_b32_e32 v106, v126
	s_waitcnt lgkmcnt(0)
	v_mul_f64 v[101:102], v[99:100], v[107:108]
	v_fma_f64 v[101:102], v[97:98], v[125:126], -v[101:102]
	v_mul_f64 v[97:98], v[97:98], v[107:108]
	v_add_f64 v[85:86], v[85:86], -v[101:102]
	v_fma_f64 v[97:98], v[99:100], v[125:126], v[97:98]
	v_add_f64 v[87:88], v[87:88], -v[97:98]
	ds_read2_b64 v[97:100], v94 offset0:38 offset1:39
	s_waitcnt lgkmcnt(0)
	v_mul_f64 v[101:102], v[99:100], v[107:108]
	v_fma_f64 v[101:102], v[97:98], v[125:126], -v[101:102]
	v_mul_f64 v[97:98], v[97:98], v[107:108]
	v_add_f64 v[81:82], v[81:82], -v[101:102]
	v_fma_f64 v[97:98], v[99:100], v[125:126], v[97:98]
	v_add_f64 v[83:84], v[83:84], -v[97:98]
	ds_read2_b64 v[97:100], v94 offset0:40 offset1:41
	s_waitcnt lgkmcnt(0)
	v_mul_f64 v[101:102], v[99:100], v[107:108]
	v_fma_f64 v[101:102], v[97:98], v[125:126], -v[101:102]
	v_mul_f64 v[97:98], v[97:98], v[107:108]
	v_add_f64 v[77:78], v[77:78], -v[101:102]
	v_fma_f64 v[97:98], v[99:100], v[125:126], v[97:98]
	v_add_f64 v[79:80], v[79:80], -v[97:98]
	ds_read2_b64 v[97:100], v94 offset0:42 offset1:43
	s_waitcnt lgkmcnt(0)
	v_mul_f64 v[101:102], v[99:100], v[107:108]
	v_fma_f64 v[101:102], v[97:98], v[125:126], -v[101:102]
	v_mul_f64 v[97:98], v[97:98], v[107:108]
	v_add_f64 v[73:74], v[73:74], -v[101:102]
	v_fma_f64 v[97:98], v[99:100], v[125:126], v[97:98]
	v_add_f64 v[75:76], v[75:76], -v[97:98]
	ds_read2_b64 v[97:100], v94 offset0:44 offset1:45
	s_waitcnt lgkmcnt(0)
	v_mul_f64 v[101:102], v[99:100], v[107:108]
	v_fma_f64 v[101:102], v[97:98], v[125:126], -v[101:102]
	v_mul_f64 v[97:98], v[97:98], v[107:108]
	v_add_f64 v[69:70], v[69:70], -v[101:102]
	v_fma_f64 v[97:98], v[99:100], v[125:126], v[97:98]
	v_add_f64 v[71:72], v[71:72], -v[97:98]
	ds_read2_b64 v[97:100], v94 offset0:46 offset1:47
	s_waitcnt lgkmcnt(0)
	v_mul_f64 v[101:102], v[99:100], v[107:108]
	v_fma_f64 v[101:102], v[97:98], v[125:126], -v[101:102]
	v_mul_f64 v[97:98], v[97:98], v[107:108]
	v_add_f64 v[65:66], v[65:66], -v[101:102]
	v_fma_f64 v[97:98], v[99:100], v[125:126], v[97:98]
	v_add_f64 v[67:68], v[67:68], -v[97:98]
	ds_read2_b64 v[97:100], v94 offset0:48 offset1:49
	s_waitcnt lgkmcnt(0)
	v_mul_f64 v[101:102], v[99:100], v[107:108]
	v_fma_f64 v[101:102], v[97:98], v[125:126], -v[101:102]
	v_mul_f64 v[97:98], v[97:98], v[107:108]
	v_add_f64 v[61:62], v[61:62], -v[101:102]
	v_fma_f64 v[97:98], v[99:100], v[125:126], v[97:98]
	v_add_f64 v[63:64], v[63:64], -v[97:98]
	ds_read2_b64 v[97:100], v94 offset0:50 offset1:51
	s_waitcnt lgkmcnt(0)
	v_mul_f64 v[101:102], v[99:100], v[107:108]
	v_fma_f64 v[101:102], v[97:98], v[125:126], -v[101:102]
	v_mul_f64 v[97:98], v[97:98], v[107:108]
	v_add_f64 v[57:58], v[57:58], -v[101:102]
	v_fma_f64 v[97:98], v[99:100], v[125:126], v[97:98]
	v_add_f64 v[59:60], v[59:60], -v[97:98]
	ds_read2_b64 v[97:100], v94 offset0:52 offset1:53
	s_waitcnt lgkmcnt(0)
	v_mul_f64 v[101:102], v[99:100], v[107:108]
	v_fma_f64 v[101:102], v[97:98], v[125:126], -v[101:102]
	v_mul_f64 v[97:98], v[97:98], v[107:108]
	v_add_f64 v[53:54], v[53:54], -v[101:102]
	v_fma_f64 v[97:98], v[99:100], v[125:126], v[97:98]
	v_add_f64 v[55:56], v[55:56], -v[97:98]
	ds_read2_b64 v[97:100], v94 offset0:54 offset1:55
	s_waitcnt lgkmcnt(0)
	v_mul_f64 v[101:102], v[99:100], v[107:108]
	v_fma_f64 v[101:102], v[97:98], v[125:126], -v[101:102]
	v_mul_f64 v[97:98], v[97:98], v[107:108]
	v_add_f64 v[49:50], v[49:50], -v[101:102]
	v_fma_f64 v[97:98], v[99:100], v[125:126], v[97:98]
	v_add_f64 v[51:52], v[51:52], -v[97:98]
	ds_read2_b64 v[97:100], v94 offset0:56 offset1:57
	s_waitcnt lgkmcnt(0)
	v_mul_f64 v[101:102], v[99:100], v[107:108]
	v_fma_f64 v[101:102], v[97:98], v[125:126], -v[101:102]
	v_mul_f64 v[97:98], v[97:98], v[107:108]
	v_add_f64 v[45:46], v[45:46], -v[101:102]
	v_fma_f64 v[97:98], v[99:100], v[125:126], v[97:98]
	v_add_f64 v[47:48], v[47:48], -v[97:98]
	ds_read2_b64 v[97:100], v94 offset0:58 offset1:59
	s_waitcnt lgkmcnt(0)
	v_mul_f64 v[101:102], v[99:100], v[107:108]
	v_fma_f64 v[101:102], v[97:98], v[125:126], -v[101:102]
	v_mul_f64 v[97:98], v[97:98], v[107:108]
	v_add_f64 v[41:42], v[41:42], -v[101:102]
	v_fma_f64 v[97:98], v[99:100], v[125:126], v[97:98]
	v_add_f64 v[43:44], v[43:44], -v[97:98]
	ds_read2_b64 v[97:100], v94 offset0:60 offset1:61
	s_waitcnt lgkmcnt(0)
	v_mul_f64 v[101:102], v[99:100], v[107:108]
	v_fma_f64 v[101:102], v[97:98], v[125:126], -v[101:102]
	v_mul_f64 v[97:98], v[97:98], v[107:108]
	v_add_f64 v[37:38], v[37:38], -v[101:102]
	v_fma_f64 v[97:98], v[99:100], v[125:126], v[97:98]
	v_add_f64 v[39:40], v[39:40], -v[97:98]
	ds_read2_b64 v[97:100], v94 offset0:62 offset1:63
	s_waitcnt lgkmcnt(0)
	v_mul_f64 v[101:102], v[99:100], v[107:108]
	v_fma_f64 v[101:102], v[97:98], v[125:126], -v[101:102]
	v_mul_f64 v[97:98], v[97:98], v[107:108]
	v_add_f64 v[33:34], v[33:34], -v[101:102]
	v_fma_f64 v[97:98], v[99:100], v[125:126], v[97:98]
	v_add_f64 v[35:36], v[35:36], -v[97:98]
	ds_read2_b64 v[97:100], v94 offset0:64 offset1:65
	s_waitcnt lgkmcnt(0)
	v_mul_f64 v[101:102], v[99:100], v[107:108]
	v_fma_f64 v[101:102], v[97:98], v[125:126], -v[101:102]
	v_mul_f64 v[97:98], v[97:98], v[107:108]
	v_add_f64 v[29:30], v[29:30], -v[101:102]
	v_fma_f64 v[97:98], v[99:100], v[125:126], v[97:98]
	v_add_f64 v[31:32], v[31:32], -v[97:98]
	ds_read2_b64 v[97:100], v94 offset0:66 offset1:67
	s_waitcnt lgkmcnt(0)
	v_mul_f64 v[101:102], v[99:100], v[107:108]
	v_fma_f64 v[101:102], v[97:98], v[125:126], -v[101:102]
	v_mul_f64 v[97:98], v[97:98], v[107:108]
	v_add_f64 v[25:26], v[25:26], -v[101:102]
	v_fma_f64 v[97:98], v[99:100], v[125:126], v[97:98]
	v_add_f64 v[27:28], v[27:28], -v[97:98]
	ds_read2_b64 v[97:100], v94 offset0:68 offset1:69
	s_waitcnt lgkmcnt(0)
	v_mul_f64 v[101:102], v[99:100], v[107:108]
	v_fma_f64 v[101:102], v[97:98], v[125:126], -v[101:102]
	v_mul_f64 v[97:98], v[97:98], v[107:108]
	v_add_f64 v[21:22], v[21:22], -v[101:102]
	v_fma_f64 v[97:98], v[99:100], v[125:126], v[97:98]
	v_add_f64 v[23:24], v[23:24], -v[97:98]
	ds_read2_b64 v[97:100], v94 offset0:70 offset1:71
	s_waitcnt lgkmcnt(0)
	v_mul_f64 v[101:102], v[99:100], v[107:108]
	v_fma_f64 v[101:102], v[97:98], v[125:126], -v[101:102]
	v_mul_f64 v[97:98], v[97:98], v[107:108]
	v_add_f64 v[17:18], v[17:18], -v[101:102]
	v_fma_f64 v[97:98], v[99:100], v[125:126], v[97:98]
	v_add_f64 v[19:20], v[19:20], -v[97:98]
	ds_read2_b64 v[97:100], v94 offset0:72 offset1:73
	s_waitcnt lgkmcnt(0)
	v_mul_f64 v[101:102], v[99:100], v[107:108]
	v_fma_f64 v[101:102], v[97:98], v[125:126], -v[101:102]
	v_mul_f64 v[97:98], v[97:98], v[107:108]
	v_add_f64 v[13:14], v[13:14], -v[101:102]
	v_fma_f64 v[97:98], v[99:100], v[125:126], v[97:98]
	v_add_f64 v[15:16], v[15:16], -v[97:98]
	ds_read2_b64 v[97:100], v94 offset0:74 offset1:75
	s_waitcnt lgkmcnt(0)
	v_mul_f64 v[101:102], v[99:100], v[107:108]
	v_fma_f64 v[101:102], v[97:98], v[125:126], -v[101:102]
	v_mul_f64 v[97:98], v[97:98], v[107:108]
	v_add_f64 v[9:10], v[9:10], -v[101:102]
	v_fma_f64 v[97:98], v[99:100], v[125:126], v[97:98]
	v_add_f64 v[11:12], v[11:12], -v[97:98]
	ds_read2_b64 v[97:100], v94 offset0:76 offset1:77
	s_waitcnt lgkmcnt(0)
	v_mul_f64 v[101:102], v[99:100], v[107:108]
	v_fma_f64 v[101:102], v[97:98], v[125:126], -v[101:102]
	v_mul_f64 v[97:98], v[97:98], v[107:108]
	v_add_f64 v[5:6], v[5:6], -v[101:102]
	v_fma_f64 v[97:98], v[99:100], v[125:126], v[97:98]
	v_add_f64 v[7:8], v[7:8], -v[97:98]
	ds_read2_b64 v[97:100], v94 offset0:78 offset1:79
	s_waitcnt lgkmcnt(0)
	v_mul_f64 v[101:102], v[99:100], v[107:108]
	v_fma_f64 v[101:102], v[97:98], v[125:126], -v[101:102]
	v_mul_f64 v[97:98], v[97:98], v[107:108]
	v_add_f64 v[1:2], v[1:2], -v[101:102]
	v_fma_f64 v[97:98], v[99:100], v[125:126], v[97:98]
	v_add_f64 v[3:4], v[3:4], -v[97:98]
	ds_read2_b64 v[97:100], v94 offset0:80 offset1:81
	s_waitcnt lgkmcnt(0)
	v_mul_f64 v[101:102], v[99:100], v[107:108]
	v_fma_f64 v[101:102], v[97:98], v[125:126], -v[101:102]
	v_mul_f64 v[97:98], v[97:98], v[107:108]
	buffer_store_dword v105, off, s[24:27], 0 offset:48 ; 4-byte Folded Spill
	s_nop 0
	buffer_store_dword v106, off, s[24:27], 0 offset:52 ; 4-byte Folded Spill
	buffer_store_dword v107, off, s[24:27], 0 offset:56 ; 4-byte Folded Spill
	;; [unrolled: 1-line block ×3, first 2 shown]
	v_add_f64 v[121:122], v[121:122], -v[101:102]
	v_fma_f64 v[97:98], v[99:100], v[125:126], v[97:98]
	v_add_f64 v[123:124], v[123:124], -v[97:98]
.LBB80_314:
	s_or_b64 exec, exec, s[0:1]
	s_waitcnt vmcnt(0)
	s_barrier
	buffer_load_dword v98, off, s[24:27], 0 offset:32 ; 4-byte Folded Reload
	buffer_load_dword v99, off, s[24:27], 0 offset:36 ; 4-byte Folded Reload
	;; [unrolled: 1-line block ×4, first 2 shown]
	v_lshl_add_u32 v97, v96, 4, v94
	s_cmp_lt_i32 s3, 17
	s_waitcnt vmcnt(0)
	ds_write2_b64 v97, v[98:99], v[100:101] offset1:1
	s_waitcnt lgkmcnt(0)
	s_barrier
	ds_read2_b64 v[117:120], v94 offset0:30 offset1:31
	v_mov_b32_e32 v97, 15
	s_cbranch_scc1 .LBB80_317
; %bb.315:
	v_add_u32_e32 v98, 0x100, v94
	s_mov_b32 s0, 16
	v_mov_b32_e32 v97, 15
.LBB80_316:                             ; =>This Inner Loop Header: Depth=1
	s_waitcnt lgkmcnt(0)
	v_cmp_gt_f64_e32 vcc, 0, v[117:118]
	v_xor_b32_e32 v103, 0x80000000, v118
	ds_read2_b64 v[99:102], v98 offset1:1
	v_xor_b32_e32 v105, 0x80000000, v120
	v_add_u32_e32 v98, 16, v98
	s_waitcnt lgkmcnt(0)
	v_xor_b32_e32 v107, 0x80000000, v102
	v_cndmask_b32_e32 v104, v118, v103, vcc
	v_cmp_gt_f64_e32 vcc, 0, v[119:120]
	v_mov_b32_e32 v103, v117
	v_cndmask_b32_e32 v106, v120, v105, vcc
	v_cmp_gt_f64_e32 vcc, 0, v[99:100]
	v_mov_b32_e32 v105, v119
	v_add_f64 v[103:104], v[103:104], v[105:106]
	v_xor_b32_e32 v105, 0x80000000, v100
	v_cndmask_b32_e32 v106, v100, v105, vcc
	v_cmp_gt_f64_e32 vcc, 0, v[101:102]
	v_mov_b32_e32 v105, v99
	v_cndmask_b32_e32 v108, v102, v107, vcc
	v_mov_b32_e32 v107, v101
	v_add_f64 v[105:106], v[105:106], v[107:108]
	v_cmp_lt_f64_e32 vcc, v[103:104], v[105:106]
	v_cndmask_b32_e32 v117, v117, v99, vcc
	v_mov_b32_e32 v99, s0
	s_add_i32 s0, s0, 1
	v_cndmask_b32_e32 v118, v118, v100, vcc
	v_cndmask_b32_e32 v120, v120, v102, vcc
	;; [unrolled: 1-line block ×4, first 2 shown]
	s_cmp_lg_u32 s3, s0
	s_cbranch_scc1 .LBB80_316
.LBB80_317:
	s_waitcnt lgkmcnt(0)
	v_cmp_eq_f64_e32 vcc, 0, v[117:118]
	v_cmp_eq_f64_e64 s[0:1], 0, v[119:120]
	s_and_b64 s[0:1], vcc, s[0:1]
	s_and_saveexec_b64 s[18:19], s[0:1]
	s_xor_b64 s[0:1], exec, s[18:19]
; %bb.318:
	v_cmp_ne_u32_e32 vcc, 0, v95
	v_cndmask_b32_e32 v95, 16, v95, vcc
; %bb.319:
	s_andn2_saveexec_b64 s[0:1], s[0:1]
	s_cbranch_execz .LBB80_325
; %bb.320:
	v_cmp_ngt_f64_e64 s[18:19], |v[117:118]|, |v[119:120]|
	s_and_saveexec_b64 s[20:21], s[18:19]
	s_xor_b64 s[18:19], exec, s[20:21]
	s_cbranch_execz .LBB80_322
; %bb.321:
	v_div_scale_f64 v[98:99], s[20:21], v[119:120], v[119:120], v[117:118]
	v_rcp_f64_e32 v[100:101], v[98:99]
	v_fma_f64 v[102:103], -v[98:99], v[100:101], 1.0
	v_fma_f64 v[100:101], v[100:101], v[102:103], v[100:101]
	v_div_scale_f64 v[102:103], vcc, v[117:118], v[119:120], v[117:118]
	v_fma_f64 v[104:105], -v[98:99], v[100:101], 1.0
	v_fma_f64 v[100:101], v[100:101], v[104:105], v[100:101]
	v_mul_f64 v[104:105], v[102:103], v[100:101]
	v_fma_f64 v[98:99], -v[98:99], v[104:105], v[102:103]
	v_div_fmas_f64 v[98:99], v[98:99], v[100:101], v[104:105]
	v_div_fixup_f64 v[98:99], v[98:99], v[119:120], v[117:118]
	v_fma_f64 v[100:101], v[117:118], v[98:99], v[119:120]
	v_div_scale_f64 v[102:103], s[20:21], v[100:101], v[100:101], 1.0
	v_div_scale_f64 v[108:109], vcc, 1.0, v[100:101], 1.0
	v_rcp_f64_e32 v[104:105], v[102:103]
	v_fma_f64 v[106:107], -v[102:103], v[104:105], 1.0
	v_fma_f64 v[104:105], v[104:105], v[106:107], v[104:105]
	v_fma_f64 v[106:107], -v[102:103], v[104:105], 1.0
	v_fma_f64 v[104:105], v[104:105], v[106:107], v[104:105]
	v_mul_f64 v[106:107], v[108:109], v[104:105]
	v_fma_f64 v[102:103], -v[102:103], v[106:107], v[108:109]
	v_div_fmas_f64 v[102:103], v[102:103], v[104:105], v[106:107]
	v_div_fixup_f64 v[119:120], v[102:103], v[100:101], 1.0
	v_mul_f64 v[117:118], v[98:99], v[119:120]
	v_xor_b32_e32 v120, 0x80000000, v120
.LBB80_322:
	s_andn2_saveexec_b64 s[18:19], s[18:19]
	s_cbranch_execz .LBB80_324
; %bb.323:
	v_div_scale_f64 v[98:99], s[20:21], v[117:118], v[117:118], v[119:120]
	v_rcp_f64_e32 v[100:101], v[98:99]
	v_fma_f64 v[102:103], -v[98:99], v[100:101], 1.0
	v_fma_f64 v[100:101], v[100:101], v[102:103], v[100:101]
	v_div_scale_f64 v[102:103], vcc, v[119:120], v[117:118], v[119:120]
	v_fma_f64 v[104:105], -v[98:99], v[100:101], 1.0
	v_fma_f64 v[100:101], v[100:101], v[104:105], v[100:101]
	v_mul_f64 v[104:105], v[102:103], v[100:101]
	v_fma_f64 v[98:99], -v[98:99], v[104:105], v[102:103]
	v_div_fmas_f64 v[98:99], v[98:99], v[100:101], v[104:105]
	v_div_fixup_f64 v[98:99], v[98:99], v[117:118], v[119:120]
	v_fma_f64 v[100:101], v[119:120], v[98:99], v[117:118]
	v_div_scale_f64 v[102:103], s[20:21], v[100:101], v[100:101], 1.0
	v_div_scale_f64 v[108:109], vcc, 1.0, v[100:101], 1.0
	v_rcp_f64_e32 v[104:105], v[102:103]
	v_fma_f64 v[106:107], -v[102:103], v[104:105], 1.0
	v_fma_f64 v[104:105], v[104:105], v[106:107], v[104:105]
	v_fma_f64 v[106:107], -v[102:103], v[104:105], 1.0
	v_fma_f64 v[104:105], v[104:105], v[106:107], v[104:105]
	v_mul_f64 v[106:107], v[108:109], v[104:105]
	v_fma_f64 v[102:103], -v[102:103], v[106:107], v[108:109]
	v_div_fmas_f64 v[102:103], v[102:103], v[104:105], v[106:107]
	v_div_fixup_f64 v[117:118], v[102:103], v[100:101], 1.0
	v_mul_f64 v[119:120], v[98:99], -v[117:118]
.LBB80_324:
	s_or_b64 exec, exec, s[18:19]
.LBB80_325:
	s_or_b64 exec, exec, s[0:1]
	v_cmp_ne_u32_e32 vcc, v96, v97
	s_and_saveexec_b64 s[0:1], vcc
	s_xor_b64 s[0:1], exec, s[0:1]
	s_cbranch_execz .LBB80_331
; %bb.326:
	v_cmp_eq_u32_e32 vcc, 15, v96
	s_and_saveexec_b64 s[18:19], vcc
	s_cbranch_execz .LBB80_330
; %bb.327:
	v_cmp_ne_u32_e32 vcc, 15, v97
	s_xor_b64 s[20:21], s[6:7], -1
	s_and_b64 s[22:23], s[20:21], vcc
	s_and_saveexec_b64 s[20:21], s[22:23]
	s_cbranch_execz .LBB80_329
; %bb.328:
	v_ashrrev_i32_e32 v98, 31, v97
	v_lshlrev_b64 v[98:99], 2, v[97:98]
	v_add_co_u32_e32 v98, vcc, v91, v98
	v_addc_co_u32_e32 v99, vcc, v92, v99, vcc
	global_load_dword v0, v[98:99], off
	global_load_dword v96, v[91:92], off offset:60
	s_waitcnt vmcnt(1)
	global_store_dword v[91:92], v0, off offset:60
	s_waitcnt vmcnt(1)
	global_store_dword v[98:99], v96, off
.LBB80_329:
	s_or_b64 exec, exec, s[20:21]
	v_mov_b32_e32 v96, v97
	v_mov_b32_e32 v0, v97
.LBB80_330:
	s_or_b64 exec, exec, s[18:19]
.LBB80_331:
	s_andn2_saveexec_b64 s[0:1], s[0:1]
	s_cbranch_execz .LBB80_333
; %bb.332:
	buffer_load_dword v96, off, s[24:27], 0 offset:16 ; 4-byte Folded Reload
	buffer_load_dword v97, off, s[24:27], 0 offset:20 ; 4-byte Folded Reload
	buffer_load_dword v98, off, s[24:27], 0 offset:24 ; 4-byte Folded Reload
	buffer_load_dword v99, off, s[24:27], 0 offset:28 ; 4-byte Folded Reload
	s_waitcnt vmcnt(0)
	ds_write2_b64 v94, v[96:97], v[98:99] offset0:32 offset1:33
	buffer_load_dword v96, off, s[24:27], 0 ; 4-byte Folded Reload
	buffer_load_dword v97, off, s[24:27], 0 offset:4 ; 4-byte Folded Reload
	buffer_load_dword v98, off, s[24:27], 0 offset:8 ; 4-byte Folded Reload
	;; [unrolled: 1-line block ×3, first 2 shown]
	s_waitcnt vmcnt(0)
	ds_write2_b64 v94, v[96:97], v[98:99] offset0:34 offset1:35
	ds_write2_b64 v94, v[85:86], v[87:88] offset0:36 offset1:37
	;; [unrolled: 1-line block ×24, first 2 shown]
	v_mov_b32_e32 v96, 15
.LBB80_333:
	s_or_b64 exec, exec, s[0:1]
	v_cmp_lt_i32_e32 vcc, 15, v96
	s_waitcnt vmcnt(0) lgkmcnt(0)
	s_barrier
	s_and_saveexec_b64 s[0:1], vcc
	s_cbranch_execz .LBB80_335
; %bb.334:
	buffer_load_dword v107, off, s[24:27], 0 offset:32 ; 4-byte Folded Reload
	buffer_load_dword v108, off, s[24:27], 0 offset:36 ; 4-byte Folded Reload
	;; [unrolled: 1-line block ×4, first 2 shown]
	s_waitcnt vmcnt(0)
	v_mul_f64 v[97:98], v[119:120], v[109:110]
	v_fma_f64 v[101:102], v[117:118], v[107:108], -v[97:98]
	v_mul_f64 v[97:98], v[117:118], v[109:110]
	v_fma_f64 v[109:110], v[119:120], v[107:108], v[97:98]
	ds_read2_b64 v[97:100], v94 offset0:32 offset1:33
	buffer_load_dword v105, off, s[24:27], 0 offset:16 ; 4-byte Folded Reload
	buffer_load_dword v106, off, s[24:27], 0 offset:20 ; 4-byte Folded Reload
	buffer_load_dword v107, off, s[24:27], 0 offset:24 ; 4-byte Folded Reload
	buffer_load_dword v108, off, s[24:27], 0 offset:28 ; 4-byte Folded Reload
	s_waitcnt lgkmcnt(0)
	v_mul_f64 v[103:104], v[99:100], v[109:110]
	v_fma_f64 v[103:104], v[97:98], v[101:102], -v[103:104]
	v_mul_f64 v[97:98], v[97:98], v[109:110]
	v_fma_f64 v[97:98], v[99:100], v[101:102], v[97:98]
	s_waitcnt vmcnt(2)
	v_add_f64 v[105:106], v[105:106], -v[103:104]
	s_waitcnt vmcnt(0)
	v_add_f64 v[107:108], v[107:108], -v[97:98]
	buffer_store_dword v105, off, s[24:27], 0 offset:16 ; 4-byte Folded Spill
	s_nop 0
	buffer_store_dword v106, off, s[24:27], 0 offset:20 ; 4-byte Folded Spill
	buffer_store_dword v107, off, s[24:27], 0 offset:24 ; 4-byte Folded Spill
	;; [unrolled: 1-line block ×3, first 2 shown]
	ds_read2_b64 v[97:100], v94 offset0:34 offset1:35
	buffer_load_dword v105, off, s[24:27], 0 ; 4-byte Folded Reload
	buffer_load_dword v106, off, s[24:27], 0 offset:4 ; 4-byte Folded Reload
	buffer_load_dword v107, off, s[24:27], 0 offset:8 ; 4-byte Folded Reload
	;; [unrolled: 1-line block ×3, first 2 shown]
	s_waitcnt lgkmcnt(0)
	v_mul_f64 v[103:104], v[99:100], v[109:110]
	v_fma_f64 v[103:104], v[97:98], v[101:102], -v[103:104]
	v_mul_f64 v[97:98], v[97:98], v[109:110]
	v_fma_f64 v[97:98], v[99:100], v[101:102], v[97:98]
	s_waitcnt vmcnt(2)
	v_add_f64 v[105:106], v[105:106], -v[103:104]
	s_waitcnt vmcnt(0)
	v_add_f64 v[107:108], v[107:108], -v[97:98]
	buffer_store_dword v105, off, s[24:27], 0 ; 4-byte Folded Spill
	s_nop 0
	buffer_store_dword v106, off, s[24:27], 0 offset:4 ; 4-byte Folded Spill
	buffer_store_dword v107, off, s[24:27], 0 offset:8 ; 4-byte Folded Spill
	;; [unrolled: 1-line block ×3, first 2 shown]
	ds_read2_b64 v[97:100], v94 offset0:36 offset1:37
	v_mov_b32_e32 v108, v102
	v_mov_b32_e32 v107, v101
	s_waitcnt lgkmcnt(0)
	v_mul_f64 v[103:104], v[99:100], v[109:110]
	v_fma_f64 v[103:104], v[97:98], v[101:102], -v[103:104]
	v_mul_f64 v[97:98], v[97:98], v[109:110]
	v_add_f64 v[85:86], v[85:86], -v[103:104]
	v_fma_f64 v[97:98], v[99:100], v[101:102], v[97:98]
	v_add_f64 v[87:88], v[87:88], -v[97:98]
	ds_read2_b64 v[97:100], v94 offset0:38 offset1:39
	s_waitcnt lgkmcnt(0)
	v_mul_f64 v[103:104], v[99:100], v[109:110]
	v_fma_f64 v[103:104], v[97:98], v[101:102], -v[103:104]
	v_mul_f64 v[97:98], v[97:98], v[109:110]
	v_add_f64 v[81:82], v[81:82], -v[103:104]
	v_fma_f64 v[97:98], v[99:100], v[101:102], v[97:98]
	v_add_f64 v[83:84], v[83:84], -v[97:98]
	ds_read2_b64 v[97:100], v94 offset0:40 offset1:41
	;; [unrolled: 8-line block ×22, first 2 shown]
	s_waitcnt lgkmcnt(0)
	v_mul_f64 v[103:104], v[99:100], v[109:110]
	v_fma_f64 v[103:104], v[97:98], v[101:102], -v[103:104]
	v_mul_f64 v[97:98], v[97:98], v[109:110]
	buffer_store_dword v107, off, s[24:27], 0 offset:32 ; 4-byte Folded Spill
	s_nop 0
	buffer_store_dword v108, off, s[24:27], 0 offset:36 ; 4-byte Folded Spill
	buffer_store_dword v109, off, s[24:27], 0 offset:40 ; 4-byte Folded Spill
	;; [unrolled: 1-line block ×3, first 2 shown]
	v_add_f64 v[121:122], v[121:122], -v[103:104]
	v_fma_f64 v[97:98], v[99:100], v[101:102], v[97:98]
	v_add_f64 v[123:124], v[123:124], -v[97:98]
.LBB80_335:
	s_or_b64 exec, exec, s[0:1]
	s_waitcnt vmcnt(0)
	s_barrier
	buffer_load_dword v98, off, s[24:27], 0 offset:16 ; 4-byte Folded Reload
	buffer_load_dword v99, off, s[24:27], 0 offset:20 ; 4-byte Folded Reload
	;; [unrolled: 1-line block ×4, first 2 shown]
	v_lshl_add_u32 v97, v96, 4, v94
	s_cmp_lt_i32 s3, 18
	s_waitcnt vmcnt(0)
	ds_write2_b64 v97, v[98:99], v[100:101] offset1:1
	s_waitcnt lgkmcnt(0)
	s_barrier
	ds_read2_b64 v[117:120], v94 offset0:32 offset1:33
	v_mov_b32_e32 v97, 16
	s_cbranch_scc1 .LBB80_338
; %bb.336:
	v_add_u32_e32 v98, 0x110, v94
	s_mov_b32 s0, 17
	v_mov_b32_e32 v97, 16
.LBB80_337:                             ; =>This Inner Loop Header: Depth=1
	s_waitcnt lgkmcnt(0)
	v_cmp_gt_f64_e32 vcc, 0, v[117:118]
	v_xor_b32_e32 v103, 0x80000000, v118
	ds_read2_b64 v[99:102], v98 offset1:1
	v_xor_b32_e32 v105, 0x80000000, v120
	v_add_u32_e32 v98, 16, v98
	s_waitcnt lgkmcnt(0)
	v_xor_b32_e32 v107, 0x80000000, v102
	v_cndmask_b32_e32 v104, v118, v103, vcc
	v_cmp_gt_f64_e32 vcc, 0, v[119:120]
	v_mov_b32_e32 v103, v117
	v_cndmask_b32_e32 v106, v120, v105, vcc
	v_cmp_gt_f64_e32 vcc, 0, v[99:100]
	v_mov_b32_e32 v105, v119
	v_add_f64 v[103:104], v[103:104], v[105:106]
	v_xor_b32_e32 v105, 0x80000000, v100
	v_cndmask_b32_e32 v106, v100, v105, vcc
	v_cmp_gt_f64_e32 vcc, 0, v[101:102]
	v_mov_b32_e32 v105, v99
	v_cndmask_b32_e32 v108, v102, v107, vcc
	v_mov_b32_e32 v107, v101
	v_add_f64 v[105:106], v[105:106], v[107:108]
	v_cmp_lt_f64_e32 vcc, v[103:104], v[105:106]
	v_cndmask_b32_e32 v117, v117, v99, vcc
	v_mov_b32_e32 v99, s0
	s_add_i32 s0, s0, 1
	v_cndmask_b32_e32 v118, v118, v100, vcc
	v_cndmask_b32_e32 v120, v120, v102, vcc
	;; [unrolled: 1-line block ×4, first 2 shown]
	s_cmp_lg_u32 s3, s0
	s_cbranch_scc1 .LBB80_337
.LBB80_338:
	s_waitcnt lgkmcnt(0)
	v_cmp_eq_f64_e32 vcc, 0, v[117:118]
	v_cmp_eq_f64_e64 s[0:1], 0, v[119:120]
	s_and_b64 s[0:1], vcc, s[0:1]
	s_and_saveexec_b64 s[18:19], s[0:1]
	s_xor_b64 s[0:1], exec, s[18:19]
; %bb.339:
	v_cmp_ne_u32_e32 vcc, 0, v95
	v_cndmask_b32_e32 v95, 17, v95, vcc
; %bb.340:
	s_andn2_saveexec_b64 s[0:1], s[0:1]
	s_cbranch_execz .LBB80_346
; %bb.341:
	v_cmp_ngt_f64_e64 s[18:19], |v[117:118]|, |v[119:120]|
	s_and_saveexec_b64 s[20:21], s[18:19]
	s_xor_b64 s[18:19], exec, s[20:21]
	s_cbranch_execz .LBB80_343
; %bb.342:
	v_div_scale_f64 v[98:99], s[20:21], v[119:120], v[119:120], v[117:118]
	v_rcp_f64_e32 v[100:101], v[98:99]
	v_fma_f64 v[102:103], -v[98:99], v[100:101], 1.0
	v_fma_f64 v[100:101], v[100:101], v[102:103], v[100:101]
	v_div_scale_f64 v[102:103], vcc, v[117:118], v[119:120], v[117:118]
	v_fma_f64 v[104:105], -v[98:99], v[100:101], 1.0
	v_fma_f64 v[100:101], v[100:101], v[104:105], v[100:101]
	v_mul_f64 v[104:105], v[102:103], v[100:101]
	v_fma_f64 v[98:99], -v[98:99], v[104:105], v[102:103]
	v_div_fmas_f64 v[98:99], v[98:99], v[100:101], v[104:105]
	v_div_fixup_f64 v[98:99], v[98:99], v[119:120], v[117:118]
	v_fma_f64 v[100:101], v[117:118], v[98:99], v[119:120]
	v_div_scale_f64 v[102:103], s[20:21], v[100:101], v[100:101], 1.0
	v_div_scale_f64 v[108:109], vcc, 1.0, v[100:101], 1.0
	v_rcp_f64_e32 v[104:105], v[102:103]
	v_fma_f64 v[106:107], -v[102:103], v[104:105], 1.0
	v_fma_f64 v[104:105], v[104:105], v[106:107], v[104:105]
	v_fma_f64 v[106:107], -v[102:103], v[104:105], 1.0
	v_fma_f64 v[104:105], v[104:105], v[106:107], v[104:105]
	v_mul_f64 v[106:107], v[108:109], v[104:105]
	v_fma_f64 v[102:103], -v[102:103], v[106:107], v[108:109]
	v_div_fmas_f64 v[102:103], v[102:103], v[104:105], v[106:107]
	v_div_fixup_f64 v[119:120], v[102:103], v[100:101], 1.0
	v_mul_f64 v[117:118], v[98:99], v[119:120]
	v_xor_b32_e32 v120, 0x80000000, v120
.LBB80_343:
	s_andn2_saveexec_b64 s[18:19], s[18:19]
	s_cbranch_execz .LBB80_345
; %bb.344:
	v_div_scale_f64 v[98:99], s[20:21], v[117:118], v[117:118], v[119:120]
	v_rcp_f64_e32 v[100:101], v[98:99]
	v_fma_f64 v[102:103], -v[98:99], v[100:101], 1.0
	v_fma_f64 v[100:101], v[100:101], v[102:103], v[100:101]
	v_div_scale_f64 v[102:103], vcc, v[119:120], v[117:118], v[119:120]
	v_fma_f64 v[104:105], -v[98:99], v[100:101], 1.0
	v_fma_f64 v[100:101], v[100:101], v[104:105], v[100:101]
	v_mul_f64 v[104:105], v[102:103], v[100:101]
	v_fma_f64 v[98:99], -v[98:99], v[104:105], v[102:103]
	v_div_fmas_f64 v[98:99], v[98:99], v[100:101], v[104:105]
	v_div_fixup_f64 v[98:99], v[98:99], v[117:118], v[119:120]
	v_fma_f64 v[100:101], v[119:120], v[98:99], v[117:118]
	v_div_scale_f64 v[102:103], s[20:21], v[100:101], v[100:101], 1.0
	v_div_scale_f64 v[108:109], vcc, 1.0, v[100:101], 1.0
	v_rcp_f64_e32 v[104:105], v[102:103]
	v_fma_f64 v[106:107], -v[102:103], v[104:105], 1.0
	v_fma_f64 v[104:105], v[104:105], v[106:107], v[104:105]
	v_fma_f64 v[106:107], -v[102:103], v[104:105], 1.0
	v_fma_f64 v[104:105], v[104:105], v[106:107], v[104:105]
	v_mul_f64 v[106:107], v[108:109], v[104:105]
	v_fma_f64 v[102:103], -v[102:103], v[106:107], v[108:109]
	v_div_fmas_f64 v[102:103], v[102:103], v[104:105], v[106:107]
	v_div_fixup_f64 v[117:118], v[102:103], v[100:101], 1.0
	v_mul_f64 v[119:120], v[98:99], -v[117:118]
.LBB80_345:
	s_or_b64 exec, exec, s[18:19]
.LBB80_346:
	s_or_b64 exec, exec, s[0:1]
	v_cmp_ne_u32_e32 vcc, v96, v97
	s_and_saveexec_b64 s[0:1], vcc
	s_xor_b64 s[0:1], exec, s[0:1]
	s_cbranch_execz .LBB80_352
; %bb.347:
	v_cmp_eq_u32_e32 vcc, 16, v96
	s_and_saveexec_b64 s[18:19], vcc
	s_cbranch_execz .LBB80_351
; %bb.348:
	v_cmp_ne_u32_e32 vcc, 16, v97
	s_xor_b64 s[20:21], s[6:7], -1
	s_and_b64 s[22:23], s[20:21], vcc
	s_and_saveexec_b64 s[20:21], s[22:23]
	s_cbranch_execz .LBB80_350
; %bb.349:
	v_ashrrev_i32_e32 v98, 31, v97
	v_lshlrev_b64 v[98:99], 2, v[97:98]
	v_add_co_u32_e32 v98, vcc, v91, v98
	v_addc_co_u32_e32 v99, vcc, v92, v99, vcc
	global_load_dword v0, v[98:99], off
	global_load_dword v96, v[91:92], off offset:64
	s_waitcnt vmcnt(1)
	global_store_dword v[91:92], v0, off offset:64
	s_waitcnt vmcnt(1)
	global_store_dword v[98:99], v96, off
.LBB80_350:
	s_or_b64 exec, exec, s[20:21]
	v_mov_b32_e32 v96, v97
	v_mov_b32_e32 v0, v97
.LBB80_351:
	s_or_b64 exec, exec, s[18:19]
.LBB80_352:
	s_andn2_saveexec_b64 s[0:1], s[0:1]
	s_cbranch_execz .LBB80_354
; %bb.353:
	buffer_load_dword v96, off, s[24:27], 0 ; 4-byte Folded Reload
	buffer_load_dword v97, off, s[24:27], 0 offset:4 ; 4-byte Folded Reload
	buffer_load_dword v98, off, s[24:27], 0 offset:8 ; 4-byte Folded Reload
	;; [unrolled: 1-line block ×3, first 2 shown]
	s_waitcnt vmcnt(0)
	ds_write2_b64 v94, v[96:97], v[98:99] offset0:34 offset1:35
	ds_write2_b64 v94, v[85:86], v[87:88] offset0:36 offset1:37
	;; [unrolled: 1-line block ×24, first 2 shown]
	v_mov_b32_e32 v96, 16
.LBB80_354:
	s_or_b64 exec, exec, s[0:1]
	v_cmp_lt_i32_e32 vcc, 16, v96
	s_waitcnt vmcnt(0) lgkmcnt(0)
	s_barrier
	s_and_saveexec_b64 s[0:1], vcc
	s_cbranch_execz .LBB80_356
; %bb.355:
	buffer_load_dword v105, off, s[24:27], 0 offset:16 ; 4-byte Folded Reload
	buffer_load_dword v106, off, s[24:27], 0 offset:20 ; 4-byte Folded Reload
	;; [unrolled: 1-line block ×4, first 2 shown]
	s_waitcnt vmcnt(0)
	v_mul_f64 v[97:98], v[119:120], v[107:108]
	v_fma_f64 v[125:126], v[117:118], v[105:106], -v[97:98]
	v_mul_f64 v[97:98], v[117:118], v[107:108]
	v_fma_f64 v[107:108], v[119:120], v[105:106], v[97:98]
	ds_read2_b64 v[97:100], v94 offset0:34 offset1:35
	buffer_load_dword v103, off, s[24:27], 0 ; 4-byte Folded Reload
	buffer_load_dword v104, off, s[24:27], 0 offset:4 ; 4-byte Folded Reload
	buffer_load_dword v105, off, s[24:27], 0 offset:8 ; 4-byte Folded Reload
	;; [unrolled: 1-line block ×3, first 2 shown]
	s_waitcnt lgkmcnt(0)
	v_mul_f64 v[101:102], v[99:100], v[107:108]
	v_fma_f64 v[101:102], v[97:98], v[125:126], -v[101:102]
	v_mul_f64 v[97:98], v[97:98], v[107:108]
	v_fma_f64 v[97:98], v[99:100], v[125:126], v[97:98]
	s_waitcnt vmcnt(2)
	v_add_f64 v[103:104], v[103:104], -v[101:102]
	s_waitcnt vmcnt(0)
	v_add_f64 v[105:106], v[105:106], -v[97:98]
	buffer_store_dword v103, off, s[24:27], 0 ; 4-byte Folded Spill
	s_nop 0
	buffer_store_dword v104, off, s[24:27], 0 offset:4 ; 4-byte Folded Spill
	buffer_store_dword v105, off, s[24:27], 0 offset:8 ; 4-byte Folded Spill
	;; [unrolled: 1-line block ×3, first 2 shown]
	ds_read2_b64 v[97:100], v94 offset0:36 offset1:37
	v_mov_b32_e32 v105, v125
	v_mov_b32_e32 v106, v126
	s_waitcnt lgkmcnt(0)
	v_mul_f64 v[101:102], v[99:100], v[107:108]
	v_fma_f64 v[101:102], v[97:98], v[125:126], -v[101:102]
	v_mul_f64 v[97:98], v[97:98], v[107:108]
	v_add_f64 v[85:86], v[85:86], -v[101:102]
	v_fma_f64 v[97:98], v[99:100], v[125:126], v[97:98]
	v_add_f64 v[87:88], v[87:88], -v[97:98]
	ds_read2_b64 v[97:100], v94 offset0:38 offset1:39
	s_waitcnt lgkmcnt(0)
	v_mul_f64 v[101:102], v[99:100], v[107:108]
	v_fma_f64 v[101:102], v[97:98], v[125:126], -v[101:102]
	v_mul_f64 v[97:98], v[97:98], v[107:108]
	v_add_f64 v[81:82], v[81:82], -v[101:102]
	v_fma_f64 v[97:98], v[99:100], v[125:126], v[97:98]
	v_add_f64 v[83:84], v[83:84], -v[97:98]
	ds_read2_b64 v[97:100], v94 offset0:40 offset1:41
	;; [unrolled: 8-line block ×22, first 2 shown]
	s_waitcnt lgkmcnt(0)
	v_mul_f64 v[101:102], v[99:100], v[107:108]
	v_fma_f64 v[101:102], v[97:98], v[125:126], -v[101:102]
	v_mul_f64 v[97:98], v[97:98], v[107:108]
	buffer_store_dword v105, off, s[24:27], 0 offset:16 ; 4-byte Folded Spill
	s_nop 0
	buffer_store_dword v106, off, s[24:27], 0 offset:20 ; 4-byte Folded Spill
	buffer_store_dword v107, off, s[24:27], 0 offset:24 ; 4-byte Folded Spill
	;; [unrolled: 1-line block ×3, first 2 shown]
	v_add_f64 v[121:122], v[121:122], -v[101:102]
	v_fma_f64 v[97:98], v[99:100], v[125:126], v[97:98]
	v_add_f64 v[123:124], v[123:124], -v[97:98]
.LBB80_356:
	s_or_b64 exec, exec, s[0:1]
	s_waitcnt vmcnt(0)
	s_barrier
	buffer_load_dword v98, off, s[24:27], 0 ; 4-byte Folded Reload
	buffer_load_dword v99, off, s[24:27], 0 offset:4 ; 4-byte Folded Reload
	buffer_load_dword v100, off, s[24:27], 0 offset:8 ; 4-byte Folded Reload
	;; [unrolled: 1-line block ×3, first 2 shown]
	v_lshl_add_u32 v97, v96, 4, v94
	s_cmp_lt_i32 s3, 19
	s_waitcnt vmcnt(0)
	ds_write2_b64 v97, v[98:99], v[100:101] offset1:1
	s_waitcnt lgkmcnt(0)
	s_barrier
	ds_read2_b64 v[117:120], v94 offset0:34 offset1:35
	v_mov_b32_e32 v97, 17
	s_cbranch_scc1 .LBB80_359
; %bb.357:
	v_add_u32_e32 v98, 0x120, v94
	s_mov_b32 s0, 18
	v_mov_b32_e32 v97, 17
.LBB80_358:                             ; =>This Inner Loop Header: Depth=1
	s_waitcnt lgkmcnt(0)
	v_cmp_gt_f64_e32 vcc, 0, v[117:118]
	v_xor_b32_e32 v103, 0x80000000, v118
	ds_read2_b64 v[99:102], v98 offset1:1
	v_xor_b32_e32 v105, 0x80000000, v120
	v_add_u32_e32 v98, 16, v98
	s_waitcnt lgkmcnt(0)
	v_xor_b32_e32 v107, 0x80000000, v102
	v_cndmask_b32_e32 v104, v118, v103, vcc
	v_cmp_gt_f64_e32 vcc, 0, v[119:120]
	v_mov_b32_e32 v103, v117
	v_cndmask_b32_e32 v106, v120, v105, vcc
	v_cmp_gt_f64_e32 vcc, 0, v[99:100]
	v_mov_b32_e32 v105, v119
	v_add_f64 v[103:104], v[103:104], v[105:106]
	v_xor_b32_e32 v105, 0x80000000, v100
	v_cndmask_b32_e32 v106, v100, v105, vcc
	v_cmp_gt_f64_e32 vcc, 0, v[101:102]
	v_mov_b32_e32 v105, v99
	v_cndmask_b32_e32 v108, v102, v107, vcc
	v_mov_b32_e32 v107, v101
	v_add_f64 v[105:106], v[105:106], v[107:108]
	v_cmp_lt_f64_e32 vcc, v[103:104], v[105:106]
	v_cndmask_b32_e32 v117, v117, v99, vcc
	v_mov_b32_e32 v99, s0
	s_add_i32 s0, s0, 1
	v_cndmask_b32_e32 v118, v118, v100, vcc
	v_cndmask_b32_e32 v120, v120, v102, vcc
	;; [unrolled: 1-line block ×4, first 2 shown]
	s_cmp_lg_u32 s3, s0
	s_cbranch_scc1 .LBB80_358
.LBB80_359:
	s_waitcnt lgkmcnt(0)
	v_cmp_eq_f64_e32 vcc, 0, v[117:118]
	v_cmp_eq_f64_e64 s[0:1], 0, v[119:120]
	s_and_b64 s[0:1], vcc, s[0:1]
	s_and_saveexec_b64 s[18:19], s[0:1]
	s_xor_b64 s[0:1], exec, s[18:19]
; %bb.360:
	v_cmp_ne_u32_e32 vcc, 0, v95
	v_cndmask_b32_e32 v95, 18, v95, vcc
; %bb.361:
	s_andn2_saveexec_b64 s[0:1], s[0:1]
	s_cbranch_execz .LBB80_367
; %bb.362:
	v_cmp_ngt_f64_e64 s[18:19], |v[117:118]|, |v[119:120]|
	s_and_saveexec_b64 s[20:21], s[18:19]
	s_xor_b64 s[18:19], exec, s[20:21]
	s_cbranch_execz .LBB80_364
; %bb.363:
	v_div_scale_f64 v[98:99], s[20:21], v[119:120], v[119:120], v[117:118]
	v_rcp_f64_e32 v[100:101], v[98:99]
	v_fma_f64 v[102:103], -v[98:99], v[100:101], 1.0
	v_fma_f64 v[100:101], v[100:101], v[102:103], v[100:101]
	v_div_scale_f64 v[102:103], vcc, v[117:118], v[119:120], v[117:118]
	v_fma_f64 v[104:105], -v[98:99], v[100:101], 1.0
	v_fma_f64 v[100:101], v[100:101], v[104:105], v[100:101]
	v_mul_f64 v[104:105], v[102:103], v[100:101]
	v_fma_f64 v[98:99], -v[98:99], v[104:105], v[102:103]
	v_div_fmas_f64 v[98:99], v[98:99], v[100:101], v[104:105]
	v_div_fixup_f64 v[98:99], v[98:99], v[119:120], v[117:118]
	v_fma_f64 v[100:101], v[117:118], v[98:99], v[119:120]
	v_div_scale_f64 v[102:103], s[20:21], v[100:101], v[100:101], 1.0
	v_div_scale_f64 v[108:109], vcc, 1.0, v[100:101], 1.0
	v_rcp_f64_e32 v[104:105], v[102:103]
	v_fma_f64 v[106:107], -v[102:103], v[104:105], 1.0
	v_fma_f64 v[104:105], v[104:105], v[106:107], v[104:105]
	v_fma_f64 v[106:107], -v[102:103], v[104:105], 1.0
	v_fma_f64 v[104:105], v[104:105], v[106:107], v[104:105]
	v_mul_f64 v[106:107], v[108:109], v[104:105]
	v_fma_f64 v[102:103], -v[102:103], v[106:107], v[108:109]
	v_div_fmas_f64 v[102:103], v[102:103], v[104:105], v[106:107]
	v_div_fixup_f64 v[119:120], v[102:103], v[100:101], 1.0
	v_mul_f64 v[117:118], v[98:99], v[119:120]
	v_xor_b32_e32 v120, 0x80000000, v120
.LBB80_364:
	s_andn2_saveexec_b64 s[18:19], s[18:19]
	s_cbranch_execz .LBB80_366
; %bb.365:
	v_div_scale_f64 v[98:99], s[20:21], v[117:118], v[117:118], v[119:120]
	v_rcp_f64_e32 v[100:101], v[98:99]
	v_fma_f64 v[102:103], -v[98:99], v[100:101], 1.0
	v_fma_f64 v[100:101], v[100:101], v[102:103], v[100:101]
	v_div_scale_f64 v[102:103], vcc, v[119:120], v[117:118], v[119:120]
	v_fma_f64 v[104:105], -v[98:99], v[100:101], 1.0
	v_fma_f64 v[100:101], v[100:101], v[104:105], v[100:101]
	v_mul_f64 v[104:105], v[102:103], v[100:101]
	v_fma_f64 v[98:99], -v[98:99], v[104:105], v[102:103]
	v_div_fmas_f64 v[98:99], v[98:99], v[100:101], v[104:105]
	v_div_fixup_f64 v[98:99], v[98:99], v[117:118], v[119:120]
	v_fma_f64 v[100:101], v[119:120], v[98:99], v[117:118]
	v_div_scale_f64 v[102:103], s[20:21], v[100:101], v[100:101], 1.0
	v_div_scale_f64 v[108:109], vcc, 1.0, v[100:101], 1.0
	v_rcp_f64_e32 v[104:105], v[102:103]
	v_fma_f64 v[106:107], -v[102:103], v[104:105], 1.0
	v_fma_f64 v[104:105], v[104:105], v[106:107], v[104:105]
	v_fma_f64 v[106:107], -v[102:103], v[104:105], 1.0
	v_fma_f64 v[104:105], v[104:105], v[106:107], v[104:105]
	v_mul_f64 v[106:107], v[108:109], v[104:105]
	v_fma_f64 v[102:103], -v[102:103], v[106:107], v[108:109]
	v_div_fmas_f64 v[102:103], v[102:103], v[104:105], v[106:107]
	v_div_fixup_f64 v[117:118], v[102:103], v[100:101], 1.0
	v_mul_f64 v[119:120], v[98:99], -v[117:118]
.LBB80_366:
	s_or_b64 exec, exec, s[18:19]
.LBB80_367:
	s_or_b64 exec, exec, s[0:1]
	v_cmp_ne_u32_e32 vcc, v96, v97
	s_and_saveexec_b64 s[0:1], vcc
	s_xor_b64 s[0:1], exec, s[0:1]
	s_cbranch_execz .LBB80_373
; %bb.368:
	v_cmp_eq_u32_e32 vcc, 17, v96
	s_and_saveexec_b64 s[18:19], vcc
	s_cbranch_execz .LBB80_372
; %bb.369:
	v_cmp_ne_u32_e32 vcc, 17, v97
	s_xor_b64 s[20:21], s[6:7], -1
	s_and_b64 s[22:23], s[20:21], vcc
	s_and_saveexec_b64 s[20:21], s[22:23]
	s_cbranch_execz .LBB80_371
; %bb.370:
	v_ashrrev_i32_e32 v98, 31, v97
	v_lshlrev_b64 v[98:99], 2, v[97:98]
	v_add_co_u32_e32 v98, vcc, v91, v98
	v_addc_co_u32_e32 v99, vcc, v92, v99, vcc
	global_load_dword v0, v[98:99], off
	global_load_dword v96, v[91:92], off offset:68
	s_waitcnt vmcnt(1)
	global_store_dword v[91:92], v0, off offset:68
	s_waitcnt vmcnt(1)
	global_store_dword v[98:99], v96, off
.LBB80_371:
	s_or_b64 exec, exec, s[20:21]
	v_mov_b32_e32 v96, v97
	v_mov_b32_e32 v0, v97
.LBB80_372:
	s_or_b64 exec, exec, s[18:19]
.LBB80_373:
	s_andn2_saveexec_b64 s[0:1], s[0:1]
	s_cbranch_execz .LBB80_375
; %bb.374:
	v_mov_b32_e32 v96, 17
	ds_write2_b64 v94, v[85:86], v[87:88] offset0:36 offset1:37
	ds_write2_b64 v94, v[81:82], v[83:84] offset0:38 offset1:39
	ds_write2_b64 v94, v[77:78], v[79:80] offset0:40 offset1:41
	ds_write2_b64 v94, v[73:74], v[75:76] offset0:42 offset1:43
	ds_write2_b64 v94, v[69:70], v[71:72] offset0:44 offset1:45
	ds_write2_b64 v94, v[65:66], v[67:68] offset0:46 offset1:47
	ds_write2_b64 v94, v[61:62], v[63:64] offset0:48 offset1:49
	ds_write2_b64 v94, v[57:58], v[59:60] offset0:50 offset1:51
	ds_write2_b64 v94, v[53:54], v[55:56] offset0:52 offset1:53
	ds_write2_b64 v94, v[49:50], v[51:52] offset0:54 offset1:55
	ds_write2_b64 v94, v[45:46], v[47:48] offset0:56 offset1:57
	ds_write2_b64 v94, v[41:42], v[43:44] offset0:58 offset1:59
	ds_write2_b64 v94, v[37:38], v[39:40] offset0:60 offset1:61
	ds_write2_b64 v94, v[33:34], v[35:36] offset0:62 offset1:63
	ds_write2_b64 v94, v[29:30], v[31:32] offset0:64 offset1:65
	ds_write2_b64 v94, v[25:26], v[27:28] offset0:66 offset1:67
	ds_write2_b64 v94, v[21:22], v[23:24] offset0:68 offset1:69
	ds_write2_b64 v94, v[17:18], v[19:20] offset0:70 offset1:71
	ds_write2_b64 v94, v[13:14], v[15:16] offset0:72 offset1:73
	ds_write2_b64 v94, v[9:10], v[11:12] offset0:74 offset1:75
	ds_write2_b64 v94, v[5:6], v[7:8] offset0:76 offset1:77
	ds_write2_b64 v94, v[1:2], v[3:4] offset0:78 offset1:79
	ds_write2_b64 v94, v[121:122], v[123:124] offset0:80 offset1:81
.LBB80_375:
	s_or_b64 exec, exec, s[0:1]
	v_cmp_lt_i32_e32 vcc, 17, v96
	s_waitcnt vmcnt(0) lgkmcnt(0)
	s_barrier
	s_and_saveexec_b64 s[0:1], vcc
	s_cbranch_execz .LBB80_377
; %bb.376:
	buffer_load_dword v99, off, s[24:27], 0 ; 4-byte Folded Reload
	buffer_load_dword v100, off, s[24:27], 0 offset:4 ; 4-byte Folded Reload
	buffer_load_dword v101, off, s[24:27], 0 offset:8 ; 4-byte Folded Reload
	;; [unrolled: 1-line block ×3, first 2 shown]
	v_mov_b32_e32 v89, v91
	v_mov_b32_e32 v90, v92
	s_waitcnt vmcnt(0)
	v_mul_f64 v[91:92], v[117:118], v[101:102]
	v_mul_f64 v[97:98], v[119:120], v[101:102]
	v_fma_f64 v[101:102], v[119:120], v[99:100], v[91:92]
	v_fma_f64 v[125:126], v[117:118], v[99:100], -v[97:98]
	ds_read2_b64 v[97:100], v94 offset0:36 offset1:37
	v_mov_b32_e32 v92, v90
	v_mov_b32_e32 v91, v89
	s_waitcnt lgkmcnt(0)
	v_mul_f64 v[89:90], v[99:100], v[101:102]
	v_fma_f64 v[89:90], v[97:98], v[125:126], -v[89:90]
	v_mul_f64 v[97:98], v[97:98], v[101:102]
	v_add_f64 v[85:86], v[85:86], -v[89:90]
	v_fma_f64 v[97:98], v[99:100], v[125:126], v[97:98]
	v_add_f64 v[87:88], v[87:88], -v[97:98]
	ds_read2_b64 v[97:100], v94 offset0:38 offset1:39
	s_waitcnt lgkmcnt(0)
	v_mul_f64 v[89:90], v[99:100], v[101:102]
	v_fma_f64 v[89:90], v[97:98], v[125:126], -v[89:90]
	v_mul_f64 v[97:98], v[97:98], v[101:102]
	v_add_f64 v[81:82], v[81:82], -v[89:90]
	v_fma_f64 v[97:98], v[99:100], v[125:126], v[97:98]
	v_add_f64 v[83:84], v[83:84], -v[97:98]
	ds_read2_b64 v[97:100], v94 offset0:40 offset1:41
	;; [unrolled: 8-line block ×22, first 2 shown]
	s_waitcnt lgkmcnt(0)
	v_mul_f64 v[89:90], v[99:100], v[101:102]
	v_fma_f64 v[89:90], v[97:98], v[125:126], -v[89:90]
	v_mul_f64 v[97:98], v[97:98], v[101:102]
	v_add_f64 v[121:122], v[121:122], -v[89:90]
	v_fma_f64 v[97:98], v[99:100], v[125:126], v[97:98]
	v_mov_b32_e32 v99, v125
	v_mov_b32_e32 v100, v126
	buffer_store_dword v99, off, s[24:27], 0 ; 4-byte Folded Spill
	s_nop 0
	buffer_store_dword v100, off, s[24:27], 0 offset:4 ; 4-byte Folded Spill
	buffer_store_dword v101, off, s[24:27], 0 offset:8 ; 4-byte Folded Spill
	buffer_store_dword v102, off, s[24:27], 0 offset:12 ; 4-byte Folded Spill
	v_add_f64 v[123:124], v[123:124], -v[97:98]
.LBB80_377:
	s_or_b64 exec, exec, s[0:1]
	v_lshl_add_u32 v97, v96, 4, v94
	s_waitcnt vmcnt(0)
	s_barrier
	ds_write2_b64 v97, v[85:86], v[87:88] offset1:1
	s_waitcnt lgkmcnt(0)
	s_barrier
	ds_read2_b64 v[117:120], v94 offset0:36 offset1:37
	s_cmp_lt_i32 s3, 20
	v_mov_b32_e32 v97, 18
	s_cbranch_scc1 .LBB80_380
; %bb.378:
	v_add_u32_e32 v98, 0x130, v94
	s_mov_b32 s0, 19
	v_mov_b32_e32 v97, 18
.LBB80_379:                             ; =>This Inner Loop Header: Depth=1
	s_waitcnt lgkmcnt(0)
	v_cmp_gt_f64_e32 vcc, 0, v[117:118]
	v_xor_b32_e32 v103, 0x80000000, v118
	ds_read2_b64 v[99:102], v98 offset1:1
	v_xor_b32_e32 v105, 0x80000000, v120
	v_add_u32_e32 v98, 16, v98
	s_waitcnt lgkmcnt(0)
	v_xor_b32_e32 v107, 0x80000000, v102
	v_cndmask_b32_e32 v104, v118, v103, vcc
	v_cmp_gt_f64_e32 vcc, 0, v[119:120]
	v_mov_b32_e32 v103, v117
	v_cndmask_b32_e32 v106, v120, v105, vcc
	v_cmp_gt_f64_e32 vcc, 0, v[99:100]
	v_mov_b32_e32 v105, v119
	v_add_f64 v[103:104], v[103:104], v[105:106]
	v_xor_b32_e32 v105, 0x80000000, v100
	v_cndmask_b32_e32 v106, v100, v105, vcc
	v_cmp_gt_f64_e32 vcc, 0, v[101:102]
	v_mov_b32_e32 v105, v99
	v_cndmask_b32_e32 v108, v102, v107, vcc
	v_mov_b32_e32 v107, v101
	v_add_f64 v[105:106], v[105:106], v[107:108]
	v_cmp_lt_f64_e32 vcc, v[103:104], v[105:106]
	v_cndmask_b32_e32 v117, v117, v99, vcc
	v_mov_b32_e32 v99, s0
	s_add_i32 s0, s0, 1
	v_cndmask_b32_e32 v118, v118, v100, vcc
	v_cndmask_b32_e32 v120, v120, v102, vcc
	;; [unrolled: 1-line block ×4, first 2 shown]
	s_cmp_lg_u32 s3, s0
	s_cbranch_scc1 .LBB80_379
.LBB80_380:
	s_waitcnt lgkmcnt(0)
	v_cmp_eq_f64_e32 vcc, 0, v[117:118]
	v_cmp_eq_f64_e64 s[0:1], 0, v[119:120]
	s_and_b64 s[0:1], vcc, s[0:1]
	s_and_saveexec_b64 s[18:19], s[0:1]
	s_xor_b64 s[0:1], exec, s[18:19]
; %bb.381:
	v_cmp_ne_u32_e32 vcc, 0, v95
	v_cndmask_b32_e32 v95, 19, v95, vcc
; %bb.382:
	s_andn2_saveexec_b64 s[0:1], s[0:1]
	s_cbranch_execz .LBB80_388
; %bb.383:
	v_cmp_ngt_f64_e64 s[18:19], |v[117:118]|, |v[119:120]|
	s_and_saveexec_b64 s[20:21], s[18:19]
	s_xor_b64 s[18:19], exec, s[20:21]
	s_cbranch_execz .LBB80_385
; %bb.384:
	v_div_scale_f64 v[98:99], s[20:21], v[119:120], v[119:120], v[117:118]
	v_rcp_f64_e32 v[100:101], v[98:99]
	v_fma_f64 v[102:103], -v[98:99], v[100:101], 1.0
	v_fma_f64 v[100:101], v[100:101], v[102:103], v[100:101]
	v_div_scale_f64 v[102:103], vcc, v[117:118], v[119:120], v[117:118]
	v_fma_f64 v[104:105], -v[98:99], v[100:101], 1.0
	v_fma_f64 v[100:101], v[100:101], v[104:105], v[100:101]
	v_mul_f64 v[104:105], v[102:103], v[100:101]
	v_fma_f64 v[98:99], -v[98:99], v[104:105], v[102:103]
	v_div_fmas_f64 v[98:99], v[98:99], v[100:101], v[104:105]
	v_div_fixup_f64 v[98:99], v[98:99], v[119:120], v[117:118]
	v_fma_f64 v[100:101], v[117:118], v[98:99], v[119:120]
	v_div_scale_f64 v[102:103], s[20:21], v[100:101], v[100:101], 1.0
	v_div_scale_f64 v[108:109], vcc, 1.0, v[100:101], 1.0
	v_rcp_f64_e32 v[104:105], v[102:103]
	v_fma_f64 v[106:107], -v[102:103], v[104:105], 1.0
	v_fma_f64 v[104:105], v[104:105], v[106:107], v[104:105]
	v_fma_f64 v[106:107], -v[102:103], v[104:105], 1.0
	v_fma_f64 v[104:105], v[104:105], v[106:107], v[104:105]
	v_mul_f64 v[106:107], v[108:109], v[104:105]
	v_fma_f64 v[102:103], -v[102:103], v[106:107], v[108:109]
	v_div_fmas_f64 v[102:103], v[102:103], v[104:105], v[106:107]
	v_div_fixup_f64 v[119:120], v[102:103], v[100:101], 1.0
	v_mul_f64 v[117:118], v[98:99], v[119:120]
	v_xor_b32_e32 v120, 0x80000000, v120
.LBB80_385:
	s_andn2_saveexec_b64 s[18:19], s[18:19]
	s_cbranch_execz .LBB80_387
; %bb.386:
	v_div_scale_f64 v[98:99], s[20:21], v[117:118], v[117:118], v[119:120]
	v_rcp_f64_e32 v[100:101], v[98:99]
	v_fma_f64 v[102:103], -v[98:99], v[100:101], 1.0
	v_fma_f64 v[100:101], v[100:101], v[102:103], v[100:101]
	v_div_scale_f64 v[102:103], vcc, v[119:120], v[117:118], v[119:120]
	v_fma_f64 v[104:105], -v[98:99], v[100:101], 1.0
	v_fma_f64 v[100:101], v[100:101], v[104:105], v[100:101]
	v_mul_f64 v[104:105], v[102:103], v[100:101]
	v_fma_f64 v[98:99], -v[98:99], v[104:105], v[102:103]
	v_div_fmas_f64 v[98:99], v[98:99], v[100:101], v[104:105]
	v_div_fixup_f64 v[98:99], v[98:99], v[117:118], v[119:120]
	v_fma_f64 v[100:101], v[119:120], v[98:99], v[117:118]
	v_div_scale_f64 v[102:103], s[20:21], v[100:101], v[100:101], 1.0
	v_div_scale_f64 v[108:109], vcc, 1.0, v[100:101], 1.0
	v_rcp_f64_e32 v[104:105], v[102:103]
	v_fma_f64 v[106:107], -v[102:103], v[104:105], 1.0
	v_fma_f64 v[104:105], v[104:105], v[106:107], v[104:105]
	v_fma_f64 v[106:107], -v[102:103], v[104:105], 1.0
	v_fma_f64 v[104:105], v[104:105], v[106:107], v[104:105]
	v_mul_f64 v[106:107], v[108:109], v[104:105]
	v_fma_f64 v[102:103], -v[102:103], v[106:107], v[108:109]
	v_div_fmas_f64 v[102:103], v[102:103], v[104:105], v[106:107]
	v_div_fixup_f64 v[117:118], v[102:103], v[100:101], 1.0
	v_mul_f64 v[119:120], v[98:99], -v[117:118]
.LBB80_387:
	s_or_b64 exec, exec, s[18:19]
.LBB80_388:
	s_or_b64 exec, exec, s[0:1]
	v_cmp_ne_u32_e32 vcc, v96, v97
	s_and_saveexec_b64 s[0:1], vcc
	s_xor_b64 s[0:1], exec, s[0:1]
	s_cbranch_execz .LBB80_394
; %bb.389:
	v_cmp_eq_u32_e32 vcc, 18, v96
	s_and_saveexec_b64 s[18:19], vcc
	s_cbranch_execz .LBB80_393
; %bb.390:
	v_cmp_ne_u32_e32 vcc, 18, v97
	s_xor_b64 s[20:21], s[6:7], -1
	s_and_b64 s[22:23], s[20:21], vcc
	s_and_saveexec_b64 s[20:21], s[22:23]
	s_cbranch_execz .LBB80_392
; %bb.391:
	v_ashrrev_i32_e32 v98, 31, v97
	v_lshlrev_b64 v[98:99], 2, v[97:98]
	v_add_co_u32_e32 v98, vcc, v91, v98
	v_addc_co_u32_e32 v99, vcc, v92, v99, vcc
	global_load_dword v0, v[98:99], off
	global_load_dword v96, v[91:92], off offset:72
	s_waitcnt vmcnt(1)
	global_store_dword v[91:92], v0, off offset:72
	s_waitcnt vmcnt(1)
	global_store_dword v[98:99], v96, off
.LBB80_392:
	s_or_b64 exec, exec, s[20:21]
	v_mov_b32_e32 v96, v97
	v_mov_b32_e32 v0, v97
.LBB80_393:
	s_or_b64 exec, exec, s[18:19]
.LBB80_394:
	s_andn2_saveexec_b64 s[0:1], s[0:1]
	s_cbranch_execz .LBB80_396
; %bb.395:
	v_mov_b32_e32 v96, 18
	ds_write2_b64 v94, v[81:82], v[83:84] offset0:38 offset1:39
	ds_write2_b64 v94, v[77:78], v[79:80] offset0:40 offset1:41
	;; [unrolled: 1-line block ×22, first 2 shown]
.LBB80_396:
	s_or_b64 exec, exec, s[0:1]
	v_cmp_lt_i32_e32 vcc, 18, v96
	s_waitcnt vmcnt(0) lgkmcnt(0)
	s_barrier
	s_and_saveexec_b64 s[0:1], vcc
	s_cbranch_execz .LBB80_398
; %bb.397:
	v_mul_f64 v[97:98], v[119:120], v[87:88]
	v_mul_f64 v[87:88], v[117:118], v[87:88]
	v_fma_f64 v[125:126], v[117:118], v[85:86], -v[97:98]
	v_fma_f64 v[87:88], v[119:120], v[85:86], v[87:88]
	ds_read2_b64 v[97:100], v94 offset0:38 offset1:39
	s_waitcnt lgkmcnt(0)
	v_mul_f64 v[85:86], v[99:100], v[87:88]
	v_fma_f64 v[85:86], v[97:98], v[125:126], -v[85:86]
	v_mul_f64 v[97:98], v[97:98], v[87:88]
	v_add_f64 v[81:82], v[81:82], -v[85:86]
	v_fma_f64 v[97:98], v[99:100], v[125:126], v[97:98]
	v_add_f64 v[83:84], v[83:84], -v[97:98]
	ds_read2_b64 v[97:100], v94 offset0:40 offset1:41
	s_waitcnt lgkmcnt(0)
	v_mul_f64 v[85:86], v[99:100], v[87:88]
	v_fma_f64 v[85:86], v[97:98], v[125:126], -v[85:86]
	v_mul_f64 v[97:98], v[97:98], v[87:88]
	v_add_f64 v[77:78], v[77:78], -v[85:86]
	v_fma_f64 v[97:98], v[99:100], v[125:126], v[97:98]
	v_add_f64 v[79:80], v[79:80], -v[97:98]
	ds_read2_b64 v[97:100], v94 offset0:42 offset1:43
	s_waitcnt lgkmcnt(0)
	v_mul_f64 v[85:86], v[99:100], v[87:88]
	v_fma_f64 v[85:86], v[97:98], v[125:126], -v[85:86]
	v_mul_f64 v[97:98], v[97:98], v[87:88]
	v_add_f64 v[73:74], v[73:74], -v[85:86]
	v_fma_f64 v[97:98], v[99:100], v[125:126], v[97:98]
	v_add_f64 v[75:76], v[75:76], -v[97:98]
	ds_read2_b64 v[97:100], v94 offset0:44 offset1:45
	s_waitcnt lgkmcnt(0)
	v_mul_f64 v[85:86], v[99:100], v[87:88]
	v_fma_f64 v[85:86], v[97:98], v[125:126], -v[85:86]
	v_mul_f64 v[97:98], v[97:98], v[87:88]
	v_add_f64 v[69:70], v[69:70], -v[85:86]
	v_fma_f64 v[97:98], v[99:100], v[125:126], v[97:98]
	v_add_f64 v[71:72], v[71:72], -v[97:98]
	ds_read2_b64 v[97:100], v94 offset0:46 offset1:47
	s_waitcnt lgkmcnt(0)
	v_mul_f64 v[85:86], v[99:100], v[87:88]
	v_fma_f64 v[85:86], v[97:98], v[125:126], -v[85:86]
	v_mul_f64 v[97:98], v[97:98], v[87:88]
	v_add_f64 v[65:66], v[65:66], -v[85:86]
	v_fma_f64 v[97:98], v[99:100], v[125:126], v[97:98]
	v_add_f64 v[67:68], v[67:68], -v[97:98]
	ds_read2_b64 v[97:100], v94 offset0:48 offset1:49
	s_waitcnt lgkmcnt(0)
	v_mul_f64 v[85:86], v[99:100], v[87:88]
	v_fma_f64 v[85:86], v[97:98], v[125:126], -v[85:86]
	v_mul_f64 v[97:98], v[97:98], v[87:88]
	v_add_f64 v[61:62], v[61:62], -v[85:86]
	v_fma_f64 v[97:98], v[99:100], v[125:126], v[97:98]
	v_add_f64 v[63:64], v[63:64], -v[97:98]
	ds_read2_b64 v[97:100], v94 offset0:50 offset1:51
	s_waitcnt lgkmcnt(0)
	v_mul_f64 v[85:86], v[99:100], v[87:88]
	v_fma_f64 v[85:86], v[97:98], v[125:126], -v[85:86]
	v_mul_f64 v[97:98], v[97:98], v[87:88]
	v_add_f64 v[57:58], v[57:58], -v[85:86]
	v_fma_f64 v[97:98], v[99:100], v[125:126], v[97:98]
	v_add_f64 v[59:60], v[59:60], -v[97:98]
	ds_read2_b64 v[97:100], v94 offset0:52 offset1:53
	s_waitcnt lgkmcnt(0)
	v_mul_f64 v[85:86], v[99:100], v[87:88]
	v_fma_f64 v[85:86], v[97:98], v[125:126], -v[85:86]
	v_mul_f64 v[97:98], v[97:98], v[87:88]
	v_add_f64 v[53:54], v[53:54], -v[85:86]
	v_fma_f64 v[97:98], v[99:100], v[125:126], v[97:98]
	v_add_f64 v[55:56], v[55:56], -v[97:98]
	ds_read2_b64 v[97:100], v94 offset0:54 offset1:55
	s_waitcnt lgkmcnt(0)
	v_mul_f64 v[85:86], v[99:100], v[87:88]
	v_fma_f64 v[85:86], v[97:98], v[125:126], -v[85:86]
	v_mul_f64 v[97:98], v[97:98], v[87:88]
	v_add_f64 v[49:50], v[49:50], -v[85:86]
	v_fma_f64 v[97:98], v[99:100], v[125:126], v[97:98]
	v_add_f64 v[51:52], v[51:52], -v[97:98]
	ds_read2_b64 v[97:100], v94 offset0:56 offset1:57
	s_waitcnt lgkmcnt(0)
	v_mul_f64 v[85:86], v[99:100], v[87:88]
	v_fma_f64 v[85:86], v[97:98], v[125:126], -v[85:86]
	v_mul_f64 v[97:98], v[97:98], v[87:88]
	v_add_f64 v[45:46], v[45:46], -v[85:86]
	v_fma_f64 v[97:98], v[99:100], v[125:126], v[97:98]
	v_add_f64 v[47:48], v[47:48], -v[97:98]
	ds_read2_b64 v[97:100], v94 offset0:58 offset1:59
	s_waitcnt lgkmcnt(0)
	v_mul_f64 v[85:86], v[99:100], v[87:88]
	v_fma_f64 v[85:86], v[97:98], v[125:126], -v[85:86]
	v_mul_f64 v[97:98], v[97:98], v[87:88]
	v_add_f64 v[41:42], v[41:42], -v[85:86]
	v_fma_f64 v[97:98], v[99:100], v[125:126], v[97:98]
	v_add_f64 v[43:44], v[43:44], -v[97:98]
	ds_read2_b64 v[97:100], v94 offset0:60 offset1:61
	s_waitcnt lgkmcnt(0)
	v_mul_f64 v[85:86], v[99:100], v[87:88]
	v_fma_f64 v[85:86], v[97:98], v[125:126], -v[85:86]
	v_mul_f64 v[97:98], v[97:98], v[87:88]
	v_add_f64 v[37:38], v[37:38], -v[85:86]
	v_fma_f64 v[97:98], v[99:100], v[125:126], v[97:98]
	v_add_f64 v[39:40], v[39:40], -v[97:98]
	ds_read2_b64 v[97:100], v94 offset0:62 offset1:63
	s_waitcnt lgkmcnt(0)
	v_mul_f64 v[85:86], v[99:100], v[87:88]
	v_fma_f64 v[85:86], v[97:98], v[125:126], -v[85:86]
	v_mul_f64 v[97:98], v[97:98], v[87:88]
	v_add_f64 v[33:34], v[33:34], -v[85:86]
	v_fma_f64 v[97:98], v[99:100], v[125:126], v[97:98]
	v_add_f64 v[35:36], v[35:36], -v[97:98]
	ds_read2_b64 v[97:100], v94 offset0:64 offset1:65
	s_waitcnt lgkmcnt(0)
	v_mul_f64 v[85:86], v[99:100], v[87:88]
	v_fma_f64 v[85:86], v[97:98], v[125:126], -v[85:86]
	v_mul_f64 v[97:98], v[97:98], v[87:88]
	v_add_f64 v[29:30], v[29:30], -v[85:86]
	v_fma_f64 v[97:98], v[99:100], v[125:126], v[97:98]
	v_add_f64 v[31:32], v[31:32], -v[97:98]
	ds_read2_b64 v[97:100], v94 offset0:66 offset1:67
	s_waitcnt lgkmcnt(0)
	v_mul_f64 v[85:86], v[99:100], v[87:88]
	v_fma_f64 v[85:86], v[97:98], v[125:126], -v[85:86]
	v_mul_f64 v[97:98], v[97:98], v[87:88]
	v_add_f64 v[25:26], v[25:26], -v[85:86]
	v_fma_f64 v[97:98], v[99:100], v[125:126], v[97:98]
	v_add_f64 v[27:28], v[27:28], -v[97:98]
	ds_read2_b64 v[97:100], v94 offset0:68 offset1:69
	s_waitcnt lgkmcnt(0)
	v_mul_f64 v[85:86], v[99:100], v[87:88]
	v_fma_f64 v[85:86], v[97:98], v[125:126], -v[85:86]
	v_mul_f64 v[97:98], v[97:98], v[87:88]
	v_add_f64 v[21:22], v[21:22], -v[85:86]
	v_fma_f64 v[97:98], v[99:100], v[125:126], v[97:98]
	v_add_f64 v[23:24], v[23:24], -v[97:98]
	ds_read2_b64 v[97:100], v94 offset0:70 offset1:71
	s_waitcnt lgkmcnt(0)
	v_mul_f64 v[85:86], v[99:100], v[87:88]
	v_fma_f64 v[85:86], v[97:98], v[125:126], -v[85:86]
	v_mul_f64 v[97:98], v[97:98], v[87:88]
	v_add_f64 v[17:18], v[17:18], -v[85:86]
	v_fma_f64 v[97:98], v[99:100], v[125:126], v[97:98]
	v_add_f64 v[19:20], v[19:20], -v[97:98]
	ds_read2_b64 v[97:100], v94 offset0:72 offset1:73
	s_waitcnt lgkmcnt(0)
	v_mul_f64 v[85:86], v[99:100], v[87:88]
	v_fma_f64 v[85:86], v[97:98], v[125:126], -v[85:86]
	v_mul_f64 v[97:98], v[97:98], v[87:88]
	v_add_f64 v[13:14], v[13:14], -v[85:86]
	v_fma_f64 v[97:98], v[99:100], v[125:126], v[97:98]
	v_add_f64 v[15:16], v[15:16], -v[97:98]
	ds_read2_b64 v[97:100], v94 offset0:74 offset1:75
	s_waitcnt lgkmcnt(0)
	v_mul_f64 v[85:86], v[99:100], v[87:88]
	v_fma_f64 v[85:86], v[97:98], v[125:126], -v[85:86]
	v_mul_f64 v[97:98], v[97:98], v[87:88]
	v_add_f64 v[9:10], v[9:10], -v[85:86]
	v_fma_f64 v[97:98], v[99:100], v[125:126], v[97:98]
	v_add_f64 v[11:12], v[11:12], -v[97:98]
	ds_read2_b64 v[97:100], v94 offset0:76 offset1:77
	s_waitcnt lgkmcnt(0)
	v_mul_f64 v[85:86], v[99:100], v[87:88]
	v_fma_f64 v[85:86], v[97:98], v[125:126], -v[85:86]
	v_mul_f64 v[97:98], v[97:98], v[87:88]
	v_add_f64 v[5:6], v[5:6], -v[85:86]
	v_fma_f64 v[97:98], v[99:100], v[125:126], v[97:98]
	v_add_f64 v[7:8], v[7:8], -v[97:98]
	ds_read2_b64 v[97:100], v94 offset0:78 offset1:79
	s_waitcnt lgkmcnt(0)
	v_mul_f64 v[85:86], v[99:100], v[87:88]
	v_fma_f64 v[85:86], v[97:98], v[125:126], -v[85:86]
	v_mul_f64 v[97:98], v[97:98], v[87:88]
	v_add_f64 v[1:2], v[1:2], -v[85:86]
	v_fma_f64 v[97:98], v[99:100], v[125:126], v[97:98]
	v_add_f64 v[3:4], v[3:4], -v[97:98]
	ds_read2_b64 v[97:100], v94 offset0:80 offset1:81
	s_waitcnt lgkmcnt(0)
	v_mul_f64 v[85:86], v[99:100], v[87:88]
	v_fma_f64 v[85:86], v[97:98], v[125:126], -v[85:86]
	v_mul_f64 v[97:98], v[97:98], v[87:88]
	v_add_f64 v[121:122], v[121:122], -v[85:86]
	v_fma_f64 v[97:98], v[99:100], v[125:126], v[97:98]
	v_mov_b32_e32 v85, v125
	v_mov_b32_e32 v86, v126
	v_add_f64 v[123:124], v[123:124], -v[97:98]
.LBB80_398:
	s_or_b64 exec, exec, s[0:1]
	v_lshl_add_u32 v97, v96, 4, v94
	s_barrier
	ds_write2_b64 v97, v[81:82], v[83:84] offset1:1
	s_waitcnt lgkmcnt(0)
	s_barrier
	ds_read2_b64 v[117:120], v94 offset0:38 offset1:39
	s_cmp_lt_i32 s3, 21
	v_mov_b32_e32 v97, 19
	s_cbranch_scc1 .LBB80_401
; %bb.399:
	v_add_u32_e32 v98, 0x140, v94
	s_mov_b32 s0, 20
	v_mov_b32_e32 v97, 19
.LBB80_400:                             ; =>This Inner Loop Header: Depth=1
	s_waitcnt lgkmcnt(0)
	v_cmp_gt_f64_e32 vcc, 0, v[117:118]
	v_xor_b32_e32 v103, 0x80000000, v118
	ds_read2_b64 v[99:102], v98 offset1:1
	v_xor_b32_e32 v105, 0x80000000, v120
	v_add_u32_e32 v98, 16, v98
	s_waitcnt lgkmcnt(0)
	v_xor_b32_e32 v107, 0x80000000, v102
	v_cndmask_b32_e32 v104, v118, v103, vcc
	v_cmp_gt_f64_e32 vcc, 0, v[119:120]
	v_mov_b32_e32 v103, v117
	v_cndmask_b32_e32 v106, v120, v105, vcc
	v_cmp_gt_f64_e32 vcc, 0, v[99:100]
	v_mov_b32_e32 v105, v119
	v_add_f64 v[103:104], v[103:104], v[105:106]
	v_xor_b32_e32 v105, 0x80000000, v100
	v_cndmask_b32_e32 v106, v100, v105, vcc
	v_cmp_gt_f64_e32 vcc, 0, v[101:102]
	v_mov_b32_e32 v105, v99
	v_cndmask_b32_e32 v108, v102, v107, vcc
	v_mov_b32_e32 v107, v101
	v_add_f64 v[105:106], v[105:106], v[107:108]
	v_cmp_lt_f64_e32 vcc, v[103:104], v[105:106]
	v_cndmask_b32_e32 v117, v117, v99, vcc
	v_mov_b32_e32 v99, s0
	s_add_i32 s0, s0, 1
	v_cndmask_b32_e32 v118, v118, v100, vcc
	v_cndmask_b32_e32 v120, v120, v102, vcc
	;; [unrolled: 1-line block ×4, first 2 shown]
	s_cmp_lg_u32 s3, s0
	s_cbranch_scc1 .LBB80_400
.LBB80_401:
	s_waitcnt lgkmcnt(0)
	v_cmp_eq_f64_e32 vcc, 0, v[117:118]
	v_cmp_eq_f64_e64 s[0:1], 0, v[119:120]
	s_and_b64 s[0:1], vcc, s[0:1]
	s_and_saveexec_b64 s[18:19], s[0:1]
	s_xor_b64 s[0:1], exec, s[18:19]
; %bb.402:
	v_cmp_ne_u32_e32 vcc, 0, v95
	v_cndmask_b32_e32 v95, 20, v95, vcc
; %bb.403:
	s_andn2_saveexec_b64 s[0:1], s[0:1]
	s_cbranch_execz .LBB80_409
; %bb.404:
	v_cmp_ngt_f64_e64 s[18:19], |v[117:118]|, |v[119:120]|
	s_and_saveexec_b64 s[20:21], s[18:19]
	s_xor_b64 s[18:19], exec, s[20:21]
	s_cbranch_execz .LBB80_406
; %bb.405:
	v_div_scale_f64 v[98:99], s[20:21], v[119:120], v[119:120], v[117:118]
	v_rcp_f64_e32 v[100:101], v[98:99]
	v_fma_f64 v[102:103], -v[98:99], v[100:101], 1.0
	v_fma_f64 v[100:101], v[100:101], v[102:103], v[100:101]
	v_div_scale_f64 v[102:103], vcc, v[117:118], v[119:120], v[117:118]
	v_fma_f64 v[104:105], -v[98:99], v[100:101], 1.0
	v_fma_f64 v[100:101], v[100:101], v[104:105], v[100:101]
	v_mul_f64 v[104:105], v[102:103], v[100:101]
	v_fma_f64 v[98:99], -v[98:99], v[104:105], v[102:103]
	v_div_fmas_f64 v[98:99], v[98:99], v[100:101], v[104:105]
	v_div_fixup_f64 v[98:99], v[98:99], v[119:120], v[117:118]
	v_fma_f64 v[100:101], v[117:118], v[98:99], v[119:120]
	v_div_scale_f64 v[102:103], s[20:21], v[100:101], v[100:101], 1.0
	v_div_scale_f64 v[108:109], vcc, 1.0, v[100:101], 1.0
	v_rcp_f64_e32 v[104:105], v[102:103]
	v_fma_f64 v[106:107], -v[102:103], v[104:105], 1.0
	v_fma_f64 v[104:105], v[104:105], v[106:107], v[104:105]
	v_fma_f64 v[106:107], -v[102:103], v[104:105], 1.0
	v_fma_f64 v[104:105], v[104:105], v[106:107], v[104:105]
	v_mul_f64 v[106:107], v[108:109], v[104:105]
	v_fma_f64 v[102:103], -v[102:103], v[106:107], v[108:109]
	v_div_fmas_f64 v[102:103], v[102:103], v[104:105], v[106:107]
	v_div_fixup_f64 v[119:120], v[102:103], v[100:101], 1.0
	v_mul_f64 v[117:118], v[98:99], v[119:120]
	v_xor_b32_e32 v120, 0x80000000, v120
.LBB80_406:
	s_andn2_saveexec_b64 s[18:19], s[18:19]
	s_cbranch_execz .LBB80_408
; %bb.407:
	v_div_scale_f64 v[98:99], s[20:21], v[117:118], v[117:118], v[119:120]
	v_rcp_f64_e32 v[100:101], v[98:99]
	v_fma_f64 v[102:103], -v[98:99], v[100:101], 1.0
	v_fma_f64 v[100:101], v[100:101], v[102:103], v[100:101]
	v_div_scale_f64 v[102:103], vcc, v[119:120], v[117:118], v[119:120]
	v_fma_f64 v[104:105], -v[98:99], v[100:101], 1.0
	v_fma_f64 v[100:101], v[100:101], v[104:105], v[100:101]
	v_mul_f64 v[104:105], v[102:103], v[100:101]
	v_fma_f64 v[98:99], -v[98:99], v[104:105], v[102:103]
	v_div_fmas_f64 v[98:99], v[98:99], v[100:101], v[104:105]
	v_div_fixup_f64 v[98:99], v[98:99], v[117:118], v[119:120]
	v_fma_f64 v[100:101], v[119:120], v[98:99], v[117:118]
	v_div_scale_f64 v[102:103], s[20:21], v[100:101], v[100:101], 1.0
	v_div_scale_f64 v[108:109], vcc, 1.0, v[100:101], 1.0
	v_rcp_f64_e32 v[104:105], v[102:103]
	v_fma_f64 v[106:107], -v[102:103], v[104:105], 1.0
	v_fma_f64 v[104:105], v[104:105], v[106:107], v[104:105]
	v_fma_f64 v[106:107], -v[102:103], v[104:105], 1.0
	v_fma_f64 v[104:105], v[104:105], v[106:107], v[104:105]
	v_mul_f64 v[106:107], v[108:109], v[104:105]
	v_fma_f64 v[102:103], -v[102:103], v[106:107], v[108:109]
	v_div_fmas_f64 v[102:103], v[102:103], v[104:105], v[106:107]
	v_div_fixup_f64 v[117:118], v[102:103], v[100:101], 1.0
	v_mul_f64 v[119:120], v[98:99], -v[117:118]
.LBB80_408:
	s_or_b64 exec, exec, s[18:19]
.LBB80_409:
	s_or_b64 exec, exec, s[0:1]
	v_cmp_ne_u32_e32 vcc, v96, v97
	s_and_saveexec_b64 s[0:1], vcc
	s_xor_b64 s[0:1], exec, s[0:1]
	s_cbranch_execz .LBB80_415
; %bb.410:
	v_cmp_eq_u32_e32 vcc, 19, v96
	s_and_saveexec_b64 s[18:19], vcc
	s_cbranch_execz .LBB80_414
; %bb.411:
	v_cmp_ne_u32_e32 vcc, 19, v97
	s_xor_b64 s[20:21], s[6:7], -1
	s_and_b64 s[22:23], s[20:21], vcc
	s_and_saveexec_b64 s[20:21], s[22:23]
	s_cbranch_execz .LBB80_413
; %bb.412:
	v_ashrrev_i32_e32 v98, 31, v97
	v_lshlrev_b64 v[98:99], 2, v[97:98]
	v_add_co_u32_e32 v98, vcc, v91, v98
	v_addc_co_u32_e32 v99, vcc, v92, v99, vcc
	global_load_dword v0, v[98:99], off
	global_load_dword v96, v[91:92], off offset:76
	s_waitcnt vmcnt(1)
	global_store_dword v[91:92], v0, off offset:76
	s_waitcnt vmcnt(1)
	global_store_dword v[98:99], v96, off
.LBB80_413:
	s_or_b64 exec, exec, s[20:21]
	v_mov_b32_e32 v96, v97
	v_mov_b32_e32 v0, v97
.LBB80_414:
	s_or_b64 exec, exec, s[18:19]
.LBB80_415:
	s_andn2_saveexec_b64 s[0:1], s[0:1]
	s_cbranch_execz .LBB80_417
; %bb.416:
	v_mov_b32_e32 v96, 19
	ds_write2_b64 v94, v[77:78], v[79:80] offset0:40 offset1:41
	ds_write2_b64 v94, v[73:74], v[75:76] offset0:42 offset1:43
	ds_write2_b64 v94, v[69:70], v[71:72] offset0:44 offset1:45
	ds_write2_b64 v94, v[65:66], v[67:68] offset0:46 offset1:47
	ds_write2_b64 v94, v[61:62], v[63:64] offset0:48 offset1:49
	ds_write2_b64 v94, v[57:58], v[59:60] offset0:50 offset1:51
	ds_write2_b64 v94, v[53:54], v[55:56] offset0:52 offset1:53
	ds_write2_b64 v94, v[49:50], v[51:52] offset0:54 offset1:55
	ds_write2_b64 v94, v[45:46], v[47:48] offset0:56 offset1:57
	ds_write2_b64 v94, v[41:42], v[43:44] offset0:58 offset1:59
	ds_write2_b64 v94, v[37:38], v[39:40] offset0:60 offset1:61
	ds_write2_b64 v94, v[33:34], v[35:36] offset0:62 offset1:63
	ds_write2_b64 v94, v[29:30], v[31:32] offset0:64 offset1:65
	ds_write2_b64 v94, v[25:26], v[27:28] offset0:66 offset1:67
	ds_write2_b64 v94, v[21:22], v[23:24] offset0:68 offset1:69
	ds_write2_b64 v94, v[17:18], v[19:20] offset0:70 offset1:71
	ds_write2_b64 v94, v[13:14], v[15:16] offset0:72 offset1:73
	ds_write2_b64 v94, v[9:10], v[11:12] offset0:74 offset1:75
	ds_write2_b64 v94, v[5:6], v[7:8] offset0:76 offset1:77
	ds_write2_b64 v94, v[1:2], v[3:4] offset0:78 offset1:79
	ds_write2_b64 v94, v[121:122], v[123:124] offset0:80 offset1:81
.LBB80_417:
	s_or_b64 exec, exec, s[0:1]
	v_cmp_lt_i32_e32 vcc, 19, v96
	s_waitcnt vmcnt(0) lgkmcnt(0)
	s_barrier
	s_and_saveexec_b64 s[0:1], vcc
	s_cbranch_execz .LBB80_419
; %bb.418:
	v_mul_f64 v[97:98], v[119:120], v[83:84]
	v_mul_f64 v[83:84], v[117:118], v[83:84]
	v_fma_f64 v[125:126], v[117:118], v[81:82], -v[97:98]
	v_fma_f64 v[83:84], v[119:120], v[81:82], v[83:84]
	ds_read2_b64 v[97:100], v94 offset0:40 offset1:41
	s_waitcnt lgkmcnt(0)
	v_mul_f64 v[81:82], v[99:100], v[83:84]
	v_fma_f64 v[81:82], v[97:98], v[125:126], -v[81:82]
	v_mul_f64 v[97:98], v[97:98], v[83:84]
	v_add_f64 v[77:78], v[77:78], -v[81:82]
	v_fma_f64 v[97:98], v[99:100], v[125:126], v[97:98]
	v_add_f64 v[79:80], v[79:80], -v[97:98]
	ds_read2_b64 v[97:100], v94 offset0:42 offset1:43
	s_waitcnt lgkmcnt(0)
	v_mul_f64 v[81:82], v[99:100], v[83:84]
	v_fma_f64 v[81:82], v[97:98], v[125:126], -v[81:82]
	v_mul_f64 v[97:98], v[97:98], v[83:84]
	v_add_f64 v[73:74], v[73:74], -v[81:82]
	v_fma_f64 v[97:98], v[99:100], v[125:126], v[97:98]
	v_add_f64 v[75:76], v[75:76], -v[97:98]
	;; [unrolled: 8-line block ×20, first 2 shown]
	ds_read2_b64 v[97:100], v94 offset0:80 offset1:81
	s_waitcnt lgkmcnt(0)
	v_mul_f64 v[81:82], v[99:100], v[83:84]
	v_fma_f64 v[81:82], v[97:98], v[125:126], -v[81:82]
	v_mul_f64 v[97:98], v[97:98], v[83:84]
	v_add_f64 v[121:122], v[121:122], -v[81:82]
	v_fma_f64 v[97:98], v[99:100], v[125:126], v[97:98]
	v_mov_b32_e32 v81, v125
	v_mov_b32_e32 v82, v126
	v_add_f64 v[123:124], v[123:124], -v[97:98]
.LBB80_419:
	s_or_b64 exec, exec, s[0:1]
	v_lshl_add_u32 v97, v96, 4, v94
	s_barrier
	ds_write2_b64 v97, v[77:78], v[79:80] offset1:1
	s_waitcnt lgkmcnt(0)
	s_barrier
	ds_read2_b64 v[117:120], v94 offset0:40 offset1:41
	s_cmp_lt_i32 s3, 22
	v_mov_b32_e32 v97, 20
	s_cbranch_scc1 .LBB80_422
; %bb.420:
	v_add_u32_e32 v98, 0x150, v94
	s_mov_b32 s0, 21
	v_mov_b32_e32 v97, 20
.LBB80_421:                             ; =>This Inner Loop Header: Depth=1
	s_waitcnt lgkmcnt(0)
	v_cmp_gt_f64_e32 vcc, 0, v[117:118]
	v_xor_b32_e32 v103, 0x80000000, v118
	ds_read2_b64 v[99:102], v98 offset1:1
	v_xor_b32_e32 v105, 0x80000000, v120
	v_add_u32_e32 v98, 16, v98
	s_waitcnt lgkmcnt(0)
	v_xor_b32_e32 v107, 0x80000000, v102
	v_cndmask_b32_e32 v104, v118, v103, vcc
	v_cmp_gt_f64_e32 vcc, 0, v[119:120]
	v_mov_b32_e32 v103, v117
	v_cndmask_b32_e32 v106, v120, v105, vcc
	v_cmp_gt_f64_e32 vcc, 0, v[99:100]
	v_mov_b32_e32 v105, v119
	v_add_f64 v[103:104], v[103:104], v[105:106]
	v_xor_b32_e32 v105, 0x80000000, v100
	v_cndmask_b32_e32 v106, v100, v105, vcc
	v_cmp_gt_f64_e32 vcc, 0, v[101:102]
	v_mov_b32_e32 v105, v99
	v_cndmask_b32_e32 v108, v102, v107, vcc
	v_mov_b32_e32 v107, v101
	v_add_f64 v[105:106], v[105:106], v[107:108]
	v_cmp_lt_f64_e32 vcc, v[103:104], v[105:106]
	v_cndmask_b32_e32 v117, v117, v99, vcc
	v_mov_b32_e32 v99, s0
	s_add_i32 s0, s0, 1
	v_cndmask_b32_e32 v118, v118, v100, vcc
	v_cndmask_b32_e32 v120, v120, v102, vcc
	;; [unrolled: 1-line block ×4, first 2 shown]
	s_cmp_lg_u32 s3, s0
	s_cbranch_scc1 .LBB80_421
.LBB80_422:
	s_waitcnt lgkmcnt(0)
	v_cmp_eq_f64_e32 vcc, 0, v[117:118]
	v_cmp_eq_f64_e64 s[0:1], 0, v[119:120]
	s_and_b64 s[0:1], vcc, s[0:1]
	s_and_saveexec_b64 s[18:19], s[0:1]
	s_xor_b64 s[0:1], exec, s[18:19]
; %bb.423:
	v_cmp_ne_u32_e32 vcc, 0, v95
	v_cndmask_b32_e32 v95, 21, v95, vcc
; %bb.424:
	s_andn2_saveexec_b64 s[0:1], s[0:1]
	s_cbranch_execz .LBB80_430
; %bb.425:
	v_cmp_ngt_f64_e64 s[18:19], |v[117:118]|, |v[119:120]|
	s_and_saveexec_b64 s[20:21], s[18:19]
	s_xor_b64 s[18:19], exec, s[20:21]
	s_cbranch_execz .LBB80_427
; %bb.426:
	v_div_scale_f64 v[98:99], s[20:21], v[119:120], v[119:120], v[117:118]
	v_rcp_f64_e32 v[100:101], v[98:99]
	v_fma_f64 v[102:103], -v[98:99], v[100:101], 1.0
	v_fma_f64 v[100:101], v[100:101], v[102:103], v[100:101]
	v_div_scale_f64 v[102:103], vcc, v[117:118], v[119:120], v[117:118]
	v_fma_f64 v[104:105], -v[98:99], v[100:101], 1.0
	v_fma_f64 v[100:101], v[100:101], v[104:105], v[100:101]
	v_mul_f64 v[104:105], v[102:103], v[100:101]
	v_fma_f64 v[98:99], -v[98:99], v[104:105], v[102:103]
	v_div_fmas_f64 v[98:99], v[98:99], v[100:101], v[104:105]
	v_div_fixup_f64 v[98:99], v[98:99], v[119:120], v[117:118]
	v_fma_f64 v[100:101], v[117:118], v[98:99], v[119:120]
	v_div_scale_f64 v[102:103], s[20:21], v[100:101], v[100:101], 1.0
	v_div_scale_f64 v[108:109], vcc, 1.0, v[100:101], 1.0
	v_rcp_f64_e32 v[104:105], v[102:103]
	v_fma_f64 v[106:107], -v[102:103], v[104:105], 1.0
	v_fma_f64 v[104:105], v[104:105], v[106:107], v[104:105]
	v_fma_f64 v[106:107], -v[102:103], v[104:105], 1.0
	v_fma_f64 v[104:105], v[104:105], v[106:107], v[104:105]
	v_mul_f64 v[106:107], v[108:109], v[104:105]
	v_fma_f64 v[102:103], -v[102:103], v[106:107], v[108:109]
	v_div_fmas_f64 v[102:103], v[102:103], v[104:105], v[106:107]
	v_div_fixup_f64 v[119:120], v[102:103], v[100:101], 1.0
	v_mul_f64 v[117:118], v[98:99], v[119:120]
	v_xor_b32_e32 v120, 0x80000000, v120
.LBB80_427:
	s_andn2_saveexec_b64 s[18:19], s[18:19]
	s_cbranch_execz .LBB80_429
; %bb.428:
	v_div_scale_f64 v[98:99], s[20:21], v[117:118], v[117:118], v[119:120]
	v_rcp_f64_e32 v[100:101], v[98:99]
	v_fma_f64 v[102:103], -v[98:99], v[100:101], 1.0
	v_fma_f64 v[100:101], v[100:101], v[102:103], v[100:101]
	v_div_scale_f64 v[102:103], vcc, v[119:120], v[117:118], v[119:120]
	v_fma_f64 v[104:105], -v[98:99], v[100:101], 1.0
	v_fma_f64 v[100:101], v[100:101], v[104:105], v[100:101]
	v_mul_f64 v[104:105], v[102:103], v[100:101]
	v_fma_f64 v[98:99], -v[98:99], v[104:105], v[102:103]
	v_div_fmas_f64 v[98:99], v[98:99], v[100:101], v[104:105]
	v_div_fixup_f64 v[98:99], v[98:99], v[117:118], v[119:120]
	v_fma_f64 v[100:101], v[119:120], v[98:99], v[117:118]
	v_div_scale_f64 v[102:103], s[20:21], v[100:101], v[100:101], 1.0
	v_div_scale_f64 v[108:109], vcc, 1.0, v[100:101], 1.0
	v_rcp_f64_e32 v[104:105], v[102:103]
	v_fma_f64 v[106:107], -v[102:103], v[104:105], 1.0
	v_fma_f64 v[104:105], v[104:105], v[106:107], v[104:105]
	v_fma_f64 v[106:107], -v[102:103], v[104:105], 1.0
	v_fma_f64 v[104:105], v[104:105], v[106:107], v[104:105]
	v_mul_f64 v[106:107], v[108:109], v[104:105]
	v_fma_f64 v[102:103], -v[102:103], v[106:107], v[108:109]
	v_div_fmas_f64 v[102:103], v[102:103], v[104:105], v[106:107]
	v_div_fixup_f64 v[117:118], v[102:103], v[100:101], 1.0
	v_mul_f64 v[119:120], v[98:99], -v[117:118]
.LBB80_429:
	s_or_b64 exec, exec, s[18:19]
.LBB80_430:
	s_or_b64 exec, exec, s[0:1]
	v_cmp_ne_u32_e32 vcc, v96, v97
	s_and_saveexec_b64 s[0:1], vcc
	s_xor_b64 s[0:1], exec, s[0:1]
	s_cbranch_execz .LBB80_436
; %bb.431:
	v_cmp_eq_u32_e32 vcc, 20, v96
	s_and_saveexec_b64 s[18:19], vcc
	s_cbranch_execz .LBB80_435
; %bb.432:
	v_cmp_ne_u32_e32 vcc, 20, v97
	s_xor_b64 s[20:21], s[6:7], -1
	s_and_b64 s[22:23], s[20:21], vcc
	s_and_saveexec_b64 s[20:21], s[22:23]
	s_cbranch_execz .LBB80_434
; %bb.433:
	v_ashrrev_i32_e32 v98, 31, v97
	v_lshlrev_b64 v[98:99], 2, v[97:98]
	v_add_co_u32_e32 v98, vcc, v91, v98
	v_addc_co_u32_e32 v99, vcc, v92, v99, vcc
	global_load_dword v0, v[98:99], off
	global_load_dword v96, v[91:92], off offset:80
	s_waitcnt vmcnt(1)
	global_store_dword v[91:92], v0, off offset:80
	s_waitcnt vmcnt(1)
	global_store_dword v[98:99], v96, off
.LBB80_434:
	s_or_b64 exec, exec, s[20:21]
	v_mov_b32_e32 v96, v97
	v_mov_b32_e32 v0, v97
.LBB80_435:
	s_or_b64 exec, exec, s[18:19]
.LBB80_436:
	s_andn2_saveexec_b64 s[0:1], s[0:1]
	s_cbranch_execz .LBB80_438
; %bb.437:
	v_mov_b32_e32 v96, 20
	ds_write2_b64 v94, v[73:74], v[75:76] offset0:42 offset1:43
	ds_write2_b64 v94, v[69:70], v[71:72] offset0:44 offset1:45
	;; [unrolled: 1-line block ×20, first 2 shown]
.LBB80_438:
	s_or_b64 exec, exec, s[0:1]
	v_cmp_lt_i32_e32 vcc, 20, v96
	s_waitcnt vmcnt(0) lgkmcnt(0)
	s_barrier
	s_and_saveexec_b64 s[0:1], vcc
	s_cbranch_execz .LBB80_440
; %bb.439:
	v_mul_f64 v[97:98], v[119:120], v[79:80]
	v_mul_f64 v[79:80], v[117:118], v[79:80]
	v_fma_f64 v[125:126], v[117:118], v[77:78], -v[97:98]
	v_fma_f64 v[79:80], v[119:120], v[77:78], v[79:80]
	ds_read2_b64 v[97:100], v94 offset0:42 offset1:43
	s_waitcnt lgkmcnt(0)
	v_mul_f64 v[77:78], v[99:100], v[79:80]
	v_fma_f64 v[77:78], v[97:98], v[125:126], -v[77:78]
	v_mul_f64 v[97:98], v[97:98], v[79:80]
	v_add_f64 v[73:74], v[73:74], -v[77:78]
	v_fma_f64 v[97:98], v[99:100], v[125:126], v[97:98]
	v_add_f64 v[75:76], v[75:76], -v[97:98]
	ds_read2_b64 v[97:100], v94 offset0:44 offset1:45
	s_waitcnt lgkmcnt(0)
	v_mul_f64 v[77:78], v[99:100], v[79:80]
	v_fma_f64 v[77:78], v[97:98], v[125:126], -v[77:78]
	v_mul_f64 v[97:98], v[97:98], v[79:80]
	v_add_f64 v[69:70], v[69:70], -v[77:78]
	v_fma_f64 v[97:98], v[99:100], v[125:126], v[97:98]
	v_add_f64 v[71:72], v[71:72], -v[97:98]
	;; [unrolled: 8-line block ×19, first 2 shown]
	ds_read2_b64 v[97:100], v94 offset0:80 offset1:81
	s_waitcnt lgkmcnt(0)
	v_mul_f64 v[77:78], v[99:100], v[79:80]
	v_fma_f64 v[77:78], v[97:98], v[125:126], -v[77:78]
	v_mul_f64 v[97:98], v[97:98], v[79:80]
	v_add_f64 v[121:122], v[121:122], -v[77:78]
	v_fma_f64 v[97:98], v[99:100], v[125:126], v[97:98]
	v_mov_b32_e32 v77, v125
	v_mov_b32_e32 v78, v126
	v_add_f64 v[123:124], v[123:124], -v[97:98]
.LBB80_440:
	s_or_b64 exec, exec, s[0:1]
	v_lshl_add_u32 v97, v96, 4, v94
	s_barrier
	ds_write2_b64 v97, v[73:74], v[75:76] offset1:1
	s_waitcnt lgkmcnt(0)
	s_barrier
	ds_read2_b64 v[117:120], v94 offset0:42 offset1:43
	s_cmp_lt_i32 s3, 23
	v_mov_b32_e32 v97, 21
	s_cbranch_scc1 .LBB80_443
; %bb.441:
	v_add_u32_e32 v98, 0x160, v94
	s_mov_b32 s0, 22
	v_mov_b32_e32 v97, 21
.LBB80_442:                             ; =>This Inner Loop Header: Depth=1
	s_waitcnt lgkmcnt(0)
	v_cmp_gt_f64_e32 vcc, 0, v[117:118]
	v_xor_b32_e32 v103, 0x80000000, v118
	ds_read2_b64 v[99:102], v98 offset1:1
	v_xor_b32_e32 v105, 0x80000000, v120
	v_add_u32_e32 v98, 16, v98
	s_waitcnt lgkmcnt(0)
	v_xor_b32_e32 v107, 0x80000000, v102
	v_cndmask_b32_e32 v104, v118, v103, vcc
	v_cmp_gt_f64_e32 vcc, 0, v[119:120]
	v_mov_b32_e32 v103, v117
	v_cndmask_b32_e32 v106, v120, v105, vcc
	v_cmp_gt_f64_e32 vcc, 0, v[99:100]
	v_mov_b32_e32 v105, v119
	v_add_f64 v[103:104], v[103:104], v[105:106]
	v_xor_b32_e32 v105, 0x80000000, v100
	v_cndmask_b32_e32 v106, v100, v105, vcc
	v_cmp_gt_f64_e32 vcc, 0, v[101:102]
	v_mov_b32_e32 v105, v99
	v_cndmask_b32_e32 v108, v102, v107, vcc
	v_mov_b32_e32 v107, v101
	v_add_f64 v[105:106], v[105:106], v[107:108]
	v_cmp_lt_f64_e32 vcc, v[103:104], v[105:106]
	v_cndmask_b32_e32 v117, v117, v99, vcc
	v_mov_b32_e32 v99, s0
	s_add_i32 s0, s0, 1
	v_cndmask_b32_e32 v118, v118, v100, vcc
	v_cndmask_b32_e32 v120, v120, v102, vcc
	;; [unrolled: 1-line block ×4, first 2 shown]
	s_cmp_lg_u32 s3, s0
	s_cbranch_scc1 .LBB80_442
.LBB80_443:
	s_waitcnt lgkmcnt(0)
	v_cmp_eq_f64_e32 vcc, 0, v[117:118]
	v_cmp_eq_f64_e64 s[0:1], 0, v[119:120]
	s_and_b64 s[0:1], vcc, s[0:1]
	s_and_saveexec_b64 s[18:19], s[0:1]
	s_xor_b64 s[0:1], exec, s[18:19]
; %bb.444:
	v_cmp_ne_u32_e32 vcc, 0, v95
	v_cndmask_b32_e32 v95, 22, v95, vcc
; %bb.445:
	s_andn2_saveexec_b64 s[0:1], s[0:1]
	s_cbranch_execz .LBB80_451
; %bb.446:
	v_cmp_ngt_f64_e64 s[18:19], |v[117:118]|, |v[119:120]|
	s_and_saveexec_b64 s[20:21], s[18:19]
	s_xor_b64 s[18:19], exec, s[20:21]
	s_cbranch_execz .LBB80_448
; %bb.447:
	v_div_scale_f64 v[98:99], s[20:21], v[119:120], v[119:120], v[117:118]
	v_rcp_f64_e32 v[100:101], v[98:99]
	v_fma_f64 v[102:103], -v[98:99], v[100:101], 1.0
	v_fma_f64 v[100:101], v[100:101], v[102:103], v[100:101]
	v_div_scale_f64 v[102:103], vcc, v[117:118], v[119:120], v[117:118]
	v_fma_f64 v[104:105], -v[98:99], v[100:101], 1.0
	v_fma_f64 v[100:101], v[100:101], v[104:105], v[100:101]
	v_mul_f64 v[104:105], v[102:103], v[100:101]
	v_fma_f64 v[98:99], -v[98:99], v[104:105], v[102:103]
	v_div_fmas_f64 v[98:99], v[98:99], v[100:101], v[104:105]
	v_div_fixup_f64 v[98:99], v[98:99], v[119:120], v[117:118]
	v_fma_f64 v[100:101], v[117:118], v[98:99], v[119:120]
	v_div_scale_f64 v[102:103], s[20:21], v[100:101], v[100:101], 1.0
	v_div_scale_f64 v[108:109], vcc, 1.0, v[100:101], 1.0
	v_rcp_f64_e32 v[104:105], v[102:103]
	v_fma_f64 v[106:107], -v[102:103], v[104:105], 1.0
	v_fma_f64 v[104:105], v[104:105], v[106:107], v[104:105]
	v_fma_f64 v[106:107], -v[102:103], v[104:105], 1.0
	v_fma_f64 v[104:105], v[104:105], v[106:107], v[104:105]
	v_mul_f64 v[106:107], v[108:109], v[104:105]
	v_fma_f64 v[102:103], -v[102:103], v[106:107], v[108:109]
	v_div_fmas_f64 v[102:103], v[102:103], v[104:105], v[106:107]
	v_div_fixup_f64 v[119:120], v[102:103], v[100:101], 1.0
	v_mul_f64 v[117:118], v[98:99], v[119:120]
	v_xor_b32_e32 v120, 0x80000000, v120
.LBB80_448:
	s_andn2_saveexec_b64 s[18:19], s[18:19]
	s_cbranch_execz .LBB80_450
; %bb.449:
	v_div_scale_f64 v[98:99], s[20:21], v[117:118], v[117:118], v[119:120]
	v_rcp_f64_e32 v[100:101], v[98:99]
	v_fma_f64 v[102:103], -v[98:99], v[100:101], 1.0
	v_fma_f64 v[100:101], v[100:101], v[102:103], v[100:101]
	v_div_scale_f64 v[102:103], vcc, v[119:120], v[117:118], v[119:120]
	v_fma_f64 v[104:105], -v[98:99], v[100:101], 1.0
	v_fma_f64 v[100:101], v[100:101], v[104:105], v[100:101]
	v_mul_f64 v[104:105], v[102:103], v[100:101]
	v_fma_f64 v[98:99], -v[98:99], v[104:105], v[102:103]
	v_div_fmas_f64 v[98:99], v[98:99], v[100:101], v[104:105]
	v_div_fixup_f64 v[98:99], v[98:99], v[117:118], v[119:120]
	v_fma_f64 v[100:101], v[119:120], v[98:99], v[117:118]
	v_div_scale_f64 v[102:103], s[20:21], v[100:101], v[100:101], 1.0
	v_div_scale_f64 v[108:109], vcc, 1.0, v[100:101], 1.0
	v_rcp_f64_e32 v[104:105], v[102:103]
	v_fma_f64 v[106:107], -v[102:103], v[104:105], 1.0
	v_fma_f64 v[104:105], v[104:105], v[106:107], v[104:105]
	v_fma_f64 v[106:107], -v[102:103], v[104:105], 1.0
	v_fma_f64 v[104:105], v[104:105], v[106:107], v[104:105]
	v_mul_f64 v[106:107], v[108:109], v[104:105]
	v_fma_f64 v[102:103], -v[102:103], v[106:107], v[108:109]
	v_div_fmas_f64 v[102:103], v[102:103], v[104:105], v[106:107]
	v_div_fixup_f64 v[117:118], v[102:103], v[100:101], 1.0
	v_mul_f64 v[119:120], v[98:99], -v[117:118]
.LBB80_450:
	s_or_b64 exec, exec, s[18:19]
.LBB80_451:
	s_or_b64 exec, exec, s[0:1]
	v_cmp_ne_u32_e32 vcc, v96, v97
	s_and_saveexec_b64 s[0:1], vcc
	s_xor_b64 s[0:1], exec, s[0:1]
	s_cbranch_execz .LBB80_457
; %bb.452:
	v_cmp_eq_u32_e32 vcc, 21, v96
	s_and_saveexec_b64 s[18:19], vcc
	s_cbranch_execz .LBB80_456
; %bb.453:
	v_cmp_ne_u32_e32 vcc, 21, v97
	s_xor_b64 s[20:21], s[6:7], -1
	s_and_b64 s[22:23], s[20:21], vcc
	s_and_saveexec_b64 s[20:21], s[22:23]
	s_cbranch_execz .LBB80_455
; %bb.454:
	v_ashrrev_i32_e32 v98, 31, v97
	v_lshlrev_b64 v[98:99], 2, v[97:98]
	v_add_co_u32_e32 v98, vcc, v91, v98
	v_addc_co_u32_e32 v99, vcc, v92, v99, vcc
	global_load_dword v0, v[98:99], off
	global_load_dword v96, v[91:92], off offset:84
	s_waitcnt vmcnt(1)
	global_store_dword v[91:92], v0, off offset:84
	s_waitcnt vmcnt(1)
	global_store_dword v[98:99], v96, off
.LBB80_455:
	s_or_b64 exec, exec, s[20:21]
	v_mov_b32_e32 v96, v97
	v_mov_b32_e32 v0, v97
.LBB80_456:
	s_or_b64 exec, exec, s[18:19]
.LBB80_457:
	s_andn2_saveexec_b64 s[0:1], s[0:1]
	s_cbranch_execz .LBB80_459
; %bb.458:
	v_mov_b32_e32 v96, 21
	ds_write2_b64 v94, v[69:70], v[71:72] offset0:44 offset1:45
	ds_write2_b64 v94, v[65:66], v[67:68] offset0:46 offset1:47
	;; [unrolled: 1-line block ×19, first 2 shown]
.LBB80_459:
	s_or_b64 exec, exec, s[0:1]
	v_cmp_lt_i32_e32 vcc, 21, v96
	s_waitcnt vmcnt(0) lgkmcnt(0)
	s_barrier
	s_and_saveexec_b64 s[0:1], vcc
	s_cbranch_execz .LBB80_461
; %bb.460:
	v_mul_f64 v[97:98], v[119:120], v[75:76]
	v_mul_f64 v[75:76], v[117:118], v[75:76]
	v_fma_f64 v[125:126], v[117:118], v[73:74], -v[97:98]
	v_fma_f64 v[75:76], v[119:120], v[73:74], v[75:76]
	ds_read2_b64 v[97:100], v94 offset0:44 offset1:45
	s_waitcnt lgkmcnt(0)
	v_mul_f64 v[73:74], v[99:100], v[75:76]
	v_fma_f64 v[73:74], v[97:98], v[125:126], -v[73:74]
	v_mul_f64 v[97:98], v[97:98], v[75:76]
	v_add_f64 v[69:70], v[69:70], -v[73:74]
	v_fma_f64 v[97:98], v[99:100], v[125:126], v[97:98]
	v_add_f64 v[71:72], v[71:72], -v[97:98]
	ds_read2_b64 v[97:100], v94 offset0:46 offset1:47
	s_waitcnt lgkmcnt(0)
	v_mul_f64 v[73:74], v[99:100], v[75:76]
	v_fma_f64 v[73:74], v[97:98], v[125:126], -v[73:74]
	v_mul_f64 v[97:98], v[97:98], v[75:76]
	v_add_f64 v[65:66], v[65:66], -v[73:74]
	v_fma_f64 v[97:98], v[99:100], v[125:126], v[97:98]
	v_add_f64 v[67:68], v[67:68], -v[97:98]
	;; [unrolled: 8-line block ×18, first 2 shown]
	ds_read2_b64 v[97:100], v94 offset0:80 offset1:81
	s_waitcnt lgkmcnt(0)
	v_mul_f64 v[73:74], v[99:100], v[75:76]
	v_fma_f64 v[73:74], v[97:98], v[125:126], -v[73:74]
	v_mul_f64 v[97:98], v[97:98], v[75:76]
	v_add_f64 v[121:122], v[121:122], -v[73:74]
	v_fma_f64 v[97:98], v[99:100], v[125:126], v[97:98]
	v_mov_b32_e32 v73, v125
	v_mov_b32_e32 v74, v126
	v_add_f64 v[123:124], v[123:124], -v[97:98]
.LBB80_461:
	s_or_b64 exec, exec, s[0:1]
	v_lshl_add_u32 v97, v96, 4, v94
	s_barrier
	ds_write2_b64 v97, v[69:70], v[71:72] offset1:1
	s_waitcnt lgkmcnt(0)
	s_barrier
	ds_read2_b64 v[117:120], v94 offset0:44 offset1:45
	s_cmp_lt_i32 s3, 24
	v_mov_b32_e32 v97, 22
	s_cbranch_scc1 .LBB80_464
; %bb.462:
	v_add_u32_e32 v98, 0x170, v94
	s_mov_b32 s0, 23
	v_mov_b32_e32 v97, 22
.LBB80_463:                             ; =>This Inner Loop Header: Depth=1
	s_waitcnt lgkmcnt(0)
	v_cmp_gt_f64_e32 vcc, 0, v[117:118]
	v_xor_b32_e32 v103, 0x80000000, v118
	ds_read2_b64 v[99:102], v98 offset1:1
	v_xor_b32_e32 v105, 0x80000000, v120
	v_add_u32_e32 v98, 16, v98
	s_waitcnt lgkmcnt(0)
	v_xor_b32_e32 v107, 0x80000000, v102
	v_cndmask_b32_e32 v104, v118, v103, vcc
	v_cmp_gt_f64_e32 vcc, 0, v[119:120]
	v_mov_b32_e32 v103, v117
	v_cndmask_b32_e32 v106, v120, v105, vcc
	v_cmp_gt_f64_e32 vcc, 0, v[99:100]
	v_mov_b32_e32 v105, v119
	v_add_f64 v[103:104], v[103:104], v[105:106]
	v_xor_b32_e32 v105, 0x80000000, v100
	v_cndmask_b32_e32 v106, v100, v105, vcc
	v_cmp_gt_f64_e32 vcc, 0, v[101:102]
	v_mov_b32_e32 v105, v99
	v_cndmask_b32_e32 v108, v102, v107, vcc
	v_mov_b32_e32 v107, v101
	v_add_f64 v[105:106], v[105:106], v[107:108]
	v_cmp_lt_f64_e32 vcc, v[103:104], v[105:106]
	v_cndmask_b32_e32 v117, v117, v99, vcc
	v_mov_b32_e32 v99, s0
	s_add_i32 s0, s0, 1
	v_cndmask_b32_e32 v118, v118, v100, vcc
	v_cndmask_b32_e32 v120, v120, v102, vcc
	;; [unrolled: 1-line block ×4, first 2 shown]
	s_cmp_lg_u32 s3, s0
	s_cbranch_scc1 .LBB80_463
.LBB80_464:
	s_waitcnt lgkmcnt(0)
	v_cmp_eq_f64_e32 vcc, 0, v[117:118]
	v_cmp_eq_f64_e64 s[0:1], 0, v[119:120]
	s_and_b64 s[0:1], vcc, s[0:1]
	s_and_saveexec_b64 s[18:19], s[0:1]
	s_xor_b64 s[0:1], exec, s[18:19]
; %bb.465:
	v_cmp_ne_u32_e32 vcc, 0, v95
	v_cndmask_b32_e32 v95, 23, v95, vcc
; %bb.466:
	s_andn2_saveexec_b64 s[0:1], s[0:1]
	s_cbranch_execz .LBB80_472
; %bb.467:
	v_cmp_ngt_f64_e64 s[18:19], |v[117:118]|, |v[119:120]|
	s_and_saveexec_b64 s[20:21], s[18:19]
	s_xor_b64 s[18:19], exec, s[20:21]
	s_cbranch_execz .LBB80_469
; %bb.468:
	v_div_scale_f64 v[98:99], s[20:21], v[119:120], v[119:120], v[117:118]
	v_rcp_f64_e32 v[100:101], v[98:99]
	v_fma_f64 v[102:103], -v[98:99], v[100:101], 1.0
	v_fma_f64 v[100:101], v[100:101], v[102:103], v[100:101]
	v_div_scale_f64 v[102:103], vcc, v[117:118], v[119:120], v[117:118]
	v_fma_f64 v[104:105], -v[98:99], v[100:101], 1.0
	v_fma_f64 v[100:101], v[100:101], v[104:105], v[100:101]
	v_mul_f64 v[104:105], v[102:103], v[100:101]
	v_fma_f64 v[98:99], -v[98:99], v[104:105], v[102:103]
	v_div_fmas_f64 v[98:99], v[98:99], v[100:101], v[104:105]
	v_div_fixup_f64 v[98:99], v[98:99], v[119:120], v[117:118]
	v_fma_f64 v[100:101], v[117:118], v[98:99], v[119:120]
	v_div_scale_f64 v[102:103], s[20:21], v[100:101], v[100:101], 1.0
	v_div_scale_f64 v[108:109], vcc, 1.0, v[100:101], 1.0
	v_rcp_f64_e32 v[104:105], v[102:103]
	v_fma_f64 v[106:107], -v[102:103], v[104:105], 1.0
	v_fma_f64 v[104:105], v[104:105], v[106:107], v[104:105]
	v_fma_f64 v[106:107], -v[102:103], v[104:105], 1.0
	v_fma_f64 v[104:105], v[104:105], v[106:107], v[104:105]
	v_mul_f64 v[106:107], v[108:109], v[104:105]
	v_fma_f64 v[102:103], -v[102:103], v[106:107], v[108:109]
	v_div_fmas_f64 v[102:103], v[102:103], v[104:105], v[106:107]
	v_div_fixup_f64 v[119:120], v[102:103], v[100:101], 1.0
	v_mul_f64 v[117:118], v[98:99], v[119:120]
	v_xor_b32_e32 v120, 0x80000000, v120
.LBB80_469:
	s_andn2_saveexec_b64 s[18:19], s[18:19]
	s_cbranch_execz .LBB80_471
; %bb.470:
	v_div_scale_f64 v[98:99], s[20:21], v[117:118], v[117:118], v[119:120]
	v_rcp_f64_e32 v[100:101], v[98:99]
	v_fma_f64 v[102:103], -v[98:99], v[100:101], 1.0
	v_fma_f64 v[100:101], v[100:101], v[102:103], v[100:101]
	v_div_scale_f64 v[102:103], vcc, v[119:120], v[117:118], v[119:120]
	v_fma_f64 v[104:105], -v[98:99], v[100:101], 1.0
	v_fma_f64 v[100:101], v[100:101], v[104:105], v[100:101]
	v_mul_f64 v[104:105], v[102:103], v[100:101]
	v_fma_f64 v[98:99], -v[98:99], v[104:105], v[102:103]
	v_div_fmas_f64 v[98:99], v[98:99], v[100:101], v[104:105]
	v_div_fixup_f64 v[98:99], v[98:99], v[117:118], v[119:120]
	v_fma_f64 v[100:101], v[119:120], v[98:99], v[117:118]
	v_div_scale_f64 v[102:103], s[20:21], v[100:101], v[100:101], 1.0
	v_div_scale_f64 v[108:109], vcc, 1.0, v[100:101], 1.0
	v_rcp_f64_e32 v[104:105], v[102:103]
	v_fma_f64 v[106:107], -v[102:103], v[104:105], 1.0
	v_fma_f64 v[104:105], v[104:105], v[106:107], v[104:105]
	v_fma_f64 v[106:107], -v[102:103], v[104:105], 1.0
	v_fma_f64 v[104:105], v[104:105], v[106:107], v[104:105]
	v_mul_f64 v[106:107], v[108:109], v[104:105]
	v_fma_f64 v[102:103], -v[102:103], v[106:107], v[108:109]
	v_div_fmas_f64 v[102:103], v[102:103], v[104:105], v[106:107]
	v_div_fixup_f64 v[117:118], v[102:103], v[100:101], 1.0
	v_mul_f64 v[119:120], v[98:99], -v[117:118]
.LBB80_471:
	s_or_b64 exec, exec, s[18:19]
.LBB80_472:
	s_or_b64 exec, exec, s[0:1]
	v_cmp_ne_u32_e32 vcc, v96, v97
	s_and_saveexec_b64 s[0:1], vcc
	s_xor_b64 s[0:1], exec, s[0:1]
	s_cbranch_execz .LBB80_478
; %bb.473:
	v_cmp_eq_u32_e32 vcc, 22, v96
	s_and_saveexec_b64 s[18:19], vcc
	s_cbranch_execz .LBB80_477
; %bb.474:
	v_cmp_ne_u32_e32 vcc, 22, v97
	s_xor_b64 s[20:21], s[6:7], -1
	s_and_b64 s[22:23], s[20:21], vcc
	s_and_saveexec_b64 s[20:21], s[22:23]
	s_cbranch_execz .LBB80_476
; %bb.475:
	v_ashrrev_i32_e32 v98, 31, v97
	v_lshlrev_b64 v[98:99], 2, v[97:98]
	v_add_co_u32_e32 v98, vcc, v91, v98
	v_addc_co_u32_e32 v99, vcc, v92, v99, vcc
	global_load_dword v0, v[98:99], off
	global_load_dword v96, v[91:92], off offset:88
	s_waitcnt vmcnt(1)
	global_store_dword v[91:92], v0, off offset:88
	s_waitcnt vmcnt(1)
	global_store_dword v[98:99], v96, off
.LBB80_476:
	s_or_b64 exec, exec, s[20:21]
	v_mov_b32_e32 v96, v97
	v_mov_b32_e32 v0, v97
.LBB80_477:
	s_or_b64 exec, exec, s[18:19]
.LBB80_478:
	s_andn2_saveexec_b64 s[0:1], s[0:1]
	s_cbranch_execz .LBB80_480
; %bb.479:
	v_mov_b32_e32 v96, 22
	ds_write2_b64 v94, v[65:66], v[67:68] offset0:46 offset1:47
	ds_write2_b64 v94, v[61:62], v[63:64] offset0:48 offset1:49
	;; [unrolled: 1-line block ×18, first 2 shown]
.LBB80_480:
	s_or_b64 exec, exec, s[0:1]
	v_cmp_lt_i32_e32 vcc, 22, v96
	s_waitcnt vmcnt(0) lgkmcnt(0)
	s_barrier
	s_and_saveexec_b64 s[0:1], vcc
	s_cbranch_execz .LBB80_482
; %bb.481:
	v_mul_f64 v[97:98], v[119:120], v[71:72]
	v_mul_f64 v[71:72], v[117:118], v[71:72]
	ds_read2_b64 v[99:102], v94 offset0:46 offset1:47
	v_fma_f64 v[97:98], v[117:118], v[69:70], -v[97:98]
	v_fma_f64 v[71:72], v[119:120], v[69:70], v[71:72]
	s_waitcnt lgkmcnt(0)
	v_mul_f64 v[69:70], v[101:102], v[71:72]
	v_fma_f64 v[69:70], v[99:100], v[97:98], -v[69:70]
	v_mul_f64 v[99:100], v[99:100], v[71:72]
	v_add_f64 v[65:66], v[65:66], -v[69:70]
	v_fma_f64 v[99:100], v[101:102], v[97:98], v[99:100]
	v_add_f64 v[67:68], v[67:68], -v[99:100]
	ds_read2_b64 v[99:102], v94 offset0:48 offset1:49
	s_waitcnt lgkmcnt(0)
	v_mul_f64 v[69:70], v[101:102], v[71:72]
	v_fma_f64 v[69:70], v[99:100], v[97:98], -v[69:70]
	v_mul_f64 v[99:100], v[99:100], v[71:72]
	v_add_f64 v[61:62], v[61:62], -v[69:70]
	v_fma_f64 v[99:100], v[101:102], v[97:98], v[99:100]
	v_add_f64 v[63:64], v[63:64], -v[99:100]
	ds_read2_b64 v[99:102], v94 offset0:50 offset1:51
	;; [unrolled: 8-line block ×17, first 2 shown]
	s_waitcnt lgkmcnt(0)
	v_mul_f64 v[69:70], v[101:102], v[71:72]
	v_fma_f64 v[69:70], v[99:100], v[97:98], -v[69:70]
	v_mul_f64 v[99:100], v[99:100], v[71:72]
	v_add_f64 v[121:122], v[121:122], -v[69:70]
	v_fma_f64 v[99:100], v[101:102], v[97:98], v[99:100]
	v_mov_b32_e32 v69, v97
	v_mov_b32_e32 v70, v98
	v_add_f64 v[123:124], v[123:124], -v[99:100]
.LBB80_482:
	s_or_b64 exec, exec, s[0:1]
	v_lshl_add_u32 v97, v96, 4, v94
	s_barrier
	ds_write2_b64 v97, v[65:66], v[67:68] offset1:1
	s_waitcnt lgkmcnt(0)
	s_barrier
	ds_read2_b64 v[117:120], v94 offset0:46 offset1:47
	s_cmp_lt_i32 s3, 25
	v_mov_b32_e32 v97, 23
	s_cbranch_scc1 .LBB80_485
; %bb.483:
	v_add_u32_e32 v98, 0x180, v94
	s_mov_b32 s0, 24
	v_mov_b32_e32 v97, 23
.LBB80_484:                             ; =>This Inner Loop Header: Depth=1
	s_waitcnt lgkmcnt(0)
	v_cmp_gt_f64_e32 vcc, 0, v[117:118]
	v_xor_b32_e32 v103, 0x80000000, v118
	ds_read2_b64 v[99:102], v98 offset1:1
	v_xor_b32_e32 v105, 0x80000000, v120
	v_add_u32_e32 v98, 16, v98
	s_waitcnt lgkmcnt(0)
	v_xor_b32_e32 v107, 0x80000000, v102
	v_cndmask_b32_e32 v104, v118, v103, vcc
	v_cmp_gt_f64_e32 vcc, 0, v[119:120]
	v_mov_b32_e32 v103, v117
	v_cndmask_b32_e32 v106, v120, v105, vcc
	v_cmp_gt_f64_e32 vcc, 0, v[99:100]
	v_mov_b32_e32 v105, v119
	v_add_f64 v[103:104], v[103:104], v[105:106]
	v_xor_b32_e32 v105, 0x80000000, v100
	v_cndmask_b32_e32 v106, v100, v105, vcc
	v_cmp_gt_f64_e32 vcc, 0, v[101:102]
	v_mov_b32_e32 v105, v99
	v_cndmask_b32_e32 v108, v102, v107, vcc
	v_mov_b32_e32 v107, v101
	v_add_f64 v[105:106], v[105:106], v[107:108]
	v_cmp_lt_f64_e32 vcc, v[103:104], v[105:106]
	v_cndmask_b32_e32 v117, v117, v99, vcc
	v_mov_b32_e32 v99, s0
	s_add_i32 s0, s0, 1
	v_cndmask_b32_e32 v118, v118, v100, vcc
	v_cndmask_b32_e32 v120, v120, v102, vcc
	;; [unrolled: 1-line block ×4, first 2 shown]
	s_cmp_lg_u32 s3, s0
	s_cbranch_scc1 .LBB80_484
.LBB80_485:
	s_waitcnt lgkmcnt(0)
	v_cmp_eq_f64_e32 vcc, 0, v[117:118]
	v_cmp_eq_f64_e64 s[0:1], 0, v[119:120]
	s_and_b64 s[0:1], vcc, s[0:1]
	s_and_saveexec_b64 s[18:19], s[0:1]
	s_xor_b64 s[0:1], exec, s[18:19]
; %bb.486:
	v_cmp_ne_u32_e32 vcc, 0, v95
	v_cndmask_b32_e32 v95, 24, v95, vcc
; %bb.487:
	s_andn2_saveexec_b64 s[0:1], s[0:1]
	s_cbranch_execz .LBB80_493
; %bb.488:
	v_cmp_ngt_f64_e64 s[18:19], |v[117:118]|, |v[119:120]|
	s_and_saveexec_b64 s[20:21], s[18:19]
	s_xor_b64 s[18:19], exec, s[20:21]
	s_cbranch_execz .LBB80_490
; %bb.489:
	v_div_scale_f64 v[98:99], s[20:21], v[119:120], v[119:120], v[117:118]
	v_rcp_f64_e32 v[100:101], v[98:99]
	v_fma_f64 v[102:103], -v[98:99], v[100:101], 1.0
	v_fma_f64 v[100:101], v[100:101], v[102:103], v[100:101]
	v_div_scale_f64 v[102:103], vcc, v[117:118], v[119:120], v[117:118]
	v_fma_f64 v[104:105], -v[98:99], v[100:101], 1.0
	v_fma_f64 v[100:101], v[100:101], v[104:105], v[100:101]
	v_mul_f64 v[104:105], v[102:103], v[100:101]
	v_fma_f64 v[98:99], -v[98:99], v[104:105], v[102:103]
	v_div_fmas_f64 v[98:99], v[98:99], v[100:101], v[104:105]
	v_div_fixup_f64 v[98:99], v[98:99], v[119:120], v[117:118]
	v_fma_f64 v[100:101], v[117:118], v[98:99], v[119:120]
	v_div_scale_f64 v[102:103], s[20:21], v[100:101], v[100:101], 1.0
	v_div_scale_f64 v[108:109], vcc, 1.0, v[100:101], 1.0
	v_rcp_f64_e32 v[104:105], v[102:103]
	v_fma_f64 v[106:107], -v[102:103], v[104:105], 1.0
	v_fma_f64 v[104:105], v[104:105], v[106:107], v[104:105]
	v_fma_f64 v[106:107], -v[102:103], v[104:105], 1.0
	v_fma_f64 v[104:105], v[104:105], v[106:107], v[104:105]
	v_mul_f64 v[106:107], v[108:109], v[104:105]
	v_fma_f64 v[102:103], -v[102:103], v[106:107], v[108:109]
	v_div_fmas_f64 v[102:103], v[102:103], v[104:105], v[106:107]
	v_div_fixup_f64 v[119:120], v[102:103], v[100:101], 1.0
	v_mul_f64 v[117:118], v[98:99], v[119:120]
	v_xor_b32_e32 v120, 0x80000000, v120
.LBB80_490:
	s_andn2_saveexec_b64 s[18:19], s[18:19]
	s_cbranch_execz .LBB80_492
; %bb.491:
	v_div_scale_f64 v[98:99], s[20:21], v[117:118], v[117:118], v[119:120]
	v_rcp_f64_e32 v[100:101], v[98:99]
	v_fma_f64 v[102:103], -v[98:99], v[100:101], 1.0
	v_fma_f64 v[100:101], v[100:101], v[102:103], v[100:101]
	v_div_scale_f64 v[102:103], vcc, v[119:120], v[117:118], v[119:120]
	v_fma_f64 v[104:105], -v[98:99], v[100:101], 1.0
	v_fma_f64 v[100:101], v[100:101], v[104:105], v[100:101]
	v_mul_f64 v[104:105], v[102:103], v[100:101]
	v_fma_f64 v[98:99], -v[98:99], v[104:105], v[102:103]
	v_div_fmas_f64 v[98:99], v[98:99], v[100:101], v[104:105]
	v_div_fixup_f64 v[98:99], v[98:99], v[117:118], v[119:120]
	v_fma_f64 v[100:101], v[119:120], v[98:99], v[117:118]
	v_div_scale_f64 v[102:103], s[20:21], v[100:101], v[100:101], 1.0
	v_div_scale_f64 v[108:109], vcc, 1.0, v[100:101], 1.0
	v_rcp_f64_e32 v[104:105], v[102:103]
	v_fma_f64 v[106:107], -v[102:103], v[104:105], 1.0
	v_fma_f64 v[104:105], v[104:105], v[106:107], v[104:105]
	v_fma_f64 v[106:107], -v[102:103], v[104:105], 1.0
	v_fma_f64 v[104:105], v[104:105], v[106:107], v[104:105]
	v_mul_f64 v[106:107], v[108:109], v[104:105]
	v_fma_f64 v[102:103], -v[102:103], v[106:107], v[108:109]
	v_div_fmas_f64 v[102:103], v[102:103], v[104:105], v[106:107]
	v_div_fixup_f64 v[117:118], v[102:103], v[100:101], 1.0
	v_mul_f64 v[119:120], v[98:99], -v[117:118]
.LBB80_492:
	s_or_b64 exec, exec, s[18:19]
.LBB80_493:
	s_or_b64 exec, exec, s[0:1]
	v_cmp_ne_u32_e32 vcc, v96, v97
	s_and_saveexec_b64 s[0:1], vcc
	s_xor_b64 s[0:1], exec, s[0:1]
	s_cbranch_execz .LBB80_499
; %bb.494:
	v_cmp_eq_u32_e32 vcc, 23, v96
	s_and_saveexec_b64 s[18:19], vcc
	s_cbranch_execz .LBB80_498
; %bb.495:
	v_cmp_ne_u32_e32 vcc, 23, v97
	s_xor_b64 s[20:21], s[6:7], -1
	s_and_b64 s[22:23], s[20:21], vcc
	s_and_saveexec_b64 s[20:21], s[22:23]
	s_cbranch_execz .LBB80_497
; %bb.496:
	v_ashrrev_i32_e32 v98, 31, v97
	v_lshlrev_b64 v[98:99], 2, v[97:98]
	v_add_co_u32_e32 v98, vcc, v91, v98
	v_addc_co_u32_e32 v99, vcc, v92, v99, vcc
	global_load_dword v0, v[98:99], off
	global_load_dword v96, v[91:92], off offset:92
	s_waitcnt vmcnt(1)
	global_store_dword v[91:92], v0, off offset:92
	s_waitcnt vmcnt(1)
	global_store_dword v[98:99], v96, off
.LBB80_497:
	s_or_b64 exec, exec, s[20:21]
	v_mov_b32_e32 v96, v97
	v_mov_b32_e32 v0, v97
.LBB80_498:
	s_or_b64 exec, exec, s[18:19]
.LBB80_499:
	s_andn2_saveexec_b64 s[0:1], s[0:1]
	s_cbranch_execz .LBB80_501
; %bb.500:
	v_mov_b32_e32 v96, 23
	ds_write2_b64 v94, v[61:62], v[63:64] offset0:48 offset1:49
	ds_write2_b64 v94, v[57:58], v[59:60] offset0:50 offset1:51
	;; [unrolled: 1-line block ×17, first 2 shown]
.LBB80_501:
	s_or_b64 exec, exec, s[0:1]
	v_cmp_lt_i32_e32 vcc, 23, v96
	s_waitcnt vmcnt(0) lgkmcnt(0)
	s_barrier
	s_and_saveexec_b64 s[0:1], vcc
	s_cbranch_execz .LBB80_503
; %bb.502:
	v_mul_f64 v[97:98], v[119:120], v[67:68]
	v_mul_f64 v[67:68], v[117:118], v[67:68]
	ds_read2_b64 v[99:102], v94 offset0:48 offset1:49
	v_fma_f64 v[97:98], v[117:118], v[65:66], -v[97:98]
	v_fma_f64 v[67:68], v[119:120], v[65:66], v[67:68]
	s_waitcnt lgkmcnt(0)
	v_mul_f64 v[65:66], v[101:102], v[67:68]
	v_fma_f64 v[65:66], v[99:100], v[97:98], -v[65:66]
	v_mul_f64 v[99:100], v[99:100], v[67:68]
	v_add_f64 v[61:62], v[61:62], -v[65:66]
	v_fma_f64 v[99:100], v[101:102], v[97:98], v[99:100]
	v_add_f64 v[63:64], v[63:64], -v[99:100]
	ds_read2_b64 v[99:102], v94 offset0:50 offset1:51
	s_waitcnt lgkmcnt(0)
	v_mul_f64 v[65:66], v[101:102], v[67:68]
	v_fma_f64 v[65:66], v[99:100], v[97:98], -v[65:66]
	v_mul_f64 v[99:100], v[99:100], v[67:68]
	v_add_f64 v[57:58], v[57:58], -v[65:66]
	v_fma_f64 v[99:100], v[101:102], v[97:98], v[99:100]
	v_add_f64 v[59:60], v[59:60], -v[99:100]
	ds_read2_b64 v[99:102], v94 offset0:52 offset1:53
	;; [unrolled: 8-line block ×16, first 2 shown]
	s_waitcnt lgkmcnt(0)
	v_mul_f64 v[65:66], v[101:102], v[67:68]
	v_fma_f64 v[65:66], v[99:100], v[97:98], -v[65:66]
	v_mul_f64 v[99:100], v[99:100], v[67:68]
	v_add_f64 v[121:122], v[121:122], -v[65:66]
	v_fma_f64 v[99:100], v[101:102], v[97:98], v[99:100]
	v_mov_b32_e32 v65, v97
	v_mov_b32_e32 v66, v98
	v_add_f64 v[123:124], v[123:124], -v[99:100]
.LBB80_503:
	s_or_b64 exec, exec, s[0:1]
	v_lshl_add_u32 v97, v96, 4, v94
	s_barrier
	ds_write2_b64 v97, v[61:62], v[63:64] offset1:1
	s_waitcnt lgkmcnt(0)
	s_barrier
	ds_read2_b64 v[117:120], v94 offset0:48 offset1:49
	s_cmp_lt_i32 s3, 26
	v_mov_b32_e32 v97, 24
	s_cbranch_scc1 .LBB80_506
; %bb.504:
	v_add_u32_e32 v98, 0x190, v94
	s_mov_b32 s0, 25
	v_mov_b32_e32 v97, 24
.LBB80_505:                             ; =>This Inner Loop Header: Depth=1
	s_waitcnt lgkmcnt(0)
	v_cmp_gt_f64_e32 vcc, 0, v[117:118]
	v_xor_b32_e32 v103, 0x80000000, v118
	ds_read2_b64 v[99:102], v98 offset1:1
	v_xor_b32_e32 v105, 0x80000000, v120
	v_add_u32_e32 v98, 16, v98
	s_waitcnt lgkmcnt(0)
	v_xor_b32_e32 v107, 0x80000000, v102
	v_cndmask_b32_e32 v104, v118, v103, vcc
	v_cmp_gt_f64_e32 vcc, 0, v[119:120]
	v_mov_b32_e32 v103, v117
	v_cndmask_b32_e32 v106, v120, v105, vcc
	v_cmp_gt_f64_e32 vcc, 0, v[99:100]
	v_mov_b32_e32 v105, v119
	v_add_f64 v[103:104], v[103:104], v[105:106]
	v_xor_b32_e32 v105, 0x80000000, v100
	v_cndmask_b32_e32 v106, v100, v105, vcc
	v_cmp_gt_f64_e32 vcc, 0, v[101:102]
	v_mov_b32_e32 v105, v99
	v_cndmask_b32_e32 v108, v102, v107, vcc
	v_mov_b32_e32 v107, v101
	v_add_f64 v[105:106], v[105:106], v[107:108]
	v_cmp_lt_f64_e32 vcc, v[103:104], v[105:106]
	v_cndmask_b32_e32 v117, v117, v99, vcc
	v_mov_b32_e32 v99, s0
	s_add_i32 s0, s0, 1
	v_cndmask_b32_e32 v118, v118, v100, vcc
	v_cndmask_b32_e32 v120, v120, v102, vcc
	v_cndmask_b32_e32 v119, v119, v101, vcc
	v_cndmask_b32_e32 v97, v97, v99, vcc
	s_cmp_lg_u32 s3, s0
	s_cbranch_scc1 .LBB80_505
.LBB80_506:
	s_waitcnt lgkmcnt(0)
	v_cmp_eq_f64_e32 vcc, 0, v[117:118]
	v_cmp_eq_f64_e64 s[0:1], 0, v[119:120]
	s_and_b64 s[0:1], vcc, s[0:1]
	s_and_saveexec_b64 s[18:19], s[0:1]
	s_xor_b64 s[0:1], exec, s[18:19]
; %bb.507:
	v_cmp_ne_u32_e32 vcc, 0, v95
	v_cndmask_b32_e32 v95, 25, v95, vcc
; %bb.508:
	s_andn2_saveexec_b64 s[0:1], s[0:1]
	s_cbranch_execz .LBB80_514
; %bb.509:
	v_cmp_ngt_f64_e64 s[18:19], |v[117:118]|, |v[119:120]|
	s_and_saveexec_b64 s[20:21], s[18:19]
	s_xor_b64 s[18:19], exec, s[20:21]
	s_cbranch_execz .LBB80_511
; %bb.510:
	v_div_scale_f64 v[98:99], s[20:21], v[119:120], v[119:120], v[117:118]
	v_rcp_f64_e32 v[100:101], v[98:99]
	v_fma_f64 v[102:103], -v[98:99], v[100:101], 1.0
	v_fma_f64 v[100:101], v[100:101], v[102:103], v[100:101]
	v_div_scale_f64 v[102:103], vcc, v[117:118], v[119:120], v[117:118]
	v_fma_f64 v[104:105], -v[98:99], v[100:101], 1.0
	v_fma_f64 v[100:101], v[100:101], v[104:105], v[100:101]
	v_mul_f64 v[104:105], v[102:103], v[100:101]
	v_fma_f64 v[98:99], -v[98:99], v[104:105], v[102:103]
	v_div_fmas_f64 v[98:99], v[98:99], v[100:101], v[104:105]
	v_div_fixup_f64 v[98:99], v[98:99], v[119:120], v[117:118]
	v_fma_f64 v[100:101], v[117:118], v[98:99], v[119:120]
	v_div_scale_f64 v[102:103], s[20:21], v[100:101], v[100:101], 1.0
	v_div_scale_f64 v[108:109], vcc, 1.0, v[100:101], 1.0
	v_rcp_f64_e32 v[104:105], v[102:103]
	v_fma_f64 v[106:107], -v[102:103], v[104:105], 1.0
	v_fma_f64 v[104:105], v[104:105], v[106:107], v[104:105]
	v_fma_f64 v[106:107], -v[102:103], v[104:105], 1.0
	v_fma_f64 v[104:105], v[104:105], v[106:107], v[104:105]
	v_mul_f64 v[106:107], v[108:109], v[104:105]
	v_fma_f64 v[102:103], -v[102:103], v[106:107], v[108:109]
	v_div_fmas_f64 v[102:103], v[102:103], v[104:105], v[106:107]
	v_div_fixup_f64 v[119:120], v[102:103], v[100:101], 1.0
	v_mul_f64 v[117:118], v[98:99], v[119:120]
	v_xor_b32_e32 v120, 0x80000000, v120
.LBB80_511:
	s_andn2_saveexec_b64 s[18:19], s[18:19]
	s_cbranch_execz .LBB80_513
; %bb.512:
	v_div_scale_f64 v[98:99], s[20:21], v[117:118], v[117:118], v[119:120]
	v_rcp_f64_e32 v[100:101], v[98:99]
	v_fma_f64 v[102:103], -v[98:99], v[100:101], 1.0
	v_fma_f64 v[100:101], v[100:101], v[102:103], v[100:101]
	v_div_scale_f64 v[102:103], vcc, v[119:120], v[117:118], v[119:120]
	v_fma_f64 v[104:105], -v[98:99], v[100:101], 1.0
	v_fma_f64 v[100:101], v[100:101], v[104:105], v[100:101]
	v_mul_f64 v[104:105], v[102:103], v[100:101]
	v_fma_f64 v[98:99], -v[98:99], v[104:105], v[102:103]
	v_div_fmas_f64 v[98:99], v[98:99], v[100:101], v[104:105]
	v_div_fixup_f64 v[98:99], v[98:99], v[117:118], v[119:120]
	v_fma_f64 v[100:101], v[119:120], v[98:99], v[117:118]
	v_div_scale_f64 v[102:103], s[20:21], v[100:101], v[100:101], 1.0
	v_div_scale_f64 v[108:109], vcc, 1.0, v[100:101], 1.0
	v_rcp_f64_e32 v[104:105], v[102:103]
	v_fma_f64 v[106:107], -v[102:103], v[104:105], 1.0
	v_fma_f64 v[104:105], v[104:105], v[106:107], v[104:105]
	v_fma_f64 v[106:107], -v[102:103], v[104:105], 1.0
	v_fma_f64 v[104:105], v[104:105], v[106:107], v[104:105]
	v_mul_f64 v[106:107], v[108:109], v[104:105]
	v_fma_f64 v[102:103], -v[102:103], v[106:107], v[108:109]
	v_div_fmas_f64 v[102:103], v[102:103], v[104:105], v[106:107]
	v_div_fixup_f64 v[117:118], v[102:103], v[100:101], 1.0
	v_mul_f64 v[119:120], v[98:99], -v[117:118]
.LBB80_513:
	s_or_b64 exec, exec, s[18:19]
.LBB80_514:
	s_or_b64 exec, exec, s[0:1]
	v_cmp_ne_u32_e32 vcc, v96, v97
	s_and_saveexec_b64 s[0:1], vcc
	s_xor_b64 s[0:1], exec, s[0:1]
	s_cbranch_execz .LBB80_520
; %bb.515:
	v_cmp_eq_u32_e32 vcc, 24, v96
	s_and_saveexec_b64 s[18:19], vcc
	s_cbranch_execz .LBB80_519
; %bb.516:
	v_cmp_ne_u32_e32 vcc, 24, v97
	s_xor_b64 s[20:21], s[6:7], -1
	s_and_b64 s[22:23], s[20:21], vcc
	s_and_saveexec_b64 s[20:21], s[22:23]
	s_cbranch_execz .LBB80_518
; %bb.517:
	v_ashrrev_i32_e32 v98, 31, v97
	v_lshlrev_b64 v[98:99], 2, v[97:98]
	v_add_co_u32_e32 v98, vcc, v91, v98
	v_addc_co_u32_e32 v99, vcc, v92, v99, vcc
	global_load_dword v0, v[98:99], off
	global_load_dword v96, v[91:92], off offset:96
	s_waitcnt vmcnt(1)
	global_store_dword v[91:92], v0, off offset:96
	s_waitcnt vmcnt(1)
	global_store_dword v[98:99], v96, off
.LBB80_518:
	s_or_b64 exec, exec, s[20:21]
	v_mov_b32_e32 v96, v97
	v_mov_b32_e32 v0, v97
.LBB80_519:
	s_or_b64 exec, exec, s[18:19]
.LBB80_520:
	s_andn2_saveexec_b64 s[0:1], s[0:1]
	s_cbranch_execz .LBB80_522
; %bb.521:
	v_mov_b32_e32 v96, 24
	ds_write2_b64 v94, v[57:58], v[59:60] offset0:50 offset1:51
	ds_write2_b64 v94, v[53:54], v[55:56] offset0:52 offset1:53
	;; [unrolled: 1-line block ×16, first 2 shown]
.LBB80_522:
	s_or_b64 exec, exec, s[0:1]
	v_cmp_lt_i32_e32 vcc, 24, v96
	s_waitcnt vmcnt(0) lgkmcnt(0)
	s_barrier
	s_and_saveexec_b64 s[0:1], vcc
	s_cbranch_execz .LBB80_524
; %bb.523:
	v_mul_f64 v[97:98], v[117:118], v[63:64]
	v_mul_f64 v[63:64], v[119:120], v[63:64]
	ds_read2_b64 v[99:102], v94 offset0:50 offset1:51
	v_fma_f64 v[97:98], v[119:120], v[61:62], v[97:98]
	v_fma_f64 v[61:62], v[117:118], v[61:62], -v[63:64]
	s_waitcnt lgkmcnt(0)
	v_mul_f64 v[63:64], v[101:102], v[97:98]
	v_fma_f64 v[63:64], v[99:100], v[61:62], -v[63:64]
	v_mul_f64 v[99:100], v[99:100], v[97:98]
	v_add_f64 v[57:58], v[57:58], -v[63:64]
	v_fma_f64 v[99:100], v[101:102], v[61:62], v[99:100]
	v_add_f64 v[59:60], v[59:60], -v[99:100]
	ds_read2_b64 v[99:102], v94 offset0:52 offset1:53
	s_waitcnt lgkmcnt(0)
	v_mul_f64 v[63:64], v[101:102], v[97:98]
	v_fma_f64 v[63:64], v[99:100], v[61:62], -v[63:64]
	v_mul_f64 v[99:100], v[99:100], v[97:98]
	v_add_f64 v[53:54], v[53:54], -v[63:64]
	v_fma_f64 v[99:100], v[101:102], v[61:62], v[99:100]
	v_add_f64 v[55:56], v[55:56], -v[99:100]
	ds_read2_b64 v[99:102], v94 offset0:54 offset1:55
	;; [unrolled: 8-line block ×15, first 2 shown]
	s_waitcnt lgkmcnt(0)
	v_mul_f64 v[63:64], v[101:102], v[97:98]
	v_fma_f64 v[63:64], v[99:100], v[61:62], -v[63:64]
	v_mul_f64 v[99:100], v[99:100], v[97:98]
	v_add_f64 v[121:122], v[121:122], -v[63:64]
	v_fma_f64 v[99:100], v[101:102], v[61:62], v[99:100]
	v_mov_b32_e32 v63, v97
	v_mov_b32_e32 v64, v98
	v_add_f64 v[123:124], v[123:124], -v[99:100]
.LBB80_524:
	s_or_b64 exec, exec, s[0:1]
	v_lshl_add_u32 v97, v96, 4, v94
	s_barrier
	ds_write2_b64 v97, v[57:58], v[59:60] offset1:1
	s_waitcnt lgkmcnt(0)
	s_barrier
	ds_read2_b64 v[117:120], v94 offset0:50 offset1:51
	s_cmp_lt_i32 s3, 27
	v_mov_b32_e32 v97, 25
	s_cbranch_scc1 .LBB80_527
; %bb.525:
	v_add_u32_e32 v98, 0x1a0, v94
	s_mov_b32 s0, 26
	v_mov_b32_e32 v97, 25
.LBB80_526:                             ; =>This Inner Loop Header: Depth=1
	s_waitcnt lgkmcnt(0)
	v_cmp_gt_f64_e32 vcc, 0, v[117:118]
	v_xor_b32_e32 v103, 0x80000000, v118
	ds_read2_b64 v[99:102], v98 offset1:1
	v_xor_b32_e32 v105, 0x80000000, v120
	v_add_u32_e32 v98, 16, v98
	s_waitcnt lgkmcnt(0)
	v_xor_b32_e32 v107, 0x80000000, v102
	v_cndmask_b32_e32 v104, v118, v103, vcc
	v_cmp_gt_f64_e32 vcc, 0, v[119:120]
	v_mov_b32_e32 v103, v117
	v_cndmask_b32_e32 v106, v120, v105, vcc
	v_cmp_gt_f64_e32 vcc, 0, v[99:100]
	v_mov_b32_e32 v105, v119
	v_add_f64 v[103:104], v[103:104], v[105:106]
	v_xor_b32_e32 v105, 0x80000000, v100
	v_cndmask_b32_e32 v106, v100, v105, vcc
	v_cmp_gt_f64_e32 vcc, 0, v[101:102]
	v_mov_b32_e32 v105, v99
	v_cndmask_b32_e32 v108, v102, v107, vcc
	v_mov_b32_e32 v107, v101
	v_add_f64 v[105:106], v[105:106], v[107:108]
	v_cmp_lt_f64_e32 vcc, v[103:104], v[105:106]
	v_cndmask_b32_e32 v117, v117, v99, vcc
	v_mov_b32_e32 v99, s0
	s_add_i32 s0, s0, 1
	v_cndmask_b32_e32 v118, v118, v100, vcc
	v_cndmask_b32_e32 v120, v120, v102, vcc
	;; [unrolled: 1-line block ×4, first 2 shown]
	s_cmp_lg_u32 s3, s0
	s_cbranch_scc1 .LBB80_526
.LBB80_527:
	s_waitcnt lgkmcnt(0)
	v_cmp_eq_f64_e32 vcc, 0, v[117:118]
	v_cmp_eq_f64_e64 s[0:1], 0, v[119:120]
	s_and_b64 s[0:1], vcc, s[0:1]
	s_and_saveexec_b64 s[18:19], s[0:1]
	s_xor_b64 s[0:1], exec, s[18:19]
; %bb.528:
	v_cmp_ne_u32_e32 vcc, 0, v95
	v_cndmask_b32_e32 v95, 26, v95, vcc
; %bb.529:
	s_andn2_saveexec_b64 s[0:1], s[0:1]
	s_cbranch_execz .LBB80_535
; %bb.530:
	v_cmp_ngt_f64_e64 s[18:19], |v[117:118]|, |v[119:120]|
	s_and_saveexec_b64 s[20:21], s[18:19]
	s_xor_b64 s[18:19], exec, s[20:21]
	s_cbranch_execz .LBB80_532
; %bb.531:
	v_div_scale_f64 v[98:99], s[20:21], v[119:120], v[119:120], v[117:118]
	v_rcp_f64_e32 v[100:101], v[98:99]
	v_fma_f64 v[102:103], -v[98:99], v[100:101], 1.0
	v_fma_f64 v[100:101], v[100:101], v[102:103], v[100:101]
	v_div_scale_f64 v[102:103], vcc, v[117:118], v[119:120], v[117:118]
	v_fma_f64 v[104:105], -v[98:99], v[100:101], 1.0
	v_fma_f64 v[100:101], v[100:101], v[104:105], v[100:101]
	v_mul_f64 v[104:105], v[102:103], v[100:101]
	v_fma_f64 v[98:99], -v[98:99], v[104:105], v[102:103]
	v_div_fmas_f64 v[98:99], v[98:99], v[100:101], v[104:105]
	v_div_fixup_f64 v[98:99], v[98:99], v[119:120], v[117:118]
	v_fma_f64 v[100:101], v[117:118], v[98:99], v[119:120]
	v_div_scale_f64 v[102:103], s[20:21], v[100:101], v[100:101], 1.0
	v_div_scale_f64 v[108:109], vcc, 1.0, v[100:101], 1.0
	v_rcp_f64_e32 v[104:105], v[102:103]
	v_fma_f64 v[106:107], -v[102:103], v[104:105], 1.0
	v_fma_f64 v[104:105], v[104:105], v[106:107], v[104:105]
	v_fma_f64 v[106:107], -v[102:103], v[104:105], 1.0
	v_fma_f64 v[104:105], v[104:105], v[106:107], v[104:105]
	v_mul_f64 v[106:107], v[108:109], v[104:105]
	v_fma_f64 v[102:103], -v[102:103], v[106:107], v[108:109]
	v_div_fmas_f64 v[102:103], v[102:103], v[104:105], v[106:107]
	v_div_fixup_f64 v[119:120], v[102:103], v[100:101], 1.0
	v_mul_f64 v[117:118], v[98:99], v[119:120]
	v_xor_b32_e32 v120, 0x80000000, v120
.LBB80_532:
	s_andn2_saveexec_b64 s[18:19], s[18:19]
	s_cbranch_execz .LBB80_534
; %bb.533:
	v_div_scale_f64 v[98:99], s[20:21], v[117:118], v[117:118], v[119:120]
	v_rcp_f64_e32 v[100:101], v[98:99]
	v_fma_f64 v[102:103], -v[98:99], v[100:101], 1.0
	v_fma_f64 v[100:101], v[100:101], v[102:103], v[100:101]
	v_div_scale_f64 v[102:103], vcc, v[119:120], v[117:118], v[119:120]
	v_fma_f64 v[104:105], -v[98:99], v[100:101], 1.0
	v_fma_f64 v[100:101], v[100:101], v[104:105], v[100:101]
	v_mul_f64 v[104:105], v[102:103], v[100:101]
	v_fma_f64 v[98:99], -v[98:99], v[104:105], v[102:103]
	v_div_fmas_f64 v[98:99], v[98:99], v[100:101], v[104:105]
	v_div_fixup_f64 v[98:99], v[98:99], v[117:118], v[119:120]
	v_fma_f64 v[100:101], v[119:120], v[98:99], v[117:118]
	v_div_scale_f64 v[102:103], s[20:21], v[100:101], v[100:101], 1.0
	v_div_scale_f64 v[108:109], vcc, 1.0, v[100:101], 1.0
	v_rcp_f64_e32 v[104:105], v[102:103]
	v_fma_f64 v[106:107], -v[102:103], v[104:105], 1.0
	v_fma_f64 v[104:105], v[104:105], v[106:107], v[104:105]
	v_fma_f64 v[106:107], -v[102:103], v[104:105], 1.0
	v_fma_f64 v[104:105], v[104:105], v[106:107], v[104:105]
	v_mul_f64 v[106:107], v[108:109], v[104:105]
	v_fma_f64 v[102:103], -v[102:103], v[106:107], v[108:109]
	v_div_fmas_f64 v[102:103], v[102:103], v[104:105], v[106:107]
	v_div_fixup_f64 v[117:118], v[102:103], v[100:101], 1.0
	v_mul_f64 v[119:120], v[98:99], -v[117:118]
.LBB80_534:
	s_or_b64 exec, exec, s[18:19]
.LBB80_535:
	s_or_b64 exec, exec, s[0:1]
	v_cmp_ne_u32_e32 vcc, v96, v97
	s_and_saveexec_b64 s[0:1], vcc
	s_xor_b64 s[0:1], exec, s[0:1]
	s_cbranch_execz .LBB80_541
; %bb.536:
	v_cmp_eq_u32_e32 vcc, 25, v96
	s_and_saveexec_b64 s[18:19], vcc
	s_cbranch_execz .LBB80_540
; %bb.537:
	v_cmp_ne_u32_e32 vcc, 25, v97
	s_xor_b64 s[20:21], s[6:7], -1
	s_and_b64 s[22:23], s[20:21], vcc
	s_and_saveexec_b64 s[20:21], s[22:23]
	s_cbranch_execz .LBB80_539
; %bb.538:
	v_ashrrev_i32_e32 v98, 31, v97
	v_lshlrev_b64 v[98:99], 2, v[97:98]
	v_add_co_u32_e32 v98, vcc, v91, v98
	v_addc_co_u32_e32 v99, vcc, v92, v99, vcc
	global_load_dword v0, v[98:99], off
	global_load_dword v96, v[91:92], off offset:100
	s_waitcnt vmcnt(1)
	global_store_dword v[91:92], v0, off offset:100
	s_waitcnt vmcnt(1)
	global_store_dword v[98:99], v96, off
.LBB80_539:
	s_or_b64 exec, exec, s[20:21]
	v_mov_b32_e32 v96, v97
	v_mov_b32_e32 v0, v97
.LBB80_540:
	s_or_b64 exec, exec, s[18:19]
.LBB80_541:
	s_andn2_saveexec_b64 s[0:1], s[0:1]
	s_cbranch_execz .LBB80_543
; %bb.542:
	v_mov_b32_e32 v96, 25
	ds_write2_b64 v94, v[53:54], v[55:56] offset0:52 offset1:53
	ds_write2_b64 v94, v[49:50], v[51:52] offset0:54 offset1:55
	;; [unrolled: 1-line block ×15, first 2 shown]
.LBB80_543:
	s_or_b64 exec, exec, s[0:1]
	v_cmp_lt_i32_e32 vcc, 25, v96
	s_waitcnt vmcnt(0) lgkmcnt(0)
	s_barrier
	s_and_saveexec_b64 s[0:1], vcc
	s_cbranch_execz .LBB80_545
; %bb.544:
	v_mul_f64 v[97:98], v[117:118], v[59:60]
	v_mul_f64 v[59:60], v[119:120], v[59:60]
	ds_read2_b64 v[99:102], v94 offset0:52 offset1:53
	v_fma_f64 v[97:98], v[119:120], v[57:58], v[97:98]
	v_fma_f64 v[57:58], v[117:118], v[57:58], -v[59:60]
	s_waitcnt lgkmcnt(0)
	v_mul_f64 v[59:60], v[101:102], v[97:98]
	v_fma_f64 v[59:60], v[99:100], v[57:58], -v[59:60]
	v_mul_f64 v[99:100], v[99:100], v[97:98]
	v_add_f64 v[53:54], v[53:54], -v[59:60]
	v_fma_f64 v[99:100], v[101:102], v[57:58], v[99:100]
	v_add_f64 v[55:56], v[55:56], -v[99:100]
	ds_read2_b64 v[99:102], v94 offset0:54 offset1:55
	s_waitcnt lgkmcnt(0)
	v_mul_f64 v[59:60], v[101:102], v[97:98]
	v_fma_f64 v[59:60], v[99:100], v[57:58], -v[59:60]
	v_mul_f64 v[99:100], v[99:100], v[97:98]
	v_add_f64 v[49:50], v[49:50], -v[59:60]
	v_fma_f64 v[99:100], v[101:102], v[57:58], v[99:100]
	v_add_f64 v[51:52], v[51:52], -v[99:100]
	ds_read2_b64 v[99:102], v94 offset0:56 offset1:57
	;; [unrolled: 8-line block ×14, first 2 shown]
	s_waitcnt lgkmcnt(0)
	v_mul_f64 v[59:60], v[101:102], v[97:98]
	v_fma_f64 v[59:60], v[99:100], v[57:58], -v[59:60]
	v_mul_f64 v[99:100], v[99:100], v[97:98]
	v_add_f64 v[121:122], v[121:122], -v[59:60]
	v_fma_f64 v[99:100], v[101:102], v[57:58], v[99:100]
	v_mov_b32_e32 v59, v97
	v_mov_b32_e32 v60, v98
	v_add_f64 v[123:124], v[123:124], -v[99:100]
.LBB80_545:
	s_or_b64 exec, exec, s[0:1]
	v_lshl_add_u32 v97, v96, 4, v94
	s_barrier
	ds_write2_b64 v97, v[53:54], v[55:56] offset1:1
	s_waitcnt lgkmcnt(0)
	s_barrier
	ds_read2_b64 v[117:120], v94 offset0:52 offset1:53
	s_cmp_lt_i32 s3, 28
	v_mov_b32_e32 v97, 26
	s_cbranch_scc1 .LBB80_548
; %bb.546:
	v_add_u32_e32 v98, 0x1b0, v94
	s_mov_b32 s0, 27
	v_mov_b32_e32 v97, 26
.LBB80_547:                             ; =>This Inner Loop Header: Depth=1
	s_waitcnt lgkmcnt(0)
	v_cmp_gt_f64_e32 vcc, 0, v[117:118]
	v_xor_b32_e32 v103, 0x80000000, v118
	ds_read2_b64 v[99:102], v98 offset1:1
	v_xor_b32_e32 v105, 0x80000000, v120
	v_add_u32_e32 v98, 16, v98
	s_waitcnt lgkmcnt(0)
	v_xor_b32_e32 v107, 0x80000000, v102
	v_cndmask_b32_e32 v104, v118, v103, vcc
	v_cmp_gt_f64_e32 vcc, 0, v[119:120]
	v_mov_b32_e32 v103, v117
	v_cndmask_b32_e32 v106, v120, v105, vcc
	v_cmp_gt_f64_e32 vcc, 0, v[99:100]
	v_mov_b32_e32 v105, v119
	v_add_f64 v[103:104], v[103:104], v[105:106]
	v_xor_b32_e32 v105, 0x80000000, v100
	v_cndmask_b32_e32 v106, v100, v105, vcc
	v_cmp_gt_f64_e32 vcc, 0, v[101:102]
	v_mov_b32_e32 v105, v99
	v_cndmask_b32_e32 v108, v102, v107, vcc
	v_mov_b32_e32 v107, v101
	v_add_f64 v[105:106], v[105:106], v[107:108]
	v_cmp_lt_f64_e32 vcc, v[103:104], v[105:106]
	v_cndmask_b32_e32 v117, v117, v99, vcc
	v_mov_b32_e32 v99, s0
	s_add_i32 s0, s0, 1
	v_cndmask_b32_e32 v118, v118, v100, vcc
	v_cndmask_b32_e32 v120, v120, v102, vcc
	;; [unrolled: 1-line block ×4, first 2 shown]
	s_cmp_lg_u32 s3, s0
	s_cbranch_scc1 .LBB80_547
.LBB80_548:
	s_waitcnt lgkmcnt(0)
	v_cmp_eq_f64_e32 vcc, 0, v[117:118]
	v_cmp_eq_f64_e64 s[0:1], 0, v[119:120]
	s_and_b64 s[0:1], vcc, s[0:1]
	s_and_saveexec_b64 s[18:19], s[0:1]
	s_xor_b64 s[0:1], exec, s[18:19]
; %bb.549:
	v_cmp_ne_u32_e32 vcc, 0, v95
	v_cndmask_b32_e32 v95, 27, v95, vcc
; %bb.550:
	s_andn2_saveexec_b64 s[0:1], s[0:1]
	s_cbranch_execz .LBB80_556
; %bb.551:
	v_cmp_ngt_f64_e64 s[18:19], |v[117:118]|, |v[119:120]|
	s_and_saveexec_b64 s[20:21], s[18:19]
	s_xor_b64 s[18:19], exec, s[20:21]
	s_cbranch_execz .LBB80_553
; %bb.552:
	v_div_scale_f64 v[98:99], s[20:21], v[119:120], v[119:120], v[117:118]
	v_rcp_f64_e32 v[100:101], v[98:99]
	v_fma_f64 v[102:103], -v[98:99], v[100:101], 1.0
	v_fma_f64 v[100:101], v[100:101], v[102:103], v[100:101]
	v_div_scale_f64 v[102:103], vcc, v[117:118], v[119:120], v[117:118]
	v_fma_f64 v[104:105], -v[98:99], v[100:101], 1.0
	v_fma_f64 v[100:101], v[100:101], v[104:105], v[100:101]
	v_mul_f64 v[104:105], v[102:103], v[100:101]
	v_fma_f64 v[98:99], -v[98:99], v[104:105], v[102:103]
	v_div_fmas_f64 v[98:99], v[98:99], v[100:101], v[104:105]
	v_div_fixup_f64 v[98:99], v[98:99], v[119:120], v[117:118]
	v_fma_f64 v[100:101], v[117:118], v[98:99], v[119:120]
	v_div_scale_f64 v[102:103], s[20:21], v[100:101], v[100:101], 1.0
	v_div_scale_f64 v[108:109], vcc, 1.0, v[100:101], 1.0
	v_rcp_f64_e32 v[104:105], v[102:103]
	v_fma_f64 v[106:107], -v[102:103], v[104:105], 1.0
	v_fma_f64 v[104:105], v[104:105], v[106:107], v[104:105]
	v_fma_f64 v[106:107], -v[102:103], v[104:105], 1.0
	v_fma_f64 v[104:105], v[104:105], v[106:107], v[104:105]
	v_mul_f64 v[106:107], v[108:109], v[104:105]
	v_fma_f64 v[102:103], -v[102:103], v[106:107], v[108:109]
	v_div_fmas_f64 v[102:103], v[102:103], v[104:105], v[106:107]
	v_div_fixup_f64 v[119:120], v[102:103], v[100:101], 1.0
	v_mul_f64 v[117:118], v[98:99], v[119:120]
	v_xor_b32_e32 v120, 0x80000000, v120
.LBB80_553:
	s_andn2_saveexec_b64 s[18:19], s[18:19]
	s_cbranch_execz .LBB80_555
; %bb.554:
	v_div_scale_f64 v[98:99], s[20:21], v[117:118], v[117:118], v[119:120]
	v_rcp_f64_e32 v[100:101], v[98:99]
	v_fma_f64 v[102:103], -v[98:99], v[100:101], 1.0
	v_fma_f64 v[100:101], v[100:101], v[102:103], v[100:101]
	v_div_scale_f64 v[102:103], vcc, v[119:120], v[117:118], v[119:120]
	v_fma_f64 v[104:105], -v[98:99], v[100:101], 1.0
	v_fma_f64 v[100:101], v[100:101], v[104:105], v[100:101]
	v_mul_f64 v[104:105], v[102:103], v[100:101]
	v_fma_f64 v[98:99], -v[98:99], v[104:105], v[102:103]
	v_div_fmas_f64 v[98:99], v[98:99], v[100:101], v[104:105]
	v_div_fixup_f64 v[98:99], v[98:99], v[117:118], v[119:120]
	v_fma_f64 v[100:101], v[119:120], v[98:99], v[117:118]
	v_div_scale_f64 v[102:103], s[20:21], v[100:101], v[100:101], 1.0
	v_div_scale_f64 v[108:109], vcc, 1.0, v[100:101], 1.0
	v_rcp_f64_e32 v[104:105], v[102:103]
	v_fma_f64 v[106:107], -v[102:103], v[104:105], 1.0
	v_fma_f64 v[104:105], v[104:105], v[106:107], v[104:105]
	v_fma_f64 v[106:107], -v[102:103], v[104:105], 1.0
	v_fma_f64 v[104:105], v[104:105], v[106:107], v[104:105]
	v_mul_f64 v[106:107], v[108:109], v[104:105]
	v_fma_f64 v[102:103], -v[102:103], v[106:107], v[108:109]
	v_div_fmas_f64 v[102:103], v[102:103], v[104:105], v[106:107]
	v_div_fixup_f64 v[117:118], v[102:103], v[100:101], 1.0
	v_mul_f64 v[119:120], v[98:99], -v[117:118]
.LBB80_555:
	s_or_b64 exec, exec, s[18:19]
.LBB80_556:
	s_or_b64 exec, exec, s[0:1]
	v_cmp_ne_u32_e32 vcc, v96, v97
	s_and_saveexec_b64 s[0:1], vcc
	s_xor_b64 s[0:1], exec, s[0:1]
	s_cbranch_execz .LBB80_562
; %bb.557:
	v_cmp_eq_u32_e32 vcc, 26, v96
	s_and_saveexec_b64 s[18:19], vcc
	s_cbranch_execz .LBB80_561
; %bb.558:
	v_cmp_ne_u32_e32 vcc, 26, v97
	s_xor_b64 s[20:21], s[6:7], -1
	s_and_b64 s[22:23], s[20:21], vcc
	s_and_saveexec_b64 s[20:21], s[22:23]
	s_cbranch_execz .LBB80_560
; %bb.559:
	v_ashrrev_i32_e32 v98, 31, v97
	v_lshlrev_b64 v[98:99], 2, v[97:98]
	v_add_co_u32_e32 v98, vcc, v91, v98
	v_addc_co_u32_e32 v99, vcc, v92, v99, vcc
	global_load_dword v0, v[98:99], off
	global_load_dword v96, v[91:92], off offset:104
	s_waitcnt vmcnt(1)
	global_store_dword v[91:92], v0, off offset:104
	s_waitcnt vmcnt(1)
	global_store_dword v[98:99], v96, off
.LBB80_560:
	s_or_b64 exec, exec, s[20:21]
	v_mov_b32_e32 v96, v97
	v_mov_b32_e32 v0, v97
.LBB80_561:
	s_or_b64 exec, exec, s[18:19]
.LBB80_562:
	s_andn2_saveexec_b64 s[0:1], s[0:1]
	s_cbranch_execz .LBB80_564
; %bb.563:
	v_mov_b32_e32 v96, 26
	ds_write2_b64 v94, v[49:50], v[51:52] offset0:54 offset1:55
	ds_write2_b64 v94, v[45:46], v[47:48] offset0:56 offset1:57
	;; [unrolled: 1-line block ×14, first 2 shown]
.LBB80_564:
	s_or_b64 exec, exec, s[0:1]
	v_cmp_lt_i32_e32 vcc, 26, v96
	s_waitcnt vmcnt(0) lgkmcnt(0)
	s_barrier
	s_and_saveexec_b64 s[0:1], vcc
	s_cbranch_execz .LBB80_566
; %bb.565:
	v_mul_f64 v[97:98], v[117:118], v[55:56]
	v_mul_f64 v[55:56], v[119:120], v[55:56]
	ds_read2_b64 v[99:102], v94 offset0:54 offset1:55
	v_fma_f64 v[97:98], v[119:120], v[53:54], v[97:98]
	v_fma_f64 v[53:54], v[117:118], v[53:54], -v[55:56]
	s_waitcnt lgkmcnt(0)
	v_mul_f64 v[55:56], v[101:102], v[97:98]
	v_fma_f64 v[55:56], v[99:100], v[53:54], -v[55:56]
	v_mul_f64 v[99:100], v[99:100], v[97:98]
	v_add_f64 v[49:50], v[49:50], -v[55:56]
	v_fma_f64 v[99:100], v[101:102], v[53:54], v[99:100]
	v_add_f64 v[51:52], v[51:52], -v[99:100]
	ds_read2_b64 v[99:102], v94 offset0:56 offset1:57
	s_waitcnt lgkmcnt(0)
	v_mul_f64 v[55:56], v[101:102], v[97:98]
	v_fma_f64 v[55:56], v[99:100], v[53:54], -v[55:56]
	v_mul_f64 v[99:100], v[99:100], v[97:98]
	v_add_f64 v[45:46], v[45:46], -v[55:56]
	v_fma_f64 v[99:100], v[101:102], v[53:54], v[99:100]
	v_add_f64 v[47:48], v[47:48], -v[99:100]
	ds_read2_b64 v[99:102], v94 offset0:58 offset1:59
	;; [unrolled: 8-line block ×13, first 2 shown]
	s_waitcnt lgkmcnt(0)
	v_mul_f64 v[55:56], v[101:102], v[97:98]
	v_fma_f64 v[55:56], v[99:100], v[53:54], -v[55:56]
	v_mul_f64 v[99:100], v[99:100], v[97:98]
	v_add_f64 v[121:122], v[121:122], -v[55:56]
	v_fma_f64 v[99:100], v[101:102], v[53:54], v[99:100]
	v_mov_b32_e32 v55, v97
	v_mov_b32_e32 v56, v98
	v_add_f64 v[123:124], v[123:124], -v[99:100]
.LBB80_566:
	s_or_b64 exec, exec, s[0:1]
	v_lshl_add_u32 v97, v96, 4, v94
	s_barrier
	ds_write2_b64 v97, v[49:50], v[51:52] offset1:1
	s_waitcnt lgkmcnt(0)
	s_barrier
	ds_read2_b64 v[117:120], v94 offset0:54 offset1:55
	s_cmp_lt_i32 s3, 29
	v_mov_b32_e32 v97, 27
	s_cbranch_scc1 .LBB80_569
; %bb.567:
	v_add_u32_e32 v98, 0x1c0, v94
	s_mov_b32 s0, 28
	v_mov_b32_e32 v97, 27
.LBB80_568:                             ; =>This Inner Loop Header: Depth=1
	s_waitcnt lgkmcnt(0)
	v_cmp_gt_f64_e32 vcc, 0, v[117:118]
	v_xor_b32_e32 v103, 0x80000000, v118
	ds_read2_b64 v[99:102], v98 offset1:1
	v_xor_b32_e32 v105, 0x80000000, v120
	v_add_u32_e32 v98, 16, v98
	s_waitcnt lgkmcnt(0)
	v_xor_b32_e32 v107, 0x80000000, v102
	v_cndmask_b32_e32 v104, v118, v103, vcc
	v_cmp_gt_f64_e32 vcc, 0, v[119:120]
	v_mov_b32_e32 v103, v117
	v_cndmask_b32_e32 v106, v120, v105, vcc
	v_cmp_gt_f64_e32 vcc, 0, v[99:100]
	v_mov_b32_e32 v105, v119
	v_add_f64 v[103:104], v[103:104], v[105:106]
	v_xor_b32_e32 v105, 0x80000000, v100
	v_cndmask_b32_e32 v106, v100, v105, vcc
	v_cmp_gt_f64_e32 vcc, 0, v[101:102]
	v_mov_b32_e32 v105, v99
	v_cndmask_b32_e32 v108, v102, v107, vcc
	v_mov_b32_e32 v107, v101
	v_add_f64 v[105:106], v[105:106], v[107:108]
	v_cmp_lt_f64_e32 vcc, v[103:104], v[105:106]
	v_cndmask_b32_e32 v117, v117, v99, vcc
	v_mov_b32_e32 v99, s0
	s_add_i32 s0, s0, 1
	v_cndmask_b32_e32 v118, v118, v100, vcc
	v_cndmask_b32_e32 v120, v120, v102, vcc
	v_cndmask_b32_e32 v119, v119, v101, vcc
	v_cndmask_b32_e32 v97, v97, v99, vcc
	s_cmp_lg_u32 s3, s0
	s_cbranch_scc1 .LBB80_568
.LBB80_569:
	s_waitcnt lgkmcnt(0)
	v_cmp_eq_f64_e32 vcc, 0, v[117:118]
	v_cmp_eq_f64_e64 s[0:1], 0, v[119:120]
	s_and_b64 s[0:1], vcc, s[0:1]
	s_and_saveexec_b64 s[18:19], s[0:1]
	s_xor_b64 s[0:1], exec, s[18:19]
; %bb.570:
	v_cmp_ne_u32_e32 vcc, 0, v95
	v_cndmask_b32_e32 v95, 28, v95, vcc
; %bb.571:
	s_andn2_saveexec_b64 s[0:1], s[0:1]
	s_cbranch_execz .LBB80_577
; %bb.572:
	v_cmp_ngt_f64_e64 s[18:19], |v[117:118]|, |v[119:120]|
	s_and_saveexec_b64 s[20:21], s[18:19]
	s_xor_b64 s[18:19], exec, s[20:21]
	s_cbranch_execz .LBB80_574
; %bb.573:
	v_div_scale_f64 v[98:99], s[20:21], v[119:120], v[119:120], v[117:118]
	v_rcp_f64_e32 v[100:101], v[98:99]
	v_fma_f64 v[102:103], -v[98:99], v[100:101], 1.0
	v_fma_f64 v[100:101], v[100:101], v[102:103], v[100:101]
	v_div_scale_f64 v[102:103], vcc, v[117:118], v[119:120], v[117:118]
	v_fma_f64 v[104:105], -v[98:99], v[100:101], 1.0
	v_fma_f64 v[100:101], v[100:101], v[104:105], v[100:101]
	v_mul_f64 v[104:105], v[102:103], v[100:101]
	v_fma_f64 v[98:99], -v[98:99], v[104:105], v[102:103]
	v_div_fmas_f64 v[98:99], v[98:99], v[100:101], v[104:105]
	v_div_fixup_f64 v[98:99], v[98:99], v[119:120], v[117:118]
	v_fma_f64 v[100:101], v[117:118], v[98:99], v[119:120]
	v_div_scale_f64 v[102:103], s[20:21], v[100:101], v[100:101], 1.0
	v_div_scale_f64 v[108:109], vcc, 1.0, v[100:101], 1.0
	v_rcp_f64_e32 v[104:105], v[102:103]
	v_fma_f64 v[106:107], -v[102:103], v[104:105], 1.0
	v_fma_f64 v[104:105], v[104:105], v[106:107], v[104:105]
	v_fma_f64 v[106:107], -v[102:103], v[104:105], 1.0
	v_fma_f64 v[104:105], v[104:105], v[106:107], v[104:105]
	v_mul_f64 v[106:107], v[108:109], v[104:105]
	v_fma_f64 v[102:103], -v[102:103], v[106:107], v[108:109]
	v_div_fmas_f64 v[102:103], v[102:103], v[104:105], v[106:107]
	v_div_fixup_f64 v[119:120], v[102:103], v[100:101], 1.0
	v_mul_f64 v[117:118], v[98:99], v[119:120]
	v_xor_b32_e32 v120, 0x80000000, v120
.LBB80_574:
	s_andn2_saveexec_b64 s[18:19], s[18:19]
	s_cbranch_execz .LBB80_576
; %bb.575:
	v_div_scale_f64 v[98:99], s[20:21], v[117:118], v[117:118], v[119:120]
	v_rcp_f64_e32 v[100:101], v[98:99]
	v_fma_f64 v[102:103], -v[98:99], v[100:101], 1.0
	v_fma_f64 v[100:101], v[100:101], v[102:103], v[100:101]
	v_div_scale_f64 v[102:103], vcc, v[119:120], v[117:118], v[119:120]
	v_fma_f64 v[104:105], -v[98:99], v[100:101], 1.0
	v_fma_f64 v[100:101], v[100:101], v[104:105], v[100:101]
	v_mul_f64 v[104:105], v[102:103], v[100:101]
	v_fma_f64 v[98:99], -v[98:99], v[104:105], v[102:103]
	v_div_fmas_f64 v[98:99], v[98:99], v[100:101], v[104:105]
	v_div_fixup_f64 v[98:99], v[98:99], v[117:118], v[119:120]
	v_fma_f64 v[100:101], v[119:120], v[98:99], v[117:118]
	v_div_scale_f64 v[102:103], s[20:21], v[100:101], v[100:101], 1.0
	v_div_scale_f64 v[108:109], vcc, 1.0, v[100:101], 1.0
	v_rcp_f64_e32 v[104:105], v[102:103]
	v_fma_f64 v[106:107], -v[102:103], v[104:105], 1.0
	v_fma_f64 v[104:105], v[104:105], v[106:107], v[104:105]
	v_fma_f64 v[106:107], -v[102:103], v[104:105], 1.0
	v_fma_f64 v[104:105], v[104:105], v[106:107], v[104:105]
	v_mul_f64 v[106:107], v[108:109], v[104:105]
	v_fma_f64 v[102:103], -v[102:103], v[106:107], v[108:109]
	v_div_fmas_f64 v[102:103], v[102:103], v[104:105], v[106:107]
	v_div_fixup_f64 v[117:118], v[102:103], v[100:101], 1.0
	v_mul_f64 v[119:120], v[98:99], -v[117:118]
.LBB80_576:
	s_or_b64 exec, exec, s[18:19]
.LBB80_577:
	s_or_b64 exec, exec, s[0:1]
	v_cmp_ne_u32_e32 vcc, v96, v97
	s_and_saveexec_b64 s[0:1], vcc
	s_xor_b64 s[0:1], exec, s[0:1]
	s_cbranch_execz .LBB80_583
; %bb.578:
	v_cmp_eq_u32_e32 vcc, 27, v96
	s_and_saveexec_b64 s[18:19], vcc
	s_cbranch_execz .LBB80_582
; %bb.579:
	v_cmp_ne_u32_e32 vcc, 27, v97
	s_xor_b64 s[20:21], s[6:7], -1
	s_and_b64 s[22:23], s[20:21], vcc
	s_and_saveexec_b64 s[20:21], s[22:23]
	s_cbranch_execz .LBB80_581
; %bb.580:
	v_ashrrev_i32_e32 v98, 31, v97
	v_lshlrev_b64 v[98:99], 2, v[97:98]
	v_add_co_u32_e32 v98, vcc, v91, v98
	v_addc_co_u32_e32 v99, vcc, v92, v99, vcc
	global_load_dword v0, v[98:99], off
	global_load_dword v96, v[91:92], off offset:108
	s_waitcnt vmcnt(1)
	global_store_dword v[91:92], v0, off offset:108
	s_waitcnt vmcnt(1)
	global_store_dword v[98:99], v96, off
.LBB80_581:
	s_or_b64 exec, exec, s[20:21]
	v_mov_b32_e32 v96, v97
	v_mov_b32_e32 v0, v97
.LBB80_582:
	s_or_b64 exec, exec, s[18:19]
.LBB80_583:
	s_andn2_saveexec_b64 s[0:1], s[0:1]
	s_cbranch_execz .LBB80_585
; %bb.584:
	v_mov_b32_e32 v96, 27
	ds_write2_b64 v94, v[45:46], v[47:48] offset0:56 offset1:57
	ds_write2_b64 v94, v[41:42], v[43:44] offset0:58 offset1:59
	ds_write2_b64 v94, v[37:38], v[39:40] offset0:60 offset1:61
	ds_write2_b64 v94, v[33:34], v[35:36] offset0:62 offset1:63
	ds_write2_b64 v94, v[29:30], v[31:32] offset0:64 offset1:65
	ds_write2_b64 v94, v[25:26], v[27:28] offset0:66 offset1:67
	ds_write2_b64 v94, v[21:22], v[23:24] offset0:68 offset1:69
	ds_write2_b64 v94, v[17:18], v[19:20] offset0:70 offset1:71
	ds_write2_b64 v94, v[13:14], v[15:16] offset0:72 offset1:73
	ds_write2_b64 v94, v[9:10], v[11:12] offset0:74 offset1:75
	ds_write2_b64 v94, v[5:6], v[7:8] offset0:76 offset1:77
	ds_write2_b64 v94, v[1:2], v[3:4] offset0:78 offset1:79
	ds_write2_b64 v94, v[121:122], v[123:124] offset0:80 offset1:81
.LBB80_585:
	s_or_b64 exec, exec, s[0:1]
	v_cmp_lt_i32_e32 vcc, 27, v96
	s_waitcnt vmcnt(0) lgkmcnt(0)
	s_barrier
	s_and_saveexec_b64 s[0:1], vcc
	s_cbranch_execz .LBB80_587
; %bb.586:
	v_mul_f64 v[97:98], v[117:118], v[51:52]
	v_mul_f64 v[51:52], v[119:120], v[51:52]
	ds_read2_b64 v[99:102], v94 offset0:56 offset1:57
	v_fma_f64 v[97:98], v[119:120], v[49:50], v[97:98]
	v_fma_f64 v[49:50], v[117:118], v[49:50], -v[51:52]
	s_waitcnt lgkmcnt(0)
	v_mul_f64 v[51:52], v[101:102], v[97:98]
	v_fma_f64 v[51:52], v[99:100], v[49:50], -v[51:52]
	v_mul_f64 v[99:100], v[99:100], v[97:98]
	v_add_f64 v[45:46], v[45:46], -v[51:52]
	v_fma_f64 v[99:100], v[101:102], v[49:50], v[99:100]
	v_add_f64 v[47:48], v[47:48], -v[99:100]
	ds_read2_b64 v[99:102], v94 offset0:58 offset1:59
	s_waitcnt lgkmcnt(0)
	v_mul_f64 v[51:52], v[101:102], v[97:98]
	v_fma_f64 v[51:52], v[99:100], v[49:50], -v[51:52]
	v_mul_f64 v[99:100], v[99:100], v[97:98]
	v_add_f64 v[41:42], v[41:42], -v[51:52]
	v_fma_f64 v[99:100], v[101:102], v[49:50], v[99:100]
	v_add_f64 v[43:44], v[43:44], -v[99:100]
	ds_read2_b64 v[99:102], v94 offset0:60 offset1:61
	;; [unrolled: 8-line block ×12, first 2 shown]
	s_waitcnt lgkmcnt(0)
	v_mul_f64 v[51:52], v[101:102], v[97:98]
	v_fma_f64 v[51:52], v[99:100], v[49:50], -v[51:52]
	v_mul_f64 v[99:100], v[99:100], v[97:98]
	v_add_f64 v[121:122], v[121:122], -v[51:52]
	v_fma_f64 v[99:100], v[101:102], v[49:50], v[99:100]
	v_mov_b32_e32 v51, v97
	v_mov_b32_e32 v52, v98
	v_add_f64 v[123:124], v[123:124], -v[99:100]
.LBB80_587:
	s_or_b64 exec, exec, s[0:1]
	v_lshl_add_u32 v97, v96, 4, v94
	s_barrier
	ds_write2_b64 v97, v[45:46], v[47:48] offset1:1
	s_waitcnt lgkmcnt(0)
	s_barrier
	ds_read2_b64 v[117:120], v94 offset0:56 offset1:57
	s_cmp_lt_i32 s3, 30
	v_mov_b32_e32 v97, 28
	s_cbranch_scc1 .LBB80_590
; %bb.588:
	v_add_u32_e32 v98, 0x1d0, v94
	s_mov_b32 s0, 29
	v_mov_b32_e32 v97, 28
.LBB80_589:                             ; =>This Inner Loop Header: Depth=1
	s_waitcnt lgkmcnt(0)
	v_cmp_gt_f64_e32 vcc, 0, v[117:118]
	v_xor_b32_e32 v103, 0x80000000, v118
	ds_read2_b64 v[99:102], v98 offset1:1
	v_xor_b32_e32 v105, 0x80000000, v120
	v_add_u32_e32 v98, 16, v98
	s_waitcnt lgkmcnt(0)
	v_xor_b32_e32 v107, 0x80000000, v102
	v_cndmask_b32_e32 v104, v118, v103, vcc
	v_cmp_gt_f64_e32 vcc, 0, v[119:120]
	v_mov_b32_e32 v103, v117
	v_cndmask_b32_e32 v106, v120, v105, vcc
	v_cmp_gt_f64_e32 vcc, 0, v[99:100]
	v_mov_b32_e32 v105, v119
	v_add_f64 v[103:104], v[103:104], v[105:106]
	v_xor_b32_e32 v105, 0x80000000, v100
	v_cndmask_b32_e32 v106, v100, v105, vcc
	v_cmp_gt_f64_e32 vcc, 0, v[101:102]
	v_mov_b32_e32 v105, v99
	v_cndmask_b32_e32 v108, v102, v107, vcc
	v_mov_b32_e32 v107, v101
	v_add_f64 v[105:106], v[105:106], v[107:108]
	v_cmp_lt_f64_e32 vcc, v[103:104], v[105:106]
	v_cndmask_b32_e32 v117, v117, v99, vcc
	v_mov_b32_e32 v99, s0
	s_add_i32 s0, s0, 1
	v_cndmask_b32_e32 v118, v118, v100, vcc
	v_cndmask_b32_e32 v120, v120, v102, vcc
	;; [unrolled: 1-line block ×4, first 2 shown]
	s_cmp_lg_u32 s3, s0
	s_cbranch_scc1 .LBB80_589
.LBB80_590:
	s_waitcnt lgkmcnt(0)
	v_cmp_eq_f64_e32 vcc, 0, v[117:118]
	v_cmp_eq_f64_e64 s[0:1], 0, v[119:120]
	s_and_b64 s[0:1], vcc, s[0:1]
	s_and_saveexec_b64 s[18:19], s[0:1]
	s_xor_b64 s[0:1], exec, s[18:19]
; %bb.591:
	v_cmp_ne_u32_e32 vcc, 0, v95
	v_cndmask_b32_e32 v95, 29, v95, vcc
; %bb.592:
	s_andn2_saveexec_b64 s[0:1], s[0:1]
	s_cbranch_execz .LBB80_598
; %bb.593:
	v_cmp_ngt_f64_e64 s[18:19], |v[117:118]|, |v[119:120]|
	s_and_saveexec_b64 s[20:21], s[18:19]
	s_xor_b64 s[18:19], exec, s[20:21]
	s_cbranch_execz .LBB80_595
; %bb.594:
	v_div_scale_f64 v[98:99], s[20:21], v[119:120], v[119:120], v[117:118]
	v_rcp_f64_e32 v[100:101], v[98:99]
	v_fma_f64 v[102:103], -v[98:99], v[100:101], 1.0
	v_fma_f64 v[100:101], v[100:101], v[102:103], v[100:101]
	v_div_scale_f64 v[102:103], vcc, v[117:118], v[119:120], v[117:118]
	v_fma_f64 v[104:105], -v[98:99], v[100:101], 1.0
	v_fma_f64 v[100:101], v[100:101], v[104:105], v[100:101]
	v_mul_f64 v[104:105], v[102:103], v[100:101]
	v_fma_f64 v[98:99], -v[98:99], v[104:105], v[102:103]
	v_div_fmas_f64 v[98:99], v[98:99], v[100:101], v[104:105]
	v_div_fixup_f64 v[98:99], v[98:99], v[119:120], v[117:118]
	v_fma_f64 v[100:101], v[117:118], v[98:99], v[119:120]
	v_div_scale_f64 v[102:103], s[20:21], v[100:101], v[100:101], 1.0
	v_div_scale_f64 v[108:109], vcc, 1.0, v[100:101], 1.0
	v_rcp_f64_e32 v[104:105], v[102:103]
	v_fma_f64 v[106:107], -v[102:103], v[104:105], 1.0
	v_fma_f64 v[104:105], v[104:105], v[106:107], v[104:105]
	v_fma_f64 v[106:107], -v[102:103], v[104:105], 1.0
	v_fma_f64 v[104:105], v[104:105], v[106:107], v[104:105]
	v_mul_f64 v[106:107], v[108:109], v[104:105]
	v_fma_f64 v[102:103], -v[102:103], v[106:107], v[108:109]
	v_div_fmas_f64 v[102:103], v[102:103], v[104:105], v[106:107]
	v_div_fixup_f64 v[119:120], v[102:103], v[100:101], 1.0
	v_mul_f64 v[117:118], v[98:99], v[119:120]
	v_xor_b32_e32 v120, 0x80000000, v120
.LBB80_595:
	s_andn2_saveexec_b64 s[18:19], s[18:19]
	s_cbranch_execz .LBB80_597
; %bb.596:
	v_div_scale_f64 v[98:99], s[20:21], v[117:118], v[117:118], v[119:120]
	v_rcp_f64_e32 v[100:101], v[98:99]
	v_fma_f64 v[102:103], -v[98:99], v[100:101], 1.0
	v_fma_f64 v[100:101], v[100:101], v[102:103], v[100:101]
	v_div_scale_f64 v[102:103], vcc, v[119:120], v[117:118], v[119:120]
	v_fma_f64 v[104:105], -v[98:99], v[100:101], 1.0
	v_fma_f64 v[100:101], v[100:101], v[104:105], v[100:101]
	v_mul_f64 v[104:105], v[102:103], v[100:101]
	v_fma_f64 v[98:99], -v[98:99], v[104:105], v[102:103]
	v_div_fmas_f64 v[98:99], v[98:99], v[100:101], v[104:105]
	v_div_fixup_f64 v[98:99], v[98:99], v[117:118], v[119:120]
	v_fma_f64 v[100:101], v[119:120], v[98:99], v[117:118]
	v_div_scale_f64 v[102:103], s[20:21], v[100:101], v[100:101], 1.0
	v_div_scale_f64 v[108:109], vcc, 1.0, v[100:101], 1.0
	v_rcp_f64_e32 v[104:105], v[102:103]
	v_fma_f64 v[106:107], -v[102:103], v[104:105], 1.0
	v_fma_f64 v[104:105], v[104:105], v[106:107], v[104:105]
	v_fma_f64 v[106:107], -v[102:103], v[104:105], 1.0
	v_fma_f64 v[104:105], v[104:105], v[106:107], v[104:105]
	v_mul_f64 v[106:107], v[108:109], v[104:105]
	v_fma_f64 v[102:103], -v[102:103], v[106:107], v[108:109]
	v_div_fmas_f64 v[102:103], v[102:103], v[104:105], v[106:107]
	v_div_fixup_f64 v[117:118], v[102:103], v[100:101], 1.0
	v_mul_f64 v[119:120], v[98:99], -v[117:118]
.LBB80_597:
	s_or_b64 exec, exec, s[18:19]
.LBB80_598:
	s_or_b64 exec, exec, s[0:1]
	v_cmp_ne_u32_e32 vcc, v96, v97
	s_and_saveexec_b64 s[0:1], vcc
	s_xor_b64 s[0:1], exec, s[0:1]
	s_cbranch_execz .LBB80_604
; %bb.599:
	v_cmp_eq_u32_e32 vcc, 28, v96
	s_and_saveexec_b64 s[18:19], vcc
	s_cbranch_execz .LBB80_603
; %bb.600:
	v_cmp_ne_u32_e32 vcc, 28, v97
	s_xor_b64 s[20:21], s[6:7], -1
	s_and_b64 s[22:23], s[20:21], vcc
	s_and_saveexec_b64 s[20:21], s[22:23]
	s_cbranch_execz .LBB80_602
; %bb.601:
	v_ashrrev_i32_e32 v98, 31, v97
	v_lshlrev_b64 v[98:99], 2, v[97:98]
	v_add_co_u32_e32 v98, vcc, v91, v98
	v_addc_co_u32_e32 v99, vcc, v92, v99, vcc
	global_load_dword v0, v[98:99], off
	global_load_dword v96, v[91:92], off offset:112
	s_waitcnt vmcnt(1)
	global_store_dword v[91:92], v0, off offset:112
	s_waitcnt vmcnt(1)
	global_store_dword v[98:99], v96, off
.LBB80_602:
	s_or_b64 exec, exec, s[20:21]
	v_mov_b32_e32 v96, v97
	v_mov_b32_e32 v0, v97
.LBB80_603:
	s_or_b64 exec, exec, s[18:19]
.LBB80_604:
	s_andn2_saveexec_b64 s[0:1], s[0:1]
	s_cbranch_execz .LBB80_606
; %bb.605:
	v_mov_b32_e32 v96, 28
	ds_write2_b64 v94, v[41:42], v[43:44] offset0:58 offset1:59
	ds_write2_b64 v94, v[37:38], v[39:40] offset0:60 offset1:61
	;; [unrolled: 1-line block ×12, first 2 shown]
.LBB80_606:
	s_or_b64 exec, exec, s[0:1]
	v_cmp_lt_i32_e32 vcc, 28, v96
	s_waitcnt vmcnt(0) lgkmcnt(0)
	s_barrier
	s_and_saveexec_b64 s[0:1], vcc
	s_cbranch_execz .LBB80_608
; %bb.607:
	v_mul_f64 v[97:98], v[117:118], v[47:48]
	v_mul_f64 v[47:48], v[119:120], v[47:48]
	ds_read2_b64 v[99:102], v94 offset0:58 offset1:59
	v_fma_f64 v[97:98], v[119:120], v[45:46], v[97:98]
	v_fma_f64 v[45:46], v[117:118], v[45:46], -v[47:48]
	s_waitcnt lgkmcnt(0)
	v_mul_f64 v[47:48], v[101:102], v[97:98]
	v_fma_f64 v[47:48], v[99:100], v[45:46], -v[47:48]
	v_mul_f64 v[99:100], v[99:100], v[97:98]
	v_add_f64 v[41:42], v[41:42], -v[47:48]
	v_fma_f64 v[99:100], v[101:102], v[45:46], v[99:100]
	v_add_f64 v[43:44], v[43:44], -v[99:100]
	ds_read2_b64 v[99:102], v94 offset0:60 offset1:61
	s_waitcnt lgkmcnt(0)
	v_mul_f64 v[47:48], v[101:102], v[97:98]
	v_fma_f64 v[47:48], v[99:100], v[45:46], -v[47:48]
	v_mul_f64 v[99:100], v[99:100], v[97:98]
	v_add_f64 v[37:38], v[37:38], -v[47:48]
	v_fma_f64 v[99:100], v[101:102], v[45:46], v[99:100]
	v_add_f64 v[39:40], v[39:40], -v[99:100]
	ds_read2_b64 v[99:102], v94 offset0:62 offset1:63
	;; [unrolled: 8-line block ×11, first 2 shown]
	s_waitcnt lgkmcnt(0)
	v_mul_f64 v[47:48], v[101:102], v[97:98]
	v_fma_f64 v[47:48], v[99:100], v[45:46], -v[47:48]
	v_mul_f64 v[99:100], v[99:100], v[97:98]
	v_add_f64 v[121:122], v[121:122], -v[47:48]
	v_fma_f64 v[99:100], v[101:102], v[45:46], v[99:100]
	v_mov_b32_e32 v47, v97
	v_mov_b32_e32 v48, v98
	v_add_f64 v[123:124], v[123:124], -v[99:100]
.LBB80_608:
	s_or_b64 exec, exec, s[0:1]
	v_lshl_add_u32 v97, v96, 4, v94
	s_barrier
	ds_write2_b64 v97, v[41:42], v[43:44] offset1:1
	s_waitcnt lgkmcnt(0)
	s_barrier
	ds_read2_b64 v[117:120], v94 offset0:58 offset1:59
	s_cmp_lt_i32 s3, 31
	v_mov_b32_e32 v97, 29
	s_cbranch_scc1 .LBB80_611
; %bb.609:
	v_add_u32_e32 v98, 0x1e0, v94
	s_mov_b32 s0, 30
	v_mov_b32_e32 v97, 29
.LBB80_610:                             ; =>This Inner Loop Header: Depth=1
	s_waitcnt lgkmcnt(0)
	v_cmp_gt_f64_e32 vcc, 0, v[117:118]
	v_xor_b32_e32 v103, 0x80000000, v118
	ds_read2_b64 v[99:102], v98 offset1:1
	v_xor_b32_e32 v105, 0x80000000, v120
	v_add_u32_e32 v98, 16, v98
	s_waitcnt lgkmcnt(0)
	v_xor_b32_e32 v107, 0x80000000, v102
	v_cndmask_b32_e32 v104, v118, v103, vcc
	v_cmp_gt_f64_e32 vcc, 0, v[119:120]
	v_mov_b32_e32 v103, v117
	v_cndmask_b32_e32 v106, v120, v105, vcc
	v_cmp_gt_f64_e32 vcc, 0, v[99:100]
	v_mov_b32_e32 v105, v119
	v_add_f64 v[103:104], v[103:104], v[105:106]
	v_xor_b32_e32 v105, 0x80000000, v100
	v_cndmask_b32_e32 v106, v100, v105, vcc
	v_cmp_gt_f64_e32 vcc, 0, v[101:102]
	v_mov_b32_e32 v105, v99
	v_cndmask_b32_e32 v108, v102, v107, vcc
	v_mov_b32_e32 v107, v101
	v_add_f64 v[105:106], v[105:106], v[107:108]
	v_cmp_lt_f64_e32 vcc, v[103:104], v[105:106]
	v_cndmask_b32_e32 v117, v117, v99, vcc
	v_mov_b32_e32 v99, s0
	s_add_i32 s0, s0, 1
	v_cndmask_b32_e32 v118, v118, v100, vcc
	v_cndmask_b32_e32 v120, v120, v102, vcc
	;; [unrolled: 1-line block ×4, first 2 shown]
	s_cmp_lg_u32 s3, s0
	s_cbranch_scc1 .LBB80_610
.LBB80_611:
	s_waitcnt lgkmcnt(0)
	v_cmp_eq_f64_e32 vcc, 0, v[117:118]
	v_cmp_eq_f64_e64 s[0:1], 0, v[119:120]
	s_and_b64 s[0:1], vcc, s[0:1]
	s_and_saveexec_b64 s[18:19], s[0:1]
	s_xor_b64 s[0:1], exec, s[18:19]
; %bb.612:
	v_cmp_ne_u32_e32 vcc, 0, v95
	v_cndmask_b32_e32 v95, 30, v95, vcc
; %bb.613:
	s_andn2_saveexec_b64 s[0:1], s[0:1]
	s_cbranch_execz .LBB80_619
; %bb.614:
	v_cmp_ngt_f64_e64 s[18:19], |v[117:118]|, |v[119:120]|
	s_and_saveexec_b64 s[20:21], s[18:19]
	s_xor_b64 s[18:19], exec, s[20:21]
	s_cbranch_execz .LBB80_616
; %bb.615:
	v_div_scale_f64 v[98:99], s[20:21], v[119:120], v[119:120], v[117:118]
	v_rcp_f64_e32 v[100:101], v[98:99]
	v_fma_f64 v[102:103], -v[98:99], v[100:101], 1.0
	v_fma_f64 v[100:101], v[100:101], v[102:103], v[100:101]
	v_div_scale_f64 v[102:103], vcc, v[117:118], v[119:120], v[117:118]
	v_fma_f64 v[104:105], -v[98:99], v[100:101], 1.0
	v_fma_f64 v[100:101], v[100:101], v[104:105], v[100:101]
	v_mul_f64 v[104:105], v[102:103], v[100:101]
	v_fma_f64 v[98:99], -v[98:99], v[104:105], v[102:103]
	v_div_fmas_f64 v[98:99], v[98:99], v[100:101], v[104:105]
	v_div_fixup_f64 v[98:99], v[98:99], v[119:120], v[117:118]
	v_fma_f64 v[100:101], v[117:118], v[98:99], v[119:120]
	v_div_scale_f64 v[102:103], s[20:21], v[100:101], v[100:101], 1.0
	v_div_scale_f64 v[108:109], vcc, 1.0, v[100:101], 1.0
	v_rcp_f64_e32 v[104:105], v[102:103]
	v_fma_f64 v[106:107], -v[102:103], v[104:105], 1.0
	v_fma_f64 v[104:105], v[104:105], v[106:107], v[104:105]
	v_fma_f64 v[106:107], -v[102:103], v[104:105], 1.0
	v_fma_f64 v[104:105], v[104:105], v[106:107], v[104:105]
	v_mul_f64 v[106:107], v[108:109], v[104:105]
	v_fma_f64 v[102:103], -v[102:103], v[106:107], v[108:109]
	v_div_fmas_f64 v[102:103], v[102:103], v[104:105], v[106:107]
	v_div_fixup_f64 v[119:120], v[102:103], v[100:101], 1.0
	v_mul_f64 v[117:118], v[98:99], v[119:120]
	v_xor_b32_e32 v120, 0x80000000, v120
.LBB80_616:
	s_andn2_saveexec_b64 s[18:19], s[18:19]
	s_cbranch_execz .LBB80_618
; %bb.617:
	v_div_scale_f64 v[98:99], s[20:21], v[117:118], v[117:118], v[119:120]
	v_rcp_f64_e32 v[100:101], v[98:99]
	v_fma_f64 v[102:103], -v[98:99], v[100:101], 1.0
	v_fma_f64 v[100:101], v[100:101], v[102:103], v[100:101]
	v_div_scale_f64 v[102:103], vcc, v[119:120], v[117:118], v[119:120]
	v_fma_f64 v[104:105], -v[98:99], v[100:101], 1.0
	v_fma_f64 v[100:101], v[100:101], v[104:105], v[100:101]
	v_mul_f64 v[104:105], v[102:103], v[100:101]
	v_fma_f64 v[98:99], -v[98:99], v[104:105], v[102:103]
	v_div_fmas_f64 v[98:99], v[98:99], v[100:101], v[104:105]
	v_div_fixup_f64 v[98:99], v[98:99], v[117:118], v[119:120]
	v_fma_f64 v[100:101], v[119:120], v[98:99], v[117:118]
	v_div_scale_f64 v[102:103], s[20:21], v[100:101], v[100:101], 1.0
	v_div_scale_f64 v[108:109], vcc, 1.0, v[100:101], 1.0
	v_rcp_f64_e32 v[104:105], v[102:103]
	v_fma_f64 v[106:107], -v[102:103], v[104:105], 1.0
	v_fma_f64 v[104:105], v[104:105], v[106:107], v[104:105]
	v_fma_f64 v[106:107], -v[102:103], v[104:105], 1.0
	v_fma_f64 v[104:105], v[104:105], v[106:107], v[104:105]
	v_mul_f64 v[106:107], v[108:109], v[104:105]
	v_fma_f64 v[102:103], -v[102:103], v[106:107], v[108:109]
	v_div_fmas_f64 v[102:103], v[102:103], v[104:105], v[106:107]
	v_div_fixup_f64 v[117:118], v[102:103], v[100:101], 1.0
	v_mul_f64 v[119:120], v[98:99], -v[117:118]
.LBB80_618:
	s_or_b64 exec, exec, s[18:19]
.LBB80_619:
	s_or_b64 exec, exec, s[0:1]
	v_cmp_ne_u32_e32 vcc, v96, v97
	s_and_saveexec_b64 s[0:1], vcc
	s_xor_b64 s[0:1], exec, s[0:1]
	s_cbranch_execz .LBB80_625
; %bb.620:
	v_cmp_eq_u32_e32 vcc, 29, v96
	s_and_saveexec_b64 s[18:19], vcc
	s_cbranch_execz .LBB80_624
; %bb.621:
	v_cmp_ne_u32_e32 vcc, 29, v97
	s_xor_b64 s[20:21], s[6:7], -1
	s_and_b64 s[22:23], s[20:21], vcc
	s_and_saveexec_b64 s[20:21], s[22:23]
	s_cbranch_execz .LBB80_623
; %bb.622:
	v_ashrrev_i32_e32 v98, 31, v97
	v_lshlrev_b64 v[98:99], 2, v[97:98]
	v_add_co_u32_e32 v98, vcc, v91, v98
	v_addc_co_u32_e32 v99, vcc, v92, v99, vcc
	global_load_dword v0, v[98:99], off
	global_load_dword v96, v[91:92], off offset:116
	s_waitcnt vmcnt(1)
	global_store_dword v[91:92], v0, off offset:116
	s_waitcnt vmcnt(1)
	global_store_dword v[98:99], v96, off
.LBB80_623:
	s_or_b64 exec, exec, s[20:21]
	v_mov_b32_e32 v96, v97
	v_mov_b32_e32 v0, v97
.LBB80_624:
	s_or_b64 exec, exec, s[18:19]
.LBB80_625:
	s_andn2_saveexec_b64 s[0:1], s[0:1]
	s_cbranch_execz .LBB80_627
; %bb.626:
	v_mov_b32_e32 v96, 29
	ds_write2_b64 v94, v[37:38], v[39:40] offset0:60 offset1:61
	ds_write2_b64 v94, v[33:34], v[35:36] offset0:62 offset1:63
	;; [unrolled: 1-line block ×11, first 2 shown]
.LBB80_627:
	s_or_b64 exec, exec, s[0:1]
	v_cmp_lt_i32_e32 vcc, 29, v96
	s_waitcnt vmcnt(0) lgkmcnt(0)
	s_barrier
	s_and_saveexec_b64 s[0:1], vcc
	s_cbranch_execz .LBB80_629
; %bb.628:
	v_mul_f64 v[97:98], v[117:118], v[43:44]
	v_mul_f64 v[43:44], v[119:120], v[43:44]
	ds_read2_b64 v[99:102], v94 offset0:60 offset1:61
	v_fma_f64 v[97:98], v[119:120], v[41:42], v[97:98]
	v_fma_f64 v[41:42], v[117:118], v[41:42], -v[43:44]
	s_waitcnt lgkmcnt(0)
	v_mul_f64 v[43:44], v[101:102], v[97:98]
	v_fma_f64 v[43:44], v[99:100], v[41:42], -v[43:44]
	v_mul_f64 v[99:100], v[99:100], v[97:98]
	v_add_f64 v[37:38], v[37:38], -v[43:44]
	v_fma_f64 v[99:100], v[101:102], v[41:42], v[99:100]
	v_add_f64 v[39:40], v[39:40], -v[99:100]
	ds_read2_b64 v[99:102], v94 offset0:62 offset1:63
	s_waitcnt lgkmcnt(0)
	v_mul_f64 v[43:44], v[101:102], v[97:98]
	v_fma_f64 v[43:44], v[99:100], v[41:42], -v[43:44]
	v_mul_f64 v[99:100], v[99:100], v[97:98]
	v_add_f64 v[33:34], v[33:34], -v[43:44]
	v_fma_f64 v[99:100], v[101:102], v[41:42], v[99:100]
	v_add_f64 v[35:36], v[35:36], -v[99:100]
	ds_read2_b64 v[99:102], v94 offset0:64 offset1:65
	;; [unrolled: 8-line block ×10, first 2 shown]
	s_waitcnt lgkmcnt(0)
	v_mul_f64 v[43:44], v[101:102], v[97:98]
	v_fma_f64 v[43:44], v[99:100], v[41:42], -v[43:44]
	v_mul_f64 v[99:100], v[99:100], v[97:98]
	v_add_f64 v[121:122], v[121:122], -v[43:44]
	v_fma_f64 v[99:100], v[101:102], v[41:42], v[99:100]
	v_mov_b32_e32 v43, v97
	v_mov_b32_e32 v44, v98
	v_add_f64 v[123:124], v[123:124], -v[99:100]
.LBB80_629:
	s_or_b64 exec, exec, s[0:1]
	v_lshl_add_u32 v97, v96, 4, v94
	s_barrier
	ds_write2_b64 v97, v[37:38], v[39:40] offset1:1
	s_waitcnt lgkmcnt(0)
	s_barrier
	ds_read2_b64 v[117:120], v94 offset0:60 offset1:61
	s_cmp_lt_i32 s3, 32
	v_mov_b32_e32 v97, 30
	s_cbranch_scc1 .LBB80_632
; %bb.630:
	v_add_u32_e32 v98, 0x1f0, v94
	s_mov_b32 s0, 31
	v_mov_b32_e32 v97, 30
.LBB80_631:                             ; =>This Inner Loop Header: Depth=1
	s_waitcnt lgkmcnt(0)
	v_cmp_gt_f64_e32 vcc, 0, v[117:118]
	v_xor_b32_e32 v103, 0x80000000, v118
	ds_read2_b64 v[99:102], v98 offset1:1
	v_xor_b32_e32 v105, 0x80000000, v120
	v_add_u32_e32 v98, 16, v98
	s_waitcnt lgkmcnt(0)
	v_xor_b32_e32 v107, 0x80000000, v102
	v_cndmask_b32_e32 v104, v118, v103, vcc
	v_cmp_gt_f64_e32 vcc, 0, v[119:120]
	v_mov_b32_e32 v103, v117
	v_cndmask_b32_e32 v106, v120, v105, vcc
	v_cmp_gt_f64_e32 vcc, 0, v[99:100]
	v_mov_b32_e32 v105, v119
	v_add_f64 v[103:104], v[103:104], v[105:106]
	v_xor_b32_e32 v105, 0x80000000, v100
	v_cndmask_b32_e32 v106, v100, v105, vcc
	v_cmp_gt_f64_e32 vcc, 0, v[101:102]
	v_mov_b32_e32 v105, v99
	v_cndmask_b32_e32 v108, v102, v107, vcc
	v_mov_b32_e32 v107, v101
	v_add_f64 v[105:106], v[105:106], v[107:108]
	v_cmp_lt_f64_e32 vcc, v[103:104], v[105:106]
	v_cndmask_b32_e32 v117, v117, v99, vcc
	v_mov_b32_e32 v99, s0
	s_add_i32 s0, s0, 1
	v_cndmask_b32_e32 v118, v118, v100, vcc
	v_cndmask_b32_e32 v120, v120, v102, vcc
	;; [unrolled: 1-line block ×4, first 2 shown]
	s_cmp_lg_u32 s3, s0
	s_cbranch_scc1 .LBB80_631
.LBB80_632:
	s_waitcnt lgkmcnt(0)
	v_cmp_eq_f64_e32 vcc, 0, v[117:118]
	v_cmp_eq_f64_e64 s[0:1], 0, v[119:120]
	s_and_b64 s[0:1], vcc, s[0:1]
	s_and_saveexec_b64 s[18:19], s[0:1]
	s_xor_b64 s[0:1], exec, s[18:19]
; %bb.633:
	v_cmp_ne_u32_e32 vcc, 0, v95
	v_cndmask_b32_e32 v95, 31, v95, vcc
; %bb.634:
	s_andn2_saveexec_b64 s[0:1], s[0:1]
	s_cbranch_execz .LBB80_640
; %bb.635:
	v_cmp_ngt_f64_e64 s[18:19], |v[117:118]|, |v[119:120]|
	s_and_saveexec_b64 s[20:21], s[18:19]
	s_xor_b64 s[18:19], exec, s[20:21]
	s_cbranch_execz .LBB80_637
; %bb.636:
	v_div_scale_f64 v[98:99], s[20:21], v[119:120], v[119:120], v[117:118]
	v_rcp_f64_e32 v[100:101], v[98:99]
	v_fma_f64 v[102:103], -v[98:99], v[100:101], 1.0
	v_fma_f64 v[100:101], v[100:101], v[102:103], v[100:101]
	v_div_scale_f64 v[102:103], vcc, v[117:118], v[119:120], v[117:118]
	v_fma_f64 v[104:105], -v[98:99], v[100:101], 1.0
	v_fma_f64 v[100:101], v[100:101], v[104:105], v[100:101]
	v_mul_f64 v[104:105], v[102:103], v[100:101]
	v_fma_f64 v[98:99], -v[98:99], v[104:105], v[102:103]
	v_div_fmas_f64 v[98:99], v[98:99], v[100:101], v[104:105]
	v_div_fixup_f64 v[98:99], v[98:99], v[119:120], v[117:118]
	v_fma_f64 v[100:101], v[117:118], v[98:99], v[119:120]
	v_div_scale_f64 v[102:103], s[20:21], v[100:101], v[100:101], 1.0
	v_div_scale_f64 v[108:109], vcc, 1.0, v[100:101], 1.0
	v_rcp_f64_e32 v[104:105], v[102:103]
	v_fma_f64 v[106:107], -v[102:103], v[104:105], 1.0
	v_fma_f64 v[104:105], v[104:105], v[106:107], v[104:105]
	v_fma_f64 v[106:107], -v[102:103], v[104:105], 1.0
	v_fma_f64 v[104:105], v[104:105], v[106:107], v[104:105]
	v_mul_f64 v[106:107], v[108:109], v[104:105]
	v_fma_f64 v[102:103], -v[102:103], v[106:107], v[108:109]
	v_div_fmas_f64 v[102:103], v[102:103], v[104:105], v[106:107]
	v_div_fixup_f64 v[119:120], v[102:103], v[100:101], 1.0
	v_mul_f64 v[117:118], v[98:99], v[119:120]
	v_xor_b32_e32 v120, 0x80000000, v120
.LBB80_637:
	s_andn2_saveexec_b64 s[18:19], s[18:19]
	s_cbranch_execz .LBB80_639
; %bb.638:
	v_div_scale_f64 v[98:99], s[20:21], v[117:118], v[117:118], v[119:120]
	v_rcp_f64_e32 v[100:101], v[98:99]
	v_fma_f64 v[102:103], -v[98:99], v[100:101], 1.0
	v_fma_f64 v[100:101], v[100:101], v[102:103], v[100:101]
	v_div_scale_f64 v[102:103], vcc, v[119:120], v[117:118], v[119:120]
	v_fma_f64 v[104:105], -v[98:99], v[100:101], 1.0
	v_fma_f64 v[100:101], v[100:101], v[104:105], v[100:101]
	v_mul_f64 v[104:105], v[102:103], v[100:101]
	v_fma_f64 v[98:99], -v[98:99], v[104:105], v[102:103]
	v_div_fmas_f64 v[98:99], v[98:99], v[100:101], v[104:105]
	v_div_fixup_f64 v[98:99], v[98:99], v[117:118], v[119:120]
	v_fma_f64 v[100:101], v[119:120], v[98:99], v[117:118]
	v_div_scale_f64 v[102:103], s[20:21], v[100:101], v[100:101], 1.0
	v_div_scale_f64 v[108:109], vcc, 1.0, v[100:101], 1.0
	v_rcp_f64_e32 v[104:105], v[102:103]
	v_fma_f64 v[106:107], -v[102:103], v[104:105], 1.0
	v_fma_f64 v[104:105], v[104:105], v[106:107], v[104:105]
	v_fma_f64 v[106:107], -v[102:103], v[104:105], 1.0
	v_fma_f64 v[104:105], v[104:105], v[106:107], v[104:105]
	v_mul_f64 v[106:107], v[108:109], v[104:105]
	v_fma_f64 v[102:103], -v[102:103], v[106:107], v[108:109]
	v_div_fmas_f64 v[102:103], v[102:103], v[104:105], v[106:107]
	v_div_fixup_f64 v[117:118], v[102:103], v[100:101], 1.0
	v_mul_f64 v[119:120], v[98:99], -v[117:118]
.LBB80_639:
	s_or_b64 exec, exec, s[18:19]
.LBB80_640:
	s_or_b64 exec, exec, s[0:1]
	v_cmp_ne_u32_e32 vcc, v96, v97
	s_and_saveexec_b64 s[0:1], vcc
	s_xor_b64 s[0:1], exec, s[0:1]
	s_cbranch_execz .LBB80_646
; %bb.641:
	v_cmp_eq_u32_e32 vcc, 30, v96
	s_and_saveexec_b64 s[18:19], vcc
	s_cbranch_execz .LBB80_645
; %bb.642:
	v_cmp_ne_u32_e32 vcc, 30, v97
	s_xor_b64 s[20:21], s[6:7], -1
	s_and_b64 s[22:23], s[20:21], vcc
	s_and_saveexec_b64 s[20:21], s[22:23]
	s_cbranch_execz .LBB80_644
; %bb.643:
	v_ashrrev_i32_e32 v98, 31, v97
	v_lshlrev_b64 v[98:99], 2, v[97:98]
	v_add_co_u32_e32 v98, vcc, v91, v98
	v_addc_co_u32_e32 v99, vcc, v92, v99, vcc
	global_load_dword v0, v[98:99], off
	global_load_dword v96, v[91:92], off offset:120
	s_waitcnt vmcnt(1)
	global_store_dword v[91:92], v0, off offset:120
	s_waitcnt vmcnt(1)
	global_store_dword v[98:99], v96, off
.LBB80_644:
	s_or_b64 exec, exec, s[20:21]
	v_mov_b32_e32 v96, v97
	v_mov_b32_e32 v0, v97
.LBB80_645:
	s_or_b64 exec, exec, s[18:19]
.LBB80_646:
	s_andn2_saveexec_b64 s[0:1], s[0:1]
	s_cbranch_execz .LBB80_648
; %bb.647:
	v_mov_b32_e32 v96, 30
	ds_write2_b64 v94, v[33:34], v[35:36] offset0:62 offset1:63
	ds_write2_b64 v94, v[29:30], v[31:32] offset0:64 offset1:65
	;; [unrolled: 1-line block ×10, first 2 shown]
.LBB80_648:
	s_or_b64 exec, exec, s[0:1]
	v_cmp_lt_i32_e32 vcc, 30, v96
	s_waitcnt vmcnt(0) lgkmcnt(0)
	s_barrier
	s_and_saveexec_b64 s[0:1], vcc
	s_cbranch_execz .LBB80_650
; %bb.649:
	v_mul_f64 v[97:98], v[117:118], v[39:40]
	v_mul_f64 v[39:40], v[119:120], v[39:40]
	ds_read2_b64 v[99:102], v94 offset0:62 offset1:63
	v_fma_f64 v[97:98], v[119:120], v[37:38], v[97:98]
	v_fma_f64 v[37:38], v[117:118], v[37:38], -v[39:40]
	s_waitcnt lgkmcnt(0)
	v_mul_f64 v[39:40], v[101:102], v[97:98]
	v_fma_f64 v[39:40], v[99:100], v[37:38], -v[39:40]
	v_mul_f64 v[99:100], v[99:100], v[97:98]
	v_add_f64 v[33:34], v[33:34], -v[39:40]
	v_fma_f64 v[99:100], v[101:102], v[37:38], v[99:100]
	v_add_f64 v[35:36], v[35:36], -v[99:100]
	ds_read2_b64 v[99:102], v94 offset0:64 offset1:65
	s_waitcnt lgkmcnt(0)
	v_mul_f64 v[39:40], v[101:102], v[97:98]
	v_fma_f64 v[39:40], v[99:100], v[37:38], -v[39:40]
	v_mul_f64 v[99:100], v[99:100], v[97:98]
	v_add_f64 v[29:30], v[29:30], -v[39:40]
	v_fma_f64 v[99:100], v[101:102], v[37:38], v[99:100]
	v_add_f64 v[31:32], v[31:32], -v[99:100]
	ds_read2_b64 v[99:102], v94 offset0:66 offset1:67
	;; [unrolled: 8-line block ×9, first 2 shown]
	s_waitcnt lgkmcnt(0)
	v_mul_f64 v[39:40], v[101:102], v[97:98]
	v_fma_f64 v[39:40], v[99:100], v[37:38], -v[39:40]
	v_mul_f64 v[99:100], v[99:100], v[97:98]
	v_add_f64 v[121:122], v[121:122], -v[39:40]
	v_fma_f64 v[99:100], v[101:102], v[37:38], v[99:100]
	v_mov_b32_e32 v39, v97
	v_mov_b32_e32 v40, v98
	v_add_f64 v[123:124], v[123:124], -v[99:100]
.LBB80_650:
	s_or_b64 exec, exec, s[0:1]
	v_lshl_add_u32 v97, v96, 4, v94
	s_barrier
	ds_write2_b64 v97, v[33:34], v[35:36] offset1:1
	s_waitcnt lgkmcnt(0)
	s_barrier
	ds_read2_b64 v[117:120], v94 offset0:62 offset1:63
	s_cmp_lt_i32 s3, 33
	v_mov_b32_e32 v97, 31
	s_cbranch_scc1 .LBB80_653
; %bb.651:
	v_add_u32_e32 v98, 0x200, v94
	s_mov_b32 s0, 32
	v_mov_b32_e32 v97, 31
.LBB80_652:                             ; =>This Inner Loop Header: Depth=1
	s_waitcnt lgkmcnt(0)
	v_cmp_gt_f64_e32 vcc, 0, v[117:118]
	v_xor_b32_e32 v103, 0x80000000, v118
	ds_read2_b64 v[99:102], v98 offset1:1
	v_xor_b32_e32 v105, 0x80000000, v120
	v_add_u32_e32 v98, 16, v98
	s_waitcnt lgkmcnt(0)
	v_xor_b32_e32 v107, 0x80000000, v102
	v_cndmask_b32_e32 v104, v118, v103, vcc
	v_cmp_gt_f64_e32 vcc, 0, v[119:120]
	v_mov_b32_e32 v103, v117
	v_cndmask_b32_e32 v106, v120, v105, vcc
	v_cmp_gt_f64_e32 vcc, 0, v[99:100]
	v_mov_b32_e32 v105, v119
	v_add_f64 v[103:104], v[103:104], v[105:106]
	v_xor_b32_e32 v105, 0x80000000, v100
	v_cndmask_b32_e32 v106, v100, v105, vcc
	v_cmp_gt_f64_e32 vcc, 0, v[101:102]
	v_mov_b32_e32 v105, v99
	v_cndmask_b32_e32 v108, v102, v107, vcc
	v_mov_b32_e32 v107, v101
	v_add_f64 v[105:106], v[105:106], v[107:108]
	v_cmp_lt_f64_e32 vcc, v[103:104], v[105:106]
	v_cndmask_b32_e32 v117, v117, v99, vcc
	v_mov_b32_e32 v99, s0
	s_add_i32 s0, s0, 1
	v_cndmask_b32_e32 v118, v118, v100, vcc
	v_cndmask_b32_e32 v120, v120, v102, vcc
	;; [unrolled: 1-line block ×4, first 2 shown]
	s_cmp_lg_u32 s3, s0
	s_cbranch_scc1 .LBB80_652
.LBB80_653:
	s_waitcnt lgkmcnt(0)
	v_cmp_eq_f64_e32 vcc, 0, v[117:118]
	v_cmp_eq_f64_e64 s[0:1], 0, v[119:120]
	s_and_b64 s[0:1], vcc, s[0:1]
	s_and_saveexec_b64 s[18:19], s[0:1]
	s_xor_b64 s[0:1], exec, s[18:19]
; %bb.654:
	v_cmp_ne_u32_e32 vcc, 0, v95
	v_cndmask_b32_e32 v95, 32, v95, vcc
; %bb.655:
	s_andn2_saveexec_b64 s[0:1], s[0:1]
	s_cbranch_execz .LBB80_661
; %bb.656:
	v_cmp_ngt_f64_e64 s[18:19], |v[117:118]|, |v[119:120]|
	s_and_saveexec_b64 s[20:21], s[18:19]
	s_xor_b64 s[18:19], exec, s[20:21]
	s_cbranch_execz .LBB80_658
; %bb.657:
	v_div_scale_f64 v[98:99], s[20:21], v[119:120], v[119:120], v[117:118]
	v_rcp_f64_e32 v[100:101], v[98:99]
	v_fma_f64 v[102:103], -v[98:99], v[100:101], 1.0
	v_fma_f64 v[100:101], v[100:101], v[102:103], v[100:101]
	v_div_scale_f64 v[102:103], vcc, v[117:118], v[119:120], v[117:118]
	v_fma_f64 v[104:105], -v[98:99], v[100:101], 1.0
	v_fma_f64 v[100:101], v[100:101], v[104:105], v[100:101]
	v_mul_f64 v[104:105], v[102:103], v[100:101]
	v_fma_f64 v[98:99], -v[98:99], v[104:105], v[102:103]
	v_div_fmas_f64 v[98:99], v[98:99], v[100:101], v[104:105]
	v_div_fixup_f64 v[98:99], v[98:99], v[119:120], v[117:118]
	v_fma_f64 v[100:101], v[117:118], v[98:99], v[119:120]
	v_div_scale_f64 v[102:103], s[20:21], v[100:101], v[100:101], 1.0
	v_div_scale_f64 v[108:109], vcc, 1.0, v[100:101], 1.0
	v_rcp_f64_e32 v[104:105], v[102:103]
	v_fma_f64 v[106:107], -v[102:103], v[104:105], 1.0
	v_fma_f64 v[104:105], v[104:105], v[106:107], v[104:105]
	v_fma_f64 v[106:107], -v[102:103], v[104:105], 1.0
	v_fma_f64 v[104:105], v[104:105], v[106:107], v[104:105]
	v_mul_f64 v[106:107], v[108:109], v[104:105]
	v_fma_f64 v[102:103], -v[102:103], v[106:107], v[108:109]
	v_div_fmas_f64 v[102:103], v[102:103], v[104:105], v[106:107]
	v_div_fixup_f64 v[119:120], v[102:103], v[100:101], 1.0
	v_mul_f64 v[117:118], v[98:99], v[119:120]
	v_xor_b32_e32 v120, 0x80000000, v120
.LBB80_658:
	s_andn2_saveexec_b64 s[18:19], s[18:19]
	s_cbranch_execz .LBB80_660
; %bb.659:
	v_div_scale_f64 v[98:99], s[20:21], v[117:118], v[117:118], v[119:120]
	v_rcp_f64_e32 v[100:101], v[98:99]
	v_fma_f64 v[102:103], -v[98:99], v[100:101], 1.0
	v_fma_f64 v[100:101], v[100:101], v[102:103], v[100:101]
	v_div_scale_f64 v[102:103], vcc, v[119:120], v[117:118], v[119:120]
	v_fma_f64 v[104:105], -v[98:99], v[100:101], 1.0
	v_fma_f64 v[100:101], v[100:101], v[104:105], v[100:101]
	v_mul_f64 v[104:105], v[102:103], v[100:101]
	v_fma_f64 v[98:99], -v[98:99], v[104:105], v[102:103]
	v_div_fmas_f64 v[98:99], v[98:99], v[100:101], v[104:105]
	v_div_fixup_f64 v[98:99], v[98:99], v[117:118], v[119:120]
	v_fma_f64 v[100:101], v[119:120], v[98:99], v[117:118]
	v_div_scale_f64 v[102:103], s[20:21], v[100:101], v[100:101], 1.0
	v_div_scale_f64 v[108:109], vcc, 1.0, v[100:101], 1.0
	v_rcp_f64_e32 v[104:105], v[102:103]
	v_fma_f64 v[106:107], -v[102:103], v[104:105], 1.0
	v_fma_f64 v[104:105], v[104:105], v[106:107], v[104:105]
	v_fma_f64 v[106:107], -v[102:103], v[104:105], 1.0
	v_fma_f64 v[104:105], v[104:105], v[106:107], v[104:105]
	v_mul_f64 v[106:107], v[108:109], v[104:105]
	v_fma_f64 v[102:103], -v[102:103], v[106:107], v[108:109]
	v_div_fmas_f64 v[102:103], v[102:103], v[104:105], v[106:107]
	v_div_fixup_f64 v[117:118], v[102:103], v[100:101], 1.0
	v_mul_f64 v[119:120], v[98:99], -v[117:118]
.LBB80_660:
	s_or_b64 exec, exec, s[18:19]
.LBB80_661:
	s_or_b64 exec, exec, s[0:1]
	v_cmp_ne_u32_e32 vcc, v96, v97
	s_and_saveexec_b64 s[0:1], vcc
	s_xor_b64 s[0:1], exec, s[0:1]
	s_cbranch_execz .LBB80_667
; %bb.662:
	v_cmp_eq_u32_e32 vcc, 31, v96
	s_and_saveexec_b64 s[18:19], vcc
	s_cbranch_execz .LBB80_666
; %bb.663:
	v_cmp_ne_u32_e32 vcc, 31, v97
	s_xor_b64 s[20:21], s[6:7], -1
	s_and_b64 s[22:23], s[20:21], vcc
	s_and_saveexec_b64 s[20:21], s[22:23]
	s_cbranch_execz .LBB80_665
; %bb.664:
	v_ashrrev_i32_e32 v98, 31, v97
	v_lshlrev_b64 v[98:99], 2, v[97:98]
	v_add_co_u32_e32 v98, vcc, v91, v98
	v_addc_co_u32_e32 v99, vcc, v92, v99, vcc
	global_load_dword v0, v[98:99], off
	global_load_dword v96, v[91:92], off offset:124
	s_waitcnt vmcnt(1)
	global_store_dword v[91:92], v0, off offset:124
	s_waitcnt vmcnt(1)
	global_store_dword v[98:99], v96, off
.LBB80_665:
	s_or_b64 exec, exec, s[20:21]
	v_mov_b32_e32 v96, v97
	v_mov_b32_e32 v0, v97
.LBB80_666:
	s_or_b64 exec, exec, s[18:19]
.LBB80_667:
	s_andn2_saveexec_b64 s[0:1], s[0:1]
	s_cbranch_execz .LBB80_669
; %bb.668:
	v_mov_b32_e32 v96, 31
	ds_write2_b64 v94, v[29:30], v[31:32] offset0:64 offset1:65
	ds_write2_b64 v94, v[25:26], v[27:28] offset0:66 offset1:67
	;; [unrolled: 1-line block ×9, first 2 shown]
.LBB80_669:
	s_or_b64 exec, exec, s[0:1]
	v_cmp_lt_i32_e32 vcc, 31, v96
	s_waitcnt vmcnt(0) lgkmcnt(0)
	s_barrier
	s_and_saveexec_b64 s[0:1], vcc
	s_cbranch_execz .LBB80_671
; %bb.670:
	v_mul_f64 v[97:98], v[117:118], v[35:36]
	v_mul_f64 v[35:36], v[119:120], v[35:36]
	ds_read2_b64 v[99:102], v94 offset0:64 offset1:65
	v_fma_f64 v[97:98], v[119:120], v[33:34], v[97:98]
	v_fma_f64 v[33:34], v[117:118], v[33:34], -v[35:36]
	s_waitcnt lgkmcnt(0)
	v_mul_f64 v[35:36], v[101:102], v[97:98]
	v_fma_f64 v[35:36], v[99:100], v[33:34], -v[35:36]
	v_mul_f64 v[99:100], v[99:100], v[97:98]
	v_add_f64 v[29:30], v[29:30], -v[35:36]
	v_fma_f64 v[99:100], v[101:102], v[33:34], v[99:100]
	v_add_f64 v[31:32], v[31:32], -v[99:100]
	ds_read2_b64 v[99:102], v94 offset0:66 offset1:67
	s_waitcnt lgkmcnt(0)
	v_mul_f64 v[35:36], v[101:102], v[97:98]
	v_fma_f64 v[35:36], v[99:100], v[33:34], -v[35:36]
	v_mul_f64 v[99:100], v[99:100], v[97:98]
	v_add_f64 v[25:26], v[25:26], -v[35:36]
	v_fma_f64 v[99:100], v[101:102], v[33:34], v[99:100]
	v_add_f64 v[27:28], v[27:28], -v[99:100]
	ds_read2_b64 v[99:102], v94 offset0:68 offset1:69
	;; [unrolled: 8-line block ×8, first 2 shown]
	s_waitcnt lgkmcnt(0)
	v_mul_f64 v[35:36], v[101:102], v[97:98]
	v_fma_f64 v[35:36], v[99:100], v[33:34], -v[35:36]
	v_mul_f64 v[99:100], v[99:100], v[97:98]
	v_add_f64 v[121:122], v[121:122], -v[35:36]
	v_fma_f64 v[99:100], v[101:102], v[33:34], v[99:100]
	v_mov_b32_e32 v35, v97
	v_mov_b32_e32 v36, v98
	v_add_f64 v[123:124], v[123:124], -v[99:100]
.LBB80_671:
	s_or_b64 exec, exec, s[0:1]
	v_lshl_add_u32 v97, v96, 4, v94
	s_barrier
	ds_write2_b64 v97, v[29:30], v[31:32] offset1:1
	s_waitcnt lgkmcnt(0)
	s_barrier
	ds_read2_b64 v[117:120], v94 offset0:64 offset1:65
	s_cmp_lt_i32 s3, 34
	v_mov_b32_e32 v97, 32
	s_cbranch_scc1 .LBB80_674
; %bb.672:
	v_add_u32_e32 v98, 0x210, v94
	s_mov_b32 s0, 33
	v_mov_b32_e32 v97, 32
.LBB80_673:                             ; =>This Inner Loop Header: Depth=1
	s_waitcnt lgkmcnt(0)
	v_cmp_gt_f64_e32 vcc, 0, v[117:118]
	v_xor_b32_e32 v103, 0x80000000, v118
	ds_read2_b64 v[99:102], v98 offset1:1
	v_xor_b32_e32 v105, 0x80000000, v120
	v_add_u32_e32 v98, 16, v98
	s_waitcnt lgkmcnt(0)
	v_xor_b32_e32 v107, 0x80000000, v102
	v_cndmask_b32_e32 v104, v118, v103, vcc
	v_cmp_gt_f64_e32 vcc, 0, v[119:120]
	v_mov_b32_e32 v103, v117
	v_cndmask_b32_e32 v106, v120, v105, vcc
	v_cmp_gt_f64_e32 vcc, 0, v[99:100]
	v_mov_b32_e32 v105, v119
	v_add_f64 v[103:104], v[103:104], v[105:106]
	v_xor_b32_e32 v105, 0x80000000, v100
	v_cndmask_b32_e32 v106, v100, v105, vcc
	v_cmp_gt_f64_e32 vcc, 0, v[101:102]
	v_mov_b32_e32 v105, v99
	v_cndmask_b32_e32 v108, v102, v107, vcc
	v_mov_b32_e32 v107, v101
	v_add_f64 v[105:106], v[105:106], v[107:108]
	v_cmp_lt_f64_e32 vcc, v[103:104], v[105:106]
	v_cndmask_b32_e32 v117, v117, v99, vcc
	v_mov_b32_e32 v99, s0
	s_add_i32 s0, s0, 1
	v_cndmask_b32_e32 v118, v118, v100, vcc
	v_cndmask_b32_e32 v120, v120, v102, vcc
	;; [unrolled: 1-line block ×4, first 2 shown]
	s_cmp_lg_u32 s3, s0
	s_cbranch_scc1 .LBB80_673
.LBB80_674:
	s_waitcnt lgkmcnt(0)
	v_cmp_eq_f64_e32 vcc, 0, v[117:118]
	v_cmp_eq_f64_e64 s[0:1], 0, v[119:120]
	s_and_b64 s[0:1], vcc, s[0:1]
	s_and_saveexec_b64 s[18:19], s[0:1]
	s_xor_b64 s[0:1], exec, s[18:19]
; %bb.675:
	v_cmp_ne_u32_e32 vcc, 0, v95
	v_cndmask_b32_e32 v95, 33, v95, vcc
; %bb.676:
	s_andn2_saveexec_b64 s[0:1], s[0:1]
	s_cbranch_execz .LBB80_682
; %bb.677:
	v_cmp_ngt_f64_e64 s[18:19], |v[117:118]|, |v[119:120]|
	s_and_saveexec_b64 s[20:21], s[18:19]
	s_xor_b64 s[18:19], exec, s[20:21]
	s_cbranch_execz .LBB80_679
; %bb.678:
	v_div_scale_f64 v[98:99], s[20:21], v[119:120], v[119:120], v[117:118]
	v_rcp_f64_e32 v[100:101], v[98:99]
	v_fma_f64 v[102:103], -v[98:99], v[100:101], 1.0
	v_fma_f64 v[100:101], v[100:101], v[102:103], v[100:101]
	v_div_scale_f64 v[102:103], vcc, v[117:118], v[119:120], v[117:118]
	v_fma_f64 v[104:105], -v[98:99], v[100:101], 1.0
	v_fma_f64 v[100:101], v[100:101], v[104:105], v[100:101]
	v_mul_f64 v[104:105], v[102:103], v[100:101]
	v_fma_f64 v[98:99], -v[98:99], v[104:105], v[102:103]
	v_div_fmas_f64 v[98:99], v[98:99], v[100:101], v[104:105]
	v_div_fixup_f64 v[98:99], v[98:99], v[119:120], v[117:118]
	v_fma_f64 v[100:101], v[117:118], v[98:99], v[119:120]
	v_div_scale_f64 v[102:103], s[20:21], v[100:101], v[100:101], 1.0
	v_div_scale_f64 v[108:109], vcc, 1.0, v[100:101], 1.0
	v_rcp_f64_e32 v[104:105], v[102:103]
	v_fma_f64 v[106:107], -v[102:103], v[104:105], 1.0
	v_fma_f64 v[104:105], v[104:105], v[106:107], v[104:105]
	v_fma_f64 v[106:107], -v[102:103], v[104:105], 1.0
	v_fma_f64 v[104:105], v[104:105], v[106:107], v[104:105]
	v_mul_f64 v[106:107], v[108:109], v[104:105]
	v_fma_f64 v[102:103], -v[102:103], v[106:107], v[108:109]
	v_div_fmas_f64 v[102:103], v[102:103], v[104:105], v[106:107]
	v_div_fixup_f64 v[119:120], v[102:103], v[100:101], 1.0
	v_mul_f64 v[117:118], v[98:99], v[119:120]
	v_xor_b32_e32 v120, 0x80000000, v120
.LBB80_679:
	s_andn2_saveexec_b64 s[18:19], s[18:19]
	s_cbranch_execz .LBB80_681
; %bb.680:
	v_div_scale_f64 v[98:99], s[20:21], v[117:118], v[117:118], v[119:120]
	v_rcp_f64_e32 v[100:101], v[98:99]
	v_fma_f64 v[102:103], -v[98:99], v[100:101], 1.0
	v_fma_f64 v[100:101], v[100:101], v[102:103], v[100:101]
	v_div_scale_f64 v[102:103], vcc, v[119:120], v[117:118], v[119:120]
	v_fma_f64 v[104:105], -v[98:99], v[100:101], 1.0
	v_fma_f64 v[100:101], v[100:101], v[104:105], v[100:101]
	v_mul_f64 v[104:105], v[102:103], v[100:101]
	v_fma_f64 v[98:99], -v[98:99], v[104:105], v[102:103]
	v_div_fmas_f64 v[98:99], v[98:99], v[100:101], v[104:105]
	v_div_fixup_f64 v[98:99], v[98:99], v[117:118], v[119:120]
	v_fma_f64 v[100:101], v[119:120], v[98:99], v[117:118]
	v_div_scale_f64 v[102:103], s[20:21], v[100:101], v[100:101], 1.0
	v_div_scale_f64 v[108:109], vcc, 1.0, v[100:101], 1.0
	v_rcp_f64_e32 v[104:105], v[102:103]
	v_fma_f64 v[106:107], -v[102:103], v[104:105], 1.0
	v_fma_f64 v[104:105], v[104:105], v[106:107], v[104:105]
	v_fma_f64 v[106:107], -v[102:103], v[104:105], 1.0
	v_fma_f64 v[104:105], v[104:105], v[106:107], v[104:105]
	v_mul_f64 v[106:107], v[108:109], v[104:105]
	v_fma_f64 v[102:103], -v[102:103], v[106:107], v[108:109]
	v_div_fmas_f64 v[102:103], v[102:103], v[104:105], v[106:107]
	v_div_fixup_f64 v[117:118], v[102:103], v[100:101], 1.0
	v_mul_f64 v[119:120], v[98:99], -v[117:118]
.LBB80_681:
	s_or_b64 exec, exec, s[18:19]
.LBB80_682:
	s_or_b64 exec, exec, s[0:1]
	v_cmp_ne_u32_e32 vcc, v96, v97
	s_and_saveexec_b64 s[0:1], vcc
	s_xor_b64 s[0:1], exec, s[0:1]
	s_cbranch_execz .LBB80_688
; %bb.683:
	v_cmp_eq_u32_e32 vcc, 32, v96
	s_and_saveexec_b64 s[18:19], vcc
	s_cbranch_execz .LBB80_687
; %bb.684:
	v_cmp_ne_u32_e32 vcc, 32, v97
	s_xor_b64 s[20:21], s[6:7], -1
	s_and_b64 s[22:23], s[20:21], vcc
	s_and_saveexec_b64 s[20:21], s[22:23]
	s_cbranch_execz .LBB80_686
; %bb.685:
	v_ashrrev_i32_e32 v98, 31, v97
	v_lshlrev_b64 v[98:99], 2, v[97:98]
	v_add_co_u32_e32 v98, vcc, v91, v98
	v_addc_co_u32_e32 v99, vcc, v92, v99, vcc
	global_load_dword v0, v[98:99], off
	global_load_dword v96, v[91:92], off offset:128
	s_waitcnt vmcnt(1)
	global_store_dword v[91:92], v0, off offset:128
	s_waitcnt vmcnt(1)
	global_store_dword v[98:99], v96, off
.LBB80_686:
	s_or_b64 exec, exec, s[20:21]
	v_mov_b32_e32 v96, v97
	v_mov_b32_e32 v0, v97
.LBB80_687:
	s_or_b64 exec, exec, s[18:19]
.LBB80_688:
	s_andn2_saveexec_b64 s[0:1], s[0:1]
	s_cbranch_execz .LBB80_690
; %bb.689:
	v_mov_b32_e32 v96, 32
	ds_write2_b64 v94, v[25:26], v[27:28] offset0:66 offset1:67
	ds_write2_b64 v94, v[21:22], v[23:24] offset0:68 offset1:69
	;; [unrolled: 1-line block ×8, first 2 shown]
.LBB80_690:
	s_or_b64 exec, exec, s[0:1]
	v_cmp_lt_i32_e32 vcc, 32, v96
	s_waitcnt vmcnt(0) lgkmcnt(0)
	s_barrier
	s_and_saveexec_b64 s[0:1], vcc
	s_cbranch_execz .LBB80_692
; %bb.691:
	v_mul_f64 v[97:98], v[117:118], v[31:32]
	v_mul_f64 v[31:32], v[119:120], v[31:32]
	ds_read2_b64 v[99:102], v94 offset0:66 offset1:67
	v_fma_f64 v[97:98], v[119:120], v[29:30], v[97:98]
	v_fma_f64 v[29:30], v[117:118], v[29:30], -v[31:32]
	s_waitcnt lgkmcnt(0)
	v_mul_f64 v[31:32], v[101:102], v[97:98]
	v_fma_f64 v[31:32], v[99:100], v[29:30], -v[31:32]
	v_mul_f64 v[99:100], v[99:100], v[97:98]
	v_add_f64 v[25:26], v[25:26], -v[31:32]
	v_fma_f64 v[99:100], v[101:102], v[29:30], v[99:100]
	v_add_f64 v[27:28], v[27:28], -v[99:100]
	ds_read2_b64 v[99:102], v94 offset0:68 offset1:69
	s_waitcnt lgkmcnt(0)
	v_mul_f64 v[31:32], v[101:102], v[97:98]
	v_fma_f64 v[31:32], v[99:100], v[29:30], -v[31:32]
	v_mul_f64 v[99:100], v[99:100], v[97:98]
	v_add_f64 v[21:22], v[21:22], -v[31:32]
	v_fma_f64 v[99:100], v[101:102], v[29:30], v[99:100]
	v_add_f64 v[23:24], v[23:24], -v[99:100]
	ds_read2_b64 v[99:102], v94 offset0:70 offset1:71
	;; [unrolled: 8-line block ×7, first 2 shown]
	s_waitcnt lgkmcnt(0)
	v_mul_f64 v[31:32], v[101:102], v[97:98]
	v_fma_f64 v[31:32], v[99:100], v[29:30], -v[31:32]
	v_mul_f64 v[99:100], v[99:100], v[97:98]
	v_add_f64 v[121:122], v[121:122], -v[31:32]
	v_fma_f64 v[99:100], v[101:102], v[29:30], v[99:100]
	v_mov_b32_e32 v31, v97
	v_mov_b32_e32 v32, v98
	v_add_f64 v[123:124], v[123:124], -v[99:100]
.LBB80_692:
	s_or_b64 exec, exec, s[0:1]
	v_lshl_add_u32 v97, v96, 4, v94
	s_barrier
	ds_write2_b64 v97, v[25:26], v[27:28] offset1:1
	s_waitcnt lgkmcnt(0)
	s_barrier
	ds_read2_b64 v[117:120], v94 offset0:66 offset1:67
	s_cmp_lt_i32 s3, 35
	v_mov_b32_e32 v97, 33
	s_cbranch_scc1 .LBB80_695
; %bb.693:
	v_add_u32_e32 v98, 0x220, v94
	s_mov_b32 s0, 34
	v_mov_b32_e32 v97, 33
.LBB80_694:                             ; =>This Inner Loop Header: Depth=1
	s_waitcnt lgkmcnt(0)
	v_cmp_gt_f64_e32 vcc, 0, v[117:118]
	v_xor_b32_e32 v103, 0x80000000, v118
	ds_read2_b64 v[99:102], v98 offset1:1
	v_xor_b32_e32 v105, 0x80000000, v120
	v_add_u32_e32 v98, 16, v98
	s_waitcnt lgkmcnt(0)
	v_xor_b32_e32 v107, 0x80000000, v102
	v_cndmask_b32_e32 v104, v118, v103, vcc
	v_cmp_gt_f64_e32 vcc, 0, v[119:120]
	v_mov_b32_e32 v103, v117
	v_cndmask_b32_e32 v106, v120, v105, vcc
	v_cmp_gt_f64_e32 vcc, 0, v[99:100]
	v_mov_b32_e32 v105, v119
	v_add_f64 v[103:104], v[103:104], v[105:106]
	v_xor_b32_e32 v105, 0x80000000, v100
	v_cndmask_b32_e32 v106, v100, v105, vcc
	v_cmp_gt_f64_e32 vcc, 0, v[101:102]
	v_mov_b32_e32 v105, v99
	v_cndmask_b32_e32 v108, v102, v107, vcc
	v_mov_b32_e32 v107, v101
	v_add_f64 v[105:106], v[105:106], v[107:108]
	v_cmp_lt_f64_e32 vcc, v[103:104], v[105:106]
	v_cndmask_b32_e32 v117, v117, v99, vcc
	v_mov_b32_e32 v99, s0
	s_add_i32 s0, s0, 1
	v_cndmask_b32_e32 v118, v118, v100, vcc
	v_cndmask_b32_e32 v120, v120, v102, vcc
	;; [unrolled: 1-line block ×4, first 2 shown]
	s_cmp_lg_u32 s3, s0
	s_cbranch_scc1 .LBB80_694
.LBB80_695:
	s_waitcnt lgkmcnt(0)
	v_cmp_eq_f64_e32 vcc, 0, v[117:118]
	v_cmp_eq_f64_e64 s[0:1], 0, v[119:120]
	s_and_b64 s[0:1], vcc, s[0:1]
	s_and_saveexec_b64 s[18:19], s[0:1]
	s_xor_b64 s[0:1], exec, s[18:19]
; %bb.696:
	v_cmp_ne_u32_e32 vcc, 0, v95
	v_cndmask_b32_e32 v95, 34, v95, vcc
; %bb.697:
	s_andn2_saveexec_b64 s[0:1], s[0:1]
	s_cbranch_execz .LBB80_703
; %bb.698:
	v_cmp_ngt_f64_e64 s[18:19], |v[117:118]|, |v[119:120]|
	s_and_saveexec_b64 s[20:21], s[18:19]
	s_xor_b64 s[18:19], exec, s[20:21]
	s_cbranch_execz .LBB80_700
; %bb.699:
	v_div_scale_f64 v[98:99], s[20:21], v[119:120], v[119:120], v[117:118]
	v_rcp_f64_e32 v[100:101], v[98:99]
	v_fma_f64 v[102:103], -v[98:99], v[100:101], 1.0
	v_fma_f64 v[100:101], v[100:101], v[102:103], v[100:101]
	v_div_scale_f64 v[102:103], vcc, v[117:118], v[119:120], v[117:118]
	v_fma_f64 v[104:105], -v[98:99], v[100:101], 1.0
	v_fma_f64 v[100:101], v[100:101], v[104:105], v[100:101]
	v_mul_f64 v[104:105], v[102:103], v[100:101]
	v_fma_f64 v[98:99], -v[98:99], v[104:105], v[102:103]
	v_div_fmas_f64 v[98:99], v[98:99], v[100:101], v[104:105]
	v_div_fixup_f64 v[98:99], v[98:99], v[119:120], v[117:118]
	v_fma_f64 v[100:101], v[117:118], v[98:99], v[119:120]
	v_div_scale_f64 v[102:103], s[20:21], v[100:101], v[100:101], 1.0
	v_div_scale_f64 v[108:109], vcc, 1.0, v[100:101], 1.0
	v_rcp_f64_e32 v[104:105], v[102:103]
	v_fma_f64 v[106:107], -v[102:103], v[104:105], 1.0
	v_fma_f64 v[104:105], v[104:105], v[106:107], v[104:105]
	v_fma_f64 v[106:107], -v[102:103], v[104:105], 1.0
	v_fma_f64 v[104:105], v[104:105], v[106:107], v[104:105]
	v_mul_f64 v[106:107], v[108:109], v[104:105]
	v_fma_f64 v[102:103], -v[102:103], v[106:107], v[108:109]
	v_div_fmas_f64 v[102:103], v[102:103], v[104:105], v[106:107]
	v_div_fixup_f64 v[119:120], v[102:103], v[100:101], 1.0
	v_mul_f64 v[117:118], v[98:99], v[119:120]
	v_xor_b32_e32 v120, 0x80000000, v120
.LBB80_700:
	s_andn2_saveexec_b64 s[18:19], s[18:19]
	s_cbranch_execz .LBB80_702
; %bb.701:
	v_div_scale_f64 v[98:99], s[20:21], v[117:118], v[117:118], v[119:120]
	v_rcp_f64_e32 v[100:101], v[98:99]
	v_fma_f64 v[102:103], -v[98:99], v[100:101], 1.0
	v_fma_f64 v[100:101], v[100:101], v[102:103], v[100:101]
	v_div_scale_f64 v[102:103], vcc, v[119:120], v[117:118], v[119:120]
	v_fma_f64 v[104:105], -v[98:99], v[100:101], 1.0
	v_fma_f64 v[100:101], v[100:101], v[104:105], v[100:101]
	v_mul_f64 v[104:105], v[102:103], v[100:101]
	v_fma_f64 v[98:99], -v[98:99], v[104:105], v[102:103]
	v_div_fmas_f64 v[98:99], v[98:99], v[100:101], v[104:105]
	v_div_fixup_f64 v[98:99], v[98:99], v[117:118], v[119:120]
	v_fma_f64 v[100:101], v[119:120], v[98:99], v[117:118]
	v_div_scale_f64 v[102:103], s[20:21], v[100:101], v[100:101], 1.0
	v_div_scale_f64 v[108:109], vcc, 1.0, v[100:101], 1.0
	v_rcp_f64_e32 v[104:105], v[102:103]
	v_fma_f64 v[106:107], -v[102:103], v[104:105], 1.0
	v_fma_f64 v[104:105], v[104:105], v[106:107], v[104:105]
	v_fma_f64 v[106:107], -v[102:103], v[104:105], 1.0
	v_fma_f64 v[104:105], v[104:105], v[106:107], v[104:105]
	v_mul_f64 v[106:107], v[108:109], v[104:105]
	v_fma_f64 v[102:103], -v[102:103], v[106:107], v[108:109]
	v_div_fmas_f64 v[102:103], v[102:103], v[104:105], v[106:107]
	v_div_fixup_f64 v[117:118], v[102:103], v[100:101], 1.0
	v_mul_f64 v[119:120], v[98:99], -v[117:118]
.LBB80_702:
	s_or_b64 exec, exec, s[18:19]
.LBB80_703:
	s_or_b64 exec, exec, s[0:1]
	v_cmp_ne_u32_e32 vcc, v96, v97
	s_and_saveexec_b64 s[0:1], vcc
	s_xor_b64 s[0:1], exec, s[0:1]
	s_cbranch_execz .LBB80_709
; %bb.704:
	v_cmp_eq_u32_e32 vcc, 33, v96
	s_and_saveexec_b64 s[18:19], vcc
	s_cbranch_execz .LBB80_708
; %bb.705:
	v_cmp_ne_u32_e32 vcc, 33, v97
	s_xor_b64 s[20:21], s[6:7], -1
	s_and_b64 s[22:23], s[20:21], vcc
	s_and_saveexec_b64 s[20:21], s[22:23]
	s_cbranch_execz .LBB80_707
; %bb.706:
	v_ashrrev_i32_e32 v98, 31, v97
	v_lshlrev_b64 v[98:99], 2, v[97:98]
	v_add_co_u32_e32 v98, vcc, v91, v98
	v_addc_co_u32_e32 v99, vcc, v92, v99, vcc
	global_load_dword v0, v[98:99], off
	global_load_dword v96, v[91:92], off offset:132
	s_waitcnt vmcnt(1)
	global_store_dword v[91:92], v0, off offset:132
	s_waitcnt vmcnt(1)
	global_store_dword v[98:99], v96, off
.LBB80_707:
	s_or_b64 exec, exec, s[20:21]
	v_mov_b32_e32 v96, v97
	v_mov_b32_e32 v0, v97
.LBB80_708:
	s_or_b64 exec, exec, s[18:19]
.LBB80_709:
	s_andn2_saveexec_b64 s[0:1], s[0:1]
	s_cbranch_execz .LBB80_711
; %bb.710:
	v_mov_b32_e32 v96, 33
	ds_write2_b64 v94, v[21:22], v[23:24] offset0:68 offset1:69
	ds_write2_b64 v94, v[17:18], v[19:20] offset0:70 offset1:71
	;; [unrolled: 1-line block ×7, first 2 shown]
.LBB80_711:
	s_or_b64 exec, exec, s[0:1]
	v_cmp_lt_i32_e32 vcc, 33, v96
	s_waitcnt vmcnt(0) lgkmcnt(0)
	s_barrier
	s_and_saveexec_b64 s[0:1], vcc
	s_cbranch_execz .LBB80_713
; %bb.712:
	v_mul_f64 v[97:98], v[117:118], v[27:28]
	v_mul_f64 v[27:28], v[119:120], v[27:28]
	ds_read2_b64 v[99:102], v94 offset0:68 offset1:69
	v_fma_f64 v[97:98], v[119:120], v[25:26], v[97:98]
	v_fma_f64 v[25:26], v[117:118], v[25:26], -v[27:28]
	s_waitcnt lgkmcnt(0)
	v_mul_f64 v[27:28], v[101:102], v[97:98]
	v_fma_f64 v[27:28], v[99:100], v[25:26], -v[27:28]
	v_mul_f64 v[99:100], v[99:100], v[97:98]
	v_add_f64 v[21:22], v[21:22], -v[27:28]
	v_fma_f64 v[99:100], v[101:102], v[25:26], v[99:100]
	v_add_f64 v[23:24], v[23:24], -v[99:100]
	ds_read2_b64 v[99:102], v94 offset0:70 offset1:71
	s_waitcnt lgkmcnt(0)
	v_mul_f64 v[27:28], v[101:102], v[97:98]
	v_fma_f64 v[27:28], v[99:100], v[25:26], -v[27:28]
	v_mul_f64 v[99:100], v[99:100], v[97:98]
	v_add_f64 v[17:18], v[17:18], -v[27:28]
	v_fma_f64 v[99:100], v[101:102], v[25:26], v[99:100]
	v_add_f64 v[19:20], v[19:20], -v[99:100]
	ds_read2_b64 v[99:102], v94 offset0:72 offset1:73
	;; [unrolled: 8-line block ×6, first 2 shown]
	s_waitcnt lgkmcnt(0)
	v_mul_f64 v[27:28], v[101:102], v[97:98]
	v_fma_f64 v[27:28], v[99:100], v[25:26], -v[27:28]
	v_mul_f64 v[99:100], v[99:100], v[97:98]
	v_add_f64 v[121:122], v[121:122], -v[27:28]
	v_fma_f64 v[99:100], v[101:102], v[25:26], v[99:100]
	v_mov_b32_e32 v27, v97
	v_mov_b32_e32 v28, v98
	v_add_f64 v[123:124], v[123:124], -v[99:100]
.LBB80_713:
	s_or_b64 exec, exec, s[0:1]
	v_lshl_add_u32 v97, v96, 4, v94
	s_barrier
	ds_write2_b64 v97, v[21:22], v[23:24] offset1:1
	s_waitcnt lgkmcnt(0)
	s_barrier
	ds_read2_b64 v[117:120], v94 offset0:68 offset1:69
	s_cmp_lt_i32 s3, 36
	v_mov_b32_e32 v97, 34
	s_cbranch_scc1 .LBB80_716
; %bb.714:
	v_add_u32_e32 v98, 0x230, v94
	s_mov_b32 s0, 35
	v_mov_b32_e32 v97, 34
.LBB80_715:                             ; =>This Inner Loop Header: Depth=1
	s_waitcnt lgkmcnt(0)
	v_cmp_gt_f64_e32 vcc, 0, v[117:118]
	v_xor_b32_e32 v103, 0x80000000, v118
	ds_read2_b64 v[99:102], v98 offset1:1
	v_xor_b32_e32 v105, 0x80000000, v120
	v_add_u32_e32 v98, 16, v98
	s_waitcnt lgkmcnt(0)
	v_xor_b32_e32 v107, 0x80000000, v102
	v_cndmask_b32_e32 v104, v118, v103, vcc
	v_cmp_gt_f64_e32 vcc, 0, v[119:120]
	v_mov_b32_e32 v103, v117
	v_cndmask_b32_e32 v106, v120, v105, vcc
	v_cmp_gt_f64_e32 vcc, 0, v[99:100]
	v_mov_b32_e32 v105, v119
	v_add_f64 v[103:104], v[103:104], v[105:106]
	v_xor_b32_e32 v105, 0x80000000, v100
	v_cndmask_b32_e32 v106, v100, v105, vcc
	v_cmp_gt_f64_e32 vcc, 0, v[101:102]
	v_mov_b32_e32 v105, v99
	v_cndmask_b32_e32 v108, v102, v107, vcc
	v_mov_b32_e32 v107, v101
	v_add_f64 v[105:106], v[105:106], v[107:108]
	v_cmp_lt_f64_e32 vcc, v[103:104], v[105:106]
	v_cndmask_b32_e32 v117, v117, v99, vcc
	v_mov_b32_e32 v99, s0
	s_add_i32 s0, s0, 1
	v_cndmask_b32_e32 v118, v118, v100, vcc
	v_cndmask_b32_e32 v120, v120, v102, vcc
	v_cndmask_b32_e32 v119, v119, v101, vcc
	v_cndmask_b32_e32 v97, v97, v99, vcc
	s_cmp_lg_u32 s3, s0
	s_cbranch_scc1 .LBB80_715
.LBB80_716:
	s_waitcnt lgkmcnt(0)
	v_cmp_eq_f64_e32 vcc, 0, v[117:118]
	v_cmp_eq_f64_e64 s[0:1], 0, v[119:120]
	s_and_b64 s[0:1], vcc, s[0:1]
	s_and_saveexec_b64 s[18:19], s[0:1]
	s_xor_b64 s[0:1], exec, s[18:19]
; %bb.717:
	v_cmp_ne_u32_e32 vcc, 0, v95
	v_cndmask_b32_e32 v95, 35, v95, vcc
; %bb.718:
	s_andn2_saveexec_b64 s[0:1], s[0:1]
	s_cbranch_execz .LBB80_724
; %bb.719:
	v_cmp_ngt_f64_e64 s[18:19], |v[117:118]|, |v[119:120]|
	s_and_saveexec_b64 s[20:21], s[18:19]
	s_xor_b64 s[18:19], exec, s[20:21]
	s_cbranch_execz .LBB80_721
; %bb.720:
	v_div_scale_f64 v[98:99], s[20:21], v[119:120], v[119:120], v[117:118]
	v_rcp_f64_e32 v[100:101], v[98:99]
	v_fma_f64 v[102:103], -v[98:99], v[100:101], 1.0
	v_fma_f64 v[100:101], v[100:101], v[102:103], v[100:101]
	v_div_scale_f64 v[102:103], vcc, v[117:118], v[119:120], v[117:118]
	v_fma_f64 v[104:105], -v[98:99], v[100:101], 1.0
	v_fma_f64 v[100:101], v[100:101], v[104:105], v[100:101]
	v_mul_f64 v[104:105], v[102:103], v[100:101]
	v_fma_f64 v[98:99], -v[98:99], v[104:105], v[102:103]
	v_div_fmas_f64 v[98:99], v[98:99], v[100:101], v[104:105]
	v_div_fixup_f64 v[98:99], v[98:99], v[119:120], v[117:118]
	v_fma_f64 v[100:101], v[117:118], v[98:99], v[119:120]
	v_div_scale_f64 v[102:103], s[20:21], v[100:101], v[100:101], 1.0
	v_div_scale_f64 v[108:109], vcc, 1.0, v[100:101], 1.0
	v_rcp_f64_e32 v[104:105], v[102:103]
	v_fma_f64 v[106:107], -v[102:103], v[104:105], 1.0
	v_fma_f64 v[104:105], v[104:105], v[106:107], v[104:105]
	v_fma_f64 v[106:107], -v[102:103], v[104:105], 1.0
	v_fma_f64 v[104:105], v[104:105], v[106:107], v[104:105]
	v_mul_f64 v[106:107], v[108:109], v[104:105]
	v_fma_f64 v[102:103], -v[102:103], v[106:107], v[108:109]
	v_div_fmas_f64 v[102:103], v[102:103], v[104:105], v[106:107]
	v_div_fixup_f64 v[119:120], v[102:103], v[100:101], 1.0
	v_mul_f64 v[117:118], v[98:99], v[119:120]
	v_xor_b32_e32 v120, 0x80000000, v120
.LBB80_721:
	s_andn2_saveexec_b64 s[18:19], s[18:19]
	s_cbranch_execz .LBB80_723
; %bb.722:
	v_div_scale_f64 v[98:99], s[20:21], v[117:118], v[117:118], v[119:120]
	v_rcp_f64_e32 v[100:101], v[98:99]
	v_fma_f64 v[102:103], -v[98:99], v[100:101], 1.0
	v_fma_f64 v[100:101], v[100:101], v[102:103], v[100:101]
	v_div_scale_f64 v[102:103], vcc, v[119:120], v[117:118], v[119:120]
	v_fma_f64 v[104:105], -v[98:99], v[100:101], 1.0
	v_fma_f64 v[100:101], v[100:101], v[104:105], v[100:101]
	v_mul_f64 v[104:105], v[102:103], v[100:101]
	v_fma_f64 v[98:99], -v[98:99], v[104:105], v[102:103]
	v_div_fmas_f64 v[98:99], v[98:99], v[100:101], v[104:105]
	v_div_fixup_f64 v[98:99], v[98:99], v[117:118], v[119:120]
	v_fma_f64 v[100:101], v[119:120], v[98:99], v[117:118]
	v_div_scale_f64 v[102:103], s[20:21], v[100:101], v[100:101], 1.0
	v_div_scale_f64 v[108:109], vcc, 1.0, v[100:101], 1.0
	v_rcp_f64_e32 v[104:105], v[102:103]
	v_fma_f64 v[106:107], -v[102:103], v[104:105], 1.0
	v_fma_f64 v[104:105], v[104:105], v[106:107], v[104:105]
	v_fma_f64 v[106:107], -v[102:103], v[104:105], 1.0
	v_fma_f64 v[104:105], v[104:105], v[106:107], v[104:105]
	v_mul_f64 v[106:107], v[108:109], v[104:105]
	v_fma_f64 v[102:103], -v[102:103], v[106:107], v[108:109]
	v_div_fmas_f64 v[102:103], v[102:103], v[104:105], v[106:107]
	v_div_fixup_f64 v[117:118], v[102:103], v[100:101], 1.0
	v_mul_f64 v[119:120], v[98:99], -v[117:118]
.LBB80_723:
	s_or_b64 exec, exec, s[18:19]
.LBB80_724:
	s_or_b64 exec, exec, s[0:1]
	v_cmp_ne_u32_e32 vcc, v96, v97
	s_and_saveexec_b64 s[0:1], vcc
	s_xor_b64 s[0:1], exec, s[0:1]
	s_cbranch_execz .LBB80_730
; %bb.725:
	v_cmp_eq_u32_e32 vcc, 34, v96
	s_and_saveexec_b64 s[18:19], vcc
	s_cbranch_execz .LBB80_729
; %bb.726:
	v_cmp_ne_u32_e32 vcc, 34, v97
	s_xor_b64 s[20:21], s[6:7], -1
	s_and_b64 s[22:23], s[20:21], vcc
	s_and_saveexec_b64 s[20:21], s[22:23]
	s_cbranch_execz .LBB80_728
; %bb.727:
	v_ashrrev_i32_e32 v98, 31, v97
	v_lshlrev_b64 v[98:99], 2, v[97:98]
	v_add_co_u32_e32 v98, vcc, v91, v98
	v_addc_co_u32_e32 v99, vcc, v92, v99, vcc
	global_load_dword v0, v[98:99], off
	global_load_dword v96, v[91:92], off offset:136
	s_waitcnt vmcnt(1)
	global_store_dword v[91:92], v0, off offset:136
	s_waitcnt vmcnt(1)
	global_store_dword v[98:99], v96, off
.LBB80_728:
	s_or_b64 exec, exec, s[20:21]
	v_mov_b32_e32 v96, v97
	v_mov_b32_e32 v0, v97
.LBB80_729:
	s_or_b64 exec, exec, s[18:19]
.LBB80_730:
	s_andn2_saveexec_b64 s[0:1], s[0:1]
	s_cbranch_execz .LBB80_732
; %bb.731:
	v_mov_b32_e32 v96, 34
	ds_write2_b64 v94, v[17:18], v[19:20] offset0:70 offset1:71
	ds_write2_b64 v94, v[13:14], v[15:16] offset0:72 offset1:73
	;; [unrolled: 1-line block ×6, first 2 shown]
.LBB80_732:
	s_or_b64 exec, exec, s[0:1]
	v_cmp_lt_i32_e32 vcc, 34, v96
	s_waitcnt vmcnt(0) lgkmcnt(0)
	s_barrier
	s_and_saveexec_b64 s[0:1], vcc
	s_cbranch_execz .LBB80_734
; %bb.733:
	v_mul_f64 v[97:98], v[117:118], v[23:24]
	v_mul_f64 v[23:24], v[119:120], v[23:24]
	ds_read2_b64 v[99:102], v94 offset0:70 offset1:71
	v_fma_f64 v[97:98], v[119:120], v[21:22], v[97:98]
	v_fma_f64 v[21:22], v[117:118], v[21:22], -v[23:24]
	s_waitcnt lgkmcnt(0)
	v_mul_f64 v[23:24], v[101:102], v[97:98]
	v_fma_f64 v[23:24], v[99:100], v[21:22], -v[23:24]
	v_mul_f64 v[99:100], v[99:100], v[97:98]
	v_add_f64 v[17:18], v[17:18], -v[23:24]
	v_fma_f64 v[99:100], v[101:102], v[21:22], v[99:100]
	v_add_f64 v[19:20], v[19:20], -v[99:100]
	ds_read2_b64 v[99:102], v94 offset0:72 offset1:73
	s_waitcnt lgkmcnt(0)
	v_mul_f64 v[23:24], v[101:102], v[97:98]
	v_fma_f64 v[23:24], v[99:100], v[21:22], -v[23:24]
	v_mul_f64 v[99:100], v[99:100], v[97:98]
	v_add_f64 v[13:14], v[13:14], -v[23:24]
	v_fma_f64 v[99:100], v[101:102], v[21:22], v[99:100]
	v_add_f64 v[15:16], v[15:16], -v[99:100]
	ds_read2_b64 v[99:102], v94 offset0:74 offset1:75
	;; [unrolled: 8-line block ×5, first 2 shown]
	s_waitcnt lgkmcnt(0)
	v_mul_f64 v[23:24], v[101:102], v[97:98]
	v_fma_f64 v[23:24], v[99:100], v[21:22], -v[23:24]
	v_mul_f64 v[99:100], v[99:100], v[97:98]
	v_add_f64 v[121:122], v[121:122], -v[23:24]
	v_fma_f64 v[99:100], v[101:102], v[21:22], v[99:100]
	v_mov_b32_e32 v23, v97
	v_mov_b32_e32 v24, v98
	v_add_f64 v[123:124], v[123:124], -v[99:100]
.LBB80_734:
	s_or_b64 exec, exec, s[0:1]
	v_lshl_add_u32 v97, v96, 4, v94
	s_barrier
	ds_write2_b64 v97, v[17:18], v[19:20] offset1:1
	s_waitcnt lgkmcnt(0)
	s_barrier
	ds_read2_b64 v[117:120], v94 offset0:70 offset1:71
	s_cmp_lt_i32 s3, 37
	v_mov_b32_e32 v97, 35
	s_cbranch_scc1 .LBB80_737
; %bb.735:
	v_add_u32_e32 v98, 0x240, v94
	s_mov_b32 s0, 36
	v_mov_b32_e32 v97, 35
.LBB80_736:                             ; =>This Inner Loop Header: Depth=1
	s_waitcnt lgkmcnt(0)
	v_cmp_gt_f64_e32 vcc, 0, v[117:118]
	v_xor_b32_e32 v103, 0x80000000, v118
	ds_read2_b64 v[99:102], v98 offset1:1
	v_xor_b32_e32 v105, 0x80000000, v120
	v_add_u32_e32 v98, 16, v98
	s_waitcnt lgkmcnt(0)
	v_xor_b32_e32 v107, 0x80000000, v102
	v_cndmask_b32_e32 v104, v118, v103, vcc
	v_cmp_gt_f64_e32 vcc, 0, v[119:120]
	v_mov_b32_e32 v103, v117
	v_cndmask_b32_e32 v106, v120, v105, vcc
	v_cmp_gt_f64_e32 vcc, 0, v[99:100]
	v_mov_b32_e32 v105, v119
	v_add_f64 v[103:104], v[103:104], v[105:106]
	v_xor_b32_e32 v105, 0x80000000, v100
	v_cndmask_b32_e32 v106, v100, v105, vcc
	v_cmp_gt_f64_e32 vcc, 0, v[101:102]
	v_mov_b32_e32 v105, v99
	v_cndmask_b32_e32 v108, v102, v107, vcc
	v_mov_b32_e32 v107, v101
	v_add_f64 v[105:106], v[105:106], v[107:108]
	v_cmp_lt_f64_e32 vcc, v[103:104], v[105:106]
	v_cndmask_b32_e32 v117, v117, v99, vcc
	v_mov_b32_e32 v99, s0
	s_add_i32 s0, s0, 1
	v_cndmask_b32_e32 v118, v118, v100, vcc
	v_cndmask_b32_e32 v120, v120, v102, vcc
	;; [unrolled: 1-line block ×4, first 2 shown]
	s_cmp_lg_u32 s3, s0
	s_cbranch_scc1 .LBB80_736
.LBB80_737:
	s_waitcnt lgkmcnt(0)
	v_cmp_eq_f64_e32 vcc, 0, v[117:118]
	v_cmp_eq_f64_e64 s[0:1], 0, v[119:120]
	s_and_b64 s[0:1], vcc, s[0:1]
	s_and_saveexec_b64 s[18:19], s[0:1]
	s_xor_b64 s[0:1], exec, s[18:19]
; %bb.738:
	v_cmp_ne_u32_e32 vcc, 0, v95
	v_cndmask_b32_e32 v95, 36, v95, vcc
; %bb.739:
	s_andn2_saveexec_b64 s[0:1], s[0:1]
	s_cbranch_execz .LBB80_745
; %bb.740:
	v_cmp_ngt_f64_e64 s[18:19], |v[117:118]|, |v[119:120]|
	s_and_saveexec_b64 s[20:21], s[18:19]
	s_xor_b64 s[18:19], exec, s[20:21]
	s_cbranch_execz .LBB80_742
; %bb.741:
	v_div_scale_f64 v[98:99], s[20:21], v[119:120], v[119:120], v[117:118]
	v_rcp_f64_e32 v[100:101], v[98:99]
	v_fma_f64 v[102:103], -v[98:99], v[100:101], 1.0
	v_fma_f64 v[100:101], v[100:101], v[102:103], v[100:101]
	v_div_scale_f64 v[102:103], vcc, v[117:118], v[119:120], v[117:118]
	v_fma_f64 v[104:105], -v[98:99], v[100:101], 1.0
	v_fma_f64 v[100:101], v[100:101], v[104:105], v[100:101]
	v_mul_f64 v[104:105], v[102:103], v[100:101]
	v_fma_f64 v[98:99], -v[98:99], v[104:105], v[102:103]
	v_div_fmas_f64 v[98:99], v[98:99], v[100:101], v[104:105]
	v_div_fixup_f64 v[98:99], v[98:99], v[119:120], v[117:118]
	v_fma_f64 v[100:101], v[117:118], v[98:99], v[119:120]
	v_div_scale_f64 v[102:103], s[20:21], v[100:101], v[100:101], 1.0
	v_div_scale_f64 v[108:109], vcc, 1.0, v[100:101], 1.0
	v_rcp_f64_e32 v[104:105], v[102:103]
	v_fma_f64 v[106:107], -v[102:103], v[104:105], 1.0
	v_fma_f64 v[104:105], v[104:105], v[106:107], v[104:105]
	v_fma_f64 v[106:107], -v[102:103], v[104:105], 1.0
	v_fma_f64 v[104:105], v[104:105], v[106:107], v[104:105]
	v_mul_f64 v[106:107], v[108:109], v[104:105]
	v_fma_f64 v[102:103], -v[102:103], v[106:107], v[108:109]
	v_div_fmas_f64 v[102:103], v[102:103], v[104:105], v[106:107]
	v_div_fixup_f64 v[119:120], v[102:103], v[100:101], 1.0
	v_mul_f64 v[117:118], v[98:99], v[119:120]
	v_xor_b32_e32 v120, 0x80000000, v120
.LBB80_742:
	s_andn2_saveexec_b64 s[18:19], s[18:19]
	s_cbranch_execz .LBB80_744
; %bb.743:
	v_div_scale_f64 v[98:99], s[20:21], v[117:118], v[117:118], v[119:120]
	v_rcp_f64_e32 v[100:101], v[98:99]
	v_fma_f64 v[102:103], -v[98:99], v[100:101], 1.0
	v_fma_f64 v[100:101], v[100:101], v[102:103], v[100:101]
	v_div_scale_f64 v[102:103], vcc, v[119:120], v[117:118], v[119:120]
	v_fma_f64 v[104:105], -v[98:99], v[100:101], 1.0
	v_fma_f64 v[100:101], v[100:101], v[104:105], v[100:101]
	v_mul_f64 v[104:105], v[102:103], v[100:101]
	v_fma_f64 v[98:99], -v[98:99], v[104:105], v[102:103]
	v_div_fmas_f64 v[98:99], v[98:99], v[100:101], v[104:105]
	v_div_fixup_f64 v[98:99], v[98:99], v[117:118], v[119:120]
	v_fma_f64 v[100:101], v[119:120], v[98:99], v[117:118]
	v_div_scale_f64 v[102:103], s[20:21], v[100:101], v[100:101], 1.0
	v_div_scale_f64 v[108:109], vcc, 1.0, v[100:101], 1.0
	v_rcp_f64_e32 v[104:105], v[102:103]
	v_fma_f64 v[106:107], -v[102:103], v[104:105], 1.0
	v_fma_f64 v[104:105], v[104:105], v[106:107], v[104:105]
	v_fma_f64 v[106:107], -v[102:103], v[104:105], 1.0
	v_fma_f64 v[104:105], v[104:105], v[106:107], v[104:105]
	v_mul_f64 v[106:107], v[108:109], v[104:105]
	v_fma_f64 v[102:103], -v[102:103], v[106:107], v[108:109]
	v_div_fmas_f64 v[102:103], v[102:103], v[104:105], v[106:107]
	v_div_fixup_f64 v[117:118], v[102:103], v[100:101], 1.0
	v_mul_f64 v[119:120], v[98:99], -v[117:118]
.LBB80_744:
	s_or_b64 exec, exec, s[18:19]
.LBB80_745:
	s_or_b64 exec, exec, s[0:1]
	v_cmp_ne_u32_e32 vcc, v96, v97
	s_and_saveexec_b64 s[0:1], vcc
	s_xor_b64 s[0:1], exec, s[0:1]
	s_cbranch_execz .LBB80_751
; %bb.746:
	v_cmp_eq_u32_e32 vcc, 35, v96
	s_and_saveexec_b64 s[18:19], vcc
	s_cbranch_execz .LBB80_750
; %bb.747:
	v_cmp_ne_u32_e32 vcc, 35, v97
	s_xor_b64 s[20:21], s[6:7], -1
	s_and_b64 s[22:23], s[20:21], vcc
	s_and_saveexec_b64 s[20:21], s[22:23]
	s_cbranch_execz .LBB80_749
; %bb.748:
	v_ashrrev_i32_e32 v98, 31, v97
	v_lshlrev_b64 v[98:99], 2, v[97:98]
	v_add_co_u32_e32 v98, vcc, v91, v98
	v_addc_co_u32_e32 v99, vcc, v92, v99, vcc
	global_load_dword v0, v[98:99], off
	global_load_dword v96, v[91:92], off offset:140
	s_waitcnt vmcnt(1)
	global_store_dword v[91:92], v0, off offset:140
	s_waitcnt vmcnt(1)
	global_store_dword v[98:99], v96, off
.LBB80_749:
	s_or_b64 exec, exec, s[20:21]
	v_mov_b32_e32 v96, v97
	v_mov_b32_e32 v0, v97
.LBB80_750:
	s_or_b64 exec, exec, s[18:19]
.LBB80_751:
	s_andn2_saveexec_b64 s[0:1], s[0:1]
	s_cbranch_execz .LBB80_753
; %bb.752:
	v_mov_b32_e32 v96, 35
	ds_write2_b64 v94, v[13:14], v[15:16] offset0:72 offset1:73
	ds_write2_b64 v94, v[9:10], v[11:12] offset0:74 offset1:75
	;; [unrolled: 1-line block ×5, first 2 shown]
.LBB80_753:
	s_or_b64 exec, exec, s[0:1]
	v_cmp_lt_i32_e32 vcc, 35, v96
	s_waitcnt vmcnt(0) lgkmcnt(0)
	s_barrier
	s_and_saveexec_b64 s[0:1], vcc
	s_cbranch_execz .LBB80_755
; %bb.754:
	v_mul_f64 v[97:98], v[117:118], v[19:20]
	v_mul_f64 v[19:20], v[119:120], v[19:20]
	v_fma_f64 v[101:102], v[119:120], v[17:18], v[97:98]
	ds_read2_b64 v[97:100], v94 offset0:72 offset1:73
	v_fma_f64 v[17:18], v[117:118], v[17:18], -v[19:20]
	s_waitcnt lgkmcnt(0)
	v_mul_f64 v[19:20], v[99:100], v[101:102]
	v_fma_f64 v[19:20], v[97:98], v[17:18], -v[19:20]
	v_mul_f64 v[97:98], v[97:98], v[101:102]
	v_add_f64 v[13:14], v[13:14], -v[19:20]
	v_fma_f64 v[97:98], v[99:100], v[17:18], v[97:98]
	v_add_f64 v[15:16], v[15:16], -v[97:98]
	ds_read2_b64 v[97:100], v94 offset0:74 offset1:75
	s_waitcnt lgkmcnt(0)
	v_mul_f64 v[19:20], v[99:100], v[101:102]
	v_fma_f64 v[19:20], v[97:98], v[17:18], -v[19:20]
	v_mul_f64 v[97:98], v[97:98], v[101:102]
	v_add_f64 v[9:10], v[9:10], -v[19:20]
	v_fma_f64 v[97:98], v[99:100], v[17:18], v[97:98]
	v_add_f64 v[11:12], v[11:12], -v[97:98]
	ds_read2_b64 v[97:100], v94 offset0:76 offset1:77
	;; [unrolled: 8-line block ×4, first 2 shown]
	s_waitcnt lgkmcnt(0)
	v_mul_f64 v[19:20], v[99:100], v[101:102]
	v_fma_f64 v[19:20], v[97:98], v[17:18], -v[19:20]
	v_mul_f64 v[97:98], v[97:98], v[101:102]
	v_add_f64 v[121:122], v[121:122], -v[19:20]
	v_fma_f64 v[97:98], v[99:100], v[17:18], v[97:98]
	v_mov_b32_e32 v19, v101
	v_mov_b32_e32 v20, v102
	v_add_f64 v[123:124], v[123:124], -v[97:98]
.LBB80_755:
	s_or_b64 exec, exec, s[0:1]
	v_lshl_add_u32 v97, v96, 4, v94
	s_barrier
	ds_write2_b64 v97, v[13:14], v[15:16] offset1:1
	s_waitcnt lgkmcnt(0)
	s_barrier
	ds_read2_b64 v[117:120], v94 offset0:72 offset1:73
	s_cmp_lt_i32 s3, 38
	v_mov_b32_e32 v97, 36
	s_cbranch_scc1 .LBB80_758
; %bb.756:
	v_add_u32_e32 v98, 0x250, v94
	s_mov_b32 s0, 37
	v_mov_b32_e32 v97, 36
.LBB80_757:                             ; =>This Inner Loop Header: Depth=1
	s_waitcnt lgkmcnt(0)
	v_cmp_gt_f64_e32 vcc, 0, v[117:118]
	v_xor_b32_e32 v103, 0x80000000, v118
	ds_read2_b64 v[99:102], v98 offset1:1
	v_xor_b32_e32 v105, 0x80000000, v120
	v_add_u32_e32 v98, 16, v98
	s_waitcnt lgkmcnt(0)
	v_xor_b32_e32 v107, 0x80000000, v102
	v_cndmask_b32_e32 v104, v118, v103, vcc
	v_cmp_gt_f64_e32 vcc, 0, v[119:120]
	v_mov_b32_e32 v103, v117
	v_cndmask_b32_e32 v106, v120, v105, vcc
	v_cmp_gt_f64_e32 vcc, 0, v[99:100]
	v_mov_b32_e32 v105, v119
	v_add_f64 v[103:104], v[103:104], v[105:106]
	v_xor_b32_e32 v105, 0x80000000, v100
	v_cndmask_b32_e32 v106, v100, v105, vcc
	v_cmp_gt_f64_e32 vcc, 0, v[101:102]
	v_mov_b32_e32 v105, v99
	v_cndmask_b32_e32 v108, v102, v107, vcc
	v_mov_b32_e32 v107, v101
	v_add_f64 v[105:106], v[105:106], v[107:108]
	v_cmp_lt_f64_e32 vcc, v[103:104], v[105:106]
	v_cndmask_b32_e32 v117, v117, v99, vcc
	v_mov_b32_e32 v99, s0
	s_add_i32 s0, s0, 1
	v_cndmask_b32_e32 v118, v118, v100, vcc
	v_cndmask_b32_e32 v120, v120, v102, vcc
	;; [unrolled: 1-line block ×4, first 2 shown]
	s_cmp_lg_u32 s3, s0
	s_cbranch_scc1 .LBB80_757
.LBB80_758:
	s_waitcnt lgkmcnt(0)
	v_cmp_eq_f64_e32 vcc, 0, v[117:118]
	v_cmp_eq_f64_e64 s[0:1], 0, v[119:120]
	s_and_b64 s[0:1], vcc, s[0:1]
	s_and_saveexec_b64 s[18:19], s[0:1]
	s_xor_b64 s[0:1], exec, s[18:19]
; %bb.759:
	v_cmp_ne_u32_e32 vcc, 0, v95
	v_cndmask_b32_e32 v95, 37, v95, vcc
; %bb.760:
	s_andn2_saveexec_b64 s[0:1], s[0:1]
	s_cbranch_execz .LBB80_766
; %bb.761:
	v_cmp_ngt_f64_e64 s[18:19], |v[117:118]|, |v[119:120]|
	s_and_saveexec_b64 s[20:21], s[18:19]
	s_xor_b64 s[18:19], exec, s[20:21]
	s_cbranch_execz .LBB80_763
; %bb.762:
	v_div_scale_f64 v[98:99], s[20:21], v[119:120], v[119:120], v[117:118]
	v_rcp_f64_e32 v[100:101], v[98:99]
	v_fma_f64 v[102:103], -v[98:99], v[100:101], 1.0
	v_fma_f64 v[100:101], v[100:101], v[102:103], v[100:101]
	v_div_scale_f64 v[102:103], vcc, v[117:118], v[119:120], v[117:118]
	v_fma_f64 v[104:105], -v[98:99], v[100:101], 1.0
	v_fma_f64 v[100:101], v[100:101], v[104:105], v[100:101]
	v_mul_f64 v[104:105], v[102:103], v[100:101]
	v_fma_f64 v[98:99], -v[98:99], v[104:105], v[102:103]
	v_div_fmas_f64 v[98:99], v[98:99], v[100:101], v[104:105]
	v_div_fixup_f64 v[98:99], v[98:99], v[119:120], v[117:118]
	v_fma_f64 v[100:101], v[117:118], v[98:99], v[119:120]
	v_div_scale_f64 v[102:103], s[20:21], v[100:101], v[100:101], 1.0
	v_div_scale_f64 v[108:109], vcc, 1.0, v[100:101], 1.0
	v_rcp_f64_e32 v[104:105], v[102:103]
	v_fma_f64 v[106:107], -v[102:103], v[104:105], 1.0
	v_fma_f64 v[104:105], v[104:105], v[106:107], v[104:105]
	v_fma_f64 v[106:107], -v[102:103], v[104:105], 1.0
	v_fma_f64 v[104:105], v[104:105], v[106:107], v[104:105]
	v_mul_f64 v[106:107], v[108:109], v[104:105]
	v_fma_f64 v[102:103], -v[102:103], v[106:107], v[108:109]
	v_div_fmas_f64 v[102:103], v[102:103], v[104:105], v[106:107]
	v_div_fixup_f64 v[119:120], v[102:103], v[100:101], 1.0
	v_mul_f64 v[117:118], v[98:99], v[119:120]
	v_xor_b32_e32 v120, 0x80000000, v120
.LBB80_763:
	s_andn2_saveexec_b64 s[18:19], s[18:19]
	s_cbranch_execz .LBB80_765
; %bb.764:
	v_div_scale_f64 v[98:99], s[20:21], v[117:118], v[117:118], v[119:120]
	v_rcp_f64_e32 v[100:101], v[98:99]
	v_fma_f64 v[102:103], -v[98:99], v[100:101], 1.0
	v_fma_f64 v[100:101], v[100:101], v[102:103], v[100:101]
	v_div_scale_f64 v[102:103], vcc, v[119:120], v[117:118], v[119:120]
	v_fma_f64 v[104:105], -v[98:99], v[100:101], 1.0
	v_fma_f64 v[100:101], v[100:101], v[104:105], v[100:101]
	v_mul_f64 v[104:105], v[102:103], v[100:101]
	v_fma_f64 v[98:99], -v[98:99], v[104:105], v[102:103]
	v_div_fmas_f64 v[98:99], v[98:99], v[100:101], v[104:105]
	v_div_fixup_f64 v[98:99], v[98:99], v[117:118], v[119:120]
	v_fma_f64 v[100:101], v[119:120], v[98:99], v[117:118]
	v_div_scale_f64 v[102:103], s[20:21], v[100:101], v[100:101], 1.0
	v_div_scale_f64 v[108:109], vcc, 1.0, v[100:101], 1.0
	v_rcp_f64_e32 v[104:105], v[102:103]
	v_fma_f64 v[106:107], -v[102:103], v[104:105], 1.0
	v_fma_f64 v[104:105], v[104:105], v[106:107], v[104:105]
	v_fma_f64 v[106:107], -v[102:103], v[104:105], 1.0
	v_fma_f64 v[104:105], v[104:105], v[106:107], v[104:105]
	v_mul_f64 v[106:107], v[108:109], v[104:105]
	v_fma_f64 v[102:103], -v[102:103], v[106:107], v[108:109]
	v_div_fmas_f64 v[102:103], v[102:103], v[104:105], v[106:107]
	v_div_fixup_f64 v[117:118], v[102:103], v[100:101], 1.0
	v_mul_f64 v[119:120], v[98:99], -v[117:118]
.LBB80_765:
	s_or_b64 exec, exec, s[18:19]
.LBB80_766:
	s_or_b64 exec, exec, s[0:1]
	v_cmp_ne_u32_e32 vcc, v96, v97
	s_and_saveexec_b64 s[0:1], vcc
	s_xor_b64 s[0:1], exec, s[0:1]
	s_cbranch_execz .LBB80_772
; %bb.767:
	v_cmp_eq_u32_e32 vcc, 36, v96
	s_and_saveexec_b64 s[18:19], vcc
	s_cbranch_execz .LBB80_771
; %bb.768:
	v_cmp_ne_u32_e32 vcc, 36, v97
	s_xor_b64 s[20:21], s[6:7], -1
	s_and_b64 s[22:23], s[20:21], vcc
	s_and_saveexec_b64 s[20:21], s[22:23]
	s_cbranch_execz .LBB80_770
; %bb.769:
	v_ashrrev_i32_e32 v98, 31, v97
	v_lshlrev_b64 v[98:99], 2, v[97:98]
	v_add_co_u32_e32 v98, vcc, v91, v98
	v_addc_co_u32_e32 v99, vcc, v92, v99, vcc
	global_load_dword v0, v[98:99], off
	global_load_dword v96, v[91:92], off offset:144
	s_waitcnt vmcnt(1)
	global_store_dword v[91:92], v0, off offset:144
	s_waitcnt vmcnt(1)
	global_store_dword v[98:99], v96, off
.LBB80_770:
	s_or_b64 exec, exec, s[20:21]
	v_mov_b32_e32 v96, v97
	v_mov_b32_e32 v0, v97
.LBB80_771:
	s_or_b64 exec, exec, s[18:19]
.LBB80_772:
	s_andn2_saveexec_b64 s[0:1], s[0:1]
	s_cbranch_execz .LBB80_774
; %bb.773:
	v_mov_b32_e32 v96, 36
	ds_write2_b64 v94, v[9:10], v[11:12] offset0:74 offset1:75
	ds_write2_b64 v94, v[5:6], v[7:8] offset0:76 offset1:77
	;; [unrolled: 1-line block ×4, first 2 shown]
.LBB80_774:
	s_or_b64 exec, exec, s[0:1]
	v_cmp_lt_i32_e32 vcc, 36, v96
	s_waitcnt vmcnt(0) lgkmcnt(0)
	s_barrier
	s_and_saveexec_b64 s[0:1], vcc
	s_cbranch_execz .LBB80_776
; %bb.775:
	v_mul_f64 v[97:98], v[117:118], v[15:16]
	v_mul_f64 v[15:16], v[119:120], v[15:16]
	v_fma_f64 v[101:102], v[119:120], v[13:14], v[97:98]
	ds_read2_b64 v[97:100], v94 offset0:74 offset1:75
	v_fma_f64 v[13:14], v[117:118], v[13:14], -v[15:16]
	s_waitcnt lgkmcnt(0)
	v_mul_f64 v[15:16], v[99:100], v[101:102]
	v_fma_f64 v[15:16], v[97:98], v[13:14], -v[15:16]
	v_mul_f64 v[97:98], v[97:98], v[101:102]
	v_add_f64 v[9:10], v[9:10], -v[15:16]
	v_fma_f64 v[97:98], v[99:100], v[13:14], v[97:98]
	v_add_f64 v[11:12], v[11:12], -v[97:98]
	ds_read2_b64 v[97:100], v94 offset0:76 offset1:77
	s_waitcnt lgkmcnt(0)
	v_mul_f64 v[15:16], v[99:100], v[101:102]
	v_fma_f64 v[15:16], v[97:98], v[13:14], -v[15:16]
	v_mul_f64 v[97:98], v[97:98], v[101:102]
	v_add_f64 v[5:6], v[5:6], -v[15:16]
	v_fma_f64 v[97:98], v[99:100], v[13:14], v[97:98]
	v_add_f64 v[7:8], v[7:8], -v[97:98]
	ds_read2_b64 v[97:100], v94 offset0:78 offset1:79
	;; [unrolled: 8-line block ×3, first 2 shown]
	s_waitcnt lgkmcnt(0)
	v_mul_f64 v[15:16], v[99:100], v[101:102]
	v_fma_f64 v[15:16], v[97:98], v[13:14], -v[15:16]
	v_mul_f64 v[97:98], v[97:98], v[101:102]
	v_add_f64 v[121:122], v[121:122], -v[15:16]
	v_fma_f64 v[97:98], v[99:100], v[13:14], v[97:98]
	v_mov_b32_e32 v15, v101
	v_mov_b32_e32 v16, v102
	v_add_f64 v[123:124], v[123:124], -v[97:98]
.LBB80_776:
	s_or_b64 exec, exec, s[0:1]
	v_lshl_add_u32 v97, v96, 4, v94
	s_barrier
	ds_write2_b64 v97, v[9:10], v[11:12] offset1:1
	s_waitcnt lgkmcnt(0)
	s_barrier
	ds_read2_b64 v[117:120], v94 offset0:74 offset1:75
	s_cmp_lt_i32 s3, 39
	v_mov_b32_e32 v97, 37
	s_cbranch_scc1 .LBB80_779
; %bb.777:
	v_add_u32_e32 v98, 0x260, v94
	s_mov_b32 s0, 38
	v_mov_b32_e32 v97, 37
.LBB80_778:                             ; =>This Inner Loop Header: Depth=1
	s_waitcnt lgkmcnt(0)
	v_cmp_gt_f64_e32 vcc, 0, v[117:118]
	v_xor_b32_e32 v103, 0x80000000, v118
	ds_read2_b64 v[99:102], v98 offset1:1
	v_xor_b32_e32 v105, 0x80000000, v120
	v_add_u32_e32 v98, 16, v98
	s_waitcnt lgkmcnt(0)
	v_xor_b32_e32 v107, 0x80000000, v102
	v_cndmask_b32_e32 v104, v118, v103, vcc
	v_cmp_gt_f64_e32 vcc, 0, v[119:120]
	v_mov_b32_e32 v103, v117
	v_cndmask_b32_e32 v106, v120, v105, vcc
	v_cmp_gt_f64_e32 vcc, 0, v[99:100]
	v_mov_b32_e32 v105, v119
	v_add_f64 v[103:104], v[103:104], v[105:106]
	v_xor_b32_e32 v105, 0x80000000, v100
	v_cndmask_b32_e32 v106, v100, v105, vcc
	v_cmp_gt_f64_e32 vcc, 0, v[101:102]
	v_mov_b32_e32 v105, v99
	v_cndmask_b32_e32 v108, v102, v107, vcc
	v_mov_b32_e32 v107, v101
	v_add_f64 v[105:106], v[105:106], v[107:108]
	v_cmp_lt_f64_e32 vcc, v[103:104], v[105:106]
	v_cndmask_b32_e32 v117, v117, v99, vcc
	v_mov_b32_e32 v99, s0
	s_add_i32 s0, s0, 1
	v_cndmask_b32_e32 v118, v118, v100, vcc
	v_cndmask_b32_e32 v120, v120, v102, vcc
	;; [unrolled: 1-line block ×4, first 2 shown]
	s_cmp_lg_u32 s3, s0
	s_cbranch_scc1 .LBB80_778
.LBB80_779:
	s_waitcnt lgkmcnt(0)
	v_cmp_eq_f64_e32 vcc, 0, v[117:118]
	v_cmp_eq_f64_e64 s[0:1], 0, v[119:120]
	s_and_b64 s[0:1], vcc, s[0:1]
	s_and_saveexec_b64 s[18:19], s[0:1]
	s_xor_b64 s[0:1], exec, s[18:19]
; %bb.780:
	v_cmp_ne_u32_e32 vcc, 0, v95
	v_cndmask_b32_e32 v95, 38, v95, vcc
; %bb.781:
	s_andn2_saveexec_b64 s[0:1], s[0:1]
	s_cbranch_execz .LBB80_787
; %bb.782:
	v_cmp_ngt_f64_e64 s[18:19], |v[117:118]|, |v[119:120]|
	s_and_saveexec_b64 s[20:21], s[18:19]
	s_xor_b64 s[18:19], exec, s[20:21]
	s_cbranch_execz .LBB80_784
; %bb.783:
	v_div_scale_f64 v[98:99], s[20:21], v[119:120], v[119:120], v[117:118]
	v_rcp_f64_e32 v[100:101], v[98:99]
	v_fma_f64 v[102:103], -v[98:99], v[100:101], 1.0
	v_fma_f64 v[100:101], v[100:101], v[102:103], v[100:101]
	v_div_scale_f64 v[102:103], vcc, v[117:118], v[119:120], v[117:118]
	v_fma_f64 v[104:105], -v[98:99], v[100:101], 1.0
	v_fma_f64 v[100:101], v[100:101], v[104:105], v[100:101]
	v_mul_f64 v[104:105], v[102:103], v[100:101]
	v_fma_f64 v[98:99], -v[98:99], v[104:105], v[102:103]
	v_div_fmas_f64 v[98:99], v[98:99], v[100:101], v[104:105]
	v_div_fixup_f64 v[98:99], v[98:99], v[119:120], v[117:118]
	v_fma_f64 v[100:101], v[117:118], v[98:99], v[119:120]
	v_div_scale_f64 v[102:103], s[20:21], v[100:101], v[100:101], 1.0
	v_div_scale_f64 v[108:109], vcc, 1.0, v[100:101], 1.0
	v_rcp_f64_e32 v[104:105], v[102:103]
	v_fma_f64 v[106:107], -v[102:103], v[104:105], 1.0
	v_fma_f64 v[104:105], v[104:105], v[106:107], v[104:105]
	v_fma_f64 v[106:107], -v[102:103], v[104:105], 1.0
	v_fma_f64 v[104:105], v[104:105], v[106:107], v[104:105]
	v_mul_f64 v[106:107], v[108:109], v[104:105]
	v_fma_f64 v[102:103], -v[102:103], v[106:107], v[108:109]
	v_div_fmas_f64 v[102:103], v[102:103], v[104:105], v[106:107]
	v_div_fixup_f64 v[119:120], v[102:103], v[100:101], 1.0
	v_mul_f64 v[117:118], v[98:99], v[119:120]
	v_xor_b32_e32 v120, 0x80000000, v120
.LBB80_784:
	s_andn2_saveexec_b64 s[18:19], s[18:19]
	s_cbranch_execz .LBB80_786
; %bb.785:
	v_div_scale_f64 v[98:99], s[20:21], v[117:118], v[117:118], v[119:120]
	v_rcp_f64_e32 v[100:101], v[98:99]
	v_fma_f64 v[102:103], -v[98:99], v[100:101], 1.0
	v_fma_f64 v[100:101], v[100:101], v[102:103], v[100:101]
	v_div_scale_f64 v[102:103], vcc, v[119:120], v[117:118], v[119:120]
	v_fma_f64 v[104:105], -v[98:99], v[100:101], 1.0
	v_fma_f64 v[100:101], v[100:101], v[104:105], v[100:101]
	v_mul_f64 v[104:105], v[102:103], v[100:101]
	v_fma_f64 v[98:99], -v[98:99], v[104:105], v[102:103]
	v_div_fmas_f64 v[98:99], v[98:99], v[100:101], v[104:105]
	v_div_fixup_f64 v[98:99], v[98:99], v[117:118], v[119:120]
	v_fma_f64 v[100:101], v[119:120], v[98:99], v[117:118]
	v_div_scale_f64 v[102:103], s[20:21], v[100:101], v[100:101], 1.0
	v_div_scale_f64 v[108:109], vcc, 1.0, v[100:101], 1.0
	v_rcp_f64_e32 v[104:105], v[102:103]
	v_fma_f64 v[106:107], -v[102:103], v[104:105], 1.0
	v_fma_f64 v[104:105], v[104:105], v[106:107], v[104:105]
	v_fma_f64 v[106:107], -v[102:103], v[104:105], 1.0
	v_fma_f64 v[104:105], v[104:105], v[106:107], v[104:105]
	v_mul_f64 v[106:107], v[108:109], v[104:105]
	v_fma_f64 v[102:103], -v[102:103], v[106:107], v[108:109]
	v_div_fmas_f64 v[102:103], v[102:103], v[104:105], v[106:107]
	v_div_fixup_f64 v[117:118], v[102:103], v[100:101], 1.0
	v_mul_f64 v[119:120], v[98:99], -v[117:118]
.LBB80_786:
	s_or_b64 exec, exec, s[18:19]
.LBB80_787:
	s_or_b64 exec, exec, s[0:1]
	v_cmp_ne_u32_e32 vcc, v96, v97
	s_and_saveexec_b64 s[0:1], vcc
	s_xor_b64 s[0:1], exec, s[0:1]
	s_cbranch_execz .LBB80_793
; %bb.788:
	v_cmp_eq_u32_e32 vcc, 37, v96
	s_and_saveexec_b64 s[18:19], vcc
	s_cbranch_execz .LBB80_792
; %bb.789:
	v_cmp_ne_u32_e32 vcc, 37, v97
	s_xor_b64 s[20:21], s[6:7], -1
	s_and_b64 s[22:23], s[20:21], vcc
	s_and_saveexec_b64 s[20:21], s[22:23]
	s_cbranch_execz .LBB80_791
; %bb.790:
	v_ashrrev_i32_e32 v98, 31, v97
	v_lshlrev_b64 v[98:99], 2, v[97:98]
	v_add_co_u32_e32 v98, vcc, v91, v98
	v_addc_co_u32_e32 v99, vcc, v92, v99, vcc
	global_load_dword v0, v[98:99], off
	global_load_dword v96, v[91:92], off offset:148
	s_waitcnt vmcnt(1)
	global_store_dword v[91:92], v0, off offset:148
	s_waitcnt vmcnt(1)
	global_store_dword v[98:99], v96, off
.LBB80_791:
	s_or_b64 exec, exec, s[20:21]
	v_mov_b32_e32 v96, v97
	v_mov_b32_e32 v0, v97
.LBB80_792:
	s_or_b64 exec, exec, s[18:19]
.LBB80_793:
	s_andn2_saveexec_b64 s[0:1], s[0:1]
	s_cbranch_execz .LBB80_795
; %bb.794:
	v_mov_b32_e32 v96, 37
	ds_write2_b64 v94, v[5:6], v[7:8] offset0:76 offset1:77
	ds_write2_b64 v94, v[1:2], v[3:4] offset0:78 offset1:79
	;; [unrolled: 1-line block ×3, first 2 shown]
.LBB80_795:
	s_or_b64 exec, exec, s[0:1]
	v_cmp_lt_i32_e32 vcc, 37, v96
	s_waitcnt vmcnt(0) lgkmcnt(0)
	s_barrier
	s_and_saveexec_b64 s[0:1], vcc
	s_cbranch_execz .LBB80_797
; %bb.796:
	v_mul_f64 v[97:98], v[117:118], v[11:12]
	v_mul_f64 v[11:12], v[119:120], v[11:12]
	v_fma_f64 v[101:102], v[119:120], v[9:10], v[97:98]
	ds_read2_b64 v[97:100], v94 offset0:76 offset1:77
	v_fma_f64 v[9:10], v[117:118], v[9:10], -v[11:12]
	s_waitcnt lgkmcnt(0)
	v_mul_f64 v[11:12], v[99:100], v[101:102]
	v_fma_f64 v[11:12], v[97:98], v[9:10], -v[11:12]
	v_mul_f64 v[97:98], v[97:98], v[101:102]
	v_add_f64 v[5:6], v[5:6], -v[11:12]
	v_fma_f64 v[97:98], v[99:100], v[9:10], v[97:98]
	v_add_f64 v[7:8], v[7:8], -v[97:98]
	ds_read2_b64 v[97:100], v94 offset0:78 offset1:79
	s_waitcnt lgkmcnt(0)
	v_mul_f64 v[11:12], v[99:100], v[101:102]
	v_fma_f64 v[11:12], v[97:98], v[9:10], -v[11:12]
	v_mul_f64 v[97:98], v[97:98], v[101:102]
	v_add_f64 v[1:2], v[1:2], -v[11:12]
	v_fma_f64 v[97:98], v[99:100], v[9:10], v[97:98]
	v_add_f64 v[3:4], v[3:4], -v[97:98]
	ds_read2_b64 v[97:100], v94 offset0:80 offset1:81
	s_waitcnt lgkmcnt(0)
	v_mul_f64 v[11:12], v[99:100], v[101:102]
	v_fma_f64 v[11:12], v[97:98], v[9:10], -v[11:12]
	v_mul_f64 v[97:98], v[97:98], v[101:102]
	v_add_f64 v[121:122], v[121:122], -v[11:12]
	v_fma_f64 v[97:98], v[99:100], v[9:10], v[97:98]
	v_mov_b32_e32 v11, v101
	v_mov_b32_e32 v12, v102
	v_add_f64 v[123:124], v[123:124], -v[97:98]
.LBB80_797:
	s_or_b64 exec, exec, s[0:1]
	v_lshl_add_u32 v97, v96, 4, v94
	s_barrier
	ds_write2_b64 v97, v[5:6], v[7:8] offset1:1
	s_waitcnt lgkmcnt(0)
	s_barrier
	ds_read2_b64 v[117:120], v94 offset0:76 offset1:77
	s_cmp_lt_i32 s3, 40
	v_mov_b32_e32 v97, 38
	s_cbranch_scc1 .LBB80_800
; %bb.798:
	v_add_u32_e32 v98, 0x270, v94
	s_mov_b32 s0, 39
	v_mov_b32_e32 v97, 38
.LBB80_799:                             ; =>This Inner Loop Header: Depth=1
	s_waitcnt lgkmcnt(0)
	v_cmp_gt_f64_e32 vcc, 0, v[117:118]
	v_xor_b32_e32 v103, 0x80000000, v118
	ds_read2_b64 v[99:102], v98 offset1:1
	v_xor_b32_e32 v105, 0x80000000, v120
	v_add_u32_e32 v98, 16, v98
	s_waitcnt lgkmcnt(0)
	v_xor_b32_e32 v107, 0x80000000, v102
	v_cndmask_b32_e32 v104, v118, v103, vcc
	v_cmp_gt_f64_e32 vcc, 0, v[119:120]
	v_mov_b32_e32 v103, v117
	v_cndmask_b32_e32 v106, v120, v105, vcc
	v_cmp_gt_f64_e32 vcc, 0, v[99:100]
	v_mov_b32_e32 v105, v119
	v_add_f64 v[103:104], v[103:104], v[105:106]
	v_xor_b32_e32 v105, 0x80000000, v100
	v_cndmask_b32_e32 v106, v100, v105, vcc
	v_cmp_gt_f64_e32 vcc, 0, v[101:102]
	v_mov_b32_e32 v105, v99
	v_cndmask_b32_e32 v108, v102, v107, vcc
	v_mov_b32_e32 v107, v101
	v_add_f64 v[105:106], v[105:106], v[107:108]
	v_cmp_lt_f64_e32 vcc, v[103:104], v[105:106]
	v_cndmask_b32_e32 v117, v117, v99, vcc
	v_mov_b32_e32 v99, s0
	s_add_i32 s0, s0, 1
	v_cndmask_b32_e32 v118, v118, v100, vcc
	v_cndmask_b32_e32 v120, v120, v102, vcc
	v_cndmask_b32_e32 v119, v119, v101, vcc
	v_cndmask_b32_e32 v97, v97, v99, vcc
	s_cmp_lg_u32 s3, s0
	s_cbranch_scc1 .LBB80_799
.LBB80_800:
	s_waitcnt lgkmcnt(0)
	v_cmp_eq_f64_e32 vcc, 0, v[117:118]
	v_cmp_eq_f64_e64 s[0:1], 0, v[119:120]
	s_and_b64 s[0:1], vcc, s[0:1]
	s_and_saveexec_b64 s[18:19], s[0:1]
	s_xor_b64 s[0:1], exec, s[18:19]
; %bb.801:
	v_cmp_ne_u32_e32 vcc, 0, v95
	v_cndmask_b32_e32 v95, 39, v95, vcc
; %bb.802:
	s_andn2_saveexec_b64 s[0:1], s[0:1]
	s_cbranch_execz .LBB80_808
; %bb.803:
	v_cmp_ngt_f64_e64 s[18:19], |v[117:118]|, |v[119:120]|
	s_and_saveexec_b64 s[20:21], s[18:19]
	s_xor_b64 s[18:19], exec, s[20:21]
	s_cbranch_execz .LBB80_805
; %bb.804:
	v_div_scale_f64 v[98:99], s[20:21], v[119:120], v[119:120], v[117:118]
	v_rcp_f64_e32 v[100:101], v[98:99]
	v_fma_f64 v[102:103], -v[98:99], v[100:101], 1.0
	v_fma_f64 v[100:101], v[100:101], v[102:103], v[100:101]
	v_div_scale_f64 v[102:103], vcc, v[117:118], v[119:120], v[117:118]
	v_fma_f64 v[104:105], -v[98:99], v[100:101], 1.0
	v_fma_f64 v[100:101], v[100:101], v[104:105], v[100:101]
	v_mul_f64 v[104:105], v[102:103], v[100:101]
	v_fma_f64 v[98:99], -v[98:99], v[104:105], v[102:103]
	v_div_fmas_f64 v[98:99], v[98:99], v[100:101], v[104:105]
	v_div_fixup_f64 v[98:99], v[98:99], v[119:120], v[117:118]
	v_fma_f64 v[100:101], v[117:118], v[98:99], v[119:120]
	v_div_scale_f64 v[102:103], s[20:21], v[100:101], v[100:101], 1.0
	v_div_scale_f64 v[108:109], vcc, 1.0, v[100:101], 1.0
	v_rcp_f64_e32 v[104:105], v[102:103]
	v_fma_f64 v[106:107], -v[102:103], v[104:105], 1.0
	v_fma_f64 v[104:105], v[104:105], v[106:107], v[104:105]
	v_fma_f64 v[106:107], -v[102:103], v[104:105], 1.0
	v_fma_f64 v[104:105], v[104:105], v[106:107], v[104:105]
	v_mul_f64 v[106:107], v[108:109], v[104:105]
	v_fma_f64 v[102:103], -v[102:103], v[106:107], v[108:109]
	v_div_fmas_f64 v[102:103], v[102:103], v[104:105], v[106:107]
	v_div_fixup_f64 v[119:120], v[102:103], v[100:101], 1.0
	v_mul_f64 v[117:118], v[98:99], v[119:120]
	v_xor_b32_e32 v120, 0x80000000, v120
.LBB80_805:
	s_andn2_saveexec_b64 s[18:19], s[18:19]
	s_cbranch_execz .LBB80_807
; %bb.806:
	v_div_scale_f64 v[98:99], s[20:21], v[117:118], v[117:118], v[119:120]
	v_rcp_f64_e32 v[100:101], v[98:99]
	v_fma_f64 v[102:103], -v[98:99], v[100:101], 1.0
	v_fma_f64 v[100:101], v[100:101], v[102:103], v[100:101]
	v_div_scale_f64 v[102:103], vcc, v[119:120], v[117:118], v[119:120]
	v_fma_f64 v[104:105], -v[98:99], v[100:101], 1.0
	v_fma_f64 v[100:101], v[100:101], v[104:105], v[100:101]
	v_mul_f64 v[104:105], v[102:103], v[100:101]
	v_fma_f64 v[98:99], -v[98:99], v[104:105], v[102:103]
	v_div_fmas_f64 v[98:99], v[98:99], v[100:101], v[104:105]
	v_div_fixup_f64 v[98:99], v[98:99], v[117:118], v[119:120]
	v_fma_f64 v[100:101], v[119:120], v[98:99], v[117:118]
	v_div_scale_f64 v[102:103], s[20:21], v[100:101], v[100:101], 1.0
	v_div_scale_f64 v[108:109], vcc, 1.0, v[100:101], 1.0
	v_rcp_f64_e32 v[104:105], v[102:103]
	v_fma_f64 v[106:107], -v[102:103], v[104:105], 1.0
	v_fma_f64 v[104:105], v[104:105], v[106:107], v[104:105]
	v_fma_f64 v[106:107], -v[102:103], v[104:105], 1.0
	v_fma_f64 v[104:105], v[104:105], v[106:107], v[104:105]
	v_mul_f64 v[106:107], v[108:109], v[104:105]
	v_fma_f64 v[102:103], -v[102:103], v[106:107], v[108:109]
	v_div_fmas_f64 v[102:103], v[102:103], v[104:105], v[106:107]
	v_div_fixup_f64 v[117:118], v[102:103], v[100:101], 1.0
	v_mul_f64 v[119:120], v[98:99], -v[117:118]
.LBB80_807:
	s_or_b64 exec, exec, s[18:19]
.LBB80_808:
	s_or_b64 exec, exec, s[0:1]
	v_cmp_ne_u32_e32 vcc, v96, v97
	s_and_saveexec_b64 s[0:1], vcc
	s_xor_b64 s[0:1], exec, s[0:1]
	s_cbranch_execz .LBB80_814
; %bb.809:
	v_cmp_eq_u32_e32 vcc, 38, v96
	s_and_saveexec_b64 s[18:19], vcc
	s_cbranch_execz .LBB80_813
; %bb.810:
	v_cmp_ne_u32_e32 vcc, 38, v97
	s_xor_b64 s[20:21], s[6:7], -1
	s_and_b64 s[22:23], s[20:21], vcc
	s_and_saveexec_b64 s[20:21], s[22:23]
	s_cbranch_execz .LBB80_812
; %bb.811:
	v_ashrrev_i32_e32 v98, 31, v97
	v_lshlrev_b64 v[98:99], 2, v[97:98]
	v_add_co_u32_e32 v98, vcc, v91, v98
	v_addc_co_u32_e32 v99, vcc, v92, v99, vcc
	global_load_dword v0, v[98:99], off
	global_load_dword v96, v[91:92], off offset:152
	s_waitcnt vmcnt(1)
	global_store_dword v[91:92], v0, off offset:152
	s_waitcnt vmcnt(1)
	global_store_dword v[98:99], v96, off
.LBB80_812:
	s_or_b64 exec, exec, s[20:21]
	v_mov_b32_e32 v96, v97
	v_mov_b32_e32 v0, v97
.LBB80_813:
	s_or_b64 exec, exec, s[18:19]
.LBB80_814:
	s_andn2_saveexec_b64 s[0:1], s[0:1]
	s_cbranch_execz .LBB80_816
; %bb.815:
	v_mov_b32_e32 v96, 38
	ds_write2_b64 v94, v[1:2], v[3:4] offset0:78 offset1:79
	ds_write2_b64 v94, v[121:122], v[123:124] offset0:80 offset1:81
.LBB80_816:
	s_or_b64 exec, exec, s[0:1]
	v_cmp_lt_i32_e32 vcc, 38, v96
	s_waitcnt vmcnt(0) lgkmcnt(0)
	s_barrier
	s_and_saveexec_b64 s[0:1], vcc
	s_cbranch_execz .LBB80_818
; %bb.817:
	v_mul_f64 v[97:98], v[117:118], v[7:8]
	v_mul_f64 v[7:8], v[119:120], v[7:8]
	v_fma_f64 v[101:102], v[119:120], v[5:6], v[97:98]
	ds_read2_b64 v[97:100], v94 offset0:78 offset1:79
	v_fma_f64 v[5:6], v[117:118], v[5:6], -v[7:8]
	s_waitcnt lgkmcnt(0)
	v_mul_f64 v[7:8], v[99:100], v[101:102]
	v_fma_f64 v[7:8], v[97:98], v[5:6], -v[7:8]
	v_mul_f64 v[97:98], v[97:98], v[101:102]
	v_add_f64 v[1:2], v[1:2], -v[7:8]
	v_fma_f64 v[97:98], v[99:100], v[5:6], v[97:98]
	v_add_f64 v[3:4], v[3:4], -v[97:98]
	ds_read2_b64 v[97:100], v94 offset0:80 offset1:81
	s_waitcnt lgkmcnt(0)
	v_mul_f64 v[7:8], v[99:100], v[101:102]
	v_fma_f64 v[7:8], v[97:98], v[5:6], -v[7:8]
	v_mul_f64 v[97:98], v[97:98], v[101:102]
	v_add_f64 v[121:122], v[121:122], -v[7:8]
	v_fma_f64 v[97:98], v[99:100], v[5:6], v[97:98]
	v_mov_b32_e32 v7, v101
	v_mov_b32_e32 v8, v102
	v_add_f64 v[123:124], v[123:124], -v[97:98]
.LBB80_818:
	s_or_b64 exec, exec, s[0:1]
	v_lshl_add_u32 v97, v96, 4, v94
	s_barrier
	ds_write2_b64 v97, v[1:2], v[3:4] offset1:1
	s_waitcnt lgkmcnt(0)
	s_barrier
	ds_read2_b64 v[117:120], v94 offset0:78 offset1:79
	s_cmp_lt_i32 s3, 41
	v_mov_b32_e32 v97, 39
	s_cbranch_scc1 .LBB80_821
; %bb.819:
	v_add_u32_e32 v98, 0x280, v94
	s_mov_b32 s0, 40
	v_mov_b32_e32 v97, 39
.LBB80_820:                             ; =>This Inner Loop Header: Depth=1
	s_waitcnt lgkmcnt(0)
	v_cmp_gt_f64_e32 vcc, 0, v[117:118]
	v_xor_b32_e32 v103, 0x80000000, v118
	ds_read2_b64 v[99:102], v98 offset1:1
	v_xor_b32_e32 v105, 0x80000000, v120
	v_add_u32_e32 v98, 16, v98
	s_waitcnt lgkmcnt(0)
	v_xor_b32_e32 v107, 0x80000000, v102
	v_cndmask_b32_e32 v104, v118, v103, vcc
	v_cmp_gt_f64_e32 vcc, 0, v[119:120]
	v_mov_b32_e32 v103, v117
	v_cndmask_b32_e32 v106, v120, v105, vcc
	v_cmp_gt_f64_e32 vcc, 0, v[99:100]
	v_mov_b32_e32 v105, v119
	v_add_f64 v[103:104], v[103:104], v[105:106]
	v_xor_b32_e32 v105, 0x80000000, v100
	v_cndmask_b32_e32 v106, v100, v105, vcc
	v_cmp_gt_f64_e32 vcc, 0, v[101:102]
	v_mov_b32_e32 v105, v99
	v_cndmask_b32_e32 v108, v102, v107, vcc
	v_mov_b32_e32 v107, v101
	v_add_f64 v[105:106], v[105:106], v[107:108]
	v_cmp_lt_f64_e32 vcc, v[103:104], v[105:106]
	v_cndmask_b32_e32 v117, v117, v99, vcc
	v_mov_b32_e32 v99, s0
	s_add_i32 s0, s0, 1
	v_cndmask_b32_e32 v118, v118, v100, vcc
	v_cndmask_b32_e32 v120, v120, v102, vcc
	;; [unrolled: 1-line block ×4, first 2 shown]
	s_cmp_lg_u32 s3, s0
	s_cbranch_scc1 .LBB80_820
.LBB80_821:
	s_waitcnt lgkmcnt(0)
	v_cmp_eq_f64_e32 vcc, 0, v[117:118]
	v_cmp_eq_f64_e64 s[0:1], 0, v[119:120]
	s_and_b64 s[0:1], vcc, s[0:1]
	s_and_saveexec_b64 s[18:19], s[0:1]
	s_xor_b64 s[0:1], exec, s[18:19]
; %bb.822:
	v_cmp_ne_u32_e32 vcc, 0, v95
	v_cndmask_b32_e32 v95, 40, v95, vcc
; %bb.823:
	s_andn2_saveexec_b64 s[0:1], s[0:1]
	s_cbranch_execz .LBB80_829
; %bb.824:
	v_cmp_ngt_f64_e64 s[18:19], |v[117:118]|, |v[119:120]|
	s_and_saveexec_b64 s[20:21], s[18:19]
	s_xor_b64 s[18:19], exec, s[20:21]
	s_cbranch_execz .LBB80_826
; %bb.825:
	v_div_scale_f64 v[98:99], s[20:21], v[119:120], v[119:120], v[117:118]
	v_rcp_f64_e32 v[100:101], v[98:99]
	v_fma_f64 v[102:103], -v[98:99], v[100:101], 1.0
	v_fma_f64 v[100:101], v[100:101], v[102:103], v[100:101]
	v_div_scale_f64 v[102:103], vcc, v[117:118], v[119:120], v[117:118]
	v_fma_f64 v[104:105], -v[98:99], v[100:101], 1.0
	v_fma_f64 v[100:101], v[100:101], v[104:105], v[100:101]
	v_mul_f64 v[104:105], v[102:103], v[100:101]
	v_fma_f64 v[98:99], -v[98:99], v[104:105], v[102:103]
	v_div_fmas_f64 v[98:99], v[98:99], v[100:101], v[104:105]
	v_div_fixup_f64 v[98:99], v[98:99], v[119:120], v[117:118]
	v_fma_f64 v[100:101], v[117:118], v[98:99], v[119:120]
	v_div_scale_f64 v[102:103], s[20:21], v[100:101], v[100:101], 1.0
	v_div_scale_f64 v[108:109], vcc, 1.0, v[100:101], 1.0
	v_rcp_f64_e32 v[104:105], v[102:103]
	v_fma_f64 v[106:107], -v[102:103], v[104:105], 1.0
	v_fma_f64 v[104:105], v[104:105], v[106:107], v[104:105]
	v_fma_f64 v[106:107], -v[102:103], v[104:105], 1.0
	v_fma_f64 v[104:105], v[104:105], v[106:107], v[104:105]
	v_mul_f64 v[106:107], v[108:109], v[104:105]
	v_fma_f64 v[102:103], -v[102:103], v[106:107], v[108:109]
	v_div_fmas_f64 v[102:103], v[102:103], v[104:105], v[106:107]
	v_div_fixup_f64 v[119:120], v[102:103], v[100:101], 1.0
	v_mul_f64 v[117:118], v[98:99], v[119:120]
	v_xor_b32_e32 v120, 0x80000000, v120
.LBB80_826:
	s_andn2_saveexec_b64 s[18:19], s[18:19]
	s_cbranch_execz .LBB80_828
; %bb.827:
	v_div_scale_f64 v[98:99], s[20:21], v[117:118], v[117:118], v[119:120]
	v_rcp_f64_e32 v[100:101], v[98:99]
	v_fma_f64 v[102:103], -v[98:99], v[100:101], 1.0
	v_fma_f64 v[100:101], v[100:101], v[102:103], v[100:101]
	v_div_scale_f64 v[102:103], vcc, v[119:120], v[117:118], v[119:120]
	v_fma_f64 v[104:105], -v[98:99], v[100:101], 1.0
	v_fma_f64 v[100:101], v[100:101], v[104:105], v[100:101]
	v_mul_f64 v[104:105], v[102:103], v[100:101]
	v_fma_f64 v[98:99], -v[98:99], v[104:105], v[102:103]
	v_div_fmas_f64 v[98:99], v[98:99], v[100:101], v[104:105]
	v_div_fixup_f64 v[98:99], v[98:99], v[117:118], v[119:120]
	v_fma_f64 v[100:101], v[119:120], v[98:99], v[117:118]
	v_div_scale_f64 v[102:103], s[20:21], v[100:101], v[100:101], 1.0
	v_div_scale_f64 v[108:109], vcc, 1.0, v[100:101], 1.0
	v_rcp_f64_e32 v[104:105], v[102:103]
	v_fma_f64 v[106:107], -v[102:103], v[104:105], 1.0
	v_fma_f64 v[104:105], v[104:105], v[106:107], v[104:105]
	v_fma_f64 v[106:107], -v[102:103], v[104:105], 1.0
	v_fma_f64 v[104:105], v[104:105], v[106:107], v[104:105]
	v_mul_f64 v[106:107], v[108:109], v[104:105]
	v_fma_f64 v[102:103], -v[102:103], v[106:107], v[108:109]
	v_div_fmas_f64 v[102:103], v[102:103], v[104:105], v[106:107]
	v_div_fixup_f64 v[117:118], v[102:103], v[100:101], 1.0
	v_mul_f64 v[119:120], v[98:99], -v[117:118]
.LBB80_828:
	s_or_b64 exec, exec, s[18:19]
.LBB80_829:
	s_or_b64 exec, exec, s[0:1]
	v_cmp_ne_u32_e32 vcc, v96, v97
	s_and_saveexec_b64 s[0:1], vcc
	s_xor_b64 s[0:1], exec, s[0:1]
	s_cbranch_execz .LBB80_835
; %bb.830:
	v_cmp_eq_u32_e32 vcc, 39, v96
	s_and_saveexec_b64 s[18:19], vcc
	s_cbranch_execz .LBB80_834
; %bb.831:
	v_cmp_ne_u32_e32 vcc, 39, v97
	s_xor_b64 s[20:21], s[6:7], -1
	s_and_b64 s[22:23], s[20:21], vcc
	s_and_saveexec_b64 s[20:21], s[22:23]
	s_cbranch_execz .LBB80_833
; %bb.832:
	v_ashrrev_i32_e32 v98, 31, v97
	v_lshlrev_b64 v[98:99], 2, v[97:98]
	v_add_co_u32_e32 v98, vcc, v91, v98
	v_addc_co_u32_e32 v99, vcc, v92, v99, vcc
	global_load_dword v0, v[98:99], off
	global_load_dword v96, v[91:92], off offset:156
	s_waitcnt vmcnt(1)
	global_store_dword v[91:92], v0, off offset:156
	s_waitcnt vmcnt(1)
	global_store_dword v[98:99], v96, off
.LBB80_833:
	s_or_b64 exec, exec, s[20:21]
	v_mov_b32_e32 v96, v97
	v_mov_b32_e32 v0, v97
.LBB80_834:
	s_or_b64 exec, exec, s[18:19]
.LBB80_835:
	s_andn2_saveexec_b64 s[0:1], s[0:1]
; %bb.836:
	v_mov_b32_e32 v96, 39
	ds_write2_b64 v94, v[121:122], v[123:124] offset0:80 offset1:81
; %bb.837:
	s_or_b64 exec, exec, s[0:1]
	v_cmp_lt_i32_e32 vcc, 39, v96
	s_waitcnt vmcnt(0) lgkmcnt(0)
	s_barrier
	s_and_saveexec_b64 s[0:1], vcc
	s_cbranch_execz .LBB80_839
; %bb.838:
	v_mul_f64 v[97:98], v[117:118], v[3:4]
	v_mul_f64 v[3:4], v[119:120], v[3:4]
	v_fma_f64 v[101:102], v[119:120], v[1:2], v[97:98]
	ds_read2_b64 v[97:100], v94 offset0:80 offset1:81
	v_fma_f64 v[1:2], v[117:118], v[1:2], -v[3:4]
	s_waitcnt lgkmcnt(0)
	v_mul_f64 v[3:4], v[99:100], v[101:102]
	v_fma_f64 v[3:4], v[97:98], v[1:2], -v[3:4]
	v_mul_f64 v[97:98], v[97:98], v[101:102]
	v_add_f64 v[121:122], v[121:122], -v[3:4]
	v_fma_f64 v[97:98], v[99:100], v[1:2], v[97:98]
	v_mov_b32_e32 v3, v101
	v_mov_b32_e32 v4, v102
	v_add_f64 v[123:124], v[123:124], -v[97:98]
.LBB80_839:
	s_or_b64 exec, exec, s[0:1]
	v_lshl_add_u32 v97, v96, 4, v94
	s_barrier
	ds_write2_b64 v97, v[121:122], v[123:124] offset1:1
	s_waitcnt lgkmcnt(0)
	s_barrier
	ds_read2_b64 v[117:120], v94 offset0:80 offset1:81
	s_cmp_lt_i32 s3, 42
	v_mov_b32_e32 v97, 40
	s_cbranch_scc1 .LBB80_842
; %bb.840:
	v_add_u32_e32 v94, 0x290, v94
	s_mov_b32 s0, 41
	v_mov_b32_e32 v97, 40
.LBB80_841:                             ; =>This Inner Loop Header: Depth=1
	s_waitcnt lgkmcnt(0)
	v_cmp_gt_f64_e32 vcc, 0, v[117:118]
	v_xor_b32_e32 v102, 0x80000000, v118
	ds_read2_b64 v[98:101], v94 offset1:1
	v_xor_b32_e32 v104, 0x80000000, v120
	v_add_u32_e32 v94, 16, v94
	s_waitcnt lgkmcnt(0)
	v_xor_b32_e32 v106, 0x80000000, v101
	v_cndmask_b32_e32 v103, v118, v102, vcc
	v_cmp_gt_f64_e32 vcc, 0, v[119:120]
	v_mov_b32_e32 v102, v117
	v_cndmask_b32_e32 v105, v120, v104, vcc
	v_cmp_gt_f64_e32 vcc, 0, v[98:99]
	v_mov_b32_e32 v104, v119
	v_add_f64 v[102:103], v[102:103], v[104:105]
	v_xor_b32_e32 v104, 0x80000000, v99
	v_cndmask_b32_e32 v105, v99, v104, vcc
	v_cmp_gt_f64_e32 vcc, 0, v[100:101]
	v_mov_b32_e32 v104, v98
	v_cndmask_b32_e32 v107, v101, v106, vcc
	v_mov_b32_e32 v106, v100
	v_add_f64 v[104:105], v[104:105], v[106:107]
	v_cmp_lt_f64_e32 vcc, v[102:103], v[104:105]
	v_cndmask_b32_e32 v117, v117, v98, vcc
	v_mov_b32_e32 v98, s0
	s_add_i32 s0, s0, 1
	v_cndmask_b32_e32 v118, v118, v99, vcc
	v_cndmask_b32_e32 v120, v120, v101, vcc
	;; [unrolled: 1-line block ×4, first 2 shown]
	s_cmp_lg_u32 s3, s0
	s_cbranch_scc1 .LBB80_841
.LBB80_842:
	s_waitcnt lgkmcnt(0)
	v_cmp_eq_f64_e32 vcc, 0, v[117:118]
	v_cmp_eq_f64_e64 s[0:1], 0, v[119:120]
	s_and_b64 s[0:1], vcc, s[0:1]
	s_and_saveexec_b64 s[18:19], s[0:1]
	s_xor_b64 s[0:1], exec, s[18:19]
; %bb.843:
	v_cmp_ne_u32_e32 vcc, 0, v95
	v_cndmask_b32_e32 v95, 41, v95, vcc
; %bb.844:
	s_andn2_saveexec_b64 s[0:1], s[0:1]
	s_cbranch_execz .LBB80_850
; %bb.845:
	v_cmp_ngt_f64_e64 s[18:19], |v[117:118]|, |v[119:120]|
	s_and_saveexec_b64 s[20:21], s[18:19]
	s_xor_b64 s[18:19], exec, s[20:21]
	s_cbranch_execz .LBB80_847
; %bb.846:
	v_div_scale_f64 v[98:99], s[20:21], v[119:120], v[119:120], v[117:118]
	v_rcp_f64_e32 v[100:101], v[98:99]
	v_fma_f64 v[102:103], -v[98:99], v[100:101], 1.0
	v_fma_f64 v[100:101], v[100:101], v[102:103], v[100:101]
	v_div_scale_f64 v[102:103], vcc, v[117:118], v[119:120], v[117:118]
	v_fma_f64 v[104:105], -v[98:99], v[100:101], 1.0
	v_fma_f64 v[100:101], v[100:101], v[104:105], v[100:101]
	v_mul_f64 v[104:105], v[102:103], v[100:101]
	v_fma_f64 v[98:99], -v[98:99], v[104:105], v[102:103]
	v_div_fmas_f64 v[98:99], v[98:99], v[100:101], v[104:105]
	v_div_fixup_f64 v[98:99], v[98:99], v[119:120], v[117:118]
	v_fma_f64 v[100:101], v[117:118], v[98:99], v[119:120]
	v_div_scale_f64 v[102:103], s[20:21], v[100:101], v[100:101], 1.0
	v_div_scale_f64 v[108:109], vcc, 1.0, v[100:101], 1.0
	v_rcp_f64_e32 v[104:105], v[102:103]
	v_fma_f64 v[106:107], -v[102:103], v[104:105], 1.0
	v_fma_f64 v[104:105], v[104:105], v[106:107], v[104:105]
	v_fma_f64 v[106:107], -v[102:103], v[104:105], 1.0
	v_fma_f64 v[104:105], v[104:105], v[106:107], v[104:105]
	v_mul_f64 v[106:107], v[108:109], v[104:105]
	v_fma_f64 v[102:103], -v[102:103], v[106:107], v[108:109]
	v_div_fmas_f64 v[102:103], v[102:103], v[104:105], v[106:107]
	v_div_fixup_f64 v[119:120], v[102:103], v[100:101], 1.0
	v_mul_f64 v[117:118], v[98:99], v[119:120]
	v_xor_b32_e32 v120, 0x80000000, v120
.LBB80_847:
	s_andn2_saveexec_b64 s[18:19], s[18:19]
	s_cbranch_execz .LBB80_849
; %bb.848:
	v_div_scale_f64 v[98:99], s[20:21], v[117:118], v[117:118], v[119:120]
	v_rcp_f64_e32 v[100:101], v[98:99]
	v_fma_f64 v[102:103], -v[98:99], v[100:101], 1.0
	v_fma_f64 v[100:101], v[100:101], v[102:103], v[100:101]
	v_div_scale_f64 v[102:103], vcc, v[119:120], v[117:118], v[119:120]
	v_fma_f64 v[104:105], -v[98:99], v[100:101], 1.0
	v_fma_f64 v[100:101], v[100:101], v[104:105], v[100:101]
	v_mul_f64 v[104:105], v[102:103], v[100:101]
	v_fma_f64 v[98:99], -v[98:99], v[104:105], v[102:103]
	v_div_fmas_f64 v[98:99], v[98:99], v[100:101], v[104:105]
	v_div_fixup_f64 v[98:99], v[98:99], v[117:118], v[119:120]
	v_fma_f64 v[100:101], v[119:120], v[98:99], v[117:118]
	v_div_scale_f64 v[102:103], s[20:21], v[100:101], v[100:101], 1.0
	v_div_scale_f64 v[108:109], vcc, 1.0, v[100:101], 1.0
	v_rcp_f64_e32 v[104:105], v[102:103]
	v_fma_f64 v[106:107], -v[102:103], v[104:105], 1.0
	v_fma_f64 v[104:105], v[104:105], v[106:107], v[104:105]
	v_fma_f64 v[106:107], -v[102:103], v[104:105], 1.0
	v_fma_f64 v[104:105], v[104:105], v[106:107], v[104:105]
	v_mul_f64 v[106:107], v[108:109], v[104:105]
	v_fma_f64 v[102:103], -v[102:103], v[106:107], v[108:109]
	v_div_fmas_f64 v[102:103], v[102:103], v[104:105], v[106:107]
	v_div_fixup_f64 v[117:118], v[102:103], v[100:101], 1.0
	v_mul_f64 v[119:120], v[98:99], -v[117:118]
.LBB80_849:
	s_or_b64 exec, exec, s[18:19]
.LBB80_850:
	s_or_b64 exec, exec, s[0:1]
	v_cmp_ne_u32_e32 vcc, v96, v97
	v_mov_b32_e32 v98, 40
	s_and_saveexec_b64 s[0:1], vcc
	s_cbranch_execz .LBB80_856
; %bb.851:
	v_cmp_eq_u32_e32 vcc, 40, v96
	s_and_saveexec_b64 s[18:19], vcc
	s_cbranch_execz .LBB80_855
; %bb.852:
	v_cmp_ne_u32_e32 vcc, 40, v97
	s_xor_b64 s[6:7], s[6:7], -1
	s_and_b64 s[20:21], s[6:7], vcc
	s_and_saveexec_b64 s[6:7], s[20:21]
	s_cbranch_execz .LBB80_854
; %bb.853:
	v_ashrrev_i32_e32 v98, 31, v97
	v_lshlrev_b64 v[98:99], 2, v[97:98]
	v_add_co_u32_e32 v98, vcc, v91, v98
	v_addc_co_u32_e32 v99, vcc, v92, v99, vcc
	global_load_dword v0, v[98:99], off
	global_load_dword v94, v[91:92], off offset:160
	s_waitcnt vmcnt(1)
	global_store_dword v[91:92], v0, off offset:160
	s_waitcnt vmcnt(1)
	global_store_dword v[98:99], v94, off
.LBB80_854:
	s_or_b64 exec, exec, s[6:7]
	v_mov_b32_e32 v96, v97
	v_mov_b32_e32 v0, v97
.LBB80_855:
	s_or_b64 exec, exec, s[18:19]
	v_mov_b32_e32 v98, v96
.LBB80_856:
	s_or_b64 exec, exec, s[0:1]
	v_cmp_gt_i32_e32 vcc, 41, v98
	v_ashrrev_i32_e32 v99, 31, v98
	s_waitcnt vmcnt(0)
	s_barrier
	s_barrier
	s_and_saveexec_b64 s[0:1], vcc
	s_cbranch_execz .LBB80_858
; %bb.857:
	v_mul_lo_u32 v94, s15, v113
	v_mul_lo_u32 v100, s14, v114
	v_mad_u64_u32 v[96:97], s[6:7], s14, v113, 0
	s_lshl_b64 s[6:7], s[12:13], 2
	v_add3_u32 v0, v0, s17, 1
	v_add3_u32 v97, v97, v100, v94
	v_lshlrev_b64 v[96:97], 2, v[96:97]
	v_mov_b32_e32 v94, s11
	v_add_co_u32_e32 v96, vcc, s10, v96
	v_addc_co_u32_e32 v94, vcc, v94, v97, vcc
	v_mov_b32_e32 v97, s7
	v_add_co_u32_e32 v100, vcc, s6, v96
	v_addc_co_u32_e32 v94, vcc, v94, v97, vcc
	v_lshlrev_b64 v[96:97], 2, v[98:99]
	v_add_co_u32_e32 v96, vcc, v100, v96
	v_addc_co_u32_e32 v97, vcc, v94, v97, vcc
	global_store_dword v[96:97], v0, off
.LBB80_858:
	s_or_b64 exec, exec, s[0:1]
	v_cmp_eq_u32_e32 vcc, 0, v98
	s_and_saveexec_b64 s[6:7], vcc
	s_cbranch_execz .LBB80_861
; %bb.859:
	v_lshlrev_b64 v[96:97], 2, v[113:114]
	v_mov_b32_e32 v0, s5
	v_add_co_u32_e32 v100, vcc, s4, v96
	v_addc_co_u32_e32 v101, vcc, v0, v97, vcc
	global_load_dword v0, v[100:101], off
	v_cmp_ne_u32_e64 s[0:1], 0, v95
	s_waitcnt vmcnt(0)
	v_cmp_eq_u32_e32 vcc, 0, v0
	s_and_b64 s[0:1], vcc, s[0:1]
	s_and_b64 exec, exec, s[0:1]
	s_cbranch_execz .LBB80_861
; %bb.860:
	v_add_u32_e32 v0, s17, v95
	global_store_dword v[100:101], v0, off
.LBB80_861:
	s_or_b64 exec, exec, s[6:7]
	buffer_load_dword v89, off, s[24:27], 0 offset:272 ; 4-byte Folded Reload
	buffer_load_dword v90, off, s[24:27], 0 offset:276 ; 4-byte Folded Reload
	;; [unrolled: 1-line block ×4, first 2 shown]
	v_mul_f64 v[94:95], v[117:118], v[123:124]
	v_mul_f64 v[96:97], v[119:120], v[123:124]
	v_cmp_lt_i32_e32 vcc, 40, v98
	v_mov_b32_e32 v0, s9
	v_fma_f64 v[94:95], v[119:120], v[121:122], v[94:95]
	v_fma_f64 v[96:97], v[117:118], v[121:122], -v[96:97]
	v_cndmask_b32_e32 v120, v124, v95, vcc
	v_cndmask_b32_e32 v119, v123, v94, vcc
	v_lshlrev_b64 v[94:95], 4, v[98:99]
	v_cndmask_b32_e32 v118, v122, v97, vcc
	v_cndmask_b32_e32 v117, v121, v96, vcc
	v_add_co_u32_e32 v94, vcc, v127, v94
	v_addc_co_u32_e32 v95, vcc, v93, v95, vcc
	s_waitcnt vmcnt(0)
	global_store_dwordx4 v[94:95], v[89:92], off
	buffer_load_dword v89, off, s[24:27], 0 offset:256 ; 4-byte Folded Reload
	s_nop 0
	buffer_load_dword v90, off, s[24:27], 0 offset:260 ; 4-byte Folded Reload
	buffer_load_dword v91, off, s[24:27], 0 offset:264 ; 4-byte Folded Reload
	;; [unrolled: 1-line block ×3, first 2 shown]
	v_add_co_u32_e32 v94, vcc, s8, v94
	v_addc_co_u32_e32 v95, vcc, v95, v0, vcc
	s_waitcnt vmcnt(0)
	global_store_dwordx4 v[94:95], v[89:92], off
	buffer_load_dword v89, off, s[24:27], 0 offset:240 ; 4-byte Folded Reload
	s_nop 0
	buffer_load_dword v90, off, s[24:27], 0 offset:244 ; 4-byte Folded Reload
	buffer_load_dword v91, off, s[24:27], 0 offset:248 ; 4-byte Folded Reload
	;; [unrolled: 1-line block ×3, first 2 shown]
	v_add_u32_e32 v94, s16, v98
	v_ashrrev_i32_e32 v95, 31, v94
	v_lshlrev_b64 v[95:96], 4, v[94:95]
	v_add_u32_e32 v94, s2, v94
	v_add_co_u32_e32 v95, vcc, v127, v95
	v_addc_co_u32_e32 v96, vcc, v93, v96, vcc
	s_waitcnt vmcnt(0)
	global_store_dwordx4 v[95:96], v[89:92], off
	buffer_load_dword v89, off, s[24:27], 0 offset:224 ; 4-byte Folded Reload
	s_nop 0
	buffer_load_dword v90, off, s[24:27], 0 offset:228 ; 4-byte Folded Reload
	buffer_load_dword v91, off, s[24:27], 0 offset:232 ; 4-byte Folded Reload
	buffer_load_dword v92, off, s[24:27], 0 offset:236 ; 4-byte Folded Reload
	v_ashrrev_i32_e32 v95, 31, v94
	v_lshlrev_b64 v[95:96], 4, v[94:95]
	v_add_u32_e32 v94, s2, v94
	v_add_co_u32_e32 v95, vcc, v127, v95
	v_addc_co_u32_e32 v96, vcc, v93, v96, vcc
	s_waitcnt vmcnt(0)
	global_store_dwordx4 v[95:96], v[89:92], off
	buffer_load_dword v89, off, s[24:27], 0 offset:208 ; 4-byte Folded Reload
	s_nop 0
	buffer_load_dword v90, off, s[24:27], 0 offset:212 ; 4-byte Folded Reload
	buffer_load_dword v91, off, s[24:27], 0 offset:216 ; 4-byte Folded Reload
	buffer_load_dword v92, off, s[24:27], 0 offset:220 ; 4-byte Folded Reload
	;; [unrolled: 12-line block ×14, first 2 shown]
	v_ashrrev_i32_e32 v95, 31, v94
	v_lshlrev_b64 v[95:96], 4, v[94:95]
	v_add_u32_e32 v94, s2, v94
	v_add_co_u32_e32 v95, vcc, v127, v95
	v_addc_co_u32_e32 v96, vcc, v93, v96, vcc
	s_waitcnt vmcnt(0)
	global_store_dwordx4 v[95:96], v[89:92], off
	buffer_load_dword v89, off, s[24:27], 0 ; 4-byte Folded Reload
	s_nop 0
	buffer_load_dword v90, off, s[24:27], 0 offset:4 ; 4-byte Folded Reload
	buffer_load_dword v91, off, s[24:27], 0 offset:8 ; 4-byte Folded Reload
	;; [unrolled: 1-line block ×3, first 2 shown]
	v_ashrrev_i32_e32 v95, 31, v94
	v_lshlrev_b64 v[95:96], 4, v[94:95]
	v_add_co_u32_e32 v95, vcc, v127, v95
	v_addc_co_u32_e32 v96, vcc, v93, v96, vcc
	s_waitcnt vmcnt(0)
	global_store_dwordx4 v[95:96], v[89:92], off
	s_nop 0
	v_add_u32_e32 v89, s2, v94
	v_ashrrev_i32_e32 v90, 31, v89
	v_lshlrev_b64 v[90:91], 4, v[89:90]
	v_add_co_u32_e32 v90, vcc, v127, v90
	v_addc_co_u32_e32 v91, vcc, v93, v91, vcc
	global_store_dwordx4 v[90:91], v[85:88], off
	s_nop 0
	v_add_u32_e32 v85, s2, v89
	v_ashrrev_i32_e32 v86, 31, v85
	v_lshlrev_b64 v[86:87], 4, v[85:86]
	v_add_co_u32_e32 v86, vcc, v127, v86
	v_addc_co_u32_e32 v87, vcc, v93, v87, vcc
	;; [unrolled: 7-line block ×21, first 2 shown]
	global_store_dwordx4 v[10:11], v[5:8], off
	s_nop 0
	v_add_u32_e32 v5, s2, v9
	v_ashrrev_i32_e32 v6, 31, v5
	v_lshlrev_b64 v[6:7], 4, v[5:6]
	v_add_u32_e32 v0, s2, v5
	v_add_co_u32_e32 v6, vcc, v127, v6
	v_addc_co_u32_e32 v7, vcc, v93, v7, vcc
	global_store_dwordx4 v[6:7], v[1:4], off
	s_nop 0
	v_ashrrev_i32_e32 v1, 31, v0
	v_lshlrev_b64 v[0:1], 4, v[0:1]
	v_add_co_u32_e32 v0, vcc, v127, v0
	v_addc_co_u32_e32 v1, vcc, v93, v1, vcc
	global_store_dwordx4 v[0:1], v[117:120], off
.LBB80_862:
	s_endpgm
	.section	.rodata,"a",@progbits
	.p2align	6, 0x0
	.amdhsa_kernel _ZN9rocsolver6v33100L18getf2_small_kernelILi41E19rocblas_complex_numIdEiiPS3_EEvT1_T3_lS5_lPS5_llPT2_S5_S5_S7_l
		.amdhsa_group_segment_fixed_size 0
		.amdhsa_private_segment_fixed_size 292
		.amdhsa_kernarg_size 352
		.amdhsa_user_sgpr_count 6
		.amdhsa_user_sgpr_private_segment_buffer 1
		.amdhsa_user_sgpr_dispatch_ptr 0
		.amdhsa_user_sgpr_queue_ptr 0
		.amdhsa_user_sgpr_kernarg_segment_ptr 1
		.amdhsa_user_sgpr_dispatch_id 0
		.amdhsa_user_sgpr_flat_scratch_init 0
		.amdhsa_user_sgpr_private_segment_size 0
		.amdhsa_uses_dynamic_stack 0
		.amdhsa_system_sgpr_private_segment_wavefront_offset 1
		.amdhsa_system_sgpr_workgroup_id_x 1
		.amdhsa_system_sgpr_workgroup_id_y 1
		.amdhsa_system_sgpr_workgroup_id_z 0
		.amdhsa_system_sgpr_workgroup_info 0
		.amdhsa_system_vgpr_workitem_id 1
		.amdhsa_next_free_vgpr 128
		.amdhsa_next_free_sgpr 28
		.amdhsa_reserve_vcc 1
		.amdhsa_reserve_flat_scratch 0
		.amdhsa_float_round_mode_32 0
		.amdhsa_float_round_mode_16_64 0
		.amdhsa_float_denorm_mode_32 3
		.amdhsa_float_denorm_mode_16_64 3
		.amdhsa_dx10_clamp 1
		.amdhsa_ieee_mode 1
		.amdhsa_fp16_overflow 0
		.amdhsa_exception_fp_ieee_invalid_op 0
		.amdhsa_exception_fp_denorm_src 0
		.amdhsa_exception_fp_ieee_div_zero 0
		.amdhsa_exception_fp_ieee_overflow 0
		.amdhsa_exception_fp_ieee_underflow 0
		.amdhsa_exception_fp_ieee_inexact 0
		.amdhsa_exception_int_div_zero 0
	.end_amdhsa_kernel
	.section	.text._ZN9rocsolver6v33100L18getf2_small_kernelILi41E19rocblas_complex_numIdEiiPS3_EEvT1_T3_lS5_lPS5_llPT2_S5_S5_S7_l,"axG",@progbits,_ZN9rocsolver6v33100L18getf2_small_kernelILi41E19rocblas_complex_numIdEiiPS3_EEvT1_T3_lS5_lPS5_llPT2_S5_S5_S7_l,comdat
.Lfunc_end80:
	.size	_ZN9rocsolver6v33100L18getf2_small_kernelILi41E19rocblas_complex_numIdEiiPS3_EEvT1_T3_lS5_lPS5_llPT2_S5_S5_S7_l, .Lfunc_end80-_ZN9rocsolver6v33100L18getf2_small_kernelILi41E19rocblas_complex_numIdEiiPS3_EEvT1_T3_lS5_lPS5_llPT2_S5_S5_S7_l
                                        ; -- End function
	.set _ZN9rocsolver6v33100L18getf2_small_kernelILi41E19rocblas_complex_numIdEiiPS3_EEvT1_T3_lS5_lPS5_llPT2_S5_S5_S7_l.num_vgpr, 128
	.set _ZN9rocsolver6v33100L18getf2_small_kernelILi41E19rocblas_complex_numIdEiiPS3_EEvT1_T3_lS5_lPS5_llPT2_S5_S5_S7_l.num_agpr, 0
	.set _ZN9rocsolver6v33100L18getf2_small_kernelILi41E19rocblas_complex_numIdEiiPS3_EEvT1_T3_lS5_lPS5_llPT2_S5_S5_S7_l.numbered_sgpr, 28
	.set _ZN9rocsolver6v33100L18getf2_small_kernelILi41E19rocblas_complex_numIdEiiPS3_EEvT1_T3_lS5_lPS5_llPT2_S5_S5_S7_l.num_named_barrier, 0
	.set _ZN9rocsolver6v33100L18getf2_small_kernelILi41E19rocblas_complex_numIdEiiPS3_EEvT1_T3_lS5_lPS5_llPT2_S5_S5_S7_l.private_seg_size, 292
	.set _ZN9rocsolver6v33100L18getf2_small_kernelILi41E19rocblas_complex_numIdEiiPS3_EEvT1_T3_lS5_lPS5_llPT2_S5_S5_S7_l.uses_vcc, 1
	.set _ZN9rocsolver6v33100L18getf2_small_kernelILi41E19rocblas_complex_numIdEiiPS3_EEvT1_T3_lS5_lPS5_llPT2_S5_S5_S7_l.uses_flat_scratch, 0
	.set _ZN9rocsolver6v33100L18getf2_small_kernelILi41E19rocblas_complex_numIdEiiPS3_EEvT1_T3_lS5_lPS5_llPT2_S5_S5_S7_l.has_dyn_sized_stack, 0
	.set _ZN9rocsolver6v33100L18getf2_small_kernelILi41E19rocblas_complex_numIdEiiPS3_EEvT1_T3_lS5_lPS5_llPT2_S5_S5_S7_l.has_recursion, 0
	.set _ZN9rocsolver6v33100L18getf2_small_kernelILi41E19rocblas_complex_numIdEiiPS3_EEvT1_T3_lS5_lPS5_llPT2_S5_S5_S7_l.has_indirect_call, 0
	.section	.AMDGPU.csdata,"",@progbits
; Kernel info:
; codeLenInByte = 115584
; TotalNumSgprs: 32
; NumVgprs: 128
; ScratchSize: 292
; MemoryBound: 0
; FloatMode: 240
; IeeeMode: 1
; LDSByteSize: 0 bytes/workgroup (compile time only)
; SGPRBlocks: 3
; VGPRBlocks: 31
; NumSGPRsForWavesPerEU: 32
; NumVGPRsForWavesPerEU: 128
; Occupancy: 2
; WaveLimiterHint : 0
; COMPUTE_PGM_RSRC2:SCRATCH_EN: 1
; COMPUTE_PGM_RSRC2:USER_SGPR: 6
; COMPUTE_PGM_RSRC2:TRAP_HANDLER: 0
; COMPUTE_PGM_RSRC2:TGID_X_EN: 1
; COMPUTE_PGM_RSRC2:TGID_Y_EN: 1
; COMPUTE_PGM_RSRC2:TGID_Z_EN: 0
; COMPUTE_PGM_RSRC2:TIDIG_COMP_CNT: 1
	.section	.text._ZN9rocsolver6v33100L23getf2_npvt_small_kernelILi41E19rocblas_complex_numIdEiiPS3_EEvT1_T3_lS5_lPT2_S5_S5_,"axG",@progbits,_ZN9rocsolver6v33100L23getf2_npvt_small_kernelILi41E19rocblas_complex_numIdEiiPS3_EEvT1_T3_lS5_lPT2_S5_S5_,comdat
	.globl	_ZN9rocsolver6v33100L23getf2_npvt_small_kernelILi41E19rocblas_complex_numIdEiiPS3_EEvT1_T3_lS5_lPT2_S5_S5_ ; -- Begin function _ZN9rocsolver6v33100L23getf2_npvt_small_kernelILi41E19rocblas_complex_numIdEiiPS3_EEvT1_T3_lS5_lPT2_S5_S5_
	.p2align	8
	.type	_ZN9rocsolver6v33100L23getf2_npvt_small_kernelILi41E19rocblas_complex_numIdEiiPS3_EEvT1_T3_lS5_lPT2_S5_S5_,@function
_ZN9rocsolver6v33100L23getf2_npvt_small_kernelILi41E19rocblas_complex_numIdEiiPS3_EEvT1_T3_lS5_lPT2_S5_S5_: ; @_ZN9rocsolver6v33100L23getf2_npvt_small_kernelILi41E19rocblas_complex_numIdEiiPS3_EEvT1_T3_lS5_lPT2_S5_S5_
; %bb.0:
	s_mov_b64 s[22:23], s[2:3]
	s_mov_b64 s[20:21], s[0:1]
	s_load_dword s0, s[4:5], 0x44
	s_load_dwordx2 s[12:13], s[4:5], 0x30
	s_add_u32 s20, s20, s8
	s_addc_u32 s21, s21, 0
	s_waitcnt lgkmcnt(0)
	s_lshr_b32 s2, s0, 16
	s_mul_i32 s7, s7, s2
	v_add_u32_e32 v3, s7, v1
	v_mov_b32_e32 v2, v3
	v_cmp_gt_i32_e32 vcc, s12, v3
	s_and_saveexec_b64 s[0:1], vcc
	s_cbranch_execz .LBB81_372
; %bb.1:
	s_load_dwordx4 s[8:11], s[4:5], 0x20
	s_load_dwordx4 s[16:19], s[4:5], 0x8
	v_ashrrev_i32_e32 v3, 31, v2
	s_mulk_i32 s2, 0x290
	s_waitcnt lgkmcnt(0)
	v_mul_lo_u32 v4, s9, v2
	v_mul_lo_u32 v5, s8, v3
	buffer_store_dword v2, off, s[20:23], 0 offset:1328 ; 4-byte Folded Spill
	s_nop 0
	buffer_store_dword v3, off, s[20:23], 0 offset:1332 ; 4-byte Folded Spill
	v_mov_b32_e32 v6, s17
	v_mad_u64_u32 v[2:3], s[0:1], s8, v2, 0
	s_load_dword s0, s[4:5], 0x18
	s_lshl_b64 s[4:5], s[18:19], 4
	v_add3_u32 v3, v3, v5, v4
	v_lshlrev_b64 v[2:3], 4, v[2:3]
	v_mov_b32_e32 v4, s5
	v_add_co_u32_e32 v2, vcc, s16, v2
	v_addc_co_u32_e32 v3, vcc, v6, v3, vcc
	v_add_co_u32_e32 v2, vcc, s4, v2
	s_waitcnt lgkmcnt(0)
	s_add_i32 s1, s0, s0
	v_addc_co_u32_e32 v3, vcc, v3, v4, vcc
	v_add_u32_e32 v4, s1, v0
	v_ashrrev_i32_e32 v5, 31, v4
	v_lshlrev_b64 v[5:6], 4, v[4:5]
	v_add_u32_e32 v4, s0, v4
	v_add_co_u32_e32 v91, vcc, v2, v5
	v_ashrrev_i32_e32 v5, 31, v4
	v_addc_co_u32_e32 v92, vcc, v3, v6, vcc
	v_lshlrev_b64 v[5:6], 4, v[4:5]
	v_add_u32_e32 v4, s0, v4
	v_add_co_u32_e32 v7, vcc, v2, v5
	v_ashrrev_i32_e32 v5, 31, v4
	v_addc_co_u32_e32 v8, vcc, v3, v6, vcc
	;; [unrolled: 5-line block ×37, first 2 shown]
	v_lshlrev_b64 v[5:6], 4, v[4:5]
	v_add_u32_e32 v4, s0, v4
	v_add_co_u32_e32 v111, vcc, v2, v5
	v_ashrrev_i32_e32 v5, 31, v4
	v_lshlrev_b64 v[4:5], 4, v[4:5]
	v_addc_co_u32_e32 v112, vcc, v3, v6, vcc
	v_add_co_u32_e32 v113, vcc, v2, v4
	v_addc_co_u32_e32 v114, vcc, v3, v5, vcc
	v_lshlrev_b32_e32 v4, 4, v0
	v_add_co_u32_e32 v4, vcc, v2, v4
	s_ashr_i32 s1, s0, 31
	v_addc_co_u32_e32 v5, vcc, 0, v3, vcc
	s_lshl_b64 s[0:1], s[0:1], 4
	v_mov_b32_e32 v2, s1
	v_add_co_u32_e32 v57, vcc, s0, v4
	v_addc_co_u32_e32 v58, vcc, v5, v2, vcc
	buffer_store_dword v4, off, s[20:23], 0 offset:720 ; 4-byte Folded Spill
	s_nop 0
	buffer_store_dword v5, off, s[20:23], 0 offset:724 ; 4-byte Folded Spill
	s_movk_i32 s0, 0x290
	s_add_i32 s1, s2, 0
	v_mad_u32_u24 v125, v1, s0, 0
	v_lshl_add_u32 v127, v1, 4, s1
	v_cmp_ne_u32_e64 s[2:3], 0, v0
	v_cmp_eq_u32_e64 s[0:1], 0, v0
	global_load_dwordx4 v[1:4], v[4:5], off
	s_waitcnt vmcnt(0)
	buffer_store_dword v1, off, s[20:23], 0 offset:240 ; 4-byte Folded Spill
	s_nop 0
	buffer_store_dword v2, off, s[20:23], 0 offset:244 ; 4-byte Folded Spill
	buffer_store_dword v3, off, s[20:23], 0 offset:248 ; 4-byte Folded Spill
	;; [unrolled: 1-line block ×4, first 2 shown]
	s_nop 0
	buffer_store_dword v58, off, s[20:23], 0 offset:732 ; 4-byte Folded Spill
	global_load_dwordx4 v[1:4], v[57:58], off
	s_waitcnt vmcnt(0)
	buffer_store_dword v1, off, s[20:23], 0 offset:224 ; 4-byte Folded Spill
	s_nop 0
	buffer_store_dword v2, off, s[20:23], 0 offset:228 ; 4-byte Folded Spill
	buffer_store_dword v3, off, s[20:23], 0 offset:232 ; 4-byte Folded Spill
	;; [unrolled: 1-line block ×3, first 2 shown]
	global_load_dwordx4 v[1:4], v[91:92], off
	s_waitcnt vmcnt(0)
	buffer_store_dword v1, off, s[20:23], 0 offset:208 ; 4-byte Folded Spill
	s_nop 0
	buffer_store_dword v2, off, s[20:23], 0 offset:212 ; 4-byte Folded Spill
	buffer_store_dword v3, off, s[20:23], 0 offset:216 ; 4-byte Folded Spill
	buffer_store_dword v4, off, s[20:23], 0 offset:220 ; 4-byte Folded Spill
	buffer_store_dword v7, off, s[20:23], 0 offset:256 ; 4-byte Folded Spill
	s_nop 0
	buffer_store_dword v8, off, s[20:23], 0 offset:260 ; 4-byte Folded Spill
	global_load_dwordx4 v[1:4], v[7:8], off
	s_waitcnt vmcnt(0)
	buffer_store_dword v1, off, s[20:23], 0 offset:192 ; 4-byte Folded Spill
	s_nop 0
	buffer_store_dword v2, off, s[20:23], 0 offset:196 ; 4-byte Folded Spill
	buffer_store_dword v3, off, s[20:23], 0 offset:200 ; 4-byte Folded Spill
	buffer_store_dword v4, off, s[20:23], 0 offset:204 ; 4-byte Folded Spill
	buffer_store_dword v55, off, s[20:23], 0 offset:552 ; 4-byte Folded Spill
	s_nop 0
	buffer_store_dword v56, off, s[20:23], 0 offset:556 ; 4-byte Folded Spill
	;; [unrolled: 10-line block ×11, first 2 shown]
	global_load_dwordx4 v[77:80], v[25:26], off
	s_nop 0
	buffer_store_dword v27, off, s[20:23], 0 offset:336 ; 4-byte Folded Spill
	s_nop 0
	buffer_store_dword v28, off, s[20:23], 0 offset:340 ; 4-byte Folded Spill
	global_load_dwordx4 v[87:90], v[27:28], off
	s_nop 0
	buffer_store_dword v29, off, s[20:23], 0 offset:344 ; 4-byte Folded Spill
	s_nop 0
	buffer_store_dword v30, off, s[20:23], 0 offset:348 ; 4-byte Folded Spill
	;; [unrolled: 5-line block ×5, first 2 shown]
	global_load_dwordx4 v[1:4], v[35:36], off
	s_waitcnt vmcnt(0)
	buffer_store_dword v1, off, s[20:23], 0 offset:32 ; 4-byte Folded Spill
	s_nop 0
	buffer_store_dword v2, off, s[20:23], 0 offset:36 ; 4-byte Folded Spill
	buffer_store_dword v3, off, s[20:23], 0 offset:40 ; 4-byte Folded Spill
	;; [unrolled: 1-line block ×4, first 2 shown]
	s_nop 0
	buffer_store_dword v38, off, s[20:23], 0 offset:380 ; 4-byte Folded Spill
	global_load_dwordx4 v[1:4], v[37:38], off
	s_nop 0
	buffer_store_dword v39, off, s[20:23], 0 offset:384 ; 4-byte Folded Spill
	s_nop 0
	buffer_store_dword v40, off, s[20:23], 0 offset:388 ; 4-byte Folded Spill
	global_load_dwordx4 v[5:8], v[39:40], off
	s_waitcnt vmcnt(0)
	buffer_store_dword v5, off, s[20:23], 0 ; 4-byte Folded Spill
	s_nop 0
	buffer_store_dword v6, off, s[20:23], 0 offset:4 ; 4-byte Folded Spill
	buffer_store_dword v7, off, s[20:23], 0 offset:8 ; 4-byte Folded Spill
	;; [unrolled: 1-line block ×4, first 2 shown]
	s_nop 0
	buffer_store_dword v42, off, s[20:23], 0 offset:396 ; 4-byte Folded Spill
	global_load_dwordx4 v[73:76], v[41:42], off
	s_nop 0
	buffer_store_dword v43, off, s[20:23], 0 offset:400 ; 4-byte Folded Spill
	s_nop 0
	buffer_store_dword v44, off, s[20:23], 0 offset:404 ; 4-byte Folded Spill
	global_load_dwordx4 v[69:72], v[43:44], off
	s_nop 0
	buffer_store_dword v53, off, s[20:23], 0 offset:544 ; 4-byte Folded Spill
	;; [unrolled: 5-line block ×11, first 2 shown]
	s_nop 0
	buffer_store_dword v98, off, s[20:23], 0 offset:476 ; 4-byte Folded Spill
	v_mov_b32_e32 v96, v4
	v_mov_b32_e32 v95, v3
	;; [unrolled: 1-line block ×4, first 2 shown]
	global_load_dwordx4 v[29:32], v[97:98], off
	s_nop 0
	buffer_store_dword v99, off, s[20:23], 0 offset:480 ; 4-byte Folded Spill
	s_nop 0
	buffer_store_dword v100, off, s[20:23], 0 offset:484 ; 4-byte Folded Spill
	global_load_dwordx4 v[25:28], v[99:100], off
	s_nop 0
	buffer_store_dword v101, off, s[20:23], 0 offset:488 ; 4-byte Folded Spill
	s_nop 0
	buffer_store_dword v102, off, s[20:23], 0 offset:492 ; 4-byte Folded Spill
	;; [unrolled: 5-line block ×8, first 2 shown]
	v_mov_b32_e32 v109, v121
	v_mov_b32_e32 v110, v122
	;; [unrolled: 1-line block ×12, first 2 shown]
	global_load_dwordx4 v[87:90], v[113:114], off
	s_waitcnt vmcnt(0)
	buffer_store_dword v87, off, s[20:23], 0 offset:16 ; 4-byte Folded Spill
	s_nop 0
	buffer_store_dword v88, off, s[20:23], 0 offset:20 ; 4-byte Folded Spill
	buffer_store_dword v89, off, s[20:23], 0 offset:24 ; 4-byte Folded Spill
	;; [unrolled: 1-line block ×3, first 2 shown]
	v_mov_b32_e32 v116, v86
	v_mov_b32_e32 v115, v85
	;; [unrolled: 1-line block ×8, first 2 shown]
	s_and_saveexec_b64 s[6:7], s[0:1]
	s_cbranch_execz .LBB81_8
; %bb.2:
	buffer_load_dword v77, off, s[20:23], 0 offset:240 ; 4-byte Folded Reload
	buffer_load_dword v78, off, s[20:23], 0 offset:244 ; 4-byte Folded Reload
	;; [unrolled: 1-line block ×4, first 2 shown]
	s_waitcnt vmcnt(0)
	ds_write2_b64 v127, v[77:78], v[79:80] offset1:1
	buffer_load_dword v77, off, s[20:23], 0 offset:224 ; 4-byte Folded Reload
	buffer_load_dword v78, off, s[20:23], 0 offset:228 ; 4-byte Folded Reload
	buffer_load_dword v79, off, s[20:23], 0 offset:232 ; 4-byte Folded Reload
	buffer_load_dword v80, off, s[20:23], 0 offset:236 ; 4-byte Folded Reload
	s_waitcnt vmcnt(0)
	ds_write2_b64 v125, v[77:78], v[79:80] offset0:2 offset1:3
	buffer_load_dword v77, off, s[20:23], 0 offset:208 ; 4-byte Folded Reload
	buffer_load_dword v78, off, s[20:23], 0 offset:212 ; 4-byte Folded Reload
	buffer_load_dword v79, off, s[20:23], 0 offset:216 ; 4-byte Folded Reload
	buffer_load_dword v80, off, s[20:23], 0 offset:220 ; 4-byte Folded Reload
	s_waitcnt vmcnt(0)
	ds_write2_b64 v125, v[77:78], v[79:80] offset0:4 offset1:5
	;; [unrolled: 6-line block ×12, first 2 shown]
	ds_write2_b64 v125, v[85:86], v[87:88] offset0:26 offset1:27
	ds_write2_b64 v125, v[117:118], v[119:120] offset0:28 offset1:29
	;; [unrolled: 1-line block ×5, first 2 shown]
	buffer_load_dword v81, off, s[20:23], 0 offset:32 ; 4-byte Folded Reload
	buffer_load_dword v82, off, s[20:23], 0 offset:36 ; 4-byte Folded Reload
	;; [unrolled: 1-line block ×4, first 2 shown]
	s_waitcnt vmcnt(0)
	ds_write2_b64 v125, v[81:82], v[83:84] offset0:36 offset1:37
	ds_write2_b64 v125, v[93:94], v[95:96] offset0:38 offset1:39
	buffer_load_dword v77, off, s[20:23], 0 ; 4-byte Folded Reload
	buffer_load_dword v78, off, s[20:23], 0 offset:4 ; 4-byte Folded Reload
	buffer_load_dword v79, off, s[20:23], 0 offset:8 ; 4-byte Folded Reload
	;; [unrolled: 1-line block ×3, first 2 shown]
	s_waitcnt vmcnt(0)
	ds_write2_b64 v125, v[77:78], v[79:80] offset0:40 offset1:41
	ds_write2_b64 v125, v[73:74], v[75:76] offset0:42 offset1:43
	;; [unrolled: 1-line block ×20, first 2 shown]
	buffer_load_dword v77, off, s[20:23], 0 offset:16 ; 4-byte Folded Reload
	buffer_load_dword v78, off, s[20:23], 0 offset:20 ; 4-byte Folded Reload
	;; [unrolled: 1-line block ×4, first 2 shown]
	s_waitcnt vmcnt(0)
	ds_write2_b64 v125, v[77:78], v[79:80] offset0:80 offset1:81
	ds_read2_b64 v[97:100], v127 offset1:1
	s_waitcnt lgkmcnt(0)
	v_cmp_neq_f64_e32 vcc, 0, v[97:98]
	v_cmp_neq_f64_e64 s[4:5], 0, v[99:100]
	s_or_b64 s[4:5], vcc, s[4:5]
	s_and_b64 exec, exec, s[4:5]
	s_cbranch_execz .LBB81_8
; %bb.3:
	v_cmp_ngt_f64_e64 s[4:5], |v[97:98]|, |v[99:100]|
                                        ; implicit-def: $vgpr101_vgpr102
	s_and_saveexec_b64 s[8:9], s[4:5]
	s_xor_b64 s[4:5], exec, s[8:9]
                                        ; implicit-def: $vgpr103_vgpr104
	s_cbranch_execz .LBB81_5
; %bb.4:
	v_div_scale_f64 v[101:102], s[8:9], v[99:100], v[99:100], v[97:98]
	v_rcp_f64_e32 v[103:104], v[101:102]
	v_fma_f64 v[105:106], -v[101:102], v[103:104], 1.0
	v_fma_f64 v[103:104], v[103:104], v[105:106], v[103:104]
	v_div_scale_f64 v[105:106], vcc, v[97:98], v[99:100], v[97:98]
	v_fma_f64 v[107:108], -v[101:102], v[103:104], 1.0
	v_fma_f64 v[103:104], v[103:104], v[107:108], v[103:104]
	v_mul_f64 v[107:108], v[105:106], v[103:104]
	v_fma_f64 v[101:102], -v[101:102], v[107:108], v[105:106]
	v_div_fmas_f64 v[101:102], v[101:102], v[103:104], v[107:108]
	v_div_fixup_f64 v[101:102], v[101:102], v[99:100], v[97:98]
	v_fma_f64 v[97:98], v[97:98], v[101:102], v[99:100]
	v_div_scale_f64 v[99:100], s[8:9], v[97:98], v[97:98], 1.0
	v_div_scale_f64 v[107:108], vcc, 1.0, v[97:98], 1.0
	v_rcp_f64_e32 v[103:104], v[99:100]
	v_fma_f64 v[105:106], -v[99:100], v[103:104], 1.0
	v_fma_f64 v[103:104], v[103:104], v[105:106], v[103:104]
	v_fma_f64 v[105:106], -v[99:100], v[103:104], 1.0
	v_fma_f64 v[103:104], v[103:104], v[105:106], v[103:104]
	v_mul_f64 v[105:106], v[107:108], v[103:104]
	v_fma_f64 v[99:100], -v[99:100], v[105:106], v[107:108]
	v_div_fmas_f64 v[99:100], v[99:100], v[103:104], v[105:106]
	v_div_fixup_f64 v[103:104], v[99:100], v[97:98], 1.0
                                        ; implicit-def: $vgpr97_vgpr98
	v_mul_f64 v[101:102], v[101:102], v[103:104]
	v_xor_b32_e32 v104, 0x80000000, v104
.LBB81_5:
	s_andn2_saveexec_b64 s[4:5], s[4:5]
	s_cbranch_execz .LBB81_7
; %bb.6:
	v_div_scale_f64 v[101:102], s[8:9], v[97:98], v[97:98], v[99:100]
	v_rcp_f64_e32 v[103:104], v[101:102]
	v_fma_f64 v[105:106], -v[101:102], v[103:104], 1.0
	v_fma_f64 v[103:104], v[103:104], v[105:106], v[103:104]
	v_div_scale_f64 v[105:106], vcc, v[99:100], v[97:98], v[99:100]
	v_fma_f64 v[107:108], -v[101:102], v[103:104], 1.0
	v_fma_f64 v[103:104], v[103:104], v[107:108], v[103:104]
	v_mul_f64 v[107:108], v[105:106], v[103:104]
	v_fma_f64 v[101:102], -v[101:102], v[107:108], v[105:106]
	v_div_fmas_f64 v[101:102], v[101:102], v[103:104], v[107:108]
	v_div_fixup_f64 v[103:104], v[101:102], v[97:98], v[99:100]
	v_fma_f64 v[97:98], v[99:100], v[103:104], v[97:98]
	v_div_scale_f64 v[99:100], s[8:9], v[97:98], v[97:98], 1.0
	v_div_scale_f64 v[107:108], vcc, 1.0, v[97:98], 1.0
	v_rcp_f64_e32 v[101:102], v[99:100]
	v_fma_f64 v[105:106], -v[99:100], v[101:102], 1.0
	v_fma_f64 v[101:102], v[101:102], v[105:106], v[101:102]
	v_fma_f64 v[105:106], -v[99:100], v[101:102], 1.0
	v_fma_f64 v[101:102], v[101:102], v[105:106], v[101:102]
	v_mul_f64 v[105:106], v[107:108], v[101:102]
	v_fma_f64 v[99:100], -v[99:100], v[105:106], v[107:108]
	v_div_fmas_f64 v[99:100], v[99:100], v[101:102], v[105:106]
	v_div_fixup_f64 v[101:102], v[99:100], v[97:98], 1.0
	v_mul_f64 v[103:104], v[103:104], -v[101:102]
.LBB81_7:
	s_or_b64 exec, exec, s[4:5]
	ds_write2_b64 v127, v[101:102], v[103:104] offset1:1
.LBB81_8:
	s_or_b64 exec, exec, s[6:7]
	s_waitcnt vmcnt(0) lgkmcnt(0)
	s_barrier
	ds_read2_b64 v[77:80], v127 offset1:1
	s_waitcnt lgkmcnt(0)
	buffer_store_dword v77, off, s[20:23], 0 offset:736 ; 4-byte Folded Spill
	s_nop 0
	buffer_store_dword v78, off, s[20:23], 0 offset:740 ; 4-byte Folded Spill
	buffer_store_dword v79, off, s[20:23], 0 offset:744 ; 4-byte Folded Spill
	;; [unrolled: 1-line block ×3, first 2 shown]
	s_and_saveexec_b64 s[4:5], s[2:3]
	s_cbranch_execz .LBB81_10
; %bb.9:
	buffer_load_dword v103, off, s[20:23], 0 offset:240 ; 4-byte Folded Reload
	buffer_load_dword v104, off, s[20:23], 0 offset:244 ; 4-byte Folded Reload
	;; [unrolled: 1-line block ×8, first 2 shown]
	s_waitcnt vmcnt(2)
	v_mul_f64 v[99:100], v[77:78], v[105:106]
	s_waitcnt vmcnt(0)
	v_mul_f64 v[97:98], v[79:80], v[105:106]
	v_fma_f64 v[105:106], v[79:80], v[103:104], v[99:100]
	ds_read2_b64 v[99:102], v125 offset0:2 offset1:3
	v_fma_f64 v[97:98], v[77:78], v[103:104], -v[97:98]
	buffer_load_dword v77, off, s[20:23], 0 offset:224 ; 4-byte Folded Reload
	buffer_load_dword v78, off, s[20:23], 0 offset:228 ; 4-byte Folded Reload
	buffer_load_dword v79, off, s[20:23], 0 offset:232 ; 4-byte Folded Reload
	buffer_load_dword v80, off, s[20:23], 0 offset:236 ; 4-byte Folded Reload
	s_waitcnt lgkmcnt(0)
	v_mul_f64 v[103:104], v[101:102], v[105:106]
	v_fma_f64 v[103:104], v[99:100], v[97:98], -v[103:104]
	v_mul_f64 v[99:100], v[99:100], v[105:106]
	v_fma_f64 v[99:100], v[101:102], v[97:98], v[99:100]
	s_waitcnt vmcnt(2)
	v_add_f64 v[77:78], v[77:78], -v[103:104]
	s_waitcnt vmcnt(0)
	v_add_f64 v[79:80], v[79:80], -v[99:100]
	buffer_store_dword v77, off, s[20:23], 0 offset:224 ; 4-byte Folded Spill
	s_nop 0
	buffer_store_dword v78, off, s[20:23], 0 offset:228 ; 4-byte Folded Spill
	buffer_store_dword v79, off, s[20:23], 0 offset:232 ; 4-byte Folded Spill
	buffer_store_dword v80, off, s[20:23], 0 offset:236 ; 4-byte Folded Spill
	ds_read2_b64 v[99:102], v125 offset0:4 offset1:5
	buffer_load_dword v77, off, s[20:23], 0 offset:208 ; 4-byte Folded Reload
	buffer_load_dword v78, off, s[20:23], 0 offset:212 ; 4-byte Folded Reload
	buffer_load_dword v79, off, s[20:23], 0 offset:216 ; 4-byte Folded Reload
	buffer_load_dword v80, off, s[20:23], 0 offset:220 ; 4-byte Folded Reload
	s_waitcnt lgkmcnt(0)
	v_mul_f64 v[103:104], v[101:102], v[105:106]
	v_fma_f64 v[103:104], v[99:100], v[97:98], -v[103:104]
	v_mul_f64 v[99:100], v[99:100], v[105:106]
	v_fma_f64 v[99:100], v[101:102], v[97:98], v[99:100]
	s_waitcnt vmcnt(2)
	v_add_f64 v[77:78], v[77:78], -v[103:104]
	s_waitcnt vmcnt(0)
	v_add_f64 v[79:80], v[79:80], -v[99:100]
	buffer_store_dword v77, off, s[20:23], 0 offset:208 ; 4-byte Folded Spill
	s_nop 0
	buffer_store_dword v78, off, s[20:23], 0 offset:212 ; 4-byte Folded Spill
	buffer_store_dword v79, off, s[20:23], 0 offset:216 ; 4-byte Folded Spill
	buffer_store_dword v80, off, s[20:23], 0 offset:220 ; 4-byte Folded Spill
	ds_read2_b64 v[99:102], v125 offset0:6 offset1:7
	;; [unrolled: 19-line block ×12, first 2 shown]
	s_waitcnt lgkmcnt(0)
	v_mul_f64 v[103:104], v[101:102], v[105:106]
	v_fma_f64 v[103:104], v[99:100], v[97:98], -v[103:104]
	v_mul_f64 v[99:100], v[99:100], v[105:106]
	v_add_f64 v[85:86], v[85:86], -v[103:104]
	v_fma_f64 v[99:100], v[101:102], v[97:98], v[99:100]
	v_add_f64 v[87:88], v[87:88], -v[99:100]
	ds_read2_b64 v[99:102], v125 offset0:28 offset1:29
	s_waitcnt lgkmcnt(0)
	v_mul_f64 v[103:104], v[101:102], v[105:106]
	v_fma_f64 v[103:104], v[99:100], v[97:98], -v[103:104]
	v_mul_f64 v[99:100], v[99:100], v[105:106]
	v_add_f64 v[117:118], v[117:118], -v[103:104]
	v_fma_f64 v[99:100], v[101:102], v[97:98], v[99:100]
	v_add_f64 v[119:120], v[119:120], -v[99:100]
	ds_read2_b64 v[99:102], v125 offset0:30 offset1:31
	s_waitcnt lgkmcnt(0)
	v_mul_f64 v[103:104], v[101:102], v[105:106]
	v_fma_f64 v[103:104], v[99:100], v[97:98], -v[103:104]
	v_mul_f64 v[99:100], v[99:100], v[105:106]
	v_add_f64 v[121:122], v[121:122], -v[103:104]
	v_fma_f64 v[99:100], v[101:102], v[97:98], v[99:100]
	v_add_f64 v[123:124], v[123:124], -v[99:100]
	ds_read2_b64 v[99:102], v125 offset0:32 offset1:33
	s_waitcnt lgkmcnt(0)
	v_mul_f64 v[103:104], v[101:102], v[105:106]
	v_fma_f64 v[103:104], v[99:100], v[97:98], -v[103:104]
	v_mul_f64 v[99:100], v[99:100], v[105:106]
	v_add_f64 v[109:110], v[109:110], -v[103:104]
	v_fma_f64 v[99:100], v[101:102], v[97:98], v[99:100]
	v_add_f64 v[111:112], v[111:112], -v[99:100]
	ds_read2_b64 v[99:102], v125 offset0:34 offset1:35
	s_waitcnt lgkmcnt(0)
	v_mul_f64 v[103:104], v[101:102], v[105:106]
	v_fma_f64 v[103:104], v[99:100], v[97:98], -v[103:104]
	v_mul_f64 v[99:100], v[99:100], v[105:106]
	v_add_f64 v[113:114], v[113:114], -v[103:104]
	v_fma_f64 v[99:100], v[101:102], v[97:98], v[99:100]
	v_add_f64 v[115:116], v[115:116], -v[99:100]
	ds_read2_b64 v[99:102], v125 offset0:36 offset1:37
	buffer_load_dword v81, off, s[20:23], 0 offset:32 ; 4-byte Folded Reload
	buffer_load_dword v82, off, s[20:23], 0 offset:36 ; 4-byte Folded Reload
	;; [unrolled: 1-line block ×4, first 2 shown]
	s_waitcnt lgkmcnt(0)
	v_mul_f64 v[103:104], v[101:102], v[105:106]
	v_fma_f64 v[103:104], v[99:100], v[97:98], -v[103:104]
	v_mul_f64 v[99:100], v[99:100], v[105:106]
	v_fma_f64 v[99:100], v[101:102], v[97:98], v[99:100]
	s_waitcnt vmcnt(2)
	v_add_f64 v[81:82], v[81:82], -v[103:104]
	s_waitcnt vmcnt(0)
	v_add_f64 v[83:84], v[83:84], -v[99:100]
	buffer_store_dword v81, off, s[20:23], 0 offset:32 ; 4-byte Folded Spill
	s_nop 0
	buffer_store_dword v82, off, s[20:23], 0 offset:36 ; 4-byte Folded Spill
	buffer_store_dword v83, off, s[20:23], 0 offset:40 ; 4-byte Folded Spill
	;; [unrolled: 1-line block ×3, first 2 shown]
	ds_read2_b64 v[99:102], v125 offset0:38 offset1:39
	s_waitcnt lgkmcnt(0)
	v_mul_f64 v[103:104], v[101:102], v[105:106]
	v_fma_f64 v[103:104], v[99:100], v[97:98], -v[103:104]
	v_mul_f64 v[99:100], v[99:100], v[105:106]
	v_add_f64 v[93:94], v[93:94], -v[103:104]
	v_fma_f64 v[99:100], v[101:102], v[97:98], v[99:100]
	v_add_f64 v[95:96], v[95:96], -v[99:100]
	ds_read2_b64 v[99:102], v125 offset0:40 offset1:41
	buffer_load_dword v77, off, s[20:23], 0 ; 4-byte Folded Reload
	buffer_load_dword v78, off, s[20:23], 0 offset:4 ; 4-byte Folded Reload
	buffer_load_dword v79, off, s[20:23], 0 offset:8 ; 4-byte Folded Reload
	;; [unrolled: 1-line block ×3, first 2 shown]
	s_waitcnt lgkmcnt(0)
	v_mul_f64 v[103:104], v[101:102], v[105:106]
	v_fma_f64 v[103:104], v[99:100], v[97:98], -v[103:104]
	v_mul_f64 v[99:100], v[99:100], v[105:106]
	v_fma_f64 v[99:100], v[101:102], v[97:98], v[99:100]
	s_waitcnt vmcnt(2)
	v_add_f64 v[77:78], v[77:78], -v[103:104]
	s_waitcnt vmcnt(0)
	v_add_f64 v[79:80], v[79:80], -v[99:100]
	buffer_store_dword v77, off, s[20:23], 0 ; 4-byte Folded Spill
	s_nop 0
	buffer_store_dword v78, off, s[20:23], 0 offset:4 ; 4-byte Folded Spill
	buffer_store_dword v79, off, s[20:23], 0 offset:8 ; 4-byte Folded Spill
	;; [unrolled: 1-line block ×3, first 2 shown]
	ds_read2_b64 v[99:102], v125 offset0:42 offset1:43
	s_waitcnt lgkmcnt(0)
	v_mul_f64 v[103:104], v[101:102], v[105:106]
	v_fma_f64 v[103:104], v[99:100], v[97:98], -v[103:104]
	v_mul_f64 v[99:100], v[99:100], v[105:106]
	v_add_f64 v[73:74], v[73:74], -v[103:104]
	v_fma_f64 v[99:100], v[101:102], v[97:98], v[99:100]
	v_add_f64 v[75:76], v[75:76], -v[99:100]
	ds_read2_b64 v[99:102], v125 offset0:44 offset1:45
	s_waitcnt lgkmcnt(0)
	v_mul_f64 v[103:104], v[101:102], v[105:106]
	v_fma_f64 v[103:104], v[99:100], v[97:98], -v[103:104]
	v_mul_f64 v[99:100], v[99:100], v[105:106]
	v_add_f64 v[69:70], v[69:70], -v[103:104]
	v_fma_f64 v[99:100], v[101:102], v[97:98], v[99:100]
	v_add_f64 v[71:72], v[71:72], -v[99:100]
	;; [unrolled: 8-line block ×19, first 2 shown]
	ds_read2_b64 v[99:102], v125 offset0:80 offset1:81
	buffer_load_dword v77, off, s[20:23], 0 offset:16 ; 4-byte Folded Reload
	buffer_load_dword v78, off, s[20:23], 0 offset:20 ; 4-byte Folded Reload
	;; [unrolled: 1-line block ×4, first 2 shown]
	s_waitcnt lgkmcnt(0)
	v_mul_f64 v[103:104], v[101:102], v[105:106]
	v_fma_f64 v[103:104], v[99:100], v[97:98], -v[103:104]
	v_mul_f64 v[99:100], v[99:100], v[105:106]
	v_fma_f64 v[99:100], v[101:102], v[97:98], v[99:100]
	s_waitcnt vmcnt(2)
	v_add_f64 v[77:78], v[77:78], -v[103:104]
	v_mov_b32_e32 v104, v98
	s_waitcnt vmcnt(0)
	v_add_f64 v[79:80], v[79:80], -v[99:100]
	v_mov_b32_e32 v103, v97
	buffer_store_dword v77, off, s[20:23], 0 offset:16 ; 4-byte Folded Spill
	s_nop 0
	buffer_store_dword v78, off, s[20:23], 0 offset:20 ; 4-byte Folded Spill
	buffer_store_dword v79, off, s[20:23], 0 offset:24 ; 4-byte Folded Spill
	;; [unrolled: 1-line block ×4, first 2 shown]
	s_nop 0
	buffer_store_dword v104, off, s[20:23], 0 offset:244 ; 4-byte Folded Spill
	buffer_store_dword v105, off, s[20:23], 0 offset:248 ; 4-byte Folded Spill
	;; [unrolled: 1-line block ×3, first 2 shown]
.LBB81_10:
	s_or_b64 exec, exec, s[4:5]
	v_cmp_eq_u32_e32 vcc, 1, v0
	s_waitcnt vmcnt(0)
	s_barrier
	s_and_saveexec_b64 s[4:5], vcc
	s_cbranch_execz .LBB81_17
; %bb.11:
	buffer_load_dword v77, off, s[20:23], 0 offset:224 ; 4-byte Folded Reload
	buffer_load_dword v78, off, s[20:23], 0 offset:228 ; 4-byte Folded Reload
	;; [unrolled: 1-line block ×4, first 2 shown]
	s_waitcnt vmcnt(0)
	ds_write2_b64 v127, v[77:78], v[79:80] offset1:1
	buffer_load_dword v77, off, s[20:23], 0 offset:208 ; 4-byte Folded Reload
	buffer_load_dword v78, off, s[20:23], 0 offset:212 ; 4-byte Folded Reload
	buffer_load_dword v79, off, s[20:23], 0 offset:216 ; 4-byte Folded Reload
	buffer_load_dword v80, off, s[20:23], 0 offset:220 ; 4-byte Folded Reload
	s_waitcnt vmcnt(0)
	ds_write2_b64 v125, v[77:78], v[79:80] offset0:4 offset1:5
	buffer_load_dword v77, off, s[20:23], 0 offset:192 ; 4-byte Folded Reload
	buffer_load_dword v78, off, s[20:23], 0 offset:196 ; 4-byte Folded Reload
	buffer_load_dword v79, off, s[20:23], 0 offset:200 ; 4-byte Folded Reload
	buffer_load_dword v80, off, s[20:23], 0 offset:204 ; 4-byte Folded Reload
	s_waitcnt vmcnt(0)
	ds_write2_b64 v125, v[77:78], v[79:80] offset0:6 offset1:7
	buffer_load_dword v77, off, s[20:23], 0 offset:176 ; 4-byte Folded Reload
	buffer_load_dword v78, off, s[20:23], 0 offset:180 ; 4-byte Folded Reload
	buffer_load_dword v79, off, s[20:23], 0 offset:184 ; 4-byte Folded Reload
	buffer_load_dword v80, off, s[20:23], 0 offset:188 ; 4-byte Folded Reload
	s_waitcnt vmcnt(0)
	ds_write2_b64 v125, v[77:78], v[79:80] offset0:8 offset1:9
	buffer_load_dword v77, off, s[20:23], 0 offset:160 ; 4-byte Folded Reload
	buffer_load_dword v78, off, s[20:23], 0 offset:164 ; 4-byte Folded Reload
	buffer_load_dword v79, off, s[20:23], 0 offset:168 ; 4-byte Folded Reload
	buffer_load_dword v80, off, s[20:23], 0 offset:172 ; 4-byte Folded Reload
	s_waitcnt vmcnt(0)
	ds_write2_b64 v125, v[77:78], v[79:80] offset0:10 offset1:11
	buffer_load_dword v77, off, s[20:23], 0 offset:144 ; 4-byte Folded Reload
	buffer_load_dword v78, off, s[20:23], 0 offset:148 ; 4-byte Folded Reload
	buffer_load_dword v79, off, s[20:23], 0 offset:152 ; 4-byte Folded Reload
	buffer_load_dword v80, off, s[20:23], 0 offset:156 ; 4-byte Folded Reload
	s_waitcnt vmcnt(0)
	ds_write2_b64 v125, v[77:78], v[79:80] offset0:12 offset1:13
	buffer_load_dword v77, off, s[20:23], 0 offset:128 ; 4-byte Folded Reload
	buffer_load_dword v78, off, s[20:23], 0 offset:132 ; 4-byte Folded Reload
	buffer_load_dword v79, off, s[20:23], 0 offset:136 ; 4-byte Folded Reload
	buffer_load_dword v80, off, s[20:23], 0 offset:140 ; 4-byte Folded Reload
	s_waitcnt vmcnt(0)
	ds_write2_b64 v125, v[77:78], v[79:80] offset0:14 offset1:15
	buffer_load_dword v77, off, s[20:23], 0 offset:112 ; 4-byte Folded Reload
	buffer_load_dword v78, off, s[20:23], 0 offset:116 ; 4-byte Folded Reload
	buffer_load_dword v79, off, s[20:23], 0 offset:120 ; 4-byte Folded Reload
	buffer_load_dword v80, off, s[20:23], 0 offset:124 ; 4-byte Folded Reload
	s_waitcnt vmcnt(0)
	ds_write2_b64 v125, v[77:78], v[79:80] offset0:16 offset1:17
	buffer_load_dword v77, off, s[20:23], 0 offset:96 ; 4-byte Folded Reload
	buffer_load_dword v78, off, s[20:23], 0 offset:100 ; 4-byte Folded Reload
	buffer_load_dword v79, off, s[20:23], 0 offset:104 ; 4-byte Folded Reload
	buffer_load_dword v80, off, s[20:23], 0 offset:108 ; 4-byte Folded Reload
	s_waitcnt vmcnt(0)
	ds_write2_b64 v125, v[77:78], v[79:80] offset0:18 offset1:19
	buffer_load_dword v77, off, s[20:23], 0 offset:80 ; 4-byte Folded Reload
	buffer_load_dword v78, off, s[20:23], 0 offset:84 ; 4-byte Folded Reload
	buffer_load_dword v79, off, s[20:23], 0 offset:88 ; 4-byte Folded Reload
	buffer_load_dword v80, off, s[20:23], 0 offset:92 ; 4-byte Folded Reload
	s_waitcnt vmcnt(0)
	ds_write2_b64 v125, v[77:78], v[79:80] offset0:20 offset1:21
	buffer_load_dword v77, off, s[20:23], 0 offset:64 ; 4-byte Folded Reload
	buffer_load_dword v78, off, s[20:23], 0 offset:68 ; 4-byte Folded Reload
	buffer_load_dword v79, off, s[20:23], 0 offset:72 ; 4-byte Folded Reload
	buffer_load_dword v80, off, s[20:23], 0 offset:76 ; 4-byte Folded Reload
	s_waitcnt vmcnt(0)
	ds_write2_b64 v125, v[77:78], v[79:80] offset0:22 offset1:23
	buffer_load_dword v77, off, s[20:23], 0 offset:48 ; 4-byte Folded Reload
	buffer_load_dword v78, off, s[20:23], 0 offset:52 ; 4-byte Folded Reload
	buffer_load_dword v79, off, s[20:23], 0 offset:56 ; 4-byte Folded Reload
	buffer_load_dword v80, off, s[20:23], 0 offset:60 ; 4-byte Folded Reload
	s_waitcnt vmcnt(0)
	ds_write2_b64 v125, v[77:78], v[79:80] offset0:24 offset1:25
	ds_write2_b64 v125, v[85:86], v[87:88] offset0:26 offset1:27
	ds_write2_b64 v125, v[117:118], v[119:120] offset0:28 offset1:29
	;; [unrolled: 1-line block ×5, first 2 shown]
	buffer_load_dword v81, off, s[20:23], 0 offset:32 ; 4-byte Folded Reload
	buffer_load_dword v82, off, s[20:23], 0 offset:36 ; 4-byte Folded Reload
	;; [unrolled: 1-line block ×4, first 2 shown]
	s_waitcnt vmcnt(0)
	ds_write2_b64 v125, v[81:82], v[83:84] offset0:36 offset1:37
	ds_write2_b64 v125, v[93:94], v[95:96] offset0:38 offset1:39
	buffer_load_dword v77, off, s[20:23], 0 ; 4-byte Folded Reload
	buffer_load_dword v78, off, s[20:23], 0 offset:4 ; 4-byte Folded Reload
	buffer_load_dword v79, off, s[20:23], 0 offset:8 ; 4-byte Folded Reload
	;; [unrolled: 1-line block ×3, first 2 shown]
	s_waitcnt vmcnt(0)
	ds_write2_b64 v125, v[77:78], v[79:80] offset0:40 offset1:41
	ds_write2_b64 v125, v[73:74], v[75:76] offset0:42 offset1:43
	;; [unrolled: 1-line block ×20, first 2 shown]
	buffer_load_dword v77, off, s[20:23], 0 offset:16 ; 4-byte Folded Reload
	buffer_load_dword v78, off, s[20:23], 0 offset:20 ; 4-byte Folded Reload
	;; [unrolled: 1-line block ×4, first 2 shown]
	s_waitcnt vmcnt(0)
	ds_write2_b64 v125, v[77:78], v[79:80] offset0:80 offset1:81
	ds_read2_b64 v[97:100], v127 offset1:1
	s_waitcnt lgkmcnt(0)
	v_cmp_neq_f64_e32 vcc, 0, v[97:98]
	v_cmp_neq_f64_e64 s[2:3], 0, v[99:100]
	s_or_b64 s[2:3], vcc, s[2:3]
	s_and_b64 exec, exec, s[2:3]
	s_cbranch_execz .LBB81_17
; %bb.12:
	v_cmp_ngt_f64_e64 s[2:3], |v[97:98]|, |v[99:100]|
                                        ; implicit-def: $vgpr101_vgpr102
	s_and_saveexec_b64 s[6:7], s[2:3]
	s_xor_b64 s[2:3], exec, s[6:7]
                                        ; implicit-def: $vgpr103_vgpr104
	s_cbranch_execz .LBB81_14
; %bb.13:
	v_div_scale_f64 v[101:102], s[6:7], v[99:100], v[99:100], v[97:98]
	v_rcp_f64_e32 v[103:104], v[101:102]
	v_fma_f64 v[105:106], -v[101:102], v[103:104], 1.0
	v_fma_f64 v[103:104], v[103:104], v[105:106], v[103:104]
	v_div_scale_f64 v[105:106], vcc, v[97:98], v[99:100], v[97:98]
	v_fma_f64 v[107:108], -v[101:102], v[103:104], 1.0
	v_fma_f64 v[103:104], v[103:104], v[107:108], v[103:104]
	v_mul_f64 v[107:108], v[105:106], v[103:104]
	v_fma_f64 v[101:102], -v[101:102], v[107:108], v[105:106]
	v_div_fmas_f64 v[101:102], v[101:102], v[103:104], v[107:108]
	v_div_fixup_f64 v[101:102], v[101:102], v[99:100], v[97:98]
	v_fma_f64 v[97:98], v[97:98], v[101:102], v[99:100]
	v_div_scale_f64 v[99:100], s[6:7], v[97:98], v[97:98], 1.0
	v_div_scale_f64 v[107:108], vcc, 1.0, v[97:98], 1.0
	v_rcp_f64_e32 v[103:104], v[99:100]
	v_fma_f64 v[105:106], -v[99:100], v[103:104], 1.0
	v_fma_f64 v[103:104], v[103:104], v[105:106], v[103:104]
	v_fma_f64 v[105:106], -v[99:100], v[103:104], 1.0
	v_fma_f64 v[103:104], v[103:104], v[105:106], v[103:104]
	v_mul_f64 v[105:106], v[107:108], v[103:104]
	v_fma_f64 v[99:100], -v[99:100], v[105:106], v[107:108]
	v_div_fmas_f64 v[99:100], v[99:100], v[103:104], v[105:106]
	v_div_fixup_f64 v[103:104], v[99:100], v[97:98], 1.0
                                        ; implicit-def: $vgpr97_vgpr98
	v_mul_f64 v[101:102], v[101:102], v[103:104]
	v_xor_b32_e32 v104, 0x80000000, v104
.LBB81_14:
	s_andn2_saveexec_b64 s[2:3], s[2:3]
	s_cbranch_execz .LBB81_16
; %bb.15:
	v_div_scale_f64 v[101:102], s[6:7], v[97:98], v[97:98], v[99:100]
	v_rcp_f64_e32 v[103:104], v[101:102]
	v_fma_f64 v[105:106], -v[101:102], v[103:104], 1.0
	v_fma_f64 v[103:104], v[103:104], v[105:106], v[103:104]
	v_div_scale_f64 v[105:106], vcc, v[99:100], v[97:98], v[99:100]
	v_fma_f64 v[107:108], -v[101:102], v[103:104], 1.0
	v_fma_f64 v[103:104], v[103:104], v[107:108], v[103:104]
	v_mul_f64 v[107:108], v[105:106], v[103:104]
	v_fma_f64 v[101:102], -v[101:102], v[107:108], v[105:106]
	v_div_fmas_f64 v[101:102], v[101:102], v[103:104], v[107:108]
	v_div_fixup_f64 v[103:104], v[101:102], v[97:98], v[99:100]
	v_fma_f64 v[97:98], v[99:100], v[103:104], v[97:98]
	v_div_scale_f64 v[99:100], s[6:7], v[97:98], v[97:98], 1.0
	v_div_scale_f64 v[107:108], vcc, 1.0, v[97:98], 1.0
	v_rcp_f64_e32 v[101:102], v[99:100]
	v_fma_f64 v[105:106], -v[99:100], v[101:102], 1.0
	v_fma_f64 v[101:102], v[101:102], v[105:106], v[101:102]
	v_fma_f64 v[105:106], -v[99:100], v[101:102], 1.0
	v_fma_f64 v[101:102], v[101:102], v[105:106], v[101:102]
	v_mul_f64 v[105:106], v[107:108], v[101:102]
	v_fma_f64 v[99:100], -v[99:100], v[105:106], v[107:108]
	v_div_fmas_f64 v[99:100], v[99:100], v[101:102], v[105:106]
	v_div_fixup_f64 v[101:102], v[99:100], v[97:98], 1.0
	v_mul_f64 v[103:104], v[103:104], -v[101:102]
.LBB81_16:
	s_or_b64 exec, exec, s[2:3]
	ds_write2_b64 v127, v[101:102], v[103:104] offset1:1
.LBB81_17:
	s_or_b64 exec, exec, s[4:5]
	s_waitcnt lgkmcnt(0)
	s_barrier
	ds_read2_b64 v[77:80], v127 offset1:1
	v_cmp_lt_u32_e32 vcc, 1, v0
	s_waitcnt lgkmcnt(0)
	buffer_store_dword v77, off, s[20:23], 0 offset:752 ; 4-byte Folded Spill
	s_nop 0
	buffer_store_dword v78, off, s[20:23], 0 offset:756 ; 4-byte Folded Spill
	buffer_store_dword v79, off, s[20:23], 0 offset:760 ; 4-byte Folded Spill
	;; [unrolled: 1-line block ×3, first 2 shown]
	s_and_saveexec_b64 s[2:3], vcc
	s_cbranch_execz .LBB81_19
; %bb.18:
	buffer_load_dword v103, off, s[20:23], 0 offset:224 ; 4-byte Folded Reload
	buffer_load_dword v104, off, s[20:23], 0 offset:228 ; 4-byte Folded Reload
	;; [unrolled: 1-line block ×8, first 2 shown]
	s_waitcnt vmcnt(2)
	v_mul_f64 v[99:100], v[77:78], v[105:106]
	s_waitcnt vmcnt(0)
	v_mul_f64 v[97:98], v[79:80], v[105:106]
	v_fma_f64 v[105:106], v[79:80], v[103:104], v[99:100]
	ds_read2_b64 v[99:102], v125 offset0:4 offset1:5
	v_fma_f64 v[97:98], v[77:78], v[103:104], -v[97:98]
	buffer_load_dword v77, off, s[20:23], 0 offset:208 ; 4-byte Folded Reload
	buffer_load_dword v78, off, s[20:23], 0 offset:212 ; 4-byte Folded Reload
	buffer_load_dword v79, off, s[20:23], 0 offset:216 ; 4-byte Folded Reload
	buffer_load_dword v80, off, s[20:23], 0 offset:220 ; 4-byte Folded Reload
	s_waitcnt lgkmcnt(0)
	v_mul_f64 v[103:104], v[101:102], v[105:106]
	v_fma_f64 v[103:104], v[99:100], v[97:98], -v[103:104]
	v_mul_f64 v[99:100], v[99:100], v[105:106]
	v_fma_f64 v[99:100], v[101:102], v[97:98], v[99:100]
	s_waitcnt vmcnt(2)
	v_add_f64 v[77:78], v[77:78], -v[103:104]
	s_waitcnt vmcnt(0)
	v_add_f64 v[79:80], v[79:80], -v[99:100]
	buffer_store_dword v77, off, s[20:23], 0 offset:208 ; 4-byte Folded Spill
	s_nop 0
	buffer_store_dword v78, off, s[20:23], 0 offset:212 ; 4-byte Folded Spill
	buffer_store_dword v79, off, s[20:23], 0 offset:216 ; 4-byte Folded Spill
	buffer_store_dword v80, off, s[20:23], 0 offset:220 ; 4-byte Folded Spill
	ds_read2_b64 v[99:102], v125 offset0:6 offset1:7
	buffer_load_dword v77, off, s[20:23], 0 offset:192 ; 4-byte Folded Reload
	buffer_load_dword v78, off, s[20:23], 0 offset:196 ; 4-byte Folded Reload
	buffer_load_dword v79, off, s[20:23], 0 offset:200 ; 4-byte Folded Reload
	buffer_load_dword v80, off, s[20:23], 0 offset:204 ; 4-byte Folded Reload
	s_waitcnt lgkmcnt(0)
	v_mul_f64 v[103:104], v[101:102], v[105:106]
	v_fma_f64 v[103:104], v[99:100], v[97:98], -v[103:104]
	v_mul_f64 v[99:100], v[99:100], v[105:106]
	v_fma_f64 v[99:100], v[101:102], v[97:98], v[99:100]
	s_waitcnt vmcnt(2)
	v_add_f64 v[77:78], v[77:78], -v[103:104]
	s_waitcnt vmcnt(0)
	v_add_f64 v[79:80], v[79:80], -v[99:100]
	buffer_store_dword v77, off, s[20:23], 0 offset:192 ; 4-byte Folded Spill
	s_nop 0
	buffer_store_dword v78, off, s[20:23], 0 offset:196 ; 4-byte Folded Spill
	buffer_store_dword v79, off, s[20:23], 0 offset:200 ; 4-byte Folded Spill
	buffer_store_dword v80, off, s[20:23], 0 offset:204 ; 4-byte Folded Spill
	ds_read2_b64 v[99:102], v125 offset0:8 offset1:9
	;; [unrolled: 19-line block ×11, first 2 shown]
	s_waitcnt lgkmcnt(0)
	v_mul_f64 v[103:104], v[101:102], v[105:106]
	v_fma_f64 v[103:104], v[99:100], v[97:98], -v[103:104]
	v_mul_f64 v[99:100], v[99:100], v[105:106]
	v_add_f64 v[85:86], v[85:86], -v[103:104]
	v_fma_f64 v[99:100], v[101:102], v[97:98], v[99:100]
	v_add_f64 v[87:88], v[87:88], -v[99:100]
	ds_read2_b64 v[99:102], v125 offset0:28 offset1:29
	s_waitcnt lgkmcnt(0)
	v_mul_f64 v[103:104], v[101:102], v[105:106]
	v_fma_f64 v[103:104], v[99:100], v[97:98], -v[103:104]
	v_mul_f64 v[99:100], v[99:100], v[105:106]
	v_add_f64 v[117:118], v[117:118], -v[103:104]
	v_fma_f64 v[99:100], v[101:102], v[97:98], v[99:100]
	v_add_f64 v[119:120], v[119:120], -v[99:100]
	ds_read2_b64 v[99:102], v125 offset0:30 offset1:31
	;; [unrolled: 8-line block ×5, first 2 shown]
	buffer_load_dword v81, off, s[20:23], 0 offset:32 ; 4-byte Folded Reload
	buffer_load_dword v82, off, s[20:23], 0 offset:36 ; 4-byte Folded Reload
	;; [unrolled: 1-line block ×4, first 2 shown]
	s_waitcnt lgkmcnt(0)
	v_mul_f64 v[103:104], v[101:102], v[105:106]
	v_fma_f64 v[103:104], v[99:100], v[97:98], -v[103:104]
	v_mul_f64 v[99:100], v[99:100], v[105:106]
	v_fma_f64 v[99:100], v[101:102], v[97:98], v[99:100]
	s_waitcnt vmcnt(2)
	v_add_f64 v[81:82], v[81:82], -v[103:104]
	s_waitcnt vmcnt(0)
	v_add_f64 v[83:84], v[83:84], -v[99:100]
	buffer_store_dword v81, off, s[20:23], 0 offset:32 ; 4-byte Folded Spill
	s_nop 0
	buffer_store_dword v82, off, s[20:23], 0 offset:36 ; 4-byte Folded Spill
	buffer_store_dword v83, off, s[20:23], 0 offset:40 ; 4-byte Folded Spill
	;; [unrolled: 1-line block ×3, first 2 shown]
	ds_read2_b64 v[99:102], v125 offset0:38 offset1:39
	s_waitcnt lgkmcnt(0)
	v_mul_f64 v[103:104], v[101:102], v[105:106]
	v_fma_f64 v[103:104], v[99:100], v[97:98], -v[103:104]
	v_mul_f64 v[99:100], v[99:100], v[105:106]
	v_add_f64 v[93:94], v[93:94], -v[103:104]
	v_fma_f64 v[99:100], v[101:102], v[97:98], v[99:100]
	v_add_f64 v[95:96], v[95:96], -v[99:100]
	ds_read2_b64 v[99:102], v125 offset0:40 offset1:41
	buffer_load_dword v77, off, s[20:23], 0 ; 4-byte Folded Reload
	buffer_load_dword v78, off, s[20:23], 0 offset:4 ; 4-byte Folded Reload
	buffer_load_dword v79, off, s[20:23], 0 offset:8 ; 4-byte Folded Reload
	buffer_load_dword v80, off, s[20:23], 0 offset:12 ; 4-byte Folded Reload
	s_waitcnt lgkmcnt(0)
	v_mul_f64 v[103:104], v[101:102], v[105:106]
	v_fma_f64 v[103:104], v[99:100], v[97:98], -v[103:104]
	v_mul_f64 v[99:100], v[99:100], v[105:106]
	v_fma_f64 v[99:100], v[101:102], v[97:98], v[99:100]
	s_waitcnt vmcnt(2)
	v_add_f64 v[77:78], v[77:78], -v[103:104]
	s_waitcnt vmcnt(0)
	v_add_f64 v[79:80], v[79:80], -v[99:100]
	buffer_store_dword v77, off, s[20:23], 0 ; 4-byte Folded Spill
	s_nop 0
	buffer_store_dword v78, off, s[20:23], 0 offset:4 ; 4-byte Folded Spill
	buffer_store_dword v79, off, s[20:23], 0 offset:8 ; 4-byte Folded Spill
	;; [unrolled: 1-line block ×3, first 2 shown]
	ds_read2_b64 v[99:102], v125 offset0:42 offset1:43
	s_waitcnt lgkmcnt(0)
	v_mul_f64 v[103:104], v[101:102], v[105:106]
	v_fma_f64 v[103:104], v[99:100], v[97:98], -v[103:104]
	v_mul_f64 v[99:100], v[99:100], v[105:106]
	v_add_f64 v[73:74], v[73:74], -v[103:104]
	v_fma_f64 v[99:100], v[101:102], v[97:98], v[99:100]
	v_add_f64 v[75:76], v[75:76], -v[99:100]
	ds_read2_b64 v[99:102], v125 offset0:44 offset1:45
	s_waitcnt lgkmcnt(0)
	v_mul_f64 v[103:104], v[101:102], v[105:106]
	v_fma_f64 v[103:104], v[99:100], v[97:98], -v[103:104]
	v_mul_f64 v[99:100], v[99:100], v[105:106]
	v_add_f64 v[69:70], v[69:70], -v[103:104]
	v_fma_f64 v[99:100], v[101:102], v[97:98], v[99:100]
	v_add_f64 v[71:72], v[71:72], -v[99:100]
	;; [unrolled: 8-line block ×19, first 2 shown]
	ds_read2_b64 v[99:102], v125 offset0:80 offset1:81
	buffer_load_dword v77, off, s[20:23], 0 offset:16 ; 4-byte Folded Reload
	buffer_load_dword v78, off, s[20:23], 0 offset:20 ; 4-byte Folded Reload
	;; [unrolled: 1-line block ×4, first 2 shown]
	s_waitcnt lgkmcnt(0)
	v_mul_f64 v[103:104], v[101:102], v[105:106]
	v_fma_f64 v[103:104], v[99:100], v[97:98], -v[103:104]
	v_mul_f64 v[99:100], v[99:100], v[105:106]
	v_fma_f64 v[99:100], v[101:102], v[97:98], v[99:100]
	s_waitcnt vmcnt(2)
	v_add_f64 v[77:78], v[77:78], -v[103:104]
	v_mov_b32_e32 v104, v98
	s_waitcnt vmcnt(0)
	v_add_f64 v[79:80], v[79:80], -v[99:100]
	v_mov_b32_e32 v103, v97
	buffer_store_dword v77, off, s[20:23], 0 offset:16 ; 4-byte Folded Spill
	s_nop 0
	buffer_store_dword v78, off, s[20:23], 0 offset:20 ; 4-byte Folded Spill
	buffer_store_dword v79, off, s[20:23], 0 offset:24 ; 4-byte Folded Spill
	;; [unrolled: 1-line block ×4, first 2 shown]
	s_nop 0
	buffer_store_dword v104, off, s[20:23], 0 offset:228 ; 4-byte Folded Spill
	buffer_store_dword v105, off, s[20:23], 0 offset:232 ; 4-byte Folded Spill
	;; [unrolled: 1-line block ×3, first 2 shown]
.LBB81_19:
	s_or_b64 exec, exec, s[2:3]
	v_cmp_eq_u32_e32 vcc, 2, v0
	s_waitcnt vmcnt(0)
	s_barrier
	s_and_saveexec_b64 s[4:5], vcc
	s_cbranch_execz .LBB81_26
; %bb.20:
	buffer_load_dword v77, off, s[20:23], 0 offset:208 ; 4-byte Folded Reload
	buffer_load_dword v78, off, s[20:23], 0 offset:212 ; 4-byte Folded Reload
	;; [unrolled: 1-line block ×4, first 2 shown]
	s_waitcnt vmcnt(0)
	ds_write2_b64 v127, v[77:78], v[79:80] offset1:1
	buffer_load_dword v77, off, s[20:23], 0 offset:192 ; 4-byte Folded Reload
	buffer_load_dword v78, off, s[20:23], 0 offset:196 ; 4-byte Folded Reload
	buffer_load_dword v79, off, s[20:23], 0 offset:200 ; 4-byte Folded Reload
	buffer_load_dword v80, off, s[20:23], 0 offset:204 ; 4-byte Folded Reload
	s_waitcnt vmcnt(0)
	ds_write2_b64 v125, v[77:78], v[79:80] offset0:6 offset1:7
	buffer_load_dword v77, off, s[20:23], 0 offset:176 ; 4-byte Folded Reload
	buffer_load_dword v78, off, s[20:23], 0 offset:180 ; 4-byte Folded Reload
	buffer_load_dword v79, off, s[20:23], 0 offset:184 ; 4-byte Folded Reload
	buffer_load_dword v80, off, s[20:23], 0 offset:188 ; 4-byte Folded Reload
	s_waitcnt vmcnt(0)
	ds_write2_b64 v125, v[77:78], v[79:80] offset0:8 offset1:9
	;; [unrolled: 6-line block ×10, first 2 shown]
	ds_write2_b64 v125, v[85:86], v[87:88] offset0:26 offset1:27
	ds_write2_b64 v125, v[117:118], v[119:120] offset0:28 offset1:29
	ds_write2_b64 v125, v[121:122], v[123:124] offset0:30 offset1:31
	ds_write2_b64 v125, v[109:110], v[111:112] offset0:32 offset1:33
	ds_write2_b64 v125, v[113:114], v[115:116] offset0:34 offset1:35
	buffer_load_dword v81, off, s[20:23], 0 offset:32 ; 4-byte Folded Reload
	buffer_load_dword v82, off, s[20:23], 0 offset:36 ; 4-byte Folded Reload
	;; [unrolled: 1-line block ×4, first 2 shown]
	s_waitcnt vmcnt(0)
	ds_write2_b64 v125, v[81:82], v[83:84] offset0:36 offset1:37
	ds_write2_b64 v125, v[93:94], v[95:96] offset0:38 offset1:39
	buffer_load_dword v77, off, s[20:23], 0 ; 4-byte Folded Reload
	buffer_load_dword v78, off, s[20:23], 0 offset:4 ; 4-byte Folded Reload
	buffer_load_dword v79, off, s[20:23], 0 offset:8 ; 4-byte Folded Reload
	;; [unrolled: 1-line block ×3, first 2 shown]
	s_waitcnt vmcnt(0)
	ds_write2_b64 v125, v[77:78], v[79:80] offset0:40 offset1:41
	ds_write2_b64 v125, v[73:74], v[75:76] offset0:42 offset1:43
	;; [unrolled: 1-line block ×20, first 2 shown]
	buffer_load_dword v77, off, s[20:23], 0 offset:16 ; 4-byte Folded Reload
	buffer_load_dword v78, off, s[20:23], 0 offset:20 ; 4-byte Folded Reload
	;; [unrolled: 1-line block ×4, first 2 shown]
	s_waitcnt vmcnt(0)
	ds_write2_b64 v125, v[77:78], v[79:80] offset0:80 offset1:81
	ds_read2_b64 v[97:100], v127 offset1:1
	s_waitcnt lgkmcnt(0)
	v_cmp_neq_f64_e32 vcc, 0, v[97:98]
	v_cmp_neq_f64_e64 s[2:3], 0, v[99:100]
	s_or_b64 s[2:3], vcc, s[2:3]
	s_and_b64 exec, exec, s[2:3]
	s_cbranch_execz .LBB81_26
; %bb.21:
	v_cmp_ngt_f64_e64 s[2:3], |v[97:98]|, |v[99:100]|
                                        ; implicit-def: $vgpr101_vgpr102
	s_and_saveexec_b64 s[6:7], s[2:3]
	s_xor_b64 s[2:3], exec, s[6:7]
                                        ; implicit-def: $vgpr103_vgpr104
	s_cbranch_execz .LBB81_23
; %bb.22:
	v_div_scale_f64 v[101:102], s[6:7], v[99:100], v[99:100], v[97:98]
	v_rcp_f64_e32 v[103:104], v[101:102]
	v_fma_f64 v[105:106], -v[101:102], v[103:104], 1.0
	v_fma_f64 v[103:104], v[103:104], v[105:106], v[103:104]
	v_div_scale_f64 v[105:106], vcc, v[97:98], v[99:100], v[97:98]
	v_fma_f64 v[107:108], -v[101:102], v[103:104], 1.0
	v_fma_f64 v[103:104], v[103:104], v[107:108], v[103:104]
	v_mul_f64 v[107:108], v[105:106], v[103:104]
	v_fma_f64 v[101:102], -v[101:102], v[107:108], v[105:106]
	v_div_fmas_f64 v[101:102], v[101:102], v[103:104], v[107:108]
	v_div_fixup_f64 v[101:102], v[101:102], v[99:100], v[97:98]
	v_fma_f64 v[97:98], v[97:98], v[101:102], v[99:100]
	v_div_scale_f64 v[99:100], s[6:7], v[97:98], v[97:98], 1.0
	v_div_scale_f64 v[107:108], vcc, 1.0, v[97:98], 1.0
	v_rcp_f64_e32 v[103:104], v[99:100]
	v_fma_f64 v[105:106], -v[99:100], v[103:104], 1.0
	v_fma_f64 v[103:104], v[103:104], v[105:106], v[103:104]
	v_fma_f64 v[105:106], -v[99:100], v[103:104], 1.0
	v_fma_f64 v[103:104], v[103:104], v[105:106], v[103:104]
	v_mul_f64 v[105:106], v[107:108], v[103:104]
	v_fma_f64 v[99:100], -v[99:100], v[105:106], v[107:108]
	v_div_fmas_f64 v[99:100], v[99:100], v[103:104], v[105:106]
	v_div_fixup_f64 v[103:104], v[99:100], v[97:98], 1.0
                                        ; implicit-def: $vgpr97_vgpr98
	v_mul_f64 v[101:102], v[101:102], v[103:104]
	v_xor_b32_e32 v104, 0x80000000, v104
.LBB81_23:
	s_andn2_saveexec_b64 s[2:3], s[2:3]
	s_cbranch_execz .LBB81_25
; %bb.24:
	v_div_scale_f64 v[101:102], s[6:7], v[97:98], v[97:98], v[99:100]
	v_rcp_f64_e32 v[103:104], v[101:102]
	v_fma_f64 v[105:106], -v[101:102], v[103:104], 1.0
	v_fma_f64 v[103:104], v[103:104], v[105:106], v[103:104]
	v_div_scale_f64 v[105:106], vcc, v[99:100], v[97:98], v[99:100]
	v_fma_f64 v[107:108], -v[101:102], v[103:104], 1.0
	v_fma_f64 v[103:104], v[103:104], v[107:108], v[103:104]
	v_mul_f64 v[107:108], v[105:106], v[103:104]
	v_fma_f64 v[101:102], -v[101:102], v[107:108], v[105:106]
	v_div_fmas_f64 v[101:102], v[101:102], v[103:104], v[107:108]
	v_div_fixup_f64 v[103:104], v[101:102], v[97:98], v[99:100]
	v_fma_f64 v[97:98], v[99:100], v[103:104], v[97:98]
	v_div_scale_f64 v[99:100], s[6:7], v[97:98], v[97:98], 1.0
	v_div_scale_f64 v[107:108], vcc, 1.0, v[97:98], 1.0
	v_rcp_f64_e32 v[101:102], v[99:100]
	v_fma_f64 v[105:106], -v[99:100], v[101:102], 1.0
	v_fma_f64 v[101:102], v[101:102], v[105:106], v[101:102]
	v_fma_f64 v[105:106], -v[99:100], v[101:102], 1.0
	v_fma_f64 v[101:102], v[101:102], v[105:106], v[101:102]
	v_mul_f64 v[105:106], v[107:108], v[101:102]
	v_fma_f64 v[99:100], -v[99:100], v[105:106], v[107:108]
	v_div_fmas_f64 v[99:100], v[99:100], v[101:102], v[105:106]
	v_div_fixup_f64 v[101:102], v[99:100], v[97:98], 1.0
	v_mul_f64 v[103:104], v[103:104], -v[101:102]
.LBB81_25:
	s_or_b64 exec, exec, s[2:3]
	ds_write2_b64 v127, v[101:102], v[103:104] offset1:1
.LBB81_26:
	s_or_b64 exec, exec, s[4:5]
	s_waitcnt lgkmcnt(0)
	s_barrier
	ds_read2_b64 v[77:80], v127 offset1:1
	v_cmp_lt_u32_e32 vcc, 2, v0
	s_waitcnt lgkmcnt(0)
	buffer_store_dword v77, off, s[20:23], 0 offset:768 ; 4-byte Folded Spill
	s_nop 0
	buffer_store_dword v78, off, s[20:23], 0 offset:772 ; 4-byte Folded Spill
	buffer_store_dword v79, off, s[20:23], 0 offset:776 ; 4-byte Folded Spill
	buffer_store_dword v80, off, s[20:23], 0 offset:780 ; 4-byte Folded Spill
	s_and_saveexec_b64 s[2:3], vcc
	s_cbranch_execz .LBB81_28
; %bb.27:
	buffer_load_dword v103, off, s[20:23], 0 offset:208 ; 4-byte Folded Reload
	buffer_load_dword v104, off, s[20:23], 0 offset:212 ; 4-byte Folded Reload
	;; [unrolled: 1-line block ×8, first 2 shown]
	s_waitcnt vmcnt(2)
	v_mul_f64 v[99:100], v[77:78], v[105:106]
	s_waitcnt vmcnt(0)
	v_mul_f64 v[97:98], v[79:80], v[105:106]
	v_fma_f64 v[105:106], v[79:80], v[103:104], v[99:100]
	ds_read2_b64 v[99:102], v125 offset0:6 offset1:7
	v_fma_f64 v[97:98], v[77:78], v[103:104], -v[97:98]
	buffer_load_dword v77, off, s[20:23], 0 offset:192 ; 4-byte Folded Reload
	buffer_load_dword v78, off, s[20:23], 0 offset:196 ; 4-byte Folded Reload
	buffer_load_dword v79, off, s[20:23], 0 offset:200 ; 4-byte Folded Reload
	buffer_load_dword v80, off, s[20:23], 0 offset:204 ; 4-byte Folded Reload
	s_waitcnt lgkmcnt(0)
	v_mul_f64 v[103:104], v[101:102], v[105:106]
	v_fma_f64 v[103:104], v[99:100], v[97:98], -v[103:104]
	v_mul_f64 v[99:100], v[99:100], v[105:106]
	v_fma_f64 v[99:100], v[101:102], v[97:98], v[99:100]
	s_waitcnt vmcnt(2)
	v_add_f64 v[77:78], v[77:78], -v[103:104]
	s_waitcnt vmcnt(0)
	v_add_f64 v[79:80], v[79:80], -v[99:100]
	buffer_store_dword v77, off, s[20:23], 0 offset:192 ; 4-byte Folded Spill
	s_nop 0
	buffer_store_dword v78, off, s[20:23], 0 offset:196 ; 4-byte Folded Spill
	buffer_store_dword v79, off, s[20:23], 0 offset:200 ; 4-byte Folded Spill
	buffer_store_dword v80, off, s[20:23], 0 offset:204 ; 4-byte Folded Spill
	ds_read2_b64 v[99:102], v125 offset0:8 offset1:9
	buffer_load_dword v77, off, s[20:23], 0 offset:176 ; 4-byte Folded Reload
	buffer_load_dword v78, off, s[20:23], 0 offset:180 ; 4-byte Folded Reload
	buffer_load_dword v79, off, s[20:23], 0 offset:184 ; 4-byte Folded Reload
	buffer_load_dword v80, off, s[20:23], 0 offset:188 ; 4-byte Folded Reload
	s_waitcnt lgkmcnt(0)
	v_mul_f64 v[103:104], v[101:102], v[105:106]
	v_fma_f64 v[103:104], v[99:100], v[97:98], -v[103:104]
	v_mul_f64 v[99:100], v[99:100], v[105:106]
	v_fma_f64 v[99:100], v[101:102], v[97:98], v[99:100]
	s_waitcnt vmcnt(2)
	v_add_f64 v[77:78], v[77:78], -v[103:104]
	s_waitcnt vmcnt(0)
	v_add_f64 v[79:80], v[79:80], -v[99:100]
	buffer_store_dword v77, off, s[20:23], 0 offset:176 ; 4-byte Folded Spill
	s_nop 0
	buffer_store_dword v78, off, s[20:23], 0 offset:180 ; 4-byte Folded Spill
	buffer_store_dword v79, off, s[20:23], 0 offset:184 ; 4-byte Folded Spill
	buffer_store_dword v80, off, s[20:23], 0 offset:188 ; 4-byte Folded Spill
	ds_read2_b64 v[99:102], v125 offset0:10 offset1:11
	;; [unrolled: 19-line block ×10, first 2 shown]
	s_waitcnt lgkmcnt(0)
	v_mul_f64 v[103:104], v[101:102], v[105:106]
	v_fma_f64 v[103:104], v[99:100], v[97:98], -v[103:104]
	v_mul_f64 v[99:100], v[99:100], v[105:106]
	v_add_f64 v[85:86], v[85:86], -v[103:104]
	v_fma_f64 v[99:100], v[101:102], v[97:98], v[99:100]
	v_add_f64 v[87:88], v[87:88], -v[99:100]
	ds_read2_b64 v[99:102], v125 offset0:28 offset1:29
	s_waitcnt lgkmcnt(0)
	v_mul_f64 v[103:104], v[101:102], v[105:106]
	v_fma_f64 v[103:104], v[99:100], v[97:98], -v[103:104]
	v_mul_f64 v[99:100], v[99:100], v[105:106]
	v_add_f64 v[117:118], v[117:118], -v[103:104]
	v_fma_f64 v[99:100], v[101:102], v[97:98], v[99:100]
	v_add_f64 v[119:120], v[119:120], -v[99:100]
	ds_read2_b64 v[99:102], v125 offset0:30 offset1:31
	;; [unrolled: 8-line block ×5, first 2 shown]
	buffer_load_dword v81, off, s[20:23], 0 offset:32 ; 4-byte Folded Reload
	buffer_load_dword v82, off, s[20:23], 0 offset:36 ; 4-byte Folded Reload
	;; [unrolled: 1-line block ×4, first 2 shown]
	s_waitcnt lgkmcnt(0)
	v_mul_f64 v[103:104], v[101:102], v[105:106]
	v_fma_f64 v[103:104], v[99:100], v[97:98], -v[103:104]
	v_mul_f64 v[99:100], v[99:100], v[105:106]
	v_fma_f64 v[99:100], v[101:102], v[97:98], v[99:100]
	s_waitcnt vmcnt(2)
	v_add_f64 v[81:82], v[81:82], -v[103:104]
	s_waitcnt vmcnt(0)
	v_add_f64 v[83:84], v[83:84], -v[99:100]
	buffer_store_dword v81, off, s[20:23], 0 offset:32 ; 4-byte Folded Spill
	s_nop 0
	buffer_store_dword v82, off, s[20:23], 0 offset:36 ; 4-byte Folded Spill
	buffer_store_dword v83, off, s[20:23], 0 offset:40 ; 4-byte Folded Spill
	;; [unrolled: 1-line block ×3, first 2 shown]
	ds_read2_b64 v[99:102], v125 offset0:38 offset1:39
	s_waitcnt lgkmcnt(0)
	v_mul_f64 v[103:104], v[101:102], v[105:106]
	v_fma_f64 v[103:104], v[99:100], v[97:98], -v[103:104]
	v_mul_f64 v[99:100], v[99:100], v[105:106]
	v_add_f64 v[93:94], v[93:94], -v[103:104]
	v_fma_f64 v[99:100], v[101:102], v[97:98], v[99:100]
	v_add_f64 v[95:96], v[95:96], -v[99:100]
	ds_read2_b64 v[99:102], v125 offset0:40 offset1:41
	buffer_load_dword v77, off, s[20:23], 0 ; 4-byte Folded Reload
	buffer_load_dword v78, off, s[20:23], 0 offset:4 ; 4-byte Folded Reload
	buffer_load_dword v79, off, s[20:23], 0 offset:8 ; 4-byte Folded Reload
	;; [unrolled: 1-line block ×3, first 2 shown]
	s_waitcnt lgkmcnt(0)
	v_mul_f64 v[103:104], v[101:102], v[105:106]
	v_fma_f64 v[103:104], v[99:100], v[97:98], -v[103:104]
	v_mul_f64 v[99:100], v[99:100], v[105:106]
	v_fma_f64 v[99:100], v[101:102], v[97:98], v[99:100]
	s_waitcnt vmcnt(2)
	v_add_f64 v[77:78], v[77:78], -v[103:104]
	s_waitcnt vmcnt(0)
	v_add_f64 v[79:80], v[79:80], -v[99:100]
	buffer_store_dword v77, off, s[20:23], 0 ; 4-byte Folded Spill
	s_nop 0
	buffer_store_dword v78, off, s[20:23], 0 offset:4 ; 4-byte Folded Spill
	buffer_store_dword v79, off, s[20:23], 0 offset:8 ; 4-byte Folded Spill
	;; [unrolled: 1-line block ×3, first 2 shown]
	ds_read2_b64 v[99:102], v125 offset0:42 offset1:43
	s_waitcnt lgkmcnt(0)
	v_mul_f64 v[103:104], v[101:102], v[105:106]
	v_fma_f64 v[103:104], v[99:100], v[97:98], -v[103:104]
	v_mul_f64 v[99:100], v[99:100], v[105:106]
	v_add_f64 v[73:74], v[73:74], -v[103:104]
	v_fma_f64 v[99:100], v[101:102], v[97:98], v[99:100]
	v_add_f64 v[75:76], v[75:76], -v[99:100]
	ds_read2_b64 v[99:102], v125 offset0:44 offset1:45
	s_waitcnt lgkmcnt(0)
	v_mul_f64 v[103:104], v[101:102], v[105:106]
	v_fma_f64 v[103:104], v[99:100], v[97:98], -v[103:104]
	v_mul_f64 v[99:100], v[99:100], v[105:106]
	v_add_f64 v[69:70], v[69:70], -v[103:104]
	v_fma_f64 v[99:100], v[101:102], v[97:98], v[99:100]
	v_add_f64 v[71:72], v[71:72], -v[99:100]
	;; [unrolled: 8-line block ×19, first 2 shown]
	ds_read2_b64 v[99:102], v125 offset0:80 offset1:81
	buffer_load_dword v77, off, s[20:23], 0 offset:16 ; 4-byte Folded Reload
	buffer_load_dword v78, off, s[20:23], 0 offset:20 ; 4-byte Folded Reload
	;; [unrolled: 1-line block ×4, first 2 shown]
	s_waitcnt lgkmcnt(0)
	v_mul_f64 v[103:104], v[101:102], v[105:106]
	v_fma_f64 v[103:104], v[99:100], v[97:98], -v[103:104]
	v_mul_f64 v[99:100], v[99:100], v[105:106]
	v_fma_f64 v[99:100], v[101:102], v[97:98], v[99:100]
	s_waitcnt vmcnt(2)
	v_add_f64 v[77:78], v[77:78], -v[103:104]
	v_mov_b32_e32 v104, v98
	s_waitcnt vmcnt(0)
	v_add_f64 v[79:80], v[79:80], -v[99:100]
	v_mov_b32_e32 v103, v97
	buffer_store_dword v77, off, s[20:23], 0 offset:16 ; 4-byte Folded Spill
	s_nop 0
	buffer_store_dword v78, off, s[20:23], 0 offset:20 ; 4-byte Folded Spill
	buffer_store_dword v79, off, s[20:23], 0 offset:24 ; 4-byte Folded Spill
	;; [unrolled: 1-line block ×4, first 2 shown]
	s_nop 0
	buffer_store_dword v104, off, s[20:23], 0 offset:212 ; 4-byte Folded Spill
	buffer_store_dword v105, off, s[20:23], 0 offset:216 ; 4-byte Folded Spill
	;; [unrolled: 1-line block ×3, first 2 shown]
.LBB81_28:
	s_or_b64 exec, exec, s[2:3]
	v_cmp_eq_u32_e32 vcc, 3, v0
	s_waitcnt vmcnt(0)
	s_barrier
	s_and_saveexec_b64 s[4:5], vcc
	s_cbranch_execz .LBB81_35
; %bb.29:
	buffer_load_dword v77, off, s[20:23], 0 offset:192 ; 4-byte Folded Reload
	buffer_load_dword v78, off, s[20:23], 0 offset:196 ; 4-byte Folded Reload
	;; [unrolled: 1-line block ×4, first 2 shown]
	s_waitcnt vmcnt(0)
	ds_write2_b64 v127, v[77:78], v[79:80] offset1:1
	buffer_load_dword v77, off, s[20:23], 0 offset:176 ; 4-byte Folded Reload
	buffer_load_dword v78, off, s[20:23], 0 offset:180 ; 4-byte Folded Reload
	buffer_load_dword v79, off, s[20:23], 0 offset:184 ; 4-byte Folded Reload
	buffer_load_dword v80, off, s[20:23], 0 offset:188 ; 4-byte Folded Reload
	s_waitcnt vmcnt(0)
	ds_write2_b64 v125, v[77:78], v[79:80] offset0:8 offset1:9
	buffer_load_dword v77, off, s[20:23], 0 offset:160 ; 4-byte Folded Reload
	buffer_load_dword v78, off, s[20:23], 0 offset:164 ; 4-byte Folded Reload
	buffer_load_dword v79, off, s[20:23], 0 offset:168 ; 4-byte Folded Reload
	buffer_load_dword v80, off, s[20:23], 0 offset:172 ; 4-byte Folded Reload
	s_waitcnt vmcnt(0)
	ds_write2_b64 v125, v[77:78], v[79:80] offset0:10 offset1:11
	;; [unrolled: 6-line block ×9, first 2 shown]
	ds_write2_b64 v125, v[85:86], v[87:88] offset0:26 offset1:27
	ds_write2_b64 v125, v[117:118], v[119:120] offset0:28 offset1:29
	;; [unrolled: 1-line block ×5, first 2 shown]
	buffer_load_dword v81, off, s[20:23], 0 offset:32 ; 4-byte Folded Reload
	buffer_load_dword v82, off, s[20:23], 0 offset:36 ; 4-byte Folded Reload
	;; [unrolled: 1-line block ×4, first 2 shown]
	s_waitcnt vmcnt(0)
	ds_write2_b64 v125, v[81:82], v[83:84] offset0:36 offset1:37
	ds_write2_b64 v125, v[93:94], v[95:96] offset0:38 offset1:39
	buffer_load_dword v77, off, s[20:23], 0 ; 4-byte Folded Reload
	buffer_load_dword v78, off, s[20:23], 0 offset:4 ; 4-byte Folded Reload
	buffer_load_dword v79, off, s[20:23], 0 offset:8 ; 4-byte Folded Reload
	;; [unrolled: 1-line block ×3, first 2 shown]
	s_waitcnt vmcnt(0)
	ds_write2_b64 v125, v[77:78], v[79:80] offset0:40 offset1:41
	ds_write2_b64 v125, v[73:74], v[75:76] offset0:42 offset1:43
	ds_write2_b64 v125, v[69:70], v[71:72] offset0:44 offset1:45
	ds_write2_b64 v125, v[65:66], v[67:68] offset0:46 offset1:47
	ds_write2_b64 v125, v[61:62], v[63:64] offset0:48 offset1:49
	ds_write2_b64 v125, v[57:58], v[59:60] offset0:50 offset1:51
	ds_write2_b64 v125, v[53:54], v[55:56] offset0:52 offset1:53
	ds_write2_b64 v125, v[49:50], v[51:52] offset0:54 offset1:55
	ds_write2_b64 v125, v[45:46], v[47:48] offset0:56 offset1:57
	ds_write2_b64 v125, v[41:42], v[43:44] offset0:58 offset1:59
	ds_write2_b64 v125, v[37:38], v[39:40] offset0:60 offset1:61
	ds_write2_b64 v125, v[33:34], v[35:36] offset0:62 offset1:63
	ds_write2_b64 v125, v[29:30], v[31:32] offset0:64 offset1:65
	ds_write2_b64 v125, v[25:26], v[27:28] offset0:66 offset1:67
	ds_write2_b64 v125, v[21:22], v[23:24] offset0:68 offset1:69
	ds_write2_b64 v125, v[17:18], v[19:20] offset0:70 offset1:71
	ds_write2_b64 v125, v[13:14], v[15:16] offset0:72 offset1:73
	ds_write2_b64 v125, v[9:10], v[11:12] offset0:74 offset1:75
	ds_write2_b64 v125, v[5:6], v[7:8] offset0:76 offset1:77
	ds_write2_b64 v125, v[1:2], v[3:4] offset0:78 offset1:79
	buffer_load_dword v77, off, s[20:23], 0 offset:16 ; 4-byte Folded Reload
	buffer_load_dword v78, off, s[20:23], 0 offset:20 ; 4-byte Folded Reload
	;; [unrolled: 1-line block ×4, first 2 shown]
	s_waitcnt vmcnt(0)
	ds_write2_b64 v125, v[77:78], v[79:80] offset0:80 offset1:81
	ds_read2_b64 v[97:100], v127 offset1:1
	s_waitcnt lgkmcnt(0)
	v_cmp_neq_f64_e32 vcc, 0, v[97:98]
	v_cmp_neq_f64_e64 s[2:3], 0, v[99:100]
	s_or_b64 s[2:3], vcc, s[2:3]
	s_and_b64 exec, exec, s[2:3]
	s_cbranch_execz .LBB81_35
; %bb.30:
	v_cmp_ngt_f64_e64 s[2:3], |v[97:98]|, |v[99:100]|
                                        ; implicit-def: $vgpr101_vgpr102
	s_and_saveexec_b64 s[6:7], s[2:3]
	s_xor_b64 s[2:3], exec, s[6:7]
                                        ; implicit-def: $vgpr103_vgpr104
	s_cbranch_execz .LBB81_32
; %bb.31:
	v_div_scale_f64 v[101:102], s[6:7], v[99:100], v[99:100], v[97:98]
	v_rcp_f64_e32 v[103:104], v[101:102]
	v_fma_f64 v[105:106], -v[101:102], v[103:104], 1.0
	v_fma_f64 v[103:104], v[103:104], v[105:106], v[103:104]
	v_div_scale_f64 v[105:106], vcc, v[97:98], v[99:100], v[97:98]
	v_fma_f64 v[107:108], -v[101:102], v[103:104], 1.0
	v_fma_f64 v[103:104], v[103:104], v[107:108], v[103:104]
	v_mul_f64 v[107:108], v[105:106], v[103:104]
	v_fma_f64 v[101:102], -v[101:102], v[107:108], v[105:106]
	v_div_fmas_f64 v[101:102], v[101:102], v[103:104], v[107:108]
	v_div_fixup_f64 v[101:102], v[101:102], v[99:100], v[97:98]
	v_fma_f64 v[97:98], v[97:98], v[101:102], v[99:100]
	v_div_scale_f64 v[99:100], s[6:7], v[97:98], v[97:98], 1.0
	v_div_scale_f64 v[107:108], vcc, 1.0, v[97:98], 1.0
	v_rcp_f64_e32 v[103:104], v[99:100]
	v_fma_f64 v[105:106], -v[99:100], v[103:104], 1.0
	v_fma_f64 v[103:104], v[103:104], v[105:106], v[103:104]
	v_fma_f64 v[105:106], -v[99:100], v[103:104], 1.0
	v_fma_f64 v[103:104], v[103:104], v[105:106], v[103:104]
	v_mul_f64 v[105:106], v[107:108], v[103:104]
	v_fma_f64 v[99:100], -v[99:100], v[105:106], v[107:108]
	v_div_fmas_f64 v[99:100], v[99:100], v[103:104], v[105:106]
	v_div_fixup_f64 v[103:104], v[99:100], v[97:98], 1.0
                                        ; implicit-def: $vgpr97_vgpr98
	v_mul_f64 v[101:102], v[101:102], v[103:104]
	v_xor_b32_e32 v104, 0x80000000, v104
.LBB81_32:
	s_andn2_saveexec_b64 s[2:3], s[2:3]
	s_cbranch_execz .LBB81_34
; %bb.33:
	v_div_scale_f64 v[101:102], s[6:7], v[97:98], v[97:98], v[99:100]
	v_rcp_f64_e32 v[103:104], v[101:102]
	v_fma_f64 v[105:106], -v[101:102], v[103:104], 1.0
	v_fma_f64 v[103:104], v[103:104], v[105:106], v[103:104]
	v_div_scale_f64 v[105:106], vcc, v[99:100], v[97:98], v[99:100]
	v_fma_f64 v[107:108], -v[101:102], v[103:104], 1.0
	v_fma_f64 v[103:104], v[103:104], v[107:108], v[103:104]
	v_mul_f64 v[107:108], v[105:106], v[103:104]
	v_fma_f64 v[101:102], -v[101:102], v[107:108], v[105:106]
	v_div_fmas_f64 v[101:102], v[101:102], v[103:104], v[107:108]
	v_div_fixup_f64 v[103:104], v[101:102], v[97:98], v[99:100]
	v_fma_f64 v[97:98], v[99:100], v[103:104], v[97:98]
	v_div_scale_f64 v[99:100], s[6:7], v[97:98], v[97:98], 1.0
	v_div_scale_f64 v[107:108], vcc, 1.0, v[97:98], 1.0
	v_rcp_f64_e32 v[101:102], v[99:100]
	v_fma_f64 v[105:106], -v[99:100], v[101:102], 1.0
	v_fma_f64 v[101:102], v[101:102], v[105:106], v[101:102]
	v_fma_f64 v[105:106], -v[99:100], v[101:102], 1.0
	v_fma_f64 v[101:102], v[101:102], v[105:106], v[101:102]
	v_mul_f64 v[105:106], v[107:108], v[101:102]
	v_fma_f64 v[99:100], -v[99:100], v[105:106], v[107:108]
	v_div_fmas_f64 v[99:100], v[99:100], v[101:102], v[105:106]
	v_div_fixup_f64 v[101:102], v[99:100], v[97:98], 1.0
	v_mul_f64 v[103:104], v[103:104], -v[101:102]
.LBB81_34:
	s_or_b64 exec, exec, s[2:3]
	ds_write2_b64 v127, v[101:102], v[103:104] offset1:1
.LBB81_35:
	s_or_b64 exec, exec, s[4:5]
	s_waitcnt lgkmcnt(0)
	s_barrier
	ds_read2_b64 v[77:80], v127 offset1:1
	v_cmp_lt_u32_e32 vcc, 3, v0
	s_waitcnt lgkmcnt(0)
	buffer_store_dword v77, off, s[20:23], 0 offset:784 ; 4-byte Folded Spill
	s_nop 0
	buffer_store_dword v78, off, s[20:23], 0 offset:788 ; 4-byte Folded Spill
	buffer_store_dword v79, off, s[20:23], 0 offset:792 ; 4-byte Folded Spill
	;; [unrolled: 1-line block ×3, first 2 shown]
	s_and_saveexec_b64 s[2:3], vcc
	s_cbranch_execz .LBB81_37
; %bb.36:
	buffer_load_dword v103, off, s[20:23], 0 offset:192 ; 4-byte Folded Reload
	buffer_load_dword v104, off, s[20:23], 0 offset:196 ; 4-byte Folded Reload
	;; [unrolled: 1-line block ×8, first 2 shown]
	s_waitcnt vmcnt(2)
	v_mul_f64 v[99:100], v[77:78], v[105:106]
	s_waitcnt vmcnt(0)
	v_mul_f64 v[97:98], v[79:80], v[105:106]
	v_fma_f64 v[105:106], v[79:80], v[103:104], v[99:100]
	ds_read2_b64 v[99:102], v125 offset0:8 offset1:9
	v_fma_f64 v[97:98], v[77:78], v[103:104], -v[97:98]
	buffer_load_dword v77, off, s[20:23], 0 offset:176 ; 4-byte Folded Reload
	buffer_load_dword v78, off, s[20:23], 0 offset:180 ; 4-byte Folded Reload
	buffer_load_dword v79, off, s[20:23], 0 offset:184 ; 4-byte Folded Reload
	buffer_load_dword v80, off, s[20:23], 0 offset:188 ; 4-byte Folded Reload
	s_waitcnt lgkmcnt(0)
	v_mul_f64 v[103:104], v[101:102], v[105:106]
	v_fma_f64 v[103:104], v[99:100], v[97:98], -v[103:104]
	v_mul_f64 v[99:100], v[99:100], v[105:106]
	v_fma_f64 v[99:100], v[101:102], v[97:98], v[99:100]
	s_waitcnt vmcnt(2)
	v_add_f64 v[77:78], v[77:78], -v[103:104]
	s_waitcnt vmcnt(0)
	v_add_f64 v[79:80], v[79:80], -v[99:100]
	buffer_store_dword v77, off, s[20:23], 0 offset:176 ; 4-byte Folded Spill
	s_nop 0
	buffer_store_dword v78, off, s[20:23], 0 offset:180 ; 4-byte Folded Spill
	buffer_store_dword v79, off, s[20:23], 0 offset:184 ; 4-byte Folded Spill
	buffer_store_dword v80, off, s[20:23], 0 offset:188 ; 4-byte Folded Spill
	ds_read2_b64 v[99:102], v125 offset0:10 offset1:11
	buffer_load_dword v77, off, s[20:23], 0 offset:160 ; 4-byte Folded Reload
	buffer_load_dword v78, off, s[20:23], 0 offset:164 ; 4-byte Folded Reload
	buffer_load_dword v79, off, s[20:23], 0 offset:168 ; 4-byte Folded Reload
	buffer_load_dword v80, off, s[20:23], 0 offset:172 ; 4-byte Folded Reload
	s_waitcnt lgkmcnt(0)
	v_mul_f64 v[103:104], v[101:102], v[105:106]
	v_fma_f64 v[103:104], v[99:100], v[97:98], -v[103:104]
	v_mul_f64 v[99:100], v[99:100], v[105:106]
	v_fma_f64 v[99:100], v[101:102], v[97:98], v[99:100]
	s_waitcnt vmcnt(2)
	v_add_f64 v[77:78], v[77:78], -v[103:104]
	s_waitcnt vmcnt(0)
	v_add_f64 v[79:80], v[79:80], -v[99:100]
	buffer_store_dword v77, off, s[20:23], 0 offset:160 ; 4-byte Folded Spill
	s_nop 0
	buffer_store_dword v78, off, s[20:23], 0 offset:164 ; 4-byte Folded Spill
	buffer_store_dword v79, off, s[20:23], 0 offset:168 ; 4-byte Folded Spill
	buffer_store_dword v80, off, s[20:23], 0 offset:172 ; 4-byte Folded Spill
	ds_read2_b64 v[99:102], v125 offset0:12 offset1:13
	;; [unrolled: 19-line block ×9, first 2 shown]
	s_waitcnt lgkmcnt(0)
	v_mul_f64 v[103:104], v[101:102], v[105:106]
	v_fma_f64 v[103:104], v[99:100], v[97:98], -v[103:104]
	v_mul_f64 v[99:100], v[99:100], v[105:106]
	v_add_f64 v[85:86], v[85:86], -v[103:104]
	v_fma_f64 v[99:100], v[101:102], v[97:98], v[99:100]
	v_add_f64 v[87:88], v[87:88], -v[99:100]
	ds_read2_b64 v[99:102], v125 offset0:28 offset1:29
	s_waitcnt lgkmcnt(0)
	v_mul_f64 v[103:104], v[101:102], v[105:106]
	v_fma_f64 v[103:104], v[99:100], v[97:98], -v[103:104]
	v_mul_f64 v[99:100], v[99:100], v[105:106]
	v_add_f64 v[117:118], v[117:118], -v[103:104]
	v_fma_f64 v[99:100], v[101:102], v[97:98], v[99:100]
	v_add_f64 v[119:120], v[119:120], -v[99:100]
	ds_read2_b64 v[99:102], v125 offset0:30 offset1:31
	s_waitcnt lgkmcnt(0)
	v_mul_f64 v[103:104], v[101:102], v[105:106]
	v_fma_f64 v[103:104], v[99:100], v[97:98], -v[103:104]
	v_mul_f64 v[99:100], v[99:100], v[105:106]
	v_add_f64 v[121:122], v[121:122], -v[103:104]
	v_fma_f64 v[99:100], v[101:102], v[97:98], v[99:100]
	v_add_f64 v[123:124], v[123:124], -v[99:100]
	ds_read2_b64 v[99:102], v125 offset0:32 offset1:33
	s_waitcnt lgkmcnt(0)
	v_mul_f64 v[103:104], v[101:102], v[105:106]
	v_fma_f64 v[103:104], v[99:100], v[97:98], -v[103:104]
	v_mul_f64 v[99:100], v[99:100], v[105:106]
	v_add_f64 v[109:110], v[109:110], -v[103:104]
	v_fma_f64 v[99:100], v[101:102], v[97:98], v[99:100]
	v_add_f64 v[111:112], v[111:112], -v[99:100]
	ds_read2_b64 v[99:102], v125 offset0:34 offset1:35
	s_waitcnt lgkmcnt(0)
	v_mul_f64 v[103:104], v[101:102], v[105:106]
	v_fma_f64 v[103:104], v[99:100], v[97:98], -v[103:104]
	v_mul_f64 v[99:100], v[99:100], v[105:106]
	v_add_f64 v[113:114], v[113:114], -v[103:104]
	v_fma_f64 v[99:100], v[101:102], v[97:98], v[99:100]
	v_add_f64 v[115:116], v[115:116], -v[99:100]
	ds_read2_b64 v[99:102], v125 offset0:36 offset1:37
	buffer_load_dword v81, off, s[20:23], 0 offset:32 ; 4-byte Folded Reload
	buffer_load_dword v82, off, s[20:23], 0 offset:36 ; 4-byte Folded Reload
	;; [unrolled: 1-line block ×4, first 2 shown]
	s_waitcnt lgkmcnt(0)
	v_mul_f64 v[103:104], v[101:102], v[105:106]
	v_fma_f64 v[103:104], v[99:100], v[97:98], -v[103:104]
	v_mul_f64 v[99:100], v[99:100], v[105:106]
	v_fma_f64 v[99:100], v[101:102], v[97:98], v[99:100]
	s_waitcnt vmcnt(2)
	v_add_f64 v[81:82], v[81:82], -v[103:104]
	s_waitcnt vmcnt(0)
	v_add_f64 v[83:84], v[83:84], -v[99:100]
	buffer_store_dword v81, off, s[20:23], 0 offset:32 ; 4-byte Folded Spill
	s_nop 0
	buffer_store_dword v82, off, s[20:23], 0 offset:36 ; 4-byte Folded Spill
	buffer_store_dword v83, off, s[20:23], 0 offset:40 ; 4-byte Folded Spill
	buffer_store_dword v84, off, s[20:23], 0 offset:44 ; 4-byte Folded Spill
	ds_read2_b64 v[99:102], v125 offset0:38 offset1:39
	s_waitcnt lgkmcnt(0)
	v_mul_f64 v[103:104], v[101:102], v[105:106]
	v_fma_f64 v[103:104], v[99:100], v[97:98], -v[103:104]
	v_mul_f64 v[99:100], v[99:100], v[105:106]
	v_add_f64 v[93:94], v[93:94], -v[103:104]
	v_fma_f64 v[99:100], v[101:102], v[97:98], v[99:100]
	v_add_f64 v[95:96], v[95:96], -v[99:100]
	ds_read2_b64 v[99:102], v125 offset0:40 offset1:41
	buffer_load_dword v77, off, s[20:23], 0 ; 4-byte Folded Reload
	buffer_load_dword v78, off, s[20:23], 0 offset:4 ; 4-byte Folded Reload
	buffer_load_dword v79, off, s[20:23], 0 offset:8 ; 4-byte Folded Reload
	;; [unrolled: 1-line block ×3, first 2 shown]
	s_waitcnt lgkmcnt(0)
	v_mul_f64 v[103:104], v[101:102], v[105:106]
	v_fma_f64 v[103:104], v[99:100], v[97:98], -v[103:104]
	v_mul_f64 v[99:100], v[99:100], v[105:106]
	v_fma_f64 v[99:100], v[101:102], v[97:98], v[99:100]
	s_waitcnt vmcnt(2)
	v_add_f64 v[77:78], v[77:78], -v[103:104]
	s_waitcnt vmcnt(0)
	v_add_f64 v[79:80], v[79:80], -v[99:100]
	buffer_store_dword v77, off, s[20:23], 0 ; 4-byte Folded Spill
	s_nop 0
	buffer_store_dword v78, off, s[20:23], 0 offset:4 ; 4-byte Folded Spill
	buffer_store_dword v79, off, s[20:23], 0 offset:8 ; 4-byte Folded Spill
	;; [unrolled: 1-line block ×3, first 2 shown]
	ds_read2_b64 v[99:102], v125 offset0:42 offset1:43
	s_waitcnt lgkmcnt(0)
	v_mul_f64 v[103:104], v[101:102], v[105:106]
	v_fma_f64 v[103:104], v[99:100], v[97:98], -v[103:104]
	v_mul_f64 v[99:100], v[99:100], v[105:106]
	v_add_f64 v[73:74], v[73:74], -v[103:104]
	v_fma_f64 v[99:100], v[101:102], v[97:98], v[99:100]
	v_add_f64 v[75:76], v[75:76], -v[99:100]
	ds_read2_b64 v[99:102], v125 offset0:44 offset1:45
	s_waitcnt lgkmcnt(0)
	v_mul_f64 v[103:104], v[101:102], v[105:106]
	v_fma_f64 v[103:104], v[99:100], v[97:98], -v[103:104]
	v_mul_f64 v[99:100], v[99:100], v[105:106]
	v_add_f64 v[69:70], v[69:70], -v[103:104]
	v_fma_f64 v[99:100], v[101:102], v[97:98], v[99:100]
	v_add_f64 v[71:72], v[71:72], -v[99:100]
	ds_read2_b64 v[99:102], v125 offset0:46 offset1:47
	s_waitcnt lgkmcnt(0)
	v_mul_f64 v[103:104], v[101:102], v[105:106]
	v_fma_f64 v[103:104], v[99:100], v[97:98], -v[103:104]
	v_mul_f64 v[99:100], v[99:100], v[105:106]
	v_add_f64 v[65:66], v[65:66], -v[103:104]
	v_fma_f64 v[99:100], v[101:102], v[97:98], v[99:100]
	v_add_f64 v[67:68], v[67:68], -v[99:100]
	ds_read2_b64 v[99:102], v125 offset0:48 offset1:49
	s_waitcnt lgkmcnt(0)
	v_mul_f64 v[103:104], v[101:102], v[105:106]
	v_fma_f64 v[103:104], v[99:100], v[97:98], -v[103:104]
	v_mul_f64 v[99:100], v[99:100], v[105:106]
	v_add_f64 v[61:62], v[61:62], -v[103:104]
	v_fma_f64 v[99:100], v[101:102], v[97:98], v[99:100]
	v_add_f64 v[63:64], v[63:64], -v[99:100]
	ds_read2_b64 v[99:102], v125 offset0:50 offset1:51
	s_waitcnt lgkmcnt(0)
	v_mul_f64 v[103:104], v[101:102], v[105:106]
	v_fma_f64 v[103:104], v[99:100], v[97:98], -v[103:104]
	v_mul_f64 v[99:100], v[99:100], v[105:106]
	v_add_f64 v[57:58], v[57:58], -v[103:104]
	v_fma_f64 v[99:100], v[101:102], v[97:98], v[99:100]
	v_add_f64 v[59:60], v[59:60], -v[99:100]
	ds_read2_b64 v[99:102], v125 offset0:52 offset1:53
	s_waitcnt lgkmcnt(0)
	v_mul_f64 v[103:104], v[101:102], v[105:106]
	v_fma_f64 v[103:104], v[99:100], v[97:98], -v[103:104]
	v_mul_f64 v[99:100], v[99:100], v[105:106]
	v_add_f64 v[53:54], v[53:54], -v[103:104]
	v_fma_f64 v[99:100], v[101:102], v[97:98], v[99:100]
	v_add_f64 v[55:56], v[55:56], -v[99:100]
	ds_read2_b64 v[99:102], v125 offset0:54 offset1:55
	s_waitcnt lgkmcnt(0)
	v_mul_f64 v[103:104], v[101:102], v[105:106]
	v_fma_f64 v[103:104], v[99:100], v[97:98], -v[103:104]
	v_mul_f64 v[99:100], v[99:100], v[105:106]
	v_add_f64 v[49:50], v[49:50], -v[103:104]
	v_fma_f64 v[99:100], v[101:102], v[97:98], v[99:100]
	v_add_f64 v[51:52], v[51:52], -v[99:100]
	ds_read2_b64 v[99:102], v125 offset0:56 offset1:57
	s_waitcnt lgkmcnt(0)
	v_mul_f64 v[103:104], v[101:102], v[105:106]
	v_fma_f64 v[103:104], v[99:100], v[97:98], -v[103:104]
	v_mul_f64 v[99:100], v[99:100], v[105:106]
	v_add_f64 v[45:46], v[45:46], -v[103:104]
	v_fma_f64 v[99:100], v[101:102], v[97:98], v[99:100]
	v_add_f64 v[47:48], v[47:48], -v[99:100]
	ds_read2_b64 v[99:102], v125 offset0:58 offset1:59
	s_waitcnt lgkmcnt(0)
	v_mul_f64 v[103:104], v[101:102], v[105:106]
	v_fma_f64 v[103:104], v[99:100], v[97:98], -v[103:104]
	v_mul_f64 v[99:100], v[99:100], v[105:106]
	v_add_f64 v[41:42], v[41:42], -v[103:104]
	v_fma_f64 v[99:100], v[101:102], v[97:98], v[99:100]
	v_add_f64 v[43:44], v[43:44], -v[99:100]
	ds_read2_b64 v[99:102], v125 offset0:60 offset1:61
	s_waitcnt lgkmcnt(0)
	v_mul_f64 v[103:104], v[101:102], v[105:106]
	v_fma_f64 v[103:104], v[99:100], v[97:98], -v[103:104]
	v_mul_f64 v[99:100], v[99:100], v[105:106]
	v_add_f64 v[37:38], v[37:38], -v[103:104]
	v_fma_f64 v[99:100], v[101:102], v[97:98], v[99:100]
	v_add_f64 v[39:40], v[39:40], -v[99:100]
	ds_read2_b64 v[99:102], v125 offset0:62 offset1:63
	s_waitcnt lgkmcnt(0)
	v_mul_f64 v[103:104], v[101:102], v[105:106]
	v_fma_f64 v[103:104], v[99:100], v[97:98], -v[103:104]
	v_mul_f64 v[99:100], v[99:100], v[105:106]
	v_add_f64 v[33:34], v[33:34], -v[103:104]
	v_fma_f64 v[99:100], v[101:102], v[97:98], v[99:100]
	v_add_f64 v[35:36], v[35:36], -v[99:100]
	ds_read2_b64 v[99:102], v125 offset0:64 offset1:65
	s_waitcnt lgkmcnt(0)
	v_mul_f64 v[103:104], v[101:102], v[105:106]
	v_fma_f64 v[103:104], v[99:100], v[97:98], -v[103:104]
	v_mul_f64 v[99:100], v[99:100], v[105:106]
	v_add_f64 v[29:30], v[29:30], -v[103:104]
	v_fma_f64 v[99:100], v[101:102], v[97:98], v[99:100]
	v_add_f64 v[31:32], v[31:32], -v[99:100]
	ds_read2_b64 v[99:102], v125 offset0:66 offset1:67
	s_waitcnt lgkmcnt(0)
	v_mul_f64 v[103:104], v[101:102], v[105:106]
	v_fma_f64 v[103:104], v[99:100], v[97:98], -v[103:104]
	v_mul_f64 v[99:100], v[99:100], v[105:106]
	v_add_f64 v[25:26], v[25:26], -v[103:104]
	v_fma_f64 v[99:100], v[101:102], v[97:98], v[99:100]
	v_add_f64 v[27:28], v[27:28], -v[99:100]
	ds_read2_b64 v[99:102], v125 offset0:68 offset1:69
	s_waitcnt lgkmcnt(0)
	v_mul_f64 v[103:104], v[101:102], v[105:106]
	v_fma_f64 v[103:104], v[99:100], v[97:98], -v[103:104]
	v_mul_f64 v[99:100], v[99:100], v[105:106]
	v_add_f64 v[21:22], v[21:22], -v[103:104]
	v_fma_f64 v[99:100], v[101:102], v[97:98], v[99:100]
	v_add_f64 v[23:24], v[23:24], -v[99:100]
	ds_read2_b64 v[99:102], v125 offset0:70 offset1:71
	s_waitcnt lgkmcnt(0)
	v_mul_f64 v[103:104], v[101:102], v[105:106]
	v_fma_f64 v[103:104], v[99:100], v[97:98], -v[103:104]
	v_mul_f64 v[99:100], v[99:100], v[105:106]
	v_add_f64 v[17:18], v[17:18], -v[103:104]
	v_fma_f64 v[99:100], v[101:102], v[97:98], v[99:100]
	v_add_f64 v[19:20], v[19:20], -v[99:100]
	ds_read2_b64 v[99:102], v125 offset0:72 offset1:73
	s_waitcnt lgkmcnt(0)
	v_mul_f64 v[103:104], v[101:102], v[105:106]
	v_fma_f64 v[103:104], v[99:100], v[97:98], -v[103:104]
	v_mul_f64 v[99:100], v[99:100], v[105:106]
	v_add_f64 v[13:14], v[13:14], -v[103:104]
	v_fma_f64 v[99:100], v[101:102], v[97:98], v[99:100]
	v_add_f64 v[15:16], v[15:16], -v[99:100]
	ds_read2_b64 v[99:102], v125 offset0:74 offset1:75
	s_waitcnt lgkmcnt(0)
	v_mul_f64 v[103:104], v[101:102], v[105:106]
	v_fma_f64 v[103:104], v[99:100], v[97:98], -v[103:104]
	v_mul_f64 v[99:100], v[99:100], v[105:106]
	v_add_f64 v[9:10], v[9:10], -v[103:104]
	v_fma_f64 v[99:100], v[101:102], v[97:98], v[99:100]
	v_add_f64 v[11:12], v[11:12], -v[99:100]
	ds_read2_b64 v[99:102], v125 offset0:76 offset1:77
	s_waitcnt lgkmcnt(0)
	v_mul_f64 v[103:104], v[101:102], v[105:106]
	v_fma_f64 v[103:104], v[99:100], v[97:98], -v[103:104]
	v_mul_f64 v[99:100], v[99:100], v[105:106]
	v_add_f64 v[5:6], v[5:6], -v[103:104]
	v_fma_f64 v[99:100], v[101:102], v[97:98], v[99:100]
	v_add_f64 v[7:8], v[7:8], -v[99:100]
	ds_read2_b64 v[99:102], v125 offset0:78 offset1:79
	s_waitcnt lgkmcnt(0)
	v_mul_f64 v[103:104], v[101:102], v[105:106]
	v_fma_f64 v[103:104], v[99:100], v[97:98], -v[103:104]
	v_mul_f64 v[99:100], v[99:100], v[105:106]
	v_add_f64 v[1:2], v[1:2], -v[103:104]
	v_fma_f64 v[99:100], v[101:102], v[97:98], v[99:100]
	v_add_f64 v[3:4], v[3:4], -v[99:100]
	ds_read2_b64 v[99:102], v125 offset0:80 offset1:81
	buffer_load_dword v77, off, s[20:23], 0 offset:16 ; 4-byte Folded Reload
	buffer_load_dword v78, off, s[20:23], 0 offset:20 ; 4-byte Folded Reload
	;; [unrolled: 1-line block ×4, first 2 shown]
	s_waitcnt lgkmcnt(0)
	v_mul_f64 v[103:104], v[101:102], v[105:106]
	v_fma_f64 v[103:104], v[99:100], v[97:98], -v[103:104]
	v_mul_f64 v[99:100], v[99:100], v[105:106]
	v_fma_f64 v[99:100], v[101:102], v[97:98], v[99:100]
	s_waitcnt vmcnt(2)
	v_add_f64 v[77:78], v[77:78], -v[103:104]
	v_mov_b32_e32 v104, v98
	s_waitcnt vmcnt(0)
	v_add_f64 v[79:80], v[79:80], -v[99:100]
	v_mov_b32_e32 v103, v97
	buffer_store_dword v77, off, s[20:23], 0 offset:16 ; 4-byte Folded Spill
	s_nop 0
	buffer_store_dword v78, off, s[20:23], 0 offset:20 ; 4-byte Folded Spill
	buffer_store_dword v79, off, s[20:23], 0 offset:24 ; 4-byte Folded Spill
	;; [unrolled: 1-line block ×4, first 2 shown]
	s_nop 0
	buffer_store_dword v104, off, s[20:23], 0 offset:196 ; 4-byte Folded Spill
	buffer_store_dword v105, off, s[20:23], 0 offset:200 ; 4-byte Folded Spill
	;; [unrolled: 1-line block ×3, first 2 shown]
.LBB81_37:
	s_or_b64 exec, exec, s[2:3]
	v_cmp_eq_u32_e32 vcc, 4, v0
	s_waitcnt vmcnt(0)
	s_barrier
	s_and_saveexec_b64 s[4:5], vcc
	s_cbranch_execz .LBB81_44
; %bb.38:
	buffer_load_dword v77, off, s[20:23], 0 offset:176 ; 4-byte Folded Reload
	buffer_load_dword v78, off, s[20:23], 0 offset:180 ; 4-byte Folded Reload
	;; [unrolled: 1-line block ×4, first 2 shown]
	s_waitcnt vmcnt(0)
	ds_write2_b64 v127, v[77:78], v[79:80] offset1:1
	buffer_load_dword v77, off, s[20:23], 0 offset:160 ; 4-byte Folded Reload
	buffer_load_dword v78, off, s[20:23], 0 offset:164 ; 4-byte Folded Reload
	buffer_load_dword v79, off, s[20:23], 0 offset:168 ; 4-byte Folded Reload
	buffer_load_dword v80, off, s[20:23], 0 offset:172 ; 4-byte Folded Reload
	s_waitcnt vmcnt(0)
	ds_write2_b64 v125, v[77:78], v[79:80] offset0:10 offset1:11
	buffer_load_dword v77, off, s[20:23], 0 offset:144 ; 4-byte Folded Reload
	buffer_load_dword v78, off, s[20:23], 0 offset:148 ; 4-byte Folded Reload
	buffer_load_dword v79, off, s[20:23], 0 offset:152 ; 4-byte Folded Reload
	buffer_load_dword v80, off, s[20:23], 0 offset:156 ; 4-byte Folded Reload
	s_waitcnt vmcnt(0)
	ds_write2_b64 v125, v[77:78], v[79:80] offset0:12 offset1:13
	;; [unrolled: 6-line block ×8, first 2 shown]
	ds_write2_b64 v125, v[85:86], v[87:88] offset0:26 offset1:27
	ds_write2_b64 v125, v[117:118], v[119:120] offset0:28 offset1:29
	;; [unrolled: 1-line block ×5, first 2 shown]
	buffer_load_dword v81, off, s[20:23], 0 offset:32 ; 4-byte Folded Reload
	buffer_load_dword v82, off, s[20:23], 0 offset:36 ; 4-byte Folded Reload
	;; [unrolled: 1-line block ×4, first 2 shown]
	s_waitcnt vmcnt(0)
	ds_write2_b64 v125, v[81:82], v[83:84] offset0:36 offset1:37
	ds_write2_b64 v125, v[93:94], v[95:96] offset0:38 offset1:39
	buffer_load_dword v77, off, s[20:23], 0 ; 4-byte Folded Reload
	buffer_load_dword v78, off, s[20:23], 0 offset:4 ; 4-byte Folded Reload
	buffer_load_dword v79, off, s[20:23], 0 offset:8 ; 4-byte Folded Reload
	;; [unrolled: 1-line block ×3, first 2 shown]
	s_waitcnt vmcnt(0)
	ds_write2_b64 v125, v[77:78], v[79:80] offset0:40 offset1:41
	ds_write2_b64 v125, v[73:74], v[75:76] offset0:42 offset1:43
	;; [unrolled: 1-line block ×20, first 2 shown]
	buffer_load_dword v77, off, s[20:23], 0 offset:16 ; 4-byte Folded Reload
	buffer_load_dword v78, off, s[20:23], 0 offset:20 ; 4-byte Folded Reload
	;; [unrolled: 1-line block ×4, first 2 shown]
	s_waitcnt vmcnt(0)
	ds_write2_b64 v125, v[77:78], v[79:80] offset0:80 offset1:81
	ds_read2_b64 v[97:100], v127 offset1:1
	s_waitcnt lgkmcnt(0)
	v_cmp_neq_f64_e32 vcc, 0, v[97:98]
	v_cmp_neq_f64_e64 s[2:3], 0, v[99:100]
	s_or_b64 s[2:3], vcc, s[2:3]
	s_and_b64 exec, exec, s[2:3]
	s_cbranch_execz .LBB81_44
; %bb.39:
	v_cmp_ngt_f64_e64 s[2:3], |v[97:98]|, |v[99:100]|
                                        ; implicit-def: $vgpr101_vgpr102
	s_and_saveexec_b64 s[6:7], s[2:3]
	s_xor_b64 s[2:3], exec, s[6:7]
                                        ; implicit-def: $vgpr103_vgpr104
	s_cbranch_execz .LBB81_41
; %bb.40:
	v_div_scale_f64 v[101:102], s[6:7], v[99:100], v[99:100], v[97:98]
	v_rcp_f64_e32 v[103:104], v[101:102]
	v_fma_f64 v[105:106], -v[101:102], v[103:104], 1.0
	v_fma_f64 v[103:104], v[103:104], v[105:106], v[103:104]
	v_div_scale_f64 v[105:106], vcc, v[97:98], v[99:100], v[97:98]
	v_fma_f64 v[107:108], -v[101:102], v[103:104], 1.0
	v_fma_f64 v[103:104], v[103:104], v[107:108], v[103:104]
	v_mul_f64 v[107:108], v[105:106], v[103:104]
	v_fma_f64 v[101:102], -v[101:102], v[107:108], v[105:106]
	v_div_fmas_f64 v[101:102], v[101:102], v[103:104], v[107:108]
	v_div_fixup_f64 v[101:102], v[101:102], v[99:100], v[97:98]
	v_fma_f64 v[97:98], v[97:98], v[101:102], v[99:100]
	v_div_scale_f64 v[99:100], s[6:7], v[97:98], v[97:98], 1.0
	v_div_scale_f64 v[107:108], vcc, 1.0, v[97:98], 1.0
	v_rcp_f64_e32 v[103:104], v[99:100]
	v_fma_f64 v[105:106], -v[99:100], v[103:104], 1.0
	v_fma_f64 v[103:104], v[103:104], v[105:106], v[103:104]
	v_fma_f64 v[105:106], -v[99:100], v[103:104], 1.0
	v_fma_f64 v[103:104], v[103:104], v[105:106], v[103:104]
	v_mul_f64 v[105:106], v[107:108], v[103:104]
	v_fma_f64 v[99:100], -v[99:100], v[105:106], v[107:108]
	v_div_fmas_f64 v[99:100], v[99:100], v[103:104], v[105:106]
	v_div_fixup_f64 v[103:104], v[99:100], v[97:98], 1.0
                                        ; implicit-def: $vgpr97_vgpr98
	v_mul_f64 v[101:102], v[101:102], v[103:104]
	v_xor_b32_e32 v104, 0x80000000, v104
.LBB81_41:
	s_andn2_saveexec_b64 s[2:3], s[2:3]
	s_cbranch_execz .LBB81_43
; %bb.42:
	v_div_scale_f64 v[101:102], s[6:7], v[97:98], v[97:98], v[99:100]
	v_rcp_f64_e32 v[103:104], v[101:102]
	v_fma_f64 v[105:106], -v[101:102], v[103:104], 1.0
	v_fma_f64 v[103:104], v[103:104], v[105:106], v[103:104]
	v_div_scale_f64 v[105:106], vcc, v[99:100], v[97:98], v[99:100]
	v_fma_f64 v[107:108], -v[101:102], v[103:104], 1.0
	v_fma_f64 v[103:104], v[103:104], v[107:108], v[103:104]
	v_mul_f64 v[107:108], v[105:106], v[103:104]
	v_fma_f64 v[101:102], -v[101:102], v[107:108], v[105:106]
	v_div_fmas_f64 v[101:102], v[101:102], v[103:104], v[107:108]
	v_div_fixup_f64 v[103:104], v[101:102], v[97:98], v[99:100]
	v_fma_f64 v[97:98], v[99:100], v[103:104], v[97:98]
	v_div_scale_f64 v[99:100], s[6:7], v[97:98], v[97:98], 1.0
	v_div_scale_f64 v[107:108], vcc, 1.0, v[97:98], 1.0
	v_rcp_f64_e32 v[101:102], v[99:100]
	v_fma_f64 v[105:106], -v[99:100], v[101:102], 1.0
	v_fma_f64 v[101:102], v[101:102], v[105:106], v[101:102]
	v_fma_f64 v[105:106], -v[99:100], v[101:102], 1.0
	v_fma_f64 v[101:102], v[101:102], v[105:106], v[101:102]
	v_mul_f64 v[105:106], v[107:108], v[101:102]
	v_fma_f64 v[99:100], -v[99:100], v[105:106], v[107:108]
	v_div_fmas_f64 v[99:100], v[99:100], v[101:102], v[105:106]
	v_div_fixup_f64 v[101:102], v[99:100], v[97:98], 1.0
	v_mul_f64 v[103:104], v[103:104], -v[101:102]
.LBB81_43:
	s_or_b64 exec, exec, s[2:3]
	ds_write2_b64 v127, v[101:102], v[103:104] offset1:1
.LBB81_44:
	s_or_b64 exec, exec, s[4:5]
	s_waitcnt lgkmcnt(0)
	s_barrier
	ds_read2_b64 v[77:80], v127 offset1:1
	v_cmp_lt_u32_e32 vcc, 4, v0
	s_waitcnt lgkmcnt(0)
	buffer_store_dword v77, off, s[20:23], 0 offset:800 ; 4-byte Folded Spill
	s_nop 0
	buffer_store_dword v78, off, s[20:23], 0 offset:804 ; 4-byte Folded Spill
	buffer_store_dword v79, off, s[20:23], 0 offset:808 ; 4-byte Folded Spill
	;; [unrolled: 1-line block ×3, first 2 shown]
	s_and_saveexec_b64 s[2:3], vcc
	s_cbranch_execz .LBB81_46
; %bb.45:
	buffer_load_dword v103, off, s[20:23], 0 offset:176 ; 4-byte Folded Reload
	buffer_load_dword v104, off, s[20:23], 0 offset:180 ; 4-byte Folded Reload
	buffer_load_dword v105, off, s[20:23], 0 offset:184 ; 4-byte Folded Reload
	buffer_load_dword v106, off, s[20:23], 0 offset:188 ; 4-byte Folded Reload
	buffer_load_dword v77, off, s[20:23], 0 offset:800 ; 4-byte Folded Reload
	buffer_load_dword v78, off, s[20:23], 0 offset:804 ; 4-byte Folded Reload
	buffer_load_dword v79, off, s[20:23], 0 offset:808 ; 4-byte Folded Reload
	buffer_load_dword v80, off, s[20:23], 0 offset:812 ; 4-byte Folded Reload
	s_waitcnt vmcnt(2)
	v_mul_f64 v[99:100], v[77:78], v[105:106]
	s_waitcnt vmcnt(0)
	v_mul_f64 v[97:98], v[79:80], v[105:106]
	v_fma_f64 v[105:106], v[79:80], v[103:104], v[99:100]
	ds_read2_b64 v[99:102], v125 offset0:10 offset1:11
	v_fma_f64 v[97:98], v[77:78], v[103:104], -v[97:98]
	buffer_load_dword v77, off, s[20:23], 0 offset:160 ; 4-byte Folded Reload
	buffer_load_dword v78, off, s[20:23], 0 offset:164 ; 4-byte Folded Reload
	buffer_load_dword v79, off, s[20:23], 0 offset:168 ; 4-byte Folded Reload
	buffer_load_dword v80, off, s[20:23], 0 offset:172 ; 4-byte Folded Reload
	s_waitcnt lgkmcnt(0)
	v_mul_f64 v[103:104], v[101:102], v[105:106]
	v_fma_f64 v[103:104], v[99:100], v[97:98], -v[103:104]
	v_mul_f64 v[99:100], v[99:100], v[105:106]
	v_fma_f64 v[99:100], v[101:102], v[97:98], v[99:100]
	s_waitcnt vmcnt(2)
	v_add_f64 v[77:78], v[77:78], -v[103:104]
	s_waitcnt vmcnt(0)
	v_add_f64 v[79:80], v[79:80], -v[99:100]
	buffer_store_dword v77, off, s[20:23], 0 offset:160 ; 4-byte Folded Spill
	s_nop 0
	buffer_store_dword v78, off, s[20:23], 0 offset:164 ; 4-byte Folded Spill
	buffer_store_dword v79, off, s[20:23], 0 offset:168 ; 4-byte Folded Spill
	buffer_store_dword v80, off, s[20:23], 0 offset:172 ; 4-byte Folded Spill
	ds_read2_b64 v[99:102], v125 offset0:12 offset1:13
	buffer_load_dword v77, off, s[20:23], 0 offset:144 ; 4-byte Folded Reload
	buffer_load_dword v78, off, s[20:23], 0 offset:148 ; 4-byte Folded Reload
	buffer_load_dword v79, off, s[20:23], 0 offset:152 ; 4-byte Folded Reload
	buffer_load_dword v80, off, s[20:23], 0 offset:156 ; 4-byte Folded Reload
	s_waitcnt lgkmcnt(0)
	v_mul_f64 v[103:104], v[101:102], v[105:106]
	v_fma_f64 v[103:104], v[99:100], v[97:98], -v[103:104]
	v_mul_f64 v[99:100], v[99:100], v[105:106]
	v_fma_f64 v[99:100], v[101:102], v[97:98], v[99:100]
	s_waitcnt vmcnt(2)
	v_add_f64 v[77:78], v[77:78], -v[103:104]
	s_waitcnt vmcnt(0)
	v_add_f64 v[79:80], v[79:80], -v[99:100]
	buffer_store_dword v77, off, s[20:23], 0 offset:144 ; 4-byte Folded Spill
	s_nop 0
	buffer_store_dword v78, off, s[20:23], 0 offset:148 ; 4-byte Folded Spill
	buffer_store_dword v79, off, s[20:23], 0 offset:152 ; 4-byte Folded Spill
	buffer_store_dword v80, off, s[20:23], 0 offset:156 ; 4-byte Folded Spill
	ds_read2_b64 v[99:102], v125 offset0:14 offset1:15
	;; [unrolled: 19-line block ×8, first 2 shown]
	s_waitcnt lgkmcnt(0)
	v_mul_f64 v[103:104], v[101:102], v[105:106]
	v_fma_f64 v[103:104], v[99:100], v[97:98], -v[103:104]
	v_mul_f64 v[99:100], v[99:100], v[105:106]
	v_add_f64 v[85:86], v[85:86], -v[103:104]
	v_fma_f64 v[99:100], v[101:102], v[97:98], v[99:100]
	v_add_f64 v[87:88], v[87:88], -v[99:100]
	ds_read2_b64 v[99:102], v125 offset0:28 offset1:29
	s_waitcnt lgkmcnt(0)
	v_mul_f64 v[103:104], v[101:102], v[105:106]
	v_fma_f64 v[103:104], v[99:100], v[97:98], -v[103:104]
	v_mul_f64 v[99:100], v[99:100], v[105:106]
	v_add_f64 v[117:118], v[117:118], -v[103:104]
	v_fma_f64 v[99:100], v[101:102], v[97:98], v[99:100]
	v_add_f64 v[119:120], v[119:120], -v[99:100]
	ds_read2_b64 v[99:102], v125 offset0:30 offset1:31
	;; [unrolled: 8-line block ×5, first 2 shown]
	buffer_load_dword v81, off, s[20:23], 0 offset:32 ; 4-byte Folded Reload
	buffer_load_dword v82, off, s[20:23], 0 offset:36 ; 4-byte Folded Reload
	;; [unrolled: 1-line block ×4, first 2 shown]
	s_waitcnt lgkmcnt(0)
	v_mul_f64 v[103:104], v[101:102], v[105:106]
	v_fma_f64 v[103:104], v[99:100], v[97:98], -v[103:104]
	v_mul_f64 v[99:100], v[99:100], v[105:106]
	v_fma_f64 v[99:100], v[101:102], v[97:98], v[99:100]
	s_waitcnt vmcnt(2)
	v_add_f64 v[81:82], v[81:82], -v[103:104]
	s_waitcnt vmcnt(0)
	v_add_f64 v[83:84], v[83:84], -v[99:100]
	buffer_store_dword v81, off, s[20:23], 0 offset:32 ; 4-byte Folded Spill
	s_nop 0
	buffer_store_dword v82, off, s[20:23], 0 offset:36 ; 4-byte Folded Spill
	buffer_store_dword v83, off, s[20:23], 0 offset:40 ; 4-byte Folded Spill
	;; [unrolled: 1-line block ×3, first 2 shown]
	ds_read2_b64 v[99:102], v125 offset0:38 offset1:39
	s_waitcnt lgkmcnt(0)
	v_mul_f64 v[103:104], v[101:102], v[105:106]
	v_fma_f64 v[103:104], v[99:100], v[97:98], -v[103:104]
	v_mul_f64 v[99:100], v[99:100], v[105:106]
	v_add_f64 v[93:94], v[93:94], -v[103:104]
	v_fma_f64 v[99:100], v[101:102], v[97:98], v[99:100]
	v_add_f64 v[95:96], v[95:96], -v[99:100]
	ds_read2_b64 v[99:102], v125 offset0:40 offset1:41
	buffer_load_dword v77, off, s[20:23], 0 ; 4-byte Folded Reload
	buffer_load_dword v78, off, s[20:23], 0 offset:4 ; 4-byte Folded Reload
	buffer_load_dword v79, off, s[20:23], 0 offset:8 ; 4-byte Folded Reload
	;; [unrolled: 1-line block ×3, first 2 shown]
	s_waitcnt lgkmcnt(0)
	v_mul_f64 v[103:104], v[101:102], v[105:106]
	v_fma_f64 v[103:104], v[99:100], v[97:98], -v[103:104]
	v_mul_f64 v[99:100], v[99:100], v[105:106]
	v_fma_f64 v[99:100], v[101:102], v[97:98], v[99:100]
	s_waitcnt vmcnt(2)
	v_add_f64 v[77:78], v[77:78], -v[103:104]
	s_waitcnt vmcnt(0)
	v_add_f64 v[79:80], v[79:80], -v[99:100]
	buffer_store_dword v77, off, s[20:23], 0 ; 4-byte Folded Spill
	s_nop 0
	buffer_store_dword v78, off, s[20:23], 0 offset:4 ; 4-byte Folded Spill
	buffer_store_dword v79, off, s[20:23], 0 offset:8 ; 4-byte Folded Spill
	;; [unrolled: 1-line block ×3, first 2 shown]
	ds_read2_b64 v[99:102], v125 offset0:42 offset1:43
	s_waitcnt lgkmcnt(0)
	v_mul_f64 v[103:104], v[101:102], v[105:106]
	v_fma_f64 v[103:104], v[99:100], v[97:98], -v[103:104]
	v_mul_f64 v[99:100], v[99:100], v[105:106]
	v_add_f64 v[73:74], v[73:74], -v[103:104]
	v_fma_f64 v[99:100], v[101:102], v[97:98], v[99:100]
	v_add_f64 v[75:76], v[75:76], -v[99:100]
	ds_read2_b64 v[99:102], v125 offset0:44 offset1:45
	s_waitcnt lgkmcnt(0)
	v_mul_f64 v[103:104], v[101:102], v[105:106]
	v_fma_f64 v[103:104], v[99:100], v[97:98], -v[103:104]
	v_mul_f64 v[99:100], v[99:100], v[105:106]
	v_add_f64 v[69:70], v[69:70], -v[103:104]
	v_fma_f64 v[99:100], v[101:102], v[97:98], v[99:100]
	v_add_f64 v[71:72], v[71:72], -v[99:100]
	;; [unrolled: 8-line block ×19, first 2 shown]
	ds_read2_b64 v[99:102], v125 offset0:80 offset1:81
	buffer_load_dword v77, off, s[20:23], 0 offset:16 ; 4-byte Folded Reload
	buffer_load_dword v78, off, s[20:23], 0 offset:20 ; 4-byte Folded Reload
	;; [unrolled: 1-line block ×4, first 2 shown]
	s_waitcnt lgkmcnt(0)
	v_mul_f64 v[103:104], v[101:102], v[105:106]
	v_fma_f64 v[103:104], v[99:100], v[97:98], -v[103:104]
	v_mul_f64 v[99:100], v[99:100], v[105:106]
	v_fma_f64 v[99:100], v[101:102], v[97:98], v[99:100]
	s_waitcnt vmcnt(2)
	v_add_f64 v[77:78], v[77:78], -v[103:104]
	v_mov_b32_e32 v104, v98
	s_waitcnt vmcnt(0)
	v_add_f64 v[79:80], v[79:80], -v[99:100]
	v_mov_b32_e32 v103, v97
	buffer_store_dword v77, off, s[20:23], 0 offset:16 ; 4-byte Folded Spill
	s_nop 0
	buffer_store_dword v78, off, s[20:23], 0 offset:20 ; 4-byte Folded Spill
	buffer_store_dword v79, off, s[20:23], 0 offset:24 ; 4-byte Folded Spill
	;; [unrolled: 1-line block ×4, first 2 shown]
	s_nop 0
	buffer_store_dword v104, off, s[20:23], 0 offset:180 ; 4-byte Folded Spill
	buffer_store_dword v105, off, s[20:23], 0 offset:184 ; 4-byte Folded Spill
	;; [unrolled: 1-line block ×3, first 2 shown]
.LBB81_46:
	s_or_b64 exec, exec, s[2:3]
	v_cmp_eq_u32_e32 vcc, 5, v0
	s_waitcnt vmcnt(0)
	s_barrier
	s_and_saveexec_b64 s[4:5], vcc
	s_cbranch_execz .LBB81_53
; %bb.47:
	buffer_load_dword v77, off, s[20:23], 0 offset:160 ; 4-byte Folded Reload
	buffer_load_dword v78, off, s[20:23], 0 offset:164 ; 4-byte Folded Reload
	;; [unrolled: 1-line block ×4, first 2 shown]
	s_waitcnt vmcnt(0)
	ds_write2_b64 v127, v[77:78], v[79:80] offset1:1
	buffer_load_dword v77, off, s[20:23], 0 offset:144 ; 4-byte Folded Reload
	buffer_load_dword v78, off, s[20:23], 0 offset:148 ; 4-byte Folded Reload
	buffer_load_dword v79, off, s[20:23], 0 offset:152 ; 4-byte Folded Reload
	buffer_load_dword v80, off, s[20:23], 0 offset:156 ; 4-byte Folded Reload
	s_waitcnt vmcnt(0)
	ds_write2_b64 v125, v[77:78], v[79:80] offset0:12 offset1:13
	buffer_load_dword v77, off, s[20:23], 0 offset:128 ; 4-byte Folded Reload
	buffer_load_dword v78, off, s[20:23], 0 offset:132 ; 4-byte Folded Reload
	buffer_load_dword v79, off, s[20:23], 0 offset:136 ; 4-byte Folded Reload
	buffer_load_dword v80, off, s[20:23], 0 offset:140 ; 4-byte Folded Reload
	s_waitcnt vmcnt(0)
	ds_write2_b64 v125, v[77:78], v[79:80] offset0:14 offset1:15
	buffer_load_dword v77, off, s[20:23], 0 offset:112 ; 4-byte Folded Reload
	buffer_load_dword v78, off, s[20:23], 0 offset:116 ; 4-byte Folded Reload
	buffer_load_dword v79, off, s[20:23], 0 offset:120 ; 4-byte Folded Reload
	buffer_load_dword v80, off, s[20:23], 0 offset:124 ; 4-byte Folded Reload
	s_waitcnt vmcnt(0)
	ds_write2_b64 v125, v[77:78], v[79:80] offset0:16 offset1:17
	buffer_load_dword v77, off, s[20:23], 0 offset:96 ; 4-byte Folded Reload
	buffer_load_dword v78, off, s[20:23], 0 offset:100 ; 4-byte Folded Reload
	buffer_load_dword v79, off, s[20:23], 0 offset:104 ; 4-byte Folded Reload
	buffer_load_dword v80, off, s[20:23], 0 offset:108 ; 4-byte Folded Reload
	s_waitcnt vmcnt(0)
	ds_write2_b64 v125, v[77:78], v[79:80] offset0:18 offset1:19
	buffer_load_dword v77, off, s[20:23], 0 offset:80 ; 4-byte Folded Reload
	buffer_load_dword v78, off, s[20:23], 0 offset:84 ; 4-byte Folded Reload
	buffer_load_dword v79, off, s[20:23], 0 offset:88 ; 4-byte Folded Reload
	buffer_load_dword v80, off, s[20:23], 0 offset:92 ; 4-byte Folded Reload
	s_waitcnt vmcnt(0)
	ds_write2_b64 v125, v[77:78], v[79:80] offset0:20 offset1:21
	buffer_load_dword v77, off, s[20:23], 0 offset:64 ; 4-byte Folded Reload
	buffer_load_dword v78, off, s[20:23], 0 offset:68 ; 4-byte Folded Reload
	buffer_load_dword v79, off, s[20:23], 0 offset:72 ; 4-byte Folded Reload
	buffer_load_dword v80, off, s[20:23], 0 offset:76 ; 4-byte Folded Reload
	s_waitcnt vmcnt(0)
	ds_write2_b64 v125, v[77:78], v[79:80] offset0:22 offset1:23
	buffer_load_dword v77, off, s[20:23], 0 offset:48 ; 4-byte Folded Reload
	buffer_load_dword v78, off, s[20:23], 0 offset:52 ; 4-byte Folded Reload
	buffer_load_dword v79, off, s[20:23], 0 offset:56 ; 4-byte Folded Reload
	buffer_load_dword v80, off, s[20:23], 0 offset:60 ; 4-byte Folded Reload
	s_waitcnt vmcnt(0)
	ds_write2_b64 v125, v[77:78], v[79:80] offset0:24 offset1:25
	ds_write2_b64 v125, v[85:86], v[87:88] offset0:26 offset1:27
	ds_write2_b64 v125, v[117:118], v[119:120] offset0:28 offset1:29
	;; [unrolled: 1-line block ×5, first 2 shown]
	buffer_load_dword v81, off, s[20:23], 0 offset:32 ; 4-byte Folded Reload
	buffer_load_dword v82, off, s[20:23], 0 offset:36 ; 4-byte Folded Reload
	;; [unrolled: 1-line block ×4, first 2 shown]
	s_waitcnt vmcnt(0)
	ds_write2_b64 v125, v[81:82], v[83:84] offset0:36 offset1:37
	ds_write2_b64 v125, v[93:94], v[95:96] offset0:38 offset1:39
	buffer_load_dword v77, off, s[20:23], 0 ; 4-byte Folded Reload
	buffer_load_dword v78, off, s[20:23], 0 offset:4 ; 4-byte Folded Reload
	buffer_load_dword v79, off, s[20:23], 0 offset:8 ; 4-byte Folded Reload
	;; [unrolled: 1-line block ×3, first 2 shown]
	s_waitcnt vmcnt(0)
	ds_write2_b64 v125, v[77:78], v[79:80] offset0:40 offset1:41
	ds_write2_b64 v125, v[73:74], v[75:76] offset0:42 offset1:43
	;; [unrolled: 1-line block ×20, first 2 shown]
	buffer_load_dword v77, off, s[20:23], 0 offset:16 ; 4-byte Folded Reload
	buffer_load_dword v78, off, s[20:23], 0 offset:20 ; 4-byte Folded Reload
	;; [unrolled: 1-line block ×4, first 2 shown]
	s_waitcnt vmcnt(0)
	ds_write2_b64 v125, v[77:78], v[79:80] offset0:80 offset1:81
	ds_read2_b64 v[97:100], v127 offset1:1
	s_waitcnt lgkmcnt(0)
	v_cmp_neq_f64_e32 vcc, 0, v[97:98]
	v_cmp_neq_f64_e64 s[2:3], 0, v[99:100]
	s_or_b64 s[2:3], vcc, s[2:3]
	s_and_b64 exec, exec, s[2:3]
	s_cbranch_execz .LBB81_53
; %bb.48:
	v_cmp_ngt_f64_e64 s[2:3], |v[97:98]|, |v[99:100]|
                                        ; implicit-def: $vgpr101_vgpr102
	s_and_saveexec_b64 s[6:7], s[2:3]
	s_xor_b64 s[2:3], exec, s[6:7]
                                        ; implicit-def: $vgpr103_vgpr104
	s_cbranch_execz .LBB81_50
; %bb.49:
	v_div_scale_f64 v[101:102], s[6:7], v[99:100], v[99:100], v[97:98]
	v_rcp_f64_e32 v[103:104], v[101:102]
	v_fma_f64 v[105:106], -v[101:102], v[103:104], 1.0
	v_fma_f64 v[103:104], v[103:104], v[105:106], v[103:104]
	v_div_scale_f64 v[105:106], vcc, v[97:98], v[99:100], v[97:98]
	v_fma_f64 v[107:108], -v[101:102], v[103:104], 1.0
	v_fma_f64 v[103:104], v[103:104], v[107:108], v[103:104]
	v_mul_f64 v[107:108], v[105:106], v[103:104]
	v_fma_f64 v[101:102], -v[101:102], v[107:108], v[105:106]
	v_div_fmas_f64 v[101:102], v[101:102], v[103:104], v[107:108]
	v_div_fixup_f64 v[101:102], v[101:102], v[99:100], v[97:98]
	v_fma_f64 v[97:98], v[97:98], v[101:102], v[99:100]
	v_div_scale_f64 v[99:100], s[6:7], v[97:98], v[97:98], 1.0
	v_div_scale_f64 v[107:108], vcc, 1.0, v[97:98], 1.0
	v_rcp_f64_e32 v[103:104], v[99:100]
	v_fma_f64 v[105:106], -v[99:100], v[103:104], 1.0
	v_fma_f64 v[103:104], v[103:104], v[105:106], v[103:104]
	v_fma_f64 v[105:106], -v[99:100], v[103:104], 1.0
	v_fma_f64 v[103:104], v[103:104], v[105:106], v[103:104]
	v_mul_f64 v[105:106], v[107:108], v[103:104]
	v_fma_f64 v[99:100], -v[99:100], v[105:106], v[107:108]
	v_div_fmas_f64 v[99:100], v[99:100], v[103:104], v[105:106]
	v_div_fixup_f64 v[103:104], v[99:100], v[97:98], 1.0
                                        ; implicit-def: $vgpr97_vgpr98
	v_mul_f64 v[101:102], v[101:102], v[103:104]
	v_xor_b32_e32 v104, 0x80000000, v104
.LBB81_50:
	s_andn2_saveexec_b64 s[2:3], s[2:3]
	s_cbranch_execz .LBB81_52
; %bb.51:
	v_div_scale_f64 v[101:102], s[6:7], v[97:98], v[97:98], v[99:100]
	v_rcp_f64_e32 v[103:104], v[101:102]
	v_fma_f64 v[105:106], -v[101:102], v[103:104], 1.0
	v_fma_f64 v[103:104], v[103:104], v[105:106], v[103:104]
	v_div_scale_f64 v[105:106], vcc, v[99:100], v[97:98], v[99:100]
	v_fma_f64 v[107:108], -v[101:102], v[103:104], 1.0
	v_fma_f64 v[103:104], v[103:104], v[107:108], v[103:104]
	v_mul_f64 v[107:108], v[105:106], v[103:104]
	v_fma_f64 v[101:102], -v[101:102], v[107:108], v[105:106]
	v_div_fmas_f64 v[101:102], v[101:102], v[103:104], v[107:108]
	v_div_fixup_f64 v[103:104], v[101:102], v[97:98], v[99:100]
	v_fma_f64 v[97:98], v[99:100], v[103:104], v[97:98]
	v_div_scale_f64 v[99:100], s[6:7], v[97:98], v[97:98], 1.0
	v_div_scale_f64 v[107:108], vcc, 1.0, v[97:98], 1.0
	v_rcp_f64_e32 v[101:102], v[99:100]
	v_fma_f64 v[105:106], -v[99:100], v[101:102], 1.0
	v_fma_f64 v[101:102], v[101:102], v[105:106], v[101:102]
	v_fma_f64 v[105:106], -v[99:100], v[101:102], 1.0
	v_fma_f64 v[101:102], v[101:102], v[105:106], v[101:102]
	v_mul_f64 v[105:106], v[107:108], v[101:102]
	v_fma_f64 v[99:100], -v[99:100], v[105:106], v[107:108]
	v_div_fmas_f64 v[99:100], v[99:100], v[101:102], v[105:106]
	v_div_fixup_f64 v[101:102], v[99:100], v[97:98], 1.0
	v_mul_f64 v[103:104], v[103:104], -v[101:102]
.LBB81_52:
	s_or_b64 exec, exec, s[2:3]
	ds_write2_b64 v127, v[101:102], v[103:104] offset1:1
.LBB81_53:
	s_or_b64 exec, exec, s[4:5]
	s_waitcnt lgkmcnt(0)
	s_barrier
	ds_read2_b64 v[77:80], v127 offset1:1
	v_cmp_lt_u32_e32 vcc, 5, v0
	s_waitcnt lgkmcnt(0)
	buffer_store_dword v77, off, s[20:23], 0 offset:816 ; 4-byte Folded Spill
	s_nop 0
	buffer_store_dword v78, off, s[20:23], 0 offset:820 ; 4-byte Folded Spill
	buffer_store_dword v79, off, s[20:23], 0 offset:824 ; 4-byte Folded Spill
	;; [unrolled: 1-line block ×3, first 2 shown]
	s_and_saveexec_b64 s[2:3], vcc
	s_cbranch_execz .LBB81_55
; %bb.54:
	buffer_load_dword v103, off, s[20:23], 0 offset:160 ; 4-byte Folded Reload
	buffer_load_dword v104, off, s[20:23], 0 offset:164 ; 4-byte Folded Reload
	;; [unrolled: 1-line block ×8, first 2 shown]
	s_waitcnt vmcnt(2)
	v_mul_f64 v[99:100], v[77:78], v[105:106]
	s_waitcnt vmcnt(0)
	v_mul_f64 v[97:98], v[79:80], v[105:106]
	v_fma_f64 v[105:106], v[79:80], v[103:104], v[99:100]
	ds_read2_b64 v[99:102], v125 offset0:12 offset1:13
	v_fma_f64 v[97:98], v[77:78], v[103:104], -v[97:98]
	buffer_load_dword v77, off, s[20:23], 0 offset:144 ; 4-byte Folded Reload
	buffer_load_dword v78, off, s[20:23], 0 offset:148 ; 4-byte Folded Reload
	buffer_load_dword v79, off, s[20:23], 0 offset:152 ; 4-byte Folded Reload
	buffer_load_dword v80, off, s[20:23], 0 offset:156 ; 4-byte Folded Reload
	s_waitcnt lgkmcnt(0)
	v_mul_f64 v[103:104], v[101:102], v[105:106]
	v_fma_f64 v[103:104], v[99:100], v[97:98], -v[103:104]
	v_mul_f64 v[99:100], v[99:100], v[105:106]
	v_fma_f64 v[99:100], v[101:102], v[97:98], v[99:100]
	s_waitcnt vmcnt(2)
	v_add_f64 v[77:78], v[77:78], -v[103:104]
	s_waitcnt vmcnt(0)
	v_add_f64 v[79:80], v[79:80], -v[99:100]
	buffer_store_dword v77, off, s[20:23], 0 offset:144 ; 4-byte Folded Spill
	s_nop 0
	buffer_store_dword v78, off, s[20:23], 0 offset:148 ; 4-byte Folded Spill
	buffer_store_dword v79, off, s[20:23], 0 offset:152 ; 4-byte Folded Spill
	buffer_store_dword v80, off, s[20:23], 0 offset:156 ; 4-byte Folded Spill
	ds_read2_b64 v[99:102], v125 offset0:14 offset1:15
	buffer_load_dword v77, off, s[20:23], 0 offset:128 ; 4-byte Folded Reload
	buffer_load_dword v78, off, s[20:23], 0 offset:132 ; 4-byte Folded Reload
	buffer_load_dword v79, off, s[20:23], 0 offset:136 ; 4-byte Folded Reload
	buffer_load_dword v80, off, s[20:23], 0 offset:140 ; 4-byte Folded Reload
	s_waitcnt lgkmcnt(0)
	v_mul_f64 v[103:104], v[101:102], v[105:106]
	v_fma_f64 v[103:104], v[99:100], v[97:98], -v[103:104]
	v_mul_f64 v[99:100], v[99:100], v[105:106]
	v_fma_f64 v[99:100], v[101:102], v[97:98], v[99:100]
	s_waitcnt vmcnt(2)
	v_add_f64 v[77:78], v[77:78], -v[103:104]
	s_waitcnt vmcnt(0)
	v_add_f64 v[79:80], v[79:80], -v[99:100]
	buffer_store_dword v77, off, s[20:23], 0 offset:128 ; 4-byte Folded Spill
	s_nop 0
	buffer_store_dword v78, off, s[20:23], 0 offset:132 ; 4-byte Folded Spill
	buffer_store_dword v79, off, s[20:23], 0 offset:136 ; 4-byte Folded Spill
	buffer_store_dword v80, off, s[20:23], 0 offset:140 ; 4-byte Folded Spill
	ds_read2_b64 v[99:102], v125 offset0:16 offset1:17
	;; [unrolled: 19-line block ×7, first 2 shown]
	s_waitcnt lgkmcnt(0)
	v_mul_f64 v[103:104], v[101:102], v[105:106]
	v_fma_f64 v[103:104], v[99:100], v[97:98], -v[103:104]
	v_mul_f64 v[99:100], v[99:100], v[105:106]
	v_add_f64 v[85:86], v[85:86], -v[103:104]
	v_fma_f64 v[99:100], v[101:102], v[97:98], v[99:100]
	v_add_f64 v[87:88], v[87:88], -v[99:100]
	ds_read2_b64 v[99:102], v125 offset0:28 offset1:29
	s_waitcnt lgkmcnt(0)
	v_mul_f64 v[103:104], v[101:102], v[105:106]
	v_fma_f64 v[103:104], v[99:100], v[97:98], -v[103:104]
	v_mul_f64 v[99:100], v[99:100], v[105:106]
	v_add_f64 v[117:118], v[117:118], -v[103:104]
	v_fma_f64 v[99:100], v[101:102], v[97:98], v[99:100]
	v_add_f64 v[119:120], v[119:120], -v[99:100]
	ds_read2_b64 v[99:102], v125 offset0:30 offset1:31
	;; [unrolled: 8-line block ×5, first 2 shown]
	buffer_load_dword v81, off, s[20:23], 0 offset:32 ; 4-byte Folded Reload
	buffer_load_dword v82, off, s[20:23], 0 offset:36 ; 4-byte Folded Reload
	;; [unrolled: 1-line block ×4, first 2 shown]
	s_waitcnt lgkmcnt(0)
	v_mul_f64 v[103:104], v[101:102], v[105:106]
	v_fma_f64 v[103:104], v[99:100], v[97:98], -v[103:104]
	v_mul_f64 v[99:100], v[99:100], v[105:106]
	v_fma_f64 v[99:100], v[101:102], v[97:98], v[99:100]
	s_waitcnt vmcnt(2)
	v_add_f64 v[81:82], v[81:82], -v[103:104]
	s_waitcnt vmcnt(0)
	v_add_f64 v[83:84], v[83:84], -v[99:100]
	buffer_store_dword v81, off, s[20:23], 0 offset:32 ; 4-byte Folded Spill
	s_nop 0
	buffer_store_dword v82, off, s[20:23], 0 offset:36 ; 4-byte Folded Spill
	buffer_store_dword v83, off, s[20:23], 0 offset:40 ; 4-byte Folded Spill
	;; [unrolled: 1-line block ×3, first 2 shown]
	ds_read2_b64 v[99:102], v125 offset0:38 offset1:39
	s_waitcnt lgkmcnt(0)
	v_mul_f64 v[103:104], v[101:102], v[105:106]
	v_fma_f64 v[103:104], v[99:100], v[97:98], -v[103:104]
	v_mul_f64 v[99:100], v[99:100], v[105:106]
	v_add_f64 v[93:94], v[93:94], -v[103:104]
	v_fma_f64 v[99:100], v[101:102], v[97:98], v[99:100]
	v_add_f64 v[95:96], v[95:96], -v[99:100]
	ds_read2_b64 v[99:102], v125 offset0:40 offset1:41
	buffer_load_dword v77, off, s[20:23], 0 ; 4-byte Folded Reload
	buffer_load_dword v78, off, s[20:23], 0 offset:4 ; 4-byte Folded Reload
	buffer_load_dword v79, off, s[20:23], 0 offset:8 ; 4-byte Folded Reload
	;; [unrolled: 1-line block ×3, first 2 shown]
	s_waitcnt lgkmcnt(0)
	v_mul_f64 v[103:104], v[101:102], v[105:106]
	v_fma_f64 v[103:104], v[99:100], v[97:98], -v[103:104]
	v_mul_f64 v[99:100], v[99:100], v[105:106]
	v_fma_f64 v[99:100], v[101:102], v[97:98], v[99:100]
	s_waitcnt vmcnt(2)
	v_add_f64 v[77:78], v[77:78], -v[103:104]
	s_waitcnt vmcnt(0)
	v_add_f64 v[79:80], v[79:80], -v[99:100]
	buffer_store_dword v77, off, s[20:23], 0 ; 4-byte Folded Spill
	s_nop 0
	buffer_store_dword v78, off, s[20:23], 0 offset:4 ; 4-byte Folded Spill
	buffer_store_dword v79, off, s[20:23], 0 offset:8 ; 4-byte Folded Spill
	;; [unrolled: 1-line block ×3, first 2 shown]
	ds_read2_b64 v[99:102], v125 offset0:42 offset1:43
	s_waitcnt lgkmcnt(0)
	v_mul_f64 v[103:104], v[101:102], v[105:106]
	v_fma_f64 v[103:104], v[99:100], v[97:98], -v[103:104]
	v_mul_f64 v[99:100], v[99:100], v[105:106]
	v_add_f64 v[73:74], v[73:74], -v[103:104]
	v_fma_f64 v[99:100], v[101:102], v[97:98], v[99:100]
	v_add_f64 v[75:76], v[75:76], -v[99:100]
	ds_read2_b64 v[99:102], v125 offset0:44 offset1:45
	s_waitcnt lgkmcnt(0)
	v_mul_f64 v[103:104], v[101:102], v[105:106]
	v_fma_f64 v[103:104], v[99:100], v[97:98], -v[103:104]
	v_mul_f64 v[99:100], v[99:100], v[105:106]
	v_add_f64 v[69:70], v[69:70], -v[103:104]
	v_fma_f64 v[99:100], v[101:102], v[97:98], v[99:100]
	v_add_f64 v[71:72], v[71:72], -v[99:100]
	;; [unrolled: 8-line block ×19, first 2 shown]
	ds_read2_b64 v[99:102], v125 offset0:80 offset1:81
	buffer_load_dword v77, off, s[20:23], 0 offset:16 ; 4-byte Folded Reload
	buffer_load_dword v78, off, s[20:23], 0 offset:20 ; 4-byte Folded Reload
	;; [unrolled: 1-line block ×4, first 2 shown]
	s_waitcnt lgkmcnt(0)
	v_mul_f64 v[103:104], v[101:102], v[105:106]
	v_fma_f64 v[103:104], v[99:100], v[97:98], -v[103:104]
	v_mul_f64 v[99:100], v[99:100], v[105:106]
	v_fma_f64 v[99:100], v[101:102], v[97:98], v[99:100]
	s_waitcnt vmcnt(2)
	v_add_f64 v[77:78], v[77:78], -v[103:104]
	v_mov_b32_e32 v104, v98
	s_waitcnt vmcnt(0)
	v_add_f64 v[79:80], v[79:80], -v[99:100]
	v_mov_b32_e32 v103, v97
	buffer_store_dword v77, off, s[20:23], 0 offset:16 ; 4-byte Folded Spill
	s_nop 0
	buffer_store_dword v78, off, s[20:23], 0 offset:20 ; 4-byte Folded Spill
	buffer_store_dword v79, off, s[20:23], 0 offset:24 ; 4-byte Folded Spill
	;; [unrolled: 1-line block ×4, first 2 shown]
	s_nop 0
	buffer_store_dword v104, off, s[20:23], 0 offset:164 ; 4-byte Folded Spill
	buffer_store_dword v105, off, s[20:23], 0 offset:168 ; 4-byte Folded Spill
	;; [unrolled: 1-line block ×3, first 2 shown]
.LBB81_55:
	s_or_b64 exec, exec, s[2:3]
	v_cmp_eq_u32_e32 vcc, 6, v0
	s_waitcnt vmcnt(0)
	s_barrier
	s_and_saveexec_b64 s[4:5], vcc
	s_cbranch_execz .LBB81_62
; %bb.56:
	buffer_load_dword v77, off, s[20:23], 0 offset:144 ; 4-byte Folded Reload
	buffer_load_dword v78, off, s[20:23], 0 offset:148 ; 4-byte Folded Reload
	buffer_load_dword v79, off, s[20:23], 0 offset:152 ; 4-byte Folded Reload
	buffer_load_dword v80, off, s[20:23], 0 offset:156 ; 4-byte Folded Reload
	s_waitcnt vmcnt(0)
	ds_write2_b64 v127, v[77:78], v[79:80] offset1:1
	buffer_load_dword v77, off, s[20:23], 0 offset:128 ; 4-byte Folded Reload
	buffer_load_dword v78, off, s[20:23], 0 offset:132 ; 4-byte Folded Reload
	buffer_load_dword v79, off, s[20:23], 0 offset:136 ; 4-byte Folded Reload
	buffer_load_dword v80, off, s[20:23], 0 offset:140 ; 4-byte Folded Reload
	s_waitcnt vmcnt(0)
	ds_write2_b64 v125, v[77:78], v[79:80] offset0:14 offset1:15
	buffer_load_dword v77, off, s[20:23], 0 offset:112 ; 4-byte Folded Reload
	buffer_load_dword v78, off, s[20:23], 0 offset:116 ; 4-byte Folded Reload
	buffer_load_dword v79, off, s[20:23], 0 offset:120 ; 4-byte Folded Reload
	buffer_load_dword v80, off, s[20:23], 0 offset:124 ; 4-byte Folded Reload
	s_waitcnt vmcnt(0)
	ds_write2_b64 v125, v[77:78], v[79:80] offset0:16 offset1:17
	buffer_load_dword v77, off, s[20:23], 0 offset:96 ; 4-byte Folded Reload
	buffer_load_dword v78, off, s[20:23], 0 offset:100 ; 4-byte Folded Reload
	buffer_load_dword v79, off, s[20:23], 0 offset:104 ; 4-byte Folded Reload
	buffer_load_dword v80, off, s[20:23], 0 offset:108 ; 4-byte Folded Reload
	s_waitcnt vmcnt(0)
	ds_write2_b64 v125, v[77:78], v[79:80] offset0:18 offset1:19
	buffer_load_dword v77, off, s[20:23], 0 offset:80 ; 4-byte Folded Reload
	buffer_load_dword v78, off, s[20:23], 0 offset:84 ; 4-byte Folded Reload
	buffer_load_dword v79, off, s[20:23], 0 offset:88 ; 4-byte Folded Reload
	buffer_load_dword v80, off, s[20:23], 0 offset:92 ; 4-byte Folded Reload
	s_waitcnt vmcnt(0)
	ds_write2_b64 v125, v[77:78], v[79:80] offset0:20 offset1:21
	buffer_load_dword v77, off, s[20:23], 0 offset:64 ; 4-byte Folded Reload
	buffer_load_dword v78, off, s[20:23], 0 offset:68 ; 4-byte Folded Reload
	buffer_load_dword v79, off, s[20:23], 0 offset:72 ; 4-byte Folded Reload
	buffer_load_dword v80, off, s[20:23], 0 offset:76 ; 4-byte Folded Reload
	s_waitcnt vmcnt(0)
	ds_write2_b64 v125, v[77:78], v[79:80] offset0:22 offset1:23
	buffer_load_dword v77, off, s[20:23], 0 offset:48 ; 4-byte Folded Reload
	buffer_load_dword v78, off, s[20:23], 0 offset:52 ; 4-byte Folded Reload
	buffer_load_dword v79, off, s[20:23], 0 offset:56 ; 4-byte Folded Reload
	buffer_load_dword v80, off, s[20:23], 0 offset:60 ; 4-byte Folded Reload
	s_waitcnt vmcnt(0)
	ds_write2_b64 v125, v[77:78], v[79:80] offset0:24 offset1:25
	ds_write2_b64 v125, v[85:86], v[87:88] offset0:26 offset1:27
	ds_write2_b64 v125, v[117:118], v[119:120] offset0:28 offset1:29
	;; [unrolled: 1-line block ×5, first 2 shown]
	buffer_load_dword v81, off, s[20:23], 0 offset:32 ; 4-byte Folded Reload
	buffer_load_dword v82, off, s[20:23], 0 offset:36 ; 4-byte Folded Reload
	;; [unrolled: 1-line block ×4, first 2 shown]
	s_waitcnt vmcnt(0)
	ds_write2_b64 v125, v[81:82], v[83:84] offset0:36 offset1:37
	ds_write2_b64 v125, v[93:94], v[95:96] offset0:38 offset1:39
	buffer_load_dword v77, off, s[20:23], 0 ; 4-byte Folded Reload
	buffer_load_dword v78, off, s[20:23], 0 offset:4 ; 4-byte Folded Reload
	buffer_load_dword v79, off, s[20:23], 0 offset:8 ; 4-byte Folded Reload
	;; [unrolled: 1-line block ×3, first 2 shown]
	s_waitcnt vmcnt(0)
	ds_write2_b64 v125, v[77:78], v[79:80] offset0:40 offset1:41
	ds_write2_b64 v125, v[73:74], v[75:76] offset0:42 offset1:43
	;; [unrolled: 1-line block ×20, first 2 shown]
	buffer_load_dword v77, off, s[20:23], 0 offset:16 ; 4-byte Folded Reload
	buffer_load_dword v78, off, s[20:23], 0 offset:20 ; 4-byte Folded Reload
	;; [unrolled: 1-line block ×4, first 2 shown]
	s_waitcnt vmcnt(0)
	ds_write2_b64 v125, v[77:78], v[79:80] offset0:80 offset1:81
	ds_read2_b64 v[97:100], v127 offset1:1
	s_waitcnt lgkmcnt(0)
	v_cmp_neq_f64_e32 vcc, 0, v[97:98]
	v_cmp_neq_f64_e64 s[2:3], 0, v[99:100]
	s_or_b64 s[2:3], vcc, s[2:3]
	s_and_b64 exec, exec, s[2:3]
	s_cbranch_execz .LBB81_62
; %bb.57:
	v_cmp_ngt_f64_e64 s[2:3], |v[97:98]|, |v[99:100]|
                                        ; implicit-def: $vgpr101_vgpr102
	s_and_saveexec_b64 s[6:7], s[2:3]
	s_xor_b64 s[2:3], exec, s[6:7]
                                        ; implicit-def: $vgpr103_vgpr104
	s_cbranch_execz .LBB81_59
; %bb.58:
	v_div_scale_f64 v[101:102], s[6:7], v[99:100], v[99:100], v[97:98]
	v_rcp_f64_e32 v[103:104], v[101:102]
	v_fma_f64 v[105:106], -v[101:102], v[103:104], 1.0
	v_fma_f64 v[103:104], v[103:104], v[105:106], v[103:104]
	v_div_scale_f64 v[105:106], vcc, v[97:98], v[99:100], v[97:98]
	v_fma_f64 v[107:108], -v[101:102], v[103:104], 1.0
	v_fma_f64 v[103:104], v[103:104], v[107:108], v[103:104]
	v_mul_f64 v[107:108], v[105:106], v[103:104]
	v_fma_f64 v[101:102], -v[101:102], v[107:108], v[105:106]
	v_div_fmas_f64 v[101:102], v[101:102], v[103:104], v[107:108]
	v_div_fixup_f64 v[101:102], v[101:102], v[99:100], v[97:98]
	v_fma_f64 v[97:98], v[97:98], v[101:102], v[99:100]
	v_div_scale_f64 v[99:100], s[6:7], v[97:98], v[97:98], 1.0
	v_div_scale_f64 v[107:108], vcc, 1.0, v[97:98], 1.0
	v_rcp_f64_e32 v[103:104], v[99:100]
	v_fma_f64 v[105:106], -v[99:100], v[103:104], 1.0
	v_fma_f64 v[103:104], v[103:104], v[105:106], v[103:104]
	v_fma_f64 v[105:106], -v[99:100], v[103:104], 1.0
	v_fma_f64 v[103:104], v[103:104], v[105:106], v[103:104]
	v_mul_f64 v[105:106], v[107:108], v[103:104]
	v_fma_f64 v[99:100], -v[99:100], v[105:106], v[107:108]
	v_div_fmas_f64 v[99:100], v[99:100], v[103:104], v[105:106]
	v_div_fixup_f64 v[103:104], v[99:100], v[97:98], 1.0
                                        ; implicit-def: $vgpr97_vgpr98
	v_mul_f64 v[101:102], v[101:102], v[103:104]
	v_xor_b32_e32 v104, 0x80000000, v104
.LBB81_59:
	s_andn2_saveexec_b64 s[2:3], s[2:3]
	s_cbranch_execz .LBB81_61
; %bb.60:
	v_div_scale_f64 v[101:102], s[6:7], v[97:98], v[97:98], v[99:100]
	v_rcp_f64_e32 v[103:104], v[101:102]
	v_fma_f64 v[105:106], -v[101:102], v[103:104], 1.0
	v_fma_f64 v[103:104], v[103:104], v[105:106], v[103:104]
	v_div_scale_f64 v[105:106], vcc, v[99:100], v[97:98], v[99:100]
	v_fma_f64 v[107:108], -v[101:102], v[103:104], 1.0
	v_fma_f64 v[103:104], v[103:104], v[107:108], v[103:104]
	v_mul_f64 v[107:108], v[105:106], v[103:104]
	v_fma_f64 v[101:102], -v[101:102], v[107:108], v[105:106]
	v_div_fmas_f64 v[101:102], v[101:102], v[103:104], v[107:108]
	v_div_fixup_f64 v[103:104], v[101:102], v[97:98], v[99:100]
	v_fma_f64 v[97:98], v[99:100], v[103:104], v[97:98]
	v_div_scale_f64 v[99:100], s[6:7], v[97:98], v[97:98], 1.0
	v_div_scale_f64 v[107:108], vcc, 1.0, v[97:98], 1.0
	v_rcp_f64_e32 v[101:102], v[99:100]
	v_fma_f64 v[105:106], -v[99:100], v[101:102], 1.0
	v_fma_f64 v[101:102], v[101:102], v[105:106], v[101:102]
	v_fma_f64 v[105:106], -v[99:100], v[101:102], 1.0
	v_fma_f64 v[101:102], v[101:102], v[105:106], v[101:102]
	v_mul_f64 v[105:106], v[107:108], v[101:102]
	v_fma_f64 v[99:100], -v[99:100], v[105:106], v[107:108]
	v_div_fmas_f64 v[99:100], v[99:100], v[101:102], v[105:106]
	v_div_fixup_f64 v[101:102], v[99:100], v[97:98], 1.0
	v_mul_f64 v[103:104], v[103:104], -v[101:102]
.LBB81_61:
	s_or_b64 exec, exec, s[2:3]
	ds_write2_b64 v127, v[101:102], v[103:104] offset1:1
.LBB81_62:
	s_or_b64 exec, exec, s[4:5]
	s_waitcnt lgkmcnt(0)
	s_barrier
	ds_read2_b64 v[77:80], v127 offset1:1
	v_cmp_lt_u32_e32 vcc, 6, v0
	s_waitcnt lgkmcnt(0)
	buffer_store_dword v77, off, s[20:23], 0 offset:832 ; 4-byte Folded Spill
	s_nop 0
	buffer_store_dword v78, off, s[20:23], 0 offset:836 ; 4-byte Folded Spill
	buffer_store_dword v79, off, s[20:23], 0 offset:840 ; 4-byte Folded Spill
	;; [unrolled: 1-line block ×3, first 2 shown]
	s_and_saveexec_b64 s[2:3], vcc
	s_cbranch_execz .LBB81_64
; %bb.63:
	buffer_load_dword v103, off, s[20:23], 0 offset:144 ; 4-byte Folded Reload
	buffer_load_dword v104, off, s[20:23], 0 offset:148 ; 4-byte Folded Reload
	;; [unrolled: 1-line block ×8, first 2 shown]
	s_waitcnt vmcnt(2)
	v_mul_f64 v[99:100], v[77:78], v[105:106]
	s_waitcnt vmcnt(0)
	v_mul_f64 v[97:98], v[79:80], v[105:106]
	v_fma_f64 v[105:106], v[79:80], v[103:104], v[99:100]
	ds_read2_b64 v[99:102], v125 offset0:14 offset1:15
	v_fma_f64 v[97:98], v[77:78], v[103:104], -v[97:98]
	buffer_load_dword v77, off, s[20:23], 0 offset:128 ; 4-byte Folded Reload
	buffer_load_dword v78, off, s[20:23], 0 offset:132 ; 4-byte Folded Reload
	buffer_load_dword v79, off, s[20:23], 0 offset:136 ; 4-byte Folded Reload
	buffer_load_dword v80, off, s[20:23], 0 offset:140 ; 4-byte Folded Reload
	s_waitcnt lgkmcnt(0)
	v_mul_f64 v[103:104], v[101:102], v[105:106]
	v_fma_f64 v[103:104], v[99:100], v[97:98], -v[103:104]
	v_mul_f64 v[99:100], v[99:100], v[105:106]
	v_fma_f64 v[99:100], v[101:102], v[97:98], v[99:100]
	s_waitcnt vmcnt(2)
	v_add_f64 v[77:78], v[77:78], -v[103:104]
	s_waitcnt vmcnt(0)
	v_add_f64 v[79:80], v[79:80], -v[99:100]
	buffer_store_dword v77, off, s[20:23], 0 offset:128 ; 4-byte Folded Spill
	s_nop 0
	buffer_store_dword v78, off, s[20:23], 0 offset:132 ; 4-byte Folded Spill
	buffer_store_dword v79, off, s[20:23], 0 offset:136 ; 4-byte Folded Spill
	buffer_store_dword v80, off, s[20:23], 0 offset:140 ; 4-byte Folded Spill
	ds_read2_b64 v[99:102], v125 offset0:16 offset1:17
	buffer_load_dword v77, off, s[20:23], 0 offset:112 ; 4-byte Folded Reload
	buffer_load_dword v78, off, s[20:23], 0 offset:116 ; 4-byte Folded Reload
	buffer_load_dword v79, off, s[20:23], 0 offset:120 ; 4-byte Folded Reload
	buffer_load_dword v80, off, s[20:23], 0 offset:124 ; 4-byte Folded Reload
	s_waitcnt lgkmcnt(0)
	v_mul_f64 v[103:104], v[101:102], v[105:106]
	v_fma_f64 v[103:104], v[99:100], v[97:98], -v[103:104]
	v_mul_f64 v[99:100], v[99:100], v[105:106]
	v_fma_f64 v[99:100], v[101:102], v[97:98], v[99:100]
	s_waitcnt vmcnt(2)
	v_add_f64 v[77:78], v[77:78], -v[103:104]
	s_waitcnt vmcnt(0)
	v_add_f64 v[79:80], v[79:80], -v[99:100]
	buffer_store_dword v77, off, s[20:23], 0 offset:112 ; 4-byte Folded Spill
	s_nop 0
	buffer_store_dword v78, off, s[20:23], 0 offset:116 ; 4-byte Folded Spill
	buffer_store_dword v79, off, s[20:23], 0 offset:120 ; 4-byte Folded Spill
	buffer_store_dword v80, off, s[20:23], 0 offset:124 ; 4-byte Folded Spill
	ds_read2_b64 v[99:102], v125 offset0:18 offset1:19
	;; [unrolled: 19-line block ×6, first 2 shown]
	s_waitcnt lgkmcnt(0)
	v_mul_f64 v[103:104], v[101:102], v[105:106]
	v_fma_f64 v[103:104], v[99:100], v[97:98], -v[103:104]
	v_mul_f64 v[99:100], v[99:100], v[105:106]
	v_add_f64 v[85:86], v[85:86], -v[103:104]
	v_fma_f64 v[99:100], v[101:102], v[97:98], v[99:100]
	v_add_f64 v[87:88], v[87:88], -v[99:100]
	ds_read2_b64 v[99:102], v125 offset0:28 offset1:29
	s_waitcnt lgkmcnt(0)
	v_mul_f64 v[103:104], v[101:102], v[105:106]
	v_fma_f64 v[103:104], v[99:100], v[97:98], -v[103:104]
	v_mul_f64 v[99:100], v[99:100], v[105:106]
	v_add_f64 v[117:118], v[117:118], -v[103:104]
	v_fma_f64 v[99:100], v[101:102], v[97:98], v[99:100]
	v_add_f64 v[119:120], v[119:120], -v[99:100]
	ds_read2_b64 v[99:102], v125 offset0:30 offset1:31
	;; [unrolled: 8-line block ×5, first 2 shown]
	buffer_load_dword v81, off, s[20:23], 0 offset:32 ; 4-byte Folded Reload
	buffer_load_dword v82, off, s[20:23], 0 offset:36 ; 4-byte Folded Reload
	;; [unrolled: 1-line block ×4, first 2 shown]
	s_waitcnt lgkmcnt(0)
	v_mul_f64 v[103:104], v[101:102], v[105:106]
	v_fma_f64 v[103:104], v[99:100], v[97:98], -v[103:104]
	v_mul_f64 v[99:100], v[99:100], v[105:106]
	v_fma_f64 v[99:100], v[101:102], v[97:98], v[99:100]
	s_waitcnt vmcnt(2)
	v_add_f64 v[81:82], v[81:82], -v[103:104]
	s_waitcnt vmcnt(0)
	v_add_f64 v[83:84], v[83:84], -v[99:100]
	buffer_store_dword v81, off, s[20:23], 0 offset:32 ; 4-byte Folded Spill
	s_nop 0
	buffer_store_dword v82, off, s[20:23], 0 offset:36 ; 4-byte Folded Spill
	buffer_store_dword v83, off, s[20:23], 0 offset:40 ; 4-byte Folded Spill
	;; [unrolled: 1-line block ×3, first 2 shown]
	ds_read2_b64 v[99:102], v125 offset0:38 offset1:39
	s_waitcnt lgkmcnt(0)
	v_mul_f64 v[103:104], v[101:102], v[105:106]
	v_fma_f64 v[103:104], v[99:100], v[97:98], -v[103:104]
	v_mul_f64 v[99:100], v[99:100], v[105:106]
	v_add_f64 v[93:94], v[93:94], -v[103:104]
	v_fma_f64 v[99:100], v[101:102], v[97:98], v[99:100]
	v_add_f64 v[95:96], v[95:96], -v[99:100]
	ds_read2_b64 v[99:102], v125 offset0:40 offset1:41
	buffer_load_dword v77, off, s[20:23], 0 ; 4-byte Folded Reload
	buffer_load_dword v78, off, s[20:23], 0 offset:4 ; 4-byte Folded Reload
	buffer_load_dword v79, off, s[20:23], 0 offset:8 ; 4-byte Folded Reload
	;; [unrolled: 1-line block ×3, first 2 shown]
	s_waitcnt lgkmcnt(0)
	v_mul_f64 v[103:104], v[101:102], v[105:106]
	v_fma_f64 v[103:104], v[99:100], v[97:98], -v[103:104]
	v_mul_f64 v[99:100], v[99:100], v[105:106]
	v_fma_f64 v[99:100], v[101:102], v[97:98], v[99:100]
	s_waitcnt vmcnt(2)
	v_add_f64 v[77:78], v[77:78], -v[103:104]
	s_waitcnt vmcnt(0)
	v_add_f64 v[79:80], v[79:80], -v[99:100]
	buffer_store_dword v77, off, s[20:23], 0 ; 4-byte Folded Spill
	s_nop 0
	buffer_store_dword v78, off, s[20:23], 0 offset:4 ; 4-byte Folded Spill
	buffer_store_dword v79, off, s[20:23], 0 offset:8 ; 4-byte Folded Spill
	;; [unrolled: 1-line block ×3, first 2 shown]
	ds_read2_b64 v[99:102], v125 offset0:42 offset1:43
	s_waitcnt lgkmcnt(0)
	v_mul_f64 v[103:104], v[101:102], v[105:106]
	v_fma_f64 v[103:104], v[99:100], v[97:98], -v[103:104]
	v_mul_f64 v[99:100], v[99:100], v[105:106]
	v_add_f64 v[73:74], v[73:74], -v[103:104]
	v_fma_f64 v[99:100], v[101:102], v[97:98], v[99:100]
	v_add_f64 v[75:76], v[75:76], -v[99:100]
	ds_read2_b64 v[99:102], v125 offset0:44 offset1:45
	s_waitcnt lgkmcnt(0)
	v_mul_f64 v[103:104], v[101:102], v[105:106]
	v_fma_f64 v[103:104], v[99:100], v[97:98], -v[103:104]
	v_mul_f64 v[99:100], v[99:100], v[105:106]
	v_add_f64 v[69:70], v[69:70], -v[103:104]
	v_fma_f64 v[99:100], v[101:102], v[97:98], v[99:100]
	v_add_f64 v[71:72], v[71:72], -v[99:100]
	;; [unrolled: 8-line block ×19, first 2 shown]
	ds_read2_b64 v[99:102], v125 offset0:80 offset1:81
	buffer_load_dword v77, off, s[20:23], 0 offset:16 ; 4-byte Folded Reload
	buffer_load_dword v78, off, s[20:23], 0 offset:20 ; 4-byte Folded Reload
	;; [unrolled: 1-line block ×4, first 2 shown]
	s_waitcnt lgkmcnt(0)
	v_mul_f64 v[103:104], v[101:102], v[105:106]
	v_fma_f64 v[103:104], v[99:100], v[97:98], -v[103:104]
	v_mul_f64 v[99:100], v[99:100], v[105:106]
	v_fma_f64 v[99:100], v[101:102], v[97:98], v[99:100]
	s_waitcnt vmcnt(2)
	v_add_f64 v[77:78], v[77:78], -v[103:104]
	v_mov_b32_e32 v104, v98
	s_waitcnt vmcnt(0)
	v_add_f64 v[79:80], v[79:80], -v[99:100]
	v_mov_b32_e32 v103, v97
	buffer_store_dword v77, off, s[20:23], 0 offset:16 ; 4-byte Folded Spill
	s_nop 0
	buffer_store_dword v78, off, s[20:23], 0 offset:20 ; 4-byte Folded Spill
	buffer_store_dword v79, off, s[20:23], 0 offset:24 ; 4-byte Folded Spill
	;; [unrolled: 1-line block ×4, first 2 shown]
	s_nop 0
	buffer_store_dword v104, off, s[20:23], 0 offset:148 ; 4-byte Folded Spill
	buffer_store_dword v105, off, s[20:23], 0 offset:152 ; 4-byte Folded Spill
	;; [unrolled: 1-line block ×3, first 2 shown]
.LBB81_64:
	s_or_b64 exec, exec, s[2:3]
	v_cmp_eq_u32_e32 vcc, 7, v0
	s_waitcnt vmcnt(0)
	s_barrier
	s_and_saveexec_b64 s[4:5], vcc
	s_cbranch_execz .LBB81_71
; %bb.65:
	buffer_load_dword v77, off, s[20:23], 0 offset:128 ; 4-byte Folded Reload
	buffer_load_dword v78, off, s[20:23], 0 offset:132 ; 4-byte Folded Reload
	;; [unrolled: 1-line block ×4, first 2 shown]
	s_waitcnt vmcnt(0)
	ds_write2_b64 v127, v[77:78], v[79:80] offset1:1
	buffer_load_dword v77, off, s[20:23], 0 offset:112 ; 4-byte Folded Reload
	buffer_load_dword v78, off, s[20:23], 0 offset:116 ; 4-byte Folded Reload
	buffer_load_dword v79, off, s[20:23], 0 offset:120 ; 4-byte Folded Reload
	buffer_load_dword v80, off, s[20:23], 0 offset:124 ; 4-byte Folded Reload
	s_waitcnt vmcnt(0)
	ds_write2_b64 v125, v[77:78], v[79:80] offset0:16 offset1:17
	buffer_load_dword v77, off, s[20:23], 0 offset:96 ; 4-byte Folded Reload
	buffer_load_dword v78, off, s[20:23], 0 offset:100 ; 4-byte Folded Reload
	buffer_load_dword v79, off, s[20:23], 0 offset:104 ; 4-byte Folded Reload
	buffer_load_dword v80, off, s[20:23], 0 offset:108 ; 4-byte Folded Reload
	s_waitcnt vmcnt(0)
	ds_write2_b64 v125, v[77:78], v[79:80] offset0:18 offset1:19
	;; [unrolled: 6-line block ×5, first 2 shown]
	ds_write2_b64 v125, v[85:86], v[87:88] offset0:26 offset1:27
	ds_write2_b64 v125, v[117:118], v[119:120] offset0:28 offset1:29
	;; [unrolled: 1-line block ×5, first 2 shown]
	buffer_load_dword v81, off, s[20:23], 0 offset:32 ; 4-byte Folded Reload
	buffer_load_dword v82, off, s[20:23], 0 offset:36 ; 4-byte Folded Reload
	;; [unrolled: 1-line block ×4, first 2 shown]
	s_waitcnt vmcnt(0)
	ds_write2_b64 v125, v[81:82], v[83:84] offset0:36 offset1:37
	ds_write2_b64 v125, v[93:94], v[95:96] offset0:38 offset1:39
	buffer_load_dword v77, off, s[20:23], 0 ; 4-byte Folded Reload
	buffer_load_dword v78, off, s[20:23], 0 offset:4 ; 4-byte Folded Reload
	buffer_load_dword v79, off, s[20:23], 0 offset:8 ; 4-byte Folded Reload
	buffer_load_dword v80, off, s[20:23], 0 offset:12 ; 4-byte Folded Reload
	s_waitcnt vmcnt(0)
	ds_write2_b64 v125, v[77:78], v[79:80] offset0:40 offset1:41
	ds_write2_b64 v125, v[73:74], v[75:76] offset0:42 offset1:43
	ds_write2_b64 v125, v[69:70], v[71:72] offset0:44 offset1:45
	ds_write2_b64 v125, v[65:66], v[67:68] offset0:46 offset1:47
	ds_write2_b64 v125, v[61:62], v[63:64] offset0:48 offset1:49
	ds_write2_b64 v125, v[57:58], v[59:60] offset0:50 offset1:51
	ds_write2_b64 v125, v[53:54], v[55:56] offset0:52 offset1:53
	ds_write2_b64 v125, v[49:50], v[51:52] offset0:54 offset1:55
	ds_write2_b64 v125, v[45:46], v[47:48] offset0:56 offset1:57
	ds_write2_b64 v125, v[41:42], v[43:44] offset0:58 offset1:59
	ds_write2_b64 v125, v[37:38], v[39:40] offset0:60 offset1:61
	ds_write2_b64 v125, v[33:34], v[35:36] offset0:62 offset1:63
	ds_write2_b64 v125, v[29:30], v[31:32] offset0:64 offset1:65
	ds_write2_b64 v125, v[25:26], v[27:28] offset0:66 offset1:67
	ds_write2_b64 v125, v[21:22], v[23:24] offset0:68 offset1:69
	ds_write2_b64 v125, v[17:18], v[19:20] offset0:70 offset1:71
	ds_write2_b64 v125, v[13:14], v[15:16] offset0:72 offset1:73
	ds_write2_b64 v125, v[9:10], v[11:12] offset0:74 offset1:75
	ds_write2_b64 v125, v[5:6], v[7:8] offset0:76 offset1:77
	ds_write2_b64 v125, v[1:2], v[3:4] offset0:78 offset1:79
	buffer_load_dword v77, off, s[20:23], 0 offset:16 ; 4-byte Folded Reload
	buffer_load_dword v78, off, s[20:23], 0 offset:20 ; 4-byte Folded Reload
	;; [unrolled: 1-line block ×4, first 2 shown]
	s_waitcnt vmcnt(0)
	ds_write2_b64 v125, v[77:78], v[79:80] offset0:80 offset1:81
	ds_read2_b64 v[97:100], v127 offset1:1
	s_waitcnt lgkmcnt(0)
	v_cmp_neq_f64_e32 vcc, 0, v[97:98]
	v_cmp_neq_f64_e64 s[2:3], 0, v[99:100]
	s_or_b64 s[2:3], vcc, s[2:3]
	s_and_b64 exec, exec, s[2:3]
	s_cbranch_execz .LBB81_71
; %bb.66:
	v_cmp_ngt_f64_e64 s[2:3], |v[97:98]|, |v[99:100]|
                                        ; implicit-def: $vgpr101_vgpr102
	s_and_saveexec_b64 s[6:7], s[2:3]
	s_xor_b64 s[2:3], exec, s[6:7]
                                        ; implicit-def: $vgpr103_vgpr104
	s_cbranch_execz .LBB81_68
; %bb.67:
	v_div_scale_f64 v[101:102], s[6:7], v[99:100], v[99:100], v[97:98]
	v_rcp_f64_e32 v[103:104], v[101:102]
	v_fma_f64 v[105:106], -v[101:102], v[103:104], 1.0
	v_fma_f64 v[103:104], v[103:104], v[105:106], v[103:104]
	v_div_scale_f64 v[105:106], vcc, v[97:98], v[99:100], v[97:98]
	v_fma_f64 v[107:108], -v[101:102], v[103:104], 1.0
	v_fma_f64 v[103:104], v[103:104], v[107:108], v[103:104]
	v_mul_f64 v[107:108], v[105:106], v[103:104]
	v_fma_f64 v[101:102], -v[101:102], v[107:108], v[105:106]
	v_div_fmas_f64 v[101:102], v[101:102], v[103:104], v[107:108]
	v_div_fixup_f64 v[101:102], v[101:102], v[99:100], v[97:98]
	v_fma_f64 v[97:98], v[97:98], v[101:102], v[99:100]
	v_div_scale_f64 v[99:100], s[6:7], v[97:98], v[97:98], 1.0
	v_div_scale_f64 v[107:108], vcc, 1.0, v[97:98], 1.0
	v_rcp_f64_e32 v[103:104], v[99:100]
	v_fma_f64 v[105:106], -v[99:100], v[103:104], 1.0
	v_fma_f64 v[103:104], v[103:104], v[105:106], v[103:104]
	v_fma_f64 v[105:106], -v[99:100], v[103:104], 1.0
	v_fma_f64 v[103:104], v[103:104], v[105:106], v[103:104]
	v_mul_f64 v[105:106], v[107:108], v[103:104]
	v_fma_f64 v[99:100], -v[99:100], v[105:106], v[107:108]
	v_div_fmas_f64 v[99:100], v[99:100], v[103:104], v[105:106]
	v_div_fixup_f64 v[103:104], v[99:100], v[97:98], 1.0
                                        ; implicit-def: $vgpr97_vgpr98
	v_mul_f64 v[101:102], v[101:102], v[103:104]
	v_xor_b32_e32 v104, 0x80000000, v104
.LBB81_68:
	s_andn2_saveexec_b64 s[2:3], s[2:3]
	s_cbranch_execz .LBB81_70
; %bb.69:
	v_div_scale_f64 v[101:102], s[6:7], v[97:98], v[97:98], v[99:100]
	v_rcp_f64_e32 v[103:104], v[101:102]
	v_fma_f64 v[105:106], -v[101:102], v[103:104], 1.0
	v_fma_f64 v[103:104], v[103:104], v[105:106], v[103:104]
	v_div_scale_f64 v[105:106], vcc, v[99:100], v[97:98], v[99:100]
	v_fma_f64 v[107:108], -v[101:102], v[103:104], 1.0
	v_fma_f64 v[103:104], v[103:104], v[107:108], v[103:104]
	v_mul_f64 v[107:108], v[105:106], v[103:104]
	v_fma_f64 v[101:102], -v[101:102], v[107:108], v[105:106]
	v_div_fmas_f64 v[101:102], v[101:102], v[103:104], v[107:108]
	v_div_fixup_f64 v[103:104], v[101:102], v[97:98], v[99:100]
	v_fma_f64 v[97:98], v[99:100], v[103:104], v[97:98]
	v_div_scale_f64 v[99:100], s[6:7], v[97:98], v[97:98], 1.0
	v_div_scale_f64 v[107:108], vcc, 1.0, v[97:98], 1.0
	v_rcp_f64_e32 v[101:102], v[99:100]
	v_fma_f64 v[105:106], -v[99:100], v[101:102], 1.0
	v_fma_f64 v[101:102], v[101:102], v[105:106], v[101:102]
	v_fma_f64 v[105:106], -v[99:100], v[101:102], 1.0
	v_fma_f64 v[101:102], v[101:102], v[105:106], v[101:102]
	v_mul_f64 v[105:106], v[107:108], v[101:102]
	v_fma_f64 v[99:100], -v[99:100], v[105:106], v[107:108]
	v_div_fmas_f64 v[99:100], v[99:100], v[101:102], v[105:106]
	v_div_fixup_f64 v[101:102], v[99:100], v[97:98], 1.0
	v_mul_f64 v[103:104], v[103:104], -v[101:102]
.LBB81_70:
	s_or_b64 exec, exec, s[2:3]
	ds_write2_b64 v127, v[101:102], v[103:104] offset1:1
.LBB81_71:
	s_or_b64 exec, exec, s[4:5]
	s_waitcnt lgkmcnt(0)
	s_barrier
	ds_read2_b64 v[77:80], v127 offset1:1
	v_cmp_lt_u32_e32 vcc, 7, v0
	s_waitcnt lgkmcnt(0)
	buffer_store_dword v77, off, s[20:23], 0 offset:848 ; 4-byte Folded Spill
	s_nop 0
	buffer_store_dword v78, off, s[20:23], 0 offset:852 ; 4-byte Folded Spill
	buffer_store_dword v79, off, s[20:23], 0 offset:856 ; 4-byte Folded Spill
	;; [unrolled: 1-line block ×3, first 2 shown]
	s_and_saveexec_b64 s[2:3], vcc
	s_cbranch_execz .LBB81_73
; %bb.72:
	buffer_load_dword v103, off, s[20:23], 0 offset:128 ; 4-byte Folded Reload
	buffer_load_dword v104, off, s[20:23], 0 offset:132 ; 4-byte Folded Reload
	;; [unrolled: 1-line block ×8, first 2 shown]
	s_waitcnt vmcnt(2)
	v_mul_f64 v[99:100], v[77:78], v[105:106]
	s_waitcnt vmcnt(0)
	v_mul_f64 v[97:98], v[79:80], v[105:106]
	v_fma_f64 v[105:106], v[79:80], v[103:104], v[99:100]
	ds_read2_b64 v[99:102], v125 offset0:16 offset1:17
	v_fma_f64 v[97:98], v[77:78], v[103:104], -v[97:98]
	buffer_load_dword v77, off, s[20:23], 0 offset:112 ; 4-byte Folded Reload
	buffer_load_dword v78, off, s[20:23], 0 offset:116 ; 4-byte Folded Reload
	buffer_load_dword v79, off, s[20:23], 0 offset:120 ; 4-byte Folded Reload
	buffer_load_dword v80, off, s[20:23], 0 offset:124 ; 4-byte Folded Reload
	s_waitcnt lgkmcnt(0)
	v_mul_f64 v[103:104], v[101:102], v[105:106]
	v_fma_f64 v[103:104], v[99:100], v[97:98], -v[103:104]
	v_mul_f64 v[99:100], v[99:100], v[105:106]
	v_fma_f64 v[99:100], v[101:102], v[97:98], v[99:100]
	s_waitcnt vmcnt(2)
	v_add_f64 v[77:78], v[77:78], -v[103:104]
	s_waitcnt vmcnt(0)
	v_add_f64 v[79:80], v[79:80], -v[99:100]
	buffer_store_dword v77, off, s[20:23], 0 offset:112 ; 4-byte Folded Spill
	s_nop 0
	buffer_store_dword v78, off, s[20:23], 0 offset:116 ; 4-byte Folded Spill
	buffer_store_dword v79, off, s[20:23], 0 offset:120 ; 4-byte Folded Spill
	buffer_store_dword v80, off, s[20:23], 0 offset:124 ; 4-byte Folded Spill
	ds_read2_b64 v[99:102], v125 offset0:18 offset1:19
	buffer_load_dword v77, off, s[20:23], 0 offset:96 ; 4-byte Folded Reload
	buffer_load_dword v78, off, s[20:23], 0 offset:100 ; 4-byte Folded Reload
	buffer_load_dword v79, off, s[20:23], 0 offset:104 ; 4-byte Folded Reload
	buffer_load_dword v80, off, s[20:23], 0 offset:108 ; 4-byte Folded Reload
	s_waitcnt lgkmcnt(0)
	v_mul_f64 v[103:104], v[101:102], v[105:106]
	v_fma_f64 v[103:104], v[99:100], v[97:98], -v[103:104]
	v_mul_f64 v[99:100], v[99:100], v[105:106]
	v_fma_f64 v[99:100], v[101:102], v[97:98], v[99:100]
	s_waitcnt vmcnt(2)
	v_add_f64 v[77:78], v[77:78], -v[103:104]
	s_waitcnt vmcnt(0)
	v_add_f64 v[79:80], v[79:80], -v[99:100]
	buffer_store_dword v77, off, s[20:23], 0 offset:96 ; 4-byte Folded Spill
	s_nop 0
	buffer_store_dword v78, off, s[20:23], 0 offset:100 ; 4-byte Folded Spill
	buffer_store_dword v79, off, s[20:23], 0 offset:104 ; 4-byte Folded Spill
	buffer_store_dword v80, off, s[20:23], 0 offset:108 ; 4-byte Folded Spill
	ds_read2_b64 v[99:102], v125 offset0:20 offset1:21
	buffer_load_dword v77, off, s[20:23], 0 offset:80 ; 4-byte Folded Reload
	buffer_load_dword v78, off, s[20:23], 0 offset:84 ; 4-byte Folded Reload
	buffer_load_dword v79, off, s[20:23], 0 offset:88 ; 4-byte Folded Reload
	buffer_load_dword v80, off, s[20:23], 0 offset:92 ; 4-byte Folded Reload
	s_waitcnt lgkmcnt(0)
	v_mul_f64 v[103:104], v[101:102], v[105:106]
	v_fma_f64 v[103:104], v[99:100], v[97:98], -v[103:104]
	v_mul_f64 v[99:100], v[99:100], v[105:106]
	v_fma_f64 v[99:100], v[101:102], v[97:98], v[99:100]
	s_waitcnt vmcnt(2)
	v_add_f64 v[77:78], v[77:78], -v[103:104]
	s_waitcnt vmcnt(0)
	v_add_f64 v[79:80], v[79:80], -v[99:100]
	buffer_store_dword v77, off, s[20:23], 0 offset:80 ; 4-byte Folded Spill
	s_nop 0
	buffer_store_dword v78, off, s[20:23], 0 offset:84 ; 4-byte Folded Spill
	buffer_store_dword v79, off, s[20:23], 0 offset:88 ; 4-byte Folded Spill
	buffer_store_dword v80, off, s[20:23], 0 offset:92 ; 4-byte Folded Spill
	ds_read2_b64 v[99:102], v125 offset0:22 offset1:23
	buffer_load_dword v77, off, s[20:23], 0 offset:64 ; 4-byte Folded Reload
	buffer_load_dword v78, off, s[20:23], 0 offset:68 ; 4-byte Folded Reload
	buffer_load_dword v79, off, s[20:23], 0 offset:72 ; 4-byte Folded Reload
	buffer_load_dword v80, off, s[20:23], 0 offset:76 ; 4-byte Folded Reload
	s_waitcnt lgkmcnt(0)
	v_mul_f64 v[103:104], v[101:102], v[105:106]
	v_fma_f64 v[103:104], v[99:100], v[97:98], -v[103:104]
	v_mul_f64 v[99:100], v[99:100], v[105:106]
	v_fma_f64 v[99:100], v[101:102], v[97:98], v[99:100]
	s_waitcnt vmcnt(2)
	v_add_f64 v[77:78], v[77:78], -v[103:104]
	s_waitcnt vmcnt(0)
	v_add_f64 v[79:80], v[79:80], -v[99:100]
	buffer_store_dword v77, off, s[20:23], 0 offset:64 ; 4-byte Folded Spill
	s_nop 0
	buffer_store_dword v78, off, s[20:23], 0 offset:68 ; 4-byte Folded Spill
	buffer_store_dword v79, off, s[20:23], 0 offset:72 ; 4-byte Folded Spill
	buffer_store_dword v80, off, s[20:23], 0 offset:76 ; 4-byte Folded Spill
	ds_read2_b64 v[99:102], v125 offset0:24 offset1:25
	buffer_load_dword v77, off, s[20:23], 0 offset:48 ; 4-byte Folded Reload
	buffer_load_dword v78, off, s[20:23], 0 offset:52 ; 4-byte Folded Reload
	buffer_load_dword v79, off, s[20:23], 0 offset:56 ; 4-byte Folded Reload
	buffer_load_dword v80, off, s[20:23], 0 offset:60 ; 4-byte Folded Reload
	s_waitcnt lgkmcnt(0)
	v_mul_f64 v[103:104], v[101:102], v[105:106]
	v_fma_f64 v[103:104], v[99:100], v[97:98], -v[103:104]
	v_mul_f64 v[99:100], v[99:100], v[105:106]
	v_fma_f64 v[99:100], v[101:102], v[97:98], v[99:100]
	s_waitcnt vmcnt(2)
	v_add_f64 v[77:78], v[77:78], -v[103:104]
	s_waitcnt vmcnt(0)
	v_add_f64 v[79:80], v[79:80], -v[99:100]
	buffer_store_dword v77, off, s[20:23], 0 offset:48 ; 4-byte Folded Spill
	s_nop 0
	buffer_store_dword v78, off, s[20:23], 0 offset:52 ; 4-byte Folded Spill
	buffer_store_dword v79, off, s[20:23], 0 offset:56 ; 4-byte Folded Spill
	buffer_store_dword v80, off, s[20:23], 0 offset:60 ; 4-byte Folded Spill
	ds_read2_b64 v[99:102], v125 offset0:26 offset1:27
	s_waitcnt lgkmcnt(0)
	v_mul_f64 v[103:104], v[101:102], v[105:106]
	v_fma_f64 v[103:104], v[99:100], v[97:98], -v[103:104]
	v_mul_f64 v[99:100], v[99:100], v[105:106]
	v_add_f64 v[85:86], v[85:86], -v[103:104]
	v_fma_f64 v[99:100], v[101:102], v[97:98], v[99:100]
	v_add_f64 v[87:88], v[87:88], -v[99:100]
	ds_read2_b64 v[99:102], v125 offset0:28 offset1:29
	s_waitcnt lgkmcnt(0)
	v_mul_f64 v[103:104], v[101:102], v[105:106]
	v_fma_f64 v[103:104], v[99:100], v[97:98], -v[103:104]
	v_mul_f64 v[99:100], v[99:100], v[105:106]
	v_add_f64 v[117:118], v[117:118], -v[103:104]
	v_fma_f64 v[99:100], v[101:102], v[97:98], v[99:100]
	v_add_f64 v[119:120], v[119:120], -v[99:100]
	ds_read2_b64 v[99:102], v125 offset0:30 offset1:31
	;; [unrolled: 8-line block ×5, first 2 shown]
	buffer_load_dword v81, off, s[20:23], 0 offset:32 ; 4-byte Folded Reload
	buffer_load_dword v82, off, s[20:23], 0 offset:36 ; 4-byte Folded Reload
	;; [unrolled: 1-line block ×4, first 2 shown]
	s_waitcnt lgkmcnt(0)
	v_mul_f64 v[103:104], v[101:102], v[105:106]
	v_fma_f64 v[103:104], v[99:100], v[97:98], -v[103:104]
	v_mul_f64 v[99:100], v[99:100], v[105:106]
	v_fma_f64 v[99:100], v[101:102], v[97:98], v[99:100]
	s_waitcnt vmcnt(2)
	v_add_f64 v[81:82], v[81:82], -v[103:104]
	s_waitcnt vmcnt(0)
	v_add_f64 v[83:84], v[83:84], -v[99:100]
	buffer_store_dword v81, off, s[20:23], 0 offset:32 ; 4-byte Folded Spill
	s_nop 0
	buffer_store_dword v82, off, s[20:23], 0 offset:36 ; 4-byte Folded Spill
	buffer_store_dword v83, off, s[20:23], 0 offset:40 ; 4-byte Folded Spill
	;; [unrolled: 1-line block ×3, first 2 shown]
	ds_read2_b64 v[99:102], v125 offset0:38 offset1:39
	s_waitcnt lgkmcnt(0)
	v_mul_f64 v[103:104], v[101:102], v[105:106]
	v_fma_f64 v[103:104], v[99:100], v[97:98], -v[103:104]
	v_mul_f64 v[99:100], v[99:100], v[105:106]
	v_add_f64 v[93:94], v[93:94], -v[103:104]
	v_fma_f64 v[99:100], v[101:102], v[97:98], v[99:100]
	v_add_f64 v[95:96], v[95:96], -v[99:100]
	ds_read2_b64 v[99:102], v125 offset0:40 offset1:41
	buffer_load_dword v77, off, s[20:23], 0 ; 4-byte Folded Reload
	buffer_load_dword v78, off, s[20:23], 0 offset:4 ; 4-byte Folded Reload
	buffer_load_dword v79, off, s[20:23], 0 offset:8 ; 4-byte Folded Reload
	;; [unrolled: 1-line block ×3, first 2 shown]
	s_waitcnt lgkmcnt(0)
	v_mul_f64 v[103:104], v[101:102], v[105:106]
	v_fma_f64 v[103:104], v[99:100], v[97:98], -v[103:104]
	v_mul_f64 v[99:100], v[99:100], v[105:106]
	v_fma_f64 v[99:100], v[101:102], v[97:98], v[99:100]
	s_waitcnt vmcnt(2)
	v_add_f64 v[77:78], v[77:78], -v[103:104]
	s_waitcnt vmcnt(0)
	v_add_f64 v[79:80], v[79:80], -v[99:100]
	buffer_store_dword v77, off, s[20:23], 0 ; 4-byte Folded Spill
	s_nop 0
	buffer_store_dword v78, off, s[20:23], 0 offset:4 ; 4-byte Folded Spill
	buffer_store_dword v79, off, s[20:23], 0 offset:8 ; 4-byte Folded Spill
	;; [unrolled: 1-line block ×3, first 2 shown]
	ds_read2_b64 v[99:102], v125 offset0:42 offset1:43
	s_waitcnt lgkmcnt(0)
	v_mul_f64 v[103:104], v[101:102], v[105:106]
	v_fma_f64 v[103:104], v[99:100], v[97:98], -v[103:104]
	v_mul_f64 v[99:100], v[99:100], v[105:106]
	v_add_f64 v[73:74], v[73:74], -v[103:104]
	v_fma_f64 v[99:100], v[101:102], v[97:98], v[99:100]
	v_add_f64 v[75:76], v[75:76], -v[99:100]
	ds_read2_b64 v[99:102], v125 offset0:44 offset1:45
	s_waitcnt lgkmcnt(0)
	v_mul_f64 v[103:104], v[101:102], v[105:106]
	v_fma_f64 v[103:104], v[99:100], v[97:98], -v[103:104]
	v_mul_f64 v[99:100], v[99:100], v[105:106]
	v_add_f64 v[69:70], v[69:70], -v[103:104]
	v_fma_f64 v[99:100], v[101:102], v[97:98], v[99:100]
	v_add_f64 v[71:72], v[71:72], -v[99:100]
	;; [unrolled: 8-line block ×19, first 2 shown]
	ds_read2_b64 v[99:102], v125 offset0:80 offset1:81
	buffer_load_dword v77, off, s[20:23], 0 offset:16 ; 4-byte Folded Reload
	buffer_load_dword v78, off, s[20:23], 0 offset:20 ; 4-byte Folded Reload
	;; [unrolled: 1-line block ×4, first 2 shown]
	s_waitcnt lgkmcnt(0)
	v_mul_f64 v[103:104], v[101:102], v[105:106]
	v_fma_f64 v[103:104], v[99:100], v[97:98], -v[103:104]
	v_mul_f64 v[99:100], v[99:100], v[105:106]
	v_fma_f64 v[99:100], v[101:102], v[97:98], v[99:100]
	s_waitcnt vmcnt(2)
	v_add_f64 v[77:78], v[77:78], -v[103:104]
	v_mov_b32_e32 v104, v98
	s_waitcnt vmcnt(0)
	v_add_f64 v[79:80], v[79:80], -v[99:100]
	v_mov_b32_e32 v103, v97
	buffer_store_dword v77, off, s[20:23], 0 offset:16 ; 4-byte Folded Spill
	s_nop 0
	buffer_store_dword v78, off, s[20:23], 0 offset:20 ; 4-byte Folded Spill
	buffer_store_dword v79, off, s[20:23], 0 offset:24 ; 4-byte Folded Spill
	;; [unrolled: 1-line block ×4, first 2 shown]
	s_nop 0
	buffer_store_dword v104, off, s[20:23], 0 offset:132 ; 4-byte Folded Spill
	buffer_store_dword v105, off, s[20:23], 0 offset:136 ; 4-byte Folded Spill
	;; [unrolled: 1-line block ×3, first 2 shown]
.LBB81_73:
	s_or_b64 exec, exec, s[2:3]
	v_cmp_eq_u32_e32 vcc, 8, v0
	s_waitcnt vmcnt(0)
	s_barrier
	s_and_saveexec_b64 s[4:5], vcc
	s_cbranch_execz .LBB81_80
; %bb.74:
	buffer_load_dword v77, off, s[20:23], 0 offset:112 ; 4-byte Folded Reload
	buffer_load_dword v78, off, s[20:23], 0 offset:116 ; 4-byte Folded Reload
	;; [unrolled: 1-line block ×4, first 2 shown]
	s_waitcnt vmcnt(0)
	ds_write2_b64 v127, v[77:78], v[79:80] offset1:1
	buffer_load_dword v77, off, s[20:23], 0 offset:96 ; 4-byte Folded Reload
	buffer_load_dword v78, off, s[20:23], 0 offset:100 ; 4-byte Folded Reload
	buffer_load_dword v79, off, s[20:23], 0 offset:104 ; 4-byte Folded Reload
	buffer_load_dword v80, off, s[20:23], 0 offset:108 ; 4-byte Folded Reload
	s_waitcnt vmcnt(0)
	ds_write2_b64 v125, v[77:78], v[79:80] offset0:18 offset1:19
	buffer_load_dword v77, off, s[20:23], 0 offset:80 ; 4-byte Folded Reload
	buffer_load_dword v78, off, s[20:23], 0 offset:84 ; 4-byte Folded Reload
	buffer_load_dword v79, off, s[20:23], 0 offset:88 ; 4-byte Folded Reload
	buffer_load_dword v80, off, s[20:23], 0 offset:92 ; 4-byte Folded Reload
	s_waitcnt vmcnt(0)
	ds_write2_b64 v125, v[77:78], v[79:80] offset0:20 offset1:21
	;; [unrolled: 6-line block ×4, first 2 shown]
	ds_write2_b64 v125, v[85:86], v[87:88] offset0:26 offset1:27
	ds_write2_b64 v125, v[117:118], v[119:120] offset0:28 offset1:29
	ds_write2_b64 v125, v[121:122], v[123:124] offset0:30 offset1:31
	ds_write2_b64 v125, v[109:110], v[111:112] offset0:32 offset1:33
	ds_write2_b64 v125, v[113:114], v[115:116] offset0:34 offset1:35
	buffer_load_dword v81, off, s[20:23], 0 offset:32 ; 4-byte Folded Reload
	buffer_load_dword v82, off, s[20:23], 0 offset:36 ; 4-byte Folded Reload
	;; [unrolled: 1-line block ×4, first 2 shown]
	s_waitcnt vmcnt(0)
	ds_write2_b64 v125, v[81:82], v[83:84] offset0:36 offset1:37
	ds_write2_b64 v125, v[93:94], v[95:96] offset0:38 offset1:39
	buffer_load_dword v77, off, s[20:23], 0 ; 4-byte Folded Reload
	buffer_load_dword v78, off, s[20:23], 0 offset:4 ; 4-byte Folded Reload
	buffer_load_dword v79, off, s[20:23], 0 offset:8 ; 4-byte Folded Reload
	;; [unrolled: 1-line block ×3, first 2 shown]
	s_waitcnt vmcnt(0)
	ds_write2_b64 v125, v[77:78], v[79:80] offset0:40 offset1:41
	ds_write2_b64 v125, v[73:74], v[75:76] offset0:42 offset1:43
	;; [unrolled: 1-line block ×20, first 2 shown]
	buffer_load_dword v77, off, s[20:23], 0 offset:16 ; 4-byte Folded Reload
	buffer_load_dword v78, off, s[20:23], 0 offset:20 ; 4-byte Folded Reload
	;; [unrolled: 1-line block ×4, first 2 shown]
	s_waitcnt vmcnt(0)
	ds_write2_b64 v125, v[77:78], v[79:80] offset0:80 offset1:81
	ds_read2_b64 v[97:100], v127 offset1:1
	s_waitcnt lgkmcnt(0)
	v_cmp_neq_f64_e32 vcc, 0, v[97:98]
	v_cmp_neq_f64_e64 s[2:3], 0, v[99:100]
	s_or_b64 s[2:3], vcc, s[2:3]
	s_and_b64 exec, exec, s[2:3]
	s_cbranch_execz .LBB81_80
; %bb.75:
	v_cmp_ngt_f64_e64 s[2:3], |v[97:98]|, |v[99:100]|
                                        ; implicit-def: $vgpr101_vgpr102
	s_and_saveexec_b64 s[6:7], s[2:3]
	s_xor_b64 s[2:3], exec, s[6:7]
                                        ; implicit-def: $vgpr103_vgpr104
	s_cbranch_execz .LBB81_77
; %bb.76:
	v_div_scale_f64 v[101:102], s[6:7], v[99:100], v[99:100], v[97:98]
	v_rcp_f64_e32 v[103:104], v[101:102]
	v_fma_f64 v[105:106], -v[101:102], v[103:104], 1.0
	v_fma_f64 v[103:104], v[103:104], v[105:106], v[103:104]
	v_div_scale_f64 v[105:106], vcc, v[97:98], v[99:100], v[97:98]
	v_fma_f64 v[107:108], -v[101:102], v[103:104], 1.0
	v_fma_f64 v[103:104], v[103:104], v[107:108], v[103:104]
	v_mul_f64 v[107:108], v[105:106], v[103:104]
	v_fma_f64 v[101:102], -v[101:102], v[107:108], v[105:106]
	v_div_fmas_f64 v[101:102], v[101:102], v[103:104], v[107:108]
	v_div_fixup_f64 v[101:102], v[101:102], v[99:100], v[97:98]
	v_fma_f64 v[97:98], v[97:98], v[101:102], v[99:100]
	v_div_scale_f64 v[99:100], s[6:7], v[97:98], v[97:98], 1.0
	v_div_scale_f64 v[107:108], vcc, 1.0, v[97:98], 1.0
	v_rcp_f64_e32 v[103:104], v[99:100]
	v_fma_f64 v[105:106], -v[99:100], v[103:104], 1.0
	v_fma_f64 v[103:104], v[103:104], v[105:106], v[103:104]
	v_fma_f64 v[105:106], -v[99:100], v[103:104], 1.0
	v_fma_f64 v[103:104], v[103:104], v[105:106], v[103:104]
	v_mul_f64 v[105:106], v[107:108], v[103:104]
	v_fma_f64 v[99:100], -v[99:100], v[105:106], v[107:108]
	v_div_fmas_f64 v[99:100], v[99:100], v[103:104], v[105:106]
	v_div_fixup_f64 v[103:104], v[99:100], v[97:98], 1.0
                                        ; implicit-def: $vgpr97_vgpr98
	v_mul_f64 v[101:102], v[101:102], v[103:104]
	v_xor_b32_e32 v104, 0x80000000, v104
.LBB81_77:
	s_andn2_saveexec_b64 s[2:3], s[2:3]
	s_cbranch_execz .LBB81_79
; %bb.78:
	v_div_scale_f64 v[101:102], s[6:7], v[97:98], v[97:98], v[99:100]
	v_rcp_f64_e32 v[103:104], v[101:102]
	v_fma_f64 v[105:106], -v[101:102], v[103:104], 1.0
	v_fma_f64 v[103:104], v[103:104], v[105:106], v[103:104]
	v_div_scale_f64 v[105:106], vcc, v[99:100], v[97:98], v[99:100]
	v_fma_f64 v[107:108], -v[101:102], v[103:104], 1.0
	v_fma_f64 v[103:104], v[103:104], v[107:108], v[103:104]
	v_mul_f64 v[107:108], v[105:106], v[103:104]
	v_fma_f64 v[101:102], -v[101:102], v[107:108], v[105:106]
	v_div_fmas_f64 v[101:102], v[101:102], v[103:104], v[107:108]
	v_div_fixup_f64 v[103:104], v[101:102], v[97:98], v[99:100]
	v_fma_f64 v[97:98], v[99:100], v[103:104], v[97:98]
	v_div_scale_f64 v[99:100], s[6:7], v[97:98], v[97:98], 1.0
	v_div_scale_f64 v[107:108], vcc, 1.0, v[97:98], 1.0
	v_rcp_f64_e32 v[101:102], v[99:100]
	v_fma_f64 v[105:106], -v[99:100], v[101:102], 1.0
	v_fma_f64 v[101:102], v[101:102], v[105:106], v[101:102]
	v_fma_f64 v[105:106], -v[99:100], v[101:102], 1.0
	v_fma_f64 v[101:102], v[101:102], v[105:106], v[101:102]
	v_mul_f64 v[105:106], v[107:108], v[101:102]
	v_fma_f64 v[99:100], -v[99:100], v[105:106], v[107:108]
	v_div_fmas_f64 v[99:100], v[99:100], v[101:102], v[105:106]
	v_div_fixup_f64 v[101:102], v[99:100], v[97:98], 1.0
	v_mul_f64 v[103:104], v[103:104], -v[101:102]
.LBB81_79:
	s_or_b64 exec, exec, s[2:3]
	ds_write2_b64 v127, v[101:102], v[103:104] offset1:1
.LBB81_80:
	s_or_b64 exec, exec, s[4:5]
	s_waitcnt lgkmcnt(0)
	s_barrier
	ds_read2_b64 v[77:80], v127 offset1:1
	v_cmp_lt_u32_e32 vcc, 8, v0
	s_waitcnt lgkmcnt(0)
	buffer_store_dword v77, off, s[20:23], 0 offset:864 ; 4-byte Folded Spill
	s_nop 0
	buffer_store_dword v78, off, s[20:23], 0 offset:868 ; 4-byte Folded Spill
	buffer_store_dword v79, off, s[20:23], 0 offset:872 ; 4-byte Folded Spill
	;; [unrolled: 1-line block ×3, first 2 shown]
	s_and_saveexec_b64 s[2:3], vcc
	s_cbranch_execz .LBB81_82
; %bb.81:
	buffer_load_dword v103, off, s[20:23], 0 offset:112 ; 4-byte Folded Reload
	buffer_load_dword v104, off, s[20:23], 0 offset:116 ; 4-byte Folded Reload
	;; [unrolled: 1-line block ×8, first 2 shown]
	s_waitcnt vmcnt(2)
	v_mul_f64 v[99:100], v[77:78], v[105:106]
	s_waitcnt vmcnt(0)
	v_mul_f64 v[97:98], v[79:80], v[105:106]
	v_fma_f64 v[105:106], v[79:80], v[103:104], v[99:100]
	ds_read2_b64 v[99:102], v125 offset0:18 offset1:19
	v_fma_f64 v[97:98], v[77:78], v[103:104], -v[97:98]
	buffer_load_dword v77, off, s[20:23], 0 offset:96 ; 4-byte Folded Reload
	buffer_load_dword v78, off, s[20:23], 0 offset:100 ; 4-byte Folded Reload
	buffer_load_dword v79, off, s[20:23], 0 offset:104 ; 4-byte Folded Reload
	buffer_load_dword v80, off, s[20:23], 0 offset:108 ; 4-byte Folded Reload
	s_waitcnt lgkmcnt(0)
	v_mul_f64 v[103:104], v[101:102], v[105:106]
	v_fma_f64 v[103:104], v[99:100], v[97:98], -v[103:104]
	v_mul_f64 v[99:100], v[99:100], v[105:106]
	v_fma_f64 v[99:100], v[101:102], v[97:98], v[99:100]
	s_waitcnt vmcnt(2)
	v_add_f64 v[77:78], v[77:78], -v[103:104]
	s_waitcnt vmcnt(0)
	v_add_f64 v[79:80], v[79:80], -v[99:100]
	buffer_store_dword v77, off, s[20:23], 0 offset:96 ; 4-byte Folded Spill
	s_nop 0
	buffer_store_dword v78, off, s[20:23], 0 offset:100 ; 4-byte Folded Spill
	buffer_store_dword v79, off, s[20:23], 0 offset:104 ; 4-byte Folded Spill
	buffer_store_dword v80, off, s[20:23], 0 offset:108 ; 4-byte Folded Spill
	ds_read2_b64 v[99:102], v125 offset0:20 offset1:21
	buffer_load_dword v77, off, s[20:23], 0 offset:80 ; 4-byte Folded Reload
	buffer_load_dword v78, off, s[20:23], 0 offset:84 ; 4-byte Folded Reload
	buffer_load_dword v79, off, s[20:23], 0 offset:88 ; 4-byte Folded Reload
	buffer_load_dword v80, off, s[20:23], 0 offset:92 ; 4-byte Folded Reload
	s_waitcnt lgkmcnt(0)
	v_mul_f64 v[103:104], v[101:102], v[105:106]
	v_fma_f64 v[103:104], v[99:100], v[97:98], -v[103:104]
	v_mul_f64 v[99:100], v[99:100], v[105:106]
	v_fma_f64 v[99:100], v[101:102], v[97:98], v[99:100]
	s_waitcnt vmcnt(2)
	v_add_f64 v[77:78], v[77:78], -v[103:104]
	s_waitcnt vmcnt(0)
	v_add_f64 v[79:80], v[79:80], -v[99:100]
	buffer_store_dword v77, off, s[20:23], 0 offset:80 ; 4-byte Folded Spill
	s_nop 0
	buffer_store_dword v78, off, s[20:23], 0 offset:84 ; 4-byte Folded Spill
	buffer_store_dword v79, off, s[20:23], 0 offset:88 ; 4-byte Folded Spill
	buffer_store_dword v80, off, s[20:23], 0 offset:92 ; 4-byte Folded Spill
	ds_read2_b64 v[99:102], v125 offset0:22 offset1:23
	buffer_load_dword v77, off, s[20:23], 0 offset:64 ; 4-byte Folded Reload
	buffer_load_dword v78, off, s[20:23], 0 offset:68 ; 4-byte Folded Reload
	buffer_load_dword v79, off, s[20:23], 0 offset:72 ; 4-byte Folded Reload
	buffer_load_dword v80, off, s[20:23], 0 offset:76 ; 4-byte Folded Reload
	s_waitcnt lgkmcnt(0)
	v_mul_f64 v[103:104], v[101:102], v[105:106]
	v_fma_f64 v[103:104], v[99:100], v[97:98], -v[103:104]
	v_mul_f64 v[99:100], v[99:100], v[105:106]
	v_fma_f64 v[99:100], v[101:102], v[97:98], v[99:100]
	s_waitcnt vmcnt(2)
	v_add_f64 v[77:78], v[77:78], -v[103:104]
	s_waitcnt vmcnt(0)
	v_add_f64 v[79:80], v[79:80], -v[99:100]
	buffer_store_dword v77, off, s[20:23], 0 offset:64 ; 4-byte Folded Spill
	s_nop 0
	buffer_store_dword v78, off, s[20:23], 0 offset:68 ; 4-byte Folded Spill
	buffer_store_dword v79, off, s[20:23], 0 offset:72 ; 4-byte Folded Spill
	buffer_store_dword v80, off, s[20:23], 0 offset:76 ; 4-byte Folded Spill
	ds_read2_b64 v[99:102], v125 offset0:24 offset1:25
	buffer_load_dword v77, off, s[20:23], 0 offset:48 ; 4-byte Folded Reload
	buffer_load_dword v78, off, s[20:23], 0 offset:52 ; 4-byte Folded Reload
	buffer_load_dword v79, off, s[20:23], 0 offset:56 ; 4-byte Folded Reload
	buffer_load_dword v80, off, s[20:23], 0 offset:60 ; 4-byte Folded Reload
	s_waitcnt lgkmcnt(0)
	v_mul_f64 v[103:104], v[101:102], v[105:106]
	v_fma_f64 v[103:104], v[99:100], v[97:98], -v[103:104]
	v_mul_f64 v[99:100], v[99:100], v[105:106]
	v_fma_f64 v[99:100], v[101:102], v[97:98], v[99:100]
	s_waitcnt vmcnt(2)
	v_add_f64 v[77:78], v[77:78], -v[103:104]
	s_waitcnt vmcnt(0)
	v_add_f64 v[79:80], v[79:80], -v[99:100]
	buffer_store_dword v77, off, s[20:23], 0 offset:48 ; 4-byte Folded Spill
	s_nop 0
	buffer_store_dword v78, off, s[20:23], 0 offset:52 ; 4-byte Folded Spill
	buffer_store_dword v79, off, s[20:23], 0 offset:56 ; 4-byte Folded Spill
	buffer_store_dword v80, off, s[20:23], 0 offset:60 ; 4-byte Folded Spill
	ds_read2_b64 v[99:102], v125 offset0:26 offset1:27
	s_waitcnt lgkmcnt(0)
	v_mul_f64 v[103:104], v[101:102], v[105:106]
	v_fma_f64 v[103:104], v[99:100], v[97:98], -v[103:104]
	v_mul_f64 v[99:100], v[99:100], v[105:106]
	v_add_f64 v[85:86], v[85:86], -v[103:104]
	v_fma_f64 v[99:100], v[101:102], v[97:98], v[99:100]
	v_add_f64 v[87:88], v[87:88], -v[99:100]
	ds_read2_b64 v[99:102], v125 offset0:28 offset1:29
	s_waitcnt lgkmcnt(0)
	v_mul_f64 v[103:104], v[101:102], v[105:106]
	v_fma_f64 v[103:104], v[99:100], v[97:98], -v[103:104]
	v_mul_f64 v[99:100], v[99:100], v[105:106]
	v_add_f64 v[117:118], v[117:118], -v[103:104]
	v_fma_f64 v[99:100], v[101:102], v[97:98], v[99:100]
	v_add_f64 v[119:120], v[119:120], -v[99:100]
	ds_read2_b64 v[99:102], v125 offset0:30 offset1:31
	;; [unrolled: 8-line block ×5, first 2 shown]
	buffer_load_dword v81, off, s[20:23], 0 offset:32 ; 4-byte Folded Reload
	buffer_load_dword v82, off, s[20:23], 0 offset:36 ; 4-byte Folded Reload
	;; [unrolled: 1-line block ×4, first 2 shown]
	s_waitcnt lgkmcnt(0)
	v_mul_f64 v[103:104], v[101:102], v[105:106]
	v_fma_f64 v[103:104], v[99:100], v[97:98], -v[103:104]
	v_mul_f64 v[99:100], v[99:100], v[105:106]
	v_fma_f64 v[99:100], v[101:102], v[97:98], v[99:100]
	s_waitcnt vmcnt(2)
	v_add_f64 v[81:82], v[81:82], -v[103:104]
	s_waitcnt vmcnt(0)
	v_add_f64 v[83:84], v[83:84], -v[99:100]
	buffer_store_dword v81, off, s[20:23], 0 offset:32 ; 4-byte Folded Spill
	s_nop 0
	buffer_store_dword v82, off, s[20:23], 0 offset:36 ; 4-byte Folded Spill
	buffer_store_dword v83, off, s[20:23], 0 offset:40 ; 4-byte Folded Spill
	;; [unrolled: 1-line block ×3, first 2 shown]
	ds_read2_b64 v[99:102], v125 offset0:38 offset1:39
	s_waitcnt lgkmcnt(0)
	v_mul_f64 v[103:104], v[101:102], v[105:106]
	v_fma_f64 v[103:104], v[99:100], v[97:98], -v[103:104]
	v_mul_f64 v[99:100], v[99:100], v[105:106]
	v_add_f64 v[93:94], v[93:94], -v[103:104]
	v_fma_f64 v[99:100], v[101:102], v[97:98], v[99:100]
	v_add_f64 v[95:96], v[95:96], -v[99:100]
	ds_read2_b64 v[99:102], v125 offset0:40 offset1:41
	buffer_load_dword v77, off, s[20:23], 0 ; 4-byte Folded Reload
	buffer_load_dword v78, off, s[20:23], 0 offset:4 ; 4-byte Folded Reload
	buffer_load_dword v79, off, s[20:23], 0 offset:8 ; 4-byte Folded Reload
	;; [unrolled: 1-line block ×3, first 2 shown]
	s_waitcnt lgkmcnt(0)
	v_mul_f64 v[103:104], v[101:102], v[105:106]
	v_fma_f64 v[103:104], v[99:100], v[97:98], -v[103:104]
	v_mul_f64 v[99:100], v[99:100], v[105:106]
	v_fma_f64 v[99:100], v[101:102], v[97:98], v[99:100]
	s_waitcnt vmcnt(2)
	v_add_f64 v[77:78], v[77:78], -v[103:104]
	s_waitcnt vmcnt(0)
	v_add_f64 v[79:80], v[79:80], -v[99:100]
	buffer_store_dword v77, off, s[20:23], 0 ; 4-byte Folded Spill
	s_nop 0
	buffer_store_dword v78, off, s[20:23], 0 offset:4 ; 4-byte Folded Spill
	buffer_store_dword v79, off, s[20:23], 0 offset:8 ; 4-byte Folded Spill
	;; [unrolled: 1-line block ×3, first 2 shown]
	ds_read2_b64 v[99:102], v125 offset0:42 offset1:43
	s_waitcnt lgkmcnt(0)
	v_mul_f64 v[103:104], v[101:102], v[105:106]
	v_fma_f64 v[103:104], v[99:100], v[97:98], -v[103:104]
	v_mul_f64 v[99:100], v[99:100], v[105:106]
	v_add_f64 v[73:74], v[73:74], -v[103:104]
	v_fma_f64 v[99:100], v[101:102], v[97:98], v[99:100]
	v_add_f64 v[75:76], v[75:76], -v[99:100]
	ds_read2_b64 v[99:102], v125 offset0:44 offset1:45
	s_waitcnt lgkmcnt(0)
	v_mul_f64 v[103:104], v[101:102], v[105:106]
	v_fma_f64 v[103:104], v[99:100], v[97:98], -v[103:104]
	v_mul_f64 v[99:100], v[99:100], v[105:106]
	v_add_f64 v[69:70], v[69:70], -v[103:104]
	v_fma_f64 v[99:100], v[101:102], v[97:98], v[99:100]
	v_add_f64 v[71:72], v[71:72], -v[99:100]
	;; [unrolled: 8-line block ×19, first 2 shown]
	ds_read2_b64 v[99:102], v125 offset0:80 offset1:81
	buffer_load_dword v77, off, s[20:23], 0 offset:16 ; 4-byte Folded Reload
	buffer_load_dword v78, off, s[20:23], 0 offset:20 ; 4-byte Folded Reload
	;; [unrolled: 1-line block ×4, first 2 shown]
	s_waitcnt lgkmcnt(0)
	v_mul_f64 v[103:104], v[101:102], v[105:106]
	v_fma_f64 v[103:104], v[99:100], v[97:98], -v[103:104]
	v_mul_f64 v[99:100], v[99:100], v[105:106]
	v_fma_f64 v[99:100], v[101:102], v[97:98], v[99:100]
	s_waitcnt vmcnt(2)
	v_add_f64 v[77:78], v[77:78], -v[103:104]
	v_mov_b32_e32 v104, v98
	s_waitcnt vmcnt(0)
	v_add_f64 v[79:80], v[79:80], -v[99:100]
	v_mov_b32_e32 v103, v97
	buffer_store_dword v77, off, s[20:23], 0 offset:16 ; 4-byte Folded Spill
	s_nop 0
	buffer_store_dword v78, off, s[20:23], 0 offset:20 ; 4-byte Folded Spill
	buffer_store_dword v79, off, s[20:23], 0 offset:24 ; 4-byte Folded Spill
	;; [unrolled: 1-line block ×4, first 2 shown]
	s_nop 0
	buffer_store_dword v104, off, s[20:23], 0 offset:116 ; 4-byte Folded Spill
	buffer_store_dword v105, off, s[20:23], 0 offset:120 ; 4-byte Folded Spill
	;; [unrolled: 1-line block ×3, first 2 shown]
.LBB81_82:
	s_or_b64 exec, exec, s[2:3]
	v_cmp_eq_u32_e32 vcc, 9, v0
	s_waitcnt vmcnt(0)
	s_barrier
	s_and_saveexec_b64 s[4:5], vcc
	s_cbranch_execz .LBB81_89
; %bb.83:
	buffer_load_dword v77, off, s[20:23], 0 offset:96 ; 4-byte Folded Reload
	buffer_load_dword v78, off, s[20:23], 0 offset:100 ; 4-byte Folded Reload
	;; [unrolled: 1-line block ×4, first 2 shown]
	s_waitcnt vmcnt(0)
	ds_write2_b64 v127, v[77:78], v[79:80] offset1:1
	buffer_load_dword v77, off, s[20:23], 0 offset:80 ; 4-byte Folded Reload
	buffer_load_dword v78, off, s[20:23], 0 offset:84 ; 4-byte Folded Reload
	buffer_load_dword v79, off, s[20:23], 0 offset:88 ; 4-byte Folded Reload
	buffer_load_dword v80, off, s[20:23], 0 offset:92 ; 4-byte Folded Reload
	s_waitcnt vmcnt(0)
	ds_write2_b64 v125, v[77:78], v[79:80] offset0:20 offset1:21
	buffer_load_dword v77, off, s[20:23], 0 offset:64 ; 4-byte Folded Reload
	buffer_load_dword v78, off, s[20:23], 0 offset:68 ; 4-byte Folded Reload
	buffer_load_dword v79, off, s[20:23], 0 offset:72 ; 4-byte Folded Reload
	buffer_load_dword v80, off, s[20:23], 0 offset:76 ; 4-byte Folded Reload
	s_waitcnt vmcnt(0)
	ds_write2_b64 v125, v[77:78], v[79:80] offset0:22 offset1:23
	;; [unrolled: 6-line block ×3, first 2 shown]
	ds_write2_b64 v125, v[85:86], v[87:88] offset0:26 offset1:27
	ds_write2_b64 v125, v[117:118], v[119:120] offset0:28 offset1:29
	;; [unrolled: 1-line block ×5, first 2 shown]
	buffer_load_dword v81, off, s[20:23], 0 offset:32 ; 4-byte Folded Reload
	buffer_load_dword v82, off, s[20:23], 0 offset:36 ; 4-byte Folded Reload
	;; [unrolled: 1-line block ×4, first 2 shown]
	s_waitcnt vmcnt(0)
	ds_write2_b64 v125, v[81:82], v[83:84] offset0:36 offset1:37
	ds_write2_b64 v125, v[93:94], v[95:96] offset0:38 offset1:39
	buffer_load_dword v77, off, s[20:23], 0 ; 4-byte Folded Reload
	buffer_load_dword v78, off, s[20:23], 0 offset:4 ; 4-byte Folded Reload
	buffer_load_dword v79, off, s[20:23], 0 offset:8 ; 4-byte Folded Reload
	;; [unrolled: 1-line block ×3, first 2 shown]
	s_waitcnt vmcnt(0)
	ds_write2_b64 v125, v[77:78], v[79:80] offset0:40 offset1:41
	ds_write2_b64 v125, v[73:74], v[75:76] offset0:42 offset1:43
	;; [unrolled: 1-line block ×20, first 2 shown]
	buffer_load_dword v77, off, s[20:23], 0 offset:16 ; 4-byte Folded Reload
	buffer_load_dword v78, off, s[20:23], 0 offset:20 ; 4-byte Folded Reload
	;; [unrolled: 1-line block ×4, first 2 shown]
	s_waitcnt vmcnt(0)
	ds_write2_b64 v125, v[77:78], v[79:80] offset0:80 offset1:81
	ds_read2_b64 v[97:100], v127 offset1:1
	s_waitcnt lgkmcnt(0)
	v_cmp_neq_f64_e32 vcc, 0, v[97:98]
	v_cmp_neq_f64_e64 s[2:3], 0, v[99:100]
	s_or_b64 s[2:3], vcc, s[2:3]
	s_and_b64 exec, exec, s[2:3]
	s_cbranch_execz .LBB81_89
; %bb.84:
	v_cmp_ngt_f64_e64 s[2:3], |v[97:98]|, |v[99:100]|
                                        ; implicit-def: $vgpr101_vgpr102
	s_and_saveexec_b64 s[6:7], s[2:3]
	s_xor_b64 s[2:3], exec, s[6:7]
                                        ; implicit-def: $vgpr103_vgpr104
	s_cbranch_execz .LBB81_86
; %bb.85:
	v_div_scale_f64 v[101:102], s[6:7], v[99:100], v[99:100], v[97:98]
	v_rcp_f64_e32 v[103:104], v[101:102]
	v_fma_f64 v[105:106], -v[101:102], v[103:104], 1.0
	v_fma_f64 v[103:104], v[103:104], v[105:106], v[103:104]
	v_div_scale_f64 v[105:106], vcc, v[97:98], v[99:100], v[97:98]
	v_fma_f64 v[107:108], -v[101:102], v[103:104], 1.0
	v_fma_f64 v[103:104], v[103:104], v[107:108], v[103:104]
	v_mul_f64 v[107:108], v[105:106], v[103:104]
	v_fma_f64 v[101:102], -v[101:102], v[107:108], v[105:106]
	v_div_fmas_f64 v[101:102], v[101:102], v[103:104], v[107:108]
	v_div_fixup_f64 v[101:102], v[101:102], v[99:100], v[97:98]
	v_fma_f64 v[97:98], v[97:98], v[101:102], v[99:100]
	v_div_scale_f64 v[99:100], s[6:7], v[97:98], v[97:98], 1.0
	v_div_scale_f64 v[107:108], vcc, 1.0, v[97:98], 1.0
	v_rcp_f64_e32 v[103:104], v[99:100]
	v_fma_f64 v[105:106], -v[99:100], v[103:104], 1.0
	v_fma_f64 v[103:104], v[103:104], v[105:106], v[103:104]
	v_fma_f64 v[105:106], -v[99:100], v[103:104], 1.0
	v_fma_f64 v[103:104], v[103:104], v[105:106], v[103:104]
	v_mul_f64 v[105:106], v[107:108], v[103:104]
	v_fma_f64 v[99:100], -v[99:100], v[105:106], v[107:108]
	v_div_fmas_f64 v[99:100], v[99:100], v[103:104], v[105:106]
	v_div_fixup_f64 v[103:104], v[99:100], v[97:98], 1.0
                                        ; implicit-def: $vgpr97_vgpr98
	v_mul_f64 v[101:102], v[101:102], v[103:104]
	v_xor_b32_e32 v104, 0x80000000, v104
.LBB81_86:
	s_andn2_saveexec_b64 s[2:3], s[2:3]
	s_cbranch_execz .LBB81_88
; %bb.87:
	v_div_scale_f64 v[101:102], s[6:7], v[97:98], v[97:98], v[99:100]
	v_rcp_f64_e32 v[103:104], v[101:102]
	v_fma_f64 v[105:106], -v[101:102], v[103:104], 1.0
	v_fma_f64 v[103:104], v[103:104], v[105:106], v[103:104]
	v_div_scale_f64 v[105:106], vcc, v[99:100], v[97:98], v[99:100]
	v_fma_f64 v[107:108], -v[101:102], v[103:104], 1.0
	v_fma_f64 v[103:104], v[103:104], v[107:108], v[103:104]
	v_mul_f64 v[107:108], v[105:106], v[103:104]
	v_fma_f64 v[101:102], -v[101:102], v[107:108], v[105:106]
	v_div_fmas_f64 v[101:102], v[101:102], v[103:104], v[107:108]
	v_div_fixup_f64 v[103:104], v[101:102], v[97:98], v[99:100]
	v_fma_f64 v[97:98], v[99:100], v[103:104], v[97:98]
	v_div_scale_f64 v[99:100], s[6:7], v[97:98], v[97:98], 1.0
	v_div_scale_f64 v[107:108], vcc, 1.0, v[97:98], 1.0
	v_rcp_f64_e32 v[101:102], v[99:100]
	v_fma_f64 v[105:106], -v[99:100], v[101:102], 1.0
	v_fma_f64 v[101:102], v[101:102], v[105:106], v[101:102]
	v_fma_f64 v[105:106], -v[99:100], v[101:102], 1.0
	v_fma_f64 v[101:102], v[101:102], v[105:106], v[101:102]
	v_mul_f64 v[105:106], v[107:108], v[101:102]
	v_fma_f64 v[99:100], -v[99:100], v[105:106], v[107:108]
	v_div_fmas_f64 v[99:100], v[99:100], v[101:102], v[105:106]
	v_div_fixup_f64 v[101:102], v[99:100], v[97:98], 1.0
	v_mul_f64 v[103:104], v[103:104], -v[101:102]
.LBB81_88:
	s_or_b64 exec, exec, s[2:3]
	ds_write2_b64 v127, v[101:102], v[103:104] offset1:1
.LBB81_89:
	s_or_b64 exec, exec, s[4:5]
	s_waitcnt lgkmcnt(0)
	s_barrier
	ds_read2_b64 v[77:80], v127 offset1:1
	v_cmp_lt_u32_e32 vcc, 9, v0
	s_waitcnt lgkmcnt(0)
	buffer_store_dword v77, off, s[20:23], 0 offset:880 ; 4-byte Folded Spill
	s_nop 0
	buffer_store_dword v78, off, s[20:23], 0 offset:884 ; 4-byte Folded Spill
	buffer_store_dword v79, off, s[20:23], 0 offset:888 ; 4-byte Folded Spill
	buffer_store_dword v80, off, s[20:23], 0 offset:892 ; 4-byte Folded Spill
	s_and_saveexec_b64 s[2:3], vcc
	s_cbranch_execz .LBB81_91
; %bb.90:
	buffer_load_dword v103, off, s[20:23], 0 offset:96 ; 4-byte Folded Reload
	buffer_load_dword v104, off, s[20:23], 0 offset:100 ; 4-byte Folded Reload
	;; [unrolled: 1-line block ×8, first 2 shown]
	s_waitcnt vmcnt(2)
	v_mul_f64 v[99:100], v[77:78], v[105:106]
	s_waitcnt vmcnt(0)
	v_mul_f64 v[97:98], v[79:80], v[105:106]
	v_fma_f64 v[105:106], v[79:80], v[103:104], v[99:100]
	ds_read2_b64 v[99:102], v125 offset0:20 offset1:21
	v_fma_f64 v[97:98], v[77:78], v[103:104], -v[97:98]
	buffer_load_dword v77, off, s[20:23], 0 offset:80 ; 4-byte Folded Reload
	buffer_load_dword v78, off, s[20:23], 0 offset:84 ; 4-byte Folded Reload
	buffer_load_dword v79, off, s[20:23], 0 offset:88 ; 4-byte Folded Reload
	buffer_load_dword v80, off, s[20:23], 0 offset:92 ; 4-byte Folded Reload
	s_waitcnt lgkmcnt(0)
	v_mul_f64 v[103:104], v[101:102], v[105:106]
	v_fma_f64 v[103:104], v[99:100], v[97:98], -v[103:104]
	v_mul_f64 v[99:100], v[99:100], v[105:106]
	v_fma_f64 v[99:100], v[101:102], v[97:98], v[99:100]
	s_waitcnt vmcnt(2)
	v_add_f64 v[77:78], v[77:78], -v[103:104]
	s_waitcnt vmcnt(0)
	v_add_f64 v[79:80], v[79:80], -v[99:100]
	buffer_store_dword v77, off, s[20:23], 0 offset:80 ; 4-byte Folded Spill
	s_nop 0
	buffer_store_dword v78, off, s[20:23], 0 offset:84 ; 4-byte Folded Spill
	buffer_store_dword v79, off, s[20:23], 0 offset:88 ; 4-byte Folded Spill
	buffer_store_dword v80, off, s[20:23], 0 offset:92 ; 4-byte Folded Spill
	ds_read2_b64 v[99:102], v125 offset0:22 offset1:23
	buffer_load_dword v77, off, s[20:23], 0 offset:64 ; 4-byte Folded Reload
	buffer_load_dword v78, off, s[20:23], 0 offset:68 ; 4-byte Folded Reload
	buffer_load_dword v79, off, s[20:23], 0 offset:72 ; 4-byte Folded Reload
	buffer_load_dword v80, off, s[20:23], 0 offset:76 ; 4-byte Folded Reload
	s_waitcnt lgkmcnt(0)
	v_mul_f64 v[103:104], v[101:102], v[105:106]
	v_fma_f64 v[103:104], v[99:100], v[97:98], -v[103:104]
	v_mul_f64 v[99:100], v[99:100], v[105:106]
	v_fma_f64 v[99:100], v[101:102], v[97:98], v[99:100]
	s_waitcnt vmcnt(2)
	v_add_f64 v[77:78], v[77:78], -v[103:104]
	s_waitcnt vmcnt(0)
	v_add_f64 v[79:80], v[79:80], -v[99:100]
	buffer_store_dword v77, off, s[20:23], 0 offset:64 ; 4-byte Folded Spill
	s_nop 0
	buffer_store_dword v78, off, s[20:23], 0 offset:68 ; 4-byte Folded Spill
	buffer_store_dword v79, off, s[20:23], 0 offset:72 ; 4-byte Folded Spill
	buffer_store_dword v80, off, s[20:23], 0 offset:76 ; 4-byte Folded Spill
	ds_read2_b64 v[99:102], v125 offset0:24 offset1:25
	;; [unrolled: 19-line block ×3, first 2 shown]
	s_waitcnt lgkmcnt(0)
	v_mul_f64 v[103:104], v[101:102], v[105:106]
	v_fma_f64 v[103:104], v[99:100], v[97:98], -v[103:104]
	v_mul_f64 v[99:100], v[99:100], v[105:106]
	v_add_f64 v[85:86], v[85:86], -v[103:104]
	v_fma_f64 v[99:100], v[101:102], v[97:98], v[99:100]
	v_add_f64 v[87:88], v[87:88], -v[99:100]
	ds_read2_b64 v[99:102], v125 offset0:28 offset1:29
	s_waitcnt lgkmcnt(0)
	v_mul_f64 v[103:104], v[101:102], v[105:106]
	v_fma_f64 v[103:104], v[99:100], v[97:98], -v[103:104]
	v_mul_f64 v[99:100], v[99:100], v[105:106]
	v_add_f64 v[117:118], v[117:118], -v[103:104]
	v_fma_f64 v[99:100], v[101:102], v[97:98], v[99:100]
	v_add_f64 v[119:120], v[119:120], -v[99:100]
	ds_read2_b64 v[99:102], v125 offset0:30 offset1:31
	;; [unrolled: 8-line block ×5, first 2 shown]
	buffer_load_dword v81, off, s[20:23], 0 offset:32 ; 4-byte Folded Reload
	buffer_load_dword v82, off, s[20:23], 0 offset:36 ; 4-byte Folded Reload
	;; [unrolled: 1-line block ×4, first 2 shown]
	s_waitcnt lgkmcnt(0)
	v_mul_f64 v[103:104], v[101:102], v[105:106]
	v_fma_f64 v[103:104], v[99:100], v[97:98], -v[103:104]
	v_mul_f64 v[99:100], v[99:100], v[105:106]
	v_fma_f64 v[99:100], v[101:102], v[97:98], v[99:100]
	s_waitcnt vmcnt(2)
	v_add_f64 v[81:82], v[81:82], -v[103:104]
	s_waitcnt vmcnt(0)
	v_add_f64 v[83:84], v[83:84], -v[99:100]
	buffer_store_dword v81, off, s[20:23], 0 offset:32 ; 4-byte Folded Spill
	s_nop 0
	buffer_store_dword v82, off, s[20:23], 0 offset:36 ; 4-byte Folded Spill
	buffer_store_dword v83, off, s[20:23], 0 offset:40 ; 4-byte Folded Spill
	;; [unrolled: 1-line block ×3, first 2 shown]
	ds_read2_b64 v[99:102], v125 offset0:38 offset1:39
	s_waitcnt lgkmcnt(0)
	v_mul_f64 v[103:104], v[101:102], v[105:106]
	v_fma_f64 v[103:104], v[99:100], v[97:98], -v[103:104]
	v_mul_f64 v[99:100], v[99:100], v[105:106]
	v_add_f64 v[93:94], v[93:94], -v[103:104]
	v_fma_f64 v[99:100], v[101:102], v[97:98], v[99:100]
	v_add_f64 v[95:96], v[95:96], -v[99:100]
	ds_read2_b64 v[99:102], v125 offset0:40 offset1:41
	buffer_load_dword v77, off, s[20:23], 0 ; 4-byte Folded Reload
	buffer_load_dword v78, off, s[20:23], 0 offset:4 ; 4-byte Folded Reload
	buffer_load_dword v79, off, s[20:23], 0 offset:8 ; 4-byte Folded Reload
	;; [unrolled: 1-line block ×3, first 2 shown]
	s_waitcnt lgkmcnt(0)
	v_mul_f64 v[103:104], v[101:102], v[105:106]
	v_fma_f64 v[103:104], v[99:100], v[97:98], -v[103:104]
	v_mul_f64 v[99:100], v[99:100], v[105:106]
	v_fma_f64 v[99:100], v[101:102], v[97:98], v[99:100]
	s_waitcnt vmcnt(2)
	v_add_f64 v[77:78], v[77:78], -v[103:104]
	s_waitcnt vmcnt(0)
	v_add_f64 v[79:80], v[79:80], -v[99:100]
	buffer_store_dword v77, off, s[20:23], 0 ; 4-byte Folded Spill
	s_nop 0
	buffer_store_dword v78, off, s[20:23], 0 offset:4 ; 4-byte Folded Spill
	buffer_store_dword v79, off, s[20:23], 0 offset:8 ; 4-byte Folded Spill
	;; [unrolled: 1-line block ×3, first 2 shown]
	ds_read2_b64 v[99:102], v125 offset0:42 offset1:43
	s_waitcnt lgkmcnt(0)
	v_mul_f64 v[103:104], v[101:102], v[105:106]
	v_fma_f64 v[103:104], v[99:100], v[97:98], -v[103:104]
	v_mul_f64 v[99:100], v[99:100], v[105:106]
	v_add_f64 v[73:74], v[73:74], -v[103:104]
	v_fma_f64 v[99:100], v[101:102], v[97:98], v[99:100]
	v_add_f64 v[75:76], v[75:76], -v[99:100]
	ds_read2_b64 v[99:102], v125 offset0:44 offset1:45
	s_waitcnt lgkmcnt(0)
	v_mul_f64 v[103:104], v[101:102], v[105:106]
	v_fma_f64 v[103:104], v[99:100], v[97:98], -v[103:104]
	v_mul_f64 v[99:100], v[99:100], v[105:106]
	v_add_f64 v[69:70], v[69:70], -v[103:104]
	v_fma_f64 v[99:100], v[101:102], v[97:98], v[99:100]
	v_add_f64 v[71:72], v[71:72], -v[99:100]
	;; [unrolled: 8-line block ×19, first 2 shown]
	ds_read2_b64 v[99:102], v125 offset0:80 offset1:81
	buffer_load_dword v77, off, s[20:23], 0 offset:16 ; 4-byte Folded Reload
	buffer_load_dword v78, off, s[20:23], 0 offset:20 ; 4-byte Folded Reload
	;; [unrolled: 1-line block ×4, first 2 shown]
	s_waitcnt lgkmcnt(0)
	v_mul_f64 v[103:104], v[101:102], v[105:106]
	v_fma_f64 v[103:104], v[99:100], v[97:98], -v[103:104]
	v_mul_f64 v[99:100], v[99:100], v[105:106]
	v_fma_f64 v[99:100], v[101:102], v[97:98], v[99:100]
	s_waitcnt vmcnt(2)
	v_add_f64 v[77:78], v[77:78], -v[103:104]
	v_mov_b32_e32 v104, v98
	s_waitcnt vmcnt(0)
	v_add_f64 v[79:80], v[79:80], -v[99:100]
	v_mov_b32_e32 v103, v97
	buffer_store_dword v77, off, s[20:23], 0 offset:16 ; 4-byte Folded Spill
	s_nop 0
	buffer_store_dword v78, off, s[20:23], 0 offset:20 ; 4-byte Folded Spill
	buffer_store_dword v79, off, s[20:23], 0 offset:24 ; 4-byte Folded Spill
	;; [unrolled: 1-line block ×4, first 2 shown]
	s_nop 0
	buffer_store_dword v104, off, s[20:23], 0 offset:100 ; 4-byte Folded Spill
	buffer_store_dword v105, off, s[20:23], 0 offset:104 ; 4-byte Folded Spill
	;; [unrolled: 1-line block ×3, first 2 shown]
.LBB81_91:
	s_or_b64 exec, exec, s[2:3]
	v_cmp_eq_u32_e32 vcc, 10, v0
	s_waitcnt vmcnt(0)
	s_barrier
	s_and_saveexec_b64 s[4:5], vcc
	s_cbranch_execz .LBB81_98
; %bb.92:
	buffer_load_dword v77, off, s[20:23], 0 offset:80 ; 4-byte Folded Reload
	buffer_load_dword v78, off, s[20:23], 0 offset:84 ; 4-byte Folded Reload
	;; [unrolled: 1-line block ×4, first 2 shown]
	s_waitcnt vmcnt(0)
	ds_write2_b64 v127, v[77:78], v[79:80] offset1:1
	buffer_load_dword v77, off, s[20:23], 0 offset:64 ; 4-byte Folded Reload
	buffer_load_dword v78, off, s[20:23], 0 offset:68 ; 4-byte Folded Reload
	;; [unrolled: 1-line block ×4, first 2 shown]
	s_waitcnt vmcnt(0)
	ds_write2_b64 v125, v[77:78], v[79:80] offset0:22 offset1:23
	buffer_load_dword v77, off, s[20:23], 0 offset:48 ; 4-byte Folded Reload
	buffer_load_dword v78, off, s[20:23], 0 offset:52 ; 4-byte Folded Reload
	;; [unrolled: 1-line block ×4, first 2 shown]
	s_waitcnt vmcnt(0)
	ds_write2_b64 v125, v[77:78], v[79:80] offset0:24 offset1:25
	ds_write2_b64 v125, v[85:86], v[87:88] offset0:26 offset1:27
	;; [unrolled: 1-line block ×6, first 2 shown]
	buffer_load_dword v81, off, s[20:23], 0 offset:32 ; 4-byte Folded Reload
	buffer_load_dword v82, off, s[20:23], 0 offset:36 ; 4-byte Folded Reload
	;; [unrolled: 1-line block ×4, first 2 shown]
	s_waitcnt vmcnt(0)
	ds_write2_b64 v125, v[81:82], v[83:84] offset0:36 offset1:37
	ds_write2_b64 v125, v[93:94], v[95:96] offset0:38 offset1:39
	buffer_load_dword v77, off, s[20:23], 0 ; 4-byte Folded Reload
	buffer_load_dword v78, off, s[20:23], 0 offset:4 ; 4-byte Folded Reload
	buffer_load_dword v79, off, s[20:23], 0 offset:8 ; 4-byte Folded Reload
	;; [unrolled: 1-line block ×3, first 2 shown]
	s_waitcnt vmcnt(0)
	ds_write2_b64 v125, v[77:78], v[79:80] offset0:40 offset1:41
	ds_write2_b64 v125, v[73:74], v[75:76] offset0:42 offset1:43
	;; [unrolled: 1-line block ×20, first 2 shown]
	buffer_load_dword v77, off, s[20:23], 0 offset:16 ; 4-byte Folded Reload
	buffer_load_dword v78, off, s[20:23], 0 offset:20 ; 4-byte Folded Reload
	;; [unrolled: 1-line block ×4, first 2 shown]
	s_waitcnt vmcnt(0)
	ds_write2_b64 v125, v[77:78], v[79:80] offset0:80 offset1:81
	ds_read2_b64 v[97:100], v127 offset1:1
	s_waitcnt lgkmcnt(0)
	v_cmp_neq_f64_e32 vcc, 0, v[97:98]
	v_cmp_neq_f64_e64 s[2:3], 0, v[99:100]
	s_or_b64 s[2:3], vcc, s[2:3]
	s_and_b64 exec, exec, s[2:3]
	s_cbranch_execz .LBB81_98
; %bb.93:
	v_cmp_ngt_f64_e64 s[2:3], |v[97:98]|, |v[99:100]|
                                        ; implicit-def: $vgpr101_vgpr102
	s_and_saveexec_b64 s[6:7], s[2:3]
	s_xor_b64 s[2:3], exec, s[6:7]
                                        ; implicit-def: $vgpr103_vgpr104
	s_cbranch_execz .LBB81_95
; %bb.94:
	v_div_scale_f64 v[101:102], s[6:7], v[99:100], v[99:100], v[97:98]
	v_rcp_f64_e32 v[103:104], v[101:102]
	v_fma_f64 v[105:106], -v[101:102], v[103:104], 1.0
	v_fma_f64 v[103:104], v[103:104], v[105:106], v[103:104]
	v_div_scale_f64 v[105:106], vcc, v[97:98], v[99:100], v[97:98]
	v_fma_f64 v[107:108], -v[101:102], v[103:104], 1.0
	v_fma_f64 v[103:104], v[103:104], v[107:108], v[103:104]
	v_mul_f64 v[107:108], v[105:106], v[103:104]
	v_fma_f64 v[101:102], -v[101:102], v[107:108], v[105:106]
	v_div_fmas_f64 v[101:102], v[101:102], v[103:104], v[107:108]
	v_div_fixup_f64 v[101:102], v[101:102], v[99:100], v[97:98]
	v_fma_f64 v[97:98], v[97:98], v[101:102], v[99:100]
	v_div_scale_f64 v[99:100], s[6:7], v[97:98], v[97:98], 1.0
	v_div_scale_f64 v[107:108], vcc, 1.0, v[97:98], 1.0
	v_rcp_f64_e32 v[103:104], v[99:100]
	v_fma_f64 v[105:106], -v[99:100], v[103:104], 1.0
	v_fma_f64 v[103:104], v[103:104], v[105:106], v[103:104]
	v_fma_f64 v[105:106], -v[99:100], v[103:104], 1.0
	v_fma_f64 v[103:104], v[103:104], v[105:106], v[103:104]
	v_mul_f64 v[105:106], v[107:108], v[103:104]
	v_fma_f64 v[99:100], -v[99:100], v[105:106], v[107:108]
	v_div_fmas_f64 v[99:100], v[99:100], v[103:104], v[105:106]
	v_div_fixup_f64 v[103:104], v[99:100], v[97:98], 1.0
                                        ; implicit-def: $vgpr97_vgpr98
	v_mul_f64 v[101:102], v[101:102], v[103:104]
	v_xor_b32_e32 v104, 0x80000000, v104
.LBB81_95:
	s_andn2_saveexec_b64 s[2:3], s[2:3]
	s_cbranch_execz .LBB81_97
; %bb.96:
	v_div_scale_f64 v[101:102], s[6:7], v[97:98], v[97:98], v[99:100]
	v_rcp_f64_e32 v[103:104], v[101:102]
	v_fma_f64 v[105:106], -v[101:102], v[103:104], 1.0
	v_fma_f64 v[103:104], v[103:104], v[105:106], v[103:104]
	v_div_scale_f64 v[105:106], vcc, v[99:100], v[97:98], v[99:100]
	v_fma_f64 v[107:108], -v[101:102], v[103:104], 1.0
	v_fma_f64 v[103:104], v[103:104], v[107:108], v[103:104]
	v_mul_f64 v[107:108], v[105:106], v[103:104]
	v_fma_f64 v[101:102], -v[101:102], v[107:108], v[105:106]
	v_div_fmas_f64 v[101:102], v[101:102], v[103:104], v[107:108]
	v_div_fixup_f64 v[103:104], v[101:102], v[97:98], v[99:100]
	v_fma_f64 v[97:98], v[99:100], v[103:104], v[97:98]
	v_div_scale_f64 v[99:100], s[6:7], v[97:98], v[97:98], 1.0
	v_div_scale_f64 v[107:108], vcc, 1.0, v[97:98], 1.0
	v_rcp_f64_e32 v[101:102], v[99:100]
	v_fma_f64 v[105:106], -v[99:100], v[101:102], 1.0
	v_fma_f64 v[101:102], v[101:102], v[105:106], v[101:102]
	v_fma_f64 v[105:106], -v[99:100], v[101:102], 1.0
	v_fma_f64 v[101:102], v[101:102], v[105:106], v[101:102]
	v_mul_f64 v[105:106], v[107:108], v[101:102]
	v_fma_f64 v[99:100], -v[99:100], v[105:106], v[107:108]
	v_div_fmas_f64 v[99:100], v[99:100], v[101:102], v[105:106]
	v_div_fixup_f64 v[101:102], v[99:100], v[97:98], 1.0
	v_mul_f64 v[103:104], v[103:104], -v[101:102]
.LBB81_97:
	s_or_b64 exec, exec, s[2:3]
	ds_write2_b64 v127, v[101:102], v[103:104] offset1:1
.LBB81_98:
	s_or_b64 exec, exec, s[4:5]
	s_waitcnt lgkmcnt(0)
	s_barrier
	ds_read2_b64 v[77:80], v127 offset1:1
	v_cmp_lt_u32_e32 vcc, 10, v0
	s_waitcnt lgkmcnt(0)
	buffer_store_dword v77, off, s[20:23], 0 offset:896 ; 4-byte Folded Spill
	s_nop 0
	buffer_store_dword v78, off, s[20:23], 0 offset:900 ; 4-byte Folded Spill
	buffer_store_dword v79, off, s[20:23], 0 offset:904 ; 4-byte Folded Spill
	;; [unrolled: 1-line block ×3, first 2 shown]
	s_and_saveexec_b64 s[2:3], vcc
	s_cbranch_execz .LBB81_100
; %bb.99:
	buffer_load_dword v103, off, s[20:23], 0 offset:80 ; 4-byte Folded Reload
	buffer_load_dword v104, off, s[20:23], 0 offset:84 ; 4-byte Folded Reload
	;; [unrolled: 1-line block ×8, first 2 shown]
	s_waitcnt vmcnt(2)
	v_mul_f64 v[99:100], v[77:78], v[105:106]
	s_waitcnt vmcnt(0)
	v_mul_f64 v[97:98], v[79:80], v[105:106]
	v_fma_f64 v[105:106], v[79:80], v[103:104], v[99:100]
	ds_read2_b64 v[99:102], v125 offset0:22 offset1:23
	v_fma_f64 v[97:98], v[77:78], v[103:104], -v[97:98]
	buffer_load_dword v77, off, s[20:23], 0 offset:64 ; 4-byte Folded Reload
	buffer_load_dword v78, off, s[20:23], 0 offset:68 ; 4-byte Folded Reload
	;; [unrolled: 1-line block ×4, first 2 shown]
	s_waitcnt lgkmcnt(0)
	v_mul_f64 v[103:104], v[101:102], v[105:106]
	v_fma_f64 v[103:104], v[99:100], v[97:98], -v[103:104]
	v_mul_f64 v[99:100], v[99:100], v[105:106]
	v_fma_f64 v[99:100], v[101:102], v[97:98], v[99:100]
	s_waitcnt vmcnt(2)
	v_add_f64 v[77:78], v[77:78], -v[103:104]
	s_waitcnt vmcnt(0)
	v_add_f64 v[79:80], v[79:80], -v[99:100]
	buffer_store_dword v77, off, s[20:23], 0 offset:64 ; 4-byte Folded Spill
	s_nop 0
	buffer_store_dword v78, off, s[20:23], 0 offset:68 ; 4-byte Folded Spill
	buffer_store_dword v79, off, s[20:23], 0 offset:72 ; 4-byte Folded Spill
	buffer_store_dword v80, off, s[20:23], 0 offset:76 ; 4-byte Folded Spill
	ds_read2_b64 v[99:102], v125 offset0:24 offset1:25
	buffer_load_dword v77, off, s[20:23], 0 offset:48 ; 4-byte Folded Reload
	buffer_load_dword v78, off, s[20:23], 0 offset:52 ; 4-byte Folded Reload
	;; [unrolled: 1-line block ×4, first 2 shown]
	s_waitcnt lgkmcnt(0)
	v_mul_f64 v[103:104], v[101:102], v[105:106]
	v_fma_f64 v[103:104], v[99:100], v[97:98], -v[103:104]
	v_mul_f64 v[99:100], v[99:100], v[105:106]
	v_fma_f64 v[99:100], v[101:102], v[97:98], v[99:100]
	s_waitcnt vmcnt(2)
	v_add_f64 v[77:78], v[77:78], -v[103:104]
	s_waitcnt vmcnt(0)
	v_add_f64 v[79:80], v[79:80], -v[99:100]
	buffer_store_dword v77, off, s[20:23], 0 offset:48 ; 4-byte Folded Spill
	s_nop 0
	buffer_store_dword v78, off, s[20:23], 0 offset:52 ; 4-byte Folded Spill
	buffer_store_dword v79, off, s[20:23], 0 offset:56 ; 4-byte Folded Spill
	;; [unrolled: 1-line block ×3, first 2 shown]
	ds_read2_b64 v[99:102], v125 offset0:26 offset1:27
	s_waitcnt lgkmcnt(0)
	v_mul_f64 v[103:104], v[101:102], v[105:106]
	v_fma_f64 v[103:104], v[99:100], v[97:98], -v[103:104]
	v_mul_f64 v[99:100], v[99:100], v[105:106]
	v_add_f64 v[85:86], v[85:86], -v[103:104]
	v_fma_f64 v[99:100], v[101:102], v[97:98], v[99:100]
	v_add_f64 v[87:88], v[87:88], -v[99:100]
	ds_read2_b64 v[99:102], v125 offset0:28 offset1:29
	s_waitcnt lgkmcnt(0)
	v_mul_f64 v[103:104], v[101:102], v[105:106]
	v_fma_f64 v[103:104], v[99:100], v[97:98], -v[103:104]
	v_mul_f64 v[99:100], v[99:100], v[105:106]
	v_add_f64 v[117:118], v[117:118], -v[103:104]
	v_fma_f64 v[99:100], v[101:102], v[97:98], v[99:100]
	v_add_f64 v[119:120], v[119:120], -v[99:100]
	;; [unrolled: 8-line block ×5, first 2 shown]
	ds_read2_b64 v[99:102], v125 offset0:36 offset1:37
	buffer_load_dword v81, off, s[20:23], 0 offset:32 ; 4-byte Folded Reload
	buffer_load_dword v82, off, s[20:23], 0 offset:36 ; 4-byte Folded Reload
	;; [unrolled: 1-line block ×4, first 2 shown]
	s_waitcnt lgkmcnt(0)
	v_mul_f64 v[103:104], v[101:102], v[105:106]
	v_fma_f64 v[103:104], v[99:100], v[97:98], -v[103:104]
	v_mul_f64 v[99:100], v[99:100], v[105:106]
	v_fma_f64 v[99:100], v[101:102], v[97:98], v[99:100]
	s_waitcnt vmcnt(2)
	v_add_f64 v[81:82], v[81:82], -v[103:104]
	s_waitcnt vmcnt(0)
	v_add_f64 v[83:84], v[83:84], -v[99:100]
	buffer_store_dword v81, off, s[20:23], 0 offset:32 ; 4-byte Folded Spill
	s_nop 0
	buffer_store_dword v82, off, s[20:23], 0 offset:36 ; 4-byte Folded Spill
	buffer_store_dword v83, off, s[20:23], 0 offset:40 ; 4-byte Folded Spill
	;; [unrolled: 1-line block ×3, first 2 shown]
	ds_read2_b64 v[99:102], v125 offset0:38 offset1:39
	s_waitcnt lgkmcnt(0)
	v_mul_f64 v[103:104], v[101:102], v[105:106]
	v_fma_f64 v[103:104], v[99:100], v[97:98], -v[103:104]
	v_mul_f64 v[99:100], v[99:100], v[105:106]
	v_add_f64 v[93:94], v[93:94], -v[103:104]
	v_fma_f64 v[99:100], v[101:102], v[97:98], v[99:100]
	v_add_f64 v[95:96], v[95:96], -v[99:100]
	ds_read2_b64 v[99:102], v125 offset0:40 offset1:41
	buffer_load_dword v77, off, s[20:23], 0 ; 4-byte Folded Reload
	buffer_load_dword v78, off, s[20:23], 0 offset:4 ; 4-byte Folded Reload
	buffer_load_dword v79, off, s[20:23], 0 offset:8 ; 4-byte Folded Reload
	;; [unrolled: 1-line block ×3, first 2 shown]
	s_waitcnt lgkmcnt(0)
	v_mul_f64 v[103:104], v[101:102], v[105:106]
	v_fma_f64 v[103:104], v[99:100], v[97:98], -v[103:104]
	v_mul_f64 v[99:100], v[99:100], v[105:106]
	v_fma_f64 v[99:100], v[101:102], v[97:98], v[99:100]
	s_waitcnt vmcnt(2)
	v_add_f64 v[77:78], v[77:78], -v[103:104]
	s_waitcnt vmcnt(0)
	v_add_f64 v[79:80], v[79:80], -v[99:100]
	buffer_store_dword v77, off, s[20:23], 0 ; 4-byte Folded Spill
	s_nop 0
	buffer_store_dword v78, off, s[20:23], 0 offset:4 ; 4-byte Folded Spill
	buffer_store_dword v79, off, s[20:23], 0 offset:8 ; 4-byte Folded Spill
	;; [unrolled: 1-line block ×3, first 2 shown]
	ds_read2_b64 v[99:102], v125 offset0:42 offset1:43
	s_waitcnt lgkmcnt(0)
	v_mul_f64 v[103:104], v[101:102], v[105:106]
	v_fma_f64 v[103:104], v[99:100], v[97:98], -v[103:104]
	v_mul_f64 v[99:100], v[99:100], v[105:106]
	v_add_f64 v[73:74], v[73:74], -v[103:104]
	v_fma_f64 v[99:100], v[101:102], v[97:98], v[99:100]
	v_add_f64 v[75:76], v[75:76], -v[99:100]
	ds_read2_b64 v[99:102], v125 offset0:44 offset1:45
	s_waitcnt lgkmcnt(0)
	v_mul_f64 v[103:104], v[101:102], v[105:106]
	v_fma_f64 v[103:104], v[99:100], v[97:98], -v[103:104]
	v_mul_f64 v[99:100], v[99:100], v[105:106]
	v_add_f64 v[69:70], v[69:70], -v[103:104]
	v_fma_f64 v[99:100], v[101:102], v[97:98], v[99:100]
	v_add_f64 v[71:72], v[71:72], -v[99:100]
	;; [unrolled: 8-line block ×19, first 2 shown]
	ds_read2_b64 v[99:102], v125 offset0:80 offset1:81
	buffer_load_dword v77, off, s[20:23], 0 offset:16 ; 4-byte Folded Reload
	buffer_load_dword v78, off, s[20:23], 0 offset:20 ; 4-byte Folded Reload
	;; [unrolled: 1-line block ×4, first 2 shown]
	s_waitcnt lgkmcnt(0)
	v_mul_f64 v[103:104], v[101:102], v[105:106]
	v_fma_f64 v[103:104], v[99:100], v[97:98], -v[103:104]
	v_mul_f64 v[99:100], v[99:100], v[105:106]
	v_fma_f64 v[99:100], v[101:102], v[97:98], v[99:100]
	s_waitcnt vmcnt(2)
	v_add_f64 v[77:78], v[77:78], -v[103:104]
	v_mov_b32_e32 v104, v98
	s_waitcnt vmcnt(0)
	v_add_f64 v[79:80], v[79:80], -v[99:100]
	v_mov_b32_e32 v103, v97
	buffer_store_dword v77, off, s[20:23], 0 offset:16 ; 4-byte Folded Spill
	s_nop 0
	buffer_store_dword v78, off, s[20:23], 0 offset:20 ; 4-byte Folded Spill
	buffer_store_dword v79, off, s[20:23], 0 offset:24 ; 4-byte Folded Spill
	;; [unrolled: 1-line block ×4, first 2 shown]
	s_nop 0
	buffer_store_dword v104, off, s[20:23], 0 offset:84 ; 4-byte Folded Spill
	buffer_store_dword v105, off, s[20:23], 0 offset:88 ; 4-byte Folded Spill
	buffer_store_dword v106, off, s[20:23], 0 offset:92 ; 4-byte Folded Spill
.LBB81_100:
	s_or_b64 exec, exec, s[2:3]
	v_cmp_eq_u32_e32 vcc, 11, v0
	s_waitcnt vmcnt(0)
	s_barrier
	s_and_saveexec_b64 s[4:5], vcc
	s_cbranch_execz .LBB81_107
; %bb.101:
	buffer_load_dword v77, off, s[20:23], 0 offset:64 ; 4-byte Folded Reload
	buffer_load_dword v78, off, s[20:23], 0 offset:68 ; 4-byte Folded Reload
	;; [unrolled: 1-line block ×4, first 2 shown]
	s_waitcnt vmcnt(0)
	ds_write2_b64 v127, v[77:78], v[79:80] offset1:1
	buffer_load_dword v77, off, s[20:23], 0 offset:48 ; 4-byte Folded Reload
	buffer_load_dword v78, off, s[20:23], 0 offset:52 ; 4-byte Folded Reload
	;; [unrolled: 1-line block ×4, first 2 shown]
	s_waitcnt vmcnt(0)
	ds_write2_b64 v125, v[77:78], v[79:80] offset0:24 offset1:25
	ds_write2_b64 v125, v[85:86], v[87:88] offset0:26 offset1:27
	;; [unrolled: 1-line block ×6, first 2 shown]
	buffer_load_dword v81, off, s[20:23], 0 offset:32 ; 4-byte Folded Reload
	buffer_load_dword v82, off, s[20:23], 0 offset:36 ; 4-byte Folded Reload
	;; [unrolled: 1-line block ×4, first 2 shown]
	s_waitcnt vmcnt(0)
	ds_write2_b64 v125, v[81:82], v[83:84] offset0:36 offset1:37
	ds_write2_b64 v125, v[93:94], v[95:96] offset0:38 offset1:39
	buffer_load_dword v77, off, s[20:23], 0 ; 4-byte Folded Reload
	buffer_load_dword v78, off, s[20:23], 0 offset:4 ; 4-byte Folded Reload
	buffer_load_dword v79, off, s[20:23], 0 offset:8 ; 4-byte Folded Reload
	;; [unrolled: 1-line block ×3, first 2 shown]
	s_waitcnt vmcnt(0)
	ds_write2_b64 v125, v[77:78], v[79:80] offset0:40 offset1:41
	ds_write2_b64 v125, v[73:74], v[75:76] offset0:42 offset1:43
	;; [unrolled: 1-line block ×20, first 2 shown]
	buffer_load_dword v77, off, s[20:23], 0 offset:16 ; 4-byte Folded Reload
	buffer_load_dword v78, off, s[20:23], 0 offset:20 ; 4-byte Folded Reload
	;; [unrolled: 1-line block ×4, first 2 shown]
	s_waitcnt vmcnt(0)
	ds_write2_b64 v125, v[77:78], v[79:80] offset0:80 offset1:81
	ds_read2_b64 v[97:100], v127 offset1:1
	s_waitcnt lgkmcnt(0)
	v_cmp_neq_f64_e32 vcc, 0, v[97:98]
	v_cmp_neq_f64_e64 s[2:3], 0, v[99:100]
	s_or_b64 s[2:3], vcc, s[2:3]
	s_and_b64 exec, exec, s[2:3]
	s_cbranch_execz .LBB81_107
; %bb.102:
	v_cmp_ngt_f64_e64 s[2:3], |v[97:98]|, |v[99:100]|
                                        ; implicit-def: $vgpr101_vgpr102
	s_and_saveexec_b64 s[6:7], s[2:3]
	s_xor_b64 s[2:3], exec, s[6:7]
                                        ; implicit-def: $vgpr103_vgpr104
	s_cbranch_execz .LBB81_104
; %bb.103:
	v_div_scale_f64 v[101:102], s[6:7], v[99:100], v[99:100], v[97:98]
	v_rcp_f64_e32 v[103:104], v[101:102]
	v_fma_f64 v[105:106], -v[101:102], v[103:104], 1.0
	v_fma_f64 v[103:104], v[103:104], v[105:106], v[103:104]
	v_div_scale_f64 v[105:106], vcc, v[97:98], v[99:100], v[97:98]
	v_fma_f64 v[107:108], -v[101:102], v[103:104], 1.0
	v_fma_f64 v[103:104], v[103:104], v[107:108], v[103:104]
	v_mul_f64 v[107:108], v[105:106], v[103:104]
	v_fma_f64 v[101:102], -v[101:102], v[107:108], v[105:106]
	v_div_fmas_f64 v[101:102], v[101:102], v[103:104], v[107:108]
	v_div_fixup_f64 v[101:102], v[101:102], v[99:100], v[97:98]
	v_fma_f64 v[97:98], v[97:98], v[101:102], v[99:100]
	v_div_scale_f64 v[99:100], s[6:7], v[97:98], v[97:98], 1.0
	v_div_scale_f64 v[107:108], vcc, 1.0, v[97:98], 1.0
	v_rcp_f64_e32 v[103:104], v[99:100]
	v_fma_f64 v[105:106], -v[99:100], v[103:104], 1.0
	v_fma_f64 v[103:104], v[103:104], v[105:106], v[103:104]
	v_fma_f64 v[105:106], -v[99:100], v[103:104], 1.0
	v_fma_f64 v[103:104], v[103:104], v[105:106], v[103:104]
	v_mul_f64 v[105:106], v[107:108], v[103:104]
	v_fma_f64 v[99:100], -v[99:100], v[105:106], v[107:108]
	v_div_fmas_f64 v[99:100], v[99:100], v[103:104], v[105:106]
	v_div_fixup_f64 v[103:104], v[99:100], v[97:98], 1.0
                                        ; implicit-def: $vgpr97_vgpr98
	v_mul_f64 v[101:102], v[101:102], v[103:104]
	v_xor_b32_e32 v104, 0x80000000, v104
.LBB81_104:
	s_andn2_saveexec_b64 s[2:3], s[2:3]
	s_cbranch_execz .LBB81_106
; %bb.105:
	v_div_scale_f64 v[101:102], s[6:7], v[97:98], v[97:98], v[99:100]
	v_rcp_f64_e32 v[103:104], v[101:102]
	v_fma_f64 v[105:106], -v[101:102], v[103:104], 1.0
	v_fma_f64 v[103:104], v[103:104], v[105:106], v[103:104]
	v_div_scale_f64 v[105:106], vcc, v[99:100], v[97:98], v[99:100]
	v_fma_f64 v[107:108], -v[101:102], v[103:104], 1.0
	v_fma_f64 v[103:104], v[103:104], v[107:108], v[103:104]
	v_mul_f64 v[107:108], v[105:106], v[103:104]
	v_fma_f64 v[101:102], -v[101:102], v[107:108], v[105:106]
	v_div_fmas_f64 v[101:102], v[101:102], v[103:104], v[107:108]
	v_div_fixup_f64 v[103:104], v[101:102], v[97:98], v[99:100]
	v_fma_f64 v[97:98], v[99:100], v[103:104], v[97:98]
	v_div_scale_f64 v[99:100], s[6:7], v[97:98], v[97:98], 1.0
	v_div_scale_f64 v[107:108], vcc, 1.0, v[97:98], 1.0
	v_rcp_f64_e32 v[101:102], v[99:100]
	v_fma_f64 v[105:106], -v[99:100], v[101:102], 1.0
	v_fma_f64 v[101:102], v[101:102], v[105:106], v[101:102]
	v_fma_f64 v[105:106], -v[99:100], v[101:102], 1.0
	v_fma_f64 v[101:102], v[101:102], v[105:106], v[101:102]
	v_mul_f64 v[105:106], v[107:108], v[101:102]
	v_fma_f64 v[99:100], -v[99:100], v[105:106], v[107:108]
	v_div_fmas_f64 v[99:100], v[99:100], v[101:102], v[105:106]
	v_div_fixup_f64 v[101:102], v[99:100], v[97:98], 1.0
	v_mul_f64 v[103:104], v[103:104], -v[101:102]
.LBB81_106:
	s_or_b64 exec, exec, s[2:3]
	ds_write2_b64 v127, v[101:102], v[103:104] offset1:1
.LBB81_107:
	s_or_b64 exec, exec, s[4:5]
	s_waitcnt lgkmcnt(0)
	s_barrier
	ds_read2_b64 v[77:80], v127 offset1:1
	v_cmp_lt_u32_e32 vcc, 11, v0
	s_waitcnt lgkmcnt(0)
	buffer_store_dword v77, off, s[20:23], 0 offset:912 ; 4-byte Folded Spill
	s_nop 0
	buffer_store_dword v78, off, s[20:23], 0 offset:916 ; 4-byte Folded Spill
	buffer_store_dword v79, off, s[20:23], 0 offset:920 ; 4-byte Folded Spill
	;; [unrolled: 1-line block ×3, first 2 shown]
	s_and_saveexec_b64 s[2:3], vcc
	s_cbranch_execz .LBB81_109
; %bb.108:
	buffer_load_dword v103, off, s[20:23], 0 offset:64 ; 4-byte Folded Reload
	buffer_load_dword v104, off, s[20:23], 0 offset:68 ; 4-byte Folded Reload
	;; [unrolled: 1-line block ×8, first 2 shown]
	s_waitcnt vmcnt(2)
	v_mul_f64 v[99:100], v[77:78], v[105:106]
	s_waitcnt vmcnt(0)
	v_mul_f64 v[97:98], v[79:80], v[105:106]
	v_fma_f64 v[105:106], v[79:80], v[103:104], v[99:100]
	ds_read2_b64 v[99:102], v125 offset0:24 offset1:25
	v_fma_f64 v[97:98], v[77:78], v[103:104], -v[97:98]
	buffer_load_dword v77, off, s[20:23], 0 offset:48 ; 4-byte Folded Reload
	buffer_load_dword v78, off, s[20:23], 0 offset:52 ; 4-byte Folded Reload
	;; [unrolled: 1-line block ×4, first 2 shown]
	s_waitcnt lgkmcnt(0)
	v_mul_f64 v[103:104], v[101:102], v[105:106]
	v_fma_f64 v[103:104], v[99:100], v[97:98], -v[103:104]
	v_mul_f64 v[99:100], v[99:100], v[105:106]
	v_fma_f64 v[99:100], v[101:102], v[97:98], v[99:100]
	s_waitcnt vmcnt(2)
	v_add_f64 v[77:78], v[77:78], -v[103:104]
	s_waitcnt vmcnt(0)
	v_add_f64 v[79:80], v[79:80], -v[99:100]
	buffer_store_dword v77, off, s[20:23], 0 offset:48 ; 4-byte Folded Spill
	s_nop 0
	buffer_store_dword v78, off, s[20:23], 0 offset:52 ; 4-byte Folded Spill
	buffer_store_dword v79, off, s[20:23], 0 offset:56 ; 4-byte Folded Spill
	;; [unrolled: 1-line block ×3, first 2 shown]
	ds_read2_b64 v[99:102], v125 offset0:26 offset1:27
	s_waitcnt lgkmcnt(0)
	v_mul_f64 v[103:104], v[101:102], v[105:106]
	v_fma_f64 v[103:104], v[99:100], v[97:98], -v[103:104]
	v_mul_f64 v[99:100], v[99:100], v[105:106]
	v_add_f64 v[85:86], v[85:86], -v[103:104]
	v_fma_f64 v[99:100], v[101:102], v[97:98], v[99:100]
	v_add_f64 v[87:88], v[87:88], -v[99:100]
	ds_read2_b64 v[99:102], v125 offset0:28 offset1:29
	s_waitcnt lgkmcnt(0)
	v_mul_f64 v[103:104], v[101:102], v[105:106]
	v_fma_f64 v[103:104], v[99:100], v[97:98], -v[103:104]
	v_mul_f64 v[99:100], v[99:100], v[105:106]
	v_add_f64 v[117:118], v[117:118], -v[103:104]
	v_fma_f64 v[99:100], v[101:102], v[97:98], v[99:100]
	v_add_f64 v[119:120], v[119:120], -v[99:100]
	;; [unrolled: 8-line block ×5, first 2 shown]
	ds_read2_b64 v[99:102], v125 offset0:36 offset1:37
	buffer_load_dword v81, off, s[20:23], 0 offset:32 ; 4-byte Folded Reload
	buffer_load_dword v82, off, s[20:23], 0 offset:36 ; 4-byte Folded Reload
	;; [unrolled: 1-line block ×4, first 2 shown]
	s_waitcnt lgkmcnt(0)
	v_mul_f64 v[103:104], v[101:102], v[105:106]
	v_fma_f64 v[103:104], v[99:100], v[97:98], -v[103:104]
	v_mul_f64 v[99:100], v[99:100], v[105:106]
	v_fma_f64 v[99:100], v[101:102], v[97:98], v[99:100]
	s_waitcnt vmcnt(2)
	v_add_f64 v[81:82], v[81:82], -v[103:104]
	s_waitcnt vmcnt(0)
	v_add_f64 v[83:84], v[83:84], -v[99:100]
	buffer_store_dword v81, off, s[20:23], 0 offset:32 ; 4-byte Folded Spill
	s_nop 0
	buffer_store_dword v82, off, s[20:23], 0 offset:36 ; 4-byte Folded Spill
	buffer_store_dword v83, off, s[20:23], 0 offset:40 ; 4-byte Folded Spill
	;; [unrolled: 1-line block ×3, first 2 shown]
	ds_read2_b64 v[99:102], v125 offset0:38 offset1:39
	s_waitcnt lgkmcnt(0)
	v_mul_f64 v[103:104], v[101:102], v[105:106]
	v_fma_f64 v[103:104], v[99:100], v[97:98], -v[103:104]
	v_mul_f64 v[99:100], v[99:100], v[105:106]
	v_add_f64 v[93:94], v[93:94], -v[103:104]
	v_fma_f64 v[99:100], v[101:102], v[97:98], v[99:100]
	v_add_f64 v[95:96], v[95:96], -v[99:100]
	ds_read2_b64 v[99:102], v125 offset0:40 offset1:41
	buffer_load_dword v77, off, s[20:23], 0 ; 4-byte Folded Reload
	buffer_load_dword v78, off, s[20:23], 0 offset:4 ; 4-byte Folded Reload
	buffer_load_dword v79, off, s[20:23], 0 offset:8 ; 4-byte Folded Reload
	;; [unrolled: 1-line block ×3, first 2 shown]
	s_waitcnt lgkmcnt(0)
	v_mul_f64 v[103:104], v[101:102], v[105:106]
	v_fma_f64 v[103:104], v[99:100], v[97:98], -v[103:104]
	v_mul_f64 v[99:100], v[99:100], v[105:106]
	v_fma_f64 v[99:100], v[101:102], v[97:98], v[99:100]
	s_waitcnt vmcnt(2)
	v_add_f64 v[77:78], v[77:78], -v[103:104]
	s_waitcnt vmcnt(0)
	v_add_f64 v[79:80], v[79:80], -v[99:100]
	buffer_store_dword v77, off, s[20:23], 0 ; 4-byte Folded Spill
	s_nop 0
	buffer_store_dword v78, off, s[20:23], 0 offset:4 ; 4-byte Folded Spill
	buffer_store_dword v79, off, s[20:23], 0 offset:8 ; 4-byte Folded Spill
	;; [unrolled: 1-line block ×3, first 2 shown]
	ds_read2_b64 v[99:102], v125 offset0:42 offset1:43
	s_waitcnt lgkmcnt(0)
	v_mul_f64 v[103:104], v[101:102], v[105:106]
	v_fma_f64 v[103:104], v[99:100], v[97:98], -v[103:104]
	v_mul_f64 v[99:100], v[99:100], v[105:106]
	v_add_f64 v[73:74], v[73:74], -v[103:104]
	v_fma_f64 v[99:100], v[101:102], v[97:98], v[99:100]
	v_add_f64 v[75:76], v[75:76], -v[99:100]
	ds_read2_b64 v[99:102], v125 offset0:44 offset1:45
	s_waitcnt lgkmcnt(0)
	v_mul_f64 v[103:104], v[101:102], v[105:106]
	v_fma_f64 v[103:104], v[99:100], v[97:98], -v[103:104]
	v_mul_f64 v[99:100], v[99:100], v[105:106]
	v_add_f64 v[69:70], v[69:70], -v[103:104]
	v_fma_f64 v[99:100], v[101:102], v[97:98], v[99:100]
	v_add_f64 v[71:72], v[71:72], -v[99:100]
	;; [unrolled: 8-line block ×19, first 2 shown]
	ds_read2_b64 v[99:102], v125 offset0:80 offset1:81
	buffer_load_dword v77, off, s[20:23], 0 offset:16 ; 4-byte Folded Reload
	buffer_load_dword v78, off, s[20:23], 0 offset:20 ; 4-byte Folded Reload
	;; [unrolled: 1-line block ×4, first 2 shown]
	s_waitcnt lgkmcnt(0)
	v_mul_f64 v[103:104], v[101:102], v[105:106]
	v_fma_f64 v[103:104], v[99:100], v[97:98], -v[103:104]
	v_mul_f64 v[99:100], v[99:100], v[105:106]
	v_fma_f64 v[99:100], v[101:102], v[97:98], v[99:100]
	s_waitcnt vmcnt(2)
	v_add_f64 v[77:78], v[77:78], -v[103:104]
	v_mov_b32_e32 v104, v98
	s_waitcnt vmcnt(0)
	v_add_f64 v[79:80], v[79:80], -v[99:100]
	v_mov_b32_e32 v103, v97
	buffer_store_dword v77, off, s[20:23], 0 offset:16 ; 4-byte Folded Spill
	s_nop 0
	buffer_store_dword v78, off, s[20:23], 0 offset:20 ; 4-byte Folded Spill
	buffer_store_dword v79, off, s[20:23], 0 offset:24 ; 4-byte Folded Spill
	;; [unrolled: 1-line block ×4, first 2 shown]
	s_nop 0
	buffer_store_dword v104, off, s[20:23], 0 offset:68 ; 4-byte Folded Spill
	buffer_store_dword v105, off, s[20:23], 0 offset:72 ; 4-byte Folded Spill
	;; [unrolled: 1-line block ×3, first 2 shown]
.LBB81_109:
	s_or_b64 exec, exec, s[2:3]
	v_cmp_eq_u32_e32 vcc, 12, v0
	s_waitcnt vmcnt(0)
	s_barrier
	s_and_saveexec_b64 s[4:5], vcc
	s_cbranch_execz .LBB81_116
; %bb.110:
	buffer_load_dword v77, off, s[20:23], 0 offset:48 ; 4-byte Folded Reload
	buffer_load_dword v78, off, s[20:23], 0 offset:52 ; 4-byte Folded Reload
	;; [unrolled: 1-line block ×4, first 2 shown]
	s_waitcnt vmcnt(0)
	ds_write2_b64 v127, v[77:78], v[79:80] offset1:1
	ds_write2_b64 v125, v[85:86], v[87:88] offset0:26 offset1:27
	ds_write2_b64 v125, v[117:118], v[119:120] offset0:28 offset1:29
	ds_write2_b64 v125, v[121:122], v[123:124] offset0:30 offset1:31
	ds_write2_b64 v125, v[109:110], v[111:112] offset0:32 offset1:33
	ds_write2_b64 v125, v[113:114], v[115:116] offset0:34 offset1:35
	buffer_load_dword v81, off, s[20:23], 0 offset:32 ; 4-byte Folded Reload
	buffer_load_dword v82, off, s[20:23], 0 offset:36 ; 4-byte Folded Reload
	;; [unrolled: 1-line block ×4, first 2 shown]
	s_waitcnt vmcnt(0)
	ds_write2_b64 v125, v[81:82], v[83:84] offset0:36 offset1:37
	ds_write2_b64 v125, v[93:94], v[95:96] offset0:38 offset1:39
	buffer_load_dword v77, off, s[20:23], 0 ; 4-byte Folded Reload
	buffer_load_dword v78, off, s[20:23], 0 offset:4 ; 4-byte Folded Reload
	buffer_load_dword v79, off, s[20:23], 0 offset:8 ; 4-byte Folded Reload
	;; [unrolled: 1-line block ×3, first 2 shown]
	s_waitcnt vmcnt(0)
	ds_write2_b64 v125, v[77:78], v[79:80] offset0:40 offset1:41
	ds_write2_b64 v125, v[73:74], v[75:76] offset0:42 offset1:43
	;; [unrolled: 1-line block ×20, first 2 shown]
	buffer_load_dword v77, off, s[20:23], 0 offset:16 ; 4-byte Folded Reload
	buffer_load_dword v78, off, s[20:23], 0 offset:20 ; 4-byte Folded Reload
	buffer_load_dword v79, off, s[20:23], 0 offset:24 ; 4-byte Folded Reload
	buffer_load_dword v80, off, s[20:23], 0 offset:28 ; 4-byte Folded Reload
	s_waitcnt vmcnt(0)
	ds_write2_b64 v125, v[77:78], v[79:80] offset0:80 offset1:81
	ds_read2_b64 v[97:100], v127 offset1:1
	s_waitcnt lgkmcnt(0)
	v_cmp_neq_f64_e32 vcc, 0, v[97:98]
	v_cmp_neq_f64_e64 s[2:3], 0, v[99:100]
	s_or_b64 s[2:3], vcc, s[2:3]
	s_and_b64 exec, exec, s[2:3]
	s_cbranch_execz .LBB81_116
; %bb.111:
	v_cmp_ngt_f64_e64 s[2:3], |v[97:98]|, |v[99:100]|
                                        ; implicit-def: $vgpr101_vgpr102
	s_and_saveexec_b64 s[6:7], s[2:3]
	s_xor_b64 s[2:3], exec, s[6:7]
                                        ; implicit-def: $vgpr103_vgpr104
	s_cbranch_execz .LBB81_113
; %bb.112:
	v_div_scale_f64 v[101:102], s[6:7], v[99:100], v[99:100], v[97:98]
	v_rcp_f64_e32 v[103:104], v[101:102]
	v_fma_f64 v[105:106], -v[101:102], v[103:104], 1.0
	v_fma_f64 v[103:104], v[103:104], v[105:106], v[103:104]
	v_div_scale_f64 v[105:106], vcc, v[97:98], v[99:100], v[97:98]
	v_fma_f64 v[107:108], -v[101:102], v[103:104], 1.0
	v_fma_f64 v[103:104], v[103:104], v[107:108], v[103:104]
	v_mul_f64 v[107:108], v[105:106], v[103:104]
	v_fma_f64 v[101:102], -v[101:102], v[107:108], v[105:106]
	v_div_fmas_f64 v[101:102], v[101:102], v[103:104], v[107:108]
	v_div_fixup_f64 v[101:102], v[101:102], v[99:100], v[97:98]
	v_fma_f64 v[97:98], v[97:98], v[101:102], v[99:100]
	v_div_scale_f64 v[99:100], s[6:7], v[97:98], v[97:98], 1.0
	v_div_scale_f64 v[107:108], vcc, 1.0, v[97:98], 1.0
	v_rcp_f64_e32 v[103:104], v[99:100]
	v_fma_f64 v[105:106], -v[99:100], v[103:104], 1.0
	v_fma_f64 v[103:104], v[103:104], v[105:106], v[103:104]
	v_fma_f64 v[105:106], -v[99:100], v[103:104], 1.0
	v_fma_f64 v[103:104], v[103:104], v[105:106], v[103:104]
	v_mul_f64 v[105:106], v[107:108], v[103:104]
	v_fma_f64 v[99:100], -v[99:100], v[105:106], v[107:108]
	v_div_fmas_f64 v[99:100], v[99:100], v[103:104], v[105:106]
	v_div_fixup_f64 v[103:104], v[99:100], v[97:98], 1.0
                                        ; implicit-def: $vgpr97_vgpr98
	v_mul_f64 v[101:102], v[101:102], v[103:104]
	v_xor_b32_e32 v104, 0x80000000, v104
.LBB81_113:
	s_andn2_saveexec_b64 s[2:3], s[2:3]
	s_cbranch_execz .LBB81_115
; %bb.114:
	v_div_scale_f64 v[101:102], s[6:7], v[97:98], v[97:98], v[99:100]
	v_rcp_f64_e32 v[103:104], v[101:102]
	v_fma_f64 v[105:106], -v[101:102], v[103:104], 1.0
	v_fma_f64 v[103:104], v[103:104], v[105:106], v[103:104]
	v_div_scale_f64 v[105:106], vcc, v[99:100], v[97:98], v[99:100]
	v_fma_f64 v[107:108], -v[101:102], v[103:104], 1.0
	v_fma_f64 v[103:104], v[103:104], v[107:108], v[103:104]
	v_mul_f64 v[107:108], v[105:106], v[103:104]
	v_fma_f64 v[101:102], -v[101:102], v[107:108], v[105:106]
	v_div_fmas_f64 v[101:102], v[101:102], v[103:104], v[107:108]
	v_div_fixup_f64 v[103:104], v[101:102], v[97:98], v[99:100]
	v_fma_f64 v[97:98], v[99:100], v[103:104], v[97:98]
	v_div_scale_f64 v[99:100], s[6:7], v[97:98], v[97:98], 1.0
	v_div_scale_f64 v[107:108], vcc, 1.0, v[97:98], 1.0
	v_rcp_f64_e32 v[101:102], v[99:100]
	v_fma_f64 v[105:106], -v[99:100], v[101:102], 1.0
	v_fma_f64 v[101:102], v[101:102], v[105:106], v[101:102]
	v_fma_f64 v[105:106], -v[99:100], v[101:102], 1.0
	v_fma_f64 v[101:102], v[101:102], v[105:106], v[101:102]
	v_mul_f64 v[105:106], v[107:108], v[101:102]
	v_fma_f64 v[99:100], -v[99:100], v[105:106], v[107:108]
	v_div_fmas_f64 v[99:100], v[99:100], v[101:102], v[105:106]
	v_div_fixup_f64 v[101:102], v[99:100], v[97:98], 1.0
	v_mul_f64 v[103:104], v[103:104], -v[101:102]
.LBB81_115:
	s_or_b64 exec, exec, s[2:3]
	ds_write2_b64 v127, v[101:102], v[103:104] offset1:1
.LBB81_116:
	s_or_b64 exec, exec, s[4:5]
	s_waitcnt lgkmcnt(0)
	s_barrier
	ds_read2_b64 v[77:80], v127 offset1:1
	v_cmp_lt_u32_e32 vcc, 12, v0
	s_waitcnt lgkmcnt(0)
	buffer_store_dword v77, off, s[20:23], 0 offset:928 ; 4-byte Folded Spill
	s_nop 0
	buffer_store_dword v78, off, s[20:23], 0 offset:932 ; 4-byte Folded Spill
	buffer_store_dword v79, off, s[20:23], 0 offset:936 ; 4-byte Folded Spill
	;; [unrolled: 1-line block ×3, first 2 shown]
	s_and_saveexec_b64 s[2:3], vcc
	s_cbranch_execz .LBB81_118
; %bb.117:
	buffer_load_dword v103, off, s[20:23], 0 offset:48 ; 4-byte Folded Reload
	buffer_load_dword v104, off, s[20:23], 0 offset:52 ; 4-byte Folded Reload
	;; [unrolled: 1-line block ×8, first 2 shown]
	s_waitcnt vmcnt(2)
	v_mul_f64 v[99:100], v[77:78], v[105:106]
	s_waitcnt vmcnt(0)
	v_mul_f64 v[97:98], v[79:80], v[105:106]
	v_fma_f64 v[105:106], v[79:80], v[103:104], v[99:100]
	ds_read2_b64 v[99:102], v125 offset0:26 offset1:27
	v_fma_f64 v[97:98], v[77:78], v[103:104], -v[97:98]
	s_waitcnt lgkmcnt(0)
	v_mul_f64 v[103:104], v[101:102], v[105:106]
	v_fma_f64 v[103:104], v[99:100], v[97:98], -v[103:104]
	v_mul_f64 v[99:100], v[99:100], v[105:106]
	v_add_f64 v[85:86], v[85:86], -v[103:104]
	v_fma_f64 v[99:100], v[101:102], v[97:98], v[99:100]
	v_add_f64 v[87:88], v[87:88], -v[99:100]
	ds_read2_b64 v[99:102], v125 offset0:28 offset1:29
	s_waitcnt lgkmcnt(0)
	v_mul_f64 v[103:104], v[101:102], v[105:106]
	v_fma_f64 v[103:104], v[99:100], v[97:98], -v[103:104]
	v_mul_f64 v[99:100], v[99:100], v[105:106]
	v_add_f64 v[117:118], v[117:118], -v[103:104]
	v_fma_f64 v[99:100], v[101:102], v[97:98], v[99:100]
	v_add_f64 v[119:120], v[119:120], -v[99:100]
	ds_read2_b64 v[99:102], v125 offset0:30 offset1:31
	;; [unrolled: 8-line block ×5, first 2 shown]
	buffer_load_dword v81, off, s[20:23], 0 offset:32 ; 4-byte Folded Reload
	buffer_load_dword v82, off, s[20:23], 0 offset:36 ; 4-byte Folded Reload
	;; [unrolled: 1-line block ×4, first 2 shown]
	s_waitcnt lgkmcnt(0)
	v_mul_f64 v[103:104], v[101:102], v[105:106]
	v_fma_f64 v[103:104], v[99:100], v[97:98], -v[103:104]
	v_mul_f64 v[99:100], v[99:100], v[105:106]
	v_fma_f64 v[99:100], v[101:102], v[97:98], v[99:100]
	s_waitcnt vmcnt(2)
	v_add_f64 v[81:82], v[81:82], -v[103:104]
	s_waitcnt vmcnt(0)
	v_add_f64 v[83:84], v[83:84], -v[99:100]
	buffer_store_dword v81, off, s[20:23], 0 offset:32 ; 4-byte Folded Spill
	s_nop 0
	buffer_store_dword v82, off, s[20:23], 0 offset:36 ; 4-byte Folded Spill
	buffer_store_dword v83, off, s[20:23], 0 offset:40 ; 4-byte Folded Spill
	;; [unrolled: 1-line block ×3, first 2 shown]
	ds_read2_b64 v[99:102], v125 offset0:38 offset1:39
	s_waitcnt lgkmcnt(0)
	v_mul_f64 v[103:104], v[101:102], v[105:106]
	v_fma_f64 v[103:104], v[99:100], v[97:98], -v[103:104]
	v_mul_f64 v[99:100], v[99:100], v[105:106]
	v_add_f64 v[93:94], v[93:94], -v[103:104]
	v_fma_f64 v[99:100], v[101:102], v[97:98], v[99:100]
	v_add_f64 v[95:96], v[95:96], -v[99:100]
	ds_read2_b64 v[99:102], v125 offset0:40 offset1:41
	buffer_load_dword v77, off, s[20:23], 0 ; 4-byte Folded Reload
	buffer_load_dword v78, off, s[20:23], 0 offset:4 ; 4-byte Folded Reload
	buffer_load_dword v79, off, s[20:23], 0 offset:8 ; 4-byte Folded Reload
	;; [unrolled: 1-line block ×3, first 2 shown]
	s_waitcnt lgkmcnt(0)
	v_mul_f64 v[103:104], v[101:102], v[105:106]
	v_fma_f64 v[103:104], v[99:100], v[97:98], -v[103:104]
	v_mul_f64 v[99:100], v[99:100], v[105:106]
	v_fma_f64 v[99:100], v[101:102], v[97:98], v[99:100]
	s_waitcnt vmcnt(2)
	v_add_f64 v[77:78], v[77:78], -v[103:104]
	s_waitcnt vmcnt(0)
	v_add_f64 v[79:80], v[79:80], -v[99:100]
	buffer_store_dword v77, off, s[20:23], 0 ; 4-byte Folded Spill
	s_nop 0
	buffer_store_dword v78, off, s[20:23], 0 offset:4 ; 4-byte Folded Spill
	buffer_store_dword v79, off, s[20:23], 0 offset:8 ; 4-byte Folded Spill
	;; [unrolled: 1-line block ×3, first 2 shown]
	ds_read2_b64 v[99:102], v125 offset0:42 offset1:43
	s_waitcnt lgkmcnt(0)
	v_mul_f64 v[103:104], v[101:102], v[105:106]
	v_fma_f64 v[103:104], v[99:100], v[97:98], -v[103:104]
	v_mul_f64 v[99:100], v[99:100], v[105:106]
	v_add_f64 v[73:74], v[73:74], -v[103:104]
	v_fma_f64 v[99:100], v[101:102], v[97:98], v[99:100]
	v_add_f64 v[75:76], v[75:76], -v[99:100]
	ds_read2_b64 v[99:102], v125 offset0:44 offset1:45
	s_waitcnt lgkmcnt(0)
	v_mul_f64 v[103:104], v[101:102], v[105:106]
	v_fma_f64 v[103:104], v[99:100], v[97:98], -v[103:104]
	v_mul_f64 v[99:100], v[99:100], v[105:106]
	v_add_f64 v[69:70], v[69:70], -v[103:104]
	v_fma_f64 v[99:100], v[101:102], v[97:98], v[99:100]
	v_add_f64 v[71:72], v[71:72], -v[99:100]
	;; [unrolled: 8-line block ×19, first 2 shown]
	ds_read2_b64 v[99:102], v125 offset0:80 offset1:81
	buffer_load_dword v77, off, s[20:23], 0 offset:16 ; 4-byte Folded Reload
	buffer_load_dword v78, off, s[20:23], 0 offset:20 ; 4-byte Folded Reload
	;; [unrolled: 1-line block ×4, first 2 shown]
	s_waitcnt lgkmcnt(0)
	v_mul_f64 v[103:104], v[101:102], v[105:106]
	v_fma_f64 v[103:104], v[99:100], v[97:98], -v[103:104]
	v_mul_f64 v[99:100], v[99:100], v[105:106]
	v_fma_f64 v[99:100], v[101:102], v[97:98], v[99:100]
	s_waitcnt vmcnt(2)
	v_add_f64 v[77:78], v[77:78], -v[103:104]
	v_mov_b32_e32 v104, v98
	s_waitcnt vmcnt(0)
	v_add_f64 v[79:80], v[79:80], -v[99:100]
	v_mov_b32_e32 v103, v97
	buffer_store_dword v77, off, s[20:23], 0 offset:16 ; 4-byte Folded Spill
	s_nop 0
	buffer_store_dword v78, off, s[20:23], 0 offset:20 ; 4-byte Folded Spill
	buffer_store_dword v79, off, s[20:23], 0 offset:24 ; 4-byte Folded Spill
	;; [unrolled: 1-line block ×4, first 2 shown]
	s_nop 0
	buffer_store_dword v104, off, s[20:23], 0 offset:52 ; 4-byte Folded Spill
	buffer_store_dword v105, off, s[20:23], 0 offset:56 ; 4-byte Folded Spill
	;; [unrolled: 1-line block ×3, first 2 shown]
.LBB81_118:
	s_or_b64 exec, exec, s[2:3]
	v_cmp_eq_u32_e32 vcc, 13, v0
	s_waitcnt vmcnt(0)
	s_barrier
	s_and_saveexec_b64 s[4:5], vcc
	s_cbranch_execz .LBB81_125
; %bb.119:
	ds_write2_b64 v127, v[85:86], v[87:88] offset1:1
	ds_write2_b64 v125, v[117:118], v[119:120] offset0:28 offset1:29
	ds_write2_b64 v125, v[121:122], v[123:124] offset0:30 offset1:31
	;; [unrolled: 1-line block ×4, first 2 shown]
	buffer_load_dword v81, off, s[20:23], 0 offset:32 ; 4-byte Folded Reload
	buffer_load_dword v82, off, s[20:23], 0 offset:36 ; 4-byte Folded Reload
	;; [unrolled: 1-line block ×4, first 2 shown]
	s_waitcnt vmcnt(0)
	ds_write2_b64 v125, v[81:82], v[83:84] offset0:36 offset1:37
	ds_write2_b64 v125, v[93:94], v[95:96] offset0:38 offset1:39
	buffer_load_dword v77, off, s[20:23], 0 ; 4-byte Folded Reload
	buffer_load_dword v78, off, s[20:23], 0 offset:4 ; 4-byte Folded Reload
	buffer_load_dword v79, off, s[20:23], 0 offset:8 ; 4-byte Folded Reload
	;; [unrolled: 1-line block ×3, first 2 shown]
	s_waitcnt vmcnt(0)
	ds_write2_b64 v125, v[77:78], v[79:80] offset0:40 offset1:41
	ds_write2_b64 v125, v[73:74], v[75:76] offset0:42 offset1:43
	ds_write2_b64 v125, v[69:70], v[71:72] offset0:44 offset1:45
	ds_write2_b64 v125, v[65:66], v[67:68] offset0:46 offset1:47
	ds_write2_b64 v125, v[61:62], v[63:64] offset0:48 offset1:49
	ds_write2_b64 v125, v[57:58], v[59:60] offset0:50 offset1:51
	ds_write2_b64 v125, v[53:54], v[55:56] offset0:52 offset1:53
	ds_write2_b64 v125, v[49:50], v[51:52] offset0:54 offset1:55
	ds_write2_b64 v125, v[45:46], v[47:48] offset0:56 offset1:57
	ds_write2_b64 v125, v[41:42], v[43:44] offset0:58 offset1:59
	ds_write2_b64 v125, v[37:38], v[39:40] offset0:60 offset1:61
	ds_write2_b64 v125, v[33:34], v[35:36] offset0:62 offset1:63
	ds_write2_b64 v125, v[29:30], v[31:32] offset0:64 offset1:65
	ds_write2_b64 v125, v[25:26], v[27:28] offset0:66 offset1:67
	ds_write2_b64 v125, v[21:22], v[23:24] offset0:68 offset1:69
	ds_write2_b64 v125, v[17:18], v[19:20] offset0:70 offset1:71
	ds_write2_b64 v125, v[13:14], v[15:16] offset0:72 offset1:73
	ds_write2_b64 v125, v[9:10], v[11:12] offset0:74 offset1:75
	ds_write2_b64 v125, v[5:6], v[7:8] offset0:76 offset1:77
	ds_write2_b64 v125, v[1:2], v[3:4] offset0:78 offset1:79
	buffer_load_dword v77, off, s[20:23], 0 offset:16 ; 4-byte Folded Reload
	buffer_load_dword v78, off, s[20:23], 0 offset:20 ; 4-byte Folded Reload
	;; [unrolled: 1-line block ×4, first 2 shown]
	s_waitcnt vmcnt(0)
	ds_write2_b64 v125, v[77:78], v[79:80] offset0:80 offset1:81
	ds_read2_b64 v[97:100], v127 offset1:1
	s_waitcnt lgkmcnt(0)
	v_cmp_neq_f64_e32 vcc, 0, v[97:98]
	v_cmp_neq_f64_e64 s[2:3], 0, v[99:100]
	s_or_b64 s[2:3], vcc, s[2:3]
	s_and_b64 exec, exec, s[2:3]
	s_cbranch_execz .LBB81_125
; %bb.120:
	v_cmp_ngt_f64_e64 s[2:3], |v[97:98]|, |v[99:100]|
                                        ; implicit-def: $vgpr101_vgpr102
	s_and_saveexec_b64 s[6:7], s[2:3]
	s_xor_b64 s[2:3], exec, s[6:7]
                                        ; implicit-def: $vgpr103_vgpr104
	s_cbranch_execz .LBB81_122
; %bb.121:
	v_div_scale_f64 v[101:102], s[6:7], v[99:100], v[99:100], v[97:98]
	v_rcp_f64_e32 v[103:104], v[101:102]
	v_fma_f64 v[105:106], -v[101:102], v[103:104], 1.0
	v_fma_f64 v[103:104], v[103:104], v[105:106], v[103:104]
	v_div_scale_f64 v[105:106], vcc, v[97:98], v[99:100], v[97:98]
	v_fma_f64 v[107:108], -v[101:102], v[103:104], 1.0
	v_fma_f64 v[103:104], v[103:104], v[107:108], v[103:104]
	v_mul_f64 v[107:108], v[105:106], v[103:104]
	v_fma_f64 v[101:102], -v[101:102], v[107:108], v[105:106]
	v_div_fmas_f64 v[101:102], v[101:102], v[103:104], v[107:108]
	v_div_fixup_f64 v[101:102], v[101:102], v[99:100], v[97:98]
	v_fma_f64 v[97:98], v[97:98], v[101:102], v[99:100]
	v_div_scale_f64 v[99:100], s[6:7], v[97:98], v[97:98], 1.0
	v_div_scale_f64 v[107:108], vcc, 1.0, v[97:98], 1.0
	v_rcp_f64_e32 v[103:104], v[99:100]
	v_fma_f64 v[105:106], -v[99:100], v[103:104], 1.0
	v_fma_f64 v[103:104], v[103:104], v[105:106], v[103:104]
	v_fma_f64 v[105:106], -v[99:100], v[103:104], 1.0
	v_fma_f64 v[103:104], v[103:104], v[105:106], v[103:104]
	v_mul_f64 v[105:106], v[107:108], v[103:104]
	v_fma_f64 v[99:100], -v[99:100], v[105:106], v[107:108]
	v_div_fmas_f64 v[99:100], v[99:100], v[103:104], v[105:106]
	v_div_fixup_f64 v[103:104], v[99:100], v[97:98], 1.0
                                        ; implicit-def: $vgpr97_vgpr98
	v_mul_f64 v[101:102], v[101:102], v[103:104]
	v_xor_b32_e32 v104, 0x80000000, v104
.LBB81_122:
	s_andn2_saveexec_b64 s[2:3], s[2:3]
	s_cbranch_execz .LBB81_124
; %bb.123:
	v_div_scale_f64 v[101:102], s[6:7], v[97:98], v[97:98], v[99:100]
	v_rcp_f64_e32 v[103:104], v[101:102]
	v_fma_f64 v[105:106], -v[101:102], v[103:104], 1.0
	v_fma_f64 v[103:104], v[103:104], v[105:106], v[103:104]
	v_div_scale_f64 v[105:106], vcc, v[99:100], v[97:98], v[99:100]
	v_fma_f64 v[107:108], -v[101:102], v[103:104], 1.0
	v_fma_f64 v[103:104], v[103:104], v[107:108], v[103:104]
	v_mul_f64 v[107:108], v[105:106], v[103:104]
	v_fma_f64 v[101:102], -v[101:102], v[107:108], v[105:106]
	v_div_fmas_f64 v[101:102], v[101:102], v[103:104], v[107:108]
	v_div_fixup_f64 v[103:104], v[101:102], v[97:98], v[99:100]
	v_fma_f64 v[97:98], v[99:100], v[103:104], v[97:98]
	v_div_scale_f64 v[99:100], s[6:7], v[97:98], v[97:98], 1.0
	v_div_scale_f64 v[107:108], vcc, 1.0, v[97:98], 1.0
	v_rcp_f64_e32 v[101:102], v[99:100]
	v_fma_f64 v[105:106], -v[99:100], v[101:102], 1.0
	v_fma_f64 v[101:102], v[101:102], v[105:106], v[101:102]
	v_fma_f64 v[105:106], -v[99:100], v[101:102], 1.0
	v_fma_f64 v[101:102], v[101:102], v[105:106], v[101:102]
	v_mul_f64 v[105:106], v[107:108], v[101:102]
	v_fma_f64 v[99:100], -v[99:100], v[105:106], v[107:108]
	v_div_fmas_f64 v[99:100], v[99:100], v[101:102], v[105:106]
	v_div_fixup_f64 v[101:102], v[99:100], v[97:98], 1.0
	v_mul_f64 v[103:104], v[103:104], -v[101:102]
.LBB81_124:
	s_or_b64 exec, exec, s[2:3]
	ds_write2_b64 v127, v[101:102], v[103:104] offset1:1
.LBB81_125:
	s_or_b64 exec, exec, s[4:5]
	s_waitcnt lgkmcnt(0)
	s_barrier
	ds_read2_b64 v[77:80], v127 offset1:1
	v_cmp_lt_u32_e32 vcc, 13, v0
	s_waitcnt lgkmcnt(0)
	buffer_store_dword v77, off, s[20:23], 0 offset:944 ; 4-byte Folded Spill
	s_nop 0
	buffer_store_dword v78, off, s[20:23], 0 offset:948 ; 4-byte Folded Spill
	buffer_store_dword v79, off, s[20:23], 0 offset:952 ; 4-byte Folded Spill
	;; [unrolled: 1-line block ×3, first 2 shown]
	s_and_saveexec_b64 s[2:3], vcc
	s_cbranch_execz .LBB81_127
; %bb.126:
	buffer_load_dword v77, off, s[20:23], 0 offset:944 ; 4-byte Folded Reload
	buffer_load_dword v78, off, s[20:23], 0 offset:948 ; 4-byte Folded Reload
	;; [unrolled: 1-line block ×4, first 2 shown]
	s_waitcnt vmcnt(2)
	v_mul_f64 v[99:100], v[77:78], v[87:88]
	s_waitcnt vmcnt(0)
	v_mul_f64 v[97:98], v[79:80], v[87:88]
	v_fma_f64 v[87:88], v[79:80], v[85:86], v[99:100]
	ds_read2_b64 v[99:102], v125 offset0:28 offset1:29
	v_fma_f64 v[97:98], v[77:78], v[85:86], -v[97:98]
	s_waitcnt lgkmcnt(0)
	v_mul_f64 v[103:104], v[101:102], v[87:88]
	v_mov_b32_e32 v85, v97
	v_mov_b32_e32 v86, v98
	v_fma_f64 v[103:104], v[99:100], v[97:98], -v[103:104]
	v_mul_f64 v[99:100], v[99:100], v[87:88]
	v_add_f64 v[117:118], v[117:118], -v[103:104]
	v_fma_f64 v[99:100], v[101:102], v[97:98], v[99:100]
	v_add_f64 v[119:120], v[119:120], -v[99:100]
	ds_read2_b64 v[99:102], v125 offset0:30 offset1:31
	s_waitcnt lgkmcnt(0)
	v_mul_f64 v[103:104], v[101:102], v[87:88]
	v_fma_f64 v[103:104], v[99:100], v[97:98], -v[103:104]
	v_mul_f64 v[99:100], v[99:100], v[87:88]
	v_add_f64 v[121:122], v[121:122], -v[103:104]
	v_fma_f64 v[99:100], v[101:102], v[97:98], v[99:100]
	v_add_f64 v[123:124], v[123:124], -v[99:100]
	ds_read2_b64 v[99:102], v125 offset0:32 offset1:33
	s_waitcnt lgkmcnt(0)
	v_mul_f64 v[103:104], v[101:102], v[87:88]
	;; [unrolled: 8-line block ×3, first 2 shown]
	v_fma_f64 v[103:104], v[99:100], v[97:98], -v[103:104]
	v_mul_f64 v[99:100], v[99:100], v[87:88]
	v_add_f64 v[113:114], v[113:114], -v[103:104]
	v_fma_f64 v[99:100], v[101:102], v[97:98], v[99:100]
	v_add_f64 v[115:116], v[115:116], -v[99:100]
	ds_read2_b64 v[99:102], v125 offset0:36 offset1:37
	buffer_load_dword v81, off, s[20:23], 0 offset:32 ; 4-byte Folded Reload
	buffer_load_dword v82, off, s[20:23], 0 offset:36 ; 4-byte Folded Reload
	;; [unrolled: 1-line block ×4, first 2 shown]
	s_waitcnt lgkmcnt(0)
	v_mul_f64 v[103:104], v[101:102], v[87:88]
	v_fma_f64 v[103:104], v[99:100], v[97:98], -v[103:104]
	v_mul_f64 v[99:100], v[99:100], v[87:88]
	v_fma_f64 v[99:100], v[101:102], v[97:98], v[99:100]
	s_waitcnt vmcnt(2)
	v_add_f64 v[81:82], v[81:82], -v[103:104]
	s_waitcnt vmcnt(0)
	v_add_f64 v[83:84], v[83:84], -v[99:100]
	buffer_store_dword v81, off, s[20:23], 0 offset:32 ; 4-byte Folded Spill
	s_nop 0
	buffer_store_dword v82, off, s[20:23], 0 offset:36 ; 4-byte Folded Spill
	buffer_store_dword v83, off, s[20:23], 0 offset:40 ; 4-byte Folded Spill
	;; [unrolled: 1-line block ×3, first 2 shown]
	ds_read2_b64 v[99:102], v125 offset0:38 offset1:39
	s_waitcnt lgkmcnt(0)
	v_mul_f64 v[103:104], v[101:102], v[87:88]
	v_fma_f64 v[103:104], v[99:100], v[97:98], -v[103:104]
	v_mul_f64 v[99:100], v[99:100], v[87:88]
	v_add_f64 v[93:94], v[93:94], -v[103:104]
	v_fma_f64 v[99:100], v[101:102], v[97:98], v[99:100]
	v_add_f64 v[95:96], v[95:96], -v[99:100]
	ds_read2_b64 v[99:102], v125 offset0:40 offset1:41
	buffer_load_dword v77, off, s[20:23], 0 ; 4-byte Folded Reload
	buffer_load_dword v78, off, s[20:23], 0 offset:4 ; 4-byte Folded Reload
	buffer_load_dword v79, off, s[20:23], 0 offset:8 ; 4-byte Folded Reload
	buffer_load_dword v80, off, s[20:23], 0 offset:12 ; 4-byte Folded Reload
	s_waitcnt lgkmcnt(0)
	v_mul_f64 v[103:104], v[101:102], v[87:88]
	v_fma_f64 v[103:104], v[99:100], v[97:98], -v[103:104]
	v_mul_f64 v[99:100], v[99:100], v[87:88]
	v_fma_f64 v[99:100], v[101:102], v[97:98], v[99:100]
	s_waitcnt vmcnt(2)
	v_add_f64 v[77:78], v[77:78], -v[103:104]
	s_waitcnt vmcnt(0)
	v_add_f64 v[79:80], v[79:80], -v[99:100]
	buffer_store_dword v77, off, s[20:23], 0 ; 4-byte Folded Spill
	s_nop 0
	buffer_store_dword v78, off, s[20:23], 0 offset:4 ; 4-byte Folded Spill
	buffer_store_dword v79, off, s[20:23], 0 offset:8 ; 4-byte Folded Spill
	;; [unrolled: 1-line block ×3, first 2 shown]
	ds_read2_b64 v[99:102], v125 offset0:42 offset1:43
	s_waitcnt lgkmcnt(0)
	v_mul_f64 v[103:104], v[101:102], v[87:88]
	v_fma_f64 v[103:104], v[99:100], v[97:98], -v[103:104]
	v_mul_f64 v[99:100], v[99:100], v[87:88]
	v_add_f64 v[73:74], v[73:74], -v[103:104]
	v_fma_f64 v[99:100], v[101:102], v[97:98], v[99:100]
	v_add_f64 v[75:76], v[75:76], -v[99:100]
	ds_read2_b64 v[99:102], v125 offset0:44 offset1:45
	s_waitcnt lgkmcnt(0)
	v_mul_f64 v[103:104], v[101:102], v[87:88]
	v_fma_f64 v[103:104], v[99:100], v[97:98], -v[103:104]
	v_mul_f64 v[99:100], v[99:100], v[87:88]
	v_add_f64 v[69:70], v[69:70], -v[103:104]
	v_fma_f64 v[99:100], v[101:102], v[97:98], v[99:100]
	v_add_f64 v[71:72], v[71:72], -v[99:100]
	;; [unrolled: 8-line block ×19, first 2 shown]
	ds_read2_b64 v[99:102], v125 offset0:80 offset1:81
	buffer_load_dword v77, off, s[20:23], 0 offset:16 ; 4-byte Folded Reload
	buffer_load_dword v78, off, s[20:23], 0 offset:20 ; 4-byte Folded Reload
	;; [unrolled: 1-line block ×4, first 2 shown]
	s_waitcnt lgkmcnt(0)
	v_mul_f64 v[103:104], v[101:102], v[87:88]
	v_fma_f64 v[103:104], v[99:100], v[97:98], -v[103:104]
	v_mul_f64 v[99:100], v[99:100], v[87:88]
	v_fma_f64 v[99:100], v[101:102], v[97:98], v[99:100]
	s_waitcnt vmcnt(2)
	v_add_f64 v[77:78], v[77:78], -v[103:104]
	s_waitcnt vmcnt(0)
	v_add_f64 v[79:80], v[79:80], -v[99:100]
	buffer_store_dword v77, off, s[20:23], 0 offset:16 ; 4-byte Folded Spill
	s_nop 0
	buffer_store_dword v78, off, s[20:23], 0 offset:20 ; 4-byte Folded Spill
	buffer_store_dword v79, off, s[20:23], 0 offset:24 ; 4-byte Folded Spill
	;; [unrolled: 1-line block ×3, first 2 shown]
.LBB81_127:
	s_or_b64 exec, exec, s[2:3]
	v_cmp_eq_u32_e32 vcc, 14, v0
	s_waitcnt vmcnt(0)
	s_barrier
	s_and_saveexec_b64 s[4:5], vcc
	s_cbranch_execz .LBB81_134
; %bb.128:
	ds_write2_b64 v127, v[117:118], v[119:120] offset1:1
	ds_write2_b64 v125, v[121:122], v[123:124] offset0:30 offset1:31
	ds_write2_b64 v125, v[109:110], v[111:112] offset0:32 offset1:33
	;; [unrolled: 1-line block ×3, first 2 shown]
	buffer_load_dword v81, off, s[20:23], 0 offset:32 ; 4-byte Folded Reload
	buffer_load_dword v82, off, s[20:23], 0 offset:36 ; 4-byte Folded Reload
	;; [unrolled: 1-line block ×4, first 2 shown]
	s_waitcnt vmcnt(0)
	ds_write2_b64 v125, v[81:82], v[83:84] offset0:36 offset1:37
	ds_write2_b64 v125, v[93:94], v[95:96] offset0:38 offset1:39
	buffer_load_dword v77, off, s[20:23], 0 ; 4-byte Folded Reload
	buffer_load_dword v78, off, s[20:23], 0 offset:4 ; 4-byte Folded Reload
	buffer_load_dword v79, off, s[20:23], 0 offset:8 ; 4-byte Folded Reload
	;; [unrolled: 1-line block ×3, first 2 shown]
	s_waitcnt vmcnt(0)
	ds_write2_b64 v125, v[77:78], v[79:80] offset0:40 offset1:41
	ds_write2_b64 v125, v[73:74], v[75:76] offset0:42 offset1:43
	ds_write2_b64 v125, v[69:70], v[71:72] offset0:44 offset1:45
	ds_write2_b64 v125, v[65:66], v[67:68] offset0:46 offset1:47
	ds_write2_b64 v125, v[61:62], v[63:64] offset0:48 offset1:49
	ds_write2_b64 v125, v[57:58], v[59:60] offset0:50 offset1:51
	ds_write2_b64 v125, v[53:54], v[55:56] offset0:52 offset1:53
	ds_write2_b64 v125, v[49:50], v[51:52] offset0:54 offset1:55
	ds_write2_b64 v125, v[45:46], v[47:48] offset0:56 offset1:57
	ds_write2_b64 v125, v[41:42], v[43:44] offset0:58 offset1:59
	ds_write2_b64 v125, v[37:38], v[39:40] offset0:60 offset1:61
	ds_write2_b64 v125, v[33:34], v[35:36] offset0:62 offset1:63
	ds_write2_b64 v125, v[29:30], v[31:32] offset0:64 offset1:65
	ds_write2_b64 v125, v[25:26], v[27:28] offset0:66 offset1:67
	ds_write2_b64 v125, v[21:22], v[23:24] offset0:68 offset1:69
	ds_write2_b64 v125, v[17:18], v[19:20] offset0:70 offset1:71
	ds_write2_b64 v125, v[13:14], v[15:16] offset0:72 offset1:73
	ds_write2_b64 v125, v[9:10], v[11:12] offset0:74 offset1:75
	ds_write2_b64 v125, v[5:6], v[7:8] offset0:76 offset1:77
	ds_write2_b64 v125, v[1:2], v[3:4] offset0:78 offset1:79
	buffer_load_dword v77, off, s[20:23], 0 offset:16 ; 4-byte Folded Reload
	buffer_load_dword v78, off, s[20:23], 0 offset:20 ; 4-byte Folded Reload
	;; [unrolled: 1-line block ×4, first 2 shown]
	s_waitcnt vmcnt(0)
	ds_write2_b64 v125, v[77:78], v[79:80] offset0:80 offset1:81
	ds_read2_b64 v[97:100], v127 offset1:1
	s_waitcnt lgkmcnt(0)
	v_cmp_neq_f64_e32 vcc, 0, v[97:98]
	v_cmp_neq_f64_e64 s[2:3], 0, v[99:100]
	s_or_b64 s[2:3], vcc, s[2:3]
	s_and_b64 exec, exec, s[2:3]
	s_cbranch_execz .LBB81_134
; %bb.129:
	v_cmp_ngt_f64_e64 s[2:3], |v[97:98]|, |v[99:100]|
                                        ; implicit-def: $vgpr101_vgpr102
	s_and_saveexec_b64 s[6:7], s[2:3]
	s_xor_b64 s[2:3], exec, s[6:7]
                                        ; implicit-def: $vgpr103_vgpr104
	s_cbranch_execz .LBB81_131
; %bb.130:
	v_div_scale_f64 v[101:102], s[6:7], v[99:100], v[99:100], v[97:98]
	v_rcp_f64_e32 v[103:104], v[101:102]
	v_fma_f64 v[105:106], -v[101:102], v[103:104], 1.0
	v_fma_f64 v[103:104], v[103:104], v[105:106], v[103:104]
	v_div_scale_f64 v[105:106], vcc, v[97:98], v[99:100], v[97:98]
	v_fma_f64 v[107:108], -v[101:102], v[103:104], 1.0
	v_fma_f64 v[103:104], v[103:104], v[107:108], v[103:104]
	v_mul_f64 v[107:108], v[105:106], v[103:104]
	v_fma_f64 v[101:102], -v[101:102], v[107:108], v[105:106]
	v_div_fmas_f64 v[101:102], v[101:102], v[103:104], v[107:108]
	v_div_fixup_f64 v[101:102], v[101:102], v[99:100], v[97:98]
	v_fma_f64 v[97:98], v[97:98], v[101:102], v[99:100]
	v_div_scale_f64 v[99:100], s[6:7], v[97:98], v[97:98], 1.0
	v_div_scale_f64 v[107:108], vcc, 1.0, v[97:98], 1.0
	v_rcp_f64_e32 v[103:104], v[99:100]
	v_fma_f64 v[105:106], -v[99:100], v[103:104], 1.0
	v_fma_f64 v[103:104], v[103:104], v[105:106], v[103:104]
	v_fma_f64 v[105:106], -v[99:100], v[103:104], 1.0
	v_fma_f64 v[103:104], v[103:104], v[105:106], v[103:104]
	v_mul_f64 v[105:106], v[107:108], v[103:104]
	v_fma_f64 v[99:100], -v[99:100], v[105:106], v[107:108]
	v_div_fmas_f64 v[99:100], v[99:100], v[103:104], v[105:106]
	v_div_fixup_f64 v[103:104], v[99:100], v[97:98], 1.0
                                        ; implicit-def: $vgpr97_vgpr98
	v_mul_f64 v[101:102], v[101:102], v[103:104]
	v_xor_b32_e32 v104, 0x80000000, v104
.LBB81_131:
	s_andn2_saveexec_b64 s[2:3], s[2:3]
	s_cbranch_execz .LBB81_133
; %bb.132:
	v_div_scale_f64 v[101:102], s[6:7], v[97:98], v[97:98], v[99:100]
	v_rcp_f64_e32 v[103:104], v[101:102]
	v_fma_f64 v[105:106], -v[101:102], v[103:104], 1.0
	v_fma_f64 v[103:104], v[103:104], v[105:106], v[103:104]
	v_div_scale_f64 v[105:106], vcc, v[99:100], v[97:98], v[99:100]
	v_fma_f64 v[107:108], -v[101:102], v[103:104], 1.0
	v_fma_f64 v[103:104], v[103:104], v[107:108], v[103:104]
	v_mul_f64 v[107:108], v[105:106], v[103:104]
	v_fma_f64 v[101:102], -v[101:102], v[107:108], v[105:106]
	v_div_fmas_f64 v[101:102], v[101:102], v[103:104], v[107:108]
	v_div_fixup_f64 v[103:104], v[101:102], v[97:98], v[99:100]
	v_fma_f64 v[97:98], v[99:100], v[103:104], v[97:98]
	v_div_scale_f64 v[99:100], s[6:7], v[97:98], v[97:98], 1.0
	v_div_scale_f64 v[107:108], vcc, 1.0, v[97:98], 1.0
	v_rcp_f64_e32 v[101:102], v[99:100]
	v_fma_f64 v[105:106], -v[99:100], v[101:102], 1.0
	v_fma_f64 v[101:102], v[101:102], v[105:106], v[101:102]
	v_fma_f64 v[105:106], -v[99:100], v[101:102], 1.0
	v_fma_f64 v[101:102], v[101:102], v[105:106], v[101:102]
	v_mul_f64 v[105:106], v[107:108], v[101:102]
	v_fma_f64 v[99:100], -v[99:100], v[105:106], v[107:108]
	v_div_fmas_f64 v[99:100], v[99:100], v[101:102], v[105:106]
	v_div_fixup_f64 v[101:102], v[99:100], v[97:98], 1.0
	v_mul_f64 v[103:104], v[103:104], -v[101:102]
.LBB81_133:
	s_or_b64 exec, exec, s[2:3]
	ds_write2_b64 v127, v[101:102], v[103:104] offset1:1
.LBB81_134:
	s_or_b64 exec, exec, s[4:5]
	s_waitcnt lgkmcnt(0)
	s_barrier
	ds_read2_b64 v[77:80], v127 offset1:1
	v_cmp_lt_u32_e32 vcc, 14, v0
	s_waitcnt lgkmcnt(0)
	buffer_store_dword v77, off, s[20:23], 0 offset:960 ; 4-byte Folded Spill
	s_nop 0
	buffer_store_dword v78, off, s[20:23], 0 offset:964 ; 4-byte Folded Spill
	buffer_store_dword v79, off, s[20:23], 0 offset:968 ; 4-byte Folded Spill
	;; [unrolled: 1-line block ×3, first 2 shown]
	s_and_saveexec_b64 s[2:3], vcc
	s_cbranch_execz .LBB81_136
; %bb.135:
	buffer_load_dword v77, off, s[20:23], 0 offset:960 ; 4-byte Folded Reload
	buffer_load_dword v78, off, s[20:23], 0 offset:964 ; 4-byte Folded Reload
	;; [unrolled: 1-line block ×4, first 2 shown]
	s_waitcnt vmcnt(2)
	v_mul_f64 v[99:100], v[77:78], v[119:120]
	s_waitcnt vmcnt(0)
	v_mul_f64 v[97:98], v[79:80], v[119:120]
	v_fma_f64 v[119:120], v[79:80], v[117:118], v[99:100]
	ds_read2_b64 v[99:102], v125 offset0:30 offset1:31
	v_fma_f64 v[97:98], v[77:78], v[117:118], -v[97:98]
	s_waitcnt lgkmcnt(0)
	v_mul_f64 v[103:104], v[101:102], v[119:120]
	v_mov_b32_e32 v118, v98
	v_mov_b32_e32 v117, v97
	v_fma_f64 v[103:104], v[99:100], v[97:98], -v[103:104]
	v_mul_f64 v[99:100], v[99:100], v[119:120]
	v_add_f64 v[121:122], v[121:122], -v[103:104]
	v_fma_f64 v[99:100], v[101:102], v[97:98], v[99:100]
	v_add_f64 v[123:124], v[123:124], -v[99:100]
	ds_read2_b64 v[99:102], v125 offset0:32 offset1:33
	s_waitcnt lgkmcnt(0)
	v_mul_f64 v[103:104], v[101:102], v[119:120]
	v_fma_f64 v[103:104], v[99:100], v[97:98], -v[103:104]
	v_mul_f64 v[99:100], v[99:100], v[119:120]
	v_add_f64 v[109:110], v[109:110], -v[103:104]
	v_fma_f64 v[99:100], v[101:102], v[97:98], v[99:100]
	v_add_f64 v[111:112], v[111:112], -v[99:100]
	ds_read2_b64 v[99:102], v125 offset0:34 offset1:35
	s_waitcnt lgkmcnt(0)
	v_mul_f64 v[103:104], v[101:102], v[119:120]
	v_fma_f64 v[103:104], v[99:100], v[97:98], -v[103:104]
	v_mul_f64 v[99:100], v[99:100], v[119:120]
	v_add_f64 v[113:114], v[113:114], -v[103:104]
	v_fma_f64 v[99:100], v[101:102], v[97:98], v[99:100]
	v_add_f64 v[115:116], v[115:116], -v[99:100]
	ds_read2_b64 v[99:102], v125 offset0:36 offset1:37
	buffer_load_dword v81, off, s[20:23], 0 offset:32 ; 4-byte Folded Reload
	buffer_load_dword v82, off, s[20:23], 0 offset:36 ; 4-byte Folded Reload
	;; [unrolled: 1-line block ×4, first 2 shown]
	s_waitcnt lgkmcnt(0)
	v_mul_f64 v[103:104], v[101:102], v[119:120]
	v_fma_f64 v[103:104], v[99:100], v[97:98], -v[103:104]
	v_mul_f64 v[99:100], v[99:100], v[119:120]
	v_fma_f64 v[99:100], v[101:102], v[97:98], v[99:100]
	s_waitcnt vmcnt(2)
	v_add_f64 v[81:82], v[81:82], -v[103:104]
	s_waitcnt vmcnt(0)
	v_add_f64 v[83:84], v[83:84], -v[99:100]
	buffer_store_dword v81, off, s[20:23], 0 offset:32 ; 4-byte Folded Spill
	s_nop 0
	buffer_store_dword v82, off, s[20:23], 0 offset:36 ; 4-byte Folded Spill
	buffer_store_dword v83, off, s[20:23], 0 offset:40 ; 4-byte Folded Spill
	;; [unrolled: 1-line block ×3, first 2 shown]
	ds_read2_b64 v[99:102], v125 offset0:38 offset1:39
	s_waitcnt lgkmcnt(0)
	v_mul_f64 v[103:104], v[101:102], v[119:120]
	v_fma_f64 v[103:104], v[99:100], v[97:98], -v[103:104]
	v_mul_f64 v[99:100], v[99:100], v[119:120]
	v_add_f64 v[93:94], v[93:94], -v[103:104]
	v_fma_f64 v[99:100], v[101:102], v[97:98], v[99:100]
	v_add_f64 v[95:96], v[95:96], -v[99:100]
	ds_read2_b64 v[99:102], v125 offset0:40 offset1:41
	buffer_load_dword v77, off, s[20:23], 0 ; 4-byte Folded Reload
	buffer_load_dword v78, off, s[20:23], 0 offset:4 ; 4-byte Folded Reload
	buffer_load_dword v79, off, s[20:23], 0 offset:8 ; 4-byte Folded Reload
	;; [unrolled: 1-line block ×3, first 2 shown]
	s_waitcnt lgkmcnt(0)
	v_mul_f64 v[103:104], v[101:102], v[119:120]
	v_fma_f64 v[103:104], v[99:100], v[97:98], -v[103:104]
	v_mul_f64 v[99:100], v[99:100], v[119:120]
	v_fma_f64 v[99:100], v[101:102], v[97:98], v[99:100]
	s_waitcnt vmcnt(2)
	v_add_f64 v[77:78], v[77:78], -v[103:104]
	s_waitcnt vmcnt(0)
	v_add_f64 v[79:80], v[79:80], -v[99:100]
	buffer_store_dword v77, off, s[20:23], 0 ; 4-byte Folded Spill
	s_nop 0
	buffer_store_dword v78, off, s[20:23], 0 offset:4 ; 4-byte Folded Spill
	buffer_store_dword v79, off, s[20:23], 0 offset:8 ; 4-byte Folded Spill
	buffer_store_dword v80, off, s[20:23], 0 offset:12 ; 4-byte Folded Spill
	ds_read2_b64 v[99:102], v125 offset0:42 offset1:43
	s_waitcnt lgkmcnt(0)
	v_mul_f64 v[103:104], v[101:102], v[119:120]
	v_fma_f64 v[103:104], v[99:100], v[97:98], -v[103:104]
	v_mul_f64 v[99:100], v[99:100], v[119:120]
	v_add_f64 v[73:74], v[73:74], -v[103:104]
	v_fma_f64 v[99:100], v[101:102], v[97:98], v[99:100]
	v_add_f64 v[75:76], v[75:76], -v[99:100]
	ds_read2_b64 v[99:102], v125 offset0:44 offset1:45
	s_waitcnt lgkmcnt(0)
	v_mul_f64 v[103:104], v[101:102], v[119:120]
	v_fma_f64 v[103:104], v[99:100], v[97:98], -v[103:104]
	v_mul_f64 v[99:100], v[99:100], v[119:120]
	v_add_f64 v[69:70], v[69:70], -v[103:104]
	v_fma_f64 v[99:100], v[101:102], v[97:98], v[99:100]
	v_add_f64 v[71:72], v[71:72], -v[99:100]
	;; [unrolled: 8-line block ×19, first 2 shown]
	ds_read2_b64 v[99:102], v125 offset0:80 offset1:81
	buffer_load_dword v77, off, s[20:23], 0 offset:16 ; 4-byte Folded Reload
	buffer_load_dword v78, off, s[20:23], 0 offset:20 ; 4-byte Folded Reload
	;; [unrolled: 1-line block ×4, first 2 shown]
	s_waitcnt lgkmcnt(0)
	v_mul_f64 v[103:104], v[101:102], v[119:120]
	v_fma_f64 v[103:104], v[99:100], v[97:98], -v[103:104]
	v_mul_f64 v[99:100], v[99:100], v[119:120]
	v_fma_f64 v[99:100], v[101:102], v[97:98], v[99:100]
	s_waitcnt vmcnt(2)
	v_add_f64 v[77:78], v[77:78], -v[103:104]
	s_waitcnt vmcnt(0)
	v_add_f64 v[79:80], v[79:80], -v[99:100]
	buffer_store_dword v77, off, s[20:23], 0 offset:16 ; 4-byte Folded Spill
	s_nop 0
	buffer_store_dword v78, off, s[20:23], 0 offset:20 ; 4-byte Folded Spill
	buffer_store_dword v79, off, s[20:23], 0 offset:24 ; 4-byte Folded Spill
	;; [unrolled: 1-line block ×3, first 2 shown]
.LBB81_136:
	s_or_b64 exec, exec, s[2:3]
	v_cmp_eq_u32_e32 vcc, 15, v0
	s_waitcnt vmcnt(0)
	s_barrier
	s_and_saveexec_b64 s[4:5], vcc
	s_cbranch_execz .LBB81_143
; %bb.137:
	ds_write2_b64 v127, v[121:122], v[123:124] offset1:1
	ds_write2_b64 v125, v[109:110], v[111:112] offset0:32 offset1:33
	ds_write2_b64 v125, v[113:114], v[115:116] offset0:34 offset1:35
	buffer_load_dword v81, off, s[20:23], 0 offset:32 ; 4-byte Folded Reload
	buffer_load_dword v82, off, s[20:23], 0 offset:36 ; 4-byte Folded Reload
	;; [unrolled: 1-line block ×4, first 2 shown]
	s_waitcnt vmcnt(0)
	ds_write2_b64 v125, v[81:82], v[83:84] offset0:36 offset1:37
	ds_write2_b64 v125, v[93:94], v[95:96] offset0:38 offset1:39
	buffer_load_dword v77, off, s[20:23], 0 ; 4-byte Folded Reload
	buffer_load_dword v78, off, s[20:23], 0 offset:4 ; 4-byte Folded Reload
	buffer_load_dword v79, off, s[20:23], 0 offset:8 ; 4-byte Folded Reload
	;; [unrolled: 1-line block ×3, first 2 shown]
	s_waitcnt vmcnt(0)
	ds_write2_b64 v125, v[77:78], v[79:80] offset0:40 offset1:41
	ds_write2_b64 v125, v[73:74], v[75:76] offset0:42 offset1:43
	;; [unrolled: 1-line block ×20, first 2 shown]
	buffer_load_dword v77, off, s[20:23], 0 offset:16 ; 4-byte Folded Reload
	buffer_load_dword v78, off, s[20:23], 0 offset:20 ; 4-byte Folded Reload
	;; [unrolled: 1-line block ×4, first 2 shown]
	s_waitcnt vmcnt(0)
	ds_write2_b64 v125, v[77:78], v[79:80] offset0:80 offset1:81
	ds_read2_b64 v[97:100], v127 offset1:1
	s_waitcnt lgkmcnt(0)
	v_cmp_neq_f64_e32 vcc, 0, v[97:98]
	v_cmp_neq_f64_e64 s[2:3], 0, v[99:100]
	s_or_b64 s[2:3], vcc, s[2:3]
	s_and_b64 exec, exec, s[2:3]
	s_cbranch_execz .LBB81_143
; %bb.138:
	v_cmp_ngt_f64_e64 s[2:3], |v[97:98]|, |v[99:100]|
                                        ; implicit-def: $vgpr101_vgpr102
	s_and_saveexec_b64 s[6:7], s[2:3]
	s_xor_b64 s[2:3], exec, s[6:7]
                                        ; implicit-def: $vgpr103_vgpr104
	s_cbranch_execz .LBB81_140
; %bb.139:
	v_div_scale_f64 v[101:102], s[6:7], v[99:100], v[99:100], v[97:98]
	v_rcp_f64_e32 v[103:104], v[101:102]
	v_fma_f64 v[105:106], -v[101:102], v[103:104], 1.0
	v_fma_f64 v[103:104], v[103:104], v[105:106], v[103:104]
	v_div_scale_f64 v[105:106], vcc, v[97:98], v[99:100], v[97:98]
	v_fma_f64 v[107:108], -v[101:102], v[103:104], 1.0
	v_fma_f64 v[103:104], v[103:104], v[107:108], v[103:104]
	v_mul_f64 v[107:108], v[105:106], v[103:104]
	v_fma_f64 v[101:102], -v[101:102], v[107:108], v[105:106]
	v_div_fmas_f64 v[101:102], v[101:102], v[103:104], v[107:108]
	v_div_fixup_f64 v[101:102], v[101:102], v[99:100], v[97:98]
	v_fma_f64 v[97:98], v[97:98], v[101:102], v[99:100]
	v_div_scale_f64 v[99:100], s[6:7], v[97:98], v[97:98], 1.0
	v_div_scale_f64 v[107:108], vcc, 1.0, v[97:98], 1.0
	v_rcp_f64_e32 v[103:104], v[99:100]
	v_fma_f64 v[105:106], -v[99:100], v[103:104], 1.0
	v_fma_f64 v[103:104], v[103:104], v[105:106], v[103:104]
	v_fma_f64 v[105:106], -v[99:100], v[103:104], 1.0
	v_fma_f64 v[103:104], v[103:104], v[105:106], v[103:104]
	v_mul_f64 v[105:106], v[107:108], v[103:104]
	v_fma_f64 v[99:100], -v[99:100], v[105:106], v[107:108]
	v_div_fmas_f64 v[99:100], v[99:100], v[103:104], v[105:106]
	v_div_fixup_f64 v[103:104], v[99:100], v[97:98], 1.0
                                        ; implicit-def: $vgpr97_vgpr98
	v_mul_f64 v[101:102], v[101:102], v[103:104]
	v_xor_b32_e32 v104, 0x80000000, v104
.LBB81_140:
	s_andn2_saveexec_b64 s[2:3], s[2:3]
	s_cbranch_execz .LBB81_142
; %bb.141:
	v_div_scale_f64 v[101:102], s[6:7], v[97:98], v[97:98], v[99:100]
	v_rcp_f64_e32 v[103:104], v[101:102]
	v_fma_f64 v[105:106], -v[101:102], v[103:104], 1.0
	v_fma_f64 v[103:104], v[103:104], v[105:106], v[103:104]
	v_div_scale_f64 v[105:106], vcc, v[99:100], v[97:98], v[99:100]
	v_fma_f64 v[107:108], -v[101:102], v[103:104], 1.0
	v_fma_f64 v[103:104], v[103:104], v[107:108], v[103:104]
	v_mul_f64 v[107:108], v[105:106], v[103:104]
	v_fma_f64 v[101:102], -v[101:102], v[107:108], v[105:106]
	v_div_fmas_f64 v[101:102], v[101:102], v[103:104], v[107:108]
	v_div_fixup_f64 v[103:104], v[101:102], v[97:98], v[99:100]
	v_fma_f64 v[97:98], v[99:100], v[103:104], v[97:98]
	v_div_scale_f64 v[99:100], s[6:7], v[97:98], v[97:98], 1.0
	v_div_scale_f64 v[107:108], vcc, 1.0, v[97:98], 1.0
	v_rcp_f64_e32 v[101:102], v[99:100]
	v_fma_f64 v[105:106], -v[99:100], v[101:102], 1.0
	v_fma_f64 v[101:102], v[101:102], v[105:106], v[101:102]
	v_fma_f64 v[105:106], -v[99:100], v[101:102], 1.0
	v_fma_f64 v[101:102], v[101:102], v[105:106], v[101:102]
	v_mul_f64 v[105:106], v[107:108], v[101:102]
	v_fma_f64 v[99:100], -v[99:100], v[105:106], v[107:108]
	v_div_fmas_f64 v[99:100], v[99:100], v[101:102], v[105:106]
	v_div_fixup_f64 v[101:102], v[99:100], v[97:98], 1.0
	v_mul_f64 v[103:104], v[103:104], -v[101:102]
.LBB81_142:
	s_or_b64 exec, exec, s[2:3]
	ds_write2_b64 v127, v[101:102], v[103:104] offset1:1
.LBB81_143:
	s_or_b64 exec, exec, s[4:5]
	s_waitcnt lgkmcnt(0)
	s_barrier
	ds_read2_b64 v[77:80], v127 offset1:1
	v_cmp_lt_u32_e32 vcc, 15, v0
	s_waitcnt lgkmcnt(0)
	buffer_store_dword v77, off, s[20:23], 0 offset:976 ; 4-byte Folded Spill
	s_nop 0
	buffer_store_dword v78, off, s[20:23], 0 offset:980 ; 4-byte Folded Spill
	buffer_store_dword v79, off, s[20:23], 0 offset:984 ; 4-byte Folded Spill
	;; [unrolled: 1-line block ×3, first 2 shown]
	s_and_saveexec_b64 s[2:3], vcc
	s_cbranch_execz .LBB81_145
; %bb.144:
	buffer_load_dword v77, off, s[20:23], 0 offset:976 ; 4-byte Folded Reload
	buffer_load_dword v78, off, s[20:23], 0 offset:980 ; 4-byte Folded Reload
	buffer_load_dword v79, off, s[20:23], 0 offset:984 ; 4-byte Folded Reload
	buffer_load_dword v80, off, s[20:23], 0 offset:988 ; 4-byte Folded Reload
	s_waitcnt vmcnt(2)
	v_mul_f64 v[99:100], v[77:78], v[123:124]
	s_waitcnt vmcnt(0)
	v_mul_f64 v[97:98], v[79:80], v[123:124]
	v_fma_f64 v[123:124], v[79:80], v[121:122], v[99:100]
	ds_read2_b64 v[99:102], v125 offset0:32 offset1:33
	v_fma_f64 v[97:98], v[77:78], v[121:122], -v[97:98]
	s_waitcnt lgkmcnt(0)
	v_mul_f64 v[103:104], v[101:102], v[123:124]
	v_mov_b32_e32 v122, v98
	v_mov_b32_e32 v121, v97
	v_fma_f64 v[103:104], v[99:100], v[97:98], -v[103:104]
	v_mul_f64 v[99:100], v[99:100], v[123:124]
	v_add_f64 v[109:110], v[109:110], -v[103:104]
	v_fma_f64 v[99:100], v[101:102], v[97:98], v[99:100]
	v_add_f64 v[111:112], v[111:112], -v[99:100]
	ds_read2_b64 v[99:102], v125 offset0:34 offset1:35
	s_waitcnt lgkmcnt(0)
	v_mul_f64 v[103:104], v[101:102], v[123:124]
	v_fma_f64 v[103:104], v[99:100], v[97:98], -v[103:104]
	v_mul_f64 v[99:100], v[99:100], v[123:124]
	v_add_f64 v[113:114], v[113:114], -v[103:104]
	v_fma_f64 v[99:100], v[101:102], v[97:98], v[99:100]
	v_add_f64 v[115:116], v[115:116], -v[99:100]
	ds_read2_b64 v[99:102], v125 offset0:36 offset1:37
	buffer_load_dword v81, off, s[20:23], 0 offset:32 ; 4-byte Folded Reload
	buffer_load_dword v82, off, s[20:23], 0 offset:36 ; 4-byte Folded Reload
	buffer_load_dword v83, off, s[20:23], 0 offset:40 ; 4-byte Folded Reload
	buffer_load_dword v84, off, s[20:23], 0 offset:44 ; 4-byte Folded Reload
	s_waitcnt lgkmcnt(0)
	v_mul_f64 v[103:104], v[101:102], v[123:124]
	v_fma_f64 v[103:104], v[99:100], v[97:98], -v[103:104]
	v_mul_f64 v[99:100], v[99:100], v[123:124]
	v_fma_f64 v[99:100], v[101:102], v[97:98], v[99:100]
	s_waitcnt vmcnt(2)
	v_add_f64 v[81:82], v[81:82], -v[103:104]
	s_waitcnt vmcnt(0)
	v_add_f64 v[83:84], v[83:84], -v[99:100]
	buffer_store_dword v81, off, s[20:23], 0 offset:32 ; 4-byte Folded Spill
	s_nop 0
	buffer_store_dword v82, off, s[20:23], 0 offset:36 ; 4-byte Folded Spill
	buffer_store_dword v83, off, s[20:23], 0 offset:40 ; 4-byte Folded Spill
	;; [unrolled: 1-line block ×3, first 2 shown]
	ds_read2_b64 v[99:102], v125 offset0:38 offset1:39
	s_waitcnt lgkmcnt(0)
	v_mul_f64 v[103:104], v[101:102], v[123:124]
	v_fma_f64 v[103:104], v[99:100], v[97:98], -v[103:104]
	v_mul_f64 v[99:100], v[99:100], v[123:124]
	v_add_f64 v[93:94], v[93:94], -v[103:104]
	v_fma_f64 v[99:100], v[101:102], v[97:98], v[99:100]
	v_add_f64 v[95:96], v[95:96], -v[99:100]
	ds_read2_b64 v[99:102], v125 offset0:40 offset1:41
	buffer_load_dword v77, off, s[20:23], 0 ; 4-byte Folded Reload
	buffer_load_dword v78, off, s[20:23], 0 offset:4 ; 4-byte Folded Reload
	buffer_load_dword v79, off, s[20:23], 0 offset:8 ; 4-byte Folded Reload
	;; [unrolled: 1-line block ×3, first 2 shown]
	s_waitcnt lgkmcnt(0)
	v_mul_f64 v[103:104], v[101:102], v[123:124]
	v_fma_f64 v[103:104], v[99:100], v[97:98], -v[103:104]
	v_mul_f64 v[99:100], v[99:100], v[123:124]
	v_fma_f64 v[99:100], v[101:102], v[97:98], v[99:100]
	s_waitcnt vmcnt(2)
	v_add_f64 v[77:78], v[77:78], -v[103:104]
	s_waitcnt vmcnt(0)
	v_add_f64 v[79:80], v[79:80], -v[99:100]
	buffer_store_dword v77, off, s[20:23], 0 ; 4-byte Folded Spill
	s_nop 0
	buffer_store_dword v78, off, s[20:23], 0 offset:4 ; 4-byte Folded Spill
	buffer_store_dword v79, off, s[20:23], 0 offset:8 ; 4-byte Folded Spill
	;; [unrolled: 1-line block ×3, first 2 shown]
	ds_read2_b64 v[99:102], v125 offset0:42 offset1:43
	s_waitcnt lgkmcnt(0)
	v_mul_f64 v[103:104], v[101:102], v[123:124]
	v_fma_f64 v[103:104], v[99:100], v[97:98], -v[103:104]
	v_mul_f64 v[99:100], v[99:100], v[123:124]
	v_add_f64 v[73:74], v[73:74], -v[103:104]
	v_fma_f64 v[99:100], v[101:102], v[97:98], v[99:100]
	v_add_f64 v[75:76], v[75:76], -v[99:100]
	ds_read2_b64 v[99:102], v125 offset0:44 offset1:45
	s_waitcnt lgkmcnt(0)
	v_mul_f64 v[103:104], v[101:102], v[123:124]
	v_fma_f64 v[103:104], v[99:100], v[97:98], -v[103:104]
	v_mul_f64 v[99:100], v[99:100], v[123:124]
	v_add_f64 v[69:70], v[69:70], -v[103:104]
	v_fma_f64 v[99:100], v[101:102], v[97:98], v[99:100]
	v_add_f64 v[71:72], v[71:72], -v[99:100]
	ds_read2_b64 v[99:102], v125 offset0:46 offset1:47
	s_waitcnt lgkmcnt(0)
	v_mul_f64 v[103:104], v[101:102], v[123:124]
	v_fma_f64 v[103:104], v[99:100], v[97:98], -v[103:104]
	v_mul_f64 v[99:100], v[99:100], v[123:124]
	v_add_f64 v[65:66], v[65:66], -v[103:104]
	v_fma_f64 v[99:100], v[101:102], v[97:98], v[99:100]
	v_add_f64 v[67:68], v[67:68], -v[99:100]
	ds_read2_b64 v[99:102], v125 offset0:48 offset1:49
	s_waitcnt lgkmcnt(0)
	v_mul_f64 v[103:104], v[101:102], v[123:124]
	v_fma_f64 v[103:104], v[99:100], v[97:98], -v[103:104]
	v_mul_f64 v[99:100], v[99:100], v[123:124]
	v_add_f64 v[61:62], v[61:62], -v[103:104]
	v_fma_f64 v[99:100], v[101:102], v[97:98], v[99:100]
	v_add_f64 v[63:64], v[63:64], -v[99:100]
	ds_read2_b64 v[99:102], v125 offset0:50 offset1:51
	s_waitcnt lgkmcnt(0)
	v_mul_f64 v[103:104], v[101:102], v[123:124]
	v_fma_f64 v[103:104], v[99:100], v[97:98], -v[103:104]
	v_mul_f64 v[99:100], v[99:100], v[123:124]
	v_add_f64 v[57:58], v[57:58], -v[103:104]
	v_fma_f64 v[99:100], v[101:102], v[97:98], v[99:100]
	v_add_f64 v[59:60], v[59:60], -v[99:100]
	ds_read2_b64 v[99:102], v125 offset0:52 offset1:53
	s_waitcnt lgkmcnt(0)
	v_mul_f64 v[103:104], v[101:102], v[123:124]
	v_fma_f64 v[103:104], v[99:100], v[97:98], -v[103:104]
	v_mul_f64 v[99:100], v[99:100], v[123:124]
	v_add_f64 v[53:54], v[53:54], -v[103:104]
	v_fma_f64 v[99:100], v[101:102], v[97:98], v[99:100]
	v_add_f64 v[55:56], v[55:56], -v[99:100]
	ds_read2_b64 v[99:102], v125 offset0:54 offset1:55
	s_waitcnt lgkmcnt(0)
	v_mul_f64 v[103:104], v[101:102], v[123:124]
	v_fma_f64 v[103:104], v[99:100], v[97:98], -v[103:104]
	v_mul_f64 v[99:100], v[99:100], v[123:124]
	v_add_f64 v[49:50], v[49:50], -v[103:104]
	v_fma_f64 v[99:100], v[101:102], v[97:98], v[99:100]
	v_add_f64 v[51:52], v[51:52], -v[99:100]
	ds_read2_b64 v[99:102], v125 offset0:56 offset1:57
	s_waitcnt lgkmcnt(0)
	v_mul_f64 v[103:104], v[101:102], v[123:124]
	v_fma_f64 v[103:104], v[99:100], v[97:98], -v[103:104]
	v_mul_f64 v[99:100], v[99:100], v[123:124]
	v_add_f64 v[45:46], v[45:46], -v[103:104]
	v_fma_f64 v[99:100], v[101:102], v[97:98], v[99:100]
	v_add_f64 v[47:48], v[47:48], -v[99:100]
	ds_read2_b64 v[99:102], v125 offset0:58 offset1:59
	s_waitcnt lgkmcnt(0)
	v_mul_f64 v[103:104], v[101:102], v[123:124]
	v_fma_f64 v[103:104], v[99:100], v[97:98], -v[103:104]
	v_mul_f64 v[99:100], v[99:100], v[123:124]
	v_add_f64 v[41:42], v[41:42], -v[103:104]
	v_fma_f64 v[99:100], v[101:102], v[97:98], v[99:100]
	v_add_f64 v[43:44], v[43:44], -v[99:100]
	ds_read2_b64 v[99:102], v125 offset0:60 offset1:61
	s_waitcnt lgkmcnt(0)
	v_mul_f64 v[103:104], v[101:102], v[123:124]
	v_fma_f64 v[103:104], v[99:100], v[97:98], -v[103:104]
	v_mul_f64 v[99:100], v[99:100], v[123:124]
	v_add_f64 v[37:38], v[37:38], -v[103:104]
	v_fma_f64 v[99:100], v[101:102], v[97:98], v[99:100]
	v_add_f64 v[39:40], v[39:40], -v[99:100]
	ds_read2_b64 v[99:102], v125 offset0:62 offset1:63
	s_waitcnt lgkmcnt(0)
	v_mul_f64 v[103:104], v[101:102], v[123:124]
	v_fma_f64 v[103:104], v[99:100], v[97:98], -v[103:104]
	v_mul_f64 v[99:100], v[99:100], v[123:124]
	v_add_f64 v[33:34], v[33:34], -v[103:104]
	v_fma_f64 v[99:100], v[101:102], v[97:98], v[99:100]
	v_add_f64 v[35:36], v[35:36], -v[99:100]
	ds_read2_b64 v[99:102], v125 offset0:64 offset1:65
	s_waitcnt lgkmcnt(0)
	v_mul_f64 v[103:104], v[101:102], v[123:124]
	v_fma_f64 v[103:104], v[99:100], v[97:98], -v[103:104]
	v_mul_f64 v[99:100], v[99:100], v[123:124]
	v_add_f64 v[29:30], v[29:30], -v[103:104]
	v_fma_f64 v[99:100], v[101:102], v[97:98], v[99:100]
	v_add_f64 v[31:32], v[31:32], -v[99:100]
	ds_read2_b64 v[99:102], v125 offset0:66 offset1:67
	s_waitcnt lgkmcnt(0)
	v_mul_f64 v[103:104], v[101:102], v[123:124]
	v_fma_f64 v[103:104], v[99:100], v[97:98], -v[103:104]
	v_mul_f64 v[99:100], v[99:100], v[123:124]
	v_add_f64 v[25:26], v[25:26], -v[103:104]
	v_fma_f64 v[99:100], v[101:102], v[97:98], v[99:100]
	v_add_f64 v[27:28], v[27:28], -v[99:100]
	ds_read2_b64 v[99:102], v125 offset0:68 offset1:69
	s_waitcnt lgkmcnt(0)
	v_mul_f64 v[103:104], v[101:102], v[123:124]
	v_fma_f64 v[103:104], v[99:100], v[97:98], -v[103:104]
	v_mul_f64 v[99:100], v[99:100], v[123:124]
	v_add_f64 v[21:22], v[21:22], -v[103:104]
	v_fma_f64 v[99:100], v[101:102], v[97:98], v[99:100]
	v_add_f64 v[23:24], v[23:24], -v[99:100]
	ds_read2_b64 v[99:102], v125 offset0:70 offset1:71
	s_waitcnt lgkmcnt(0)
	v_mul_f64 v[103:104], v[101:102], v[123:124]
	v_fma_f64 v[103:104], v[99:100], v[97:98], -v[103:104]
	v_mul_f64 v[99:100], v[99:100], v[123:124]
	v_add_f64 v[17:18], v[17:18], -v[103:104]
	v_fma_f64 v[99:100], v[101:102], v[97:98], v[99:100]
	v_add_f64 v[19:20], v[19:20], -v[99:100]
	ds_read2_b64 v[99:102], v125 offset0:72 offset1:73
	s_waitcnt lgkmcnt(0)
	v_mul_f64 v[103:104], v[101:102], v[123:124]
	v_fma_f64 v[103:104], v[99:100], v[97:98], -v[103:104]
	v_mul_f64 v[99:100], v[99:100], v[123:124]
	v_add_f64 v[13:14], v[13:14], -v[103:104]
	v_fma_f64 v[99:100], v[101:102], v[97:98], v[99:100]
	v_add_f64 v[15:16], v[15:16], -v[99:100]
	ds_read2_b64 v[99:102], v125 offset0:74 offset1:75
	s_waitcnt lgkmcnt(0)
	v_mul_f64 v[103:104], v[101:102], v[123:124]
	v_fma_f64 v[103:104], v[99:100], v[97:98], -v[103:104]
	v_mul_f64 v[99:100], v[99:100], v[123:124]
	v_add_f64 v[9:10], v[9:10], -v[103:104]
	v_fma_f64 v[99:100], v[101:102], v[97:98], v[99:100]
	v_add_f64 v[11:12], v[11:12], -v[99:100]
	ds_read2_b64 v[99:102], v125 offset0:76 offset1:77
	s_waitcnt lgkmcnt(0)
	v_mul_f64 v[103:104], v[101:102], v[123:124]
	v_fma_f64 v[103:104], v[99:100], v[97:98], -v[103:104]
	v_mul_f64 v[99:100], v[99:100], v[123:124]
	v_add_f64 v[5:6], v[5:6], -v[103:104]
	v_fma_f64 v[99:100], v[101:102], v[97:98], v[99:100]
	v_add_f64 v[7:8], v[7:8], -v[99:100]
	ds_read2_b64 v[99:102], v125 offset0:78 offset1:79
	s_waitcnt lgkmcnt(0)
	v_mul_f64 v[103:104], v[101:102], v[123:124]
	v_fma_f64 v[103:104], v[99:100], v[97:98], -v[103:104]
	v_mul_f64 v[99:100], v[99:100], v[123:124]
	v_add_f64 v[1:2], v[1:2], -v[103:104]
	v_fma_f64 v[99:100], v[101:102], v[97:98], v[99:100]
	v_add_f64 v[3:4], v[3:4], -v[99:100]
	ds_read2_b64 v[99:102], v125 offset0:80 offset1:81
	buffer_load_dword v77, off, s[20:23], 0 offset:16 ; 4-byte Folded Reload
	buffer_load_dword v78, off, s[20:23], 0 offset:20 ; 4-byte Folded Reload
	;; [unrolled: 1-line block ×4, first 2 shown]
	s_waitcnt lgkmcnt(0)
	v_mul_f64 v[103:104], v[101:102], v[123:124]
	v_fma_f64 v[103:104], v[99:100], v[97:98], -v[103:104]
	v_mul_f64 v[99:100], v[99:100], v[123:124]
	v_fma_f64 v[99:100], v[101:102], v[97:98], v[99:100]
	s_waitcnt vmcnt(2)
	v_add_f64 v[77:78], v[77:78], -v[103:104]
	s_waitcnt vmcnt(0)
	v_add_f64 v[79:80], v[79:80], -v[99:100]
	buffer_store_dword v77, off, s[20:23], 0 offset:16 ; 4-byte Folded Spill
	s_nop 0
	buffer_store_dword v78, off, s[20:23], 0 offset:20 ; 4-byte Folded Spill
	buffer_store_dword v79, off, s[20:23], 0 offset:24 ; 4-byte Folded Spill
	;; [unrolled: 1-line block ×3, first 2 shown]
.LBB81_145:
	s_or_b64 exec, exec, s[2:3]
	v_cmp_eq_u32_e32 vcc, 16, v0
	s_waitcnt vmcnt(0)
	s_barrier
	s_and_saveexec_b64 s[4:5], vcc
	s_cbranch_execz .LBB81_152
; %bb.146:
	ds_write2_b64 v127, v[109:110], v[111:112] offset1:1
	ds_write2_b64 v125, v[113:114], v[115:116] offset0:34 offset1:35
	buffer_load_dword v81, off, s[20:23], 0 offset:32 ; 4-byte Folded Reload
	buffer_load_dword v82, off, s[20:23], 0 offset:36 ; 4-byte Folded Reload
	;; [unrolled: 1-line block ×4, first 2 shown]
	s_waitcnt vmcnt(0)
	ds_write2_b64 v125, v[81:82], v[83:84] offset0:36 offset1:37
	ds_write2_b64 v125, v[93:94], v[95:96] offset0:38 offset1:39
	buffer_load_dword v77, off, s[20:23], 0 ; 4-byte Folded Reload
	buffer_load_dword v78, off, s[20:23], 0 offset:4 ; 4-byte Folded Reload
	buffer_load_dword v79, off, s[20:23], 0 offset:8 ; 4-byte Folded Reload
	;; [unrolled: 1-line block ×3, first 2 shown]
	s_waitcnt vmcnt(0)
	ds_write2_b64 v125, v[77:78], v[79:80] offset0:40 offset1:41
	ds_write2_b64 v125, v[73:74], v[75:76] offset0:42 offset1:43
	ds_write2_b64 v125, v[69:70], v[71:72] offset0:44 offset1:45
	ds_write2_b64 v125, v[65:66], v[67:68] offset0:46 offset1:47
	ds_write2_b64 v125, v[61:62], v[63:64] offset0:48 offset1:49
	ds_write2_b64 v125, v[57:58], v[59:60] offset0:50 offset1:51
	ds_write2_b64 v125, v[53:54], v[55:56] offset0:52 offset1:53
	ds_write2_b64 v125, v[49:50], v[51:52] offset0:54 offset1:55
	ds_write2_b64 v125, v[45:46], v[47:48] offset0:56 offset1:57
	ds_write2_b64 v125, v[41:42], v[43:44] offset0:58 offset1:59
	ds_write2_b64 v125, v[37:38], v[39:40] offset0:60 offset1:61
	ds_write2_b64 v125, v[33:34], v[35:36] offset0:62 offset1:63
	ds_write2_b64 v125, v[29:30], v[31:32] offset0:64 offset1:65
	ds_write2_b64 v125, v[25:26], v[27:28] offset0:66 offset1:67
	ds_write2_b64 v125, v[21:22], v[23:24] offset0:68 offset1:69
	ds_write2_b64 v125, v[17:18], v[19:20] offset0:70 offset1:71
	ds_write2_b64 v125, v[13:14], v[15:16] offset0:72 offset1:73
	ds_write2_b64 v125, v[9:10], v[11:12] offset0:74 offset1:75
	ds_write2_b64 v125, v[5:6], v[7:8] offset0:76 offset1:77
	ds_write2_b64 v125, v[1:2], v[3:4] offset0:78 offset1:79
	buffer_load_dword v77, off, s[20:23], 0 offset:16 ; 4-byte Folded Reload
	buffer_load_dword v78, off, s[20:23], 0 offset:20 ; 4-byte Folded Reload
	;; [unrolled: 1-line block ×4, first 2 shown]
	s_waitcnt vmcnt(0)
	ds_write2_b64 v125, v[77:78], v[79:80] offset0:80 offset1:81
	ds_read2_b64 v[97:100], v127 offset1:1
	s_waitcnt lgkmcnt(0)
	v_cmp_neq_f64_e32 vcc, 0, v[97:98]
	v_cmp_neq_f64_e64 s[2:3], 0, v[99:100]
	s_or_b64 s[2:3], vcc, s[2:3]
	s_and_b64 exec, exec, s[2:3]
	s_cbranch_execz .LBB81_152
; %bb.147:
	v_cmp_ngt_f64_e64 s[2:3], |v[97:98]|, |v[99:100]|
                                        ; implicit-def: $vgpr101_vgpr102
	s_and_saveexec_b64 s[6:7], s[2:3]
	s_xor_b64 s[2:3], exec, s[6:7]
                                        ; implicit-def: $vgpr103_vgpr104
	s_cbranch_execz .LBB81_149
; %bb.148:
	v_div_scale_f64 v[101:102], s[6:7], v[99:100], v[99:100], v[97:98]
	v_rcp_f64_e32 v[103:104], v[101:102]
	v_fma_f64 v[105:106], -v[101:102], v[103:104], 1.0
	v_fma_f64 v[103:104], v[103:104], v[105:106], v[103:104]
	v_div_scale_f64 v[105:106], vcc, v[97:98], v[99:100], v[97:98]
	v_fma_f64 v[107:108], -v[101:102], v[103:104], 1.0
	v_fma_f64 v[103:104], v[103:104], v[107:108], v[103:104]
	v_mul_f64 v[107:108], v[105:106], v[103:104]
	v_fma_f64 v[101:102], -v[101:102], v[107:108], v[105:106]
	v_div_fmas_f64 v[101:102], v[101:102], v[103:104], v[107:108]
	v_div_fixup_f64 v[101:102], v[101:102], v[99:100], v[97:98]
	v_fma_f64 v[97:98], v[97:98], v[101:102], v[99:100]
	v_div_scale_f64 v[99:100], s[6:7], v[97:98], v[97:98], 1.0
	v_div_scale_f64 v[107:108], vcc, 1.0, v[97:98], 1.0
	v_rcp_f64_e32 v[103:104], v[99:100]
	v_fma_f64 v[105:106], -v[99:100], v[103:104], 1.0
	v_fma_f64 v[103:104], v[103:104], v[105:106], v[103:104]
	v_fma_f64 v[105:106], -v[99:100], v[103:104], 1.0
	v_fma_f64 v[103:104], v[103:104], v[105:106], v[103:104]
	v_mul_f64 v[105:106], v[107:108], v[103:104]
	v_fma_f64 v[99:100], -v[99:100], v[105:106], v[107:108]
	v_div_fmas_f64 v[99:100], v[99:100], v[103:104], v[105:106]
	v_div_fixup_f64 v[103:104], v[99:100], v[97:98], 1.0
                                        ; implicit-def: $vgpr97_vgpr98
	v_mul_f64 v[101:102], v[101:102], v[103:104]
	v_xor_b32_e32 v104, 0x80000000, v104
.LBB81_149:
	s_andn2_saveexec_b64 s[2:3], s[2:3]
	s_cbranch_execz .LBB81_151
; %bb.150:
	v_div_scale_f64 v[101:102], s[6:7], v[97:98], v[97:98], v[99:100]
	v_rcp_f64_e32 v[103:104], v[101:102]
	v_fma_f64 v[105:106], -v[101:102], v[103:104], 1.0
	v_fma_f64 v[103:104], v[103:104], v[105:106], v[103:104]
	v_div_scale_f64 v[105:106], vcc, v[99:100], v[97:98], v[99:100]
	v_fma_f64 v[107:108], -v[101:102], v[103:104], 1.0
	v_fma_f64 v[103:104], v[103:104], v[107:108], v[103:104]
	v_mul_f64 v[107:108], v[105:106], v[103:104]
	v_fma_f64 v[101:102], -v[101:102], v[107:108], v[105:106]
	v_div_fmas_f64 v[101:102], v[101:102], v[103:104], v[107:108]
	v_div_fixup_f64 v[103:104], v[101:102], v[97:98], v[99:100]
	v_fma_f64 v[97:98], v[99:100], v[103:104], v[97:98]
	v_div_scale_f64 v[99:100], s[6:7], v[97:98], v[97:98], 1.0
	v_div_scale_f64 v[107:108], vcc, 1.0, v[97:98], 1.0
	v_rcp_f64_e32 v[101:102], v[99:100]
	v_fma_f64 v[105:106], -v[99:100], v[101:102], 1.0
	v_fma_f64 v[101:102], v[101:102], v[105:106], v[101:102]
	v_fma_f64 v[105:106], -v[99:100], v[101:102], 1.0
	v_fma_f64 v[101:102], v[101:102], v[105:106], v[101:102]
	v_mul_f64 v[105:106], v[107:108], v[101:102]
	v_fma_f64 v[99:100], -v[99:100], v[105:106], v[107:108]
	v_div_fmas_f64 v[99:100], v[99:100], v[101:102], v[105:106]
	v_div_fixup_f64 v[101:102], v[99:100], v[97:98], 1.0
	v_mul_f64 v[103:104], v[103:104], -v[101:102]
.LBB81_151:
	s_or_b64 exec, exec, s[2:3]
	ds_write2_b64 v127, v[101:102], v[103:104] offset1:1
.LBB81_152:
	s_or_b64 exec, exec, s[4:5]
	s_waitcnt lgkmcnt(0)
	s_barrier
	ds_read2_b64 v[77:80], v127 offset1:1
	v_cmp_lt_u32_e32 vcc, 16, v0
	s_waitcnt lgkmcnt(0)
	buffer_store_dword v77, off, s[20:23], 0 offset:992 ; 4-byte Folded Spill
	s_nop 0
	buffer_store_dword v78, off, s[20:23], 0 offset:996 ; 4-byte Folded Spill
	buffer_store_dword v79, off, s[20:23], 0 offset:1000 ; 4-byte Folded Spill
	;; [unrolled: 1-line block ×3, first 2 shown]
	s_and_saveexec_b64 s[2:3], vcc
	s_cbranch_execz .LBB81_154
; %bb.153:
	buffer_load_dword v77, off, s[20:23], 0 offset:992 ; 4-byte Folded Reload
	buffer_load_dword v78, off, s[20:23], 0 offset:996 ; 4-byte Folded Reload
	;; [unrolled: 1-line block ×4, first 2 shown]
	v_mov_b32_e32 v106, v96
	v_mov_b32_e32 v105, v95
	;; [unrolled: 1-line block ×4, first 2 shown]
	ds_read2_b64 v[99:102], v125 offset0:34 offset1:35
	s_waitcnt vmcnt(2)
	v_mul_f64 v[95:96], v[77:78], v[111:112]
	s_waitcnt vmcnt(0)
	v_mul_f64 v[97:98], v[79:80], v[111:112]
	v_fma_f64 v[111:112], v[79:80], v[109:110], v[95:96]
	v_fma_f64 v[97:98], v[77:78], v[109:110], -v[97:98]
	s_waitcnt lgkmcnt(0)
	v_mul_f64 v[93:94], v[101:102], v[111:112]
	v_mov_b32_e32 v110, v98
	v_mov_b32_e32 v109, v97
	v_fma_f64 v[93:94], v[99:100], v[97:98], -v[93:94]
	v_mul_f64 v[99:100], v[99:100], v[111:112]
	v_add_f64 v[113:114], v[113:114], -v[93:94]
	v_fma_f64 v[99:100], v[101:102], v[97:98], v[99:100]
	v_add_f64 v[115:116], v[115:116], -v[99:100]
	ds_read2_b64 v[99:102], v125 offset0:36 offset1:37
	buffer_load_dword v81, off, s[20:23], 0 offset:32 ; 4-byte Folded Reload
	buffer_load_dword v82, off, s[20:23], 0 offset:36 ; 4-byte Folded Reload
	;; [unrolled: 1-line block ×4, first 2 shown]
	s_waitcnt lgkmcnt(0)
	v_mul_f64 v[93:94], v[101:102], v[111:112]
	v_fma_f64 v[93:94], v[99:100], v[97:98], -v[93:94]
	v_mul_f64 v[99:100], v[99:100], v[111:112]
	v_fma_f64 v[99:100], v[101:102], v[97:98], v[99:100]
	s_waitcnt vmcnt(2)
	v_add_f64 v[81:82], v[81:82], -v[93:94]
	s_waitcnt vmcnt(0)
	v_add_f64 v[83:84], v[83:84], -v[99:100]
	buffer_store_dword v81, off, s[20:23], 0 offset:32 ; 4-byte Folded Spill
	s_nop 0
	buffer_store_dword v82, off, s[20:23], 0 offset:36 ; 4-byte Folded Spill
	buffer_store_dword v83, off, s[20:23], 0 offset:40 ; 4-byte Folded Spill
	buffer_store_dword v84, off, s[20:23], 0 offset:44 ; 4-byte Folded Spill
	ds_read2_b64 v[99:102], v125 offset0:38 offset1:39
	s_waitcnt lgkmcnt(0)
	v_mul_f64 v[93:94], v[101:102], v[111:112]
	v_fma_f64 v[93:94], v[99:100], v[97:98], -v[93:94]
	v_mul_f64 v[99:100], v[99:100], v[111:112]
	v_add_f64 v[103:104], v[103:104], -v[93:94]
	v_fma_f64 v[99:100], v[101:102], v[97:98], v[99:100]
	v_add_f64 v[105:106], v[105:106], -v[99:100]
	ds_read2_b64 v[99:102], v125 offset0:40 offset1:41
	buffer_load_dword v77, off, s[20:23], 0 ; 4-byte Folded Reload
	buffer_load_dword v78, off, s[20:23], 0 offset:4 ; 4-byte Folded Reload
	buffer_load_dword v79, off, s[20:23], 0 offset:8 ; 4-byte Folded Reload
	buffer_load_dword v80, off, s[20:23], 0 offset:12 ; 4-byte Folded Reload
	s_waitcnt lgkmcnt(0)
	v_mul_f64 v[93:94], v[101:102], v[111:112]
	v_fma_f64 v[93:94], v[99:100], v[97:98], -v[93:94]
	v_mul_f64 v[99:100], v[99:100], v[111:112]
	v_fma_f64 v[99:100], v[101:102], v[97:98], v[99:100]
	s_waitcnt vmcnt(2)
	v_add_f64 v[77:78], v[77:78], -v[93:94]
	s_waitcnt vmcnt(0)
	v_add_f64 v[79:80], v[79:80], -v[99:100]
	buffer_store_dword v77, off, s[20:23], 0 ; 4-byte Folded Spill
	s_nop 0
	buffer_store_dword v78, off, s[20:23], 0 offset:4 ; 4-byte Folded Spill
	buffer_store_dword v79, off, s[20:23], 0 offset:8 ; 4-byte Folded Spill
	;; [unrolled: 1-line block ×3, first 2 shown]
	ds_read2_b64 v[99:102], v125 offset0:42 offset1:43
	s_waitcnt lgkmcnt(0)
	v_mul_f64 v[93:94], v[101:102], v[111:112]
	v_fma_f64 v[93:94], v[99:100], v[97:98], -v[93:94]
	v_mul_f64 v[99:100], v[99:100], v[111:112]
	v_add_f64 v[73:74], v[73:74], -v[93:94]
	v_fma_f64 v[99:100], v[101:102], v[97:98], v[99:100]
	v_add_f64 v[75:76], v[75:76], -v[99:100]
	ds_read2_b64 v[99:102], v125 offset0:44 offset1:45
	s_waitcnt lgkmcnt(0)
	v_mul_f64 v[93:94], v[101:102], v[111:112]
	v_fma_f64 v[93:94], v[99:100], v[97:98], -v[93:94]
	v_mul_f64 v[99:100], v[99:100], v[111:112]
	v_add_f64 v[69:70], v[69:70], -v[93:94]
	v_fma_f64 v[99:100], v[101:102], v[97:98], v[99:100]
	v_add_f64 v[71:72], v[71:72], -v[99:100]
	;; [unrolled: 8-line block ×19, first 2 shown]
	ds_read2_b64 v[99:102], v125 offset0:80 offset1:81
	buffer_load_dword v77, off, s[20:23], 0 offset:16 ; 4-byte Folded Reload
	buffer_load_dword v78, off, s[20:23], 0 offset:20 ; 4-byte Folded Reload
	;; [unrolled: 1-line block ×4, first 2 shown]
	s_waitcnt lgkmcnt(0)
	v_mul_f64 v[93:94], v[101:102], v[111:112]
	v_fma_f64 v[93:94], v[99:100], v[97:98], -v[93:94]
	v_mul_f64 v[99:100], v[99:100], v[111:112]
	v_fma_f64 v[99:100], v[101:102], v[97:98], v[99:100]
	s_waitcnt vmcnt(2)
	v_add_f64 v[77:78], v[77:78], -v[93:94]
	v_mov_b32_e32 v93, v103
	s_waitcnt vmcnt(0)
	v_add_f64 v[79:80], v[79:80], -v[99:100]
	v_mov_b32_e32 v94, v104
	v_mov_b32_e32 v95, v105
	v_mov_b32_e32 v96, v106
	buffer_store_dword v77, off, s[20:23], 0 offset:16 ; 4-byte Folded Spill
	s_nop 0
	buffer_store_dword v78, off, s[20:23], 0 offset:20 ; 4-byte Folded Spill
	buffer_store_dword v79, off, s[20:23], 0 offset:24 ; 4-byte Folded Spill
	;; [unrolled: 1-line block ×3, first 2 shown]
.LBB81_154:
	s_or_b64 exec, exec, s[2:3]
	v_cmp_eq_u32_e32 vcc, 17, v0
	s_waitcnt vmcnt(0)
	s_barrier
	s_and_saveexec_b64 s[4:5], vcc
	s_cbranch_execz .LBB81_161
; %bb.155:
	ds_write2_b64 v127, v[113:114], v[115:116] offset1:1
	buffer_load_dword v81, off, s[20:23], 0 offset:32 ; 4-byte Folded Reload
	buffer_load_dword v82, off, s[20:23], 0 offset:36 ; 4-byte Folded Reload
	;; [unrolled: 1-line block ×4, first 2 shown]
	s_waitcnt vmcnt(0)
	ds_write2_b64 v125, v[81:82], v[83:84] offset0:36 offset1:37
	ds_write2_b64 v125, v[93:94], v[95:96] offset0:38 offset1:39
	buffer_load_dword v77, off, s[20:23], 0 ; 4-byte Folded Reload
	buffer_load_dword v78, off, s[20:23], 0 offset:4 ; 4-byte Folded Reload
	buffer_load_dword v79, off, s[20:23], 0 offset:8 ; 4-byte Folded Reload
	;; [unrolled: 1-line block ×3, first 2 shown]
	s_waitcnt vmcnt(0)
	ds_write2_b64 v125, v[77:78], v[79:80] offset0:40 offset1:41
	ds_write2_b64 v125, v[73:74], v[75:76] offset0:42 offset1:43
	;; [unrolled: 1-line block ×20, first 2 shown]
	buffer_load_dword v77, off, s[20:23], 0 offset:16 ; 4-byte Folded Reload
	buffer_load_dword v78, off, s[20:23], 0 offset:20 ; 4-byte Folded Reload
	;; [unrolled: 1-line block ×4, first 2 shown]
	s_waitcnt vmcnt(0)
	ds_write2_b64 v125, v[77:78], v[79:80] offset0:80 offset1:81
	ds_read2_b64 v[97:100], v127 offset1:1
	s_waitcnt lgkmcnt(0)
	v_cmp_neq_f64_e32 vcc, 0, v[97:98]
	v_cmp_neq_f64_e64 s[2:3], 0, v[99:100]
	s_or_b64 s[2:3], vcc, s[2:3]
	s_and_b64 exec, exec, s[2:3]
	s_cbranch_execz .LBB81_161
; %bb.156:
	v_cmp_ngt_f64_e64 s[2:3], |v[97:98]|, |v[99:100]|
                                        ; implicit-def: $vgpr101_vgpr102
	s_and_saveexec_b64 s[6:7], s[2:3]
	s_xor_b64 s[2:3], exec, s[6:7]
                                        ; implicit-def: $vgpr103_vgpr104
	s_cbranch_execz .LBB81_158
; %bb.157:
	v_div_scale_f64 v[101:102], s[6:7], v[99:100], v[99:100], v[97:98]
	v_rcp_f64_e32 v[103:104], v[101:102]
	v_fma_f64 v[105:106], -v[101:102], v[103:104], 1.0
	v_fma_f64 v[103:104], v[103:104], v[105:106], v[103:104]
	v_div_scale_f64 v[105:106], vcc, v[97:98], v[99:100], v[97:98]
	v_fma_f64 v[107:108], -v[101:102], v[103:104], 1.0
	v_fma_f64 v[103:104], v[103:104], v[107:108], v[103:104]
	v_mul_f64 v[107:108], v[105:106], v[103:104]
	v_fma_f64 v[101:102], -v[101:102], v[107:108], v[105:106]
	v_div_fmas_f64 v[101:102], v[101:102], v[103:104], v[107:108]
	v_div_fixup_f64 v[101:102], v[101:102], v[99:100], v[97:98]
	v_fma_f64 v[97:98], v[97:98], v[101:102], v[99:100]
	v_div_scale_f64 v[99:100], s[6:7], v[97:98], v[97:98], 1.0
	v_div_scale_f64 v[107:108], vcc, 1.0, v[97:98], 1.0
	v_rcp_f64_e32 v[103:104], v[99:100]
	v_fma_f64 v[105:106], -v[99:100], v[103:104], 1.0
	v_fma_f64 v[103:104], v[103:104], v[105:106], v[103:104]
	v_fma_f64 v[105:106], -v[99:100], v[103:104], 1.0
	v_fma_f64 v[103:104], v[103:104], v[105:106], v[103:104]
	v_mul_f64 v[105:106], v[107:108], v[103:104]
	v_fma_f64 v[99:100], -v[99:100], v[105:106], v[107:108]
	v_div_fmas_f64 v[99:100], v[99:100], v[103:104], v[105:106]
	v_div_fixup_f64 v[103:104], v[99:100], v[97:98], 1.0
                                        ; implicit-def: $vgpr97_vgpr98
	v_mul_f64 v[101:102], v[101:102], v[103:104]
	v_xor_b32_e32 v104, 0x80000000, v104
.LBB81_158:
	s_andn2_saveexec_b64 s[2:3], s[2:3]
	s_cbranch_execz .LBB81_160
; %bb.159:
	v_div_scale_f64 v[101:102], s[6:7], v[97:98], v[97:98], v[99:100]
	v_rcp_f64_e32 v[103:104], v[101:102]
	v_fma_f64 v[105:106], -v[101:102], v[103:104], 1.0
	v_fma_f64 v[103:104], v[103:104], v[105:106], v[103:104]
	v_div_scale_f64 v[105:106], vcc, v[99:100], v[97:98], v[99:100]
	v_fma_f64 v[107:108], -v[101:102], v[103:104], 1.0
	v_fma_f64 v[103:104], v[103:104], v[107:108], v[103:104]
	v_mul_f64 v[107:108], v[105:106], v[103:104]
	v_fma_f64 v[101:102], -v[101:102], v[107:108], v[105:106]
	v_div_fmas_f64 v[101:102], v[101:102], v[103:104], v[107:108]
	v_div_fixup_f64 v[103:104], v[101:102], v[97:98], v[99:100]
	v_fma_f64 v[97:98], v[99:100], v[103:104], v[97:98]
	v_div_scale_f64 v[99:100], s[6:7], v[97:98], v[97:98], 1.0
	v_div_scale_f64 v[107:108], vcc, 1.0, v[97:98], 1.0
	v_rcp_f64_e32 v[101:102], v[99:100]
	v_fma_f64 v[105:106], -v[99:100], v[101:102], 1.0
	v_fma_f64 v[101:102], v[101:102], v[105:106], v[101:102]
	v_fma_f64 v[105:106], -v[99:100], v[101:102], 1.0
	v_fma_f64 v[101:102], v[101:102], v[105:106], v[101:102]
	v_mul_f64 v[105:106], v[107:108], v[101:102]
	v_fma_f64 v[99:100], -v[99:100], v[105:106], v[107:108]
	v_div_fmas_f64 v[99:100], v[99:100], v[101:102], v[105:106]
	v_div_fixup_f64 v[101:102], v[99:100], v[97:98], 1.0
	v_mul_f64 v[103:104], v[103:104], -v[101:102]
.LBB81_160:
	s_or_b64 exec, exec, s[2:3]
	ds_write2_b64 v127, v[101:102], v[103:104] offset1:1
.LBB81_161:
	s_or_b64 exec, exec, s[4:5]
	s_waitcnt lgkmcnt(0)
	s_barrier
	ds_read2_b64 v[77:80], v127 offset1:1
	v_cmp_lt_u32_e32 vcc, 17, v0
	s_waitcnt lgkmcnt(0)
	buffer_store_dword v77, off, s[20:23], 0 offset:1008 ; 4-byte Folded Spill
	s_nop 0
	buffer_store_dword v78, off, s[20:23], 0 offset:1012 ; 4-byte Folded Spill
	buffer_store_dword v79, off, s[20:23], 0 offset:1016 ; 4-byte Folded Spill
	;; [unrolled: 1-line block ×3, first 2 shown]
	s_and_saveexec_b64 s[2:3], vcc
	s_cbranch_execz .LBB81_163
; %bb.162:
	buffer_load_dword v77, off, s[20:23], 0 offset:1008 ; 4-byte Folded Reload
	buffer_load_dword v78, off, s[20:23], 0 offset:1012 ; 4-byte Folded Reload
	;; [unrolled: 1-line block ×4, first 2 shown]
	ds_read2_b64 v[99:102], v125 offset0:36 offset1:37
	buffer_load_dword v81, off, s[20:23], 0 offset:32 ; 4-byte Folded Reload
	buffer_load_dword v82, off, s[20:23], 0 offset:36 ; 4-byte Folded Reload
	;; [unrolled: 1-line block ×4, first 2 shown]
	v_mov_b32_e32 v89, v91
	v_mov_b32_e32 v90, v92
	s_waitcnt vmcnt(6)
	v_mul_f64 v[91:92], v[77:78], v[115:116]
	s_waitcnt vmcnt(4)
	v_mul_f64 v[97:98], v[79:80], v[115:116]
	v_fma_f64 v[115:116], v[79:80], v[113:114], v[91:92]
	v_mov_b32_e32 v92, v90
	v_fma_f64 v[97:98], v[77:78], v[113:114], -v[97:98]
	v_mov_b32_e32 v91, v89
	s_waitcnt lgkmcnt(0)
	v_mul_f64 v[89:90], v[101:102], v[115:116]
	v_mov_b32_e32 v114, v98
	v_mov_b32_e32 v113, v97
	v_fma_f64 v[89:90], v[99:100], v[97:98], -v[89:90]
	v_mul_f64 v[99:100], v[99:100], v[115:116]
	s_waitcnt vmcnt(2)
	v_add_f64 v[81:82], v[81:82], -v[89:90]
	v_fma_f64 v[99:100], v[101:102], v[97:98], v[99:100]
	s_waitcnt vmcnt(0)
	v_add_f64 v[83:84], v[83:84], -v[99:100]
	buffer_store_dword v81, off, s[20:23], 0 offset:32 ; 4-byte Folded Spill
	s_nop 0
	buffer_store_dword v82, off, s[20:23], 0 offset:36 ; 4-byte Folded Spill
	buffer_store_dword v83, off, s[20:23], 0 offset:40 ; 4-byte Folded Spill
	buffer_store_dword v84, off, s[20:23], 0 offset:44 ; 4-byte Folded Spill
	ds_read2_b64 v[99:102], v125 offset0:38 offset1:39
	s_waitcnt lgkmcnt(0)
	v_mul_f64 v[89:90], v[101:102], v[115:116]
	v_fma_f64 v[89:90], v[99:100], v[97:98], -v[89:90]
	v_mul_f64 v[99:100], v[99:100], v[115:116]
	v_add_f64 v[93:94], v[93:94], -v[89:90]
	v_fma_f64 v[99:100], v[101:102], v[97:98], v[99:100]
	v_add_f64 v[95:96], v[95:96], -v[99:100]
	ds_read2_b64 v[99:102], v125 offset0:40 offset1:41
	buffer_load_dword v77, off, s[20:23], 0 ; 4-byte Folded Reload
	buffer_load_dword v78, off, s[20:23], 0 offset:4 ; 4-byte Folded Reload
	buffer_load_dword v79, off, s[20:23], 0 offset:8 ; 4-byte Folded Reload
	;; [unrolled: 1-line block ×3, first 2 shown]
	s_waitcnt lgkmcnt(0)
	v_mul_f64 v[89:90], v[101:102], v[115:116]
	v_fma_f64 v[89:90], v[99:100], v[97:98], -v[89:90]
	v_mul_f64 v[99:100], v[99:100], v[115:116]
	v_fma_f64 v[99:100], v[101:102], v[97:98], v[99:100]
	s_waitcnt vmcnt(2)
	v_add_f64 v[77:78], v[77:78], -v[89:90]
	s_waitcnt vmcnt(0)
	v_add_f64 v[79:80], v[79:80], -v[99:100]
	buffer_store_dword v77, off, s[20:23], 0 ; 4-byte Folded Spill
	s_nop 0
	buffer_store_dword v78, off, s[20:23], 0 offset:4 ; 4-byte Folded Spill
	buffer_store_dword v79, off, s[20:23], 0 offset:8 ; 4-byte Folded Spill
	;; [unrolled: 1-line block ×3, first 2 shown]
	ds_read2_b64 v[99:102], v125 offset0:42 offset1:43
	s_waitcnt lgkmcnt(0)
	v_mul_f64 v[89:90], v[101:102], v[115:116]
	v_fma_f64 v[89:90], v[99:100], v[97:98], -v[89:90]
	v_mul_f64 v[99:100], v[99:100], v[115:116]
	v_add_f64 v[73:74], v[73:74], -v[89:90]
	v_fma_f64 v[99:100], v[101:102], v[97:98], v[99:100]
	v_add_f64 v[75:76], v[75:76], -v[99:100]
	ds_read2_b64 v[99:102], v125 offset0:44 offset1:45
	s_waitcnt lgkmcnt(0)
	v_mul_f64 v[89:90], v[101:102], v[115:116]
	v_fma_f64 v[89:90], v[99:100], v[97:98], -v[89:90]
	v_mul_f64 v[99:100], v[99:100], v[115:116]
	v_add_f64 v[69:70], v[69:70], -v[89:90]
	v_fma_f64 v[99:100], v[101:102], v[97:98], v[99:100]
	v_add_f64 v[71:72], v[71:72], -v[99:100]
	;; [unrolled: 8-line block ×19, first 2 shown]
	ds_read2_b64 v[99:102], v125 offset0:80 offset1:81
	buffer_load_dword v77, off, s[20:23], 0 offset:16 ; 4-byte Folded Reload
	buffer_load_dword v78, off, s[20:23], 0 offset:20 ; 4-byte Folded Reload
	buffer_load_dword v79, off, s[20:23], 0 offset:24 ; 4-byte Folded Reload
	buffer_load_dword v80, off, s[20:23], 0 offset:28 ; 4-byte Folded Reload
	s_waitcnt lgkmcnt(0)
	v_mul_f64 v[89:90], v[101:102], v[115:116]
	v_fma_f64 v[89:90], v[99:100], v[97:98], -v[89:90]
	v_mul_f64 v[99:100], v[99:100], v[115:116]
	v_fma_f64 v[99:100], v[101:102], v[97:98], v[99:100]
	s_waitcnt vmcnt(2)
	v_add_f64 v[77:78], v[77:78], -v[89:90]
	s_waitcnt vmcnt(0)
	v_add_f64 v[79:80], v[79:80], -v[99:100]
	buffer_store_dword v77, off, s[20:23], 0 offset:16 ; 4-byte Folded Spill
	s_nop 0
	buffer_store_dword v78, off, s[20:23], 0 offset:20 ; 4-byte Folded Spill
	buffer_store_dword v79, off, s[20:23], 0 offset:24 ; 4-byte Folded Spill
	;; [unrolled: 1-line block ×3, first 2 shown]
.LBB81_163:
	s_or_b64 exec, exec, s[2:3]
	v_cmp_eq_u32_e32 vcc, 18, v0
	s_waitcnt vmcnt(0)
	s_barrier
	s_and_saveexec_b64 s[4:5], vcc
	s_cbranch_execz .LBB81_170
; %bb.164:
	buffer_load_dword v81, off, s[20:23], 0 offset:32 ; 4-byte Folded Reload
	buffer_load_dword v82, off, s[20:23], 0 offset:36 ; 4-byte Folded Reload
	;; [unrolled: 1-line block ×4, first 2 shown]
	s_waitcnt vmcnt(0)
	ds_write2_b64 v127, v[81:82], v[83:84] offset1:1
	ds_write2_b64 v125, v[93:94], v[95:96] offset0:38 offset1:39
	buffer_load_dword v77, off, s[20:23], 0 ; 4-byte Folded Reload
	buffer_load_dword v78, off, s[20:23], 0 offset:4 ; 4-byte Folded Reload
	buffer_load_dword v79, off, s[20:23], 0 offset:8 ; 4-byte Folded Reload
	;; [unrolled: 1-line block ×3, first 2 shown]
	s_waitcnt vmcnt(0)
	ds_write2_b64 v125, v[77:78], v[79:80] offset0:40 offset1:41
	ds_write2_b64 v125, v[73:74], v[75:76] offset0:42 offset1:43
	;; [unrolled: 1-line block ×20, first 2 shown]
	buffer_load_dword v77, off, s[20:23], 0 offset:16 ; 4-byte Folded Reload
	buffer_load_dword v78, off, s[20:23], 0 offset:20 ; 4-byte Folded Reload
	;; [unrolled: 1-line block ×4, first 2 shown]
	s_waitcnt vmcnt(0)
	ds_write2_b64 v125, v[77:78], v[79:80] offset0:80 offset1:81
	ds_read2_b64 v[97:100], v127 offset1:1
	s_waitcnt lgkmcnt(0)
	v_cmp_neq_f64_e32 vcc, 0, v[97:98]
	v_cmp_neq_f64_e64 s[2:3], 0, v[99:100]
	s_or_b64 s[2:3], vcc, s[2:3]
	s_and_b64 exec, exec, s[2:3]
	s_cbranch_execz .LBB81_170
; %bb.165:
	v_cmp_ngt_f64_e64 s[2:3], |v[97:98]|, |v[99:100]|
                                        ; implicit-def: $vgpr101_vgpr102
	s_and_saveexec_b64 s[6:7], s[2:3]
	s_xor_b64 s[2:3], exec, s[6:7]
                                        ; implicit-def: $vgpr103_vgpr104
	s_cbranch_execz .LBB81_167
; %bb.166:
	v_div_scale_f64 v[101:102], s[6:7], v[99:100], v[99:100], v[97:98]
	v_rcp_f64_e32 v[103:104], v[101:102]
	v_fma_f64 v[105:106], -v[101:102], v[103:104], 1.0
	v_fma_f64 v[103:104], v[103:104], v[105:106], v[103:104]
	v_div_scale_f64 v[105:106], vcc, v[97:98], v[99:100], v[97:98]
	v_fma_f64 v[107:108], -v[101:102], v[103:104], 1.0
	v_fma_f64 v[103:104], v[103:104], v[107:108], v[103:104]
	v_mul_f64 v[107:108], v[105:106], v[103:104]
	v_fma_f64 v[101:102], -v[101:102], v[107:108], v[105:106]
	v_div_fmas_f64 v[101:102], v[101:102], v[103:104], v[107:108]
	v_div_fixup_f64 v[101:102], v[101:102], v[99:100], v[97:98]
	v_fma_f64 v[97:98], v[97:98], v[101:102], v[99:100]
	v_div_scale_f64 v[99:100], s[6:7], v[97:98], v[97:98], 1.0
	v_div_scale_f64 v[107:108], vcc, 1.0, v[97:98], 1.0
	v_rcp_f64_e32 v[103:104], v[99:100]
	v_fma_f64 v[105:106], -v[99:100], v[103:104], 1.0
	v_fma_f64 v[103:104], v[103:104], v[105:106], v[103:104]
	v_fma_f64 v[105:106], -v[99:100], v[103:104], 1.0
	v_fma_f64 v[103:104], v[103:104], v[105:106], v[103:104]
	v_mul_f64 v[105:106], v[107:108], v[103:104]
	v_fma_f64 v[99:100], -v[99:100], v[105:106], v[107:108]
	v_div_fmas_f64 v[99:100], v[99:100], v[103:104], v[105:106]
	v_div_fixup_f64 v[103:104], v[99:100], v[97:98], 1.0
                                        ; implicit-def: $vgpr97_vgpr98
	v_mul_f64 v[101:102], v[101:102], v[103:104]
	v_xor_b32_e32 v104, 0x80000000, v104
.LBB81_167:
	s_andn2_saveexec_b64 s[2:3], s[2:3]
	s_cbranch_execz .LBB81_169
; %bb.168:
	v_div_scale_f64 v[101:102], s[6:7], v[97:98], v[97:98], v[99:100]
	v_rcp_f64_e32 v[103:104], v[101:102]
	v_fma_f64 v[105:106], -v[101:102], v[103:104], 1.0
	v_fma_f64 v[103:104], v[103:104], v[105:106], v[103:104]
	v_div_scale_f64 v[105:106], vcc, v[99:100], v[97:98], v[99:100]
	v_fma_f64 v[107:108], -v[101:102], v[103:104], 1.0
	v_fma_f64 v[103:104], v[103:104], v[107:108], v[103:104]
	v_mul_f64 v[107:108], v[105:106], v[103:104]
	v_fma_f64 v[101:102], -v[101:102], v[107:108], v[105:106]
	v_div_fmas_f64 v[101:102], v[101:102], v[103:104], v[107:108]
	v_div_fixup_f64 v[103:104], v[101:102], v[97:98], v[99:100]
	v_fma_f64 v[97:98], v[99:100], v[103:104], v[97:98]
	v_div_scale_f64 v[99:100], s[6:7], v[97:98], v[97:98], 1.0
	v_div_scale_f64 v[107:108], vcc, 1.0, v[97:98], 1.0
	v_rcp_f64_e32 v[101:102], v[99:100]
	v_fma_f64 v[105:106], -v[99:100], v[101:102], 1.0
	v_fma_f64 v[101:102], v[101:102], v[105:106], v[101:102]
	v_fma_f64 v[105:106], -v[99:100], v[101:102], 1.0
	v_fma_f64 v[101:102], v[101:102], v[105:106], v[101:102]
	v_mul_f64 v[105:106], v[107:108], v[101:102]
	v_fma_f64 v[99:100], -v[99:100], v[105:106], v[107:108]
	v_div_fmas_f64 v[99:100], v[99:100], v[101:102], v[105:106]
	v_div_fixup_f64 v[101:102], v[99:100], v[97:98], 1.0
	v_mul_f64 v[103:104], v[103:104], -v[101:102]
.LBB81_169:
	s_or_b64 exec, exec, s[2:3]
	ds_write2_b64 v127, v[101:102], v[103:104] offset1:1
.LBB81_170:
	s_or_b64 exec, exec, s[4:5]
	s_waitcnt lgkmcnt(0)
	s_barrier
	ds_read2_b64 v[77:80], v127 offset1:1
	v_cmp_lt_u32_e32 vcc, 18, v0
	s_waitcnt lgkmcnt(0)
	buffer_store_dword v77, off, s[20:23], 0 offset:1024 ; 4-byte Folded Spill
	s_nop 0
	buffer_store_dword v78, off, s[20:23], 0 offset:1028 ; 4-byte Folded Spill
	buffer_store_dword v79, off, s[20:23], 0 offset:1032 ; 4-byte Folded Spill
	;; [unrolled: 1-line block ×3, first 2 shown]
	s_mov_b64 s[2:3], exec
	s_and_b64 s[4:5], s[2:3], vcc
	buffer_store_dword v85, off, s[20:23], 0 offset:704 ; 4-byte Folded Spill
	s_nop 0
	buffer_store_dword v86, off, s[20:23], 0 offset:708 ; 4-byte Folded Spill
	buffer_store_dword v87, off, s[20:23], 0 offset:712 ; 4-byte Folded Spill
	buffer_store_dword v88, off, s[20:23], 0 offset:716 ; 4-byte Folded Spill
	s_mov_b64 exec, s[4:5]
	s_cbranch_execz .LBB81_172
; %bb.171:
	buffer_load_dword v81, off, s[20:23], 0 offset:32 ; 4-byte Folded Reload
	buffer_load_dword v82, off, s[20:23], 0 offset:36 ; 4-byte Folded Reload
	;; [unrolled: 1-line block ×8, first 2 shown]
	ds_read2_b64 v[99:102], v125 offset0:38 offset1:39
	s_waitcnt vmcnt(2)
	v_mul_f64 v[87:88], v[77:78], v[83:84]
	s_waitcnt vmcnt(0)
	v_mul_f64 v[97:98], v[79:80], v[83:84]
	v_fma_f64 v[83:84], v[79:80], v[81:82], v[87:88]
	v_fma_f64 v[97:98], v[77:78], v[81:82], -v[97:98]
	s_waitcnt lgkmcnt(0)
	v_mul_f64 v[85:86], v[101:102], v[83:84]
	v_mov_b32_e32 v81, v97
	v_mov_b32_e32 v82, v98
	v_fma_f64 v[85:86], v[99:100], v[97:98], -v[85:86]
	v_mul_f64 v[99:100], v[99:100], v[83:84]
	v_add_f64 v[93:94], v[93:94], -v[85:86]
	v_fma_f64 v[99:100], v[101:102], v[97:98], v[99:100]
	v_add_f64 v[95:96], v[95:96], -v[99:100]
	ds_read2_b64 v[99:102], v125 offset0:40 offset1:41
	buffer_load_dword v77, off, s[20:23], 0 ; 4-byte Folded Reload
	buffer_load_dword v78, off, s[20:23], 0 offset:4 ; 4-byte Folded Reload
	buffer_load_dword v79, off, s[20:23], 0 offset:8 ; 4-byte Folded Reload
	;; [unrolled: 1-line block ×3, first 2 shown]
	s_waitcnt lgkmcnt(0)
	v_mul_f64 v[85:86], v[101:102], v[83:84]
	v_fma_f64 v[85:86], v[99:100], v[97:98], -v[85:86]
	v_mul_f64 v[99:100], v[99:100], v[83:84]
	v_fma_f64 v[99:100], v[101:102], v[97:98], v[99:100]
	s_waitcnt vmcnt(2)
	v_add_f64 v[77:78], v[77:78], -v[85:86]
	s_waitcnt vmcnt(0)
	v_add_f64 v[79:80], v[79:80], -v[99:100]
	buffer_store_dword v77, off, s[20:23], 0 ; 4-byte Folded Spill
	s_nop 0
	buffer_store_dword v78, off, s[20:23], 0 offset:4 ; 4-byte Folded Spill
	buffer_store_dword v79, off, s[20:23], 0 offset:8 ; 4-byte Folded Spill
	;; [unrolled: 1-line block ×3, first 2 shown]
	ds_read2_b64 v[99:102], v125 offset0:42 offset1:43
	s_waitcnt lgkmcnt(0)
	v_mul_f64 v[85:86], v[101:102], v[83:84]
	v_fma_f64 v[85:86], v[99:100], v[97:98], -v[85:86]
	v_mul_f64 v[99:100], v[99:100], v[83:84]
	v_add_f64 v[73:74], v[73:74], -v[85:86]
	v_fma_f64 v[99:100], v[101:102], v[97:98], v[99:100]
	v_add_f64 v[75:76], v[75:76], -v[99:100]
	ds_read2_b64 v[99:102], v125 offset0:44 offset1:45
	s_waitcnt lgkmcnt(0)
	v_mul_f64 v[85:86], v[101:102], v[83:84]
	v_fma_f64 v[85:86], v[99:100], v[97:98], -v[85:86]
	v_mul_f64 v[99:100], v[99:100], v[83:84]
	v_add_f64 v[69:70], v[69:70], -v[85:86]
	v_fma_f64 v[99:100], v[101:102], v[97:98], v[99:100]
	v_add_f64 v[71:72], v[71:72], -v[99:100]
	;; [unrolled: 8-line block ×19, first 2 shown]
	ds_read2_b64 v[99:102], v125 offset0:80 offset1:81
	buffer_load_dword v77, off, s[20:23], 0 offset:16 ; 4-byte Folded Reload
	buffer_load_dword v78, off, s[20:23], 0 offset:20 ; 4-byte Folded Reload
	;; [unrolled: 1-line block ×4, first 2 shown]
	s_waitcnt lgkmcnt(0)
	v_mul_f64 v[85:86], v[101:102], v[83:84]
	v_fma_f64 v[85:86], v[99:100], v[97:98], -v[85:86]
	v_mul_f64 v[99:100], v[99:100], v[83:84]
	v_fma_f64 v[99:100], v[101:102], v[97:98], v[99:100]
	s_waitcnt vmcnt(2)
	v_add_f64 v[77:78], v[77:78], -v[85:86]
	s_waitcnt vmcnt(0)
	v_add_f64 v[79:80], v[79:80], -v[99:100]
	buffer_store_dword v77, off, s[20:23], 0 offset:16 ; 4-byte Folded Spill
	s_nop 0
	buffer_store_dword v78, off, s[20:23], 0 offset:20 ; 4-byte Folded Spill
	buffer_store_dword v79, off, s[20:23], 0 offset:24 ; 4-byte Folded Spill
	;; [unrolled: 1-line block ×4, first 2 shown]
	s_nop 0
	buffer_store_dword v82, off, s[20:23], 0 offset:36 ; 4-byte Folded Spill
	buffer_store_dword v83, off, s[20:23], 0 offset:40 ; 4-byte Folded Spill
	buffer_store_dword v84, off, s[20:23], 0 offset:44 ; 4-byte Folded Spill
.LBB81_172:
	s_or_b64 exec, exec, s[2:3]
	s_waitcnt vmcnt(0)
	s_barrier
	v_cmp_eq_u32_e32 vcc, 19, v0
	s_mov_b64 s[4:5], exec
	buffer_load_dword v81, off, s[20:23], 0 offset:16 ; 4-byte Folded Reload
	buffer_load_dword v82, off, s[20:23], 0 offset:20 ; 4-byte Folded Reload
	;; [unrolled: 1-line block ×4, first 2 shown]
	s_and_b64 s[2:3], s[4:5], vcc
	s_mov_b64 exec, s[2:3]
	s_cbranch_execz .LBB81_179
; %bb.173:
	ds_write2_b64 v127, v[93:94], v[95:96] offset1:1
	buffer_load_dword v77, off, s[20:23], 0 ; 4-byte Folded Reload
	buffer_load_dword v78, off, s[20:23], 0 offset:4 ; 4-byte Folded Reload
	buffer_load_dword v79, off, s[20:23], 0 offset:8 ; 4-byte Folded Reload
	;; [unrolled: 1-line block ×3, first 2 shown]
	s_waitcnt vmcnt(0)
	ds_write2_b64 v125, v[77:78], v[79:80] offset0:40 offset1:41
	ds_write2_b64 v125, v[73:74], v[75:76] offset0:42 offset1:43
	;; [unrolled: 1-line block ×21, first 2 shown]
	ds_read2_b64 v[97:100], v127 offset1:1
	s_waitcnt lgkmcnt(0)
	v_cmp_neq_f64_e32 vcc, 0, v[97:98]
	v_cmp_neq_f64_e64 s[2:3], 0, v[99:100]
	s_or_b64 s[2:3], vcc, s[2:3]
	s_and_b64 exec, exec, s[2:3]
	s_cbranch_execz .LBB81_179
; %bb.174:
	v_cmp_ngt_f64_e64 s[2:3], |v[97:98]|, |v[99:100]|
                                        ; implicit-def: $vgpr101_vgpr102
	s_and_saveexec_b64 s[6:7], s[2:3]
	s_xor_b64 s[2:3], exec, s[6:7]
                                        ; implicit-def: $vgpr103_vgpr104
	s_cbranch_execz .LBB81_176
; %bb.175:
	v_div_scale_f64 v[101:102], s[6:7], v[99:100], v[99:100], v[97:98]
	v_rcp_f64_e32 v[103:104], v[101:102]
	v_fma_f64 v[105:106], -v[101:102], v[103:104], 1.0
	v_fma_f64 v[103:104], v[103:104], v[105:106], v[103:104]
	v_div_scale_f64 v[105:106], vcc, v[97:98], v[99:100], v[97:98]
	v_fma_f64 v[107:108], -v[101:102], v[103:104], 1.0
	v_fma_f64 v[103:104], v[103:104], v[107:108], v[103:104]
	v_mul_f64 v[107:108], v[105:106], v[103:104]
	v_fma_f64 v[101:102], -v[101:102], v[107:108], v[105:106]
	v_div_fmas_f64 v[101:102], v[101:102], v[103:104], v[107:108]
	v_div_fixup_f64 v[101:102], v[101:102], v[99:100], v[97:98]
	v_fma_f64 v[97:98], v[97:98], v[101:102], v[99:100]
	v_div_scale_f64 v[99:100], s[6:7], v[97:98], v[97:98], 1.0
	v_div_scale_f64 v[107:108], vcc, 1.0, v[97:98], 1.0
	v_rcp_f64_e32 v[103:104], v[99:100]
	v_fma_f64 v[105:106], -v[99:100], v[103:104], 1.0
	v_fma_f64 v[103:104], v[103:104], v[105:106], v[103:104]
	v_fma_f64 v[105:106], -v[99:100], v[103:104], 1.0
	v_fma_f64 v[103:104], v[103:104], v[105:106], v[103:104]
	v_mul_f64 v[105:106], v[107:108], v[103:104]
	v_fma_f64 v[99:100], -v[99:100], v[105:106], v[107:108]
	v_div_fmas_f64 v[99:100], v[99:100], v[103:104], v[105:106]
	v_div_fixup_f64 v[103:104], v[99:100], v[97:98], 1.0
                                        ; implicit-def: $vgpr97_vgpr98
	v_mul_f64 v[101:102], v[101:102], v[103:104]
	v_xor_b32_e32 v104, 0x80000000, v104
.LBB81_176:
	s_andn2_saveexec_b64 s[2:3], s[2:3]
	s_cbranch_execz .LBB81_178
; %bb.177:
	v_div_scale_f64 v[101:102], s[6:7], v[97:98], v[97:98], v[99:100]
	v_rcp_f64_e32 v[103:104], v[101:102]
	v_fma_f64 v[105:106], -v[101:102], v[103:104], 1.0
	v_fma_f64 v[103:104], v[103:104], v[105:106], v[103:104]
	v_div_scale_f64 v[105:106], vcc, v[99:100], v[97:98], v[99:100]
	v_fma_f64 v[107:108], -v[101:102], v[103:104], 1.0
	v_fma_f64 v[103:104], v[103:104], v[107:108], v[103:104]
	v_mul_f64 v[107:108], v[105:106], v[103:104]
	v_fma_f64 v[101:102], -v[101:102], v[107:108], v[105:106]
	v_div_fmas_f64 v[101:102], v[101:102], v[103:104], v[107:108]
	v_div_fixup_f64 v[103:104], v[101:102], v[97:98], v[99:100]
	v_fma_f64 v[97:98], v[99:100], v[103:104], v[97:98]
	v_div_scale_f64 v[99:100], s[6:7], v[97:98], v[97:98], 1.0
	v_div_scale_f64 v[107:108], vcc, 1.0, v[97:98], 1.0
	v_rcp_f64_e32 v[101:102], v[99:100]
	v_fma_f64 v[105:106], -v[99:100], v[101:102], 1.0
	v_fma_f64 v[101:102], v[101:102], v[105:106], v[101:102]
	v_fma_f64 v[105:106], -v[99:100], v[101:102], 1.0
	v_fma_f64 v[101:102], v[101:102], v[105:106], v[101:102]
	v_mul_f64 v[105:106], v[107:108], v[101:102]
	v_fma_f64 v[99:100], -v[99:100], v[105:106], v[107:108]
	v_div_fmas_f64 v[99:100], v[99:100], v[101:102], v[105:106]
	v_div_fixup_f64 v[101:102], v[99:100], v[97:98], 1.0
	v_mul_f64 v[103:104], v[103:104], -v[101:102]
.LBB81_178:
	s_or_b64 exec, exec, s[2:3]
	ds_write2_b64 v127, v[101:102], v[103:104] offset1:1
.LBB81_179:
	s_or_b64 exec, exec, s[4:5]
	s_waitcnt vmcnt(0) lgkmcnt(0)
	s_barrier
	ds_read2_b64 v[85:88], v127 offset1:1
	v_cmp_lt_u32_e32 vcc, 19, v0
	s_and_saveexec_b64 s[2:3], vcc
	s_cbranch_execz .LBB81_181
; %bb.180:
	ds_read2_b64 v[99:102], v125 offset0:40 offset1:41
	buffer_load_dword v77, off, s[20:23], 0 ; 4-byte Folded Reload
	buffer_load_dword v78, off, s[20:23], 0 offset:4 ; 4-byte Folded Reload
	buffer_load_dword v79, off, s[20:23], 0 offset:8 ; 4-byte Folded Reload
	;; [unrolled: 1-line block ×3, first 2 shown]
	s_waitcnt lgkmcnt(1)
	v_mul_f64 v[83:84], v[85:86], v[95:96]
	v_mul_f64 v[97:98], v[87:88], v[95:96]
	v_fma_f64 v[95:96], v[87:88], v[93:94], v[83:84]
	v_fma_f64 v[97:98], v[85:86], v[93:94], -v[97:98]
	s_waitcnt lgkmcnt(0)
	v_mul_f64 v[81:82], v[101:102], v[95:96]
	v_mov_b32_e32 v93, v97
	v_mov_b32_e32 v94, v98
	v_fma_f64 v[81:82], v[99:100], v[97:98], -v[81:82]
	v_mul_f64 v[99:100], v[99:100], v[95:96]
	v_fma_f64 v[99:100], v[101:102], v[97:98], v[99:100]
	s_waitcnt vmcnt(2)
	v_add_f64 v[77:78], v[77:78], -v[81:82]
	s_waitcnt vmcnt(0)
	v_add_f64 v[79:80], v[79:80], -v[99:100]
	buffer_store_dword v77, off, s[20:23], 0 ; 4-byte Folded Spill
	s_nop 0
	buffer_store_dword v78, off, s[20:23], 0 offset:4 ; 4-byte Folded Spill
	buffer_store_dword v79, off, s[20:23], 0 offset:8 ; 4-byte Folded Spill
	;; [unrolled: 1-line block ×3, first 2 shown]
	ds_read2_b64 v[99:102], v125 offset0:42 offset1:43
	s_waitcnt lgkmcnt(0)
	v_mul_f64 v[81:82], v[101:102], v[95:96]
	v_fma_f64 v[81:82], v[99:100], v[97:98], -v[81:82]
	v_mul_f64 v[99:100], v[99:100], v[95:96]
	v_add_f64 v[73:74], v[73:74], -v[81:82]
	v_fma_f64 v[99:100], v[101:102], v[97:98], v[99:100]
	v_add_f64 v[75:76], v[75:76], -v[99:100]
	ds_read2_b64 v[99:102], v125 offset0:44 offset1:45
	s_waitcnt lgkmcnt(0)
	v_mul_f64 v[81:82], v[101:102], v[95:96]
	v_fma_f64 v[81:82], v[99:100], v[97:98], -v[81:82]
	v_mul_f64 v[99:100], v[99:100], v[95:96]
	v_add_f64 v[69:70], v[69:70], -v[81:82]
	v_fma_f64 v[99:100], v[101:102], v[97:98], v[99:100]
	v_add_f64 v[71:72], v[71:72], -v[99:100]
	;; [unrolled: 8-line block ×19, first 2 shown]
	ds_read2_b64 v[99:102], v125 offset0:80 offset1:81
	buffer_load_dword v77, off, s[20:23], 0 offset:16 ; 4-byte Folded Reload
	buffer_load_dword v78, off, s[20:23], 0 offset:20 ; 4-byte Folded Reload
	;; [unrolled: 1-line block ×4, first 2 shown]
	s_waitcnt lgkmcnt(0)
	v_mul_f64 v[81:82], v[101:102], v[95:96]
	v_fma_f64 v[81:82], v[99:100], v[97:98], -v[81:82]
	v_mul_f64 v[99:100], v[99:100], v[95:96]
	v_fma_f64 v[99:100], v[101:102], v[97:98], v[99:100]
	s_waitcnt vmcnt(2)
	v_add_f64 v[77:78], v[77:78], -v[81:82]
	buffer_store_dword v77, off, s[20:23], 0 offset:16 ; 4-byte Folded Spill
	s_nop 0
	buffer_store_dword v78, off, s[20:23], 0 offset:20 ; 4-byte Folded Spill
	s_waitcnt vmcnt(3)
	buffer_store_dword v79, off, s[20:23], 0 offset:24 ; 4-byte Folded Spill
	s_waitcnt vmcnt(3)
	buffer_store_dword v80, off, s[20:23], 0 offset:28 ; 4-byte Folded Spill
	buffer_load_dword v81, off, s[20:23], 0 offset:16 ; 4-byte Folded Reload
	buffer_load_dword v82, off, s[20:23], 0 offset:20 ; 4-byte Folded Reload
	;; [unrolled: 1-line block ×4, first 2 shown]
	s_waitcnt vmcnt(0)
	v_add_f64 v[83:84], v[83:84], -v[99:100]
.LBB81_181:
	s_or_b64 exec, exec, s[2:3]
	v_cmp_eq_u32_e32 vcc, 20, v0
	s_waitcnt lgkmcnt(0)
	s_barrier
	s_and_saveexec_b64 s[4:5], vcc
	s_cbranch_execz .LBB81_188
; %bb.182:
	buffer_load_dword v77, off, s[20:23], 0 ; 4-byte Folded Reload
	buffer_load_dword v78, off, s[20:23], 0 offset:4 ; 4-byte Folded Reload
	buffer_load_dword v79, off, s[20:23], 0 offset:8 ; 4-byte Folded Reload
	;; [unrolled: 1-line block ×3, first 2 shown]
	s_waitcnt vmcnt(0)
	ds_write2_b64 v127, v[77:78], v[79:80] offset1:1
	ds_write2_b64 v125, v[73:74], v[75:76] offset0:42 offset1:43
	ds_write2_b64 v125, v[69:70], v[71:72] offset0:44 offset1:45
	;; [unrolled: 1-line block ×20, first 2 shown]
	ds_read2_b64 v[97:100], v127 offset1:1
	s_waitcnt lgkmcnt(0)
	v_cmp_neq_f64_e32 vcc, 0, v[97:98]
	v_cmp_neq_f64_e64 s[2:3], 0, v[99:100]
	s_or_b64 s[2:3], vcc, s[2:3]
	s_and_b64 exec, exec, s[2:3]
	s_cbranch_execz .LBB81_188
; %bb.183:
	v_cmp_ngt_f64_e64 s[2:3], |v[97:98]|, |v[99:100]|
                                        ; implicit-def: $vgpr101_vgpr102
	s_and_saveexec_b64 s[6:7], s[2:3]
	s_xor_b64 s[2:3], exec, s[6:7]
                                        ; implicit-def: $vgpr103_vgpr104
	s_cbranch_execz .LBB81_185
; %bb.184:
	v_div_scale_f64 v[101:102], s[6:7], v[99:100], v[99:100], v[97:98]
	v_rcp_f64_e32 v[103:104], v[101:102]
	v_fma_f64 v[105:106], -v[101:102], v[103:104], 1.0
	v_fma_f64 v[103:104], v[103:104], v[105:106], v[103:104]
	v_div_scale_f64 v[105:106], vcc, v[97:98], v[99:100], v[97:98]
	v_fma_f64 v[107:108], -v[101:102], v[103:104], 1.0
	v_fma_f64 v[103:104], v[103:104], v[107:108], v[103:104]
	v_mul_f64 v[107:108], v[105:106], v[103:104]
	v_fma_f64 v[101:102], -v[101:102], v[107:108], v[105:106]
	v_div_fmas_f64 v[101:102], v[101:102], v[103:104], v[107:108]
	v_div_fixup_f64 v[101:102], v[101:102], v[99:100], v[97:98]
	v_fma_f64 v[97:98], v[97:98], v[101:102], v[99:100]
	v_div_scale_f64 v[99:100], s[6:7], v[97:98], v[97:98], 1.0
	v_div_scale_f64 v[107:108], vcc, 1.0, v[97:98], 1.0
	v_rcp_f64_e32 v[103:104], v[99:100]
	v_fma_f64 v[105:106], -v[99:100], v[103:104], 1.0
	v_fma_f64 v[103:104], v[103:104], v[105:106], v[103:104]
	v_fma_f64 v[105:106], -v[99:100], v[103:104], 1.0
	v_fma_f64 v[103:104], v[103:104], v[105:106], v[103:104]
	v_mul_f64 v[105:106], v[107:108], v[103:104]
	v_fma_f64 v[99:100], -v[99:100], v[105:106], v[107:108]
	v_div_fmas_f64 v[99:100], v[99:100], v[103:104], v[105:106]
	v_div_fixup_f64 v[103:104], v[99:100], v[97:98], 1.0
                                        ; implicit-def: $vgpr97_vgpr98
	v_mul_f64 v[101:102], v[101:102], v[103:104]
	v_xor_b32_e32 v104, 0x80000000, v104
.LBB81_185:
	s_andn2_saveexec_b64 s[2:3], s[2:3]
	s_cbranch_execz .LBB81_187
; %bb.186:
	v_div_scale_f64 v[101:102], s[6:7], v[97:98], v[97:98], v[99:100]
	v_rcp_f64_e32 v[103:104], v[101:102]
	v_fma_f64 v[105:106], -v[101:102], v[103:104], 1.0
	v_fma_f64 v[103:104], v[103:104], v[105:106], v[103:104]
	v_div_scale_f64 v[105:106], vcc, v[99:100], v[97:98], v[99:100]
	v_fma_f64 v[107:108], -v[101:102], v[103:104], 1.0
	v_fma_f64 v[103:104], v[103:104], v[107:108], v[103:104]
	v_mul_f64 v[107:108], v[105:106], v[103:104]
	v_fma_f64 v[101:102], -v[101:102], v[107:108], v[105:106]
	v_div_fmas_f64 v[101:102], v[101:102], v[103:104], v[107:108]
	v_div_fixup_f64 v[103:104], v[101:102], v[97:98], v[99:100]
	v_fma_f64 v[97:98], v[99:100], v[103:104], v[97:98]
	v_div_scale_f64 v[99:100], s[6:7], v[97:98], v[97:98], 1.0
	v_div_scale_f64 v[107:108], vcc, 1.0, v[97:98], 1.0
	v_rcp_f64_e32 v[101:102], v[99:100]
	v_fma_f64 v[105:106], -v[99:100], v[101:102], 1.0
	v_fma_f64 v[101:102], v[101:102], v[105:106], v[101:102]
	v_fma_f64 v[105:106], -v[99:100], v[101:102], 1.0
	v_fma_f64 v[101:102], v[101:102], v[105:106], v[101:102]
	v_mul_f64 v[105:106], v[107:108], v[101:102]
	v_fma_f64 v[99:100], -v[99:100], v[105:106], v[107:108]
	v_div_fmas_f64 v[99:100], v[99:100], v[101:102], v[105:106]
	v_div_fixup_f64 v[101:102], v[99:100], v[97:98], 1.0
	v_mul_f64 v[103:104], v[103:104], -v[101:102]
.LBB81_187:
	s_or_b64 exec, exec, s[2:3]
	ds_write2_b64 v127, v[101:102], v[103:104] offset1:1
.LBB81_188:
	s_or_b64 exec, exec, s[4:5]
	s_waitcnt lgkmcnt(0)
	s_barrier
	ds_read2_b64 v[77:80], v127 offset1:1
	v_cmp_lt_u32_e32 vcc, 20, v0
	s_waitcnt lgkmcnt(0)
	buffer_store_dword v77, off, s[20:23], 0 offset:1040 ; 4-byte Folded Spill
	s_nop 0
	buffer_store_dword v78, off, s[20:23], 0 offset:1044 ; 4-byte Folded Spill
	buffer_store_dword v79, off, s[20:23], 0 offset:1048 ; 4-byte Folded Spill
	;; [unrolled: 1-line block ×3, first 2 shown]
	s_and_saveexec_b64 s[2:3], vcc
	s_cbranch_execz .LBB81_190
; %bb.189:
	buffer_load_dword v77, off, s[20:23], 0 ; 4-byte Folded Reload
	buffer_load_dword v78, off, s[20:23], 0 offset:4 ; 4-byte Folded Reload
	buffer_load_dword v79, off, s[20:23], 0 offset:8 ; 4-byte Folded Reload
	;; [unrolled: 1-line block ×7, first 2 shown]
	s_waitcnt vmcnt(0)
	v_mul_f64 v[97:98], v[101:102], v[79:80]
	v_mul_f64 v[79:80], v[99:100], v[79:80]
	v_fma_f64 v[97:98], v[99:100], v[77:78], -v[97:98]
	v_fma_f64 v[79:80], v[101:102], v[77:78], v[79:80]
	ds_read2_b64 v[99:102], v125 offset0:42 offset1:43
	s_waitcnt lgkmcnt(0)
	v_mul_f64 v[77:78], v[101:102], v[79:80]
	v_fma_f64 v[77:78], v[99:100], v[97:98], -v[77:78]
	v_mul_f64 v[99:100], v[99:100], v[79:80]
	v_add_f64 v[73:74], v[73:74], -v[77:78]
	v_fma_f64 v[99:100], v[101:102], v[97:98], v[99:100]
	v_add_f64 v[75:76], v[75:76], -v[99:100]
	ds_read2_b64 v[99:102], v125 offset0:44 offset1:45
	s_waitcnt lgkmcnt(0)
	v_mul_f64 v[77:78], v[101:102], v[79:80]
	v_fma_f64 v[77:78], v[99:100], v[97:98], -v[77:78]
	v_mul_f64 v[99:100], v[99:100], v[79:80]
	v_add_f64 v[69:70], v[69:70], -v[77:78]
	v_fma_f64 v[99:100], v[101:102], v[97:98], v[99:100]
	v_add_f64 v[71:72], v[71:72], -v[99:100]
	;; [unrolled: 8-line block ×19, first 2 shown]
	ds_read2_b64 v[99:102], v125 offset0:80 offset1:81
	s_waitcnt lgkmcnt(0)
	v_mul_f64 v[77:78], v[101:102], v[79:80]
	v_fma_f64 v[77:78], v[99:100], v[97:98], -v[77:78]
	v_mul_f64 v[99:100], v[99:100], v[79:80]
	v_add_f64 v[81:82], v[81:82], -v[77:78]
	v_fma_f64 v[99:100], v[101:102], v[97:98], v[99:100]
	v_mov_b32_e32 v77, v97
	v_mov_b32_e32 v78, v98
	buffer_store_dword v77, off, s[20:23], 0 ; 4-byte Folded Spill
	s_nop 0
	buffer_store_dword v78, off, s[20:23], 0 offset:4 ; 4-byte Folded Spill
	buffer_store_dword v79, off, s[20:23], 0 offset:8 ; 4-byte Folded Spill
	;; [unrolled: 1-line block ×3, first 2 shown]
	v_add_f64 v[83:84], v[83:84], -v[99:100]
.LBB81_190:
	s_or_b64 exec, exec, s[2:3]
	v_cmp_eq_u32_e32 vcc, 21, v0
	s_waitcnt vmcnt(0)
	s_barrier
	s_and_saveexec_b64 s[4:5], vcc
	s_cbranch_execz .LBB81_197
; %bb.191:
	ds_write2_b64 v127, v[73:74], v[75:76] offset1:1
	ds_write2_b64 v125, v[69:70], v[71:72] offset0:44 offset1:45
	ds_write2_b64 v125, v[65:66], v[67:68] offset0:46 offset1:47
	ds_write2_b64 v125, v[61:62], v[63:64] offset0:48 offset1:49
	ds_write2_b64 v125, v[57:58], v[59:60] offset0:50 offset1:51
	ds_write2_b64 v125, v[53:54], v[55:56] offset0:52 offset1:53
	ds_write2_b64 v125, v[49:50], v[51:52] offset0:54 offset1:55
	ds_write2_b64 v125, v[45:46], v[47:48] offset0:56 offset1:57
	ds_write2_b64 v125, v[41:42], v[43:44] offset0:58 offset1:59
	ds_write2_b64 v125, v[37:38], v[39:40] offset0:60 offset1:61
	ds_write2_b64 v125, v[33:34], v[35:36] offset0:62 offset1:63
	ds_write2_b64 v125, v[29:30], v[31:32] offset0:64 offset1:65
	ds_write2_b64 v125, v[25:26], v[27:28] offset0:66 offset1:67
	ds_write2_b64 v125, v[21:22], v[23:24] offset0:68 offset1:69
	ds_write2_b64 v125, v[17:18], v[19:20] offset0:70 offset1:71
	ds_write2_b64 v125, v[13:14], v[15:16] offset0:72 offset1:73
	ds_write2_b64 v125, v[9:10], v[11:12] offset0:74 offset1:75
	ds_write2_b64 v125, v[5:6], v[7:8] offset0:76 offset1:77
	ds_write2_b64 v125, v[1:2], v[3:4] offset0:78 offset1:79
	ds_write2_b64 v125, v[81:82], v[83:84] offset0:80 offset1:81
	ds_read2_b64 v[97:100], v127 offset1:1
	s_waitcnt lgkmcnt(0)
	v_cmp_neq_f64_e32 vcc, 0, v[97:98]
	v_cmp_neq_f64_e64 s[2:3], 0, v[99:100]
	s_or_b64 s[2:3], vcc, s[2:3]
	s_and_b64 exec, exec, s[2:3]
	s_cbranch_execz .LBB81_197
; %bb.192:
	v_cmp_ngt_f64_e64 s[2:3], |v[97:98]|, |v[99:100]|
                                        ; implicit-def: $vgpr101_vgpr102
	s_and_saveexec_b64 s[6:7], s[2:3]
	s_xor_b64 s[2:3], exec, s[6:7]
                                        ; implicit-def: $vgpr103_vgpr104
	s_cbranch_execz .LBB81_194
; %bb.193:
	v_div_scale_f64 v[101:102], s[6:7], v[99:100], v[99:100], v[97:98]
	v_rcp_f64_e32 v[103:104], v[101:102]
	v_fma_f64 v[105:106], -v[101:102], v[103:104], 1.0
	v_fma_f64 v[103:104], v[103:104], v[105:106], v[103:104]
	v_div_scale_f64 v[105:106], vcc, v[97:98], v[99:100], v[97:98]
	v_fma_f64 v[107:108], -v[101:102], v[103:104], 1.0
	v_fma_f64 v[103:104], v[103:104], v[107:108], v[103:104]
	v_mul_f64 v[107:108], v[105:106], v[103:104]
	v_fma_f64 v[101:102], -v[101:102], v[107:108], v[105:106]
	v_div_fmas_f64 v[101:102], v[101:102], v[103:104], v[107:108]
	v_div_fixup_f64 v[101:102], v[101:102], v[99:100], v[97:98]
	v_fma_f64 v[97:98], v[97:98], v[101:102], v[99:100]
	v_div_scale_f64 v[99:100], s[6:7], v[97:98], v[97:98], 1.0
	v_div_scale_f64 v[107:108], vcc, 1.0, v[97:98], 1.0
	v_rcp_f64_e32 v[103:104], v[99:100]
	v_fma_f64 v[105:106], -v[99:100], v[103:104], 1.0
	v_fma_f64 v[103:104], v[103:104], v[105:106], v[103:104]
	v_fma_f64 v[105:106], -v[99:100], v[103:104], 1.0
	v_fma_f64 v[103:104], v[103:104], v[105:106], v[103:104]
	v_mul_f64 v[105:106], v[107:108], v[103:104]
	v_fma_f64 v[99:100], -v[99:100], v[105:106], v[107:108]
	v_div_fmas_f64 v[99:100], v[99:100], v[103:104], v[105:106]
	v_div_fixup_f64 v[103:104], v[99:100], v[97:98], 1.0
                                        ; implicit-def: $vgpr97_vgpr98
	v_mul_f64 v[101:102], v[101:102], v[103:104]
	v_xor_b32_e32 v104, 0x80000000, v104
.LBB81_194:
	s_andn2_saveexec_b64 s[2:3], s[2:3]
	s_cbranch_execz .LBB81_196
; %bb.195:
	v_div_scale_f64 v[101:102], s[6:7], v[97:98], v[97:98], v[99:100]
	v_rcp_f64_e32 v[103:104], v[101:102]
	v_fma_f64 v[105:106], -v[101:102], v[103:104], 1.0
	v_fma_f64 v[103:104], v[103:104], v[105:106], v[103:104]
	v_div_scale_f64 v[105:106], vcc, v[99:100], v[97:98], v[99:100]
	v_fma_f64 v[107:108], -v[101:102], v[103:104], 1.0
	v_fma_f64 v[103:104], v[103:104], v[107:108], v[103:104]
	v_mul_f64 v[107:108], v[105:106], v[103:104]
	v_fma_f64 v[101:102], -v[101:102], v[107:108], v[105:106]
	v_div_fmas_f64 v[101:102], v[101:102], v[103:104], v[107:108]
	v_div_fixup_f64 v[103:104], v[101:102], v[97:98], v[99:100]
	v_fma_f64 v[97:98], v[99:100], v[103:104], v[97:98]
	v_div_scale_f64 v[99:100], s[6:7], v[97:98], v[97:98], 1.0
	v_div_scale_f64 v[107:108], vcc, 1.0, v[97:98], 1.0
	v_rcp_f64_e32 v[101:102], v[99:100]
	v_fma_f64 v[105:106], -v[99:100], v[101:102], 1.0
	v_fma_f64 v[101:102], v[101:102], v[105:106], v[101:102]
	v_fma_f64 v[105:106], -v[99:100], v[101:102], 1.0
	v_fma_f64 v[101:102], v[101:102], v[105:106], v[101:102]
	v_mul_f64 v[105:106], v[107:108], v[101:102]
	v_fma_f64 v[99:100], -v[99:100], v[105:106], v[107:108]
	v_div_fmas_f64 v[99:100], v[99:100], v[101:102], v[105:106]
	v_div_fixup_f64 v[101:102], v[99:100], v[97:98], 1.0
	v_mul_f64 v[103:104], v[103:104], -v[101:102]
.LBB81_196:
	s_or_b64 exec, exec, s[2:3]
	ds_write2_b64 v127, v[101:102], v[103:104] offset1:1
.LBB81_197:
	s_or_b64 exec, exec, s[4:5]
	s_waitcnt lgkmcnt(0)
	s_barrier
	ds_read2_b64 v[77:80], v127 offset1:1
	v_cmp_lt_u32_e32 vcc, 21, v0
	s_waitcnt lgkmcnt(0)
	buffer_store_dword v77, off, s[20:23], 0 offset:1056 ; 4-byte Folded Spill
	s_nop 0
	buffer_store_dword v78, off, s[20:23], 0 offset:1060 ; 4-byte Folded Spill
	buffer_store_dword v79, off, s[20:23], 0 offset:1064 ; 4-byte Folded Spill
	;; [unrolled: 1-line block ×3, first 2 shown]
	s_and_saveexec_b64 s[2:3], vcc
	s_cbranch_execz .LBB81_199
; %bb.198:
	buffer_load_dword v77, off, s[20:23], 0 offset:1056 ; 4-byte Folded Reload
	buffer_load_dword v78, off, s[20:23], 0 offset:1060 ; 4-byte Folded Reload
	;; [unrolled: 1-line block ×4, first 2 shown]
	ds_read2_b64 v[99:102], v125 offset0:44 offset1:45
	s_waitcnt vmcnt(0)
	v_mul_f64 v[97:98], v[79:80], v[75:76]
	v_mul_f64 v[75:76], v[77:78], v[75:76]
	v_fma_f64 v[97:98], v[77:78], v[73:74], -v[97:98]
	v_fma_f64 v[75:76], v[79:80], v[73:74], v[75:76]
	s_waitcnt lgkmcnt(0)
	v_mul_f64 v[73:74], v[101:102], v[75:76]
	v_fma_f64 v[73:74], v[99:100], v[97:98], -v[73:74]
	v_mul_f64 v[99:100], v[99:100], v[75:76]
	v_add_f64 v[69:70], v[69:70], -v[73:74]
	v_fma_f64 v[99:100], v[101:102], v[97:98], v[99:100]
	v_add_f64 v[71:72], v[71:72], -v[99:100]
	ds_read2_b64 v[99:102], v125 offset0:46 offset1:47
	s_waitcnt lgkmcnt(0)
	v_mul_f64 v[73:74], v[101:102], v[75:76]
	v_fma_f64 v[73:74], v[99:100], v[97:98], -v[73:74]
	v_mul_f64 v[99:100], v[99:100], v[75:76]
	v_add_f64 v[65:66], v[65:66], -v[73:74]
	v_fma_f64 v[99:100], v[101:102], v[97:98], v[99:100]
	v_add_f64 v[67:68], v[67:68], -v[99:100]
	ds_read2_b64 v[99:102], v125 offset0:48 offset1:49
	;; [unrolled: 8-line block ×18, first 2 shown]
	s_waitcnt lgkmcnt(0)
	v_mul_f64 v[73:74], v[101:102], v[75:76]
	v_fma_f64 v[73:74], v[99:100], v[97:98], -v[73:74]
	v_mul_f64 v[99:100], v[99:100], v[75:76]
	v_add_f64 v[81:82], v[81:82], -v[73:74]
	v_fma_f64 v[99:100], v[101:102], v[97:98], v[99:100]
	v_mov_b32_e32 v73, v97
	v_mov_b32_e32 v74, v98
	v_add_f64 v[83:84], v[83:84], -v[99:100]
.LBB81_199:
	s_or_b64 exec, exec, s[2:3]
	v_cmp_eq_u32_e32 vcc, 22, v0
	s_waitcnt vmcnt(0)
	s_barrier
	s_and_saveexec_b64 s[4:5], vcc
	s_cbranch_execz .LBB81_206
; %bb.200:
	ds_write2_b64 v127, v[69:70], v[71:72] offset1:1
	ds_write2_b64 v125, v[65:66], v[67:68] offset0:46 offset1:47
	ds_write2_b64 v125, v[61:62], v[63:64] offset0:48 offset1:49
	;; [unrolled: 1-line block ×18, first 2 shown]
	ds_read2_b64 v[97:100], v127 offset1:1
	s_waitcnt lgkmcnt(0)
	v_cmp_neq_f64_e32 vcc, 0, v[97:98]
	v_cmp_neq_f64_e64 s[2:3], 0, v[99:100]
	s_or_b64 s[2:3], vcc, s[2:3]
	s_and_b64 exec, exec, s[2:3]
	s_cbranch_execz .LBB81_206
; %bb.201:
	v_cmp_ngt_f64_e64 s[2:3], |v[97:98]|, |v[99:100]|
                                        ; implicit-def: $vgpr101_vgpr102
	s_and_saveexec_b64 s[6:7], s[2:3]
	s_xor_b64 s[2:3], exec, s[6:7]
                                        ; implicit-def: $vgpr103_vgpr104
	s_cbranch_execz .LBB81_203
; %bb.202:
	v_div_scale_f64 v[101:102], s[6:7], v[99:100], v[99:100], v[97:98]
	v_rcp_f64_e32 v[103:104], v[101:102]
	v_fma_f64 v[105:106], -v[101:102], v[103:104], 1.0
	v_fma_f64 v[103:104], v[103:104], v[105:106], v[103:104]
	v_div_scale_f64 v[105:106], vcc, v[97:98], v[99:100], v[97:98]
	v_fma_f64 v[107:108], -v[101:102], v[103:104], 1.0
	v_fma_f64 v[103:104], v[103:104], v[107:108], v[103:104]
	v_mul_f64 v[107:108], v[105:106], v[103:104]
	v_fma_f64 v[101:102], -v[101:102], v[107:108], v[105:106]
	v_div_fmas_f64 v[101:102], v[101:102], v[103:104], v[107:108]
	v_div_fixup_f64 v[101:102], v[101:102], v[99:100], v[97:98]
	v_fma_f64 v[97:98], v[97:98], v[101:102], v[99:100]
	v_div_scale_f64 v[99:100], s[6:7], v[97:98], v[97:98], 1.0
	v_div_scale_f64 v[107:108], vcc, 1.0, v[97:98], 1.0
	v_rcp_f64_e32 v[103:104], v[99:100]
	v_fma_f64 v[105:106], -v[99:100], v[103:104], 1.0
	v_fma_f64 v[103:104], v[103:104], v[105:106], v[103:104]
	v_fma_f64 v[105:106], -v[99:100], v[103:104], 1.0
	v_fma_f64 v[103:104], v[103:104], v[105:106], v[103:104]
	v_mul_f64 v[105:106], v[107:108], v[103:104]
	v_fma_f64 v[99:100], -v[99:100], v[105:106], v[107:108]
	v_div_fmas_f64 v[99:100], v[99:100], v[103:104], v[105:106]
	v_div_fixup_f64 v[103:104], v[99:100], v[97:98], 1.0
                                        ; implicit-def: $vgpr97_vgpr98
	v_mul_f64 v[101:102], v[101:102], v[103:104]
	v_xor_b32_e32 v104, 0x80000000, v104
.LBB81_203:
	s_andn2_saveexec_b64 s[2:3], s[2:3]
	s_cbranch_execz .LBB81_205
; %bb.204:
	v_div_scale_f64 v[101:102], s[6:7], v[97:98], v[97:98], v[99:100]
	v_rcp_f64_e32 v[103:104], v[101:102]
	v_fma_f64 v[105:106], -v[101:102], v[103:104], 1.0
	v_fma_f64 v[103:104], v[103:104], v[105:106], v[103:104]
	v_div_scale_f64 v[105:106], vcc, v[99:100], v[97:98], v[99:100]
	v_fma_f64 v[107:108], -v[101:102], v[103:104], 1.0
	v_fma_f64 v[103:104], v[103:104], v[107:108], v[103:104]
	v_mul_f64 v[107:108], v[105:106], v[103:104]
	v_fma_f64 v[101:102], -v[101:102], v[107:108], v[105:106]
	v_div_fmas_f64 v[101:102], v[101:102], v[103:104], v[107:108]
	v_div_fixup_f64 v[103:104], v[101:102], v[97:98], v[99:100]
	v_fma_f64 v[97:98], v[99:100], v[103:104], v[97:98]
	v_div_scale_f64 v[99:100], s[6:7], v[97:98], v[97:98], 1.0
	v_div_scale_f64 v[107:108], vcc, 1.0, v[97:98], 1.0
	v_rcp_f64_e32 v[101:102], v[99:100]
	v_fma_f64 v[105:106], -v[99:100], v[101:102], 1.0
	v_fma_f64 v[101:102], v[101:102], v[105:106], v[101:102]
	v_fma_f64 v[105:106], -v[99:100], v[101:102], 1.0
	v_fma_f64 v[101:102], v[101:102], v[105:106], v[101:102]
	v_mul_f64 v[105:106], v[107:108], v[101:102]
	v_fma_f64 v[99:100], -v[99:100], v[105:106], v[107:108]
	v_div_fmas_f64 v[99:100], v[99:100], v[101:102], v[105:106]
	v_div_fixup_f64 v[101:102], v[99:100], v[97:98], 1.0
	v_mul_f64 v[103:104], v[103:104], -v[101:102]
.LBB81_205:
	s_or_b64 exec, exec, s[2:3]
	ds_write2_b64 v127, v[101:102], v[103:104] offset1:1
.LBB81_206:
	s_or_b64 exec, exec, s[4:5]
	s_waitcnt lgkmcnt(0)
	s_barrier
	ds_read2_b64 v[77:80], v127 offset1:1
	v_cmp_lt_u32_e32 vcc, 22, v0
	s_waitcnt lgkmcnt(0)
	buffer_store_dword v77, off, s[20:23], 0 offset:1072 ; 4-byte Folded Spill
	s_nop 0
	buffer_store_dword v78, off, s[20:23], 0 offset:1076 ; 4-byte Folded Spill
	buffer_store_dword v79, off, s[20:23], 0 offset:1080 ; 4-byte Folded Spill
	;; [unrolled: 1-line block ×3, first 2 shown]
	s_and_saveexec_b64 s[2:3], vcc
	s_cbranch_execz .LBB81_208
; %bb.207:
	buffer_load_dword v77, off, s[20:23], 0 offset:1072 ; 4-byte Folded Reload
	buffer_load_dword v78, off, s[20:23], 0 offset:1076 ; 4-byte Folded Reload
	;; [unrolled: 1-line block ×4, first 2 shown]
	ds_read2_b64 v[99:102], v125 offset0:46 offset1:47
	s_waitcnt vmcnt(0)
	v_mul_f64 v[97:98], v[79:80], v[71:72]
	v_mul_f64 v[71:72], v[77:78], v[71:72]
	v_fma_f64 v[97:98], v[77:78], v[69:70], -v[97:98]
	v_fma_f64 v[71:72], v[79:80], v[69:70], v[71:72]
	s_waitcnt lgkmcnt(0)
	v_mul_f64 v[69:70], v[101:102], v[71:72]
	v_fma_f64 v[69:70], v[99:100], v[97:98], -v[69:70]
	v_mul_f64 v[99:100], v[99:100], v[71:72]
	v_add_f64 v[65:66], v[65:66], -v[69:70]
	v_fma_f64 v[99:100], v[101:102], v[97:98], v[99:100]
	v_add_f64 v[67:68], v[67:68], -v[99:100]
	ds_read2_b64 v[99:102], v125 offset0:48 offset1:49
	s_waitcnt lgkmcnt(0)
	v_mul_f64 v[69:70], v[101:102], v[71:72]
	v_fma_f64 v[69:70], v[99:100], v[97:98], -v[69:70]
	v_mul_f64 v[99:100], v[99:100], v[71:72]
	v_add_f64 v[61:62], v[61:62], -v[69:70]
	v_fma_f64 v[99:100], v[101:102], v[97:98], v[99:100]
	v_add_f64 v[63:64], v[63:64], -v[99:100]
	ds_read2_b64 v[99:102], v125 offset0:50 offset1:51
	;; [unrolled: 8-line block ×17, first 2 shown]
	s_waitcnt lgkmcnt(0)
	v_mul_f64 v[69:70], v[101:102], v[71:72]
	v_fma_f64 v[69:70], v[99:100], v[97:98], -v[69:70]
	v_mul_f64 v[99:100], v[99:100], v[71:72]
	v_add_f64 v[81:82], v[81:82], -v[69:70]
	v_fma_f64 v[99:100], v[101:102], v[97:98], v[99:100]
	v_mov_b32_e32 v69, v97
	v_mov_b32_e32 v70, v98
	v_add_f64 v[83:84], v[83:84], -v[99:100]
.LBB81_208:
	s_or_b64 exec, exec, s[2:3]
	v_cmp_eq_u32_e32 vcc, 23, v0
	s_waitcnt vmcnt(0)
	s_barrier
	s_and_saveexec_b64 s[4:5], vcc
	s_cbranch_execz .LBB81_215
; %bb.209:
	ds_write2_b64 v127, v[65:66], v[67:68] offset1:1
	ds_write2_b64 v125, v[61:62], v[63:64] offset0:48 offset1:49
	ds_write2_b64 v125, v[57:58], v[59:60] offset0:50 offset1:51
	;; [unrolled: 1-line block ×17, first 2 shown]
	ds_read2_b64 v[97:100], v127 offset1:1
	s_waitcnt lgkmcnt(0)
	v_cmp_neq_f64_e32 vcc, 0, v[97:98]
	v_cmp_neq_f64_e64 s[2:3], 0, v[99:100]
	s_or_b64 s[2:3], vcc, s[2:3]
	s_and_b64 exec, exec, s[2:3]
	s_cbranch_execz .LBB81_215
; %bb.210:
	v_cmp_ngt_f64_e64 s[2:3], |v[97:98]|, |v[99:100]|
                                        ; implicit-def: $vgpr101_vgpr102
	s_and_saveexec_b64 s[6:7], s[2:3]
	s_xor_b64 s[2:3], exec, s[6:7]
                                        ; implicit-def: $vgpr103_vgpr104
	s_cbranch_execz .LBB81_212
; %bb.211:
	v_div_scale_f64 v[101:102], s[6:7], v[99:100], v[99:100], v[97:98]
	v_rcp_f64_e32 v[103:104], v[101:102]
	v_fma_f64 v[105:106], -v[101:102], v[103:104], 1.0
	v_fma_f64 v[103:104], v[103:104], v[105:106], v[103:104]
	v_div_scale_f64 v[105:106], vcc, v[97:98], v[99:100], v[97:98]
	v_fma_f64 v[107:108], -v[101:102], v[103:104], 1.0
	v_fma_f64 v[103:104], v[103:104], v[107:108], v[103:104]
	v_mul_f64 v[107:108], v[105:106], v[103:104]
	v_fma_f64 v[101:102], -v[101:102], v[107:108], v[105:106]
	v_div_fmas_f64 v[101:102], v[101:102], v[103:104], v[107:108]
	v_div_fixup_f64 v[101:102], v[101:102], v[99:100], v[97:98]
	v_fma_f64 v[97:98], v[97:98], v[101:102], v[99:100]
	v_div_scale_f64 v[99:100], s[6:7], v[97:98], v[97:98], 1.0
	v_div_scale_f64 v[107:108], vcc, 1.0, v[97:98], 1.0
	v_rcp_f64_e32 v[103:104], v[99:100]
	v_fma_f64 v[105:106], -v[99:100], v[103:104], 1.0
	v_fma_f64 v[103:104], v[103:104], v[105:106], v[103:104]
	v_fma_f64 v[105:106], -v[99:100], v[103:104], 1.0
	v_fma_f64 v[103:104], v[103:104], v[105:106], v[103:104]
	v_mul_f64 v[105:106], v[107:108], v[103:104]
	v_fma_f64 v[99:100], -v[99:100], v[105:106], v[107:108]
	v_div_fmas_f64 v[99:100], v[99:100], v[103:104], v[105:106]
	v_div_fixup_f64 v[103:104], v[99:100], v[97:98], 1.0
                                        ; implicit-def: $vgpr97_vgpr98
	v_mul_f64 v[101:102], v[101:102], v[103:104]
	v_xor_b32_e32 v104, 0x80000000, v104
.LBB81_212:
	s_andn2_saveexec_b64 s[2:3], s[2:3]
	s_cbranch_execz .LBB81_214
; %bb.213:
	v_div_scale_f64 v[101:102], s[6:7], v[97:98], v[97:98], v[99:100]
	v_rcp_f64_e32 v[103:104], v[101:102]
	v_fma_f64 v[105:106], -v[101:102], v[103:104], 1.0
	v_fma_f64 v[103:104], v[103:104], v[105:106], v[103:104]
	v_div_scale_f64 v[105:106], vcc, v[99:100], v[97:98], v[99:100]
	v_fma_f64 v[107:108], -v[101:102], v[103:104], 1.0
	v_fma_f64 v[103:104], v[103:104], v[107:108], v[103:104]
	v_mul_f64 v[107:108], v[105:106], v[103:104]
	v_fma_f64 v[101:102], -v[101:102], v[107:108], v[105:106]
	v_div_fmas_f64 v[101:102], v[101:102], v[103:104], v[107:108]
	v_div_fixup_f64 v[103:104], v[101:102], v[97:98], v[99:100]
	v_fma_f64 v[97:98], v[99:100], v[103:104], v[97:98]
	v_div_scale_f64 v[99:100], s[6:7], v[97:98], v[97:98], 1.0
	v_div_scale_f64 v[107:108], vcc, 1.0, v[97:98], 1.0
	v_rcp_f64_e32 v[101:102], v[99:100]
	v_fma_f64 v[105:106], -v[99:100], v[101:102], 1.0
	v_fma_f64 v[101:102], v[101:102], v[105:106], v[101:102]
	v_fma_f64 v[105:106], -v[99:100], v[101:102], 1.0
	v_fma_f64 v[101:102], v[101:102], v[105:106], v[101:102]
	v_mul_f64 v[105:106], v[107:108], v[101:102]
	v_fma_f64 v[99:100], -v[99:100], v[105:106], v[107:108]
	v_div_fmas_f64 v[99:100], v[99:100], v[101:102], v[105:106]
	v_div_fixup_f64 v[101:102], v[99:100], v[97:98], 1.0
	v_mul_f64 v[103:104], v[103:104], -v[101:102]
.LBB81_214:
	s_or_b64 exec, exec, s[2:3]
	ds_write2_b64 v127, v[101:102], v[103:104] offset1:1
.LBB81_215:
	s_or_b64 exec, exec, s[4:5]
	s_waitcnt lgkmcnt(0)
	s_barrier
	ds_read2_b64 v[77:80], v127 offset1:1
	v_cmp_lt_u32_e32 vcc, 23, v0
	s_waitcnt lgkmcnt(0)
	buffer_store_dword v77, off, s[20:23], 0 offset:1088 ; 4-byte Folded Spill
	s_nop 0
	buffer_store_dword v78, off, s[20:23], 0 offset:1092 ; 4-byte Folded Spill
	buffer_store_dword v79, off, s[20:23], 0 offset:1096 ; 4-byte Folded Spill
	;; [unrolled: 1-line block ×3, first 2 shown]
	s_and_saveexec_b64 s[2:3], vcc
	s_cbranch_execz .LBB81_217
; %bb.216:
	buffer_load_dword v77, off, s[20:23], 0 offset:1088 ; 4-byte Folded Reload
	buffer_load_dword v78, off, s[20:23], 0 offset:1092 ; 4-byte Folded Reload
	;; [unrolled: 1-line block ×4, first 2 shown]
	ds_read2_b64 v[99:102], v125 offset0:48 offset1:49
	s_waitcnt vmcnt(0)
	v_mul_f64 v[97:98], v[79:80], v[67:68]
	v_mul_f64 v[67:68], v[77:78], v[67:68]
	v_fma_f64 v[97:98], v[77:78], v[65:66], -v[97:98]
	v_fma_f64 v[67:68], v[79:80], v[65:66], v[67:68]
	s_waitcnt lgkmcnt(0)
	v_mul_f64 v[65:66], v[101:102], v[67:68]
	v_fma_f64 v[65:66], v[99:100], v[97:98], -v[65:66]
	v_mul_f64 v[99:100], v[99:100], v[67:68]
	v_add_f64 v[61:62], v[61:62], -v[65:66]
	v_fma_f64 v[99:100], v[101:102], v[97:98], v[99:100]
	v_add_f64 v[63:64], v[63:64], -v[99:100]
	ds_read2_b64 v[99:102], v125 offset0:50 offset1:51
	s_waitcnt lgkmcnt(0)
	v_mul_f64 v[65:66], v[101:102], v[67:68]
	v_fma_f64 v[65:66], v[99:100], v[97:98], -v[65:66]
	v_mul_f64 v[99:100], v[99:100], v[67:68]
	v_add_f64 v[57:58], v[57:58], -v[65:66]
	v_fma_f64 v[99:100], v[101:102], v[97:98], v[99:100]
	v_add_f64 v[59:60], v[59:60], -v[99:100]
	ds_read2_b64 v[99:102], v125 offset0:52 offset1:53
	;; [unrolled: 8-line block ×16, first 2 shown]
	s_waitcnt lgkmcnt(0)
	v_mul_f64 v[65:66], v[101:102], v[67:68]
	v_fma_f64 v[65:66], v[99:100], v[97:98], -v[65:66]
	v_mul_f64 v[99:100], v[99:100], v[67:68]
	v_add_f64 v[81:82], v[81:82], -v[65:66]
	v_fma_f64 v[99:100], v[101:102], v[97:98], v[99:100]
	v_mov_b32_e32 v65, v97
	v_mov_b32_e32 v66, v98
	v_add_f64 v[83:84], v[83:84], -v[99:100]
.LBB81_217:
	s_or_b64 exec, exec, s[2:3]
	v_cmp_eq_u32_e32 vcc, 24, v0
	s_waitcnt vmcnt(0)
	s_barrier
	s_and_saveexec_b64 s[4:5], vcc
	s_cbranch_execz .LBB81_224
; %bb.218:
	ds_write2_b64 v127, v[61:62], v[63:64] offset1:1
	ds_write2_b64 v125, v[57:58], v[59:60] offset0:50 offset1:51
	ds_write2_b64 v125, v[53:54], v[55:56] offset0:52 offset1:53
	;; [unrolled: 1-line block ×16, first 2 shown]
	ds_read2_b64 v[97:100], v127 offset1:1
	s_waitcnt lgkmcnt(0)
	v_cmp_neq_f64_e32 vcc, 0, v[97:98]
	v_cmp_neq_f64_e64 s[2:3], 0, v[99:100]
	s_or_b64 s[2:3], vcc, s[2:3]
	s_and_b64 exec, exec, s[2:3]
	s_cbranch_execz .LBB81_224
; %bb.219:
	v_cmp_ngt_f64_e64 s[2:3], |v[97:98]|, |v[99:100]|
                                        ; implicit-def: $vgpr101_vgpr102
	s_and_saveexec_b64 s[6:7], s[2:3]
	s_xor_b64 s[2:3], exec, s[6:7]
                                        ; implicit-def: $vgpr103_vgpr104
	s_cbranch_execz .LBB81_221
; %bb.220:
	v_div_scale_f64 v[101:102], s[6:7], v[99:100], v[99:100], v[97:98]
	v_rcp_f64_e32 v[103:104], v[101:102]
	v_fma_f64 v[105:106], -v[101:102], v[103:104], 1.0
	v_fma_f64 v[103:104], v[103:104], v[105:106], v[103:104]
	v_div_scale_f64 v[105:106], vcc, v[97:98], v[99:100], v[97:98]
	v_fma_f64 v[107:108], -v[101:102], v[103:104], 1.0
	v_fma_f64 v[103:104], v[103:104], v[107:108], v[103:104]
	v_mul_f64 v[107:108], v[105:106], v[103:104]
	v_fma_f64 v[101:102], -v[101:102], v[107:108], v[105:106]
	v_div_fmas_f64 v[101:102], v[101:102], v[103:104], v[107:108]
	v_div_fixup_f64 v[101:102], v[101:102], v[99:100], v[97:98]
	v_fma_f64 v[97:98], v[97:98], v[101:102], v[99:100]
	v_div_scale_f64 v[99:100], s[6:7], v[97:98], v[97:98], 1.0
	v_div_scale_f64 v[107:108], vcc, 1.0, v[97:98], 1.0
	v_rcp_f64_e32 v[103:104], v[99:100]
	v_fma_f64 v[105:106], -v[99:100], v[103:104], 1.0
	v_fma_f64 v[103:104], v[103:104], v[105:106], v[103:104]
	v_fma_f64 v[105:106], -v[99:100], v[103:104], 1.0
	v_fma_f64 v[103:104], v[103:104], v[105:106], v[103:104]
	v_mul_f64 v[105:106], v[107:108], v[103:104]
	v_fma_f64 v[99:100], -v[99:100], v[105:106], v[107:108]
	v_div_fmas_f64 v[99:100], v[99:100], v[103:104], v[105:106]
	v_div_fixup_f64 v[103:104], v[99:100], v[97:98], 1.0
                                        ; implicit-def: $vgpr97_vgpr98
	v_mul_f64 v[101:102], v[101:102], v[103:104]
	v_xor_b32_e32 v104, 0x80000000, v104
.LBB81_221:
	s_andn2_saveexec_b64 s[2:3], s[2:3]
	s_cbranch_execz .LBB81_223
; %bb.222:
	v_div_scale_f64 v[101:102], s[6:7], v[97:98], v[97:98], v[99:100]
	v_rcp_f64_e32 v[103:104], v[101:102]
	v_fma_f64 v[105:106], -v[101:102], v[103:104], 1.0
	v_fma_f64 v[103:104], v[103:104], v[105:106], v[103:104]
	v_div_scale_f64 v[105:106], vcc, v[99:100], v[97:98], v[99:100]
	v_fma_f64 v[107:108], -v[101:102], v[103:104], 1.0
	v_fma_f64 v[103:104], v[103:104], v[107:108], v[103:104]
	v_mul_f64 v[107:108], v[105:106], v[103:104]
	v_fma_f64 v[101:102], -v[101:102], v[107:108], v[105:106]
	v_div_fmas_f64 v[101:102], v[101:102], v[103:104], v[107:108]
	v_div_fixup_f64 v[103:104], v[101:102], v[97:98], v[99:100]
	v_fma_f64 v[97:98], v[99:100], v[103:104], v[97:98]
	v_div_scale_f64 v[99:100], s[6:7], v[97:98], v[97:98], 1.0
	v_div_scale_f64 v[107:108], vcc, 1.0, v[97:98], 1.0
	v_rcp_f64_e32 v[101:102], v[99:100]
	v_fma_f64 v[105:106], -v[99:100], v[101:102], 1.0
	v_fma_f64 v[101:102], v[101:102], v[105:106], v[101:102]
	v_fma_f64 v[105:106], -v[99:100], v[101:102], 1.0
	v_fma_f64 v[101:102], v[101:102], v[105:106], v[101:102]
	v_mul_f64 v[105:106], v[107:108], v[101:102]
	v_fma_f64 v[99:100], -v[99:100], v[105:106], v[107:108]
	v_div_fmas_f64 v[99:100], v[99:100], v[101:102], v[105:106]
	v_div_fixup_f64 v[101:102], v[99:100], v[97:98], 1.0
	v_mul_f64 v[103:104], v[103:104], -v[101:102]
.LBB81_223:
	s_or_b64 exec, exec, s[2:3]
	ds_write2_b64 v127, v[101:102], v[103:104] offset1:1
.LBB81_224:
	s_or_b64 exec, exec, s[4:5]
	s_waitcnt lgkmcnt(0)
	s_barrier
	ds_read2_b64 v[77:80], v127 offset1:1
	v_cmp_lt_u32_e32 vcc, 24, v0
	s_waitcnt lgkmcnt(0)
	buffer_store_dword v77, off, s[20:23], 0 offset:1104 ; 4-byte Folded Spill
	s_nop 0
	buffer_store_dword v78, off, s[20:23], 0 offset:1108 ; 4-byte Folded Spill
	buffer_store_dword v79, off, s[20:23], 0 offset:1112 ; 4-byte Folded Spill
	;; [unrolled: 1-line block ×3, first 2 shown]
	s_and_saveexec_b64 s[2:3], vcc
	s_cbranch_execz .LBB81_226
; %bb.225:
	buffer_load_dword v77, off, s[20:23], 0 offset:1104 ; 4-byte Folded Reload
	buffer_load_dword v78, off, s[20:23], 0 offset:1108 ; 4-byte Folded Reload
	buffer_load_dword v79, off, s[20:23], 0 offset:1112 ; 4-byte Folded Reload
	buffer_load_dword v80, off, s[20:23], 0 offset:1116 ; 4-byte Folded Reload
	ds_read2_b64 v[99:102], v125 offset0:50 offset1:51
	s_waitcnt vmcnt(2)
	v_mul_f64 v[97:98], v[77:78], v[63:64]
	s_waitcnt vmcnt(0)
	v_mul_f64 v[63:64], v[79:80], v[63:64]
	v_fma_f64 v[97:98], v[79:80], v[61:62], v[97:98]
	v_fma_f64 v[61:62], v[77:78], v[61:62], -v[63:64]
	s_waitcnt lgkmcnt(0)
	v_mul_f64 v[63:64], v[101:102], v[97:98]
	v_fma_f64 v[63:64], v[99:100], v[61:62], -v[63:64]
	v_mul_f64 v[99:100], v[99:100], v[97:98]
	v_add_f64 v[57:58], v[57:58], -v[63:64]
	v_fma_f64 v[99:100], v[101:102], v[61:62], v[99:100]
	v_add_f64 v[59:60], v[59:60], -v[99:100]
	ds_read2_b64 v[99:102], v125 offset0:52 offset1:53
	s_waitcnt lgkmcnt(0)
	v_mul_f64 v[63:64], v[101:102], v[97:98]
	v_fma_f64 v[63:64], v[99:100], v[61:62], -v[63:64]
	v_mul_f64 v[99:100], v[99:100], v[97:98]
	v_add_f64 v[53:54], v[53:54], -v[63:64]
	v_fma_f64 v[99:100], v[101:102], v[61:62], v[99:100]
	v_add_f64 v[55:56], v[55:56], -v[99:100]
	ds_read2_b64 v[99:102], v125 offset0:54 offset1:55
	s_waitcnt lgkmcnt(0)
	v_mul_f64 v[63:64], v[101:102], v[97:98]
	v_fma_f64 v[63:64], v[99:100], v[61:62], -v[63:64]
	v_mul_f64 v[99:100], v[99:100], v[97:98]
	v_add_f64 v[49:50], v[49:50], -v[63:64]
	v_fma_f64 v[99:100], v[101:102], v[61:62], v[99:100]
	v_add_f64 v[51:52], v[51:52], -v[99:100]
	ds_read2_b64 v[99:102], v125 offset0:56 offset1:57
	s_waitcnt lgkmcnt(0)
	v_mul_f64 v[63:64], v[101:102], v[97:98]
	v_fma_f64 v[63:64], v[99:100], v[61:62], -v[63:64]
	v_mul_f64 v[99:100], v[99:100], v[97:98]
	v_add_f64 v[45:46], v[45:46], -v[63:64]
	v_fma_f64 v[99:100], v[101:102], v[61:62], v[99:100]
	v_add_f64 v[47:48], v[47:48], -v[99:100]
	ds_read2_b64 v[99:102], v125 offset0:58 offset1:59
	s_waitcnt lgkmcnt(0)
	v_mul_f64 v[63:64], v[101:102], v[97:98]
	v_fma_f64 v[63:64], v[99:100], v[61:62], -v[63:64]
	v_mul_f64 v[99:100], v[99:100], v[97:98]
	v_add_f64 v[41:42], v[41:42], -v[63:64]
	v_fma_f64 v[99:100], v[101:102], v[61:62], v[99:100]
	v_add_f64 v[43:44], v[43:44], -v[99:100]
	ds_read2_b64 v[99:102], v125 offset0:60 offset1:61
	s_waitcnt lgkmcnt(0)
	v_mul_f64 v[63:64], v[101:102], v[97:98]
	v_fma_f64 v[63:64], v[99:100], v[61:62], -v[63:64]
	v_mul_f64 v[99:100], v[99:100], v[97:98]
	v_add_f64 v[37:38], v[37:38], -v[63:64]
	v_fma_f64 v[99:100], v[101:102], v[61:62], v[99:100]
	v_add_f64 v[39:40], v[39:40], -v[99:100]
	ds_read2_b64 v[99:102], v125 offset0:62 offset1:63
	s_waitcnt lgkmcnt(0)
	v_mul_f64 v[63:64], v[101:102], v[97:98]
	v_fma_f64 v[63:64], v[99:100], v[61:62], -v[63:64]
	v_mul_f64 v[99:100], v[99:100], v[97:98]
	v_add_f64 v[33:34], v[33:34], -v[63:64]
	v_fma_f64 v[99:100], v[101:102], v[61:62], v[99:100]
	v_add_f64 v[35:36], v[35:36], -v[99:100]
	ds_read2_b64 v[99:102], v125 offset0:64 offset1:65
	s_waitcnt lgkmcnt(0)
	v_mul_f64 v[63:64], v[101:102], v[97:98]
	v_fma_f64 v[63:64], v[99:100], v[61:62], -v[63:64]
	v_mul_f64 v[99:100], v[99:100], v[97:98]
	v_add_f64 v[29:30], v[29:30], -v[63:64]
	v_fma_f64 v[99:100], v[101:102], v[61:62], v[99:100]
	v_add_f64 v[31:32], v[31:32], -v[99:100]
	ds_read2_b64 v[99:102], v125 offset0:66 offset1:67
	s_waitcnt lgkmcnt(0)
	v_mul_f64 v[63:64], v[101:102], v[97:98]
	v_fma_f64 v[63:64], v[99:100], v[61:62], -v[63:64]
	v_mul_f64 v[99:100], v[99:100], v[97:98]
	v_add_f64 v[25:26], v[25:26], -v[63:64]
	v_fma_f64 v[99:100], v[101:102], v[61:62], v[99:100]
	v_add_f64 v[27:28], v[27:28], -v[99:100]
	ds_read2_b64 v[99:102], v125 offset0:68 offset1:69
	s_waitcnt lgkmcnt(0)
	v_mul_f64 v[63:64], v[101:102], v[97:98]
	v_fma_f64 v[63:64], v[99:100], v[61:62], -v[63:64]
	v_mul_f64 v[99:100], v[99:100], v[97:98]
	v_add_f64 v[21:22], v[21:22], -v[63:64]
	v_fma_f64 v[99:100], v[101:102], v[61:62], v[99:100]
	v_add_f64 v[23:24], v[23:24], -v[99:100]
	ds_read2_b64 v[99:102], v125 offset0:70 offset1:71
	s_waitcnt lgkmcnt(0)
	v_mul_f64 v[63:64], v[101:102], v[97:98]
	v_fma_f64 v[63:64], v[99:100], v[61:62], -v[63:64]
	v_mul_f64 v[99:100], v[99:100], v[97:98]
	v_add_f64 v[17:18], v[17:18], -v[63:64]
	v_fma_f64 v[99:100], v[101:102], v[61:62], v[99:100]
	v_add_f64 v[19:20], v[19:20], -v[99:100]
	ds_read2_b64 v[99:102], v125 offset0:72 offset1:73
	s_waitcnt lgkmcnt(0)
	v_mul_f64 v[63:64], v[101:102], v[97:98]
	v_fma_f64 v[63:64], v[99:100], v[61:62], -v[63:64]
	v_mul_f64 v[99:100], v[99:100], v[97:98]
	v_add_f64 v[13:14], v[13:14], -v[63:64]
	v_fma_f64 v[99:100], v[101:102], v[61:62], v[99:100]
	v_add_f64 v[15:16], v[15:16], -v[99:100]
	ds_read2_b64 v[99:102], v125 offset0:74 offset1:75
	s_waitcnt lgkmcnt(0)
	v_mul_f64 v[63:64], v[101:102], v[97:98]
	v_fma_f64 v[63:64], v[99:100], v[61:62], -v[63:64]
	v_mul_f64 v[99:100], v[99:100], v[97:98]
	v_add_f64 v[9:10], v[9:10], -v[63:64]
	v_fma_f64 v[99:100], v[101:102], v[61:62], v[99:100]
	v_add_f64 v[11:12], v[11:12], -v[99:100]
	ds_read2_b64 v[99:102], v125 offset0:76 offset1:77
	s_waitcnt lgkmcnt(0)
	v_mul_f64 v[63:64], v[101:102], v[97:98]
	v_fma_f64 v[63:64], v[99:100], v[61:62], -v[63:64]
	v_mul_f64 v[99:100], v[99:100], v[97:98]
	v_add_f64 v[5:6], v[5:6], -v[63:64]
	v_fma_f64 v[99:100], v[101:102], v[61:62], v[99:100]
	v_add_f64 v[7:8], v[7:8], -v[99:100]
	ds_read2_b64 v[99:102], v125 offset0:78 offset1:79
	s_waitcnt lgkmcnt(0)
	v_mul_f64 v[63:64], v[101:102], v[97:98]
	v_fma_f64 v[63:64], v[99:100], v[61:62], -v[63:64]
	v_mul_f64 v[99:100], v[99:100], v[97:98]
	v_add_f64 v[1:2], v[1:2], -v[63:64]
	v_fma_f64 v[99:100], v[101:102], v[61:62], v[99:100]
	v_add_f64 v[3:4], v[3:4], -v[99:100]
	ds_read2_b64 v[99:102], v125 offset0:80 offset1:81
	s_waitcnt lgkmcnt(0)
	v_mul_f64 v[63:64], v[101:102], v[97:98]
	v_fma_f64 v[63:64], v[99:100], v[61:62], -v[63:64]
	v_mul_f64 v[99:100], v[99:100], v[97:98]
	v_add_f64 v[81:82], v[81:82], -v[63:64]
	v_fma_f64 v[99:100], v[101:102], v[61:62], v[99:100]
	v_mov_b32_e32 v63, v97
	v_mov_b32_e32 v64, v98
	v_add_f64 v[83:84], v[83:84], -v[99:100]
.LBB81_226:
	s_or_b64 exec, exec, s[2:3]
	v_cmp_eq_u32_e32 vcc, 25, v0
	s_waitcnt vmcnt(0)
	s_barrier
	s_and_saveexec_b64 s[4:5], vcc
	s_cbranch_execz .LBB81_233
; %bb.227:
	ds_write2_b64 v127, v[57:58], v[59:60] offset1:1
	ds_write2_b64 v125, v[53:54], v[55:56] offset0:52 offset1:53
	ds_write2_b64 v125, v[49:50], v[51:52] offset0:54 offset1:55
	;; [unrolled: 1-line block ×15, first 2 shown]
	ds_read2_b64 v[97:100], v127 offset1:1
	s_waitcnt lgkmcnt(0)
	v_cmp_neq_f64_e32 vcc, 0, v[97:98]
	v_cmp_neq_f64_e64 s[2:3], 0, v[99:100]
	s_or_b64 s[2:3], vcc, s[2:3]
	s_and_b64 exec, exec, s[2:3]
	s_cbranch_execz .LBB81_233
; %bb.228:
	v_cmp_ngt_f64_e64 s[2:3], |v[97:98]|, |v[99:100]|
                                        ; implicit-def: $vgpr101_vgpr102
	s_and_saveexec_b64 s[6:7], s[2:3]
	s_xor_b64 s[2:3], exec, s[6:7]
                                        ; implicit-def: $vgpr103_vgpr104
	s_cbranch_execz .LBB81_230
; %bb.229:
	v_div_scale_f64 v[101:102], s[6:7], v[99:100], v[99:100], v[97:98]
	v_rcp_f64_e32 v[103:104], v[101:102]
	v_fma_f64 v[105:106], -v[101:102], v[103:104], 1.0
	v_fma_f64 v[103:104], v[103:104], v[105:106], v[103:104]
	v_div_scale_f64 v[105:106], vcc, v[97:98], v[99:100], v[97:98]
	v_fma_f64 v[107:108], -v[101:102], v[103:104], 1.0
	v_fma_f64 v[103:104], v[103:104], v[107:108], v[103:104]
	v_mul_f64 v[107:108], v[105:106], v[103:104]
	v_fma_f64 v[101:102], -v[101:102], v[107:108], v[105:106]
	v_div_fmas_f64 v[101:102], v[101:102], v[103:104], v[107:108]
	v_div_fixup_f64 v[101:102], v[101:102], v[99:100], v[97:98]
	v_fma_f64 v[97:98], v[97:98], v[101:102], v[99:100]
	v_div_scale_f64 v[99:100], s[6:7], v[97:98], v[97:98], 1.0
	v_div_scale_f64 v[107:108], vcc, 1.0, v[97:98], 1.0
	v_rcp_f64_e32 v[103:104], v[99:100]
	v_fma_f64 v[105:106], -v[99:100], v[103:104], 1.0
	v_fma_f64 v[103:104], v[103:104], v[105:106], v[103:104]
	v_fma_f64 v[105:106], -v[99:100], v[103:104], 1.0
	v_fma_f64 v[103:104], v[103:104], v[105:106], v[103:104]
	v_mul_f64 v[105:106], v[107:108], v[103:104]
	v_fma_f64 v[99:100], -v[99:100], v[105:106], v[107:108]
	v_div_fmas_f64 v[99:100], v[99:100], v[103:104], v[105:106]
	v_div_fixup_f64 v[103:104], v[99:100], v[97:98], 1.0
                                        ; implicit-def: $vgpr97_vgpr98
	v_mul_f64 v[101:102], v[101:102], v[103:104]
	v_xor_b32_e32 v104, 0x80000000, v104
.LBB81_230:
	s_andn2_saveexec_b64 s[2:3], s[2:3]
	s_cbranch_execz .LBB81_232
; %bb.231:
	v_div_scale_f64 v[101:102], s[6:7], v[97:98], v[97:98], v[99:100]
	v_rcp_f64_e32 v[103:104], v[101:102]
	v_fma_f64 v[105:106], -v[101:102], v[103:104], 1.0
	v_fma_f64 v[103:104], v[103:104], v[105:106], v[103:104]
	v_div_scale_f64 v[105:106], vcc, v[99:100], v[97:98], v[99:100]
	v_fma_f64 v[107:108], -v[101:102], v[103:104], 1.0
	v_fma_f64 v[103:104], v[103:104], v[107:108], v[103:104]
	v_mul_f64 v[107:108], v[105:106], v[103:104]
	v_fma_f64 v[101:102], -v[101:102], v[107:108], v[105:106]
	v_div_fmas_f64 v[101:102], v[101:102], v[103:104], v[107:108]
	v_div_fixup_f64 v[103:104], v[101:102], v[97:98], v[99:100]
	v_fma_f64 v[97:98], v[99:100], v[103:104], v[97:98]
	v_div_scale_f64 v[99:100], s[6:7], v[97:98], v[97:98], 1.0
	v_div_scale_f64 v[107:108], vcc, 1.0, v[97:98], 1.0
	v_rcp_f64_e32 v[101:102], v[99:100]
	v_fma_f64 v[105:106], -v[99:100], v[101:102], 1.0
	v_fma_f64 v[101:102], v[101:102], v[105:106], v[101:102]
	v_fma_f64 v[105:106], -v[99:100], v[101:102], 1.0
	v_fma_f64 v[101:102], v[101:102], v[105:106], v[101:102]
	v_mul_f64 v[105:106], v[107:108], v[101:102]
	v_fma_f64 v[99:100], -v[99:100], v[105:106], v[107:108]
	v_div_fmas_f64 v[99:100], v[99:100], v[101:102], v[105:106]
	v_div_fixup_f64 v[101:102], v[99:100], v[97:98], 1.0
	v_mul_f64 v[103:104], v[103:104], -v[101:102]
.LBB81_232:
	s_or_b64 exec, exec, s[2:3]
	ds_write2_b64 v127, v[101:102], v[103:104] offset1:1
.LBB81_233:
	s_or_b64 exec, exec, s[4:5]
	s_waitcnt lgkmcnt(0)
	s_barrier
	ds_read2_b64 v[77:80], v127 offset1:1
	v_cmp_lt_u32_e32 vcc, 25, v0
	s_waitcnt lgkmcnt(0)
	buffer_store_dword v77, off, s[20:23], 0 offset:1120 ; 4-byte Folded Spill
	s_nop 0
	buffer_store_dword v78, off, s[20:23], 0 offset:1124 ; 4-byte Folded Spill
	buffer_store_dword v79, off, s[20:23], 0 offset:1128 ; 4-byte Folded Spill
	;; [unrolled: 1-line block ×3, first 2 shown]
	s_and_saveexec_b64 s[2:3], vcc
	s_cbranch_execz .LBB81_235
; %bb.234:
	buffer_load_dword v77, off, s[20:23], 0 offset:1120 ; 4-byte Folded Reload
	buffer_load_dword v78, off, s[20:23], 0 offset:1124 ; 4-byte Folded Reload
	;; [unrolled: 1-line block ×4, first 2 shown]
	ds_read2_b64 v[99:102], v125 offset0:52 offset1:53
	s_waitcnt vmcnt(2)
	v_mul_f64 v[97:98], v[77:78], v[59:60]
	s_waitcnt vmcnt(0)
	v_mul_f64 v[59:60], v[79:80], v[59:60]
	v_fma_f64 v[97:98], v[79:80], v[57:58], v[97:98]
	v_fma_f64 v[57:58], v[77:78], v[57:58], -v[59:60]
	s_waitcnt lgkmcnt(0)
	v_mul_f64 v[59:60], v[101:102], v[97:98]
	v_fma_f64 v[59:60], v[99:100], v[57:58], -v[59:60]
	v_mul_f64 v[99:100], v[99:100], v[97:98]
	v_add_f64 v[53:54], v[53:54], -v[59:60]
	v_fma_f64 v[99:100], v[101:102], v[57:58], v[99:100]
	v_add_f64 v[55:56], v[55:56], -v[99:100]
	ds_read2_b64 v[99:102], v125 offset0:54 offset1:55
	s_waitcnt lgkmcnt(0)
	v_mul_f64 v[59:60], v[101:102], v[97:98]
	v_fma_f64 v[59:60], v[99:100], v[57:58], -v[59:60]
	v_mul_f64 v[99:100], v[99:100], v[97:98]
	v_add_f64 v[49:50], v[49:50], -v[59:60]
	v_fma_f64 v[99:100], v[101:102], v[57:58], v[99:100]
	v_add_f64 v[51:52], v[51:52], -v[99:100]
	ds_read2_b64 v[99:102], v125 offset0:56 offset1:57
	;; [unrolled: 8-line block ×14, first 2 shown]
	s_waitcnt lgkmcnt(0)
	v_mul_f64 v[59:60], v[101:102], v[97:98]
	v_fma_f64 v[59:60], v[99:100], v[57:58], -v[59:60]
	v_mul_f64 v[99:100], v[99:100], v[97:98]
	v_add_f64 v[81:82], v[81:82], -v[59:60]
	v_fma_f64 v[99:100], v[101:102], v[57:58], v[99:100]
	v_mov_b32_e32 v59, v97
	v_mov_b32_e32 v60, v98
	v_add_f64 v[83:84], v[83:84], -v[99:100]
.LBB81_235:
	s_or_b64 exec, exec, s[2:3]
	v_cmp_eq_u32_e32 vcc, 26, v0
	s_waitcnt vmcnt(0)
	s_barrier
	s_and_saveexec_b64 s[4:5], vcc
	s_cbranch_execz .LBB81_242
; %bb.236:
	ds_write2_b64 v127, v[53:54], v[55:56] offset1:1
	ds_write2_b64 v125, v[49:50], v[51:52] offset0:54 offset1:55
	ds_write2_b64 v125, v[45:46], v[47:48] offset0:56 offset1:57
	ds_write2_b64 v125, v[41:42], v[43:44] offset0:58 offset1:59
	ds_write2_b64 v125, v[37:38], v[39:40] offset0:60 offset1:61
	ds_write2_b64 v125, v[33:34], v[35:36] offset0:62 offset1:63
	ds_write2_b64 v125, v[29:30], v[31:32] offset0:64 offset1:65
	ds_write2_b64 v125, v[25:26], v[27:28] offset0:66 offset1:67
	ds_write2_b64 v125, v[21:22], v[23:24] offset0:68 offset1:69
	ds_write2_b64 v125, v[17:18], v[19:20] offset0:70 offset1:71
	ds_write2_b64 v125, v[13:14], v[15:16] offset0:72 offset1:73
	ds_write2_b64 v125, v[9:10], v[11:12] offset0:74 offset1:75
	ds_write2_b64 v125, v[5:6], v[7:8] offset0:76 offset1:77
	ds_write2_b64 v125, v[1:2], v[3:4] offset0:78 offset1:79
	ds_write2_b64 v125, v[81:82], v[83:84] offset0:80 offset1:81
	ds_read2_b64 v[97:100], v127 offset1:1
	s_waitcnt lgkmcnt(0)
	v_cmp_neq_f64_e32 vcc, 0, v[97:98]
	v_cmp_neq_f64_e64 s[2:3], 0, v[99:100]
	s_or_b64 s[2:3], vcc, s[2:3]
	s_and_b64 exec, exec, s[2:3]
	s_cbranch_execz .LBB81_242
; %bb.237:
	v_cmp_ngt_f64_e64 s[2:3], |v[97:98]|, |v[99:100]|
                                        ; implicit-def: $vgpr101_vgpr102
	s_and_saveexec_b64 s[6:7], s[2:3]
	s_xor_b64 s[2:3], exec, s[6:7]
                                        ; implicit-def: $vgpr103_vgpr104
	s_cbranch_execz .LBB81_239
; %bb.238:
	v_div_scale_f64 v[101:102], s[6:7], v[99:100], v[99:100], v[97:98]
	v_rcp_f64_e32 v[103:104], v[101:102]
	v_fma_f64 v[105:106], -v[101:102], v[103:104], 1.0
	v_fma_f64 v[103:104], v[103:104], v[105:106], v[103:104]
	v_div_scale_f64 v[105:106], vcc, v[97:98], v[99:100], v[97:98]
	v_fma_f64 v[107:108], -v[101:102], v[103:104], 1.0
	v_fma_f64 v[103:104], v[103:104], v[107:108], v[103:104]
	v_mul_f64 v[107:108], v[105:106], v[103:104]
	v_fma_f64 v[101:102], -v[101:102], v[107:108], v[105:106]
	v_div_fmas_f64 v[101:102], v[101:102], v[103:104], v[107:108]
	v_div_fixup_f64 v[101:102], v[101:102], v[99:100], v[97:98]
	v_fma_f64 v[97:98], v[97:98], v[101:102], v[99:100]
	v_div_scale_f64 v[99:100], s[6:7], v[97:98], v[97:98], 1.0
	v_div_scale_f64 v[107:108], vcc, 1.0, v[97:98], 1.0
	v_rcp_f64_e32 v[103:104], v[99:100]
	v_fma_f64 v[105:106], -v[99:100], v[103:104], 1.0
	v_fma_f64 v[103:104], v[103:104], v[105:106], v[103:104]
	v_fma_f64 v[105:106], -v[99:100], v[103:104], 1.0
	v_fma_f64 v[103:104], v[103:104], v[105:106], v[103:104]
	v_mul_f64 v[105:106], v[107:108], v[103:104]
	v_fma_f64 v[99:100], -v[99:100], v[105:106], v[107:108]
	v_div_fmas_f64 v[99:100], v[99:100], v[103:104], v[105:106]
	v_div_fixup_f64 v[103:104], v[99:100], v[97:98], 1.0
                                        ; implicit-def: $vgpr97_vgpr98
	v_mul_f64 v[101:102], v[101:102], v[103:104]
	v_xor_b32_e32 v104, 0x80000000, v104
.LBB81_239:
	s_andn2_saveexec_b64 s[2:3], s[2:3]
	s_cbranch_execz .LBB81_241
; %bb.240:
	v_div_scale_f64 v[101:102], s[6:7], v[97:98], v[97:98], v[99:100]
	v_rcp_f64_e32 v[103:104], v[101:102]
	v_fma_f64 v[105:106], -v[101:102], v[103:104], 1.0
	v_fma_f64 v[103:104], v[103:104], v[105:106], v[103:104]
	v_div_scale_f64 v[105:106], vcc, v[99:100], v[97:98], v[99:100]
	v_fma_f64 v[107:108], -v[101:102], v[103:104], 1.0
	v_fma_f64 v[103:104], v[103:104], v[107:108], v[103:104]
	v_mul_f64 v[107:108], v[105:106], v[103:104]
	v_fma_f64 v[101:102], -v[101:102], v[107:108], v[105:106]
	v_div_fmas_f64 v[101:102], v[101:102], v[103:104], v[107:108]
	v_div_fixup_f64 v[103:104], v[101:102], v[97:98], v[99:100]
	v_fma_f64 v[97:98], v[99:100], v[103:104], v[97:98]
	v_div_scale_f64 v[99:100], s[6:7], v[97:98], v[97:98], 1.0
	v_div_scale_f64 v[107:108], vcc, 1.0, v[97:98], 1.0
	v_rcp_f64_e32 v[101:102], v[99:100]
	v_fma_f64 v[105:106], -v[99:100], v[101:102], 1.0
	v_fma_f64 v[101:102], v[101:102], v[105:106], v[101:102]
	v_fma_f64 v[105:106], -v[99:100], v[101:102], 1.0
	v_fma_f64 v[101:102], v[101:102], v[105:106], v[101:102]
	v_mul_f64 v[105:106], v[107:108], v[101:102]
	v_fma_f64 v[99:100], -v[99:100], v[105:106], v[107:108]
	v_div_fmas_f64 v[99:100], v[99:100], v[101:102], v[105:106]
	v_div_fixup_f64 v[101:102], v[99:100], v[97:98], 1.0
	v_mul_f64 v[103:104], v[103:104], -v[101:102]
.LBB81_241:
	s_or_b64 exec, exec, s[2:3]
	ds_write2_b64 v127, v[101:102], v[103:104] offset1:1
.LBB81_242:
	s_or_b64 exec, exec, s[4:5]
	s_waitcnt lgkmcnt(0)
	s_barrier
	ds_read2_b64 v[77:80], v127 offset1:1
	v_cmp_lt_u32_e32 vcc, 26, v0
	s_waitcnt lgkmcnt(0)
	buffer_store_dword v77, off, s[20:23], 0 offset:1136 ; 4-byte Folded Spill
	s_nop 0
	buffer_store_dword v78, off, s[20:23], 0 offset:1140 ; 4-byte Folded Spill
	buffer_store_dword v79, off, s[20:23], 0 offset:1144 ; 4-byte Folded Spill
	;; [unrolled: 1-line block ×3, first 2 shown]
	s_and_saveexec_b64 s[2:3], vcc
	s_cbranch_execz .LBB81_244
; %bb.243:
	buffer_load_dword v77, off, s[20:23], 0 offset:1136 ; 4-byte Folded Reload
	buffer_load_dword v78, off, s[20:23], 0 offset:1140 ; 4-byte Folded Reload
	;; [unrolled: 1-line block ×4, first 2 shown]
	ds_read2_b64 v[99:102], v125 offset0:54 offset1:55
	s_waitcnt vmcnt(2)
	v_mul_f64 v[97:98], v[77:78], v[55:56]
	s_waitcnt vmcnt(0)
	v_mul_f64 v[55:56], v[79:80], v[55:56]
	v_fma_f64 v[97:98], v[79:80], v[53:54], v[97:98]
	v_fma_f64 v[53:54], v[77:78], v[53:54], -v[55:56]
	s_waitcnt lgkmcnt(0)
	v_mul_f64 v[55:56], v[101:102], v[97:98]
	v_fma_f64 v[55:56], v[99:100], v[53:54], -v[55:56]
	v_mul_f64 v[99:100], v[99:100], v[97:98]
	v_add_f64 v[49:50], v[49:50], -v[55:56]
	v_fma_f64 v[99:100], v[101:102], v[53:54], v[99:100]
	v_add_f64 v[51:52], v[51:52], -v[99:100]
	ds_read2_b64 v[99:102], v125 offset0:56 offset1:57
	s_waitcnt lgkmcnt(0)
	v_mul_f64 v[55:56], v[101:102], v[97:98]
	v_fma_f64 v[55:56], v[99:100], v[53:54], -v[55:56]
	v_mul_f64 v[99:100], v[99:100], v[97:98]
	v_add_f64 v[45:46], v[45:46], -v[55:56]
	v_fma_f64 v[99:100], v[101:102], v[53:54], v[99:100]
	v_add_f64 v[47:48], v[47:48], -v[99:100]
	ds_read2_b64 v[99:102], v125 offset0:58 offset1:59
	s_waitcnt lgkmcnt(0)
	v_mul_f64 v[55:56], v[101:102], v[97:98]
	v_fma_f64 v[55:56], v[99:100], v[53:54], -v[55:56]
	v_mul_f64 v[99:100], v[99:100], v[97:98]
	v_add_f64 v[41:42], v[41:42], -v[55:56]
	v_fma_f64 v[99:100], v[101:102], v[53:54], v[99:100]
	v_add_f64 v[43:44], v[43:44], -v[99:100]
	ds_read2_b64 v[99:102], v125 offset0:60 offset1:61
	s_waitcnt lgkmcnt(0)
	v_mul_f64 v[55:56], v[101:102], v[97:98]
	v_fma_f64 v[55:56], v[99:100], v[53:54], -v[55:56]
	v_mul_f64 v[99:100], v[99:100], v[97:98]
	v_add_f64 v[37:38], v[37:38], -v[55:56]
	v_fma_f64 v[99:100], v[101:102], v[53:54], v[99:100]
	v_add_f64 v[39:40], v[39:40], -v[99:100]
	ds_read2_b64 v[99:102], v125 offset0:62 offset1:63
	s_waitcnt lgkmcnt(0)
	v_mul_f64 v[55:56], v[101:102], v[97:98]
	v_fma_f64 v[55:56], v[99:100], v[53:54], -v[55:56]
	v_mul_f64 v[99:100], v[99:100], v[97:98]
	v_add_f64 v[33:34], v[33:34], -v[55:56]
	v_fma_f64 v[99:100], v[101:102], v[53:54], v[99:100]
	v_add_f64 v[35:36], v[35:36], -v[99:100]
	ds_read2_b64 v[99:102], v125 offset0:64 offset1:65
	s_waitcnt lgkmcnt(0)
	v_mul_f64 v[55:56], v[101:102], v[97:98]
	v_fma_f64 v[55:56], v[99:100], v[53:54], -v[55:56]
	v_mul_f64 v[99:100], v[99:100], v[97:98]
	v_add_f64 v[29:30], v[29:30], -v[55:56]
	v_fma_f64 v[99:100], v[101:102], v[53:54], v[99:100]
	v_add_f64 v[31:32], v[31:32], -v[99:100]
	ds_read2_b64 v[99:102], v125 offset0:66 offset1:67
	s_waitcnt lgkmcnt(0)
	v_mul_f64 v[55:56], v[101:102], v[97:98]
	v_fma_f64 v[55:56], v[99:100], v[53:54], -v[55:56]
	v_mul_f64 v[99:100], v[99:100], v[97:98]
	v_add_f64 v[25:26], v[25:26], -v[55:56]
	v_fma_f64 v[99:100], v[101:102], v[53:54], v[99:100]
	v_add_f64 v[27:28], v[27:28], -v[99:100]
	ds_read2_b64 v[99:102], v125 offset0:68 offset1:69
	s_waitcnt lgkmcnt(0)
	v_mul_f64 v[55:56], v[101:102], v[97:98]
	v_fma_f64 v[55:56], v[99:100], v[53:54], -v[55:56]
	v_mul_f64 v[99:100], v[99:100], v[97:98]
	v_add_f64 v[21:22], v[21:22], -v[55:56]
	v_fma_f64 v[99:100], v[101:102], v[53:54], v[99:100]
	v_add_f64 v[23:24], v[23:24], -v[99:100]
	ds_read2_b64 v[99:102], v125 offset0:70 offset1:71
	s_waitcnt lgkmcnt(0)
	v_mul_f64 v[55:56], v[101:102], v[97:98]
	v_fma_f64 v[55:56], v[99:100], v[53:54], -v[55:56]
	v_mul_f64 v[99:100], v[99:100], v[97:98]
	v_add_f64 v[17:18], v[17:18], -v[55:56]
	v_fma_f64 v[99:100], v[101:102], v[53:54], v[99:100]
	v_add_f64 v[19:20], v[19:20], -v[99:100]
	ds_read2_b64 v[99:102], v125 offset0:72 offset1:73
	s_waitcnt lgkmcnt(0)
	v_mul_f64 v[55:56], v[101:102], v[97:98]
	v_fma_f64 v[55:56], v[99:100], v[53:54], -v[55:56]
	v_mul_f64 v[99:100], v[99:100], v[97:98]
	v_add_f64 v[13:14], v[13:14], -v[55:56]
	v_fma_f64 v[99:100], v[101:102], v[53:54], v[99:100]
	v_add_f64 v[15:16], v[15:16], -v[99:100]
	ds_read2_b64 v[99:102], v125 offset0:74 offset1:75
	s_waitcnt lgkmcnt(0)
	v_mul_f64 v[55:56], v[101:102], v[97:98]
	v_fma_f64 v[55:56], v[99:100], v[53:54], -v[55:56]
	v_mul_f64 v[99:100], v[99:100], v[97:98]
	v_add_f64 v[9:10], v[9:10], -v[55:56]
	v_fma_f64 v[99:100], v[101:102], v[53:54], v[99:100]
	v_add_f64 v[11:12], v[11:12], -v[99:100]
	ds_read2_b64 v[99:102], v125 offset0:76 offset1:77
	s_waitcnt lgkmcnt(0)
	v_mul_f64 v[55:56], v[101:102], v[97:98]
	v_fma_f64 v[55:56], v[99:100], v[53:54], -v[55:56]
	v_mul_f64 v[99:100], v[99:100], v[97:98]
	v_add_f64 v[5:6], v[5:6], -v[55:56]
	v_fma_f64 v[99:100], v[101:102], v[53:54], v[99:100]
	v_add_f64 v[7:8], v[7:8], -v[99:100]
	ds_read2_b64 v[99:102], v125 offset0:78 offset1:79
	s_waitcnt lgkmcnt(0)
	v_mul_f64 v[55:56], v[101:102], v[97:98]
	v_fma_f64 v[55:56], v[99:100], v[53:54], -v[55:56]
	v_mul_f64 v[99:100], v[99:100], v[97:98]
	v_add_f64 v[1:2], v[1:2], -v[55:56]
	v_fma_f64 v[99:100], v[101:102], v[53:54], v[99:100]
	v_add_f64 v[3:4], v[3:4], -v[99:100]
	ds_read2_b64 v[99:102], v125 offset0:80 offset1:81
	s_waitcnt lgkmcnt(0)
	v_mul_f64 v[55:56], v[101:102], v[97:98]
	v_fma_f64 v[55:56], v[99:100], v[53:54], -v[55:56]
	v_mul_f64 v[99:100], v[99:100], v[97:98]
	v_add_f64 v[81:82], v[81:82], -v[55:56]
	v_fma_f64 v[99:100], v[101:102], v[53:54], v[99:100]
	v_mov_b32_e32 v55, v97
	v_mov_b32_e32 v56, v98
	v_add_f64 v[83:84], v[83:84], -v[99:100]
.LBB81_244:
	s_or_b64 exec, exec, s[2:3]
	v_cmp_eq_u32_e32 vcc, 27, v0
	s_waitcnt vmcnt(0)
	s_barrier
	s_and_saveexec_b64 s[4:5], vcc
	s_cbranch_execz .LBB81_251
; %bb.245:
	ds_write2_b64 v127, v[49:50], v[51:52] offset1:1
	ds_write2_b64 v125, v[45:46], v[47:48] offset0:56 offset1:57
	ds_write2_b64 v125, v[41:42], v[43:44] offset0:58 offset1:59
	;; [unrolled: 1-line block ×13, first 2 shown]
	ds_read2_b64 v[97:100], v127 offset1:1
	s_waitcnt lgkmcnt(0)
	v_cmp_neq_f64_e32 vcc, 0, v[97:98]
	v_cmp_neq_f64_e64 s[2:3], 0, v[99:100]
	s_or_b64 s[2:3], vcc, s[2:3]
	s_and_b64 exec, exec, s[2:3]
	s_cbranch_execz .LBB81_251
; %bb.246:
	v_cmp_ngt_f64_e64 s[2:3], |v[97:98]|, |v[99:100]|
                                        ; implicit-def: $vgpr101_vgpr102
	s_and_saveexec_b64 s[6:7], s[2:3]
	s_xor_b64 s[2:3], exec, s[6:7]
                                        ; implicit-def: $vgpr103_vgpr104
	s_cbranch_execz .LBB81_248
; %bb.247:
	v_div_scale_f64 v[101:102], s[6:7], v[99:100], v[99:100], v[97:98]
	v_rcp_f64_e32 v[103:104], v[101:102]
	v_fma_f64 v[105:106], -v[101:102], v[103:104], 1.0
	v_fma_f64 v[103:104], v[103:104], v[105:106], v[103:104]
	v_div_scale_f64 v[105:106], vcc, v[97:98], v[99:100], v[97:98]
	v_fma_f64 v[107:108], -v[101:102], v[103:104], 1.0
	v_fma_f64 v[103:104], v[103:104], v[107:108], v[103:104]
	v_mul_f64 v[107:108], v[105:106], v[103:104]
	v_fma_f64 v[101:102], -v[101:102], v[107:108], v[105:106]
	v_div_fmas_f64 v[101:102], v[101:102], v[103:104], v[107:108]
	v_div_fixup_f64 v[101:102], v[101:102], v[99:100], v[97:98]
	v_fma_f64 v[97:98], v[97:98], v[101:102], v[99:100]
	v_div_scale_f64 v[99:100], s[6:7], v[97:98], v[97:98], 1.0
	v_div_scale_f64 v[107:108], vcc, 1.0, v[97:98], 1.0
	v_rcp_f64_e32 v[103:104], v[99:100]
	v_fma_f64 v[105:106], -v[99:100], v[103:104], 1.0
	v_fma_f64 v[103:104], v[103:104], v[105:106], v[103:104]
	v_fma_f64 v[105:106], -v[99:100], v[103:104], 1.0
	v_fma_f64 v[103:104], v[103:104], v[105:106], v[103:104]
	v_mul_f64 v[105:106], v[107:108], v[103:104]
	v_fma_f64 v[99:100], -v[99:100], v[105:106], v[107:108]
	v_div_fmas_f64 v[99:100], v[99:100], v[103:104], v[105:106]
	v_div_fixup_f64 v[103:104], v[99:100], v[97:98], 1.0
                                        ; implicit-def: $vgpr97_vgpr98
	v_mul_f64 v[101:102], v[101:102], v[103:104]
	v_xor_b32_e32 v104, 0x80000000, v104
.LBB81_248:
	s_andn2_saveexec_b64 s[2:3], s[2:3]
	s_cbranch_execz .LBB81_250
; %bb.249:
	v_div_scale_f64 v[101:102], s[6:7], v[97:98], v[97:98], v[99:100]
	v_rcp_f64_e32 v[103:104], v[101:102]
	v_fma_f64 v[105:106], -v[101:102], v[103:104], 1.0
	v_fma_f64 v[103:104], v[103:104], v[105:106], v[103:104]
	v_div_scale_f64 v[105:106], vcc, v[99:100], v[97:98], v[99:100]
	v_fma_f64 v[107:108], -v[101:102], v[103:104], 1.0
	v_fma_f64 v[103:104], v[103:104], v[107:108], v[103:104]
	v_mul_f64 v[107:108], v[105:106], v[103:104]
	v_fma_f64 v[101:102], -v[101:102], v[107:108], v[105:106]
	v_div_fmas_f64 v[101:102], v[101:102], v[103:104], v[107:108]
	v_div_fixup_f64 v[103:104], v[101:102], v[97:98], v[99:100]
	v_fma_f64 v[97:98], v[99:100], v[103:104], v[97:98]
	v_div_scale_f64 v[99:100], s[6:7], v[97:98], v[97:98], 1.0
	v_div_scale_f64 v[107:108], vcc, 1.0, v[97:98], 1.0
	v_rcp_f64_e32 v[101:102], v[99:100]
	v_fma_f64 v[105:106], -v[99:100], v[101:102], 1.0
	v_fma_f64 v[101:102], v[101:102], v[105:106], v[101:102]
	v_fma_f64 v[105:106], -v[99:100], v[101:102], 1.0
	v_fma_f64 v[101:102], v[101:102], v[105:106], v[101:102]
	v_mul_f64 v[105:106], v[107:108], v[101:102]
	v_fma_f64 v[99:100], -v[99:100], v[105:106], v[107:108]
	v_div_fmas_f64 v[99:100], v[99:100], v[101:102], v[105:106]
	v_div_fixup_f64 v[101:102], v[99:100], v[97:98], 1.0
	v_mul_f64 v[103:104], v[103:104], -v[101:102]
.LBB81_250:
	s_or_b64 exec, exec, s[2:3]
	ds_write2_b64 v127, v[101:102], v[103:104] offset1:1
.LBB81_251:
	s_or_b64 exec, exec, s[4:5]
	s_waitcnt lgkmcnt(0)
	s_barrier
	ds_read2_b64 v[77:80], v127 offset1:1
	v_cmp_lt_u32_e32 vcc, 27, v0
	s_waitcnt lgkmcnt(0)
	buffer_store_dword v77, off, s[20:23], 0 offset:1152 ; 4-byte Folded Spill
	s_nop 0
	buffer_store_dword v78, off, s[20:23], 0 offset:1156 ; 4-byte Folded Spill
	buffer_store_dword v79, off, s[20:23], 0 offset:1160 ; 4-byte Folded Spill
	;; [unrolled: 1-line block ×3, first 2 shown]
	s_and_saveexec_b64 s[2:3], vcc
	s_cbranch_execz .LBB81_253
; %bb.252:
	buffer_load_dword v77, off, s[20:23], 0 offset:1152 ; 4-byte Folded Reload
	buffer_load_dword v78, off, s[20:23], 0 offset:1156 ; 4-byte Folded Reload
	;; [unrolled: 1-line block ×4, first 2 shown]
	ds_read2_b64 v[99:102], v125 offset0:56 offset1:57
	s_waitcnt vmcnt(2)
	v_mul_f64 v[97:98], v[77:78], v[51:52]
	s_waitcnt vmcnt(0)
	v_mul_f64 v[51:52], v[79:80], v[51:52]
	v_fma_f64 v[97:98], v[79:80], v[49:50], v[97:98]
	v_fma_f64 v[49:50], v[77:78], v[49:50], -v[51:52]
	s_waitcnt lgkmcnt(0)
	v_mul_f64 v[51:52], v[101:102], v[97:98]
	v_fma_f64 v[51:52], v[99:100], v[49:50], -v[51:52]
	v_mul_f64 v[99:100], v[99:100], v[97:98]
	v_add_f64 v[45:46], v[45:46], -v[51:52]
	v_fma_f64 v[99:100], v[101:102], v[49:50], v[99:100]
	v_add_f64 v[47:48], v[47:48], -v[99:100]
	ds_read2_b64 v[99:102], v125 offset0:58 offset1:59
	s_waitcnt lgkmcnt(0)
	v_mul_f64 v[51:52], v[101:102], v[97:98]
	v_fma_f64 v[51:52], v[99:100], v[49:50], -v[51:52]
	v_mul_f64 v[99:100], v[99:100], v[97:98]
	v_add_f64 v[41:42], v[41:42], -v[51:52]
	v_fma_f64 v[99:100], v[101:102], v[49:50], v[99:100]
	v_add_f64 v[43:44], v[43:44], -v[99:100]
	ds_read2_b64 v[99:102], v125 offset0:60 offset1:61
	;; [unrolled: 8-line block ×12, first 2 shown]
	s_waitcnt lgkmcnt(0)
	v_mul_f64 v[51:52], v[101:102], v[97:98]
	v_fma_f64 v[51:52], v[99:100], v[49:50], -v[51:52]
	v_mul_f64 v[99:100], v[99:100], v[97:98]
	v_add_f64 v[81:82], v[81:82], -v[51:52]
	v_fma_f64 v[99:100], v[101:102], v[49:50], v[99:100]
	v_mov_b32_e32 v51, v97
	v_mov_b32_e32 v52, v98
	v_add_f64 v[83:84], v[83:84], -v[99:100]
.LBB81_253:
	s_or_b64 exec, exec, s[2:3]
	v_cmp_eq_u32_e32 vcc, 28, v0
	s_waitcnt vmcnt(0)
	s_barrier
	s_and_saveexec_b64 s[4:5], vcc
	s_cbranch_execz .LBB81_260
; %bb.254:
	ds_write2_b64 v127, v[45:46], v[47:48] offset1:1
	ds_write2_b64 v125, v[41:42], v[43:44] offset0:58 offset1:59
	ds_write2_b64 v125, v[37:38], v[39:40] offset0:60 offset1:61
	;; [unrolled: 1-line block ×12, first 2 shown]
	ds_read2_b64 v[97:100], v127 offset1:1
	s_waitcnt lgkmcnt(0)
	v_cmp_neq_f64_e32 vcc, 0, v[97:98]
	v_cmp_neq_f64_e64 s[2:3], 0, v[99:100]
	s_or_b64 s[2:3], vcc, s[2:3]
	s_and_b64 exec, exec, s[2:3]
	s_cbranch_execz .LBB81_260
; %bb.255:
	v_cmp_ngt_f64_e64 s[2:3], |v[97:98]|, |v[99:100]|
                                        ; implicit-def: $vgpr101_vgpr102
	s_and_saveexec_b64 s[6:7], s[2:3]
	s_xor_b64 s[2:3], exec, s[6:7]
                                        ; implicit-def: $vgpr103_vgpr104
	s_cbranch_execz .LBB81_257
; %bb.256:
	v_div_scale_f64 v[101:102], s[6:7], v[99:100], v[99:100], v[97:98]
	v_rcp_f64_e32 v[103:104], v[101:102]
	v_fma_f64 v[105:106], -v[101:102], v[103:104], 1.0
	v_fma_f64 v[103:104], v[103:104], v[105:106], v[103:104]
	v_div_scale_f64 v[105:106], vcc, v[97:98], v[99:100], v[97:98]
	v_fma_f64 v[107:108], -v[101:102], v[103:104], 1.0
	v_fma_f64 v[103:104], v[103:104], v[107:108], v[103:104]
	v_mul_f64 v[107:108], v[105:106], v[103:104]
	v_fma_f64 v[101:102], -v[101:102], v[107:108], v[105:106]
	v_div_fmas_f64 v[101:102], v[101:102], v[103:104], v[107:108]
	v_div_fixup_f64 v[101:102], v[101:102], v[99:100], v[97:98]
	v_fma_f64 v[97:98], v[97:98], v[101:102], v[99:100]
	v_div_scale_f64 v[99:100], s[6:7], v[97:98], v[97:98], 1.0
	v_div_scale_f64 v[107:108], vcc, 1.0, v[97:98], 1.0
	v_rcp_f64_e32 v[103:104], v[99:100]
	v_fma_f64 v[105:106], -v[99:100], v[103:104], 1.0
	v_fma_f64 v[103:104], v[103:104], v[105:106], v[103:104]
	v_fma_f64 v[105:106], -v[99:100], v[103:104], 1.0
	v_fma_f64 v[103:104], v[103:104], v[105:106], v[103:104]
	v_mul_f64 v[105:106], v[107:108], v[103:104]
	v_fma_f64 v[99:100], -v[99:100], v[105:106], v[107:108]
	v_div_fmas_f64 v[99:100], v[99:100], v[103:104], v[105:106]
	v_div_fixup_f64 v[103:104], v[99:100], v[97:98], 1.0
                                        ; implicit-def: $vgpr97_vgpr98
	v_mul_f64 v[101:102], v[101:102], v[103:104]
	v_xor_b32_e32 v104, 0x80000000, v104
.LBB81_257:
	s_andn2_saveexec_b64 s[2:3], s[2:3]
	s_cbranch_execz .LBB81_259
; %bb.258:
	v_div_scale_f64 v[101:102], s[6:7], v[97:98], v[97:98], v[99:100]
	v_rcp_f64_e32 v[103:104], v[101:102]
	v_fma_f64 v[105:106], -v[101:102], v[103:104], 1.0
	v_fma_f64 v[103:104], v[103:104], v[105:106], v[103:104]
	v_div_scale_f64 v[105:106], vcc, v[99:100], v[97:98], v[99:100]
	v_fma_f64 v[107:108], -v[101:102], v[103:104], 1.0
	v_fma_f64 v[103:104], v[103:104], v[107:108], v[103:104]
	v_mul_f64 v[107:108], v[105:106], v[103:104]
	v_fma_f64 v[101:102], -v[101:102], v[107:108], v[105:106]
	v_div_fmas_f64 v[101:102], v[101:102], v[103:104], v[107:108]
	v_div_fixup_f64 v[103:104], v[101:102], v[97:98], v[99:100]
	v_fma_f64 v[97:98], v[99:100], v[103:104], v[97:98]
	v_div_scale_f64 v[99:100], s[6:7], v[97:98], v[97:98], 1.0
	v_div_scale_f64 v[107:108], vcc, 1.0, v[97:98], 1.0
	v_rcp_f64_e32 v[101:102], v[99:100]
	v_fma_f64 v[105:106], -v[99:100], v[101:102], 1.0
	v_fma_f64 v[101:102], v[101:102], v[105:106], v[101:102]
	v_fma_f64 v[105:106], -v[99:100], v[101:102], 1.0
	v_fma_f64 v[101:102], v[101:102], v[105:106], v[101:102]
	v_mul_f64 v[105:106], v[107:108], v[101:102]
	v_fma_f64 v[99:100], -v[99:100], v[105:106], v[107:108]
	v_div_fmas_f64 v[99:100], v[99:100], v[101:102], v[105:106]
	v_div_fixup_f64 v[101:102], v[99:100], v[97:98], 1.0
	v_mul_f64 v[103:104], v[103:104], -v[101:102]
.LBB81_259:
	s_or_b64 exec, exec, s[2:3]
	ds_write2_b64 v127, v[101:102], v[103:104] offset1:1
.LBB81_260:
	s_or_b64 exec, exec, s[4:5]
	s_waitcnt lgkmcnt(0)
	s_barrier
	ds_read2_b64 v[77:80], v127 offset1:1
	v_cmp_lt_u32_e32 vcc, 28, v0
	s_waitcnt lgkmcnt(0)
	buffer_store_dword v77, off, s[20:23], 0 offset:1168 ; 4-byte Folded Spill
	s_nop 0
	buffer_store_dword v78, off, s[20:23], 0 offset:1172 ; 4-byte Folded Spill
	buffer_store_dword v79, off, s[20:23], 0 offset:1176 ; 4-byte Folded Spill
	;; [unrolled: 1-line block ×3, first 2 shown]
	s_and_saveexec_b64 s[2:3], vcc
	s_cbranch_execz .LBB81_262
; %bb.261:
	buffer_load_dword v77, off, s[20:23], 0 offset:1168 ; 4-byte Folded Reload
	buffer_load_dword v78, off, s[20:23], 0 offset:1172 ; 4-byte Folded Reload
	;; [unrolled: 1-line block ×4, first 2 shown]
	ds_read2_b64 v[99:102], v125 offset0:58 offset1:59
	s_waitcnt vmcnt(2)
	v_mul_f64 v[97:98], v[77:78], v[47:48]
	s_waitcnt vmcnt(0)
	v_mul_f64 v[47:48], v[79:80], v[47:48]
	v_fma_f64 v[97:98], v[79:80], v[45:46], v[97:98]
	v_fma_f64 v[45:46], v[77:78], v[45:46], -v[47:48]
	s_waitcnt lgkmcnt(0)
	v_mul_f64 v[47:48], v[101:102], v[97:98]
	v_fma_f64 v[47:48], v[99:100], v[45:46], -v[47:48]
	v_mul_f64 v[99:100], v[99:100], v[97:98]
	v_add_f64 v[41:42], v[41:42], -v[47:48]
	v_fma_f64 v[99:100], v[101:102], v[45:46], v[99:100]
	v_add_f64 v[43:44], v[43:44], -v[99:100]
	ds_read2_b64 v[99:102], v125 offset0:60 offset1:61
	s_waitcnt lgkmcnt(0)
	v_mul_f64 v[47:48], v[101:102], v[97:98]
	v_fma_f64 v[47:48], v[99:100], v[45:46], -v[47:48]
	v_mul_f64 v[99:100], v[99:100], v[97:98]
	v_add_f64 v[37:38], v[37:38], -v[47:48]
	v_fma_f64 v[99:100], v[101:102], v[45:46], v[99:100]
	v_add_f64 v[39:40], v[39:40], -v[99:100]
	ds_read2_b64 v[99:102], v125 offset0:62 offset1:63
	;; [unrolled: 8-line block ×11, first 2 shown]
	s_waitcnt lgkmcnt(0)
	v_mul_f64 v[47:48], v[101:102], v[97:98]
	v_fma_f64 v[47:48], v[99:100], v[45:46], -v[47:48]
	v_mul_f64 v[99:100], v[99:100], v[97:98]
	v_add_f64 v[81:82], v[81:82], -v[47:48]
	v_fma_f64 v[99:100], v[101:102], v[45:46], v[99:100]
	v_mov_b32_e32 v47, v97
	v_mov_b32_e32 v48, v98
	v_add_f64 v[83:84], v[83:84], -v[99:100]
.LBB81_262:
	s_or_b64 exec, exec, s[2:3]
	v_cmp_eq_u32_e32 vcc, 29, v0
	s_waitcnt vmcnt(0)
	s_barrier
	s_and_saveexec_b64 s[4:5], vcc
	s_cbranch_execz .LBB81_269
; %bb.263:
	ds_write2_b64 v127, v[41:42], v[43:44] offset1:1
	ds_write2_b64 v125, v[37:38], v[39:40] offset0:60 offset1:61
	ds_write2_b64 v125, v[33:34], v[35:36] offset0:62 offset1:63
	;; [unrolled: 1-line block ×11, first 2 shown]
	ds_read2_b64 v[97:100], v127 offset1:1
	s_waitcnt lgkmcnt(0)
	v_cmp_neq_f64_e32 vcc, 0, v[97:98]
	v_cmp_neq_f64_e64 s[2:3], 0, v[99:100]
	s_or_b64 s[2:3], vcc, s[2:3]
	s_and_b64 exec, exec, s[2:3]
	s_cbranch_execz .LBB81_269
; %bb.264:
	v_cmp_ngt_f64_e64 s[2:3], |v[97:98]|, |v[99:100]|
                                        ; implicit-def: $vgpr101_vgpr102
	s_and_saveexec_b64 s[6:7], s[2:3]
	s_xor_b64 s[2:3], exec, s[6:7]
                                        ; implicit-def: $vgpr103_vgpr104
	s_cbranch_execz .LBB81_266
; %bb.265:
	v_div_scale_f64 v[101:102], s[6:7], v[99:100], v[99:100], v[97:98]
	v_rcp_f64_e32 v[103:104], v[101:102]
	v_fma_f64 v[105:106], -v[101:102], v[103:104], 1.0
	v_fma_f64 v[103:104], v[103:104], v[105:106], v[103:104]
	v_div_scale_f64 v[105:106], vcc, v[97:98], v[99:100], v[97:98]
	v_fma_f64 v[107:108], -v[101:102], v[103:104], 1.0
	v_fma_f64 v[103:104], v[103:104], v[107:108], v[103:104]
	v_mul_f64 v[107:108], v[105:106], v[103:104]
	v_fma_f64 v[101:102], -v[101:102], v[107:108], v[105:106]
	v_div_fmas_f64 v[101:102], v[101:102], v[103:104], v[107:108]
	v_div_fixup_f64 v[101:102], v[101:102], v[99:100], v[97:98]
	v_fma_f64 v[97:98], v[97:98], v[101:102], v[99:100]
	v_div_scale_f64 v[99:100], s[6:7], v[97:98], v[97:98], 1.0
	v_div_scale_f64 v[107:108], vcc, 1.0, v[97:98], 1.0
	v_rcp_f64_e32 v[103:104], v[99:100]
	v_fma_f64 v[105:106], -v[99:100], v[103:104], 1.0
	v_fma_f64 v[103:104], v[103:104], v[105:106], v[103:104]
	v_fma_f64 v[105:106], -v[99:100], v[103:104], 1.0
	v_fma_f64 v[103:104], v[103:104], v[105:106], v[103:104]
	v_mul_f64 v[105:106], v[107:108], v[103:104]
	v_fma_f64 v[99:100], -v[99:100], v[105:106], v[107:108]
	v_div_fmas_f64 v[99:100], v[99:100], v[103:104], v[105:106]
	v_div_fixup_f64 v[103:104], v[99:100], v[97:98], 1.0
                                        ; implicit-def: $vgpr97_vgpr98
	v_mul_f64 v[101:102], v[101:102], v[103:104]
	v_xor_b32_e32 v104, 0x80000000, v104
.LBB81_266:
	s_andn2_saveexec_b64 s[2:3], s[2:3]
	s_cbranch_execz .LBB81_268
; %bb.267:
	v_div_scale_f64 v[101:102], s[6:7], v[97:98], v[97:98], v[99:100]
	v_rcp_f64_e32 v[103:104], v[101:102]
	v_fma_f64 v[105:106], -v[101:102], v[103:104], 1.0
	v_fma_f64 v[103:104], v[103:104], v[105:106], v[103:104]
	v_div_scale_f64 v[105:106], vcc, v[99:100], v[97:98], v[99:100]
	v_fma_f64 v[107:108], -v[101:102], v[103:104], 1.0
	v_fma_f64 v[103:104], v[103:104], v[107:108], v[103:104]
	v_mul_f64 v[107:108], v[105:106], v[103:104]
	v_fma_f64 v[101:102], -v[101:102], v[107:108], v[105:106]
	v_div_fmas_f64 v[101:102], v[101:102], v[103:104], v[107:108]
	v_div_fixup_f64 v[103:104], v[101:102], v[97:98], v[99:100]
	v_fma_f64 v[97:98], v[99:100], v[103:104], v[97:98]
	v_div_scale_f64 v[99:100], s[6:7], v[97:98], v[97:98], 1.0
	v_div_scale_f64 v[107:108], vcc, 1.0, v[97:98], 1.0
	v_rcp_f64_e32 v[101:102], v[99:100]
	v_fma_f64 v[105:106], -v[99:100], v[101:102], 1.0
	v_fma_f64 v[101:102], v[101:102], v[105:106], v[101:102]
	v_fma_f64 v[105:106], -v[99:100], v[101:102], 1.0
	v_fma_f64 v[101:102], v[101:102], v[105:106], v[101:102]
	v_mul_f64 v[105:106], v[107:108], v[101:102]
	v_fma_f64 v[99:100], -v[99:100], v[105:106], v[107:108]
	v_div_fmas_f64 v[99:100], v[99:100], v[101:102], v[105:106]
	v_div_fixup_f64 v[101:102], v[99:100], v[97:98], 1.0
	v_mul_f64 v[103:104], v[103:104], -v[101:102]
.LBB81_268:
	s_or_b64 exec, exec, s[2:3]
	ds_write2_b64 v127, v[101:102], v[103:104] offset1:1
.LBB81_269:
	s_or_b64 exec, exec, s[4:5]
	s_waitcnt lgkmcnt(0)
	s_barrier
	ds_read2_b64 v[77:80], v127 offset1:1
	v_cmp_lt_u32_e32 vcc, 29, v0
	s_waitcnt lgkmcnt(0)
	buffer_store_dword v77, off, s[20:23], 0 offset:1184 ; 4-byte Folded Spill
	s_nop 0
	buffer_store_dword v78, off, s[20:23], 0 offset:1188 ; 4-byte Folded Spill
	buffer_store_dword v79, off, s[20:23], 0 offset:1192 ; 4-byte Folded Spill
	;; [unrolled: 1-line block ×3, first 2 shown]
	s_and_saveexec_b64 s[2:3], vcc
	s_cbranch_execz .LBB81_271
; %bb.270:
	buffer_load_dword v77, off, s[20:23], 0 offset:1184 ; 4-byte Folded Reload
	buffer_load_dword v78, off, s[20:23], 0 offset:1188 ; 4-byte Folded Reload
	;; [unrolled: 1-line block ×4, first 2 shown]
	ds_read2_b64 v[99:102], v125 offset0:60 offset1:61
	s_waitcnt vmcnt(2)
	v_mul_f64 v[97:98], v[77:78], v[43:44]
	s_waitcnt vmcnt(0)
	v_mul_f64 v[43:44], v[79:80], v[43:44]
	v_fma_f64 v[97:98], v[79:80], v[41:42], v[97:98]
	v_fma_f64 v[41:42], v[77:78], v[41:42], -v[43:44]
	s_waitcnt lgkmcnt(0)
	v_mul_f64 v[43:44], v[101:102], v[97:98]
	v_fma_f64 v[43:44], v[99:100], v[41:42], -v[43:44]
	v_mul_f64 v[99:100], v[99:100], v[97:98]
	v_add_f64 v[37:38], v[37:38], -v[43:44]
	v_fma_f64 v[99:100], v[101:102], v[41:42], v[99:100]
	v_add_f64 v[39:40], v[39:40], -v[99:100]
	ds_read2_b64 v[99:102], v125 offset0:62 offset1:63
	s_waitcnt lgkmcnt(0)
	v_mul_f64 v[43:44], v[101:102], v[97:98]
	v_fma_f64 v[43:44], v[99:100], v[41:42], -v[43:44]
	v_mul_f64 v[99:100], v[99:100], v[97:98]
	v_add_f64 v[33:34], v[33:34], -v[43:44]
	v_fma_f64 v[99:100], v[101:102], v[41:42], v[99:100]
	v_add_f64 v[35:36], v[35:36], -v[99:100]
	ds_read2_b64 v[99:102], v125 offset0:64 offset1:65
	;; [unrolled: 8-line block ×10, first 2 shown]
	s_waitcnt lgkmcnt(0)
	v_mul_f64 v[43:44], v[101:102], v[97:98]
	v_fma_f64 v[43:44], v[99:100], v[41:42], -v[43:44]
	v_mul_f64 v[99:100], v[99:100], v[97:98]
	v_add_f64 v[81:82], v[81:82], -v[43:44]
	v_fma_f64 v[99:100], v[101:102], v[41:42], v[99:100]
	v_mov_b32_e32 v43, v97
	v_mov_b32_e32 v44, v98
	v_add_f64 v[83:84], v[83:84], -v[99:100]
.LBB81_271:
	s_or_b64 exec, exec, s[2:3]
	v_cmp_eq_u32_e32 vcc, 30, v0
	s_waitcnt vmcnt(0)
	s_barrier
	s_and_saveexec_b64 s[4:5], vcc
	s_cbranch_execz .LBB81_278
; %bb.272:
	ds_write2_b64 v127, v[37:38], v[39:40] offset1:1
	ds_write2_b64 v125, v[33:34], v[35:36] offset0:62 offset1:63
	ds_write2_b64 v125, v[29:30], v[31:32] offset0:64 offset1:65
	ds_write2_b64 v125, v[25:26], v[27:28] offset0:66 offset1:67
	ds_write2_b64 v125, v[21:22], v[23:24] offset0:68 offset1:69
	ds_write2_b64 v125, v[17:18], v[19:20] offset0:70 offset1:71
	ds_write2_b64 v125, v[13:14], v[15:16] offset0:72 offset1:73
	ds_write2_b64 v125, v[9:10], v[11:12] offset0:74 offset1:75
	ds_write2_b64 v125, v[5:6], v[7:8] offset0:76 offset1:77
	ds_write2_b64 v125, v[1:2], v[3:4] offset0:78 offset1:79
	ds_write2_b64 v125, v[81:82], v[83:84] offset0:80 offset1:81
	ds_read2_b64 v[97:100], v127 offset1:1
	s_waitcnt lgkmcnt(0)
	v_cmp_neq_f64_e32 vcc, 0, v[97:98]
	v_cmp_neq_f64_e64 s[2:3], 0, v[99:100]
	s_or_b64 s[2:3], vcc, s[2:3]
	s_and_b64 exec, exec, s[2:3]
	s_cbranch_execz .LBB81_278
; %bb.273:
	v_cmp_ngt_f64_e64 s[2:3], |v[97:98]|, |v[99:100]|
                                        ; implicit-def: $vgpr101_vgpr102
	s_and_saveexec_b64 s[6:7], s[2:3]
	s_xor_b64 s[2:3], exec, s[6:7]
                                        ; implicit-def: $vgpr103_vgpr104
	s_cbranch_execz .LBB81_275
; %bb.274:
	v_div_scale_f64 v[101:102], s[6:7], v[99:100], v[99:100], v[97:98]
	v_rcp_f64_e32 v[103:104], v[101:102]
	v_fma_f64 v[105:106], -v[101:102], v[103:104], 1.0
	v_fma_f64 v[103:104], v[103:104], v[105:106], v[103:104]
	v_div_scale_f64 v[105:106], vcc, v[97:98], v[99:100], v[97:98]
	v_fma_f64 v[107:108], -v[101:102], v[103:104], 1.0
	v_fma_f64 v[103:104], v[103:104], v[107:108], v[103:104]
	v_mul_f64 v[107:108], v[105:106], v[103:104]
	v_fma_f64 v[101:102], -v[101:102], v[107:108], v[105:106]
	v_div_fmas_f64 v[101:102], v[101:102], v[103:104], v[107:108]
	v_div_fixup_f64 v[101:102], v[101:102], v[99:100], v[97:98]
	v_fma_f64 v[97:98], v[97:98], v[101:102], v[99:100]
	v_div_scale_f64 v[99:100], s[6:7], v[97:98], v[97:98], 1.0
	v_div_scale_f64 v[107:108], vcc, 1.0, v[97:98], 1.0
	v_rcp_f64_e32 v[103:104], v[99:100]
	v_fma_f64 v[105:106], -v[99:100], v[103:104], 1.0
	v_fma_f64 v[103:104], v[103:104], v[105:106], v[103:104]
	v_fma_f64 v[105:106], -v[99:100], v[103:104], 1.0
	v_fma_f64 v[103:104], v[103:104], v[105:106], v[103:104]
	v_mul_f64 v[105:106], v[107:108], v[103:104]
	v_fma_f64 v[99:100], -v[99:100], v[105:106], v[107:108]
	v_div_fmas_f64 v[99:100], v[99:100], v[103:104], v[105:106]
	v_div_fixup_f64 v[103:104], v[99:100], v[97:98], 1.0
                                        ; implicit-def: $vgpr97_vgpr98
	v_mul_f64 v[101:102], v[101:102], v[103:104]
	v_xor_b32_e32 v104, 0x80000000, v104
.LBB81_275:
	s_andn2_saveexec_b64 s[2:3], s[2:3]
	s_cbranch_execz .LBB81_277
; %bb.276:
	v_div_scale_f64 v[101:102], s[6:7], v[97:98], v[97:98], v[99:100]
	v_rcp_f64_e32 v[103:104], v[101:102]
	v_fma_f64 v[105:106], -v[101:102], v[103:104], 1.0
	v_fma_f64 v[103:104], v[103:104], v[105:106], v[103:104]
	v_div_scale_f64 v[105:106], vcc, v[99:100], v[97:98], v[99:100]
	v_fma_f64 v[107:108], -v[101:102], v[103:104], 1.0
	v_fma_f64 v[103:104], v[103:104], v[107:108], v[103:104]
	v_mul_f64 v[107:108], v[105:106], v[103:104]
	v_fma_f64 v[101:102], -v[101:102], v[107:108], v[105:106]
	v_div_fmas_f64 v[101:102], v[101:102], v[103:104], v[107:108]
	v_div_fixup_f64 v[103:104], v[101:102], v[97:98], v[99:100]
	v_fma_f64 v[97:98], v[99:100], v[103:104], v[97:98]
	v_div_scale_f64 v[99:100], s[6:7], v[97:98], v[97:98], 1.0
	v_div_scale_f64 v[107:108], vcc, 1.0, v[97:98], 1.0
	v_rcp_f64_e32 v[101:102], v[99:100]
	v_fma_f64 v[105:106], -v[99:100], v[101:102], 1.0
	v_fma_f64 v[101:102], v[101:102], v[105:106], v[101:102]
	v_fma_f64 v[105:106], -v[99:100], v[101:102], 1.0
	v_fma_f64 v[101:102], v[101:102], v[105:106], v[101:102]
	v_mul_f64 v[105:106], v[107:108], v[101:102]
	v_fma_f64 v[99:100], -v[99:100], v[105:106], v[107:108]
	v_div_fmas_f64 v[99:100], v[99:100], v[101:102], v[105:106]
	v_div_fixup_f64 v[101:102], v[99:100], v[97:98], 1.0
	v_mul_f64 v[103:104], v[103:104], -v[101:102]
.LBB81_277:
	s_or_b64 exec, exec, s[2:3]
	ds_write2_b64 v127, v[101:102], v[103:104] offset1:1
.LBB81_278:
	s_or_b64 exec, exec, s[4:5]
	s_waitcnt lgkmcnt(0)
	s_barrier
	ds_read2_b64 v[77:80], v127 offset1:1
	v_cmp_lt_u32_e32 vcc, 30, v0
	s_waitcnt lgkmcnt(0)
	buffer_store_dword v77, off, s[20:23], 0 offset:1200 ; 4-byte Folded Spill
	s_nop 0
	buffer_store_dword v78, off, s[20:23], 0 offset:1204 ; 4-byte Folded Spill
	buffer_store_dword v79, off, s[20:23], 0 offset:1208 ; 4-byte Folded Spill
	;; [unrolled: 1-line block ×3, first 2 shown]
	s_and_saveexec_b64 s[2:3], vcc
	s_cbranch_execz .LBB81_280
; %bb.279:
	buffer_load_dword v77, off, s[20:23], 0 offset:1200 ; 4-byte Folded Reload
	buffer_load_dword v78, off, s[20:23], 0 offset:1204 ; 4-byte Folded Reload
	;; [unrolled: 1-line block ×4, first 2 shown]
	ds_read2_b64 v[99:102], v125 offset0:62 offset1:63
	s_waitcnt vmcnt(2)
	v_mul_f64 v[97:98], v[77:78], v[39:40]
	s_waitcnt vmcnt(0)
	v_mul_f64 v[39:40], v[79:80], v[39:40]
	v_fma_f64 v[97:98], v[79:80], v[37:38], v[97:98]
	v_fma_f64 v[37:38], v[77:78], v[37:38], -v[39:40]
	s_waitcnt lgkmcnt(0)
	v_mul_f64 v[39:40], v[101:102], v[97:98]
	v_fma_f64 v[39:40], v[99:100], v[37:38], -v[39:40]
	v_mul_f64 v[99:100], v[99:100], v[97:98]
	v_add_f64 v[33:34], v[33:34], -v[39:40]
	v_fma_f64 v[99:100], v[101:102], v[37:38], v[99:100]
	v_add_f64 v[35:36], v[35:36], -v[99:100]
	ds_read2_b64 v[99:102], v125 offset0:64 offset1:65
	s_waitcnt lgkmcnt(0)
	v_mul_f64 v[39:40], v[101:102], v[97:98]
	v_fma_f64 v[39:40], v[99:100], v[37:38], -v[39:40]
	v_mul_f64 v[99:100], v[99:100], v[97:98]
	v_add_f64 v[29:30], v[29:30], -v[39:40]
	v_fma_f64 v[99:100], v[101:102], v[37:38], v[99:100]
	v_add_f64 v[31:32], v[31:32], -v[99:100]
	ds_read2_b64 v[99:102], v125 offset0:66 offset1:67
	;; [unrolled: 8-line block ×9, first 2 shown]
	s_waitcnt lgkmcnt(0)
	v_mul_f64 v[39:40], v[101:102], v[97:98]
	v_fma_f64 v[39:40], v[99:100], v[37:38], -v[39:40]
	v_mul_f64 v[99:100], v[99:100], v[97:98]
	v_add_f64 v[81:82], v[81:82], -v[39:40]
	v_fma_f64 v[99:100], v[101:102], v[37:38], v[99:100]
	v_mov_b32_e32 v39, v97
	v_mov_b32_e32 v40, v98
	v_add_f64 v[83:84], v[83:84], -v[99:100]
.LBB81_280:
	s_or_b64 exec, exec, s[2:3]
	v_cmp_eq_u32_e32 vcc, 31, v0
	s_waitcnt vmcnt(0)
	s_barrier
	s_and_saveexec_b64 s[4:5], vcc
	s_cbranch_execz .LBB81_287
; %bb.281:
	ds_write2_b64 v127, v[33:34], v[35:36] offset1:1
	ds_write2_b64 v125, v[29:30], v[31:32] offset0:64 offset1:65
	ds_write2_b64 v125, v[25:26], v[27:28] offset0:66 offset1:67
	;; [unrolled: 1-line block ×9, first 2 shown]
	ds_read2_b64 v[97:100], v127 offset1:1
	s_waitcnt lgkmcnt(0)
	v_cmp_neq_f64_e32 vcc, 0, v[97:98]
	v_cmp_neq_f64_e64 s[2:3], 0, v[99:100]
	s_or_b64 s[2:3], vcc, s[2:3]
	s_and_b64 exec, exec, s[2:3]
	s_cbranch_execz .LBB81_287
; %bb.282:
	v_cmp_ngt_f64_e64 s[2:3], |v[97:98]|, |v[99:100]|
                                        ; implicit-def: $vgpr101_vgpr102
	s_and_saveexec_b64 s[6:7], s[2:3]
	s_xor_b64 s[2:3], exec, s[6:7]
                                        ; implicit-def: $vgpr103_vgpr104
	s_cbranch_execz .LBB81_284
; %bb.283:
	v_div_scale_f64 v[101:102], s[6:7], v[99:100], v[99:100], v[97:98]
	v_rcp_f64_e32 v[103:104], v[101:102]
	v_fma_f64 v[105:106], -v[101:102], v[103:104], 1.0
	v_fma_f64 v[103:104], v[103:104], v[105:106], v[103:104]
	v_div_scale_f64 v[105:106], vcc, v[97:98], v[99:100], v[97:98]
	v_fma_f64 v[107:108], -v[101:102], v[103:104], 1.0
	v_fma_f64 v[103:104], v[103:104], v[107:108], v[103:104]
	v_mul_f64 v[107:108], v[105:106], v[103:104]
	v_fma_f64 v[101:102], -v[101:102], v[107:108], v[105:106]
	v_div_fmas_f64 v[101:102], v[101:102], v[103:104], v[107:108]
	v_div_fixup_f64 v[101:102], v[101:102], v[99:100], v[97:98]
	v_fma_f64 v[97:98], v[97:98], v[101:102], v[99:100]
	v_div_scale_f64 v[99:100], s[6:7], v[97:98], v[97:98], 1.0
	v_div_scale_f64 v[107:108], vcc, 1.0, v[97:98], 1.0
	v_rcp_f64_e32 v[103:104], v[99:100]
	v_fma_f64 v[105:106], -v[99:100], v[103:104], 1.0
	v_fma_f64 v[103:104], v[103:104], v[105:106], v[103:104]
	v_fma_f64 v[105:106], -v[99:100], v[103:104], 1.0
	v_fma_f64 v[103:104], v[103:104], v[105:106], v[103:104]
	v_mul_f64 v[105:106], v[107:108], v[103:104]
	v_fma_f64 v[99:100], -v[99:100], v[105:106], v[107:108]
	v_div_fmas_f64 v[99:100], v[99:100], v[103:104], v[105:106]
	v_div_fixup_f64 v[103:104], v[99:100], v[97:98], 1.0
                                        ; implicit-def: $vgpr97_vgpr98
	v_mul_f64 v[101:102], v[101:102], v[103:104]
	v_xor_b32_e32 v104, 0x80000000, v104
.LBB81_284:
	s_andn2_saveexec_b64 s[2:3], s[2:3]
	s_cbranch_execz .LBB81_286
; %bb.285:
	v_div_scale_f64 v[101:102], s[6:7], v[97:98], v[97:98], v[99:100]
	v_rcp_f64_e32 v[103:104], v[101:102]
	v_fma_f64 v[105:106], -v[101:102], v[103:104], 1.0
	v_fma_f64 v[103:104], v[103:104], v[105:106], v[103:104]
	v_div_scale_f64 v[105:106], vcc, v[99:100], v[97:98], v[99:100]
	v_fma_f64 v[107:108], -v[101:102], v[103:104], 1.0
	v_fma_f64 v[103:104], v[103:104], v[107:108], v[103:104]
	v_mul_f64 v[107:108], v[105:106], v[103:104]
	v_fma_f64 v[101:102], -v[101:102], v[107:108], v[105:106]
	v_div_fmas_f64 v[101:102], v[101:102], v[103:104], v[107:108]
	v_div_fixup_f64 v[103:104], v[101:102], v[97:98], v[99:100]
	v_fma_f64 v[97:98], v[99:100], v[103:104], v[97:98]
	v_div_scale_f64 v[99:100], s[6:7], v[97:98], v[97:98], 1.0
	v_div_scale_f64 v[107:108], vcc, 1.0, v[97:98], 1.0
	v_rcp_f64_e32 v[101:102], v[99:100]
	v_fma_f64 v[105:106], -v[99:100], v[101:102], 1.0
	v_fma_f64 v[101:102], v[101:102], v[105:106], v[101:102]
	v_fma_f64 v[105:106], -v[99:100], v[101:102], 1.0
	v_fma_f64 v[101:102], v[101:102], v[105:106], v[101:102]
	v_mul_f64 v[105:106], v[107:108], v[101:102]
	v_fma_f64 v[99:100], -v[99:100], v[105:106], v[107:108]
	v_div_fmas_f64 v[99:100], v[99:100], v[101:102], v[105:106]
	v_div_fixup_f64 v[101:102], v[99:100], v[97:98], 1.0
	v_mul_f64 v[103:104], v[103:104], -v[101:102]
.LBB81_286:
	s_or_b64 exec, exec, s[2:3]
	ds_write2_b64 v127, v[101:102], v[103:104] offset1:1
.LBB81_287:
	s_or_b64 exec, exec, s[4:5]
	s_waitcnt lgkmcnt(0)
	s_barrier
	ds_read2_b64 v[77:80], v127 offset1:1
	v_cmp_lt_u32_e32 vcc, 31, v0
	s_waitcnt lgkmcnt(0)
	buffer_store_dword v77, off, s[20:23], 0 offset:1216 ; 4-byte Folded Spill
	s_nop 0
	buffer_store_dword v78, off, s[20:23], 0 offset:1220 ; 4-byte Folded Spill
	buffer_store_dword v79, off, s[20:23], 0 offset:1224 ; 4-byte Folded Spill
	buffer_store_dword v80, off, s[20:23], 0 offset:1228 ; 4-byte Folded Spill
	s_and_saveexec_b64 s[2:3], vcc
	s_cbranch_execz .LBB81_289
; %bb.288:
	buffer_load_dword v77, off, s[20:23], 0 offset:1216 ; 4-byte Folded Reload
	buffer_load_dword v78, off, s[20:23], 0 offset:1220 ; 4-byte Folded Reload
	;; [unrolled: 1-line block ×4, first 2 shown]
	ds_read2_b64 v[99:102], v125 offset0:64 offset1:65
	s_waitcnt vmcnt(2)
	v_mul_f64 v[97:98], v[77:78], v[35:36]
	s_waitcnt vmcnt(0)
	v_mul_f64 v[35:36], v[79:80], v[35:36]
	v_fma_f64 v[97:98], v[79:80], v[33:34], v[97:98]
	v_fma_f64 v[33:34], v[77:78], v[33:34], -v[35:36]
	s_waitcnt lgkmcnt(0)
	v_mul_f64 v[35:36], v[101:102], v[97:98]
	v_fma_f64 v[35:36], v[99:100], v[33:34], -v[35:36]
	v_mul_f64 v[99:100], v[99:100], v[97:98]
	v_add_f64 v[29:30], v[29:30], -v[35:36]
	v_fma_f64 v[99:100], v[101:102], v[33:34], v[99:100]
	v_add_f64 v[31:32], v[31:32], -v[99:100]
	ds_read2_b64 v[99:102], v125 offset0:66 offset1:67
	s_waitcnt lgkmcnt(0)
	v_mul_f64 v[35:36], v[101:102], v[97:98]
	v_fma_f64 v[35:36], v[99:100], v[33:34], -v[35:36]
	v_mul_f64 v[99:100], v[99:100], v[97:98]
	v_add_f64 v[25:26], v[25:26], -v[35:36]
	v_fma_f64 v[99:100], v[101:102], v[33:34], v[99:100]
	v_add_f64 v[27:28], v[27:28], -v[99:100]
	ds_read2_b64 v[99:102], v125 offset0:68 offset1:69
	;; [unrolled: 8-line block ×8, first 2 shown]
	s_waitcnt lgkmcnt(0)
	v_mul_f64 v[35:36], v[101:102], v[97:98]
	v_fma_f64 v[35:36], v[99:100], v[33:34], -v[35:36]
	v_mul_f64 v[99:100], v[99:100], v[97:98]
	v_add_f64 v[81:82], v[81:82], -v[35:36]
	v_fma_f64 v[99:100], v[101:102], v[33:34], v[99:100]
	v_mov_b32_e32 v35, v97
	v_mov_b32_e32 v36, v98
	v_add_f64 v[83:84], v[83:84], -v[99:100]
.LBB81_289:
	s_or_b64 exec, exec, s[2:3]
	v_cmp_eq_u32_e32 vcc, 32, v0
	s_waitcnt vmcnt(0)
	s_barrier
	s_and_saveexec_b64 s[4:5], vcc
	s_cbranch_execz .LBB81_296
; %bb.290:
	ds_write2_b64 v127, v[29:30], v[31:32] offset1:1
	ds_write2_b64 v125, v[25:26], v[27:28] offset0:66 offset1:67
	ds_write2_b64 v125, v[21:22], v[23:24] offset0:68 offset1:69
	;; [unrolled: 1-line block ×8, first 2 shown]
	ds_read2_b64 v[97:100], v127 offset1:1
	s_waitcnt lgkmcnt(0)
	v_cmp_neq_f64_e32 vcc, 0, v[97:98]
	v_cmp_neq_f64_e64 s[2:3], 0, v[99:100]
	s_or_b64 s[2:3], vcc, s[2:3]
	s_and_b64 exec, exec, s[2:3]
	s_cbranch_execz .LBB81_296
; %bb.291:
	v_cmp_ngt_f64_e64 s[2:3], |v[97:98]|, |v[99:100]|
                                        ; implicit-def: $vgpr101_vgpr102
	s_and_saveexec_b64 s[6:7], s[2:3]
	s_xor_b64 s[2:3], exec, s[6:7]
                                        ; implicit-def: $vgpr103_vgpr104
	s_cbranch_execz .LBB81_293
; %bb.292:
	v_div_scale_f64 v[101:102], s[6:7], v[99:100], v[99:100], v[97:98]
	v_rcp_f64_e32 v[103:104], v[101:102]
	v_fma_f64 v[105:106], -v[101:102], v[103:104], 1.0
	v_fma_f64 v[103:104], v[103:104], v[105:106], v[103:104]
	v_div_scale_f64 v[105:106], vcc, v[97:98], v[99:100], v[97:98]
	v_fma_f64 v[107:108], -v[101:102], v[103:104], 1.0
	v_fma_f64 v[103:104], v[103:104], v[107:108], v[103:104]
	v_mul_f64 v[107:108], v[105:106], v[103:104]
	v_fma_f64 v[101:102], -v[101:102], v[107:108], v[105:106]
	v_div_fmas_f64 v[101:102], v[101:102], v[103:104], v[107:108]
	v_div_fixup_f64 v[101:102], v[101:102], v[99:100], v[97:98]
	v_fma_f64 v[97:98], v[97:98], v[101:102], v[99:100]
	v_div_scale_f64 v[99:100], s[6:7], v[97:98], v[97:98], 1.0
	v_div_scale_f64 v[107:108], vcc, 1.0, v[97:98], 1.0
	v_rcp_f64_e32 v[103:104], v[99:100]
	v_fma_f64 v[105:106], -v[99:100], v[103:104], 1.0
	v_fma_f64 v[103:104], v[103:104], v[105:106], v[103:104]
	v_fma_f64 v[105:106], -v[99:100], v[103:104], 1.0
	v_fma_f64 v[103:104], v[103:104], v[105:106], v[103:104]
	v_mul_f64 v[105:106], v[107:108], v[103:104]
	v_fma_f64 v[99:100], -v[99:100], v[105:106], v[107:108]
	v_div_fmas_f64 v[99:100], v[99:100], v[103:104], v[105:106]
	v_div_fixup_f64 v[103:104], v[99:100], v[97:98], 1.0
                                        ; implicit-def: $vgpr97_vgpr98
	v_mul_f64 v[101:102], v[101:102], v[103:104]
	v_xor_b32_e32 v104, 0x80000000, v104
.LBB81_293:
	s_andn2_saveexec_b64 s[2:3], s[2:3]
	s_cbranch_execz .LBB81_295
; %bb.294:
	v_div_scale_f64 v[101:102], s[6:7], v[97:98], v[97:98], v[99:100]
	v_rcp_f64_e32 v[103:104], v[101:102]
	v_fma_f64 v[105:106], -v[101:102], v[103:104], 1.0
	v_fma_f64 v[103:104], v[103:104], v[105:106], v[103:104]
	v_div_scale_f64 v[105:106], vcc, v[99:100], v[97:98], v[99:100]
	v_fma_f64 v[107:108], -v[101:102], v[103:104], 1.0
	v_fma_f64 v[103:104], v[103:104], v[107:108], v[103:104]
	v_mul_f64 v[107:108], v[105:106], v[103:104]
	v_fma_f64 v[101:102], -v[101:102], v[107:108], v[105:106]
	v_div_fmas_f64 v[101:102], v[101:102], v[103:104], v[107:108]
	v_div_fixup_f64 v[103:104], v[101:102], v[97:98], v[99:100]
	v_fma_f64 v[97:98], v[99:100], v[103:104], v[97:98]
	v_div_scale_f64 v[99:100], s[6:7], v[97:98], v[97:98], 1.0
	v_div_scale_f64 v[107:108], vcc, 1.0, v[97:98], 1.0
	v_rcp_f64_e32 v[101:102], v[99:100]
	v_fma_f64 v[105:106], -v[99:100], v[101:102], 1.0
	v_fma_f64 v[101:102], v[101:102], v[105:106], v[101:102]
	v_fma_f64 v[105:106], -v[99:100], v[101:102], 1.0
	v_fma_f64 v[101:102], v[101:102], v[105:106], v[101:102]
	v_mul_f64 v[105:106], v[107:108], v[101:102]
	v_fma_f64 v[99:100], -v[99:100], v[105:106], v[107:108]
	v_div_fmas_f64 v[99:100], v[99:100], v[101:102], v[105:106]
	v_div_fixup_f64 v[101:102], v[99:100], v[97:98], 1.0
	v_mul_f64 v[103:104], v[103:104], -v[101:102]
.LBB81_295:
	s_or_b64 exec, exec, s[2:3]
	ds_write2_b64 v127, v[101:102], v[103:104] offset1:1
.LBB81_296:
	s_or_b64 exec, exec, s[4:5]
	s_waitcnt lgkmcnt(0)
	s_barrier
	ds_read2_b64 v[77:80], v127 offset1:1
	v_cmp_lt_u32_e32 vcc, 32, v0
	s_waitcnt lgkmcnt(0)
	buffer_store_dword v77, off, s[20:23], 0 offset:1232 ; 4-byte Folded Spill
	s_nop 0
	buffer_store_dword v78, off, s[20:23], 0 offset:1236 ; 4-byte Folded Spill
	buffer_store_dword v79, off, s[20:23], 0 offset:1240 ; 4-byte Folded Spill
	;; [unrolled: 1-line block ×3, first 2 shown]
	s_and_saveexec_b64 s[2:3], vcc
	s_cbranch_execz .LBB81_298
; %bb.297:
	buffer_load_dword v77, off, s[20:23], 0 offset:1232 ; 4-byte Folded Reload
	buffer_load_dword v78, off, s[20:23], 0 offset:1236 ; 4-byte Folded Reload
	;; [unrolled: 1-line block ×4, first 2 shown]
	ds_read2_b64 v[99:102], v125 offset0:66 offset1:67
	s_waitcnt vmcnt(2)
	v_mul_f64 v[97:98], v[77:78], v[31:32]
	s_waitcnt vmcnt(0)
	v_mul_f64 v[31:32], v[79:80], v[31:32]
	v_fma_f64 v[97:98], v[79:80], v[29:30], v[97:98]
	v_fma_f64 v[29:30], v[77:78], v[29:30], -v[31:32]
	s_waitcnt lgkmcnt(0)
	v_mul_f64 v[31:32], v[101:102], v[97:98]
	v_fma_f64 v[31:32], v[99:100], v[29:30], -v[31:32]
	v_mul_f64 v[99:100], v[99:100], v[97:98]
	v_add_f64 v[25:26], v[25:26], -v[31:32]
	v_fma_f64 v[99:100], v[101:102], v[29:30], v[99:100]
	v_add_f64 v[27:28], v[27:28], -v[99:100]
	ds_read2_b64 v[99:102], v125 offset0:68 offset1:69
	s_waitcnt lgkmcnt(0)
	v_mul_f64 v[31:32], v[101:102], v[97:98]
	v_fma_f64 v[31:32], v[99:100], v[29:30], -v[31:32]
	v_mul_f64 v[99:100], v[99:100], v[97:98]
	v_add_f64 v[21:22], v[21:22], -v[31:32]
	v_fma_f64 v[99:100], v[101:102], v[29:30], v[99:100]
	v_add_f64 v[23:24], v[23:24], -v[99:100]
	ds_read2_b64 v[99:102], v125 offset0:70 offset1:71
	;; [unrolled: 8-line block ×7, first 2 shown]
	s_waitcnt lgkmcnt(0)
	v_mul_f64 v[31:32], v[101:102], v[97:98]
	v_fma_f64 v[31:32], v[99:100], v[29:30], -v[31:32]
	v_mul_f64 v[99:100], v[99:100], v[97:98]
	v_add_f64 v[81:82], v[81:82], -v[31:32]
	v_fma_f64 v[99:100], v[101:102], v[29:30], v[99:100]
	v_mov_b32_e32 v31, v97
	v_mov_b32_e32 v32, v98
	v_add_f64 v[83:84], v[83:84], -v[99:100]
.LBB81_298:
	s_or_b64 exec, exec, s[2:3]
	v_cmp_eq_u32_e32 vcc, 33, v0
	s_waitcnt vmcnt(0)
	s_barrier
	s_and_saveexec_b64 s[4:5], vcc
	s_cbranch_execz .LBB81_305
; %bb.299:
	ds_write2_b64 v127, v[25:26], v[27:28] offset1:1
	ds_write2_b64 v125, v[21:22], v[23:24] offset0:68 offset1:69
	ds_write2_b64 v125, v[17:18], v[19:20] offset0:70 offset1:71
	;; [unrolled: 1-line block ×7, first 2 shown]
	ds_read2_b64 v[97:100], v127 offset1:1
	s_waitcnt lgkmcnt(0)
	v_cmp_neq_f64_e32 vcc, 0, v[97:98]
	v_cmp_neq_f64_e64 s[2:3], 0, v[99:100]
	s_or_b64 s[2:3], vcc, s[2:3]
	s_and_b64 exec, exec, s[2:3]
	s_cbranch_execz .LBB81_305
; %bb.300:
	v_cmp_ngt_f64_e64 s[2:3], |v[97:98]|, |v[99:100]|
                                        ; implicit-def: $vgpr101_vgpr102
	s_and_saveexec_b64 s[6:7], s[2:3]
	s_xor_b64 s[2:3], exec, s[6:7]
                                        ; implicit-def: $vgpr103_vgpr104
	s_cbranch_execz .LBB81_302
; %bb.301:
	v_div_scale_f64 v[101:102], s[6:7], v[99:100], v[99:100], v[97:98]
	v_rcp_f64_e32 v[103:104], v[101:102]
	v_fma_f64 v[105:106], -v[101:102], v[103:104], 1.0
	v_fma_f64 v[103:104], v[103:104], v[105:106], v[103:104]
	v_div_scale_f64 v[105:106], vcc, v[97:98], v[99:100], v[97:98]
	v_fma_f64 v[107:108], -v[101:102], v[103:104], 1.0
	v_fma_f64 v[103:104], v[103:104], v[107:108], v[103:104]
	v_mul_f64 v[107:108], v[105:106], v[103:104]
	v_fma_f64 v[101:102], -v[101:102], v[107:108], v[105:106]
	v_div_fmas_f64 v[101:102], v[101:102], v[103:104], v[107:108]
	v_div_fixup_f64 v[101:102], v[101:102], v[99:100], v[97:98]
	v_fma_f64 v[97:98], v[97:98], v[101:102], v[99:100]
	v_div_scale_f64 v[99:100], s[6:7], v[97:98], v[97:98], 1.0
	v_div_scale_f64 v[107:108], vcc, 1.0, v[97:98], 1.0
	v_rcp_f64_e32 v[103:104], v[99:100]
	v_fma_f64 v[105:106], -v[99:100], v[103:104], 1.0
	v_fma_f64 v[103:104], v[103:104], v[105:106], v[103:104]
	v_fma_f64 v[105:106], -v[99:100], v[103:104], 1.0
	v_fma_f64 v[103:104], v[103:104], v[105:106], v[103:104]
	v_mul_f64 v[105:106], v[107:108], v[103:104]
	v_fma_f64 v[99:100], -v[99:100], v[105:106], v[107:108]
	v_div_fmas_f64 v[99:100], v[99:100], v[103:104], v[105:106]
	v_div_fixup_f64 v[103:104], v[99:100], v[97:98], 1.0
                                        ; implicit-def: $vgpr97_vgpr98
	v_mul_f64 v[101:102], v[101:102], v[103:104]
	v_xor_b32_e32 v104, 0x80000000, v104
.LBB81_302:
	s_andn2_saveexec_b64 s[2:3], s[2:3]
	s_cbranch_execz .LBB81_304
; %bb.303:
	v_div_scale_f64 v[101:102], s[6:7], v[97:98], v[97:98], v[99:100]
	v_rcp_f64_e32 v[103:104], v[101:102]
	v_fma_f64 v[105:106], -v[101:102], v[103:104], 1.0
	v_fma_f64 v[103:104], v[103:104], v[105:106], v[103:104]
	v_div_scale_f64 v[105:106], vcc, v[99:100], v[97:98], v[99:100]
	v_fma_f64 v[107:108], -v[101:102], v[103:104], 1.0
	v_fma_f64 v[103:104], v[103:104], v[107:108], v[103:104]
	v_mul_f64 v[107:108], v[105:106], v[103:104]
	v_fma_f64 v[101:102], -v[101:102], v[107:108], v[105:106]
	v_div_fmas_f64 v[101:102], v[101:102], v[103:104], v[107:108]
	v_div_fixup_f64 v[103:104], v[101:102], v[97:98], v[99:100]
	v_fma_f64 v[97:98], v[99:100], v[103:104], v[97:98]
	v_div_scale_f64 v[99:100], s[6:7], v[97:98], v[97:98], 1.0
	v_div_scale_f64 v[107:108], vcc, 1.0, v[97:98], 1.0
	v_rcp_f64_e32 v[101:102], v[99:100]
	v_fma_f64 v[105:106], -v[99:100], v[101:102], 1.0
	v_fma_f64 v[101:102], v[101:102], v[105:106], v[101:102]
	v_fma_f64 v[105:106], -v[99:100], v[101:102], 1.0
	v_fma_f64 v[101:102], v[101:102], v[105:106], v[101:102]
	v_mul_f64 v[105:106], v[107:108], v[101:102]
	v_fma_f64 v[99:100], -v[99:100], v[105:106], v[107:108]
	v_div_fmas_f64 v[99:100], v[99:100], v[101:102], v[105:106]
	v_div_fixup_f64 v[101:102], v[99:100], v[97:98], 1.0
	v_mul_f64 v[103:104], v[103:104], -v[101:102]
.LBB81_304:
	s_or_b64 exec, exec, s[2:3]
	ds_write2_b64 v127, v[101:102], v[103:104] offset1:1
.LBB81_305:
	s_or_b64 exec, exec, s[4:5]
	s_waitcnt lgkmcnt(0)
	s_barrier
	ds_read2_b64 v[77:80], v127 offset1:1
	v_cmp_lt_u32_e32 vcc, 33, v0
	s_waitcnt lgkmcnt(0)
	buffer_store_dword v77, off, s[20:23], 0 offset:1248 ; 4-byte Folded Spill
	s_nop 0
	buffer_store_dword v78, off, s[20:23], 0 offset:1252 ; 4-byte Folded Spill
	buffer_store_dword v79, off, s[20:23], 0 offset:1256 ; 4-byte Folded Spill
	;; [unrolled: 1-line block ×3, first 2 shown]
	s_and_saveexec_b64 s[2:3], vcc
	s_cbranch_execz .LBB81_307
; %bb.306:
	buffer_load_dword v77, off, s[20:23], 0 offset:1248 ; 4-byte Folded Reload
	buffer_load_dword v78, off, s[20:23], 0 offset:1252 ; 4-byte Folded Reload
	;; [unrolled: 1-line block ×4, first 2 shown]
	ds_read2_b64 v[99:102], v125 offset0:68 offset1:69
	s_waitcnt vmcnt(2)
	v_mul_f64 v[97:98], v[77:78], v[27:28]
	s_waitcnt vmcnt(0)
	v_mul_f64 v[27:28], v[79:80], v[27:28]
	v_fma_f64 v[97:98], v[79:80], v[25:26], v[97:98]
	v_fma_f64 v[25:26], v[77:78], v[25:26], -v[27:28]
	s_waitcnt lgkmcnt(0)
	v_mul_f64 v[27:28], v[101:102], v[97:98]
	v_fma_f64 v[27:28], v[99:100], v[25:26], -v[27:28]
	v_mul_f64 v[99:100], v[99:100], v[97:98]
	v_add_f64 v[21:22], v[21:22], -v[27:28]
	v_fma_f64 v[99:100], v[101:102], v[25:26], v[99:100]
	v_add_f64 v[23:24], v[23:24], -v[99:100]
	ds_read2_b64 v[99:102], v125 offset0:70 offset1:71
	s_waitcnt lgkmcnt(0)
	v_mul_f64 v[27:28], v[101:102], v[97:98]
	v_fma_f64 v[27:28], v[99:100], v[25:26], -v[27:28]
	v_mul_f64 v[99:100], v[99:100], v[97:98]
	v_add_f64 v[17:18], v[17:18], -v[27:28]
	v_fma_f64 v[99:100], v[101:102], v[25:26], v[99:100]
	v_add_f64 v[19:20], v[19:20], -v[99:100]
	ds_read2_b64 v[99:102], v125 offset0:72 offset1:73
	;; [unrolled: 8-line block ×6, first 2 shown]
	s_waitcnt lgkmcnt(0)
	v_mul_f64 v[27:28], v[101:102], v[97:98]
	v_fma_f64 v[27:28], v[99:100], v[25:26], -v[27:28]
	v_mul_f64 v[99:100], v[99:100], v[97:98]
	v_add_f64 v[81:82], v[81:82], -v[27:28]
	v_fma_f64 v[99:100], v[101:102], v[25:26], v[99:100]
	v_mov_b32_e32 v27, v97
	v_mov_b32_e32 v28, v98
	v_add_f64 v[83:84], v[83:84], -v[99:100]
.LBB81_307:
	s_or_b64 exec, exec, s[2:3]
	v_cmp_eq_u32_e32 vcc, 34, v0
	s_waitcnt vmcnt(0)
	s_barrier
	s_and_saveexec_b64 s[4:5], vcc
	s_cbranch_execz .LBB81_314
; %bb.308:
	ds_write2_b64 v127, v[21:22], v[23:24] offset1:1
	ds_write2_b64 v125, v[17:18], v[19:20] offset0:70 offset1:71
	ds_write2_b64 v125, v[13:14], v[15:16] offset0:72 offset1:73
	;; [unrolled: 1-line block ×6, first 2 shown]
	ds_read2_b64 v[97:100], v127 offset1:1
	s_waitcnt lgkmcnt(0)
	v_cmp_neq_f64_e32 vcc, 0, v[97:98]
	v_cmp_neq_f64_e64 s[2:3], 0, v[99:100]
	s_or_b64 s[2:3], vcc, s[2:3]
	s_and_b64 exec, exec, s[2:3]
	s_cbranch_execz .LBB81_314
; %bb.309:
	v_cmp_ngt_f64_e64 s[2:3], |v[97:98]|, |v[99:100]|
                                        ; implicit-def: $vgpr101_vgpr102
	s_and_saveexec_b64 s[6:7], s[2:3]
	s_xor_b64 s[2:3], exec, s[6:7]
                                        ; implicit-def: $vgpr103_vgpr104
	s_cbranch_execz .LBB81_311
; %bb.310:
	v_div_scale_f64 v[101:102], s[6:7], v[99:100], v[99:100], v[97:98]
	v_rcp_f64_e32 v[103:104], v[101:102]
	v_fma_f64 v[105:106], -v[101:102], v[103:104], 1.0
	v_fma_f64 v[103:104], v[103:104], v[105:106], v[103:104]
	v_div_scale_f64 v[105:106], vcc, v[97:98], v[99:100], v[97:98]
	v_fma_f64 v[107:108], -v[101:102], v[103:104], 1.0
	v_fma_f64 v[103:104], v[103:104], v[107:108], v[103:104]
	v_mul_f64 v[107:108], v[105:106], v[103:104]
	v_fma_f64 v[101:102], -v[101:102], v[107:108], v[105:106]
	v_div_fmas_f64 v[101:102], v[101:102], v[103:104], v[107:108]
	v_div_fixup_f64 v[101:102], v[101:102], v[99:100], v[97:98]
	v_fma_f64 v[97:98], v[97:98], v[101:102], v[99:100]
	v_div_scale_f64 v[99:100], s[6:7], v[97:98], v[97:98], 1.0
	v_div_scale_f64 v[107:108], vcc, 1.0, v[97:98], 1.0
	v_rcp_f64_e32 v[103:104], v[99:100]
	v_fma_f64 v[105:106], -v[99:100], v[103:104], 1.0
	v_fma_f64 v[103:104], v[103:104], v[105:106], v[103:104]
	v_fma_f64 v[105:106], -v[99:100], v[103:104], 1.0
	v_fma_f64 v[103:104], v[103:104], v[105:106], v[103:104]
	v_mul_f64 v[105:106], v[107:108], v[103:104]
	v_fma_f64 v[99:100], -v[99:100], v[105:106], v[107:108]
	v_div_fmas_f64 v[99:100], v[99:100], v[103:104], v[105:106]
	v_div_fixup_f64 v[103:104], v[99:100], v[97:98], 1.0
                                        ; implicit-def: $vgpr97_vgpr98
	v_mul_f64 v[101:102], v[101:102], v[103:104]
	v_xor_b32_e32 v104, 0x80000000, v104
.LBB81_311:
	s_andn2_saveexec_b64 s[2:3], s[2:3]
	s_cbranch_execz .LBB81_313
; %bb.312:
	v_div_scale_f64 v[101:102], s[6:7], v[97:98], v[97:98], v[99:100]
	v_rcp_f64_e32 v[103:104], v[101:102]
	v_fma_f64 v[105:106], -v[101:102], v[103:104], 1.0
	v_fma_f64 v[103:104], v[103:104], v[105:106], v[103:104]
	v_div_scale_f64 v[105:106], vcc, v[99:100], v[97:98], v[99:100]
	v_fma_f64 v[107:108], -v[101:102], v[103:104], 1.0
	v_fma_f64 v[103:104], v[103:104], v[107:108], v[103:104]
	v_mul_f64 v[107:108], v[105:106], v[103:104]
	v_fma_f64 v[101:102], -v[101:102], v[107:108], v[105:106]
	v_div_fmas_f64 v[101:102], v[101:102], v[103:104], v[107:108]
	v_div_fixup_f64 v[103:104], v[101:102], v[97:98], v[99:100]
	v_fma_f64 v[97:98], v[99:100], v[103:104], v[97:98]
	v_div_scale_f64 v[99:100], s[6:7], v[97:98], v[97:98], 1.0
	v_div_scale_f64 v[107:108], vcc, 1.0, v[97:98], 1.0
	v_rcp_f64_e32 v[101:102], v[99:100]
	v_fma_f64 v[105:106], -v[99:100], v[101:102], 1.0
	v_fma_f64 v[101:102], v[101:102], v[105:106], v[101:102]
	v_fma_f64 v[105:106], -v[99:100], v[101:102], 1.0
	v_fma_f64 v[101:102], v[101:102], v[105:106], v[101:102]
	v_mul_f64 v[105:106], v[107:108], v[101:102]
	v_fma_f64 v[99:100], -v[99:100], v[105:106], v[107:108]
	v_div_fmas_f64 v[99:100], v[99:100], v[101:102], v[105:106]
	v_div_fixup_f64 v[101:102], v[99:100], v[97:98], 1.0
	v_mul_f64 v[103:104], v[103:104], -v[101:102]
.LBB81_313:
	s_or_b64 exec, exec, s[2:3]
	ds_write2_b64 v127, v[101:102], v[103:104] offset1:1
.LBB81_314:
	s_or_b64 exec, exec, s[4:5]
	s_waitcnt lgkmcnt(0)
	s_barrier
	ds_read2_b64 v[77:80], v127 offset1:1
	v_cmp_lt_u32_e32 vcc, 34, v0
	s_waitcnt lgkmcnt(0)
	buffer_store_dword v77, off, s[20:23], 0 offset:1264 ; 4-byte Folded Spill
	s_nop 0
	buffer_store_dword v78, off, s[20:23], 0 offset:1268 ; 4-byte Folded Spill
	buffer_store_dword v79, off, s[20:23], 0 offset:1272 ; 4-byte Folded Spill
	;; [unrolled: 1-line block ×3, first 2 shown]
	s_and_saveexec_b64 s[2:3], vcc
	s_cbranch_execz .LBB81_316
; %bb.315:
	buffer_load_dword v77, off, s[20:23], 0 offset:1264 ; 4-byte Folded Reload
	buffer_load_dword v78, off, s[20:23], 0 offset:1268 ; 4-byte Folded Reload
	buffer_load_dword v79, off, s[20:23], 0 offset:1272 ; 4-byte Folded Reload
	buffer_load_dword v80, off, s[20:23], 0 offset:1276 ; 4-byte Folded Reload
	ds_read2_b64 v[99:102], v125 offset0:70 offset1:71
	s_waitcnt vmcnt(2)
	v_mul_f64 v[97:98], v[77:78], v[23:24]
	s_waitcnt vmcnt(0)
	v_mul_f64 v[23:24], v[79:80], v[23:24]
	v_fma_f64 v[97:98], v[79:80], v[21:22], v[97:98]
	v_fma_f64 v[21:22], v[77:78], v[21:22], -v[23:24]
	s_waitcnt lgkmcnt(0)
	v_mul_f64 v[23:24], v[101:102], v[97:98]
	v_fma_f64 v[23:24], v[99:100], v[21:22], -v[23:24]
	v_mul_f64 v[99:100], v[99:100], v[97:98]
	v_add_f64 v[17:18], v[17:18], -v[23:24]
	v_fma_f64 v[99:100], v[101:102], v[21:22], v[99:100]
	v_add_f64 v[19:20], v[19:20], -v[99:100]
	ds_read2_b64 v[99:102], v125 offset0:72 offset1:73
	s_waitcnt lgkmcnt(0)
	v_mul_f64 v[23:24], v[101:102], v[97:98]
	v_fma_f64 v[23:24], v[99:100], v[21:22], -v[23:24]
	v_mul_f64 v[99:100], v[99:100], v[97:98]
	v_add_f64 v[13:14], v[13:14], -v[23:24]
	v_fma_f64 v[99:100], v[101:102], v[21:22], v[99:100]
	v_add_f64 v[15:16], v[15:16], -v[99:100]
	ds_read2_b64 v[99:102], v125 offset0:74 offset1:75
	;; [unrolled: 8-line block ×5, first 2 shown]
	s_waitcnt lgkmcnt(0)
	v_mul_f64 v[23:24], v[101:102], v[97:98]
	v_fma_f64 v[23:24], v[99:100], v[21:22], -v[23:24]
	v_mul_f64 v[99:100], v[99:100], v[97:98]
	v_add_f64 v[81:82], v[81:82], -v[23:24]
	v_fma_f64 v[99:100], v[101:102], v[21:22], v[99:100]
	v_mov_b32_e32 v23, v97
	v_mov_b32_e32 v24, v98
	v_add_f64 v[83:84], v[83:84], -v[99:100]
.LBB81_316:
	s_or_b64 exec, exec, s[2:3]
	v_cmp_eq_u32_e32 vcc, 35, v0
	s_waitcnt vmcnt(0)
	s_barrier
	s_and_saveexec_b64 s[4:5], vcc
	s_cbranch_execz .LBB81_323
; %bb.317:
	ds_write2_b64 v127, v[17:18], v[19:20] offset1:1
	ds_write2_b64 v125, v[13:14], v[15:16] offset0:72 offset1:73
	ds_write2_b64 v125, v[9:10], v[11:12] offset0:74 offset1:75
	;; [unrolled: 1-line block ×5, first 2 shown]
	ds_read2_b64 v[97:100], v127 offset1:1
	s_waitcnt lgkmcnt(0)
	v_cmp_neq_f64_e32 vcc, 0, v[97:98]
	v_cmp_neq_f64_e64 s[2:3], 0, v[99:100]
	s_or_b64 s[2:3], vcc, s[2:3]
	s_and_b64 exec, exec, s[2:3]
	s_cbranch_execz .LBB81_323
; %bb.318:
	v_cmp_ngt_f64_e64 s[2:3], |v[97:98]|, |v[99:100]|
                                        ; implicit-def: $vgpr101_vgpr102
	s_and_saveexec_b64 s[6:7], s[2:3]
	s_xor_b64 s[2:3], exec, s[6:7]
                                        ; implicit-def: $vgpr103_vgpr104
	s_cbranch_execz .LBB81_320
; %bb.319:
	v_div_scale_f64 v[101:102], s[6:7], v[99:100], v[99:100], v[97:98]
	v_rcp_f64_e32 v[103:104], v[101:102]
	v_fma_f64 v[105:106], -v[101:102], v[103:104], 1.0
	v_fma_f64 v[103:104], v[103:104], v[105:106], v[103:104]
	v_div_scale_f64 v[105:106], vcc, v[97:98], v[99:100], v[97:98]
	v_fma_f64 v[107:108], -v[101:102], v[103:104], 1.0
	v_fma_f64 v[103:104], v[103:104], v[107:108], v[103:104]
	v_mul_f64 v[107:108], v[105:106], v[103:104]
	v_fma_f64 v[101:102], -v[101:102], v[107:108], v[105:106]
	v_div_fmas_f64 v[101:102], v[101:102], v[103:104], v[107:108]
	v_div_fixup_f64 v[101:102], v[101:102], v[99:100], v[97:98]
	v_fma_f64 v[97:98], v[97:98], v[101:102], v[99:100]
	v_div_scale_f64 v[99:100], s[6:7], v[97:98], v[97:98], 1.0
	v_div_scale_f64 v[107:108], vcc, 1.0, v[97:98], 1.0
	v_rcp_f64_e32 v[103:104], v[99:100]
	v_fma_f64 v[105:106], -v[99:100], v[103:104], 1.0
	v_fma_f64 v[103:104], v[103:104], v[105:106], v[103:104]
	v_fma_f64 v[105:106], -v[99:100], v[103:104], 1.0
	v_fma_f64 v[103:104], v[103:104], v[105:106], v[103:104]
	v_mul_f64 v[105:106], v[107:108], v[103:104]
	v_fma_f64 v[99:100], -v[99:100], v[105:106], v[107:108]
	v_div_fmas_f64 v[99:100], v[99:100], v[103:104], v[105:106]
	v_div_fixup_f64 v[103:104], v[99:100], v[97:98], 1.0
                                        ; implicit-def: $vgpr97_vgpr98
	v_mul_f64 v[101:102], v[101:102], v[103:104]
	v_xor_b32_e32 v104, 0x80000000, v104
.LBB81_320:
	s_andn2_saveexec_b64 s[2:3], s[2:3]
	s_cbranch_execz .LBB81_322
; %bb.321:
	v_div_scale_f64 v[101:102], s[6:7], v[97:98], v[97:98], v[99:100]
	v_rcp_f64_e32 v[103:104], v[101:102]
	v_fma_f64 v[105:106], -v[101:102], v[103:104], 1.0
	v_fma_f64 v[103:104], v[103:104], v[105:106], v[103:104]
	v_div_scale_f64 v[105:106], vcc, v[99:100], v[97:98], v[99:100]
	v_fma_f64 v[107:108], -v[101:102], v[103:104], 1.0
	v_fma_f64 v[103:104], v[103:104], v[107:108], v[103:104]
	v_mul_f64 v[107:108], v[105:106], v[103:104]
	v_fma_f64 v[101:102], -v[101:102], v[107:108], v[105:106]
	v_div_fmas_f64 v[101:102], v[101:102], v[103:104], v[107:108]
	v_div_fixup_f64 v[103:104], v[101:102], v[97:98], v[99:100]
	v_fma_f64 v[97:98], v[99:100], v[103:104], v[97:98]
	v_div_scale_f64 v[99:100], s[6:7], v[97:98], v[97:98], 1.0
	v_div_scale_f64 v[107:108], vcc, 1.0, v[97:98], 1.0
	v_rcp_f64_e32 v[101:102], v[99:100]
	v_fma_f64 v[105:106], -v[99:100], v[101:102], 1.0
	v_fma_f64 v[101:102], v[101:102], v[105:106], v[101:102]
	v_fma_f64 v[105:106], -v[99:100], v[101:102], 1.0
	v_fma_f64 v[101:102], v[101:102], v[105:106], v[101:102]
	v_mul_f64 v[105:106], v[107:108], v[101:102]
	v_fma_f64 v[99:100], -v[99:100], v[105:106], v[107:108]
	v_div_fmas_f64 v[99:100], v[99:100], v[101:102], v[105:106]
	v_div_fixup_f64 v[101:102], v[99:100], v[97:98], 1.0
	v_mul_f64 v[103:104], v[103:104], -v[101:102]
.LBB81_322:
	s_or_b64 exec, exec, s[2:3]
	ds_write2_b64 v127, v[101:102], v[103:104] offset1:1
.LBB81_323:
	s_or_b64 exec, exec, s[4:5]
	s_waitcnt lgkmcnt(0)
	s_barrier
	ds_read2_b64 v[77:80], v127 offset1:1
	v_cmp_lt_u32_e32 vcc, 35, v0
	s_waitcnt lgkmcnt(0)
	buffer_store_dword v77, off, s[20:23], 0 offset:1280 ; 4-byte Folded Spill
	s_nop 0
	buffer_store_dword v78, off, s[20:23], 0 offset:1284 ; 4-byte Folded Spill
	buffer_store_dword v79, off, s[20:23], 0 offset:1288 ; 4-byte Folded Spill
	;; [unrolled: 1-line block ×3, first 2 shown]
	s_and_saveexec_b64 s[2:3], vcc
	s_cbranch_execz .LBB81_325
; %bb.324:
	buffer_load_dword v77, off, s[20:23], 0 offset:1280 ; 4-byte Folded Reload
	buffer_load_dword v78, off, s[20:23], 0 offset:1284 ; 4-byte Folded Reload
	;; [unrolled: 1-line block ×4, first 2 shown]
	s_waitcnt vmcnt(2)
	v_mul_f64 v[97:98], v[77:78], v[19:20]
	s_waitcnt vmcnt(0)
	v_mul_f64 v[19:20], v[79:80], v[19:20]
	v_fma_f64 v[101:102], v[79:80], v[17:18], v[97:98]
	ds_read2_b64 v[97:100], v125 offset0:72 offset1:73
	v_fma_f64 v[17:18], v[77:78], v[17:18], -v[19:20]
	s_waitcnt lgkmcnt(0)
	v_mul_f64 v[19:20], v[99:100], v[101:102]
	v_fma_f64 v[19:20], v[97:98], v[17:18], -v[19:20]
	v_mul_f64 v[97:98], v[97:98], v[101:102]
	v_add_f64 v[13:14], v[13:14], -v[19:20]
	v_fma_f64 v[97:98], v[99:100], v[17:18], v[97:98]
	v_add_f64 v[15:16], v[15:16], -v[97:98]
	ds_read2_b64 v[97:100], v125 offset0:74 offset1:75
	s_waitcnt lgkmcnt(0)
	v_mul_f64 v[19:20], v[99:100], v[101:102]
	v_fma_f64 v[19:20], v[97:98], v[17:18], -v[19:20]
	v_mul_f64 v[97:98], v[97:98], v[101:102]
	v_add_f64 v[9:10], v[9:10], -v[19:20]
	v_fma_f64 v[97:98], v[99:100], v[17:18], v[97:98]
	v_add_f64 v[11:12], v[11:12], -v[97:98]
	ds_read2_b64 v[97:100], v125 offset0:76 offset1:77
	;; [unrolled: 8-line block ×4, first 2 shown]
	s_waitcnt lgkmcnt(0)
	v_mul_f64 v[19:20], v[99:100], v[101:102]
	v_fma_f64 v[19:20], v[97:98], v[17:18], -v[19:20]
	v_mul_f64 v[97:98], v[97:98], v[101:102]
	v_add_f64 v[81:82], v[81:82], -v[19:20]
	v_fma_f64 v[97:98], v[99:100], v[17:18], v[97:98]
	v_mov_b32_e32 v19, v101
	v_mov_b32_e32 v20, v102
	v_add_f64 v[83:84], v[83:84], -v[97:98]
.LBB81_325:
	s_or_b64 exec, exec, s[2:3]
	v_cmp_eq_u32_e32 vcc, 36, v0
	s_waitcnt vmcnt(0)
	s_barrier
	s_and_saveexec_b64 s[4:5], vcc
	s_cbranch_execz .LBB81_332
; %bb.326:
	ds_write2_b64 v127, v[13:14], v[15:16] offset1:1
	ds_write2_b64 v125, v[9:10], v[11:12] offset0:74 offset1:75
	ds_write2_b64 v125, v[5:6], v[7:8] offset0:76 offset1:77
	;; [unrolled: 1-line block ×4, first 2 shown]
	ds_read2_b64 v[97:100], v127 offset1:1
	s_waitcnt lgkmcnt(0)
	v_cmp_neq_f64_e32 vcc, 0, v[97:98]
	v_cmp_neq_f64_e64 s[2:3], 0, v[99:100]
	s_or_b64 s[2:3], vcc, s[2:3]
	s_and_b64 exec, exec, s[2:3]
	s_cbranch_execz .LBB81_332
; %bb.327:
	v_cmp_ngt_f64_e64 s[2:3], |v[97:98]|, |v[99:100]|
                                        ; implicit-def: $vgpr101_vgpr102
	s_and_saveexec_b64 s[6:7], s[2:3]
	s_xor_b64 s[2:3], exec, s[6:7]
                                        ; implicit-def: $vgpr103_vgpr104
	s_cbranch_execz .LBB81_329
; %bb.328:
	v_div_scale_f64 v[101:102], s[6:7], v[99:100], v[99:100], v[97:98]
	v_rcp_f64_e32 v[103:104], v[101:102]
	v_fma_f64 v[105:106], -v[101:102], v[103:104], 1.0
	v_fma_f64 v[103:104], v[103:104], v[105:106], v[103:104]
	v_div_scale_f64 v[105:106], vcc, v[97:98], v[99:100], v[97:98]
	v_fma_f64 v[107:108], -v[101:102], v[103:104], 1.0
	v_fma_f64 v[103:104], v[103:104], v[107:108], v[103:104]
	v_mul_f64 v[107:108], v[105:106], v[103:104]
	v_fma_f64 v[101:102], -v[101:102], v[107:108], v[105:106]
	v_div_fmas_f64 v[101:102], v[101:102], v[103:104], v[107:108]
	v_div_fixup_f64 v[101:102], v[101:102], v[99:100], v[97:98]
	v_fma_f64 v[97:98], v[97:98], v[101:102], v[99:100]
	v_div_scale_f64 v[99:100], s[6:7], v[97:98], v[97:98], 1.0
	v_div_scale_f64 v[107:108], vcc, 1.0, v[97:98], 1.0
	v_rcp_f64_e32 v[103:104], v[99:100]
	v_fma_f64 v[105:106], -v[99:100], v[103:104], 1.0
	v_fma_f64 v[103:104], v[103:104], v[105:106], v[103:104]
	v_fma_f64 v[105:106], -v[99:100], v[103:104], 1.0
	v_fma_f64 v[103:104], v[103:104], v[105:106], v[103:104]
	v_mul_f64 v[105:106], v[107:108], v[103:104]
	v_fma_f64 v[99:100], -v[99:100], v[105:106], v[107:108]
	v_div_fmas_f64 v[99:100], v[99:100], v[103:104], v[105:106]
	v_div_fixup_f64 v[103:104], v[99:100], v[97:98], 1.0
                                        ; implicit-def: $vgpr97_vgpr98
	v_mul_f64 v[101:102], v[101:102], v[103:104]
	v_xor_b32_e32 v104, 0x80000000, v104
.LBB81_329:
	s_andn2_saveexec_b64 s[2:3], s[2:3]
	s_cbranch_execz .LBB81_331
; %bb.330:
	v_div_scale_f64 v[101:102], s[6:7], v[97:98], v[97:98], v[99:100]
	v_rcp_f64_e32 v[103:104], v[101:102]
	v_fma_f64 v[105:106], -v[101:102], v[103:104], 1.0
	v_fma_f64 v[103:104], v[103:104], v[105:106], v[103:104]
	v_div_scale_f64 v[105:106], vcc, v[99:100], v[97:98], v[99:100]
	v_fma_f64 v[107:108], -v[101:102], v[103:104], 1.0
	v_fma_f64 v[103:104], v[103:104], v[107:108], v[103:104]
	v_mul_f64 v[107:108], v[105:106], v[103:104]
	v_fma_f64 v[101:102], -v[101:102], v[107:108], v[105:106]
	v_div_fmas_f64 v[101:102], v[101:102], v[103:104], v[107:108]
	v_div_fixup_f64 v[103:104], v[101:102], v[97:98], v[99:100]
	v_fma_f64 v[97:98], v[99:100], v[103:104], v[97:98]
	v_div_scale_f64 v[99:100], s[6:7], v[97:98], v[97:98], 1.0
	v_div_scale_f64 v[107:108], vcc, 1.0, v[97:98], 1.0
	v_rcp_f64_e32 v[101:102], v[99:100]
	v_fma_f64 v[105:106], -v[99:100], v[101:102], 1.0
	v_fma_f64 v[101:102], v[101:102], v[105:106], v[101:102]
	v_fma_f64 v[105:106], -v[99:100], v[101:102], 1.0
	v_fma_f64 v[101:102], v[101:102], v[105:106], v[101:102]
	v_mul_f64 v[105:106], v[107:108], v[101:102]
	v_fma_f64 v[99:100], -v[99:100], v[105:106], v[107:108]
	v_div_fmas_f64 v[99:100], v[99:100], v[101:102], v[105:106]
	v_div_fixup_f64 v[101:102], v[99:100], v[97:98], 1.0
	v_mul_f64 v[103:104], v[103:104], -v[101:102]
.LBB81_331:
	s_or_b64 exec, exec, s[2:3]
	ds_write2_b64 v127, v[101:102], v[103:104] offset1:1
.LBB81_332:
	s_or_b64 exec, exec, s[4:5]
	s_waitcnt lgkmcnt(0)
	s_barrier
	ds_read2_b64 v[77:80], v127 offset1:1
	v_cmp_lt_u32_e32 vcc, 36, v0
	s_waitcnt lgkmcnt(0)
	buffer_store_dword v77, off, s[20:23], 0 offset:1296 ; 4-byte Folded Spill
	s_nop 0
	buffer_store_dword v78, off, s[20:23], 0 offset:1300 ; 4-byte Folded Spill
	buffer_store_dword v79, off, s[20:23], 0 offset:1304 ; 4-byte Folded Spill
	;; [unrolled: 1-line block ×3, first 2 shown]
	s_and_saveexec_b64 s[2:3], vcc
	s_cbranch_execz .LBB81_334
; %bb.333:
	buffer_load_dword v77, off, s[20:23], 0 offset:1296 ; 4-byte Folded Reload
	buffer_load_dword v78, off, s[20:23], 0 offset:1300 ; 4-byte Folded Reload
	;; [unrolled: 1-line block ×4, first 2 shown]
	s_waitcnt vmcnt(2)
	v_mul_f64 v[97:98], v[77:78], v[15:16]
	s_waitcnt vmcnt(0)
	v_mul_f64 v[15:16], v[79:80], v[15:16]
	v_fma_f64 v[101:102], v[79:80], v[13:14], v[97:98]
	ds_read2_b64 v[97:100], v125 offset0:74 offset1:75
	v_fma_f64 v[13:14], v[77:78], v[13:14], -v[15:16]
	s_waitcnt lgkmcnt(0)
	v_mul_f64 v[15:16], v[99:100], v[101:102]
	v_fma_f64 v[15:16], v[97:98], v[13:14], -v[15:16]
	v_mul_f64 v[97:98], v[97:98], v[101:102]
	v_add_f64 v[9:10], v[9:10], -v[15:16]
	v_fma_f64 v[97:98], v[99:100], v[13:14], v[97:98]
	v_add_f64 v[11:12], v[11:12], -v[97:98]
	ds_read2_b64 v[97:100], v125 offset0:76 offset1:77
	s_waitcnt lgkmcnt(0)
	v_mul_f64 v[15:16], v[99:100], v[101:102]
	v_fma_f64 v[15:16], v[97:98], v[13:14], -v[15:16]
	v_mul_f64 v[97:98], v[97:98], v[101:102]
	v_add_f64 v[5:6], v[5:6], -v[15:16]
	v_fma_f64 v[97:98], v[99:100], v[13:14], v[97:98]
	v_add_f64 v[7:8], v[7:8], -v[97:98]
	ds_read2_b64 v[97:100], v125 offset0:78 offset1:79
	;; [unrolled: 8-line block ×3, first 2 shown]
	s_waitcnt lgkmcnt(0)
	v_mul_f64 v[15:16], v[99:100], v[101:102]
	v_fma_f64 v[15:16], v[97:98], v[13:14], -v[15:16]
	v_mul_f64 v[97:98], v[97:98], v[101:102]
	v_add_f64 v[81:82], v[81:82], -v[15:16]
	v_fma_f64 v[97:98], v[99:100], v[13:14], v[97:98]
	v_mov_b32_e32 v15, v101
	v_mov_b32_e32 v16, v102
	v_add_f64 v[83:84], v[83:84], -v[97:98]
.LBB81_334:
	s_or_b64 exec, exec, s[2:3]
	v_cmp_eq_u32_e32 vcc, 37, v0
	s_waitcnt vmcnt(0)
	s_barrier
	s_and_saveexec_b64 s[4:5], vcc
	s_cbranch_execz .LBB81_341
; %bb.335:
	ds_write2_b64 v127, v[9:10], v[11:12] offset1:1
	ds_write2_b64 v125, v[5:6], v[7:8] offset0:76 offset1:77
	ds_write2_b64 v125, v[1:2], v[3:4] offset0:78 offset1:79
	ds_write2_b64 v125, v[81:82], v[83:84] offset0:80 offset1:81
	ds_read2_b64 v[97:100], v127 offset1:1
	s_waitcnt lgkmcnt(0)
	v_cmp_neq_f64_e32 vcc, 0, v[97:98]
	v_cmp_neq_f64_e64 s[2:3], 0, v[99:100]
	s_or_b64 s[2:3], vcc, s[2:3]
	s_and_b64 exec, exec, s[2:3]
	s_cbranch_execz .LBB81_341
; %bb.336:
	v_cmp_ngt_f64_e64 s[2:3], |v[97:98]|, |v[99:100]|
                                        ; implicit-def: $vgpr101_vgpr102
	s_and_saveexec_b64 s[6:7], s[2:3]
	s_xor_b64 s[2:3], exec, s[6:7]
                                        ; implicit-def: $vgpr103_vgpr104
	s_cbranch_execz .LBB81_338
; %bb.337:
	v_div_scale_f64 v[101:102], s[6:7], v[99:100], v[99:100], v[97:98]
	v_rcp_f64_e32 v[103:104], v[101:102]
	v_fma_f64 v[105:106], -v[101:102], v[103:104], 1.0
	v_fma_f64 v[103:104], v[103:104], v[105:106], v[103:104]
	v_div_scale_f64 v[105:106], vcc, v[97:98], v[99:100], v[97:98]
	v_fma_f64 v[107:108], -v[101:102], v[103:104], 1.0
	v_fma_f64 v[103:104], v[103:104], v[107:108], v[103:104]
	v_mul_f64 v[107:108], v[105:106], v[103:104]
	v_fma_f64 v[101:102], -v[101:102], v[107:108], v[105:106]
	v_div_fmas_f64 v[101:102], v[101:102], v[103:104], v[107:108]
	v_div_fixup_f64 v[101:102], v[101:102], v[99:100], v[97:98]
	v_fma_f64 v[97:98], v[97:98], v[101:102], v[99:100]
	v_div_scale_f64 v[99:100], s[6:7], v[97:98], v[97:98], 1.0
	v_div_scale_f64 v[107:108], vcc, 1.0, v[97:98], 1.0
	v_rcp_f64_e32 v[103:104], v[99:100]
	v_fma_f64 v[105:106], -v[99:100], v[103:104], 1.0
	v_fma_f64 v[103:104], v[103:104], v[105:106], v[103:104]
	v_fma_f64 v[105:106], -v[99:100], v[103:104], 1.0
	v_fma_f64 v[103:104], v[103:104], v[105:106], v[103:104]
	v_mul_f64 v[105:106], v[107:108], v[103:104]
	v_fma_f64 v[99:100], -v[99:100], v[105:106], v[107:108]
	v_div_fmas_f64 v[99:100], v[99:100], v[103:104], v[105:106]
	v_div_fixup_f64 v[103:104], v[99:100], v[97:98], 1.0
                                        ; implicit-def: $vgpr97_vgpr98
	v_mul_f64 v[101:102], v[101:102], v[103:104]
	v_xor_b32_e32 v104, 0x80000000, v104
.LBB81_338:
	s_andn2_saveexec_b64 s[2:3], s[2:3]
	s_cbranch_execz .LBB81_340
; %bb.339:
	v_div_scale_f64 v[101:102], s[6:7], v[97:98], v[97:98], v[99:100]
	v_rcp_f64_e32 v[103:104], v[101:102]
	v_fma_f64 v[105:106], -v[101:102], v[103:104], 1.0
	v_fma_f64 v[103:104], v[103:104], v[105:106], v[103:104]
	v_div_scale_f64 v[105:106], vcc, v[99:100], v[97:98], v[99:100]
	v_fma_f64 v[107:108], -v[101:102], v[103:104], 1.0
	v_fma_f64 v[103:104], v[103:104], v[107:108], v[103:104]
	v_mul_f64 v[107:108], v[105:106], v[103:104]
	v_fma_f64 v[101:102], -v[101:102], v[107:108], v[105:106]
	v_div_fmas_f64 v[101:102], v[101:102], v[103:104], v[107:108]
	v_div_fixup_f64 v[103:104], v[101:102], v[97:98], v[99:100]
	v_fma_f64 v[97:98], v[99:100], v[103:104], v[97:98]
	v_div_scale_f64 v[99:100], s[6:7], v[97:98], v[97:98], 1.0
	v_div_scale_f64 v[107:108], vcc, 1.0, v[97:98], 1.0
	v_rcp_f64_e32 v[101:102], v[99:100]
	v_fma_f64 v[105:106], -v[99:100], v[101:102], 1.0
	v_fma_f64 v[101:102], v[101:102], v[105:106], v[101:102]
	v_fma_f64 v[105:106], -v[99:100], v[101:102], 1.0
	v_fma_f64 v[101:102], v[101:102], v[105:106], v[101:102]
	v_mul_f64 v[105:106], v[107:108], v[101:102]
	v_fma_f64 v[99:100], -v[99:100], v[105:106], v[107:108]
	v_div_fmas_f64 v[99:100], v[99:100], v[101:102], v[105:106]
	v_div_fixup_f64 v[101:102], v[99:100], v[97:98], 1.0
	v_mul_f64 v[103:104], v[103:104], -v[101:102]
.LBB81_340:
	s_or_b64 exec, exec, s[2:3]
	ds_write2_b64 v127, v[101:102], v[103:104] offset1:1
.LBB81_341:
	s_or_b64 exec, exec, s[4:5]
	s_waitcnt lgkmcnt(0)
	s_barrier
	ds_read2_b64 v[77:80], v127 offset1:1
	v_cmp_lt_u32_e32 vcc, 37, v0
	s_waitcnt lgkmcnt(0)
	buffer_store_dword v77, off, s[20:23], 0 offset:1312 ; 4-byte Folded Spill
	s_nop 0
	buffer_store_dword v78, off, s[20:23], 0 offset:1316 ; 4-byte Folded Spill
	buffer_store_dword v79, off, s[20:23], 0 offset:1320 ; 4-byte Folded Spill
	;; [unrolled: 1-line block ×3, first 2 shown]
	s_and_saveexec_b64 s[2:3], vcc
	s_cbranch_execz .LBB81_343
; %bb.342:
	buffer_load_dword v77, off, s[20:23], 0 offset:1312 ; 4-byte Folded Reload
	buffer_load_dword v78, off, s[20:23], 0 offset:1316 ; 4-byte Folded Reload
	;; [unrolled: 1-line block ×4, first 2 shown]
	s_waitcnt vmcnt(2)
	v_mul_f64 v[97:98], v[77:78], v[11:12]
	s_waitcnt vmcnt(0)
	v_mul_f64 v[11:12], v[79:80], v[11:12]
	v_fma_f64 v[101:102], v[79:80], v[9:10], v[97:98]
	ds_read2_b64 v[97:100], v125 offset0:76 offset1:77
	v_fma_f64 v[9:10], v[77:78], v[9:10], -v[11:12]
	s_waitcnt lgkmcnt(0)
	v_mul_f64 v[11:12], v[99:100], v[101:102]
	v_fma_f64 v[11:12], v[97:98], v[9:10], -v[11:12]
	v_mul_f64 v[97:98], v[97:98], v[101:102]
	v_add_f64 v[5:6], v[5:6], -v[11:12]
	v_fma_f64 v[97:98], v[99:100], v[9:10], v[97:98]
	v_add_f64 v[7:8], v[7:8], -v[97:98]
	ds_read2_b64 v[97:100], v125 offset0:78 offset1:79
	s_waitcnt lgkmcnt(0)
	v_mul_f64 v[11:12], v[99:100], v[101:102]
	v_fma_f64 v[11:12], v[97:98], v[9:10], -v[11:12]
	v_mul_f64 v[97:98], v[97:98], v[101:102]
	v_add_f64 v[1:2], v[1:2], -v[11:12]
	v_fma_f64 v[97:98], v[99:100], v[9:10], v[97:98]
	v_add_f64 v[3:4], v[3:4], -v[97:98]
	ds_read2_b64 v[97:100], v125 offset0:80 offset1:81
	s_waitcnt lgkmcnt(0)
	v_mul_f64 v[11:12], v[99:100], v[101:102]
	v_fma_f64 v[11:12], v[97:98], v[9:10], -v[11:12]
	v_mul_f64 v[97:98], v[97:98], v[101:102]
	v_add_f64 v[81:82], v[81:82], -v[11:12]
	v_fma_f64 v[97:98], v[99:100], v[9:10], v[97:98]
	v_mov_b32_e32 v11, v101
	v_mov_b32_e32 v12, v102
	v_add_f64 v[83:84], v[83:84], -v[97:98]
.LBB81_343:
	s_or_b64 exec, exec, s[2:3]
	v_cmp_eq_u32_e32 vcc, 38, v0
	s_waitcnt vmcnt(0)
	s_barrier
	s_and_saveexec_b64 s[4:5], vcc
	s_cbranch_execz .LBB81_350
; %bb.344:
	ds_write2_b64 v127, v[5:6], v[7:8] offset1:1
	ds_write2_b64 v125, v[1:2], v[3:4] offset0:78 offset1:79
	ds_write2_b64 v125, v[81:82], v[83:84] offset0:80 offset1:81
	ds_read2_b64 v[97:100], v127 offset1:1
	s_waitcnt lgkmcnt(0)
	v_cmp_neq_f64_e32 vcc, 0, v[97:98]
	v_cmp_neq_f64_e64 s[2:3], 0, v[99:100]
	s_or_b64 s[2:3], vcc, s[2:3]
	s_and_b64 exec, exec, s[2:3]
	s_cbranch_execz .LBB81_350
; %bb.345:
	v_cmp_ngt_f64_e64 s[2:3], |v[97:98]|, |v[99:100]|
                                        ; implicit-def: $vgpr101_vgpr102
	s_and_saveexec_b64 s[6:7], s[2:3]
	s_xor_b64 s[2:3], exec, s[6:7]
                                        ; implicit-def: $vgpr103_vgpr104
	s_cbranch_execz .LBB81_347
; %bb.346:
	v_div_scale_f64 v[101:102], s[6:7], v[99:100], v[99:100], v[97:98]
	v_rcp_f64_e32 v[103:104], v[101:102]
	v_fma_f64 v[105:106], -v[101:102], v[103:104], 1.0
	v_fma_f64 v[103:104], v[103:104], v[105:106], v[103:104]
	v_div_scale_f64 v[105:106], vcc, v[97:98], v[99:100], v[97:98]
	v_fma_f64 v[107:108], -v[101:102], v[103:104], 1.0
	v_fma_f64 v[103:104], v[103:104], v[107:108], v[103:104]
	v_mul_f64 v[107:108], v[105:106], v[103:104]
	v_fma_f64 v[101:102], -v[101:102], v[107:108], v[105:106]
	v_div_fmas_f64 v[101:102], v[101:102], v[103:104], v[107:108]
	v_div_fixup_f64 v[101:102], v[101:102], v[99:100], v[97:98]
	v_fma_f64 v[97:98], v[97:98], v[101:102], v[99:100]
	v_div_scale_f64 v[99:100], s[6:7], v[97:98], v[97:98], 1.0
	v_div_scale_f64 v[107:108], vcc, 1.0, v[97:98], 1.0
	v_rcp_f64_e32 v[103:104], v[99:100]
	v_fma_f64 v[105:106], -v[99:100], v[103:104], 1.0
	v_fma_f64 v[103:104], v[103:104], v[105:106], v[103:104]
	v_fma_f64 v[105:106], -v[99:100], v[103:104], 1.0
	v_fma_f64 v[103:104], v[103:104], v[105:106], v[103:104]
	v_mul_f64 v[105:106], v[107:108], v[103:104]
	v_fma_f64 v[99:100], -v[99:100], v[105:106], v[107:108]
	v_div_fmas_f64 v[99:100], v[99:100], v[103:104], v[105:106]
	v_div_fixup_f64 v[103:104], v[99:100], v[97:98], 1.0
                                        ; implicit-def: $vgpr97_vgpr98
	v_mul_f64 v[101:102], v[101:102], v[103:104]
	v_xor_b32_e32 v104, 0x80000000, v104
.LBB81_347:
	s_andn2_saveexec_b64 s[2:3], s[2:3]
	s_cbranch_execz .LBB81_349
; %bb.348:
	v_div_scale_f64 v[101:102], s[6:7], v[97:98], v[97:98], v[99:100]
	v_rcp_f64_e32 v[103:104], v[101:102]
	v_fma_f64 v[105:106], -v[101:102], v[103:104], 1.0
	v_fma_f64 v[103:104], v[103:104], v[105:106], v[103:104]
	v_div_scale_f64 v[105:106], vcc, v[99:100], v[97:98], v[99:100]
	v_fma_f64 v[107:108], -v[101:102], v[103:104], 1.0
	v_fma_f64 v[103:104], v[103:104], v[107:108], v[103:104]
	v_mul_f64 v[107:108], v[105:106], v[103:104]
	v_fma_f64 v[101:102], -v[101:102], v[107:108], v[105:106]
	v_div_fmas_f64 v[101:102], v[101:102], v[103:104], v[107:108]
	v_div_fixup_f64 v[103:104], v[101:102], v[97:98], v[99:100]
	v_fma_f64 v[97:98], v[99:100], v[103:104], v[97:98]
	v_div_scale_f64 v[99:100], s[6:7], v[97:98], v[97:98], 1.0
	v_div_scale_f64 v[107:108], vcc, 1.0, v[97:98], 1.0
	v_rcp_f64_e32 v[101:102], v[99:100]
	v_fma_f64 v[105:106], -v[99:100], v[101:102], 1.0
	v_fma_f64 v[101:102], v[101:102], v[105:106], v[101:102]
	v_fma_f64 v[105:106], -v[99:100], v[101:102], 1.0
	v_fma_f64 v[101:102], v[101:102], v[105:106], v[101:102]
	v_mul_f64 v[105:106], v[107:108], v[101:102]
	v_fma_f64 v[99:100], -v[99:100], v[105:106], v[107:108]
	v_div_fmas_f64 v[99:100], v[99:100], v[101:102], v[105:106]
	v_div_fixup_f64 v[101:102], v[99:100], v[97:98], 1.0
	v_mul_f64 v[103:104], v[103:104], -v[101:102]
.LBB81_349:
	s_or_b64 exec, exec, s[2:3]
	ds_write2_b64 v127, v[101:102], v[103:104] offset1:1
.LBB81_350:
	s_or_b64 exec, exec, s[4:5]
	s_waitcnt lgkmcnt(0)
	s_barrier
	ds_read2_b64 v[101:104], v127 offset1:1
	v_cmp_lt_u32_e32 vcc, 38, v0
	s_and_saveexec_b64 s[2:3], vcc
	s_cbranch_execz .LBB81_352
; %bb.351:
	s_waitcnt lgkmcnt(0)
	v_mul_f64 v[97:98], v[101:102], v[7:8]
	v_mul_f64 v[7:8], v[103:104], v[7:8]
	v_fma_f64 v[105:106], v[103:104], v[5:6], v[97:98]
	ds_read2_b64 v[97:100], v125 offset0:78 offset1:79
	v_fma_f64 v[5:6], v[101:102], v[5:6], -v[7:8]
	s_waitcnt lgkmcnt(0)
	v_mul_f64 v[7:8], v[99:100], v[105:106]
	v_fma_f64 v[7:8], v[97:98], v[5:6], -v[7:8]
	v_mul_f64 v[97:98], v[97:98], v[105:106]
	v_add_f64 v[1:2], v[1:2], -v[7:8]
	v_fma_f64 v[97:98], v[99:100], v[5:6], v[97:98]
	v_add_f64 v[3:4], v[3:4], -v[97:98]
	ds_read2_b64 v[97:100], v125 offset0:80 offset1:81
	s_waitcnt lgkmcnt(0)
	v_mul_f64 v[7:8], v[99:100], v[105:106]
	v_fma_f64 v[7:8], v[97:98], v[5:6], -v[7:8]
	v_mul_f64 v[97:98], v[97:98], v[105:106]
	v_add_f64 v[81:82], v[81:82], -v[7:8]
	v_fma_f64 v[97:98], v[99:100], v[5:6], v[97:98]
	v_mov_b32_e32 v7, v105
	v_mov_b32_e32 v8, v106
	v_add_f64 v[83:84], v[83:84], -v[97:98]
.LBB81_352:
	s_or_b64 exec, exec, s[2:3]
	v_cmp_eq_u32_e32 vcc, 39, v0
	s_waitcnt lgkmcnt(0)
	s_barrier
	s_and_saveexec_b64 s[4:5], vcc
	s_cbranch_execz .LBB81_359
; %bb.353:
	ds_write2_b64 v127, v[1:2], v[3:4] offset1:1
	ds_write2_b64 v125, v[81:82], v[83:84] offset0:80 offset1:81
	ds_read2_b64 v[97:100], v127 offset1:1
	s_waitcnt lgkmcnt(0)
	v_cmp_neq_f64_e32 vcc, 0, v[97:98]
	v_cmp_neq_f64_e64 s[2:3], 0, v[99:100]
	s_or_b64 s[2:3], vcc, s[2:3]
	s_and_b64 exec, exec, s[2:3]
	s_cbranch_execz .LBB81_359
; %bb.354:
	v_cmp_ngt_f64_e64 s[2:3], |v[97:98]|, |v[99:100]|
                                        ; implicit-def: $vgpr105_vgpr106
	s_and_saveexec_b64 s[6:7], s[2:3]
	s_xor_b64 s[2:3], exec, s[6:7]
                                        ; implicit-def: $vgpr107_vgpr108
	s_cbranch_execz .LBB81_356
; %bb.355:
	v_div_scale_f64 v[105:106], s[6:7], v[99:100], v[99:100], v[97:98]
	v_mov_b32_e32 v77, v81
	v_mov_b32_e32 v78, v82
	;; [unrolled: 1-line block ×8, first 2 shown]
	v_div_scale_f64 v[95:96], vcc, v[97:98], v[99:100], v[97:98]
	v_rcp_f64_e32 v[107:108], v[105:106]
	v_fma_f64 v[93:94], -v[105:106], v[107:108], 1.0
	v_fma_f64 v[93:94], v[107:108], v[93:94], v[107:108]
	v_fma_f64 v[107:108], -v[105:106], v[93:94], 1.0
	v_fma_f64 v[93:94], v[93:94], v[107:108], v[93:94]
	v_mul_f64 v[107:108], v[95:96], v[93:94]
	v_fma_f64 v[95:96], -v[105:106], v[107:108], v[95:96]
	v_div_fmas_f64 v[93:94], v[95:96], v[93:94], v[107:108]
	v_div_fixup_f64 v[93:94], v[93:94], v[99:100], v[97:98]
	v_fma_f64 v[95:96], v[97:98], v[93:94], v[99:100]
	v_div_scale_f64 v[97:98], s[6:7], v[95:96], v[95:96], 1.0
	v_div_scale_f64 v[107:108], vcc, 1.0, v[95:96], 1.0
	v_rcp_f64_e32 v[99:100], v[97:98]
	v_fma_f64 v[105:106], -v[97:98], v[99:100], 1.0
	v_fma_f64 v[99:100], v[99:100], v[105:106], v[99:100]
	v_fma_f64 v[105:106], -v[97:98], v[99:100], 1.0
	v_fma_f64 v[99:100], v[99:100], v[105:106], v[99:100]
	v_mul_f64 v[105:106], v[107:108], v[99:100]
	v_fma_f64 v[97:98], -v[97:98], v[105:106], v[107:108]
	v_div_fmas_f64 v[97:98], v[97:98], v[99:100], v[105:106]
	v_div_fixup_f64 v[107:108], v[97:98], v[95:96], 1.0
                                        ; implicit-def: $vgpr97_vgpr98
	v_mul_f64 v[105:106], v[93:94], v[107:108]
	v_mov_b32_e32 v96, v84
	v_mov_b32_e32 v95, v83
	;; [unrolled: 1-line block ×8, first 2 shown]
	v_xor_b32_e32 v108, 0x80000000, v108
.LBB81_356:
	s_andn2_saveexec_b64 s[2:3], s[2:3]
	s_cbranch_execz .LBB81_358
; %bb.357:
	v_mov_b32_e32 v77, v81
	v_mov_b32_e32 v78, v82
	;; [unrolled: 1-line block ×8, first 2 shown]
	v_div_scale_f64 v[93:94], s[6:7], v[97:98], v[97:98], v[99:100]
	v_rcp_f64_e32 v[95:96], v[93:94]
	v_fma_f64 v[105:106], -v[93:94], v[95:96], 1.0
	v_fma_f64 v[95:96], v[95:96], v[105:106], v[95:96]
	v_div_scale_f64 v[105:106], vcc, v[99:100], v[97:98], v[99:100]
	v_fma_f64 v[107:108], -v[93:94], v[95:96], 1.0
	v_fma_f64 v[95:96], v[95:96], v[107:108], v[95:96]
	v_mul_f64 v[107:108], v[105:106], v[95:96]
	v_fma_f64 v[93:94], -v[93:94], v[107:108], v[105:106]
	v_div_fmas_f64 v[93:94], v[93:94], v[95:96], v[107:108]
	v_div_fixup_f64 v[93:94], v[93:94], v[97:98], v[99:100]
	v_fma_f64 v[95:96], v[99:100], v[93:94], v[97:98]
	v_div_scale_f64 v[97:98], s[6:7], v[95:96], v[95:96], 1.0
	v_div_scale_f64 v[107:108], vcc, 1.0, v[95:96], 1.0
	v_rcp_f64_e32 v[99:100], v[97:98]
	v_fma_f64 v[105:106], -v[97:98], v[99:100], 1.0
	v_fma_f64 v[99:100], v[99:100], v[105:106], v[99:100]
	v_fma_f64 v[105:106], -v[97:98], v[99:100], 1.0
	v_fma_f64 v[99:100], v[99:100], v[105:106], v[99:100]
	v_mul_f64 v[105:106], v[107:108], v[99:100]
	v_fma_f64 v[97:98], -v[97:98], v[105:106], v[107:108]
	v_div_fmas_f64 v[97:98], v[97:98], v[99:100], v[105:106]
	v_div_fixup_f64 v[105:106], v[97:98], v[95:96], 1.0
	v_mul_f64 v[107:108], v[93:94], -v[105:106]
	v_mov_b32_e32 v96, v84
	v_mov_b32_e32 v95, v83
	v_mov_b32_e32 v94, v82
	v_mov_b32_e32 v93, v81
	v_mov_b32_e32 v84, v80
	v_mov_b32_e32 v83, v79
	v_mov_b32_e32 v82, v78
	v_mov_b32_e32 v81, v77
.LBB81_358:
	s_or_b64 exec, exec, s[2:3]
	ds_write2_b64 v127, v[105:106], v[107:108] offset1:1
.LBB81_359:
	s_or_b64 exec, exec, s[4:5]
	s_waitcnt lgkmcnt(0)
	s_barrier
	ds_read2_b64 v[97:100], v127 offset1:1
	v_cmp_lt_u32_e32 vcc, 39, v0
	s_and_saveexec_b64 s[2:3], vcc
	s_cbranch_execz .LBB81_361
; %bb.360:
	v_mov_b32_e32 v77, v81
	v_mov_b32_e32 v78, v82
	;; [unrolled: 1-line block ×8, first 2 shown]
	s_waitcnt lgkmcnt(0)
	v_mul_f64 v[93:94], v[97:98], v[3:4]
	v_mul_f64 v[3:4], v[99:100], v[3:4]
	ds_read2_b64 v[105:108], v125 offset0:80 offset1:81
	v_fma_f64 v[93:94], v[99:100], v[1:2], v[93:94]
	v_fma_f64 v[1:2], v[97:98], v[1:2], -v[3:4]
	s_waitcnt lgkmcnt(0)
	v_mul_f64 v[95:96], v[105:106], v[93:94]
	v_mul_f64 v[3:4], v[107:108], v[93:94]
	v_fma_f64 v[95:96], v[107:108], v[1:2], v[95:96]
	v_fma_f64 v[3:4], v[105:106], v[1:2], -v[3:4]
	v_add_f64 v[79:80], v[79:80], -v[95:96]
	v_add_f64 v[77:78], v[77:78], -v[3:4]
	v_mov_b32_e32 v3, v93
	v_mov_b32_e32 v4, v94
	;; [unrolled: 1-line block ×10, first 2 shown]
.LBB81_361:
	s_or_b64 exec, exec, s[2:3]
	v_cmp_eq_u32_e32 vcc, 40, v0
	s_waitcnt lgkmcnt(0)
	s_barrier
	s_and_saveexec_b64 s[4:5], vcc
	s_cbranch_execz .LBB81_368
; %bb.362:
	v_cmp_neq_f64_e32 vcc, 0, v[81:82]
	v_cmp_neq_f64_e64 s[2:3], 0, v[83:84]
	ds_write2_b64 v127, v[81:82], v[83:84] offset1:1
	s_or_b64 s[2:3], vcc, s[2:3]
	s_and_b64 exec, exec, s[2:3]
	s_cbranch_execz .LBB81_368
; %bb.363:
	v_cmp_ngt_f64_e64 s[2:3], |v[81:82]|, |v[83:84]|
                                        ; implicit-def: $vgpr105_vgpr106
	s_and_saveexec_b64 s[6:7], s[2:3]
	s_xor_b64 s[2:3], exec, s[6:7]
                                        ; implicit-def: $vgpr107_vgpr108
	s_cbranch_execz .LBB81_365
; %bb.364:
	v_mov_b32_e32 v77, v117
	v_mov_b32_e32 v78, v118
	;; [unrolled: 1-line block ×8, first 2 shown]
	v_div_scale_f64 v[93:94], s[6:7], v[83:84], v[83:84], v[81:82]
	buffer_store_dword v101, off, s[20:23], 0 offset:1336 ; 4-byte Folded Spill
	s_nop 0
	buffer_store_dword v102, off, s[20:23], 0 offset:1340 ; 4-byte Folded Spill
	buffer_store_dword v103, off, s[20:23], 0 offset:1344 ; 4-byte Folded Spill
	;; [unrolled: 1-line block ×3, first 2 shown]
	v_mov_b32_e32 v101, v121
	v_mov_b32_e32 v102, v122
	;; [unrolled: 1-line block ×13, first 2 shown]
	v_rcp_f64_e32 v[95:96], v[93:94]
	v_mov_b32_e32 v2, v6
	v_mov_b32_e32 v3, v7
	v_mov_b32_e32 v4, v8
	v_mov_b32_e32 v5, v9
	v_mov_b32_e32 v6, v10
	v_mov_b32_e32 v7, v11
	v_mov_b32_e32 v8, v12
	v_mov_b32_e32 v9, v13
	v_mov_b32_e32 v10, v14
	v_mov_b32_e32 v11, v15
	v_mov_b32_e32 v12, v16
	v_mov_b32_e32 v13, v17
	v_mov_b32_e32 v14, v18
	v_mov_b32_e32 v15, v19
	v_mov_b32_e32 v16, v20
	v_fma_f64 v[105:106], -v[93:94], v[95:96], 1.0
	v_mov_b32_e32 v17, v21
	v_mov_b32_e32 v18, v22
	;; [unrolled: 1-line block ×7, first 2 shown]
	v_fma_f64 v[95:96], v[95:96], v[105:106], v[95:96]
	v_div_scale_f64 v[105:106], vcc, v[81:82], v[83:84], v[81:82]
	v_mov_b32_e32 v24, v28
	v_mov_b32_e32 v25, v29
	;; [unrolled: 1-line block ×5, first 2 shown]
	v_fma_f64 v[107:108], -v[93:94], v[95:96], 1.0
	v_mov_b32_e32 v29, v33
	v_mov_b32_e32 v30, v34
	;; [unrolled: 1-line block ×7, first 2 shown]
	v_fma_f64 v[95:96], v[95:96], v[107:108], v[95:96]
	v_mov_b32_e32 v36, v40
	v_mov_b32_e32 v37, v113
	;; [unrolled: 1-line block ×7, first 2 shown]
	v_mul_f64 v[107:108], v[105:106], v[95:96]
	v_mov_b32_e32 v114, v42
	v_mov_b32_e32 v113, v41
	;; [unrolled: 1-line block ×7, first 2 shown]
	v_fma_f64 v[93:94], -v[93:94], v[107:108], v[105:106]
	v_mov_b32_e32 v46, v50
	v_mov_b32_e32 v47, v51
	;; [unrolled: 1-line block ×7, first 2 shown]
	v_div_fmas_f64 v[93:94], v[93:94], v[95:96], v[107:108]
	v_mov_b32_e32 v53, v57
	v_mov_b32_e32 v54, v58
	;; [unrolled: 1-line block ×15, first 2 shown]
	v_div_fixup_f64 v[93:94], v[93:94], v[83:84], v[81:82]
	v_mov_b32_e32 v68, v72
	v_mov_b32_e32 v69, v73
	;; [unrolled: 1-line block ×7, first 2 shown]
	v_fma_f64 v[95:96], v[81:82], v[93:94], v[83:84]
	v_mov_b32_e32 v75, v87
	v_mov_b32_e32 v76, v88
	;; [unrolled: 1-line block ×4, first 2 shown]
	v_div_scale_f64 v[105:106], s[6:7], v[95:96], v[95:96], 1.0
	v_div_scale_f64 v[89:90], vcc, 1.0, v[95:96], 1.0
	v_rcp_f64_e32 v[107:108], v[105:106]
	v_fma_f64 v[125:126], -v[105:106], v[107:108], 1.0
	v_fma_f64 v[107:108], v[107:108], v[125:126], v[107:108]
	v_fma_f64 v[125:126], -v[105:106], v[107:108], 1.0
	v_fma_f64 v[91:92], v[107:108], v[125:126], v[107:108]
	v_mul_f64 v[107:108], v[89:90], v[91:92]
	v_fma_f64 v[89:90], -v[105:106], v[107:108], v[89:90]
	v_div_fmas_f64 v[89:90], v[89:90], v[91:92], v[107:108]
	v_mov_b32_e32 v92, v86
	v_mov_b32_e32 v91, v85
	;; [unrolled: 1-line block ×94, first 2 shown]
	buffer_load_dword v101, off, s[20:23], 0 offset:1336 ; 4-byte Folded Reload
	buffer_load_dword v102, off, s[20:23], 0 offset:1340 ; 4-byte Folded Reload
	buffer_load_dword v103, off, s[20:23], 0 offset:1344 ; 4-byte Folded Reload
	buffer_load_dword v104, off, s[20:23], 0 offset:1348 ; 4-byte Folded Reload
	v_div_fixup_f64 v[107:108], v[89:90], v[95:96], 1.0
	v_mul_f64 v[105:106], v[93:94], v[107:108]
	v_mov_b32_e32 v93, v117
	v_mov_b32_e32 v94, v118
	;; [unrolled: 1-line block ×8, first 2 shown]
	v_xor_b32_e32 v108, 0x80000000, v108
.LBB81_365:
	s_andn2_saveexec_b64 s[2:3], s[2:3]
	s_cbranch_execz .LBB81_367
; %bb.366:
	v_div_scale_f64 v[89:90], s[6:7], v[81:82], v[81:82], v[83:84]
	v_mov_b32_e32 v126, v92
	v_mov_b32_e32 v125, v91
	;; [unrolled: 1-line block ×10, first 2 shown]
	v_rcp_f64_e32 v[91:92], v[89:90]
	v_fma_f64 v[93:94], -v[89:90], v[91:92], 1.0
	v_fma_f64 v[91:92], v[91:92], v[93:94], v[91:92]
	v_div_scale_f64 v[93:94], vcc, v[79:80], v[77:78], v[79:80]
	v_fma_f64 v[95:96], -v[89:90], v[91:92], 1.0
	v_fma_f64 v[91:92], v[91:92], v[95:96], v[91:92]
	v_mul_f64 v[95:96], v[93:94], v[91:92]
	v_fma_f64 v[89:90], -v[89:90], v[95:96], v[93:94]
	v_div_fmas_f64 v[89:90], v[89:90], v[91:92], v[95:96]
	v_div_fixup_f64 v[89:90], v[89:90], v[77:78], v[79:80]
	v_fma_f64 v[91:92], v[79:80], v[89:90], v[77:78]
	v_div_scale_f64 v[93:94], s[6:7], v[91:92], v[91:92], 1.0
	v_div_scale_f64 v[107:108], vcc, 1.0, v[91:92], 1.0
	v_rcp_f64_e32 v[95:96], v[93:94]
	v_fma_f64 v[105:106], -v[93:94], v[95:96], 1.0
	v_fma_f64 v[95:96], v[95:96], v[105:106], v[95:96]
	v_fma_f64 v[105:106], -v[93:94], v[95:96], 1.0
	v_fma_f64 v[95:96], v[95:96], v[105:106], v[95:96]
	v_mul_f64 v[105:106], v[107:108], v[95:96]
	v_fma_f64 v[93:94], -v[93:94], v[105:106], v[107:108]
	v_div_fmas_f64 v[93:94], v[93:94], v[95:96], v[105:106]
	v_div_fixup_f64 v[105:106], v[93:94], v[91:92], 1.0
	v_mov_b32_e32 v96, v84
	v_mov_b32_e32 v95, v83
	;; [unrolled: 1-line block ×7, first 2 shown]
	v_mul_f64 v[107:108], v[89:90], -v[105:106]
	v_mov_b32_e32 v82, v78
	v_mov_b32_e32 v81, v77
	;; [unrolled: 1-line block ×3, first 2 shown]
.LBB81_367:
	s_or_b64 exec, exec, s[2:3]
	ds_write2_b64 v127, v[105:106], v[107:108] offset1:1
.LBB81_368:
	s_or_b64 exec, exec, s[4:5]
	buffer_store_dword v1, off, s[20:23], 0 offset:688 ; 4-byte Folded Spill
	s_nop 0
	buffer_store_dword v2, off, s[20:23], 0 offset:692 ; 4-byte Folded Spill
	buffer_store_dword v3, off, s[20:23], 0 offset:696 ; 4-byte Folded Spill
	buffer_store_dword v4, off, s[20:23], 0 offset:700 ; 4-byte Folded Spill
	buffer_store_dword v5, off, s[20:23], 0 offset:672 ; 4-byte Folded Spill
	s_nop 0
	buffer_store_dword v6, off, s[20:23], 0 offset:676 ; 4-byte Folded Spill
	buffer_store_dword v7, off, s[20:23], 0 offset:680 ; 4-byte Folded Spill
	buffer_store_dword v8, off, s[20:23], 0 offset:684 ; 4-byte Folded Spill
	;; [unrolled: 5-line block ×10, first 2 shown]
	s_waitcnt vmcnt(0) lgkmcnt(0)
	s_barrier
	ds_read2_b64 v[105:108], v127 offset1:1
	s_waitcnt lgkmcnt(0)
	s_barrier
	s_and_saveexec_b64 s[2:3], s[0:1]
	s_cbranch_execz .LBB81_371
; %bb.369:
	buffer_load_dword v1, off, s[20:23], 0 offset:736 ; 4-byte Folded Reload
	buffer_load_dword v2, off, s[20:23], 0 offset:740 ; 4-byte Folded Reload
	;; [unrolled: 1-line block ×4, first 2 shown]
	s_waitcnt vmcnt(2)
	v_cmp_eq_f64_e32 vcc, 0, v[1:2]
	s_waitcnt vmcnt(0)
	v_cmp_eq_f64_e64 s[0:1], 0, v[3:4]
	buffer_load_dword v1, off, s[20:23], 0 offset:752 ; 4-byte Folded Reload
	buffer_load_dword v2, off, s[20:23], 0 offset:756 ; 4-byte Folded Reload
	;; [unrolled: 1-line block ×4, first 2 shown]
	s_and_b64 s[4:5], vcc, s[0:1]
	v_cndmask_b32_e64 v89, 0, 1, s[4:5]
	s_waitcnt vmcnt(2)
	v_cmp_neq_f64_e32 vcc, 0, v[1:2]
	s_waitcnt vmcnt(0)
	v_cmp_neq_f64_e64 s[0:1], 0, v[3:4]
	buffer_load_dword v1, off, s[20:23], 0 offset:768 ; 4-byte Folded Reload
	buffer_load_dword v2, off, s[20:23], 0 offset:772 ; 4-byte Folded Reload
	;; [unrolled: 1-line block ×4, first 2 shown]
	s_or_b64 s[0:1], vcc, s[0:1]
	s_or_b64 vcc, s[0:1], s[4:5]
	v_cndmask_b32_e32 v89, 2, v89, vcc
	s_waitcnt vmcnt(2)
	v_cmp_eq_f64_e32 vcc, 0, v[1:2]
	s_waitcnt vmcnt(0)
	v_cmp_eq_f64_e64 s[0:1], 0, v[3:4]
	buffer_load_dword v1, off, s[20:23], 0 offset:784 ; 4-byte Folded Reload
	buffer_load_dword v2, off, s[20:23], 0 offset:788 ; 4-byte Folded Reload
	buffer_load_dword v3, off, s[20:23], 0 offset:792 ; 4-byte Folded Reload
	buffer_load_dword v4, off, s[20:23], 0 offset:796 ; 4-byte Folded Reload
	s_and_b64 s[0:1], vcc, s[0:1]
	v_cmp_eq_u32_e32 vcc, 0, v89
	s_and_b64 s[0:1], s[0:1], vcc
	v_cndmask_b32_e64 v89, v89, 3, s[0:1]
	s_waitcnt vmcnt(2)
	v_cmp_eq_f64_e32 vcc, 0, v[1:2]
	s_waitcnt vmcnt(0)
	v_cmp_eq_f64_e64 s[0:1], 0, v[3:4]
	buffer_load_dword v1, off, s[20:23], 0 offset:800 ; 4-byte Folded Reload
	buffer_load_dword v2, off, s[20:23], 0 offset:804 ; 4-byte Folded Reload
	buffer_load_dword v3, off, s[20:23], 0 offset:808 ; 4-byte Folded Reload
	buffer_load_dword v4, off, s[20:23], 0 offset:812 ; 4-byte Folded Reload
	s_and_b64 s[0:1], vcc, s[0:1]
	v_cmp_eq_u32_e32 vcc, 0, v89
	s_and_b64 s[0:1], s[0:1], vcc
	v_cndmask_b32_e64 v89, v89, 4, s[0:1]
	s_waitcnt vmcnt(2)
	v_cmp_eq_f64_e32 vcc, 0, v[1:2]
	s_waitcnt vmcnt(0)
	v_cmp_eq_f64_e64 s[0:1], 0, v[3:4]
	buffer_load_dword v1, off, s[20:23], 0 offset:816 ; 4-byte Folded Reload
	buffer_load_dword v2, off, s[20:23], 0 offset:820 ; 4-byte Folded Reload
	buffer_load_dword v3, off, s[20:23], 0 offset:824 ; 4-byte Folded Reload
	buffer_load_dword v4, off, s[20:23], 0 offset:828 ; 4-byte Folded Reload
	s_and_b64 s[0:1], vcc, s[0:1]
	v_cmp_eq_u32_e32 vcc, 0, v89
	s_and_b64 s[0:1], s[0:1], vcc
	v_cndmask_b32_e64 v89, v89, 5, s[0:1]
	s_waitcnt vmcnt(2)
	v_cmp_eq_f64_e32 vcc, 0, v[1:2]
	s_waitcnt vmcnt(0)
	v_cmp_eq_f64_e64 s[0:1], 0, v[3:4]
	buffer_load_dword v1, off, s[20:23], 0 offset:832 ; 4-byte Folded Reload
	buffer_load_dword v2, off, s[20:23], 0 offset:836 ; 4-byte Folded Reload
	buffer_load_dword v3, off, s[20:23], 0 offset:840 ; 4-byte Folded Reload
	buffer_load_dword v4, off, s[20:23], 0 offset:844 ; 4-byte Folded Reload
	s_and_b64 s[0:1], vcc, s[0:1]
	v_cmp_eq_u32_e32 vcc, 0, v89
	s_and_b64 s[0:1], s[0:1], vcc
	v_cndmask_b32_e64 v89, v89, 6, s[0:1]
	s_waitcnt vmcnt(2)
	v_cmp_eq_f64_e32 vcc, 0, v[1:2]
	s_waitcnt vmcnt(0)
	v_cmp_eq_f64_e64 s[0:1], 0, v[3:4]
	buffer_load_dword v1, off, s[20:23], 0 offset:848 ; 4-byte Folded Reload
	buffer_load_dword v2, off, s[20:23], 0 offset:852 ; 4-byte Folded Reload
	buffer_load_dword v3, off, s[20:23], 0 offset:856 ; 4-byte Folded Reload
	buffer_load_dword v4, off, s[20:23], 0 offset:860 ; 4-byte Folded Reload
	s_and_b64 s[0:1], vcc, s[0:1]
	v_cmp_eq_u32_e32 vcc, 0, v89
	s_and_b64 s[0:1], s[0:1], vcc
	v_cndmask_b32_e64 v89, v89, 7, s[0:1]
	s_waitcnt vmcnt(2)
	v_cmp_eq_f64_e32 vcc, 0, v[1:2]
	s_waitcnt vmcnt(0)
	v_cmp_eq_f64_e64 s[0:1], 0, v[3:4]
	buffer_load_dword v1, off, s[20:23], 0 offset:864 ; 4-byte Folded Reload
	buffer_load_dword v2, off, s[20:23], 0 offset:868 ; 4-byte Folded Reload
	buffer_load_dword v3, off, s[20:23], 0 offset:872 ; 4-byte Folded Reload
	buffer_load_dword v4, off, s[20:23], 0 offset:876 ; 4-byte Folded Reload
	s_and_b64 s[0:1], vcc, s[0:1]
	v_cmp_eq_u32_e32 vcc, 0, v89
	s_and_b64 s[0:1], s[0:1], vcc
	v_cndmask_b32_e64 v89, v89, 8, s[0:1]
	s_waitcnt vmcnt(2)
	v_cmp_eq_f64_e32 vcc, 0, v[1:2]
	s_waitcnt vmcnt(0)
	v_cmp_eq_f64_e64 s[0:1], 0, v[3:4]
	buffer_load_dword v1, off, s[20:23], 0 offset:880 ; 4-byte Folded Reload
	buffer_load_dword v2, off, s[20:23], 0 offset:884 ; 4-byte Folded Reload
	buffer_load_dword v3, off, s[20:23], 0 offset:888 ; 4-byte Folded Reload
	buffer_load_dword v4, off, s[20:23], 0 offset:892 ; 4-byte Folded Reload
	s_and_b64 s[0:1], vcc, s[0:1]
	v_cmp_eq_u32_e32 vcc, 0, v89
	s_and_b64 s[0:1], s[0:1], vcc
	v_cndmask_b32_e64 v89, v89, 9, s[0:1]
	s_waitcnt vmcnt(2)
	v_cmp_eq_f64_e32 vcc, 0, v[1:2]
	s_waitcnt vmcnt(0)
	v_cmp_eq_f64_e64 s[0:1], 0, v[3:4]
	buffer_load_dword v1, off, s[20:23], 0 offset:896 ; 4-byte Folded Reload
	buffer_load_dword v2, off, s[20:23], 0 offset:900 ; 4-byte Folded Reload
	buffer_load_dword v3, off, s[20:23], 0 offset:904 ; 4-byte Folded Reload
	buffer_load_dword v4, off, s[20:23], 0 offset:908 ; 4-byte Folded Reload
	s_and_b64 s[0:1], vcc, s[0:1]
	v_cmp_eq_u32_e32 vcc, 0, v89
	s_and_b64 s[0:1], s[0:1], vcc
	v_cndmask_b32_e64 v89, v89, 10, s[0:1]
	s_waitcnt vmcnt(2)
	v_cmp_eq_f64_e32 vcc, 0, v[1:2]
	s_waitcnt vmcnt(0)
	v_cmp_eq_f64_e64 s[0:1], 0, v[3:4]
	buffer_load_dword v1, off, s[20:23], 0 offset:912 ; 4-byte Folded Reload
	buffer_load_dword v2, off, s[20:23], 0 offset:916 ; 4-byte Folded Reload
	buffer_load_dword v3, off, s[20:23], 0 offset:920 ; 4-byte Folded Reload
	buffer_load_dword v4, off, s[20:23], 0 offset:924 ; 4-byte Folded Reload
	s_and_b64 s[0:1], vcc, s[0:1]
	v_cmp_eq_u32_e32 vcc, 0, v89
	s_and_b64 s[0:1], s[0:1], vcc
	v_cndmask_b32_e64 v89, v89, 11, s[0:1]
	s_waitcnt vmcnt(2)
	v_cmp_eq_f64_e32 vcc, 0, v[1:2]
	s_waitcnt vmcnt(0)
	v_cmp_eq_f64_e64 s[0:1], 0, v[3:4]
	buffer_load_dword v1, off, s[20:23], 0 offset:928 ; 4-byte Folded Reload
	buffer_load_dword v2, off, s[20:23], 0 offset:932 ; 4-byte Folded Reload
	buffer_load_dword v3, off, s[20:23], 0 offset:936 ; 4-byte Folded Reload
	buffer_load_dword v4, off, s[20:23], 0 offset:940 ; 4-byte Folded Reload
	s_and_b64 s[0:1], vcc, s[0:1]
	v_cmp_eq_u32_e32 vcc, 0, v89
	s_and_b64 s[0:1], s[0:1], vcc
	v_cndmask_b32_e64 v89, v89, 12, s[0:1]
	s_waitcnt vmcnt(2)
	v_cmp_eq_f64_e32 vcc, 0, v[1:2]
	s_waitcnt vmcnt(0)
	v_cmp_eq_f64_e64 s[0:1], 0, v[3:4]
	buffer_load_dword v1, off, s[20:23], 0 offset:944 ; 4-byte Folded Reload
	buffer_load_dword v2, off, s[20:23], 0 offset:948 ; 4-byte Folded Reload
	buffer_load_dword v3, off, s[20:23], 0 offset:952 ; 4-byte Folded Reload
	buffer_load_dword v4, off, s[20:23], 0 offset:956 ; 4-byte Folded Reload
	s_and_b64 s[0:1], vcc, s[0:1]
	v_cmp_eq_u32_e32 vcc, 0, v89
	s_and_b64 s[0:1], s[0:1], vcc
	v_cndmask_b32_e64 v89, v89, 13, s[0:1]
	s_waitcnt vmcnt(2)
	v_cmp_eq_f64_e32 vcc, 0, v[1:2]
	s_waitcnt vmcnt(0)
	v_cmp_eq_f64_e64 s[0:1], 0, v[3:4]
	buffer_load_dword v1, off, s[20:23], 0 offset:960 ; 4-byte Folded Reload
	buffer_load_dword v2, off, s[20:23], 0 offset:964 ; 4-byte Folded Reload
	buffer_load_dword v3, off, s[20:23], 0 offset:968 ; 4-byte Folded Reload
	buffer_load_dword v4, off, s[20:23], 0 offset:972 ; 4-byte Folded Reload
	s_and_b64 s[0:1], vcc, s[0:1]
	v_cmp_eq_u32_e32 vcc, 0, v89
	s_and_b64 s[0:1], s[0:1], vcc
	v_cndmask_b32_e64 v89, v89, 14, s[0:1]
	s_waitcnt vmcnt(2)
	v_cmp_eq_f64_e32 vcc, 0, v[1:2]
	s_waitcnt vmcnt(0)
	v_cmp_eq_f64_e64 s[0:1], 0, v[3:4]
	buffer_load_dword v1, off, s[20:23], 0 offset:976 ; 4-byte Folded Reload
	buffer_load_dword v2, off, s[20:23], 0 offset:980 ; 4-byte Folded Reload
	buffer_load_dword v3, off, s[20:23], 0 offset:984 ; 4-byte Folded Reload
	buffer_load_dword v4, off, s[20:23], 0 offset:988 ; 4-byte Folded Reload
	s_and_b64 s[0:1], vcc, s[0:1]
	v_cmp_eq_u32_e32 vcc, 0, v89
	s_and_b64 s[0:1], s[0:1], vcc
	v_cndmask_b32_e64 v89, v89, 15, s[0:1]
	s_waitcnt vmcnt(2)
	v_cmp_eq_f64_e32 vcc, 0, v[1:2]
	s_waitcnt vmcnt(0)
	v_cmp_eq_f64_e64 s[0:1], 0, v[3:4]
	buffer_load_dword v1, off, s[20:23], 0 offset:992 ; 4-byte Folded Reload
	buffer_load_dword v2, off, s[20:23], 0 offset:996 ; 4-byte Folded Reload
	buffer_load_dword v3, off, s[20:23], 0 offset:1000 ; 4-byte Folded Reload
	buffer_load_dword v4, off, s[20:23], 0 offset:1004 ; 4-byte Folded Reload
	s_and_b64 s[0:1], vcc, s[0:1]
	v_cmp_eq_u32_e32 vcc, 0, v89
	s_and_b64 s[0:1], s[0:1], vcc
	v_cndmask_b32_e64 v89, v89, 16, s[0:1]
	s_waitcnt vmcnt(2)
	v_cmp_eq_f64_e32 vcc, 0, v[1:2]
	s_waitcnt vmcnt(0)
	v_cmp_eq_f64_e64 s[0:1], 0, v[3:4]
	buffer_load_dword v1, off, s[20:23], 0 offset:1008 ; 4-byte Folded Reload
	buffer_load_dword v2, off, s[20:23], 0 offset:1012 ; 4-byte Folded Reload
	buffer_load_dword v3, off, s[20:23], 0 offset:1016 ; 4-byte Folded Reload
	buffer_load_dword v4, off, s[20:23], 0 offset:1020 ; 4-byte Folded Reload
	s_and_b64 s[0:1], vcc, s[0:1]
	v_cmp_eq_u32_e32 vcc, 0, v89
	s_and_b64 s[0:1], s[0:1], vcc
	v_cndmask_b32_e64 v89, v89, 17, s[0:1]
	s_waitcnt vmcnt(2)
	v_cmp_eq_f64_e32 vcc, 0, v[1:2]
	s_waitcnt vmcnt(0)
	v_cmp_eq_f64_e64 s[0:1], 0, v[3:4]
	buffer_load_dword v1, off, s[20:23], 0 offset:1024 ; 4-byte Folded Reload
	buffer_load_dword v2, off, s[20:23], 0 offset:1028 ; 4-byte Folded Reload
	buffer_load_dword v3, off, s[20:23], 0 offset:1032 ; 4-byte Folded Reload
	buffer_load_dword v4, off, s[20:23], 0 offset:1036 ; 4-byte Folded Reload
	s_and_b64 s[0:1], vcc, s[0:1]
	v_cmp_eq_u32_e32 vcc, 0, v89
	s_and_b64 s[0:1], s[0:1], vcc
	v_cndmask_b32_e64 v89, v89, 18, s[0:1]
	s_waitcnt vmcnt(2)
	v_cmp_eq_f64_e32 vcc, 0, v[1:2]
	s_waitcnt vmcnt(0)
	v_cmp_eq_f64_e64 s[0:1], 0, v[3:4]
	buffer_load_dword v1, off, s[20:23], 0 offset:1040 ; 4-byte Folded Reload
	buffer_load_dword v2, off, s[20:23], 0 offset:1044 ; 4-byte Folded Reload
	buffer_load_dword v3, off, s[20:23], 0 offset:1048 ; 4-byte Folded Reload
	buffer_load_dword v4, off, s[20:23], 0 offset:1052 ; 4-byte Folded Reload
	s_and_b64 s[0:1], vcc, s[0:1]
	v_cmp_eq_u32_e32 vcc, 0, v89
	s_and_b64 s[0:1], s[0:1], vcc
	v_cndmask_b32_e64 v89, v89, 19, s[0:1]
	v_cmp_eq_f64_e32 vcc, 0, v[85:86]
	v_cmp_eq_f64_e64 s[0:1], 0, v[87:88]
	s_and_b64 s[0:1], vcc, s[0:1]
	v_cmp_eq_u32_e32 vcc, 0, v89
	s_and_b64 s[0:1], s[0:1], vcc
	v_cndmask_b32_e64 v89, v89, 20, s[0:1]
	s_waitcnt vmcnt(2)
	v_cmp_eq_f64_e32 vcc, 0, v[1:2]
	s_waitcnt vmcnt(0)
	v_cmp_eq_f64_e64 s[0:1], 0, v[3:4]
	buffer_load_dword v1, off, s[20:23], 0 offset:1056 ; 4-byte Folded Reload
	buffer_load_dword v2, off, s[20:23], 0 offset:1060 ; 4-byte Folded Reload
	buffer_load_dword v3, off, s[20:23], 0 offset:1064 ; 4-byte Folded Reload
	buffer_load_dword v4, off, s[20:23], 0 offset:1068 ; 4-byte Folded Reload
	s_and_b64 s[0:1], vcc, s[0:1]
	v_cmp_eq_u32_e32 vcc, 0, v89
	s_and_b64 s[0:1], s[0:1], vcc
	v_cndmask_b32_e64 v89, v89, 21, s[0:1]
	s_waitcnt vmcnt(2)
	v_cmp_eq_f64_e32 vcc, 0, v[1:2]
	s_waitcnt vmcnt(0)
	v_cmp_eq_f64_e64 s[0:1], 0, v[3:4]
	buffer_load_dword v1, off, s[20:23], 0 offset:1072 ; 4-byte Folded Reload
	buffer_load_dword v2, off, s[20:23], 0 offset:1076 ; 4-byte Folded Reload
	buffer_load_dword v3, off, s[20:23], 0 offset:1080 ; 4-byte Folded Reload
	buffer_load_dword v4, off, s[20:23], 0 offset:1084 ; 4-byte Folded Reload
	s_and_b64 s[0:1], vcc, s[0:1]
	v_cmp_eq_u32_e32 vcc, 0, v89
	s_and_b64 s[0:1], s[0:1], vcc
	v_cndmask_b32_e64 v89, v89, 22, s[0:1]
	s_waitcnt vmcnt(2)
	v_cmp_eq_f64_e32 vcc, 0, v[1:2]
	s_waitcnt vmcnt(0)
	v_cmp_eq_f64_e64 s[0:1], 0, v[3:4]
	buffer_load_dword v1, off, s[20:23], 0 offset:1088 ; 4-byte Folded Reload
	buffer_load_dword v2, off, s[20:23], 0 offset:1092 ; 4-byte Folded Reload
	buffer_load_dword v3, off, s[20:23], 0 offset:1096 ; 4-byte Folded Reload
	buffer_load_dword v4, off, s[20:23], 0 offset:1100 ; 4-byte Folded Reload
	s_and_b64 s[0:1], vcc, s[0:1]
	v_cmp_eq_u32_e32 vcc, 0, v89
	s_and_b64 s[0:1], s[0:1], vcc
	v_cndmask_b32_e64 v89, v89, 23, s[0:1]
	s_waitcnt vmcnt(2)
	v_cmp_eq_f64_e32 vcc, 0, v[1:2]
	s_waitcnt vmcnt(0)
	v_cmp_eq_f64_e64 s[0:1], 0, v[3:4]
	buffer_load_dword v1, off, s[20:23], 0 offset:1104 ; 4-byte Folded Reload
	buffer_load_dword v2, off, s[20:23], 0 offset:1108 ; 4-byte Folded Reload
	buffer_load_dword v3, off, s[20:23], 0 offset:1112 ; 4-byte Folded Reload
	buffer_load_dword v4, off, s[20:23], 0 offset:1116 ; 4-byte Folded Reload
	s_and_b64 s[0:1], vcc, s[0:1]
	v_cmp_eq_u32_e32 vcc, 0, v89
	s_and_b64 s[0:1], s[0:1], vcc
	v_cndmask_b32_e64 v89, v89, 24, s[0:1]
	s_waitcnt vmcnt(2)
	v_cmp_eq_f64_e32 vcc, 0, v[1:2]
	s_waitcnt vmcnt(0)
	v_cmp_eq_f64_e64 s[0:1], 0, v[3:4]
	buffer_load_dword v1, off, s[20:23], 0 offset:1120 ; 4-byte Folded Reload
	buffer_load_dword v2, off, s[20:23], 0 offset:1124 ; 4-byte Folded Reload
	buffer_load_dword v3, off, s[20:23], 0 offset:1128 ; 4-byte Folded Reload
	buffer_load_dword v4, off, s[20:23], 0 offset:1132 ; 4-byte Folded Reload
	s_and_b64 s[0:1], vcc, s[0:1]
	v_cmp_eq_u32_e32 vcc, 0, v89
	s_and_b64 s[0:1], s[0:1], vcc
	v_cndmask_b32_e64 v89, v89, 25, s[0:1]
	s_waitcnt vmcnt(2)
	v_cmp_eq_f64_e32 vcc, 0, v[1:2]
	s_waitcnt vmcnt(0)
	v_cmp_eq_f64_e64 s[0:1], 0, v[3:4]
	buffer_load_dword v1, off, s[20:23], 0 offset:1136 ; 4-byte Folded Reload
	buffer_load_dword v2, off, s[20:23], 0 offset:1140 ; 4-byte Folded Reload
	buffer_load_dword v3, off, s[20:23], 0 offset:1144 ; 4-byte Folded Reload
	buffer_load_dword v4, off, s[20:23], 0 offset:1148 ; 4-byte Folded Reload
	s_and_b64 s[0:1], vcc, s[0:1]
	v_cmp_eq_u32_e32 vcc, 0, v89
	s_and_b64 s[0:1], s[0:1], vcc
	v_cndmask_b32_e64 v89, v89, 26, s[0:1]
	s_waitcnt vmcnt(2)
	v_cmp_eq_f64_e32 vcc, 0, v[1:2]
	s_waitcnt vmcnt(0)
	v_cmp_eq_f64_e64 s[0:1], 0, v[3:4]
	buffer_load_dword v1, off, s[20:23], 0 offset:1152 ; 4-byte Folded Reload
	buffer_load_dword v2, off, s[20:23], 0 offset:1156 ; 4-byte Folded Reload
	buffer_load_dword v3, off, s[20:23], 0 offset:1160 ; 4-byte Folded Reload
	buffer_load_dword v4, off, s[20:23], 0 offset:1164 ; 4-byte Folded Reload
	s_and_b64 s[0:1], vcc, s[0:1]
	v_cmp_eq_u32_e32 vcc, 0, v89
	s_and_b64 s[0:1], s[0:1], vcc
	v_cndmask_b32_e64 v89, v89, 27, s[0:1]
	s_waitcnt vmcnt(2)
	v_cmp_eq_f64_e32 vcc, 0, v[1:2]
	s_waitcnt vmcnt(0)
	v_cmp_eq_f64_e64 s[0:1], 0, v[3:4]
	buffer_load_dword v1, off, s[20:23], 0 offset:1168 ; 4-byte Folded Reload
	buffer_load_dword v2, off, s[20:23], 0 offset:1172 ; 4-byte Folded Reload
	buffer_load_dword v3, off, s[20:23], 0 offset:1176 ; 4-byte Folded Reload
	buffer_load_dword v4, off, s[20:23], 0 offset:1180 ; 4-byte Folded Reload
	s_and_b64 s[0:1], vcc, s[0:1]
	v_cmp_eq_u32_e32 vcc, 0, v89
	s_and_b64 s[0:1], s[0:1], vcc
	v_cndmask_b32_e64 v89, v89, 28, s[0:1]
	s_waitcnt vmcnt(2)
	v_cmp_eq_f64_e32 vcc, 0, v[1:2]
	s_waitcnt vmcnt(0)
	v_cmp_eq_f64_e64 s[0:1], 0, v[3:4]
	buffer_load_dword v1, off, s[20:23], 0 offset:1184 ; 4-byte Folded Reload
	buffer_load_dword v2, off, s[20:23], 0 offset:1188 ; 4-byte Folded Reload
	buffer_load_dword v3, off, s[20:23], 0 offset:1192 ; 4-byte Folded Reload
	buffer_load_dword v4, off, s[20:23], 0 offset:1196 ; 4-byte Folded Reload
	s_and_b64 s[0:1], vcc, s[0:1]
	v_cmp_eq_u32_e32 vcc, 0, v89
	s_and_b64 s[0:1], s[0:1], vcc
	v_cndmask_b32_e64 v89, v89, 29, s[0:1]
	s_waitcnt vmcnt(2)
	v_cmp_eq_f64_e32 vcc, 0, v[1:2]
	s_waitcnt vmcnt(0)
	v_cmp_eq_f64_e64 s[0:1], 0, v[3:4]
	buffer_load_dword v1, off, s[20:23], 0 offset:1200 ; 4-byte Folded Reload
	buffer_load_dword v2, off, s[20:23], 0 offset:1204 ; 4-byte Folded Reload
	buffer_load_dword v3, off, s[20:23], 0 offset:1208 ; 4-byte Folded Reload
	buffer_load_dword v4, off, s[20:23], 0 offset:1212 ; 4-byte Folded Reload
	s_and_b64 s[0:1], vcc, s[0:1]
	v_cmp_eq_u32_e32 vcc, 0, v89
	s_and_b64 s[0:1], s[0:1], vcc
	v_cndmask_b32_e64 v89, v89, 30, s[0:1]
	s_waitcnt vmcnt(2)
	v_cmp_eq_f64_e32 vcc, 0, v[1:2]
	s_waitcnt vmcnt(0)
	v_cmp_eq_f64_e64 s[0:1], 0, v[3:4]
	buffer_load_dword v1, off, s[20:23], 0 offset:1216 ; 4-byte Folded Reload
	buffer_load_dword v2, off, s[20:23], 0 offset:1220 ; 4-byte Folded Reload
	buffer_load_dword v3, off, s[20:23], 0 offset:1224 ; 4-byte Folded Reload
	buffer_load_dword v4, off, s[20:23], 0 offset:1228 ; 4-byte Folded Reload
	s_and_b64 s[0:1], vcc, s[0:1]
	v_cmp_eq_u32_e32 vcc, 0, v89
	s_and_b64 s[0:1], s[0:1], vcc
	v_cndmask_b32_e64 v89, v89, 31, s[0:1]
	s_waitcnt vmcnt(2)
	v_cmp_eq_f64_e32 vcc, 0, v[1:2]
	s_waitcnt vmcnt(0)
	v_cmp_eq_f64_e64 s[0:1], 0, v[3:4]
	buffer_load_dword v1, off, s[20:23], 0 offset:1232 ; 4-byte Folded Reload
	buffer_load_dword v2, off, s[20:23], 0 offset:1236 ; 4-byte Folded Reload
	buffer_load_dword v3, off, s[20:23], 0 offset:1240 ; 4-byte Folded Reload
	buffer_load_dword v4, off, s[20:23], 0 offset:1244 ; 4-byte Folded Reload
	s_and_b64 s[0:1], vcc, s[0:1]
	v_cmp_eq_u32_e32 vcc, 0, v89
	s_and_b64 s[0:1], s[0:1], vcc
	v_cndmask_b32_e64 v89, v89, 32, s[0:1]
	s_waitcnt vmcnt(2)
	v_cmp_eq_f64_e32 vcc, 0, v[1:2]
	s_waitcnt vmcnt(0)
	v_cmp_eq_f64_e64 s[0:1], 0, v[3:4]
	buffer_load_dword v1, off, s[20:23], 0 offset:1248 ; 4-byte Folded Reload
	buffer_load_dword v2, off, s[20:23], 0 offset:1252 ; 4-byte Folded Reload
	buffer_load_dword v3, off, s[20:23], 0 offset:1256 ; 4-byte Folded Reload
	buffer_load_dword v4, off, s[20:23], 0 offset:1260 ; 4-byte Folded Reload
	s_and_b64 s[0:1], vcc, s[0:1]
	v_cmp_eq_u32_e32 vcc, 0, v89
	s_and_b64 s[0:1], s[0:1], vcc
	v_cndmask_b32_e64 v89, v89, 33, s[0:1]
	s_waitcnt vmcnt(2)
	v_cmp_eq_f64_e32 vcc, 0, v[1:2]
	s_waitcnt vmcnt(0)
	v_cmp_eq_f64_e64 s[0:1], 0, v[3:4]
	buffer_load_dword v1, off, s[20:23], 0 offset:1264 ; 4-byte Folded Reload
	buffer_load_dword v2, off, s[20:23], 0 offset:1268 ; 4-byte Folded Reload
	buffer_load_dword v3, off, s[20:23], 0 offset:1272 ; 4-byte Folded Reload
	buffer_load_dword v4, off, s[20:23], 0 offset:1276 ; 4-byte Folded Reload
	s_and_b64 s[0:1], vcc, s[0:1]
	v_cmp_eq_u32_e32 vcc, 0, v89
	s_and_b64 s[0:1], s[0:1], vcc
	v_cndmask_b32_e64 v89, v89, 34, s[0:1]
	s_waitcnt vmcnt(2)
	v_cmp_eq_f64_e32 vcc, 0, v[1:2]
	s_waitcnt vmcnt(0)
	v_cmp_eq_f64_e64 s[0:1], 0, v[3:4]
	buffer_load_dword v1, off, s[20:23], 0 offset:1280 ; 4-byte Folded Reload
	buffer_load_dword v2, off, s[20:23], 0 offset:1284 ; 4-byte Folded Reload
	buffer_load_dword v3, off, s[20:23], 0 offset:1288 ; 4-byte Folded Reload
	buffer_load_dword v4, off, s[20:23], 0 offset:1292 ; 4-byte Folded Reload
	s_and_b64 s[0:1], vcc, s[0:1]
	v_cmp_eq_u32_e32 vcc, 0, v89
	s_and_b64 s[0:1], s[0:1], vcc
	v_cndmask_b32_e64 v89, v89, 35, s[0:1]
	s_waitcnt vmcnt(2)
	v_cmp_eq_f64_e32 vcc, 0, v[1:2]
	s_waitcnt vmcnt(0)
	v_cmp_eq_f64_e64 s[0:1], 0, v[3:4]
	buffer_load_dword v1, off, s[20:23], 0 offset:1296 ; 4-byte Folded Reload
	buffer_load_dword v2, off, s[20:23], 0 offset:1300 ; 4-byte Folded Reload
	buffer_load_dword v3, off, s[20:23], 0 offset:1304 ; 4-byte Folded Reload
	buffer_load_dword v4, off, s[20:23], 0 offset:1308 ; 4-byte Folded Reload
	s_and_b64 s[0:1], vcc, s[0:1]
	v_cmp_eq_u32_e32 vcc, 0, v89
	s_and_b64 s[0:1], s[0:1], vcc
	v_cndmask_b32_e64 v89, v89, 36, s[0:1]
	s_waitcnt vmcnt(2)
	v_cmp_eq_f64_e32 vcc, 0, v[1:2]
	s_waitcnt vmcnt(0)
	v_cmp_eq_f64_e64 s[0:1], 0, v[3:4]
	buffer_load_dword v1, off, s[20:23], 0 offset:1312 ; 4-byte Folded Reload
	buffer_load_dword v2, off, s[20:23], 0 offset:1316 ; 4-byte Folded Reload
	buffer_load_dword v3, off, s[20:23], 0 offset:1320 ; 4-byte Folded Reload
	buffer_load_dword v4, off, s[20:23], 0 offset:1324 ; 4-byte Folded Reload
	s_and_b64 s[0:1], vcc, s[0:1]
	v_cmp_eq_u32_e32 vcc, 0, v89
	s_and_b64 s[0:1], s[0:1], vcc
	v_cndmask_b32_e64 v89, v89, 37, s[0:1]
	s_waitcnt vmcnt(2)
	v_cmp_eq_f64_e32 vcc, 0, v[1:2]
	buffer_load_dword v1, off, s[20:23], 0 offset:1328 ; 4-byte Folded Reload
	buffer_load_dword v2, off, s[20:23], 0 offset:1332 ; 4-byte Folded Reload
	s_waitcnt vmcnt(2)
	v_cmp_eq_f64_e64 s[0:1], 0, v[3:4]
	s_and_b64 s[0:1], vcc, s[0:1]
	v_cmp_eq_u32_e32 vcc, 0, v89
	s_and_b64 s[0:1], s[0:1], vcc
	v_cndmask_b32_e64 v89, v89, 38, s[0:1]
	v_cmp_eq_f64_e32 vcc, 0, v[101:102]
	v_cmp_eq_f64_e64 s[0:1], 0, v[103:104]
	s_and_b64 s[0:1], vcc, s[0:1]
	v_cmp_eq_u32_e32 vcc, 0, v89
	s_and_b64 s[0:1], s[0:1], vcc
	v_cndmask_b32_e64 v89, v89, 39, s[0:1]
	v_cmp_eq_f64_e32 vcc, 0, v[97:98]
	;; [unrolled: 6-line block ×3, first 2 shown]
	v_cmp_eq_f64_e64 s[0:1], 0, v[107:108]
	s_and_b64 s[0:1], vcc, s[0:1]
	v_cmp_eq_u32_e32 vcc, 0, v89
	s_and_b64 s[0:1], s[0:1], vcc
	v_cndmask_b32_e64 v99, v89, 41, s[0:1]
	v_cmp_ne_u32_e64 s[0:1], 0, v99
	s_waitcnt vmcnt(0)
	v_lshlrev_b64 v[89:90], 2, v[1:2]
	v_add_co_u32_e32 v97, vcc, s10, v89
	v_mov_b32_e32 v89, s11
	v_addc_co_u32_e32 v98, vcc, v89, v90, vcc
	global_load_dword v89, v[97:98], off
	s_waitcnt vmcnt(0)
	v_cmp_eq_u32_e32 vcc, 0, v89
	s_and_b64 s[0:1], vcc, s[0:1]
	s_and_b64 exec, exec, s[0:1]
	s_cbranch_execz .LBB81_371
; %bb.370:
	v_add_u32_e32 v89, s13, v99
	global_store_dword v[97:98], v89, off
.LBB81_371:
	s_or_b64 exec, exec, s[2:3]
	buffer_load_dword v1, off, s[20:23], 0 offset:720 ; 4-byte Folded Reload
	buffer_load_dword v2, off, s[20:23], 0 offset:724 ; 4-byte Folded Reload
	;; [unrolled: 1-line block ×6, first 2 shown]
	v_cmp_lt_u32_e32 vcc, 40, v0
	v_mul_f64 v[89:90], v[105:106], v[83:84]
	v_fma_f64 v[89:90], v[107:108], v[81:82], v[89:90]
	v_cndmask_b32_e32 v100, v84, v90, vcc
	v_cndmask_b32_e32 v99, v83, v89, vcc
	s_waitcnt vmcnt(0)
	global_store_dwordx4 v[1:2], v[3:6], off
	buffer_load_dword v1, off, s[20:23], 0 offset:728 ; 4-byte Folded Reload
	s_nop 0
	buffer_load_dword v2, off, s[20:23], 0 offset:732 ; 4-byte Folded Reload
	buffer_load_dword v3, off, s[20:23], 0 offset:224 ; 4-byte Folded Reload
	;; [unrolled: 1-line block ×5, first 2 shown]
	s_waitcnt vmcnt(0)
	global_store_dwordx4 v[1:2], v[3:6], off
	buffer_load_dword v1, off, s[20:23], 0 offset:208 ; 4-byte Folded Reload
	s_nop 0
	buffer_load_dword v2, off, s[20:23], 0 offset:212 ; 4-byte Folded Reload
	buffer_load_dword v3, off, s[20:23], 0 offset:216 ; 4-byte Folded Reload
	;; [unrolled: 1-line block ×3, first 2 shown]
	s_waitcnt vmcnt(0)
	global_store_dwordx4 v[91:92], v[1:4], off
	buffer_load_dword v87, off, s[20:23], 0 offset:256 ; 4-byte Folded Reload
	buffer_load_dword v88, off, s[20:23], 0 offset:260 ; 4-byte Folded Reload
	s_nop 0
	buffer_load_dword v1, off, s[20:23], 0 offset:192 ; 4-byte Folded Reload
	buffer_load_dword v2, off, s[20:23], 0 offset:196 ; 4-byte Folded Reload
	;; [unrolled: 1-line block ×4, first 2 shown]
	v_mul_f64 v[91:92], v[107:108], v[83:84]
	v_fma_f64 v[91:92], v[105:106], v[81:82], -v[91:92]
	v_cndmask_b32_e32 v98, v82, v92, vcc
	v_cndmask_b32_e32 v97, v81, v91, vcc
	s_waitcnt vmcnt(0)
	global_store_dwordx4 v[87:88], v[1:4], off
	buffer_load_dword v37, off, s[20:23], 0 offset:552 ; 4-byte Folded Reload
	buffer_load_dword v38, off, s[20:23], 0 offset:556 ; 4-byte Folded Reload
	s_nop 0
	buffer_load_dword v1, off, s[20:23], 0 offset:176 ; 4-byte Folded Reload
	buffer_load_dword v2, off, s[20:23], 0 offset:180 ; 4-byte Folded Reload
	;; [unrolled: 1-line block ×4, first 2 shown]
	s_waitcnt vmcnt(0)
	global_store_dwordx4 v[37:38], v[1:4], off
	buffer_load_dword v85, off, s[20:23], 0 offset:264 ; 4-byte Folded Reload
	buffer_load_dword v86, off, s[20:23], 0 offset:268 ; 4-byte Folded Reload
	s_nop 0
	buffer_load_dword v1, off, s[20:23], 0 offset:160 ; 4-byte Folded Reload
	buffer_load_dword v2, off, s[20:23], 0 offset:164 ; 4-byte Folded Reload
	buffer_load_dword v3, off, s[20:23], 0 offset:168 ; 4-byte Folded Reload
	buffer_load_dword v4, off, s[20:23], 0 offset:172 ; 4-byte Folded Reload
	s_waitcnt vmcnt(0)
	global_store_dwordx4 v[85:86], v[1:4], off
	buffer_load_dword v85, off, s[20:23], 0 offset:272 ; 4-byte Folded Reload
	s_nop 0
	buffer_load_dword v86, off, s[20:23], 0 offset:276 ; 4-byte Folded Reload
	buffer_load_dword v1, off, s[20:23], 0 offset:144 ; 4-byte Folded Reload
	buffer_load_dword v2, off, s[20:23], 0 offset:148 ; 4-byte Folded Reload
	buffer_load_dword v3, off, s[20:23], 0 offset:152 ; 4-byte Folded Reload
	buffer_load_dword v4, off, s[20:23], 0 offset:156 ; 4-byte Folded Reload
	s_waitcnt vmcnt(0)
	global_store_dwordx4 v[85:86], v[1:4], off
	buffer_load_dword v85, off, s[20:23], 0 offset:280 ; 4-byte Folded Reload
	s_nop 0
	buffer_load_dword v86, off, s[20:23], 0 offset:284 ; 4-byte Folded Reload
	;; [unrolled: 9-line block ×9, first 2 shown]
	s_waitcnt vmcnt(0)
	global_store_dwordx4 v[85:86], v[117:120], off
	buffer_load_dword v85, off, s[20:23], 0 offset:344 ; 4-byte Folded Reload
	s_nop 0
	buffer_load_dword v86, off, s[20:23], 0 offset:348 ; 4-byte Folded Reload
	s_waitcnt vmcnt(0)
	global_store_dwordx4 v[85:86], v[121:124], off
	buffer_load_dword v85, off, s[20:23], 0 offset:352 ; 4-byte Folded Reload
	s_nop 0
	buffer_load_dword v86, off, s[20:23], 0 offset:356 ; 4-byte Folded Reload
	;; [unrolled: 5-line block ×4, first 2 shown]
	buffer_load_dword v0, off, s[20:23], 0 offset:32 ; 4-byte Folded Reload
	buffer_load_dword v1, off, s[20:23], 0 offset:36 ; 4-byte Folded Reload
	;; [unrolled: 1-line block ×4, first 2 shown]
	s_waitcnt vmcnt(0)
	global_store_dwordx4 v[85:86], v[0:3], off
	buffer_load_dword v85, off, s[20:23], 0 offset:376 ; 4-byte Folded Reload
	s_nop 0
	buffer_load_dword v86, off, s[20:23], 0 offset:380 ; 4-byte Folded Reload
	s_waitcnt vmcnt(0)
	global_store_dwordx4 v[85:86], v[93:96], off
	buffer_load_dword v81, off, s[20:23], 0 offset:384 ; 4-byte Folded Reload
	buffer_load_dword v82, off, s[20:23], 0 offset:388 ; 4-byte Folded Reload
	buffer_load_dword v0, off, s[20:23], 0  ; 4-byte Folded Reload
	buffer_load_dword v1, off, s[20:23], 0 offset:4 ; 4-byte Folded Reload
	buffer_load_dword v2, off, s[20:23], 0 offset:8 ; 4-byte Folded Reload
	buffer_load_dword v3, off, s[20:23], 0 offset:12 ; 4-byte Folded Reload
	s_waitcnt vmcnt(0)
	global_store_dwordx4 v[81:82], v[0:3], off
	buffer_load_dword v77, off, s[20:23], 0 offset:392 ; 4-byte Folded Reload
	buffer_load_dword v78, off, s[20:23], 0 offset:396 ; 4-byte Folded Reload
	s_waitcnt vmcnt(0)
	global_store_dwordx4 v[77:78], v[73:76], off
	buffer_load_dword v73, off, s[20:23], 0 offset:400 ; 4-byte Folded Reload
	s_nop 0
	buffer_load_dword v74, off, s[20:23], 0 offset:404 ; 4-byte Folded Reload
	s_waitcnt vmcnt(0)
	global_store_dwordx4 v[73:74], v[69:72], off
	buffer_load_dword v69, off, s[20:23], 0 offset:544 ; 4-byte Folded Reload
	s_nop 0
	;; [unrolled: 5-line block ×9, first 2 shown]
	buffer_load_dword v42, off, s[20:23], 0 offset:460 ; 4-byte Folded Reload
	buffer_load_dword v33, off, s[20:23], 0 offset:16 ; 4-byte Folded Reload
	buffer_load_dword v34, off, s[20:23], 0 offset:20 ; 4-byte Folded Reload
	buffer_load_dword v35, off, s[20:23], 0 offset:24 ; 4-byte Folded Reload
	buffer_load_dword v36, off, s[20:23], 0 offset:28 ; 4-byte Folded Reload
	s_waitcnt vmcnt(0)
	global_store_dwordx4 v[41:42], v[33:36], off
	buffer_load_dword v37, off, s[20:23], 0 offset:464 ; 4-byte Folded Reload
	buffer_load_dword v38, off, s[20:23], 0 offset:468 ; 4-byte Folded Reload
	buffer_load_dword v29, off, s[20:23], 0 offset:560 ; 4-byte Folded Reload
	buffer_load_dword v30, off, s[20:23], 0 offset:564 ; 4-byte Folded Reload
	buffer_load_dword v31, off, s[20:23], 0 offset:568 ; 4-byte Folded Reload
	buffer_load_dword v32, off, s[20:23], 0 offset:572 ; 4-byte Folded Reload
	s_waitcnt vmcnt(0)
	global_store_dwordx4 v[37:38], v[29:32], off
	buffer_load_dword v33, off, s[20:23], 0 offset:472 ; 4-byte Folded Reload
	;; [unrolled: 8-line block ×9, first 2 shown]
	buffer_load_dword v6, off, s[20:23], 0 offset:532 ; 4-byte Folded Reload
	s_nop 0
	buffer_load_dword v0, off, s[20:23], 0 offset:688 ; 4-byte Folded Reload
	buffer_load_dword v1, off, s[20:23], 0 offset:692 ; 4-byte Folded Reload
	;; [unrolled: 1-line block ×4, first 2 shown]
	s_waitcnt vmcnt(0)
	global_store_dwordx4 v[5:6], v[0:3], off
	buffer_load_dword v0, off, s[20:23], 0 offset:536 ; 4-byte Folded Reload
	s_nop 0
	buffer_load_dword v1, off, s[20:23], 0 offset:540 ; 4-byte Folded Reload
	s_waitcnt vmcnt(0)
	global_store_dwordx4 v[0:1], v[97:100], off
.LBB81_372:
	s_endpgm
	.section	.rodata,"a",@progbits
	.p2align	6, 0x0
	.amdhsa_kernel _ZN9rocsolver6v33100L23getf2_npvt_small_kernelILi41E19rocblas_complex_numIdEiiPS3_EEvT1_T3_lS5_lPT2_S5_S5_
		.amdhsa_group_segment_fixed_size 0
		.amdhsa_private_segment_fixed_size 1356
		.amdhsa_kernarg_size 312
		.amdhsa_user_sgpr_count 6
		.amdhsa_user_sgpr_private_segment_buffer 1
		.amdhsa_user_sgpr_dispatch_ptr 0
		.amdhsa_user_sgpr_queue_ptr 0
		.amdhsa_user_sgpr_kernarg_segment_ptr 1
		.amdhsa_user_sgpr_dispatch_id 0
		.amdhsa_user_sgpr_flat_scratch_init 0
		.amdhsa_user_sgpr_private_segment_size 0
		.amdhsa_uses_dynamic_stack 0
		.amdhsa_system_sgpr_private_segment_wavefront_offset 1
		.amdhsa_system_sgpr_workgroup_id_x 1
		.amdhsa_system_sgpr_workgroup_id_y 1
		.amdhsa_system_sgpr_workgroup_id_z 0
		.amdhsa_system_sgpr_workgroup_info 0
		.amdhsa_system_vgpr_workitem_id 1
		.amdhsa_next_free_vgpr 128
		.amdhsa_next_free_sgpr 24
		.amdhsa_reserve_vcc 1
		.amdhsa_reserve_flat_scratch 0
		.amdhsa_float_round_mode_32 0
		.amdhsa_float_round_mode_16_64 0
		.amdhsa_float_denorm_mode_32 3
		.amdhsa_float_denorm_mode_16_64 3
		.amdhsa_dx10_clamp 1
		.amdhsa_ieee_mode 1
		.amdhsa_fp16_overflow 0
		.amdhsa_exception_fp_ieee_invalid_op 0
		.amdhsa_exception_fp_denorm_src 0
		.amdhsa_exception_fp_ieee_div_zero 0
		.amdhsa_exception_fp_ieee_overflow 0
		.amdhsa_exception_fp_ieee_underflow 0
		.amdhsa_exception_fp_ieee_inexact 0
		.amdhsa_exception_int_div_zero 0
	.end_amdhsa_kernel
	.section	.text._ZN9rocsolver6v33100L23getf2_npvt_small_kernelILi41E19rocblas_complex_numIdEiiPS3_EEvT1_T3_lS5_lPT2_S5_S5_,"axG",@progbits,_ZN9rocsolver6v33100L23getf2_npvt_small_kernelILi41E19rocblas_complex_numIdEiiPS3_EEvT1_T3_lS5_lPT2_S5_S5_,comdat
.Lfunc_end81:
	.size	_ZN9rocsolver6v33100L23getf2_npvt_small_kernelILi41E19rocblas_complex_numIdEiiPS3_EEvT1_T3_lS5_lPT2_S5_S5_, .Lfunc_end81-_ZN9rocsolver6v33100L23getf2_npvt_small_kernelILi41E19rocblas_complex_numIdEiiPS3_EEvT1_T3_lS5_lPT2_S5_S5_
                                        ; -- End function
	.set _ZN9rocsolver6v33100L23getf2_npvt_small_kernelILi41E19rocblas_complex_numIdEiiPS3_EEvT1_T3_lS5_lPT2_S5_S5_.num_vgpr, 128
	.set _ZN9rocsolver6v33100L23getf2_npvt_small_kernelILi41E19rocblas_complex_numIdEiiPS3_EEvT1_T3_lS5_lPT2_S5_S5_.num_agpr, 0
	.set _ZN9rocsolver6v33100L23getf2_npvt_small_kernelILi41E19rocblas_complex_numIdEiiPS3_EEvT1_T3_lS5_lPT2_S5_S5_.numbered_sgpr, 24
	.set _ZN9rocsolver6v33100L23getf2_npvt_small_kernelILi41E19rocblas_complex_numIdEiiPS3_EEvT1_T3_lS5_lPT2_S5_S5_.num_named_barrier, 0
	.set _ZN9rocsolver6v33100L23getf2_npvt_small_kernelILi41E19rocblas_complex_numIdEiiPS3_EEvT1_T3_lS5_lPT2_S5_S5_.private_seg_size, 1356
	.set _ZN9rocsolver6v33100L23getf2_npvt_small_kernelILi41E19rocblas_complex_numIdEiiPS3_EEvT1_T3_lS5_lPT2_S5_S5_.uses_vcc, 1
	.set _ZN9rocsolver6v33100L23getf2_npvt_small_kernelILi41E19rocblas_complex_numIdEiiPS3_EEvT1_T3_lS5_lPT2_S5_S5_.uses_flat_scratch, 0
	.set _ZN9rocsolver6v33100L23getf2_npvt_small_kernelILi41E19rocblas_complex_numIdEiiPS3_EEvT1_T3_lS5_lPT2_S5_S5_.has_dyn_sized_stack, 0
	.set _ZN9rocsolver6v33100L23getf2_npvt_small_kernelILi41E19rocblas_complex_numIdEiiPS3_EEvT1_T3_lS5_lPT2_S5_S5_.has_recursion, 0
	.set _ZN9rocsolver6v33100L23getf2_npvt_small_kernelILi41E19rocblas_complex_numIdEiiPS3_EEvT1_T3_lS5_lPT2_S5_S5_.has_indirect_call, 0
	.section	.AMDGPU.csdata,"",@progbits
; Kernel info:
; codeLenInByte = 108064
; TotalNumSgprs: 28
; NumVgprs: 128
; ScratchSize: 1356
; MemoryBound: 1
; FloatMode: 240
; IeeeMode: 1
; LDSByteSize: 0 bytes/workgroup (compile time only)
; SGPRBlocks: 3
; VGPRBlocks: 31
; NumSGPRsForWavesPerEU: 28
; NumVGPRsForWavesPerEU: 128
; Occupancy: 2
; WaveLimiterHint : 0
; COMPUTE_PGM_RSRC2:SCRATCH_EN: 1
; COMPUTE_PGM_RSRC2:USER_SGPR: 6
; COMPUTE_PGM_RSRC2:TRAP_HANDLER: 0
; COMPUTE_PGM_RSRC2:TGID_X_EN: 1
; COMPUTE_PGM_RSRC2:TGID_Y_EN: 1
; COMPUTE_PGM_RSRC2:TGID_Z_EN: 0
; COMPUTE_PGM_RSRC2:TIDIG_COMP_CNT: 1
	.section	.text._ZN9rocsolver6v33100L18getf2_small_kernelILi42E19rocblas_complex_numIdEiiPS3_EEvT1_T3_lS5_lPS5_llPT2_S5_S5_S7_l,"axG",@progbits,_ZN9rocsolver6v33100L18getf2_small_kernelILi42E19rocblas_complex_numIdEiiPS3_EEvT1_T3_lS5_lPS5_llPT2_S5_S5_S7_l,comdat
	.globl	_ZN9rocsolver6v33100L18getf2_small_kernelILi42E19rocblas_complex_numIdEiiPS3_EEvT1_T3_lS5_lPS5_llPT2_S5_S5_S7_l ; -- Begin function _ZN9rocsolver6v33100L18getf2_small_kernelILi42E19rocblas_complex_numIdEiiPS3_EEvT1_T3_lS5_lPS5_llPT2_S5_S5_S7_l
	.p2align	8
	.type	_ZN9rocsolver6v33100L18getf2_small_kernelILi42E19rocblas_complex_numIdEiiPS3_EEvT1_T3_lS5_lPS5_llPT2_S5_S5_S7_l,@function
_ZN9rocsolver6v33100L18getf2_small_kernelILi42E19rocblas_complex_numIdEiiPS3_EEvT1_T3_lS5_lPS5_llPT2_S5_S5_S7_l: ; @_ZN9rocsolver6v33100L18getf2_small_kernelILi42E19rocblas_complex_numIdEiiPS3_EEvT1_T3_lS5_lPS5_llPT2_S5_S5_S7_l
; %bb.0:
	s_mov_b64 s[26:27], s[2:3]
	s_mov_b64 s[24:25], s[0:1]
	s_load_dword s0, s[4:5], 0x6c
	s_load_dwordx2 s[16:17], s[4:5], 0x48
	s_add_u32 s24, s24, s8
	s_addc_u32 s25, s25, 0
	s_waitcnt lgkmcnt(0)
	s_lshr_b32 s0, s0, 16
	s_mul_i32 s7, s7, s0
	v_add_u32_e32 v6, s7, v1
	v_cmp_gt_i32_e32 vcc, s16, v6
	s_and_saveexec_b64 s[0:1], vcc
	s_cbranch_execz .LBB82_883
; %bb.1:
	s_load_dwordx4 s[0:3], s[4:5], 0x50
	v_mov_b32_e32 v91, 0
	v_ashrrev_i32_e32 v7, 31, v6
	v_mov_b32_e32 v92, 0
	s_waitcnt lgkmcnt(0)
	s_cmp_eq_u64 s[0:1], 0
	s_cselect_b64 s[6:7], -1, 0
	s_and_b64 vcc, exec, s[6:7]
	s_cbranch_vccnz .LBB82_3
; %bb.2:
	v_mul_lo_u32 v4, s3, v6
	v_mul_lo_u32 v5, s2, v7
	v_mad_u64_u32 v[2:3], s[2:3], s2, v6, 0
	v_add3_u32 v3, v3, v5, v4
	v_lshlrev_b64 v[2:3], 2, v[2:3]
	v_mov_b32_e32 v4, s1
	v_add_co_u32_e32 v91, vcc, s0, v2
	v_addc_co_u32_e32 v92, vcc, v4, v3, vcc
.LBB82_3:
	s_load_dwordx8 s[8:15], s[4:5], 0x20
	s_load_dwordx4 s[20:23], s[4:5], 0x8
	s_load_dword s2, s[4:5], 0x18
	v_mov_b32_e32 v90, v7
	v_mov_b32_e32 v89, v6
	s_waitcnt lgkmcnt(0)
	v_mul_lo_u32 v4, s9, v6
	v_mul_lo_u32 v5, s8, v7
	v_mad_u64_u32 v[2:3], s[0:1], s8, v6, 0
	v_mov_b32_e32 v6, s21
	s_lshl_b64 s[0:1], s[22:23], 4
	v_add3_u32 v3, v3, v5, v4
	v_lshlrev_b64 v[2:3], 4, v[2:3]
	v_mov_b32_e32 v4, s1
	v_add_co_u32_e32 v2, vcc, s20, v2
	v_addc_co_u32_e32 v3, vcc, v6, v3, vcc
	v_add_co_u32_e32 v127, vcc, s0, v2
	s_add_i32 s16, s2, s2
	v_addc_co_u32_e32 v93, vcc, v3, v4, vcc
	v_add_u32_e32 v4, s16, v0
	v_ashrrev_i32_e32 v5, 31, v4
	v_lshlrev_b64 v[2:3], 4, v[4:5]
	v_add_u32_e32 v6, s2, v4
	v_ashrrev_i32_e32 v7, 31, v6
	v_add_co_u32_e32 v2, vcc, v127, v2
	v_lshlrev_b64 v[4:5], 4, v[6:7]
	v_add_u32_e32 v8, s2, v6
	v_addc_co_u32_e32 v3, vcc, v93, v3, vcc
	v_ashrrev_i32_e32 v9, 31, v8
	v_add_co_u32_e32 v4, vcc, v127, v4
	v_lshlrev_b64 v[6:7], 4, v[8:9]
	v_add_u32_e32 v10, s2, v8
	v_addc_co_u32_e32 v5, vcc, v93, v5, vcc
	;; [unrolled: 5-line block ×25, first 2 shown]
	v_ashrrev_i32_e32 v55, 31, v54
	v_add_co_u32_e32 v52, vcc, v127, v52
	v_lshlrev_b64 v[55:56], 4, v[54:55]
	v_addc_co_u32_e32 v53, vcc, v93, v53, vcc
	v_add_u32_e32 v54, s2, v54
	v_add_co_u32_e32 v117, vcc, v127, v55
	v_ashrrev_i32_e32 v55, 31, v54
	v_addc_co_u32_e32 v118, vcc, v93, v56, vcc
	v_lshlrev_b64 v[55:56], 4, v[54:55]
	v_add_u32_e32 v54, s2, v54
	v_add_co_u32_e32 v119, vcc, v127, v55
	v_ashrrev_i32_e32 v55, 31, v54
	v_addc_co_u32_e32 v120, vcc, v93, v56, vcc
	v_lshlrev_b64 v[55:56], 4, v[54:55]
	;; [unrolled: 5-line block ×11, first 2 shown]
	v_add_u32_e32 v54, s2, v54
	s_ashr_i32 s3, s2, 31
	v_add_co_u32_e32 v101, vcc, v127, v55
	v_ashrrev_i32_e32 v55, 31, v54
	s_lshl_b64 s[8:9], s[2:3], 4
	s_load_dword s3, s[4:5], 0x0
	v_addc_co_u32_e32 v102, vcc, v93, v56, vcc
	v_lshlrev_b64 v[55:56], 4, v[54:55]
	v_add_u32_e32 v54, s2, v54
	v_add_co_u32_e32 v103, vcc, v127, v55
	v_ashrrev_i32_e32 v55, 31, v54
	v_lshlrev_b64 v[54:55], 4, v[54:55]
	v_addc_co_u32_e32 v104, vcc, v93, v56, vcc
	s_waitcnt lgkmcnt(0)
	s_max_i32 s0, s3, 42
	v_add_co_u32_e32 v97, vcc, v127, v54
	v_mul_lo_u32 v95, s0, v1
	v_addc_co_u32_e32 v98, vcc, v93, v55, vcc
	v_lshlrev_b32_e32 v58, 4, v0
	v_add_co_u32_e32 v56, vcc, v127, v58
	v_addc_co_u32_e32 v57, vcc, 0, v93, vcc
	v_mov_b32_e32 v55, s9
	v_add_co_u32_e32 v54, vcc, s8, v56
	v_lshl_add_u32 v94, v95, 4, 0
	v_addc_co_u32_e32 v55, vcc, v57, v55, vcc
	v_add_u32_e32 v1, v94, v58
	global_load_dwordx4 v[56:59], v[56:57], off
	s_nop 0
	global_load_dwordx4 v[60:63], v[54:55], off
	s_waitcnt vmcnt(0)
	buffer_store_dword v60, off, s[24:27], 0 offset:272 ; 4-byte Folded Spill
	s_nop 0
	buffer_store_dword v61, off, s[24:27], 0 offset:276 ; 4-byte Folded Spill
	buffer_store_dword v62, off, s[24:27], 0 offset:280 ; 4-byte Folded Spill
	;; [unrolled: 1-line block ×4, first 2 shown]
	s_nop 0
	buffer_store_dword v57, off, s[24:27], 0 offset:292 ; 4-byte Folded Spill
	buffer_store_dword v58, off, s[24:27], 0 offset:296 ; 4-byte Folded Spill
	;; [unrolled: 1-line block ×3, first 2 shown]
	s_load_dwordx2 s[4:5], s[4:5], 0x40
	s_cmp_lt_i32 s3, 2
	v_lshlrev_b32_e32 v99, 4, v95
	ds_write2_b64 v1, v[56:57], v[58:59] offset1:1
	global_load_dwordx4 v[54:57], v[2:3], off
	s_waitcnt vmcnt(0)
	buffer_store_dword v54, off, s[24:27], 0 offset:256 ; 4-byte Folded Spill
	s_nop 0
	buffer_store_dword v55, off, s[24:27], 0 offset:260 ; 4-byte Folded Spill
	buffer_store_dword v56, off, s[24:27], 0 offset:264 ; 4-byte Folded Spill
	buffer_store_dword v57, off, s[24:27], 0 offset:268 ; 4-byte Folded Spill
	global_load_dwordx4 v[1:4], v[4:5], off
	s_waitcnt vmcnt(0)
	buffer_store_dword v1, off, s[24:27], 0 offset:240 ; 4-byte Folded Spill
	s_nop 0
	buffer_store_dword v2, off, s[24:27], 0 offset:244 ; 4-byte Folded Spill
	buffer_store_dword v3, off, s[24:27], 0 offset:248 ; 4-byte Folded Spill
	buffer_store_dword v4, off, s[24:27], 0 offset:252 ; 4-byte Folded Spill
	;; [unrolled: 7-line block ×16, first 2 shown]
	global_load_dwordx4 v[1:4], v[34:35], off
	s_waitcnt vmcnt(0)
	buffer_store_dword v1, off, s[24:27], 0 ; 4-byte Folded Spill
	s_nop 0
	buffer_store_dword v2, off, s[24:27], 0 offset:4 ; 4-byte Folded Spill
	buffer_store_dword v3, off, s[24:27], 0 offset:8 ; 4-byte Folded Spill
	;; [unrolled: 1-line block ×3, first 2 shown]
	global_load_dwordx4 v[85:88], v[36:37], off
	global_load_dwordx4 v[81:84], v[38:39], off
	;; [unrolled: 1-line block ×8, first 2 shown]
	s_nop 0
	global_load_dwordx4 v[53:56], v[52:53], off
	s_nop 0
	global_load_dwordx4 v[49:52], v[117:118], off
	global_load_dwordx4 v[45:48], v[119:120], off
	global_load_dwordx4 v[41:44], v[121:122], off
	global_load_dwordx4 v[37:40], v[123:124], off
	global_load_dwordx4 v[33:36], v[125:126], off
	global_load_dwordx4 v[29:32], v[113:114], off
	global_load_dwordx4 v[25:28], v[115:116], off
	global_load_dwordx4 v[21:24], v[109:110], off
	global_load_dwordx4 v[17:20], v[111:112], off
	global_load_dwordx4 v[13:16], v[105:106], off
	global_load_dwordx4 v[9:12], v[107:108], off
	global_load_dwordx4 v[5:8], v[101:102], off
	global_load_dwordx4 v[1:4], v[103:104], off
	global_load_dwordx4 v[121:124], v[97:98], off
	s_waitcnt vmcnt(0) lgkmcnt(0)
	s_barrier
	ds_read2_b64 v[117:120], v94 offset1:1
	v_mov_b32_e32 v97, 0
	s_cbranch_scc1 .LBB82_6
; %bb.4:
	v_add3_u32 v95, v99, 0, 16
	s_mov_b32 s0, 1
	v_mov_b32_e32 v97, 0
.LBB82_5:                               ; =>This Inner Loop Header: Depth=1
	s_waitcnt lgkmcnt(0)
	v_cmp_gt_f64_e32 vcc, 0, v[117:118]
	v_xor_b32_e32 v96, 0x80000000, v118
	ds_read2_b64 v[100:103], v95 offset1:1
	v_mov_b32_e32 v104, v117
	v_mov_b32_e32 v106, v119
	v_add_u32_e32 v95, 16, v95
	s_waitcnt lgkmcnt(0)
	v_mov_b32_e32 v108, v102
	v_cndmask_b32_e32 v105, v118, v96, vcc
	v_cmp_gt_f64_e32 vcc, 0, v[119:120]
	v_xor_b32_e32 v96, 0x80000000, v120
	v_cndmask_b32_e32 v107, v120, v96, vcc
	v_cmp_gt_f64_e32 vcc, 0, v[100:101]
	v_xor_b32_e32 v96, 0x80000000, v101
	v_add_f64 v[104:105], v[104:105], v[106:107]
	v_mov_b32_e32 v106, v100
	v_cndmask_b32_e32 v107, v101, v96, vcc
	v_cmp_gt_f64_e32 vcc, 0, v[102:103]
	v_xor_b32_e32 v96, 0x80000000, v103
	v_cndmask_b32_e32 v109, v103, v96, vcc
	v_add_f64 v[106:107], v[106:107], v[108:109]
	v_mov_b32_e32 v96, s0
	s_add_i32 s0, s0, 1
	s_cmp_eq_u32 s3, s0
	v_cmp_lt_f64_e32 vcc, v[104:105], v[106:107]
	v_cndmask_b32_e32 v118, v118, v101, vcc
	v_cndmask_b32_e32 v117, v117, v100, vcc
	;; [unrolled: 1-line block ×5, first 2 shown]
	s_cbranch_scc0 .LBB82_5
.LBB82_6:
	s_waitcnt lgkmcnt(0)
	v_cmp_neq_f64_e32 vcc, 0, v[117:118]
	v_cmp_neq_f64_e64 s[0:1], 0, v[119:120]
	v_mov_b32_e32 v114, v90
	v_mov_b32_e32 v113, v89
	;; [unrolled: 1-line block ×4, first 2 shown]
	s_or_b64 s[18:19], vcc, s[0:1]
	s_and_saveexec_b64 s[0:1], s[18:19]
	s_cbranch_execz .LBB82_12
; %bb.7:
	v_cmp_ngt_f64_e64 s[18:19], |v[117:118]|, |v[119:120]|
	s_and_saveexec_b64 s[20:21], s[18:19]
	s_xor_b64 s[18:19], exec, s[20:21]
	s_cbranch_execz .LBB82_9
; %bb.8:
	v_div_scale_f64 v[95:96], s[20:21], v[119:120], v[119:120], v[117:118]
	v_rcp_f64_e32 v[100:101], v[95:96]
	v_fma_f64 v[102:103], -v[95:96], v[100:101], 1.0
	v_fma_f64 v[100:101], v[100:101], v[102:103], v[100:101]
	v_div_scale_f64 v[102:103], vcc, v[117:118], v[119:120], v[117:118]
	v_fma_f64 v[104:105], -v[95:96], v[100:101], 1.0
	v_fma_f64 v[100:101], v[100:101], v[104:105], v[100:101]
	v_mul_f64 v[104:105], v[102:103], v[100:101]
	v_fma_f64 v[95:96], -v[95:96], v[104:105], v[102:103]
	v_div_fmas_f64 v[95:96], v[95:96], v[100:101], v[104:105]
	v_div_fixup_f64 v[95:96], v[95:96], v[119:120], v[117:118]
	v_fma_f64 v[100:101], v[117:118], v[95:96], v[119:120]
	v_div_scale_f64 v[102:103], s[20:21], v[100:101], v[100:101], 1.0
	v_div_scale_f64 v[108:109], vcc, 1.0, v[100:101], 1.0
	v_rcp_f64_e32 v[104:105], v[102:103]
	v_fma_f64 v[106:107], -v[102:103], v[104:105], 1.0
	v_fma_f64 v[104:105], v[104:105], v[106:107], v[104:105]
	v_fma_f64 v[106:107], -v[102:103], v[104:105], 1.0
	v_fma_f64 v[104:105], v[104:105], v[106:107], v[104:105]
	v_mul_f64 v[106:107], v[108:109], v[104:105]
	v_fma_f64 v[102:103], -v[102:103], v[106:107], v[108:109]
	v_div_fmas_f64 v[102:103], v[102:103], v[104:105], v[106:107]
	v_div_fixup_f64 v[119:120], v[102:103], v[100:101], 1.0
	v_mul_f64 v[117:118], v[95:96], v[119:120]
	v_xor_b32_e32 v120, 0x80000000, v120
.LBB82_9:
	s_andn2_saveexec_b64 s[18:19], s[18:19]
	s_cbranch_execz .LBB82_11
; %bb.10:
	v_div_scale_f64 v[95:96], s[20:21], v[117:118], v[117:118], v[119:120]
	v_rcp_f64_e32 v[100:101], v[95:96]
	v_fma_f64 v[102:103], -v[95:96], v[100:101], 1.0
	v_fma_f64 v[100:101], v[100:101], v[102:103], v[100:101]
	v_div_scale_f64 v[102:103], vcc, v[119:120], v[117:118], v[119:120]
	v_fma_f64 v[104:105], -v[95:96], v[100:101], 1.0
	v_fma_f64 v[100:101], v[100:101], v[104:105], v[100:101]
	v_mul_f64 v[104:105], v[102:103], v[100:101]
	v_fma_f64 v[95:96], -v[95:96], v[104:105], v[102:103]
	v_div_fmas_f64 v[95:96], v[95:96], v[100:101], v[104:105]
	v_div_fixup_f64 v[95:96], v[95:96], v[117:118], v[119:120]
	v_fma_f64 v[100:101], v[119:120], v[95:96], v[117:118]
	v_div_scale_f64 v[102:103], s[20:21], v[100:101], v[100:101], 1.0
	v_div_scale_f64 v[108:109], vcc, 1.0, v[100:101], 1.0
	v_rcp_f64_e32 v[104:105], v[102:103]
	v_fma_f64 v[106:107], -v[102:103], v[104:105], 1.0
	v_fma_f64 v[104:105], v[104:105], v[106:107], v[104:105]
	v_fma_f64 v[106:107], -v[102:103], v[104:105], 1.0
	v_fma_f64 v[104:105], v[104:105], v[106:107], v[104:105]
	v_mul_f64 v[106:107], v[108:109], v[104:105]
	v_fma_f64 v[102:103], -v[102:103], v[106:107], v[108:109]
	v_div_fmas_f64 v[102:103], v[102:103], v[104:105], v[106:107]
	v_div_fixup_f64 v[117:118], v[102:103], v[100:101], 1.0
	v_mul_f64 v[119:120], v[95:96], -v[117:118]
.LBB82_11:
	s_or_b64 exec, exec, s[18:19]
	v_mov_b32_e32 v100, 0
	v_mov_b32_e32 v95, 2
.LBB82_12:
	s_or_b64 exec, exec, s[0:1]
	v_cmp_ne_u32_e32 vcc, v0, v97
	s_and_saveexec_b64 s[0:1], vcc
	s_xor_b64 s[0:1], exec, s[0:1]
	s_cbranch_execz .LBB82_18
; %bb.13:
	v_cmp_eq_u32_e32 vcc, 0, v0
	s_and_saveexec_b64 s[18:19], vcc
	s_cbranch_execz .LBB82_17
; %bb.14:
	v_cmp_ne_u32_e32 vcc, 0, v97
	s_xor_b64 s[20:21], s[6:7], -1
	s_and_b64 s[22:23], s[20:21], vcc
	s_and_saveexec_b64 s[20:21], s[22:23]
	s_cbranch_execz .LBB82_16
; %bb.15:
	v_ashrrev_i32_e32 v98, 31, v97
	v_lshlrev_b64 v[101:102], 2, v[97:98]
	v_add_co_u32_e32 v101, vcc, v91, v101
	v_addc_co_u32_e32 v102, vcc, v92, v102, vcc
	global_load_dword v0, v[101:102], off
	global_load_dword v96, v[91:92], off
	s_waitcnt vmcnt(1)
	global_store_dword v[91:92], v0, off
	s_waitcnt vmcnt(1)
	global_store_dword v[101:102], v96, off
.LBB82_16:
	s_or_b64 exec, exec, s[20:21]
	v_mov_b32_e32 v0, v97
.LBB82_17:
	s_or_b64 exec, exec, s[18:19]
.LBB82_18:
	s_or_saveexec_b64 s[0:1], s[0:1]
	v_mov_b32_e32 v96, v0
	s_xor_b64 exec, exec, s[0:1]
	s_cbranch_execz .LBB82_20
; %bb.19:
	buffer_load_dword v101, off, s[24:27], 0 offset:272 ; 4-byte Folded Reload
	buffer_load_dword v102, off, s[24:27], 0 offset:276 ; 4-byte Folded Reload
	;; [unrolled: 1-line block ×4, first 2 shown]
	v_mov_b32_e32 v96, 0
	s_waitcnt vmcnt(0)
	ds_write2_b64 v94, v[101:102], v[103:104] offset0:2 offset1:3
	buffer_load_dword v101, off, s[24:27], 0 offset:256 ; 4-byte Folded Reload
	buffer_load_dword v102, off, s[24:27], 0 offset:260 ; 4-byte Folded Reload
	buffer_load_dword v103, off, s[24:27], 0 offset:264 ; 4-byte Folded Reload
	buffer_load_dword v104, off, s[24:27], 0 offset:268 ; 4-byte Folded Reload
	s_waitcnt vmcnt(0)
	ds_write2_b64 v94, v[101:102], v[103:104] offset0:4 offset1:5
	buffer_load_dword v101, off, s[24:27], 0 offset:240 ; 4-byte Folded Reload
	buffer_load_dword v102, off, s[24:27], 0 offset:244 ; 4-byte Folded Reload
	buffer_load_dword v103, off, s[24:27], 0 offset:248 ; 4-byte Folded Reload
	buffer_load_dword v104, off, s[24:27], 0 offset:252 ; 4-byte Folded Reload
	;; [unrolled: 6-line block ×16, first 2 shown]
	s_waitcnt vmcnt(0)
	ds_write2_b64 v94, v[101:102], v[103:104] offset0:34 offset1:35
	buffer_load_dword v101, off, s[24:27], 0 ; 4-byte Folded Reload
	buffer_load_dword v102, off, s[24:27], 0 offset:4 ; 4-byte Folded Reload
	buffer_load_dword v103, off, s[24:27], 0 offset:8 ; 4-byte Folded Reload
	buffer_load_dword v104, off, s[24:27], 0 offset:12 ; 4-byte Folded Reload
	s_waitcnt vmcnt(0)
	ds_write2_b64 v94, v[101:102], v[103:104] offset0:36 offset1:37
	ds_write2_b64 v94, v[85:86], v[87:88] offset0:38 offset1:39
	;; [unrolled: 1-line block ×24, first 2 shown]
.LBB82_20:
	s_or_b64 exec, exec, s[0:1]
	v_cmp_lt_i32_e32 vcc, 0, v96
	s_waitcnt vmcnt(0) lgkmcnt(0)
	s_barrier
	s_and_saveexec_b64 s[0:1], vcc
	s_cbranch_execz .LBB82_22
; %bb.21:
	buffer_load_dword v105, off, s[24:27], 0 offset:288 ; 4-byte Folded Reload
	buffer_load_dword v106, off, s[24:27], 0 offset:292 ; 4-byte Folded Reload
	;; [unrolled: 1-line block ×4, first 2 shown]
	ds_read2_b64 v[101:104], v94 offset0:2 offset1:3
	s_waitcnt vmcnt(0)
	v_mul_f64 v[97:98], v[119:120], v[107:108]
	v_fma_f64 v[125:126], v[117:118], v[105:106], -v[97:98]
	v_mul_f64 v[97:98], v[117:118], v[107:108]
	v_fma_f64 v[107:108], v[119:120], v[105:106], v[97:98]
	s_waitcnt lgkmcnt(0)
	v_mul_f64 v[97:98], v[103:104], v[107:108]
	v_fma_f64 v[97:98], v[101:102], v[125:126], -v[97:98]
	v_mul_f64 v[101:102], v[101:102], v[107:108]
	v_fma_f64 v[101:102], v[103:104], v[125:126], v[101:102]
	buffer_load_dword v103, off, s[24:27], 0 offset:272 ; 4-byte Folded Reload
	buffer_load_dword v104, off, s[24:27], 0 offset:276 ; 4-byte Folded Reload
	buffer_load_dword v105, off, s[24:27], 0 offset:280 ; 4-byte Folded Reload
	buffer_load_dword v106, off, s[24:27], 0 offset:284 ; 4-byte Folded Reload
	s_waitcnt vmcnt(2)
	v_add_f64 v[103:104], v[103:104], -v[97:98]
	s_waitcnt vmcnt(0)
	v_add_f64 v[105:106], v[105:106], -v[101:102]
	buffer_store_dword v103, off, s[24:27], 0 offset:272 ; 4-byte Folded Spill
	s_nop 0
	buffer_store_dword v104, off, s[24:27], 0 offset:276 ; 4-byte Folded Spill
	buffer_store_dword v105, off, s[24:27], 0 offset:280 ; 4-byte Folded Spill
	buffer_store_dword v106, off, s[24:27], 0 offset:284 ; 4-byte Folded Spill
	ds_read2_b64 v[101:104], v94 offset0:4 offset1:5
	s_waitcnt lgkmcnt(0)
	v_mul_f64 v[97:98], v[103:104], v[107:108]
	v_fma_f64 v[97:98], v[101:102], v[125:126], -v[97:98]
	v_mul_f64 v[101:102], v[101:102], v[107:108]
	v_fma_f64 v[101:102], v[103:104], v[125:126], v[101:102]
	buffer_load_dword v103, off, s[24:27], 0 offset:256 ; 4-byte Folded Reload
	buffer_load_dword v104, off, s[24:27], 0 offset:260 ; 4-byte Folded Reload
	buffer_load_dword v105, off, s[24:27], 0 offset:264 ; 4-byte Folded Reload
	buffer_load_dword v106, off, s[24:27], 0 offset:268 ; 4-byte Folded Reload
	s_waitcnt vmcnt(2)
	v_add_f64 v[103:104], v[103:104], -v[97:98]
	s_waitcnt vmcnt(0)
	v_add_f64 v[105:106], v[105:106], -v[101:102]
	buffer_store_dword v103, off, s[24:27], 0 offset:256 ; 4-byte Folded Spill
	s_nop 0
	buffer_store_dword v104, off, s[24:27], 0 offset:260 ; 4-byte Folded Spill
	buffer_store_dword v105, off, s[24:27], 0 offset:264 ; 4-byte Folded Spill
	buffer_store_dword v106, off, s[24:27], 0 offset:268 ; 4-byte Folded Spill
	ds_read2_b64 v[101:104], v94 offset0:6 offset1:7
	;; [unrolled: 19-line block ×17, first 2 shown]
	s_waitcnt lgkmcnt(0)
	v_mul_f64 v[97:98], v[103:104], v[107:108]
	v_fma_f64 v[97:98], v[101:102], v[125:126], -v[97:98]
	v_mul_f64 v[101:102], v[101:102], v[107:108]
	v_fma_f64 v[101:102], v[103:104], v[125:126], v[101:102]
	buffer_load_dword v103, off, s[24:27], 0 ; 4-byte Folded Reload
	buffer_load_dword v104, off, s[24:27], 0 offset:4 ; 4-byte Folded Reload
	buffer_load_dword v105, off, s[24:27], 0 offset:8 ; 4-byte Folded Reload
	;; [unrolled: 1-line block ×3, first 2 shown]
	s_waitcnt vmcnt(2)
	v_add_f64 v[103:104], v[103:104], -v[97:98]
	s_waitcnt vmcnt(0)
	v_add_f64 v[105:106], v[105:106], -v[101:102]
	buffer_store_dword v103, off, s[24:27], 0 ; 4-byte Folded Spill
	s_nop 0
	buffer_store_dword v104, off, s[24:27], 0 offset:4 ; 4-byte Folded Spill
	buffer_store_dword v105, off, s[24:27], 0 offset:8 ; 4-byte Folded Spill
	;; [unrolled: 1-line block ×3, first 2 shown]
	ds_read2_b64 v[101:104], v94 offset0:38 offset1:39
	v_mov_b32_e32 v105, v125
	v_mov_b32_e32 v106, v126
	s_waitcnt lgkmcnt(0)
	v_mul_f64 v[97:98], v[103:104], v[107:108]
	v_fma_f64 v[97:98], v[101:102], v[125:126], -v[97:98]
	v_mul_f64 v[101:102], v[101:102], v[107:108]
	v_add_f64 v[85:86], v[85:86], -v[97:98]
	v_fma_f64 v[101:102], v[103:104], v[125:126], v[101:102]
	v_add_f64 v[87:88], v[87:88], -v[101:102]
	ds_read2_b64 v[101:104], v94 offset0:40 offset1:41
	s_waitcnt lgkmcnt(0)
	v_mul_f64 v[97:98], v[103:104], v[107:108]
	v_fma_f64 v[97:98], v[101:102], v[125:126], -v[97:98]
	v_mul_f64 v[101:102], v[101:102], v[107:108]
	v_add_f64 v[81:82], v[81:82], -v[97:98]
	v_fma_f64 v[101:102], v[103:104], v[125:126], v[101:102]
	v_add_f64 v[83:84], v[83:84], -v[101:102]
	ds_read2_b64 v[101:104], v94 offset0:42 offset1:43
	;; [unrolled: 8-line block ×22, first 2 shown]
	s_waitcnt lgkmcnt(0)
	v_mul_f64 v[97:98], v[103:104], v[107:108]
	v_fma_f64 v[97:98], v[101:102], v[125:126], -v[97:98]
	v_mul_f64 v[101:102], v[101:102], v[107:108]
	buffer_store_dword v105, off, s[24:27], 0 offset:288 ; 4-byte Folded Spill
	s_nop 0
	buffer_store_dword v106, off, s[24:27], 0 offset:292 ; 4-byte Folded Spill
	buffer_store_dword v107, off, s[24:27], 0 offset:296 ; 4-byte Folded Spill
	;; [unrolled: 1-line block ×3, first 2 shown]
	v_add_f64 v[121:122], v[121:122], -v[97:98]
	v_fma_f64 v[101:102], v[103:104], v[125:126], v[101:102]
	v_add_f64 v[123:124], v[123:124], -v[101:102]
.LBB82_22:
	s_or_b64 exec, exec, s[0:1]
	s_waitcnt vmcnt(0)
	s_barrier
	buffer_load_dword v101, off, s[24:27], 0 offset:272 ; 4-byte Folded Reload
	buffer_load_dword v102, off, s[24:27], 0 offset:276 ; 4-byte Folded Reload
	;; [unrolled: 1-line block ×4, first 2 shown]
	v_lshl_add_u32 v97, v96, 4, v94
	s_cmp_lt_i32 s3, 3
	s_waitcnt vmcnt(0)
	ds_write2_b64 v97, v[101:102], v[103:104] offset1:1
	s_waitcnt lgkmcnt(0)
	s_barrier
	ds_read2_b64 v[117:120], v94 offset0:2 offset1:3
	v_mov_b32_e32 v97, 1
	s_cbranch_scc1 .LBB82_25
; %bb.23:
	v_add3_u32 v98, v99, 0, 32
	s_mov_b32 s0, 2
	v_mov_b32_e32 v97, 1
.LBB82_24:                              ; =>This Inner Loop Header: Depth=1
	s_waitcnt lgkmcnt(0)
	v_cmp_gt_f64_e32 vcc, 0, v[117:118]
	v_xor_b32_e32 v105, 0x80000000, v118
	ds_read2_b64 v[101:104], v98 offset1:1
	v_xor_b32_e32 v107, 0x80000000, v120
	v_add_u32_e32 v98, 16, v98
	s_waitcnt lgkmcnt(0)
	v_xor_b32_e32 v109, 0x80000000, v104
	v_cndmask_b32_e32 v106, v118, v105, vcc
	v_cmp_gt_f64_e32 vcc, 0, v[119:120]
	v_mov_b32_e32 v105, v117
	v_cndmask_b32_e32 v108, v120, v107, vcc
	v_cmp_gt_f64_e32 vcc, 0, v[101:102]
	v_mov_b32_e32 v107, v119
	v_add_f64 v[105:106], v[105:106], v[107:108]
	v_xor_b32_e32 v107, 0x80000000, v102
	v_cndmask_b32_e32 v108, v102, v107, vcc
	v_cmp_gt_f64_e32 vcc, 0, v[103:104]
	v_mov_b32_e32 v107, v101
	v_cndmask_b32_e32 v110, v104, v109, vcc
	v_mov_b32_e32 v109, v103
	v_add_f64 v[107:108], v[107:108], v[109:110]
	v_cmp_lt_f64_e32 vcc, v[105:106], v[107:108]
	v_cndmask_b32_e32 v117, v117, v101, vcc
	v_mov_b32_e32 v101, s0
	s_add_i32 s0, s0, 1
	v_cndmask_b32_e32 v118, v118, v102, vcc
	v_cndmask_b32_e32 v120, v120, v104, vcc
	;; [unrolled: 1-line block ×4, first 2 shown]
	s_cmp_lg_u32 s3, s0
	s_cbranch_scc1 .LBB82_24
.LBB82_25:
	s_waitcnt lgkmcnt(0)
	v_cmp_neq_f64_e32 vcc, 0, v[117:118]
	v_cmp_neq_f64_e64 s[0:1], 0, v[119:120]
	s_or_b64 s[18:19], vcc, s[0:1]
	s_and_saveexec_b64 s[0:1], s[18:19]
	s_cbranch_execz .LBB82_31
; %bb.26:
	v_cmp_ngt_f64_e64 s[18:19], |v[117:118]|, |v[119:120]|
	s_and_saveexec_b64 s[20:21], s[18:19]
	s_xor_b64 s[18:19], exec, s[20:21]
	s_cbranch_execz .LBB82_28
; %bb.27:
	v_div_scale_f64 v[101:102], s[20:21], v[119:120], v[119:120], v[117:118]
	v_rcp_f64_e32 v[103:104], v[101:102]
	v_fma_f64 v[105:106], -v[101:102], v[103:104], 1.0
	v_fma_f64 v[103:104], v[103:104], v[105:106], v[103:104]
	v_div_scale_f64 v[105:106], vcc, v[117:118], v[119:120], v[117:118]
	v_fma_f64 v[107:108], -v[101:102], v[103:104], 1.0
	v_fma_f64 v[103:104], v[103:104], v[107:108], v[103:104]
	v_mul_f64 v[107:108], v[105:106], v[103:104]
	v_fma_f64 v[101:102], -v[101:102], v[107:108], v[105:106]
	v_div_fmas_f64 v[101:102], v[101:102], v[103:104], v[107:108]
	v_div_fixup_f64 v[101:102], v[101:102], v[119:120], v[117:118]
	v_fma_f64 v[103:104], v[117:118], v[101:102], v[119:120]
	v_div_scale_f64 v[105:106], s[20:21], v[103:104], v[103:104], 1.0
	v_div_scale_f64 v[111:112], vcc, 1.0, v[103:104], 1.0
	v_rcp_f64_e32 v[107:108], v[105:106]
	v_fma_f64 v[109:110], -v[105:106], v[107:108], 1.0
	v_fma_f64 v[107:108], v[107:108], v[109:110], v[107:108]
	v_fma_f64 v[109:110], -v[105:106], v[107:108], 1.0
	v_fma_f64 v[107:108], v[107:108], v[109:110], v[107:108]
	v_mul_f64 v[109:110], v[111:112], v[107:108]
	v_fma_f64 v[105:106], -v[105:106], v[109:110], v[111:112]
	v_div_fmas_f64 v[105:106], v[105:106], v[107:108], v[109:110]
	v_div_fixup_f64 v[119:120], v[105:106], v[103:104], 1.0
	v_mul_f64 v[117:118], v[101:102], v[119:120]
	v_xor_b32_e32 v120, 0x80000000, v120
.LBB82_28:
	s_andn2_saveexec_b64 s[18:19], s[18:19]
	s_cbranch_execz .LBB82_30
; %bb.29:
	v_div_scale_f64 v[101:102], s[20:21], v[117:118], v[117:118], v[119:120]
	v_rcp_f64_e32 v[103:104], v[101:102]
	v_fma_f64 v[105:106], -v[101:102], v[103:104], 1.0
	v_fma_f64 v[103:104], v[103:104], v[105:106], v[103:104]
	v_div_scale_f64 v[105:106], vcc, v[119:120], v[117:118], v[119:120]
	v_fma_f64 v[107:108], -v[101:102], v[103:104], 1.0
	v_fma_f64 v[103:104], v[103:104], v[107:108], v[103:104]
	v_mul_f64 v[107:108], v[105:106], v[103:104]
	v_fma_f64 v[101:102], -v[101:102], v[107:108], v[105:106]
	v_div_fmas_f64 v[101:102], v[101:102], v[103:104], v[107:108]
	v_div_fixup_f64 v[101:102], v[101:102], v[117:118], v[119:120]
	v_fma_f64 v[103:104], v[119:120], v[101:102], v[117:118]
	v_div_scale_f64 v[105:106], s[20:21], v[103:104], v[103:104], 1.0
	v_div_scale_f64 v[111:112], vcc, 1.0, v[103:104], 1.0
	v_rcp_f64_e32 v[107:108], v[105:106]
	v_fma_f64 v[109:110], -v[105:106], v[107:108], 1.0
	v_fma_f64 v[107:108], v[107:108], v[109:110], v[107:108]
	v_fma_f64 v[109:110], -v[105:106], v[107:108], 1.0
	v_fma_f64 v[107:108], v[107:108], v[109:110], v[107:108]
	v_mul_f64 v[109:110], v[111:112], v[107:108]
	v_fma_f64 v[105:106], -v[105:106], v[109:110], v[111:112]
	v_div_fmas_f64 v[105:106], v[105:106], v[107:108], v[109:110]
	v_div_fixup_f64 v[117:118], v[105:106], v[103:104], 1.0
	v_mul_f64 v[119:120], v[101:102], -v[117:118]
.LBB82_30:
	s_or_b64 exec, exec, s[18:19]
	v_mov_b32_e32 v95, v100
.LBB82_31:
	s_or_b64 exec, exec, s[0:1]
	v_cmp_ne_u32_e32 vcc, v96, v97
	s_and_saveexec_b64 s[0:1], vcc
	s_xor_b64 s[0:1], exec, s[0:1]
	s_cbranch_execz .LBB82_37
; %bb.32:
	v_cmp_eq_u32_e32 vcc, 1, v96
	s_and_saveexec_b64 s[18:19], vcc
	s_cbranch_execz .LBB82_36
; %bb.33:
	v_cmp_ne_u32_e32 vcc, 1, v97
	s_xor_b64 s[20:21], s[6:7], -1
	s_and_b64 s[22:23], s[20:21], vcc
	s_and_saveexec_b64 s[20:21], s[22:23]
	s_cbranch_execz .LBB82_35
; %bb.34:
	v_ashrrev_i32_e32 v98, 31, v97
	v_lshlrev_b64 v[100:101], 2, v[97:98]
	v_add_co_u32_e32 v100, vcc, v91, v100
	v_addc_co_u32_e32 v101, vcc, v92, v101, vcc
	global_load_dword v0, v[100:101], off
	global_load_dword v96, v[91:92], off offset:4
	s_waitcnt vmcnt(1)
	global_store_dword v[91:92], v0, off offset:4
	s_waitcnt vmcnt(1)
	global_store_dword v[100:101], v96, off
.LBB82_35:
	s_or_b64 exec, exec, s[20:21]
	v_mov_b32_e32 v96, v97
	v_mov_b32_e32 v0, v97
.LBB82_36:
	s_or_b64 exec, exec, s[18:19]
.LBB82_37:
	s_andn2_saveexec_b64 s[0:1], s[0:1]
	s_cbranch_execz .LBB82_39
; %bb.38:
	buffer_load_dword v100, off, s[24:27], 0 offset:256 ; 4-byte Folded Reload
	buffer_load_dword v101, off, s[24:27], 0 offset:260 ; 4-byte Folded Reload
	;; [unrolled: 1-line block ×4, first 2 shown]
	v_mov_b32_e32 v96, 1
	s_waitcnt vmcnt(0)
	ds_write2_b64 v94, v[100:101], v[102:103] offset0:4 offset1:5
	buffer_load_dword v100, off, s[24:27], 0 offset:240 ; 4-byte Folded Reload
	buffer_load_dword v101, off, s[24:27], 0 offset:244 ; 4-byte Folded Reload
	buffer_load_dword v102, off, s[24:27], 0 offset:248 ; 4-byte Folded Reload
	buffer_load_dword v103, off, s[24:27], 0 offset:252 ; 4-byte Folded Reload
	s_waitcnt vmcnt(0)
	ds_write2_b64 v94, v[100:101], v[102:103] offset0:6 offset1:7
	buffer_load_dword v100, off, s[24:27], 0 offset:224 ; 4-byte Folded Reload
	buffer_load_dword v101, off, s[24:27], 0 offset:228 ; 4-byte Folded Reload
	buffer_load_dword v102, off, s[24:27], 0 offset:232 ; 4-byte Folded Reload
	buffer_load_dword v103, off, s[24:27], 0 offset:236 ; 4-byte Folded Reload
	;; [unrolled: 6-line block ×15, first 2 shown]
	s_waitcnt vmcnt(0)
	ds_write2_b64 v94, v[100:101], v[102:103] offset0:34 offset1:35
	buffer_load_dword v100, off, s[24:27], 0 ; 4-byte Folded Reload
	buffer_load_dword v101, off, s[24:27], 0 offset:4 ; 4-byte Folded Reload
	buffer_load_dword v102, off, s[24:27], 0 offset:8 ; 4-byte Folded Reload
	;; [unrolled: 1-line block ×3, first 2 shown]
	s_waitcnt vmcnt(0)
	ds_write2_b64 v94, v[100:101], v[102:103] offset0:36 offset1:37
	ds_write2_b64 v94, v[85:86], v[87:88] offset0:38 offset1:39
	;; [unrolled: 1-line block ×24, first 2 shown]
.LBB82_39:
	s_or_b64 exec, exec, s[0:1]
	v_cmp_lt_i32_e32 vcc, 1, v96
	s_waitcnt vmcnt(0) lgkmcnt(0)
	s_barrier
	s_and_saveexec_b64 s[0:1], vcc
	s_cbranch_execz .LBB82_41
; %bb.40:
	buffer_load_dword v104, off, s[24:27], 0 offset:272 ; 4-byte Folded Reload
	buffer_load_dword v105, off, s[24:27], 0 offset:276 ; 4-byte Folded Reload
	;; [unrolled: 1-line block ×4, first 2 shown]
	ds_read2_b64 v[100:103], v94 offset0:4 offset1:5
	s_waitcnt vmcnt(0)
	v_mul_f64 v[97:98], v[119:120], v[106:107]
	v_fma_f64 v[125:126], v[117:118], v[104:105], -v[97:98]
	v_mul_f64 v[97:98], v[117:118], v[106:107]
	v_fma_f64 v[106:107], v[119:120], v[104:105], v[97:98]
	s_waitcnt lgkmcnt(0)
	v_mul_f64 v[97:98], v[102:103], v[106:107]
	v_fma_f64 v[97:98], v[100:101], v[125:126], -v[97:98]
	v_mul_f64 v[100:101], v[100:101], v[106:107]
	v_fma_f64 v[100:101], v[102:103], v[125:126], v[100:101]
	buffer_load_dword v102, off, s[24:27], 0 offset:256 ; 4-byte Folded Reload
	buffer_load_dword v103, off, s[24:27], 0 offset:260 ; 4-byte Folded Reload
	buffer_load_dword v104, off, s[24:27], 0 offset:264 ; 4-byte Folded Reload
	buffer_load_dword v105, off, s[24:27], 0 offset:268 ; 4-byte Folded Reload
	s_waitcnt vmcnt(2)
	v_add_f64 v[102:103], v[102:103], -v[97:98]
	s_waitcnt vmcnt(0)
	v_add_f64 v[104:105], v[104:105], -v[100:101]
	buffer_store_dword v102, off, s[24:27], 0 offset:256 ; 4-byte Folded Spill
	s_nop 0
	buffer_store_dword v103, off, s[24:27], 0 offset:260 ; 4-byte Folded Spill
	buffer_store_dword v104, off, s[24:27], 0 offset:264 ; 4-byte Folded Spill
	buffer_store_dword v105, off, s[24:27], 0 offset:268 ; 4-byte Folded Spill
	ds_read2_b64 v[100:103], v94 offset0:6 offset1:7
	s_waitcnt lgkmcnt(0)
	v_mul_f64 v[97:98], v[102:103], v[106:107]
	v_fma_f64 v[97:98], v[100:101], v[125:126], -v[97:98]
	v_mul_f64 v[100:101], v[100:101], v[106:107]
	v_fma_f64 v[100:101], v[102:103], v[125:126], v[100:101]
	buffer_load_dword v102, off, s[24:27], 0 offset:240 ; 4-byte Folded Reload
	buffer_load_dword v103, off, s[24:27], 0 offset:244 ; 4-byte Folded Reload
	buffer_load_dword v104, off, s[24:27], 0 offset:248 ; 4-byte Folded Reload
	buffer_load_dword v105, off, s[24:27], 0 offset:252 ; 4-byte Folded Reload
	s_waitcnt vmcnt(2)
	v_add_f64 v[102:103], v[102:103], -v[97:98]
	s_waitcnt vmcnt(0)
	v_add_f64 v[104:105], v[104:105], -v[100:101]
	buffer_store_dword v102, off, s[24:27], 0 offset:240 ; 4-byte Folded Spill
	s_nop 0
	buffer_store_dword v103, off, s[24:27], 0 offset:244 ; 4-byte Folded Spill
	buffer_store_dword v104, off, s[24:27], 0 offset:248 ; 4-byte Folded Spill
	buffer_store_dword v105, off, s[24:27], 0 offset:252 ; 4-byte Folded Spill
	ds_read2_b64 v[100:103], v94 offset0:8 offset1:9
	;; [unrolled: 19-line block ×16, first 2 shown]
	s_waitcnt lgkmcnt(0)
	v_mul_f64 v[97:98], v[102:103], v[106:107]
	v_fma_f64 v[97:98], v[100:101], v[125:126], -v[97:98]
	v_mul_f64 v[100:101], v[100:101], v[106:107]
	v_fma_f64 v[100:101], v[102:103], v[125:126], v[100:101]
	buffer_load_dword v102, off, s[24:27], 0 ; 4-byte Folded Reload
	buffer_load_dword v103, off, s[24:27], 0 offset:4 ; 4-byte Folded Reload
	buffer_load_dword v104, off, s[24:27], 0 offset:8 ; 4-byte Folded Reload
	;; [unrolled: 1-line block ×3, first 2 shown]
	s_waitcnt vmcnt(2)
	v_add_f64 v[102:103], v[102:103], -v[97:98]
	s_waitcnt vmcnt(0)
	v_add_f64 v[104:105], v[104:105], -v[100:101]
	buffer_store_dword v102, off, s[24:27], 0 ; 4-byte Folded Spill
	s_nop 0
	buffer_store_dword v103, off, s[24:27], 0 offset:4 ; 4-byte Folded Spill
	buffer_store_dword v104, off, s[24:27], 0 offset:8 ; 4-byte Folded Spill
	;; [unrolled: 1-line block ×3, first 2 shown]
	ds_read2_b64 v[100:103], v94 offset0:38 offset1:39
	v_mov_b32_e32 v104, v125
	v_mov_b32_e32 v105, v126
	s_waitcnt lgkmcnt(0)
	v_mul_f64 v[97:98], v[102:103], v[106:107]
	v_fma_f64 v[97:98], v[100:101], v[125:126], -v[97:98]
	v_mul_f64 v[100:101], v[100:101], v[106:107]
	v_add_f64 v[85:86], v[85:86], -v[97:98]
	v_fma_f64 v[100:101], v[102:103], v[125:126], v[100:101]
	v_add_f64 v[87:88], v[87:88], -v[100:101]
	ds_read2_b64 v[100:103], v94 offset0:40 offset1:41
	s_waitcnt lgkmcnt(0)
	v_mul_f64 v[97:98], v[102:103], v[106:107]
	v_fma_f64 v[97:98], v[100:101], v[125:126], -v[97:98]
	v_mul_f64 v[100:101], v[100:101], v[106:107]
	v_add_f64 v[81:82], v[81:82], -v[97:98]
	v_fma_f64 v[100:101], v[102:103], v[125:126], v[100:101]
	v_add_f64 v[83:84], v[83:84], -v[100:101]
	ds_read2_b64 v[100:103], v94 offset0:42 offset1:43
	;; [unrolled: 8-line block ×22, first 2 shown]
	s_waitcnt lgkmcnt(0)
	v_mul_f64 v[97:98], v[102:103], v[106:107]
	v_fma_f64 v[97:98], v[100:101], v[125:126], -v[97:98]
	v_mul_f64 v[100:101], v[100:101], v[106:107]
	buffer_store_dword v104, off, s[24:27], 0 offset:272 ; 4-byte Folded Spill
	s_nop 0
	buffer_store_dword v105, off, s[24:27], 0 offset:276 ; 4-byte Folded Spill
	buffer_store_dword v106, off, s[24:27], 0 offset:280 ; 4-byte Folded Spill
	;; [unrolled: 1-line block ×3, first 2 shown]
	v_add_f64 v[121:122], v[121:122], -v[97:98]
	v_fma_f64 v[100:101], v[102:103], v[125:126], v[100:101]
	v_add_f64 v[123:124], v[123:124], -v[100:101]
.LBB82_41:
	s_or_b64 exec, exec, s[0:1]
	s_waitcnt vmcnt(0)
	s_barrier
	buffer_load_dword v100, off, s[24:27], 0 offset:256 ; 4-byte Folded Reload
	buffer_load_dword v101, off, s[24:27], 0 offset:260 ; 4-byte Folded Reload
	;; [unrolled: 1-line block ×4, first 2 shown]
	v_lshl_add_u32 v97, v96, 4, v94
	s_cmp_lt_i32 s3, 4
	s_waitcnt vmcnt(0)
	ds_write2_b64 v97, v[100:101], v[102:103] offset1:1
	s_waitcnt lgkmcnt(0)
	s_barrier
	ds_read2_b64 v[117:120], v94 offset0:4 offset1:5
	v_mov_b32_e32 v97, 2
	s_cbranch_scc1 .LBB82_44
; %bb.42:
	v_add3_u32 v98, v99, 0, 48
	s_mov_b32 s0, 3
	v_mov_b32_e32 v97, 2
.LBB82_43:                              ; =>This Inner Loop Header: Depth=1
	s_waitcnt lgkmcnt(0)
	v_cmp_gt_f64_e32 vcc, 0, v[117:118]
	v_xor_b32_e32 v104, 0x80000000, v118
	ds_read2_b64 v[100:103], v98 offset1:1
	v_xor_b32_e32 v106, 0x80000000, v120
	v_add_u32_e32 v98, 16, v98
	s_waitcnt lgkmcnt(0)
	v_xor_b32_e32 v108, 0x80000000, v103
	v_cndmask_b32_e32 v105, v118, v104, vcc
	v_cmp_gt_f64_e32 vcc, 0, v[119:120]
	v_mov_b32_e32 v104, v117
	v_cndmask_b32_e32 v107, v120, v106, vcc
	v_cmp_gt_f64_e32 vcc, 0, v[100:101]
	v_mov_b32_e32 v106, v119
	v_add_f64 v[104:105], v[104:105], v[106:107]
	v_xor_b32_e32 v106, 0x80000000, v101
	v_cndmask_b32_e32 v107, v101, v106, vcc
	v_cmp_gt_f64_e32 vcc, 0, v[102:103]
	v_mov_b32_e32 v106, v100
	v_cndmask_b32_e32 v109, v103, v108, vcc
	v_mov_b32_e32 v108, v102
	v_add_f64 v[106:107], v[106:107], v[108:109]
	v_cmp_lt_f64_e32 vcc, v[104:105], v[106:107]
	v_cndmask_b32_e32 v117, v117, v100, vcc
	v_mov_b32_e32 v100, s0
	s_add_i32 s0, s0, 1
	v_cndmask_b32_e32 v118, v118, v101, vcc
	v_cndmask_b32_e32 v120, v120, v103, vcc
	;; [unrolled: 1-line block ×4, first 2 shown]
	s_cmp_lg_u32 s3, s0
	s_cbranch_scc1 .LBB82_43
.LBB82_44:
	s_waitcnt lgkmcnt(0)
	v_cmp_eq_f64_e32 vcc, 0, v[117:118]
	v_cmp_eq_f64_e64 s[0:1], 0, v[119:120]
	s_and_b64 s[0:1], vcc, s[0:1]
	s_and_saveexec_b64 s[18:19], s[0:1]
	s_xor_b64 s[0:1], exec, s[18:19]
; %bb.45:
	v_cmp_ne_u32_e32 vcc, 0, v95
	v_cndmask_b32_e32 v95, 3, v95, vcc
; %bb.46:
	s_andn2_saveexec_b64 s[0:1], s[0:1]
	s_cbranch_execz .LBB82_52
; %bb.47:
	v_cmp_ngt_f64_e64 s[18:19], |v[117:118]|, |v[119:120]|
	s_and_saveexec_b64 s[20:21], s[18:19]
	s_xor_b64 s[18:19], exec, s[20:21]
	s_cbranch_execz .LBB82_49
; %bb.48:
	v_div_scale_f64 v[100:101], s[20:21], v[119:120], v[119:120], v[117:118]
	v_rcp_f64_e32 v[102:103], v[100:101]
	v_fma_f64 v[104:105], -v[100:101], v[102:103], 1.0
	v_fma_f64 v[102:103], v[102:103], v[104:105], v[102:103]
	v_div_scale_f64 v[104:105], vcc, v[117:118], v[119:120], v[117:118]
	v_fma_f64 v[106:107], -v[100:101], v[102:103], 1.0
	v_fma_f64 v[102:103], v[102:103], v[106:107], v[102:103]
	v_mul_f64 v[106:107], v[104:105], v[102:103]
	v_fma_f64 v[100:101], -v[100:101], v[106:107], v[104:105]
	v_div_fmas_f64 v[100:101], v[100:101], v[102:103], v[106:107]
	v_div_fixup_f64 v[100:101], v[100:101], v[119:120], v[117:118]
	v_fma_f64 v[102:103], v[117:118], v[100:101], v[119:120]
	v_div_scale_f64 v[104:105], s[20:21], v[102:103], v[102:103], 1.0
	v_div_scale_f64 v[110:111], vcc, 1.0, v[102:103], 1.0
	v_rcp_f64_e32 v[106:107], v[104:105]
	v_fma_f64 v[108:109], -v[104:105], v[106:107], 1.0
	v_fma_f64 v[106:107], v[106:107], v[108:109], v[106:107]
	v_fma_f64 v[108:109], -v[104:105], v[106:107], 1.0
	v_fma_f64 v[106:107], v[106:107], v[108:109], v[106:107]
	v_mul_f64 v[108:109], v[110:111], v[106:107]
	v_fma_f64 v[104:105], -v[104:105], v[108:109], v[110:111]
	v_div_fmas_f64 v[104:105], v[104:105], v[106:107], v[108:109]
	v_div_fixup_f64 v[119:120], v[104:105], v[102:103], 1.0
	v_mul_f64 v[117:118], v[100:101], v[119:120]
	v_xor_b32_e32 v120, 0x80000000, v120
.LBB82_49:
	s_andn2_saveexec_b64 s[18:19], s[18:19]
	s_cbranch_execz .LBB82_51
; %bb.50:
	v_div_scale_f64 v[100:101], s[20:21], v[117:118], v[117:118], v[119:120]
	v_rcp_f64_e32 v[102:103], v[100:101]
	v_fma_f64 v[104:105], -v[100:101], v[102:103], 1.0
	v_fma_f64 v[102:103], v[102:103], v[104:105], v[102:103]
	v_div_scale_f64 v[104:105], vcc, v[119:120], v[117:118], v[119:120]
	v_fma_f64 v[106:107], -v[100:101], v[102:103], 1.0
	v_fma_f64 v[102:103], v[102:103], v[106:107], v[102:103]
	v_mul_f64 v[106:107], v[104:105], v[102:103]
	v_fma_f64 v[100:101], -v[100:101], v[106:107], v[104:105]
	v_div_fmas_f64 v[100:101], v[100:101], v[102:103], v[106:107]
	v_div_fixup_f64 v[100:101], v[100:101], v[117:118], v[119:120]
	v_fma_f64 v[102:103], v[119:120], v[100:101], v[117:118]
	v_div_scale_f64 v[104:105], s[20:21], v[102:103], v[102:103], 1.0
	v_div_scale_f64 v[110:111], vcc, 1.0, v[102:103], 1.0
	v_rcp_f64_e32 v[106:107], v[104:105]
	v_fma_f64 v[108:109], -v[104:105], v[106:107], 1.0
	v_fma_f64 v[106:107], v[106:107], v[108:109], v[106:107]
	v_fma_f64 v[108:109], -v[104:105], v[106:107], 1.0
	v_fma_f64 v[106:107], v[106:107], v[108:109], v[106:107]
	v_mul_f64 v[108:109], v[110:111], v[106:107]
	v_fma_f64 v[104:105], -v[104:105], v[108:109], v[110:111]
	v_div_fmas_f64 v[104:105], v[104:105], v[106:107], v[108:109]
	v_div_fixup_f64 v[117:118], v[104:105], v[102:103], 1.0
	v_mul_f64 v[119:120], v[100:101], -v[117:118]
.LBB82_51:
	s_or_b64 exec, exec, s[18:19]
.LBB82_52:
	s_or_b64 exec, exec, s[0:1]
	v_cmp_ne_u32_e32 vcc, v96, v97
	s_and_saveexec_b64 s[0:1], vcc
	s_xor_b64 s[0:1], exec, s[0:1]
	s_cbranch_execz .LBB82_58
; %bb.53:
	v_cmp_eq_u32_e32 vcc, 2, v96
	s_and_saveexec_b64 s[18:19], vcc
	s_cbranch_execz .LBB82_57
; %bb.54:
	v_cmp_ne_u32_e32 vcc, 2, v97
	s_xor_b64 s[20:21], s[6:7], -1
	s_and_b64 s[22:23], s[20:21], vcc
	s_and_saveexec_b64 s[20:21], s[22:23]
	s_cbranch_execz .LBB82_56
; %bb.55:
	v_ashrrev_i32_e32 v98, 31, v97
	v_lshlrev_b64 v[100:101], 2, v[97:98]
	v_add_co_u32_e32 v100, vcc, v91, v100
	v_addc_co_u32_e32 v101, vcc, v92, v101, vcc
	global_load_dword v0, v[100:101], off
	global_load_dword v96, v[91:92], off offset:8
	s_waitcnt vmcnt(1)
	global_store_dword v[91:92], v0, off offset:8
	s_waitcnt vmcnt(1)
	global_store_dword v[100:101], v96, off
.LBB82_56:
	s_or_b64 exec, exec, s[20:21]
	v_mov_b32_e32 v96, v97
	v_mov_b32_e32 v0, v97
.LBB82_57:
	s_or_b64 exec, exec, s[18:19]
.LBB82_58:
	s_andn2_saveexec_b64 s[0:1], s[0:1]
	s_cbranch_execz .LBB82_60
; %bb.59:
	buffer_load_dword v100, off, s[24:27], 0 offset:240 ; 4-byte Folded Reload
	buffer_load_dword v101, off, s[24:27], 0 offset:244 ; 4-byte Folded Reload
	;; [unrolled: 1-line block ×4, first 2 shown]
	v_mov_b32_e32 v96, 2
	s_waitcnt vmcnt(0)
	ds_write2_b64 v94, v[100:101], v[102:103] offset0:6 offset1:7
	buffer_load_dword v100, off, s[24:27], 0 offset:224 ; 4-byte Folded Reload
	buffer_load_dword v101, off, s[24:27], 0 offset:228 ; 4-byte Folded Reload
	buffer_load_dword v102, off, s[24:27], 0 offset:232 ; 4-byte Folded Reload
	buffer_load_dword v103, off, s[24:27], 0 offset:236 ; 4-byte Folded Reload
	s_waitcnt vmcnt(0)
	ds_write2_b64 v94, v[100:101], v[102:103] offset0:8 offset1:9
	buffer_load_dword v100, off, s[24:27], 0 offset:208 ; 4-byte Folded Reload
	buffer_load_dword v101, off, s[24:27], 0 offset:212 ; 4-byte Folded Reload
	buffer_load_dword v102, off, s[24:27], 0 offset:216 ; 4-byte Folded Reload
	buffer_load_dword v103, off, s[24:27], 0 offset:220 ; 4-byte Folded Reload
	;; [unrolled: 6-line block ×14, first 2 shown]
	s_waitcnt vmcnt(0)
	ds_write2_b64 v94, v[100:101], v[102:103] offset0:34 offset1:35
	buffer_load_dword v100, off, s[24:27], 0 ; 4-byte Folded Reload
	buffer_load_dword v101, off, s[24:27], 0 offset:4 ; 4-byte Folded Reload
	buffer_load_dword v102, off, s[24:27], 0 offset:8 ; 4-byte Folded Reload
	;; [unrolled: 1-line block ×3, first 2 shown]
	s_waitcnt vmcnt(0)
	ds_write2_b64 v94, v[100:101], v[102:103] offset0:36 offset1:37
	ds_write2_b64 v94, v[85:86], v[87:88] offset0:38 offset1:39
	;; [unrolled: 1-line block ×24, first 2 shown]
.LBB82_60:
	s_or_b64 exec, exec, s[0:1]
	v_cmp_lt_i32_e32 vcc, 2, v96
	s_waitcnt vmcnt(0) lgkmcnt(0)
	s_barrier
	s_and_saveexec_b64 s[0:1], vcc
	s_cbranch_execz .LBB82_62
; %bb.61:
	buffer_load_dword v104, off, s[24:27], 0 offset:256 ; 4-byte Folded Reload
	buffer_load_dword v105, off, s[24:27], 0 offset:260 ; 4-byte Folded Reload
	;; [unrolled: 1-line block ×4, first 2 shown]
	ds_read2_b64 v[100:103], v94 offset0:6 offset1:7
	s_waitcnt vmcnt(0)
	v_mul_f64 v[97:98], v[119:120], v[106:107]
	v_fma_f64 v[125:126], v[117:118], v[104:105], -v[97:98]
	v_mul_f64 v[97:98], v[117:118], v[106:107]
	v_fma_f64 v[106:107], v[119:120], v[104:105], v[97:98]
	s_waitcnt lgkmcnt(0)
	v_mul_f64 v[97:98], v[102:103], v[106:107]
	v_fma_f64 v[97:98], v[100:101], v[125:126], -v[97:98]
	v_mul_f64 v[100:101], v[100:101], v[106:107]
	v_fma_f64 v[100:101], v[102:103], v[125:126], v[100:101]
	buffer_load_dword v102, off, s[24:27], 0 offset:240 ; 4-byte Folded Reload
	buffer_load_dword v103, off, s[24:27], 0 offset:244 ; 4-byte Folded Reload
	buffer_load_dword v104, off, s[24:27], 0 offset:248 ; 4-byte Folded Reload
	buffer_load_dword v105, off, s[24:27], 0 offset:252 ; 4-byte Folded Reload
	s_waitcnt vmcnt(2)
	v_add_f64 v[102:103], v[102:103], -v[97:98]
	s_waitcnt vmcnt(0)
	v_add_f64 v[104:105], v[104:105], -v[100:101]
	buffer_store_dword v102, off, s[24:27], 0 offset:240 ; 4-byte Folded Spill
	s_nop 0
	buffer_store_dword v103, off, s[24:27], 0 offset:244 ; 4-byte Folded Spill
	buffer_store_dword v104, off, s[24:27], 0 offset:248 ; 4-byte Folded Spill
	buffer_store_dword v105, off, s[24:27], 0 offset:252 ; 4-byte Folded Spill
	ds_read2_b64 v[100:103], v94 offset0:8 offset1:9
	s_waitcnt lgkmcnt(0)
	v_mul_f64 v[97:98], v[102:103], v[106:107]
	v_fma_f64 v[97:98], v[100:101], v[125:126], -v[97:98]
	v_mul_f64 v[100:101], v[100:101], v[106:107]
	v_fma_f64 v[100:101], v[102:103], v[125:126], v[100:101]
	buffer_load_dword v102, off, s[24:27], 0 offset:224 ; 4-byte Folded Reload
	buffer_load_dword v103, off, s[24:27], 0 offset:228 ; 4-byte Folded Reload
	buffer_load_dword v104, off, s[24:27], 0 offset:232 ; 4-byte Folded Reload
	buffer_load_dword v105, off, s[24:27], 0 offset:236 ; 4-byte Folded Reload
	s_waitcnt vmcnt(2)
	v_add_f64 v[102:103], v[102:103], -v[97:98]
	s_waitcnt vmcnt(0)
	v_add_f64 v[104:105], v[104:105], -v[100:101]
	buffer_store_dword v102, off, s[24:27], 0 offset:224 ; 4-byte Folded Spill
	s_nop 0
	buffer_store_dword v103, off, s[24:27], 0 offset:228 ; 4-byte Folded Spill
	buffer_store_dword v104, off, s[24:27], 0 offset:232 ; 4-byte Folded Spill
	buffer_store_dword v105, off, s[24:27], 0 offset:236 ; 4-byte Folded Spill
	ds_read2_b64 v[100:103], v94 offset0:10 offset1:11
	;; [unrolled: 19-line block ×15, first 2 shown]
	s_waitcnt lgkmcnt(0)
	v_mul_f64 v[97:98], v[102:103], v[106:107]
	v_fma_f64 v[97:98], v[100:101], v[125:126], -v[97:98]
	v_mul_f64 v[100:101], v[100:101], v[106:107]
	v_fma_f64 v[100:101], v[102:103], v[125:126], v[100:101]
	buffer_load_dword v102, off, s[24:27], 0 ; 4-byte Folded Reload
	buffer_load_dword v103, off, s[24:27], 0 offset:4 ; 4-byte Folded Reload
	buffer_load_dword v104, off, s[24:27], 0 offset:8 ; 4-byte Folded Reload
	;; [unrolled: 1-line block ×3, first 2 shown]
	s_waitcnt vmcnt(2)
	v_add_f64 v[102:103], v[102:103], -v[97:98]
	s_waitcnt vmcnt(0)
	v_add_f64 v[104:105], v[104:105], -v[100:101]
	buffer_store_dword v102, off, s[24:27], 0 ; 4-byte Folded Spill
	s_nop 0
	buffer_store_dword v103, off, s[24:27], 0 offset:4 ; 4-byte Folded Spill
	buffer_store_dword v104, off, s[24:27], 0 offset:8 ; 4-byte Folded Spill
	;; [unrolled: 1-line block ×3, first 2 shown]
	ds_read2_b64 v[100:103], v94 offset0:38 offset1:39
	v_mov_b32_e32 v104, v125
	v_mov_b32_e32 v105, v126
	s_waitcnt lgkmcnt(0)
	v_mul_f64 v[97:98], v[102:103], v[106:107]
	v_fma_f64 v[97:98], v[100:101], v[125:126], -v[97:98]
	v_mul_f64 v[100:101], v[100:101], v[106:107]
	v_add_f64 v[85:86], v[85:86], -v[97:98]
	v_fma_f64 v[100:101], v[102:103], v[125:126], v[100:101]
	v_add_f64 v[87:88], v[87:88], -v[100:101]
	ds_read2_b64 v[100:103], v94 offset0:40 offset1:41
	s_waitcnt lgkmcnt(0)
	v_mul_f64 v[97:98], v[102:103], v[106:107]
	v_fma_f64 v[97:98], v[100:101], v[125:126], -v[97:98]
	v_mul_f64 v[100:101], v[100:101], v[106:107]
	v_add_f64 v[81:82], v[81:82], -v[97:98]
	v_fma_f64 v[100:101], v[102:103], v[125:126], v[100:101]
	v_add_f64 v[83:84], v[83:84], -v[100:101]
	ds_read2_b64 v[100:103], v94 offset0:42 offset1:43
	;; [unrolled: 8-line block ×22, first 2 shown]
	s_waitcnt lgkmcnt(0)
	v_mul_f64 v[97:98], v[102:103], v[106:107]
	v_fma_f64 v[97:98], v[100:101], v[125:126], -v[97:98]
	v_mul_f64 v[100:101], v[100:101], v[106:107]
	buffer_store_dword v104, off, s[24:27], 0 offset:256 ; 4-byte Folded Spill
	s_nop 0
	buffer_store_dword v105, off, s[24:27], 0 offset:260 ; 4-byte Folded Spill
	buffer_store_dword v106, off, s[24:27], 0 offset:264 ; 4-byte Folded Spill
	;; [unrolled: 1-line block ×3, first 2 shown]
	v_add_f64 v[121:122], v[121:122], -v[97:98]
	v_fma_f64 v[100:101], v[102:103], v[125:126], v[100:101]
	v_add_f64 v[123:124], v[123:124], -v[100:101]
.LBB82_62:
	s_or_b64 exec, exec, s[0:1]
	s_waitcnt vmcnt(0)
	s_barrier
	buffer_load_dword v100, off, s[24:27], 0 offset:240 ; 4-byte Folded Reload
	buffer_load_dword v101, off, s[24:27], 0 offset:244 ; 4-byte Folded Reload
	;; [unrolled: 1-line block ×4, first 2 shown]
	v_lshl_add_u32 v97, v96, 4, v94
	s_mov_b32 s0, 4
	s_cmp_lt_i32 s3, 5
	s_waitcnt vmcnt(0)
	ds_write2_b64 v97, v[100:101], v[102:103] offset1:1
	s_waitcnt lgkmcnt(0)
	s_barrier
	ds_read2_b64 v[117:120], v94 offset0:6 offset1:7
	v_mov_b32_e32 v97, 3
	s_cbranch_scc1 .LBB82_65
; %bb.63:
	v_add3_u32 v98, v99, 0, 64
	v_mov_b32_e32 v97, 3
.LBB82_64:                              ; =>This Inner Loop Header: Depth=1
	s_waitcnt lgkmcnt(0)
	v_cmp_gt_f64_e32 vcc, 0, v[117:118]
	v_xor_b32_e32 v103, 0x80000000, v118
	ds_read2_b64 v[99:102], v98 offset1:1
	v_xor_b32_e32 v105, 0x80000000, v120
	v_add_u32_e32 v98, 16, v98
	s_waitcnt lgkmcnt(0)
	v_xor_b32_e32 v107, 0x80000000, v102
	v_cndmask_b32_e32 v104, v118, v103, vcc
	v_cmp_gt_f64_e32 vcc, 0, v[119:120]
	v_mov_b32_e32 v103, v117
	v_cndmask_b32_e32 v106, v120, v105, vcc
	v_cmp_gt_f64_e32 vcc, 0, v[99:100]
	v_mov_b32_e32 v105, v119
	v_add_f64 v[103:104], v[103:104], v[105:106]
	v_xor_b32_e32 v105, 0x80000000, v100
	v_cndmask_b32_e32 v106, v100, v105, vcc
	v_cmp_gt_f64_e32 vcc, 0, v[101:102]
	v_mov_b32_e32 v105, v99
	v_cndmask_b32_e32 v108, v102, v107, vcc
	v_mov_b32_e32 v107, v101
	v_add_f64 v[105:106], v[105:106], v[107:108]
	v_cmp_lt_f64_e32 vcc, v[103:104], v[105:106]
	v_cndmask_b32_e32 v117, v117, v99, vcc
	v_mov_b32_e32 v99, s0
	s_add_i32 s0, s0, 1
	v_cndmask_b32_e32 v118, v118, v100, vcc
	v_cndmask_b32_e32 v120, v120, v102, vcc
	;; [unrolled: 1-line block ×4, first 2 shown]
	s_cmp_lg_u32 s3, s0
	s_cbranch_scc1 .LBB82_64
.LBB82_65:
	s_waitcnt lgkmcnt(0)
	v_cmp_eq_f64_e32 vcc, 0, v[117:118]
	v_cmp_eq_f64_e64 s[0:1], 0, v[119:120]
	s_and_b64 s[0:1], vcc, s[0:1]
	s_and_saveexec_b64 s[18:19], s[0:1]
	s_xor_b64 s[0:1], exec, s[18:19]
; %bb.66:
	v_cmp_ne_u32_e32 vcc, 0, v95
	v_cndmask_b32_e32 v95, 4, v95, vcc
; %bb.67:
	s_andn2_saveexec_b64 s[0:1], s[0:1]
	s_cbranch_execz .LBB82_73
; %bb.68:
	v_cmp_ngt_f64_e64 s[18:19], |v[117:118]|, |v[119:120]|
	s_and_saveexec_b64 s[20:21], s[18:19]
	s_xor_b64 s[18:19], exec, s[20:21]
	s_cbranch_execz .LBB82_70
; %bb.69:
	v_div_scale_f64 v[98:99], s[20:21], v[119:120], v[119:120], v[117:118]
	v_rcp_f64_e32 v[100:101], v[98:99]
	v_fma_f64 v[102:103], -v[98:99], v[100:101], 1.0
	v_fma_f64 v[100:101], v[100:101], v[102:103], v[100:101]
	v_div_scale_f64 v[102:103], vcc, v[117:118], v[119:120], v[117:118]
	v_fma_f64 v[104:105], -v[98:99], v[100:101], 1.0
	v_fma_f64 v[100:101], v[100:101], v[104:105], v[100:101]
	v_mul_f64 v[104:105], v[102:103], v[100:101]
	v_fma_f64 v[98:99], -v[98:99], v[104:105], v[102:103]
	v_div_fmas_f64 v[98:99], v[98:99], v[100:101], v[104:105]
	v_div_fixup_f64 v[98:99], v[98:99], v[119:120], v[117:118]
	v_fma_f64 v[100:101], v[117:118], v[98:99], v[119:120]
	v_div_scale_f64 v[102:103], s[20:21], v[100:101], v[100:101], 1.0
	v_div_scale_f64 v[108:109], vcc, 1.0, v[100:101], 1.0
	v_rcp_f64_e32 v[104:105], v[102:103]
	v_fma_f64 v[106:107], -v[102:103], v[104:105], 1.0
	v_fma_f64 v[104:105], v[104:105], v[106:107], v[104:105]
	v_fma_f64 v[106:107], -v[102:103], v[104:105], 1.0
	v_fma_f64 v[104:105], v[104:105], v[106:107], v[104:105]
	v_mul_f64 v[106:107], v[108:109], v[104:105]
	v_fma_f64 v[102:103], -v[102:103], v[106:107], v[108:109]
	v_div_fmas_f64 v[102:103], v[102:103], v[104:105], v[106:107]
	v_div_fixup_f64 v[119:120], v[102:103], v[100:101], 1.0
	v_mul_f64 v[117:118], v[98:99], v[119:120]
	v_xor_b32_e32 v120, 0x80000000, v120
.LBB82_70:
	s_andn2_saveexec_b64 s[18:19], s[18:19]
	s_cbranch_execz .LBB82_72
; %bb.71:
	v_div_scale_f64 v[98:99], s[20:21], v[117:118], v[117:118], v[119:120]
	v_rcp_f64_e32 v[100:101], v[98:99]
	v_fma_f64 v[102:103], -v[98:99], v[100:101], 1.0
	v_fma_f64 v[100:101], v[100:101], v[102:103], v[100:101]
	v_div_scale_f64 v[102:103], vcc, v[119:120], v[117:118], v[119:120]
	v_fma_f64 v[104:105], -v[98:99], v[100:101], 1.0
	v_fma_f64 v[100:101], v[100:101], v[104:105], v[100:101]
	v_mul_f64 v[104:105], v[102:103], v[100:101]
	v_fma_f64 v[98:99], -v[98:99], v[104:105], v[102:103]
	v_div_fmas_f64 v[98:99], v[98:99], v[100:101], v[104:105]
	v_div_fixup_f64 v[98:99], v[98:99], v[117:118], v[119:120]
	v_fma_f64 v[100:101], v[119:120], v[98:99], v[117:118]
	v_div_scale_f64 v[102:103], s[20:21], v[100:101], v[100:101], 1.0
	v_div_scale_f64 v[108:109], vcc, 1.0, v[100:101], 1.0
	v_rcp_f64_e32 v[104:105], v[102:103]
	v_fma_f64 v[106:107], -v[102:103], v[104:105], 1.0
	v_fma_f64 v[104:105], v[104:105], v[106:107], v[104:105]
	v_fma_f64 v[106:107], -v[102:103], v[104:105], 1.0
	v_fma_f64 v[104:105], v[104:105], v[106:107], v[104:105]
	v_mul_f64 v[106:107], v[108:109], v[104:105]
	v_fma_f64 v[102:103], -v[102:103], v[106:107], v[108:109]
	v_div_fmas_f64 v[102:103], v[102:103], v[104:105], v[106:107]
	v_div_fixup_f64 v[117:118], v[102:103], v[100:101], 1.0
	v_mul_f64 v[119:120], v[98:99], -v[117:118]
.LBB82_72:
	s_or_b64 exec, exec, s[18:19]
.LBB82_73:
	s_or_b64 exec, exec, s[0:1]
	v_cmp_ne_u32_e32 vcc, v96, v97
	s_and_saveexec_b64 s[0:1], vcc
	s_xor_b64 s[0:1], exec, s[0:1]
	s_cbranch_execz .LBB82_79
; %bb.74:
	v_cmp_eq_u32_e32 vcc, 3, v96
	s_and_saveexec_b64 s[18:19], vcc
	s_cbranch_execz .LBB82_78
; %bb.75:
	v_cmp_ne_u32_e32 vcc, 3, v97
	s_xor_b64 s[20:21], s[6:7], -1
	s_and_b64 s[22:23], s[20:21], vcc
	s_and_saveexec_b64 s[20:21], s[22:23]
	s_cbranch_execz .LBB82_77
; %bb.76:
	v_ashrrev_i32_e32 v98, 31, v97
	v_lshlrev_b64 v[98:99], 2, v[97:98]
	v_add_co_u32_e32 v98, vcc, v91, v98
	v_addc_co_u32_e32 v99, vcc, v92, v99, vcc
	global_load_dword v0, v[98:99], off
	global_load_dword v96, v[91:92], off offset:12
	s_waitcnt vmcnt(1)
	global_store_dword v[91:92], v0, off offset:12
	s_waitcnt vmcnt(1)
	global_store_dword v[98:99], v96, off
.LBB82_77:
	s_or_b64 exec, exec, s[20:21]
	v_mov_b32_e32 v96, v97
	v_mov_b32_e32 v0, v97
.LBB82_78:
	s_or_b64 exec, exec, s[18:19]
.LBB82_79:
	s_andn2_saveexec_b64 s[0:1], s[0:1]
	s_cbranch_execz .LBB82_81
; %bb.80:
	buffer_load_dword v96, off, s[24:27], 0 offset:224 ; 4-byte Folded Reload
	buffer_load_dword v97, off, s[24:27], 0 offset:228 ; 4-byte Folded Reload
	buffer_load_dword v98, off, s[24:27], 0 offset:232 ; 4-byte Folded Reload
	buffer_load_dword v99, off, s[24:27], 0 offset:236 ; 4-byte Folded Reload
	s_waitcnt vmcnt(0)
	ds_write2_b64 v94, v[96:97], v[98:99] offset0:8 offset1:9
	buffer_load_dword v96, off, s[24:27], 0 offset:208 ; 4-byte Folded Reload
	buffer_load_dword v97, off, s[24:27], 0 offset:212 ; 4-byte Folded Reload
	buffer_load_dword v98, off, s[24:27], 0 offset:216 ; 4-byte Folded Reload
	buffer_load_dword v99, off, s[24:27], 0 offset:220 ; 4-byte Folded Reload
	s_waitcnt vmcnt(0)
	ds_write2_b64 v94, v[96:97], v[98:99] offset0:10 offset1:11
	;; [unrolled: 6-line block ×14, first 2 shown]
	buffer_load_dword v96, off, s[24:27], 0 ; 4-byte Folded Reload
	buffer_load_dword v97, off, s[24:27], 0 offset:4 ; 4-byte Folded Reload
	buffer_load_dword v98, off, s[24:27], 0 offset:8 ; 4-byte Folded Reload
	;; [unrolled: 1-line block ×3, first 2 shown]
	s_waitcnt vmcnt(0)
	ds_write2_b64 v94, v[96:97], v[98:99] offset0:36 offset1:37
	ds_write2_b64 v94, v[85:86], v[87:88] offset0:38 offset1:39
	;; [unrolled: 1-line block ×24, first 2 shown]
	v_mov_b32_e32 v96, 3
.LBB82_81:
	s_or_b64 exec, exec, s[0:1]
	v_cmp_lt_i32_e32 vcc, 3, v96
	s_waitcnt vmcnt(0) lgkmcnt(0)
	s_barrier
	s_and_saveexec_b64 s[0:1], vcc
	s_cbranch_execz .LBB82_83
; %bb.82:
	buffer_load_dword v105, off, s[24:27], 0 offset:240 ; 4-byte Folded Reload
	buffer_load_dword v106, off, s[24:27], 0 offset:244 ; 4-byte Folded Reload
	;; [unrolled: 1-line block ×4, first 2 shown]
	s_waitcnt vmcnt(0)
	v_mul_f64 v[97:98], v[119:120], v[107:108]
	v_fma_f64 v[125:126], v[117:118], v[105:106], -v[97:98]
	v_mul_f64 v[97:98], v[117:118], v[107:108]
	v_fma_f64 v[107:108], v[119:120], v[105:106], v[97:98]
	ds_read2_b64 v[97:100], v94 offset0:8 offset1:9
	buffer_load_dword v103, off, s[24:27], 0 offset:224 ; 4-byte Folded Reload
	buffer_load_dword v104, off, s[24:27], 0 offset:228 ; 4-byte Folded Reload
	buffer_load_dword v105, off, s[24:27], 0 offset:232 ; 4-byte Folded Reload
	buffer_load_dword v106, off, s[24:27], 0 offset:236 ; 4-byte Folded Reload
	s_waitcnt lgkmcnt(0)
	v_mul_f64 v[101:102], v[99:100], v[107:108]
	v_fma_f64 v[101:102], v[97:98], v[125:126], -v[101:102]
	v_mul_f64 v[97:98], v[97:98], v[107:108]
	v_fma_f64 v[97:98], v[99:100], v[125:126], v[97:98]
	s_waitcnt vmcnt(2)
	v_add_f64 v[103:104], v[103:104], -v[101:102]
	s_waitcnt vmcnt(0)
	v_add_f64 v[105:106], v[105:106], -v[97:98]
	buffer_store_dword v103, off, s[24:27], 0 offset:224 ; 4-byte Folded Spill
	s_nop 0
	buffer_store_dword v104, off, s[24:27], 0 offset:228 ; 4-byte Folded Spill
	buffer_store_dword v105, off, s[24:27], 0 offset:232 ; 4-byte Folded Spill
	buffer_store_dword v106, off, s[24:27], 0 offset:236 ; 4-byte Folded Spill
	ds_read2_b64 v[97:100], v94 offset0:10 offset1:11
	buffer_load_dword v103, off, s[24:27], 0 offset:208 ; 4-byte Folded Reload
	buffer_load_dword v104, off, s[24:27], 0 offset:212 ; 4-byte Folded Reload
	buffer_load_dword v105, off, s[24:27], 0 offset:216 ; 4-byte Folded Reload
	buffer_load_dword v106, off, s[24:27], 0 offset:220 ; 4-byte Folded Reload
	s_waitcnt lgkmcnt(0)
	v_mul_f64 v[101:102], v[99:100], v[107:108]
	v_fma_f64 v[101:102], v[97:98], v[125:126], -v[101:102]
	v_mul_f64 v[97:98], v[97:98], v[107:108]
	v_fma_f64 v[97:98], v[99:100], v[125:126], v[97:98]
	s_waitcnt vmcnt(2)
	v_add_f64 v[103:104], v[103:104], -v[101:102]
	s_waitcnt vmcnt(0)
	v_add_f64 v[105:106], v[105:106], -v[97:98]
	buffer_store_dword v103, off, s[24:27], 0 offset:208 ; 4-byte Folded Spill
	s_nop 0
	buffer_store_dword v104, off, s[24:27], 0 offset:212 ; 4-byte Folded Spill
	buffer_store_dword v105, off, s[24:27], 0 offset:216 ; 4-byte Folded Spill
	buffer_store_dword v106, off, s[24:27], 0 offset:220 ; 4-byte Folded Spill
	ds_read2_b64 v[97:100], v94 offset0:12 offset1:13
	buffer_load_dword v103, off, s[24:27], 0 offset:192 ; 4-byte Folded Reload
	buffer_load_dword v104, off, s[24:27], 0 offset:196 ; 4-byte Folded Reload
	buffer_load_dword v105, off, s[24:27], 0 offset:200 ; 4-byte Folded Reload
	buffer_load_dword v106, off, s[24:27], 0 offset:204 ; 4-byte Folded Reload
	s_waitcnt lgkmcnt(0)
	v_mul_f64 v[101:102], v[99:100], v[107:108]
	v_fma_f64 v[101:102], v[97:98], v[125:126], -v[101:102]
	v_mul_f64 v[97:98], v[97:98], v[107:108]
	v_fma_f64 v[97:98], v[99:100], v[125:126], v[97:98]
	s_waitcnt vmcnt(2)
	v_add_f64 v[103:104], v[103:104], -v[101:102]
	s_waitcnt vmcnt(0)
	v_add_f64 v[105:106], v[105:106], -v[97:98]
	buffer_store_dword v103, off, s[24:27], 0 offset:192 ; 4-byte Folded Spill
	s_nop 0
	buffer_store_dword v104, off, s[24:27], 0 offset:196 ; 4-byte Folded Spill
	buffer_store_dword v105, off, s[24:27], 0 offset:200 ; 4-byte Folded Spill
	buffer_store_dword v106, off, s[24:27], 0 offset:204 ; 4-byte Folded Spill
	ds_read2_b64 v[97:100], v94 offset0:14 offset1:15
	buffer_load_dword v103, off, s[24:27], 0 offset:176 ; 4-byte Folded Reload
	buffer_load_dword v104, off, s[24:27], 0 offset:180 ; 4-byte Folded Reload
	buffer_load_dword v105, off, s[24:27], 0 offset:184 ; 4-byte Folded Reload
	buffer_load_dword v106, off, s[24:27], 0 offset:188 ; 4-byte Folded Reload
	s_waitcnt lgkmcnt(0)
	v_mul_f64 v[101:102], v[99:100], v[107:108]
	v_fma_f64 v[101:102], v[97:98], v[125:126], -v[101:102]
	v_mul_f64 v[97:98], v[97:98], v[107:108]
	v_fma_f64 v[97:98], v[99:100], v[125:126], v[97:98]
	s_waitcnt vmcnt(2)
	v_add_f64 v[103:104], v[103:104], -v[101:102]
	s_waitcnt vmcnt(0)
	v_add_f64 v[105:106], v[105:106], -v[97:98]
	buffer_store_dword v103, off, s[24:27], 0 offset:176 ; 4-byte Folded Spill
	s_nop 0
	buffer_store_dword v104, off, s[24:27], 0 offset:180 ; 4-byte Folded Spill
	buffer_store_dword v105, off, s[24:27], 0 offset:184 ; 4-byte Folded Spill
	buffer_store_dword v106, off, s[24:27], 0 offset:188 ; 4-byte Folded Spill
	ds_read2_b64 v[97:100], v94 offset0:16 offset1:17
	buffer_load_dword v103, off, s[24:27], 0 offset:160 ; 4-byte Folded Reload
	buffer_load_dword v104, off, s[24:27], 0 offset:164 ; 4-byte Folded Reload
	buffer_load_dword v105, off, s[24:27], 0 offset:168 ; 4-byte Folded Reload
	buffer_load_dword v106, off, s[24:27], 0 offset:172 ; 4-byte Folded Reload
	s_waitcnt lgkmcnt(0)
	v_mul_f64 v[101:102], v[99:100], v[107:108]
	v_fma_f64 v[101:102], v[97:98], v[125:126], -v[101:102]
	v_mul_f64 v[97:98], v[97:98], v[107:108]
	v_fma_f64 v[97:98], v[99:100], v[125:126], v[97:98]
	s_waitcnt vmcnt(2)
	v_add_f64 v[103:104], v[103:104], -v[101:102]
	s_waitcnt vmcnt(0)
	v_add_f64 v[105:106], v[105:106], -v[97:98]
	buffer_store_dword v103, off, s[24:27], 0 offset:160 ; 4-byte Folded Spill
	s_nop 0
	buffer_store_dword v104, off, s[24:27], 0 offset:164 ; 4-byte Folded Spill
	buffer_store_dword v105, off, s[24:27], 0 offset:168 ; 4-byte Folded Spill
	buffer_store_dword v106, off, s[24:27], 0 offset:172 ; 4-byte Folded Spill
	ds_read2_b64 v[97:100], v94 offset0:18 offset1:19
	buffer_load_dword v103, off, s[24:27], 0 offset:144 ; 4-byte Folded Reload
	buffer_load_dword v104, off, s[24:27], 0 offset:148 ; 4-byte Folded Reload
	buffer_load_dword v105, off, s[24:27], 0 offset:152 ; 4-byte Folded Reload
	buffer_load_dword v106, off, s[24:27], 0 offset:156 ; 4-byte Folded Reload
	s_waitcnt lgkmcnt(0)
	v_mul_f64 v[101:102], v[99:100], v[107:108]
	v_fma_f64 v[101:102], v[97:98], v[125:126], -v[101:102]
	v_mul_f64 v[97:98], v[97:98], v[107:108]
	v_fma_f64 v[97:98], v[99:100], v[125:126], v[97:98]
	s_waitcnt vmcnt(2)
	v_add_f64 v[103:104], v[103:104], -v[101:102]
	s_waitcnt vmcnt(0)
	v_add_f64 v[105:106], v[105:106], -v[97:98]
	buffer_store_dword v103, off, s[24:27], 0 offset:144 ; 4-byte Folded Spill
	s_nop 0
	buffer_store_dword v104, off, s[24:27], 0 offset:148 ; 4-byte Folded Spill
	buffer_store_dword v105, off, s[24:27], 0 offset:152 ; 4-byte Folded Spill
	buffer_store_dword v106, off, s[24:27], 0 offset:156 ; 4-byte Folded Spill
	ds_read2_b64 v[97:100], v94 offset0:20 offset1:21
	buffer_load_dword v103, off, s[24:27], 0 offset:128 ; 4-byte Folded Reload
	buffer_load_dword v104, off, s[24:27], 0 offset:132 ; 4-byte Folded Reload
	buffer_load_dword v105, off, s[24:27], 0 offset:136 ; 4-byte Folded Reload
	buffer_load_dword v106, off, s[24:27], 0 offset:140 ; 4-byte Folded Reload
	s_waitcnt lgkmcnt(0)
	v_mul_f64 v[101:102], v[99:100], v[107:108]
	v_fma_f64 v[101:102], v[97:98], v[125:126], -v[101:102]
	v_mul_f64 v[97:98], v[97:98], v[107:108]
	v_fma_f64 v[97:98], v[99:100], v[125:126], v[97:98]
	s_waitcnt vmcnt(2)
	v_add_f64 v[103:104], v[103:104], -v[101:102]
	s_waitcnt vmcnt(0)
	v_add_f64 v[105:106], v[105:106], -v[97:98]
	buffer_store_dword v103, off, s[24:27], 0 offset:128 ; 4-byte Folded Spill
	s_nop 0
	buffer_store_dword v104, off, s[24:27], 0 offset:132 ; 4-byte Folded Spill
	buffer_store_dword v105, off, s[24:27], 0 offset:136 ; 4-byte Folded Spill
	buffer_store_dword v106, off, s[24:27], 0 offset:140 ; 4-byte Folded Spill
	ds_read2_b64 v[97:100], v94 offset0:22 offset1:23
	buffer_load_dword v103, off, s[24:27], 0 offset:112 ; 4-byte Folded Reload
	buffer_load_dword v104, off, s[24:27], 0 offset:116 ; 4-byte Folded Reload
	buffer_load_dword v105, off, s[24:27], 0 offset:120 ; 4-byte Folded Reload
	buffer_load_dword v106, off, s[24:27], 0 offset:124 ; 4-byte Folded Reload
	s_waitcnt lgkmcnt(0)
	v_mul_f64 v[101:102], v[99:100], v[107:108]
	v_fma_f64 v[101:102], v[97:98], v[125:126], -v[101:102]
	v_mul_f64 v[97:98], v[97:98], v[107:108]
	v_fma_f64 v[97:98], v[99:100], v[125:126], v[97:98]
	s_waitcnt vmcnt(2)
	v_add_f64 v[103:104], v[103:104], -v[101:102]
	s_waitcnt vmcnt(0)
	v_add_f64 v[105:106], v[105:106], -v[97:98]
	buffer_store_dword v103, off, s[24:27], 0 offset:112 ; 4-byte Folded Spill
	s_nop 0
	buffer_store_dword v104, off, s[24:27], 0 offset:116 ; 4-byte Folded Spill
	buffer_store_dword v105, off, s[24:27], 0 offset:120 ; 4-byte Folded Spill
	buffer_store_dword v106, off, s[24:27], 0 offset:124 ; 4-byte Folded Spill
	ds_read2_b64 v[97:100], v94 offset0:24 offset1:25
	buffer_load_dword v103, off, s[24:27], 0 offset:96 ; 4-byte Folded Reload
	buffer_load_dword v104, off, s[24:27], 0 offset:100 ; 4-byte Folded Reload
	buffer_load_dword v105, off, s[24:27], 0 offset:104 ; 4-byte Folded Reload
	buffer_load_dword v106, off, s[24:27], 0 offset:108 ; 4-byte Folded Reload
	s_waitcnt lgkmcnt(0)
	v_mul_f64 v[101:102], v[99:100], v[107:108]
	v_fma_f64 v[101:102], v[97:98], v[125:126], -v[101:102]
	v_mul_f64 v[97:98], v[97:98], v[107:108]
	v_fma_f64 v[97:98], v[99:100], v[125:126], v[97:98]
	s_waitcnt vmcnt(2)
	v_add_f64 v[103:104], v[103:104], -v[101:102]
	s_waitcnt vmcnt(0)
	v_add_f64 v[105:106], v[105:106], -v[97:98]
	buffer_store_dword v103, off, s[24:27], 0 offset:96 ; 4-byte Folded Spill
	s_nop 0
	buffer_store_dword v104, off, s[24:27], 0 offset:100 ; 4-byte Folded Spill
	buffer_store_dword v105, off, s[24:27], 0 offset:104 ; 4-byte Folded Spill
	buffer_store_dword v106, off, s[24:27], 0 offset:108 ; 4-byte Folded Spill
	ds_read2_b64 v[97:100], v94 offset0:26 offset1:27
	buffer_load_dword v103, off, s[24:27], 0 offset:80 ; 4-byte Folded Reload
	buffer_load_dword v104, off, s[24:27], 0 offset:84 ; 4-byte Folded Reload
	buffer_load_dword v105, off, s[24:27], 0 offset:88 ; 4-byte Folded Reload
	buffer_load_dword v106, off, s[24:27], 0 offset:92 ; 4-byte Folded Reload
	s_waitcnt lgkmcnt(0)
	v_mul_f64 v[101:102], v[99:100], v[107:108]
	v_fma_f64 v[101:102], v[97:98], v[125:126], -v[101:102]
	v_mul_f64 v[97:98], v[97:98], v[107:108]
	v_fma_f64 v[97:98], v[99:100], v[125:126], v[97:98]
	s_waitcnt vmcnt(2)
	v_add_f64 v[103:104], v[103:104], -v[101:102]
	s_waitcnt vmcnt(0)
	v_add_f64 v[105:106], v[105:106], -v[97:98]
	buffer_store_dword v103, off, s[24:27], 0 offset:80 ; 4-byte Folded Spill
	s_nop 0
	buffer_store_dword v104, off, s[24:27], 0 offset:84 ; 4-byte Folded Spill
	buffer_store_dword v105, off, s[24:27], 0 offset:88 ; 4-byte Folded Spill
	buffer_store_dword v106, off, s[24:27], 0 offset:92 ; 4-byte Folded Spill
	ds_read2_b64 v[97:100], v94 offset0:28 offset1:29
	buffer_load_dword v103, off, s[24:27], 0 offset:64 ; 4-byte Folded Reload
	buffer_load_dword v104, off, s[24:27], 0 offset:68 ; 4-byte Folded Reload
	buffer_load_dword v105, off, s[24:27], 0 offset:72 ; 4-byte Folded Reload
	buffer_load_dword v106, off, s[24:27], 0 offset:76 ; 4-byte Folded Reload
	s_waitcnt lgkmcnt(0)
	v_mul_f64 v[101:102], v[99:100], v[107:108]
	v_fma_f64 v[101:102], v[97:98], v[125:126], -v[101:102]
	v_mul_f64 v[97:98], v[97:98], v[107:108]
	v_fma_f64 v[97:98], v[99:100], v[125:126], v[97:98]
	s_waitcnt vmcnt(2)
	v_add_f64 v[103:104], v[103:104], -v[101:102]
	s_waitcnt vmcnt(0)
	v_add_f64 v[105:106], v[105:106], -v[97:98]
	buffer_store_dword v103, off, s[24:27], 0 offset:64 ; 4-byte Folded Spill
	s_nop 0
	buffer_store_dword v104, off, s[24:27], 0 offset:68 ; 4-byte Folded Spill
	buffer_store_dword v105, off, s[24:27], 0 offset:72 ; 4-byte Folded Spill
	buffer_store_dword v106, off, s[24:27], 0 offset:76 ; 4-byte Folded Spill
	ds_read2_b64 v[97:100], v94 offset0:30 offset1:31
	buffer_load_dword v103, off, s[24:27], 0 offset:48 ; 4-byte Folded Reload
	buffer_load_dword v104, off, s[24:27], 0 offset:52 ; 4-byte Folded Reload
	buffer_load_dword v105, off, s[24:27], 0 offset:56 ; 4-byte Folded Reload
	buffer_load_dword v106, off, s[24:27], 0 offset:60 ; 4-byte Folded Reload
	s_waitcnt lgkmcnt(0)
	v_mul_f64 v[101:102], v[99:100], v[107:108]
	v_fma_f64 v[101:102], v[97:98], v[125:126], -v[101:102]
	v_mul_f64 v[97:98], v[97:98], v[107:108]
	v_fma_f64 v[97:98], v[99:100], v[125:126], v[97:98]
	s_waitcnt vmcnt(2)
	v_add_f64 v[103:104], v[103:104], -v[101:102]
	s_waitcnt vmcnt(0)
	v_add_f64 v[105:106], v[105:106], -v[97:98]
	buffer_store_dword v103, off, s[24:27], 0 offset:48 ; 4-byte Folded Spill
	s_nop 0
	buffer_store_dword v104, off, s[24:27], 0 offset:52 ; 4-byte Folded Spill
	buffer_store_dword v105, off, s[24:27], 0 offset:56 ; 4-byte Folded Spill
	buffer_store_dword v106, off, s[24:27], 0 offset:60 ; 4-byte Folded Spill
	ds_read2_b64 v[97:100], v94 offset0:32 offset1:33
	buffer_load_dword v103, off, s[24:27], 0 offset:32 ; 4-byte Folded Reload
	buffer_load_dword v104, off, s[24:27], 0 offset:36 ; 4-byte Folded Reload
	buffer_load_dword v105, off, s[24:27], 0 offset:40 ; 4-byte Folded Reload
	buffer_load_dword v106, off, s[24:27], 0 offset:44 ; 4-byte Folded Reload
	s_waitcnt lgkmcnt(0)
	v_mul_f64 v[101:102], v[99:100], v[107:108]
	v_fma_f64 v[101:102], v[97:98], v[125:126], -v[101:102]
	v_mul_f64 v[97:98], v[97:98], v[107:108]
	v_fma_f64 v[97:98], v[99:100], v[125:126], v[97:98]
	s_waitcnt vmcnt(2)
	v_add_f64 v[103:104], v[103:104], -v[101:102]
	s_waitcnt vmcnt(0)
	v_add_f64 v[105:106], v[105:106], -v[97:98]
	buffer_store_dword v103, off, s[24:27], 0 offset:32 ; 4-byte Folded Spill
	s_nop 0
	buffer_store_dword v104, off, s[24:27], 0 offset:36 ; 4-byte Folded Spill
	buffer_store_dword v105, off, s[24:27], 0 offset:40 ; 4-byte Folded Spill
	buffer_store_dword v106, off, s[24:27], 0 offset:44 ; 4-byte Folded Spill
	ds_read2_b64 v[97:100], v94 offset0:34 offset1:35
	buffer_load_dword v103, off, s[24:27], 0 offset:16 ; 4-byte Folded Reload
	buffer_load_dword v104, off, s[24:27], 0 offset:20 ; 4-byte Folded Reload
	buffer_load_dword v105, off, s[24:27], 0 offset:24 ; 4-byte Folded Reload
	buffer_load_dword v106, off, s[24:27], 0 offset:28 ; 4-byte Folded Reload
	s_waitcnt lgkmcnt(0)
	v_mul_f64 v[101:102], v[99:100], v[107:108]
	v_fma_f64 v[101:102], v[97:98], v[125:126], -v[101:102]
	v_mul_f64 v[97:98], v[97:98], v[107:108]
	v_fma_f64 v[97:98], v[99:100], v[125:126], v[97:98]
	s_waitcnt vmcnt(2)
	v_add_f64 v[103:104], v[103:104], -v[101:102]
	s_waitcnt vmcnt(0)
	v_add_f64 v[105:106], v[105:106], -v[97:98]
	buffer_store_dword v103, off, s[24:27], 0 offset:16 ; 4-byte Folded Spill
	s_nop 0
	buffer_store_dword v104, off, s[24:27], 0 offset:20 ; 4-byte Folded Spill
	buffer_store_dword v105, off, s[24:27], 0 offset:24 ; 4-byte Folded Spill
	buffer_store_dword v106, off, s[24:27], 0 offset:28 ; 4-byte Folded Spill
	ds_read2_b64 v[97:100], v94 offset0:36 offset1:37
	buffer_load_dword v103, off, s[24:27], 0 ; 4-byte Folded Reload
	buffer_load_dword v104, off, s[24:27], 0 offset:4 ; 4-byte Folded Reload
	buffer_load_dword v105, off, s[24:27], 0 offset:8 ; 4-byte Folded Reload
	;; [unrolled: 1-line block ×3, first 2 shown]
	s_waitcnt lgkmcnt(0)
	v_mul_f64 v[101:102], v[99:100], v[107:108]
	v_fma_f64 v[101:102], v[97:98], v[125:126], -v[101:102]
	v_mul_f64 v[97:98], v[97:98], v[107:108]
	v_fma_f64 v[97:98], v[99:100], v[125:126], v[97:98]
	s_waitcnt vmcnt(2)
	v_add_f64 v[103:104], v[103:104], -v[101:102]
	s_waitcnt vmcnt(0)
	v_add_f64 v[105:106], v[105:106], -v[97:98]
	buffer_store_dword v103, off, s[24:27], 0 ; 4-byte Folded Spill
	s_nop 0
	buffer_store_dword v104, off, s[24:27], 0 offset:4 ; 4-byte Folded Spill
	buffer_store_dword v105, off, s[24:27], 0 offset:8 ; 4-byte Folded Spill
	;; [unrolled: 1-line block ×3, first 2 shown]
	ds_read2_b64 v[97:100], v94 offset0:38 offset1:39
	v_mov_b32_e32 v105, v125
	v_mov_b32_e32 v106, v126
	s_waitcnt lgkmcnt(0)
	v_mul_f64 v[101:102], v[99:100], v[107:108]
	v_fma_f64 v[101:102], v[97:98], v[125:126], -v[101:102]
	v_mul_f64 v[97:98], v[97:98], v[107:108]
	v_add_f64 v[85:86], v[85:86], -v[101:102]
	v_fma_f64 v[97:98], v[99:100], v[125:126], v[97:98]
	v_add_f64 v[87:88], v[87:88], -v[97:98]
	ds_read2_b64 v[97:100], v94 offset0:40 offset1:41
	s_waitcnt lgkmcnt(0)
	v_mul_f64 v[101:102], v[99:100], v[107:108]
	v_fma_f64 v[101:102], v[97:98], v[125:126], -v[101:102]
	v_mul_f64 v[97:98], v[97:98], v[107:108]
	v_add_f64 v[81:82], v[81:82], -v[101:102]
	v_fma_f64 v[97:98], v[99:100], v[125:126], v[97:98]
	v_add_f64 v[83:84], v[83:84], -v[97:98]
	ds_read2_b64 v[97:100], v94 offset0:42 offset1:43
	;; [unrolled: 8-line block ×22, first 2 shown]
	s_waitcnt lgkmcnt(0)
	v_mul_f64 v[101:102], v[99:100], v[107:108]
	v_fma_f64 v[101:102], v[97:98], v[125:126], -v[101:102]
	v_mul_f64 v[97:98], v[97:98], v[107:108]
	buffer_store_dword v105, off, s[24:27], 0 offset:240 ; 4-byte Folded Spill
	s_nop 0
	buffer_store_dword v106, off, s[24:27], 0 offset:244 ; 4-byte Folded Spill
	buffer_store_dword v107, off, s[24:27], 0 offset:248 ; 4-byte Folded Spill
	;; [unrolled: 1-line block ×3, first 2 shown]
	v_add_f64 v[121:122], v[121:122], -v[101:102]
	v_fma_f64 v[97:98], v[99:100], v[125:126], v[97:98]
	v_add_f64 v[123:124], v[123:124], -v[97:98]
.LBB82_83:
	s_or_b64 exec, exec, s[0:1]
	s_waitcnt vmcnt(0)
	s_barrier
	buffer_load_dword v98, off, s[24:27], 0 offset:224 ; 4-byte Folded Reload
	buffer_load_dword v99, off, s[24:27], 0 offset:228 ; 4-byte Folded Reload
	;; [unrolled: 1-line block ×4, first 2 shown]
	v_lshl_add_u32 v97, v96, 4, v94
	s_cmp_lt_i32 s3, 6
	s_waitcnt vmcnt(0)
	ds_write2_b64 v97, v[98:99], v[100:101] offset1:1
	s_waitcnt lgkmcnt(0)
	s_barrier
	ds_read2_b64 v[117:120], v94 offset0:8 offset1:9
	v_mov_b32_e32 v97, 4
	s_cbranch_scc1 .LBB82_86
; %bb.84:
	v_mov_b32_e32 v97, 4
	v_add_u32_e32 v98, 0x50, v94
	s_mov_b32 s0, 5
.LBB82_85:                              ; =>This Inner Loop Header: Depth=1
	s_waitcnt lgkmcnt(0)
	v_cmp_gt_f64_e32 vcc, 0, v[117:118]
	v_xor_b32_e32 v103, 0x80000000, v118
	ds_read2_b64 v[99:102], v98 offset1:1
	v_xor_b32_e32 v105, 0x80000000, v120
	v_add_u32_e32 v98, 16, v98
	s_waitcnt lgkmcnt(0)
	v_xor_b32_e32 v107, 0x80000000, v102
	v_cndmask_b32_e32 v104, v118, v103, vcc
	v_cmp_gt_f64_e32 vcc, 0, v[119:120]
	v_mov_b32_e32 v103, v117
	v_cndmask_b32_e32 v106, v120, v105, vcc
	v_cmp_gt_f64_e32 vcc, 0, v[99:100]
	v_mov_b32_e32 v105, v119
	v_add_f64 v[103:104], v[103:104], v[105:106]
	v_xor_b32_e32 v105, 0x80000000, v100
	v_cndmask_b32_e32 v106, v100, v105, vcc
	v_cmp_gt_f64_e32 vcc, 0, v[101:102]
	v_mov_b32_e32 v105, v99
	v_cndmask_b32_e32 v108, v102, v107, vcc
	v_mov_b32_e32 v107, v101
	v_add_f64 v[105:106], v[105:106], v[107:108]
	v_cmp_lt_f64_e32 vcc, v[103:104], v[105:106]
	v_cndmask_b32_e32 v117, v117, v99, vcc
	v_mov_b32_e32 v99, s0
	s_add_i32 s0, s0, 1
	v_cndmask_b32_e32 v118, v118, v100, vcc
	v_cndmask_b32_e32 v120, v120, v102, vcc
	v_cndmask_b32_e32 v119, v119, v101, vcc
	v_cndmask_b32_e32 v97, v97, v99, vcc
	s_cmp_lg_u32 s3, s0
	s_cbranch_scc1 .LBB82_85
.LBB82_86:
	s_waitcnt lgkmcnt(0)
	v_cmp_eq_f64_e32 vcc, 0, v[117:118]
	v_cmp_eq_f64_e64 s[0:1], 0, v[119:120]
	s_and_b64 s[0:1], vcc, s[0:1]
	s_and_saveexec_b64 s[18:19], s[0:1]
	s_xor_b64 s[0:1], exec, s[18:19]
; %bb.87:
	v_cmp_ne_u32_e32 vcc, 0, v95
	v_cndmask_b32_e32 v95, 5, v95, vcc
; %bb.88:
	s_andn2_saveexec_b64 s[0:1], s[0:1]
	s_cbranch_execz .LBB82_94
; %bb.89:
	v_cmp_ngt_f64_e64 s[18:19], |v[117:118]|, |v[119:120]|
	s_and_saveexec_b64 s[20:21], s[18:19]
	s_xor_b64 s[18:19], exec, s[20:21]
	s_cbranch_execz .LBB82_91
; %bb.90:
	v_div_scale_f64 v[98:99], s[20:21], v[119:120], v[119:120], v[117:118]
	v_rcp_f64_e32 v[100:101], v[98:99]
	v_fma_f64 v[102:103], -v[98:99], v[100:101], 1.0
	v_fma_f64 v[100:101], v[100:101], v[102:103], v[100:101]
	v_div_scale_f64 v[102:103], vcc, v[117:118], v[119:120], v[117:118]
	v_fma_f64 v[104:105], -v[98:99], v[100:101], 1.0
	v_fma_f64 v[100:101], v[100:101], v[104:105], v[100:101]
	v_mul_f64 v[104:105], v[102:103], v[100:101]
	v_fma_f64 v[98:99], -v[98:99], v[104:105], v[102:103]
	v_div_fmas_f64 v[98:99], v[98:99], v[100:101], v[104:105]
	v_div_fixup_f64 v[98:99], v[98:99], v[119:120], v[117:118]
	v_fma_f64 v[100:101], v[117:118], v[98:99], v[119:120]
	v_div_scale_f64 v[102:103], s[20:21], v[100:101], v[100:101], 1.0
	v_div_scale_f64 v[108:109], vcc, 1.0, v[100:101], 1.0
	v_rcp_f64_e32 v[104:105], v[102:103]
	v_fma_f64 v[106:107], -v[102:103], v[104:105], 1.0
	v_fma_f64 v[104:105], v[104:105], v[106:107], v[104:105]
	v_fma_f64 v[106:107], -v[102:103], v[104:105], 1.0
	v_fma_f64 v[104:105], v[104:105], v[106:107], v[104:105]
	v_mul_f64 v[106:107], v[108:109], v[104:105]
	v_fma_f64 v[102:103], -v[102:103], v[106:107], v[108:109]
	v_div_fmas_f64 v[102:103], v[102:103], v[104:105], v[106:107]
	v_div_fixup_f64 v[119:120], v[102:103], v[100:101], 1.0
	v_mul_f64 v[117:118], v[98:99], v[119:120]
	v_xor_b32_e32 v120, 0x80000000, v120
.LBB82_91:
	s_andn2_saveexec_b64 s[18:19], s[18:19]
	s_cbranch_execz .LBB82_93
; %bb.92:
	v_div_scale_f64 v[98:99], s[20:21], v[117:118], v[117:118], v[119:120]
	v_rcp_f64_e32 v[100:101], v[98:99]
	v_fma_f64 v[102:103], -v[98:99], v[100:101], 1.0
	v_fma_f64 v[100:101], v[100:101], v[102:103], v[100:101]
	v_div_scale_f64 v[102:103], vcc, v[119:120], v[117:118], v[119:120]
	v_fma_f64 v[104:105], -v[98:99], v[100:101], 1.0
	v_fma_f64 v[100:101], v[100:101], v[104:105], v[100:101]
	v_mul_f64 v[104:105], v[102:103], v[100:101]
	v_fma_f64 v[98:99], -v[98:99], v[104:105], v[102:103]
	v_div_fmas_f64 v[98:99], v[98:99], v[100:101], v[104:105]
	v_div_fixup_f64 v[98:99], v[98:99], v[117:118], v[119:120]
	v_fma_f64 v[100:101], v[119:120], v[98:99], v[117:118]
	v_div_scale_f64 v[102:103], s[20:21], v[100:101], v[100:101], 1.0
	v_div_scale_f64 v[108:109], vcc, 1.0, v[100:101], 1.0
	v_rcp_f64_e32 v[104:105], v[102:103]
	v_fma_f64 v[106:107], -v[102:103], v[104:105], 1.0
	v_fma_f64 v[104:105], v[104:105], v[106:107], v[104:105]
	v_fma_f64 v[106:107], -v[102:103], v[104:105], 1.0
	v_fma_f64 v[104:105], v[104:105], v[106:107], v[104:105]
	v_mul_f64 v[106:107], v[108:109], v[104:105]
	v_fma_f64 v[102:103], -v[102:103], v[106:107], v[108:109]
	v_div_fmas_f64 v[102:103], v[102:103], v[104:105], v[106:107]
	v_div_fixup_f64 v[117:118], v[102:103], v[100:101], 1.0
	v_mul_f64 v[119:120], v[98:99], -v[117:118]
.LBB82_93:
	s_or_b64 exec, exec, s[18:19]
.LBB82_94:
	s_or_b64 exec, exec, s[0:1]
	v_cmp_ne_u32_e32 vcc, v96, v97
	s_and_saveexec_b64 s[0:1], vcc
	s_xor_b64 s[0:1], exec, s[0:1]
	s_cbranch_execz .LBB82_100
; %bb.95:
	v_cmp_eq_u32_e32 vcc, 4, v96
	s_and_saveexec_b64 s[18:19], vcc
	s_cbranch_execz .LBB82_99
; %bb.96:
	v_cmp_ne_u32_e32 vcc, 4, v97
	s_xor_b64 s[20:21], s[6:7], -1
	s_and_b64 s[22:23], s[20:21], vcc
	s_and_saveexec_b64 s[20:21], s[22:23]
	s_cbranch_execz .LBB82_98
; %bb.97:
	v_ashrrev_i32_e32 v98, 31, v97
	v_lshlrev_b64 v[98:99], 2, v[97:98]
	v_add_co_u32_e32 v98, vcc, v91, v98
	v_addc_co_u32_e32 v99, vcc, v92, v99, vcc
	global_load_dword v0, v[98:99], off
	global_load_dword v96, v[91:92], off offset:16
	s_waitcnt vmcnt(1)
	global_store_dword v[91:92], v0, off offset:16
	s_waitcnt vmcnt(1)
	global_store_dword v[98:99], v96, off
.LBB82_98:
	s_or_b64 exec, exec, s[20:21]
	v_mov_b32_e32 v96, v97
	v_mov_b32_e32 v0, v97
.LBB82_99:
	s_or_b64 exec, exec, s[18:19]
.LBB82_100:
	s_andn2_saveexec_b64 s[0:1], s[0:1]
	s_cbranch_execz .LBB82_102
; %bb.101:
	buffer_load_dword v96, off, s[24:27], 0 offset:208 ; 4-byte Folded Reload
	buffer_load_dword v97, off, s[24:27], 0 offset:212 ; 4-byte Folded Reload
	buffer_load_dword v98, off, s[24:27], 0 offset:216 ; 4-byte Folded Reload
	buffer_load_dword v99, off, s[24:27], 0 offset:220 ; 4-byte Folded Reload
	s_waitcnt vmcnt(0)
	ds_write2_b64 v94, v[96:97], v[98:99] offset0:10 offset1:11
	buffer_load_dword v96, off, s[24:27], 0 offset:192 ; 4-byte Folded Reload
	buffer_load_dword v97, off, s[24:27], 0 offset:196 ; 4-byte Folded Reload
	buffer_load_dword v98, off, s[24:27], 0 offset:200 ; 4-byte Folded Reload
	buffer_load_dword v99, off, s[24:27], 0 offset:204 ; 4-byte Folded Reload
	s_waitcnt vmcnt(0)
	ds_write2_b64 v94, v[96:97], v[98:99] offset0:12 offset1:13
	buffer_load_dword v96, off, s[24:27], 0 offset:176 ; 4-byte Folded Reload
	buffer_load_dword v97, off, s[24:27], 0 offset:180 ; 4-byte Folded Reload
	buffer_load_dword v98, off, s[24:27], 0 offset:184 ; 4-byte Folded Reload
	buffer_load_dword v99, off, s[24:27], 0 offset:188 ; 4-byte Folded Reload
	s_waitcnt vmcnt(0)
	ds_write2_b64 v94, v[96:97], v[98:99] offset0:14 offset1:15
	buffer_load_dword v96, off, s[24:27], 0 offset:160 ; 4-byte Folded Reload
	buffer_load_dword v97, off, s[24:27], 0 offset:164 ; 4-byte Folded Reload
	buffer_load_dword v98, off, s[24:27], 0 offset:168 ; 4-byte Folded Reload
	buffer_load_dword v99, off, s[24:27], 0 offset:172 ; 4-byte Folded Reload
	s_waitcnt vmcnt(0)
	ds_write2_b64 v94, v[96:97], v[98:99] offset0:16 offset1:17
	buffer_load_dword v96, off, s[24:27], 0 offset:144 ; 4-byte Folded Reload
	buffer_load_dword v97, off, s[24:27], 0 offset:148 ; 4-byte Folded Reload
	buffer_load_dword v98, off, s[24:27], 0 offset:152 ; 4-byte Folded Reload
	buffer_load_dword v99, off, s[24:27], 0 offset:156 ; 4-byte Folded Reload
	s_waitcnt vmcnt(0)
	ds_write2_b64 v94, v[96:97], v[98:99] offset0:18 offset1:19
	buffer_load_dword v96, off, s[24:27], 0 offset:128 ; 4-byte Folded Reload
	buffer_load_dword v97, off, s[24:27], 0 offset:132 ; 4-byte Folded Reload
	buffer_load_dword v98, off, s[24:27], 0 offset:136 ; 4-byte Folded Reload
	buffer_load_dword v99, off, s[24:27], 0 offset:140 ; 4-byte Folded Reload
	s_waitcnt vmcnt(0)
	ds_write2_b64 v94, v[96:97], v[98:99] offset0:20 offset1:21
	buffer_load_dword v96, off, s[24:27], 0 offset:112 ; 4-byte Folded Reload
	buffer_load_dword v97, off, s[24:27], 0 offset:116 ; 4-byte Folded Reload
	buffer_load_dword v98, off, s[24:27], 0 offset:120 ; 4-byte Folded Reload
	buffer_load_dword v99, off, s[24:27], 0 offset:124 ; 4-byte Folded Reload
	s_waitcnt vmcnt(0)
	ds_write2_b64 v94, v[96:97], v[98:99] offset0:22 offset1:23
	buffer_load_dword v96, off, s[24:27], 0 offset:96 ; 4-byte Folded Reload
	buffer_load_dword v97, off, s[24:27], 0 offset:100 ; 4-byte Folded Reload
	buffer_load_dword v98, off, s[24:27], 0 offset:104 ; 4-byte Folded Reload
	buffer_load_dword v99, off, s[24:27], 0 offset:108 ; 4-byte Folded Reload
	s_waitcnt vmcnt(0)
	ds_write2_b64 v94, v[96:97], v[98:99] offset0:24 offset1:25
	buffer_load_dword v96, off, s[24:27], 0 offset:80 ; 4-byte Folded Reload
	buffer_load_dword v97, off, s[24:27], 0 offset:84 ; 4-byte Folded Reload
	buffer_load_dword v98, off, s[24:27], 0 offset:88 ; 4-byte Folded Reload
	buffer_load_dword v99, off, s[24:27], 0 offset:92 ; 4-byte Folded Reload
	s_waitcnt vmcnt(0)
	ds_write2_b64 v94, v[96:97], v[98:99] offset0:26 offset1:27
	buffer_load_dword v96, off, s[24:27], 0 offset:64 ; 4-byte Folded Reload
	buffer_load_dword v97, off, s[24:27], 0 offset:68 ; 4-byte Folded Reload
	buffer_load_dword v98, off, s[24:27], 0 offset:72 ; 4-byte Folded Reload
	buffer_load_dword v99, off, s[24:27], 0 offset:76 ; 4-byte Folded Reload
	s_waitcnt vmcnt(0)
	ds_write2_b64 v94, v[96:97], v[98:99] offset0:28 offset1:29
	buffer_load_dword v96, off, s[24:27], 0 offset:48 ; 4-byte Folded Reload
	buffer_load_dword v97, off, s[24:27], 0 offset:52 ; 4-byte Folded Reload
	buffer_load_dword v98, off, s[24:27], 0 offset:56 ; 4-byte Folded Reload
	buffer_load_dword v99, off, s[24:27], 0 offset:60 ; 4-byte Folded Reload
	s_waitcnt vmcnt(0)
	ds_write2_b64 v94, v[96:97], v[98:99] offset0:30 offset1:31
	buffer_load_dword v96, off, s[24:27], 0 offset:32 ; 4-byte Folded Reload
	buffer_load_dword v97, off, s[24:27], 0 offset:36 ; 4-byte Folded Reload
	buffer_load_dword v98, off, s[24:27], 0 offset:40 ; 4-byte Folded Reload
	buffer_load_dword v99, off, s[24:27], 0 offset:44 ; 4-byte Folded Reload
	s_waitcnt vmcnt(0)
	ds_write2_b64 v94, v[96:97], v[98:99] offset0:32 offset1:33
	buffer_load_dword v96, off, s[24:27], 0 offset:16 ; 4-byte Folded Reload
	buffer_load_dword v97, off, s[24:27], 0 offset:20 ; 4-byte Folded Reload
	buffer_load_dword v98, off, s[24:27], 0 offset:24 ; 4-byte Folded Reload
	buffer_load_dword v99, off, s[24:27], 0 offset:28 ; 4-byte Folded Reload
	s_waitcnt vmcnt(0)
	ds_write2_b64 v94, v[96:97], v[98:99] offset0:34 offset1:35
	buffer_load_dword v96, off, s[24:27], 0 ; 4-byte Folded Reload
	buffer_load_dword v97, off, s[24:27], 0 offset:4 ; 4-byte Folded Reload
	buffer_load_dword v98, off, s[24:27], 0 offset:8 ; 4-byte Folded Reload
	;; [unrolled: 1-line block ×3, first 2 shown]
	s_waitcnt vmcnt(0)
	ds_write2_b64 v94, v[96:97], v[98:99] offset0:36 offset1:37
	ds_write2_b64 v94, v[85:86], v[87:88] offset0:38 offset1:39
	;; [unrolled: 1-line block ×24, first 2 shown]
	v_mov_b32_e32 v96, 4
.LBB82_102:
	s_or_b64 exec, exec, s[0:1]
	v_cmp_lt_i32_e32 vcc, 4, v96
	s_waitcnt vmcnt(0) lgkmcnt(0)
	s_barrier
	s_and_saveexec_b64 s[0:1], vcc
	s_cbranch_execz .LBB82_104
; %bb.103:
	buffer_load_dword v105, off, s[24:27], 0 offset:224 ; 4-byte Folded Reload
	buffer_load_dword v106, off, s[24:27], 0 offset:228 ; 4-byte Folded Reload
	;; [unrolled: 1-line block ×4, first 2 shown]
	s_waitcnt vmcnt(0)
	v_mul_f64 v[97:98], v[119:120], v[107:108]
	v_fma_f64 v[125:126], v[117:118], v[105:106], -v[97:98]
	v_mul_f64 v[97:98], v[117:118], v[107:108]
	v_fma_f64 v[107:108], v[119:120], v[105:106], v[97:98]
	ds_read2_b64 v[97:100], v94 offset0:10 offset1:11
	buffer_load_dword v103, off, s[24:27], 0 offset:208 ; 4-byte Folded Reload
	buffer_load_dword v104, off, s[24:27], 0 offset:212 ; 4-byte Folded Reload
	buffer_load_dword v105, off, s[24:27], 0 offset:216 ; 4-byte Folded Reload
	buffer_load_dword v106, off, s[24:27], 0 offset:220 ; 4-byte Folded Reload
	s_waitcnt lgkmcnt(0)
	v_mul_f64 v[101:102], v[99:100], v[107:108]
	v_fma_f64 v[101:102], v[97:98], v[125:126], -v[101:102]
	v_mul_f64 v[97:98], v[97:98], v[107:108]
	v_fma_f64 v[97:98], v[99:100], v[125:126], v[97:98]
	s_waitcnt vmcnt(2)
	v_add_f64 v[103:104], v[103:104], -v[101:102]
	s_waitcnt vmcnt(0)
	v_add_f64 v[105:106], v[105:106], -v[97:98]
	buffer_store_dword v103, off, s[24:27], 0 offset:208 ; 4-byte Folded Spill
	s_nop 0
	buffer_store_dword v104, off, s[24:27], 0 offset:212 ; 4-byte Folded Spill
	buffer_store_dword v105, off, s[24:27], 0 offset:216 ; 4-byte Folded Spill
	buffer_store_dword v106, off, s[24:27], 0 offset:220 ; 4-byte Folded Spill
	ds_read2_b64 v[97:100], v94 offset0:12 offset1:13
	buffer_load_dword v103, off, s[24:27], 0 offset:192 ; 4-byte Folded Reload
	buffer_load_dword v104, off, s[24:27], 0 offset:196 ; 4-byte Folded Reload
	buffer_load_dword v105, off, s[24:27], 0 offset:200 ; 4-byte Folded Reload
	buffer_load_dword v106, off, s[24:27], 0 offset:204 ; 4-byte Folded Reload
	s_waitcnt lgkmcnt(0)
	v_mul_f64 v[101:102], v[99:100], v[107:108]
	v_fma_f64 v[101:102], v[97:98], v[125:126], -v[101:102]
	v_mul_f64 v[97:98], v[97:98], v[107:108]
	v_fma_f64 v[97:98], v[99:100], v[125:126], v[97:98]
	s_waitcnt vmcnt(2)
	v_add_f64 v[103:104], v[103:104], -v[101:102]
	s_waitcnt vmcnt(0)
	v_add_f64 v[105:106], v[105:106], -v[97:98]
	buffer_store_dword v103, off, s[24:27], 0 offset:192 ; 4-byte Folded Spill
	s_nop 0
	buffer_store_dword v104, off, s[24:27], 0 offset:196 ; 4-byte Folded Spill
	buffer_store_dword v105, off, s[24:27], 0 offset:200 ; 4-byte Folded Spill
	buffer_store_dword v106, off, s[24:27], 0 offset:204 ; 4-byte Folded Spill
	;; [unrolled: 19-line block ×13, first 2 shown]
	ds_read2_b64 v[97:100], v94 offset0:36 offset1:37
	buffer_load_dword v103, off, s[24:27], 0 ; 4-byte Folded Reload
	buffer_load_dword v104, off, s[24:27], 0 offset:4 ; 4-byte Folded Reload
	buffer_load_dword v105, off, s[24:27], 0 offset:8 ; 4-byte Folded Reload
	;; [unrolled: 1-line block ×3, first 2 shown]
	s_waitcnt lgkmcnt(0)
	v_mul_f64 v[101:102], v[99:100], v[107:108]
	v_fma_f64 v[101:102], v[97:98], v[125:126], -v[101:102]
	v_mul_f64 v[97:98], v[97:98], v[107:108]
	v_fma_f64 v[97:98], v[99:100], v[125:126], v[97:98]
	s_waitcnt vmcnt(2)
	v_add_f64 v[103:104], v[103:104], -v[101:102]
	s_waitcnt vmcnt(0)
	v_add_f64 v[105:106], v[105:106], -v[97:98]
	buffer_store_dword v103, off, s[24:27], 0 ; 4-byte Folded Spill
	s_nop 0
	buffer_store_dword v104, off, s[24:27], 0 offset:4 ; 4-byte Folded Spill
	buffer_store_dword v105, off, s[24:27], 0 offset:8 ; 4-byte Folded Spill
	buffer_store_dword v106, off, s[24:27], 0 offset:12 ; 4-byte Folded Spill
	ds_read2_b64 v[97:100], v94 offset0:38 offset1:39
	v_mov_b32_e32 v105, v125
	v_mov_b32_e32 v106, v126
	s_waitcnt lgkmcnt(0)
	v_mul_f64 v[101:102], v[99:100], v[107:108]
	v_fma_f64 v[101:102], v[97:98], v[125:126], -v[101:102]
	v_mul_f64 v[97:98], v[97:98], v[107:108]
	v_add_f64 v[85:86], v[85:86], -v[101:102]
	v_fma_f64 v[97:98], v[99:100], v[125:126], v[97:98]
	v_add_f64 v[87:88], v[87:88], -v[97:98]
	ds_read2_b64 v[97:100], v94 offset0:40 offset1:41
	s_waitcnt lgkmcnt(0)
	v_mul_f64 v[101:102], v[99:100], v[107:108]
	v_fma_f64 v[101:102], v[97:98], v[125:126], -v[101:102]
	v_mul_f64 v[97:98], v[97:98], v[107:108]
	v_add_f64 v[81:82], v[81:82], -v[101:102]
	v_fma_f64 v[97:98], v[99:100], v[125:126], v[97:98]
	v_add_f64 v[83:84], v[83:84], -v[97:98]
	ds_read2_b64 v[97:100], v94 offset0:42 offset1:43
	;; [unrolled: 8-line block ×22, first 2 shown]
	s_waitcnt lgkmcnt(0)
	v_mul_f64 v[101:102], v[99:100], v[107:108]
	v_fma_f64 v[101:102], v[97:98], v[125:126], -v[101:102]
	v_mul_f64 v[97:98], v[97:98], v[107:108]
	buffer_store_dword v105, off, s[24:27], 0 offset:224 ; 4-byte Folded Spill
	s_nop 0
	buffer_store_dword v106, off, s[24:27], 0 offset:228 ; 4-byte Folded Spill
	buffer_store_dword v107, off, s[24:27], 0 offset:232 ; 4-byte Folded Spill
	;; [unrolled: 1-line block ×3, first 2 shown]
	v_add_f64 v[121:122], v[121:122], -v[101:102]
	v_fma_f64 v[97:98], v[99:100], v[125:126], v[97:98]
	v_add_f64 v[123:124], v[123:124], -v[97:98]
.LBB82_104:
	s_or_b64 exec, exec, s[0:1]
	s_waitcnt vmcnt(0)
	s_barrier
	buffer_load_dword v98, off, s[24:27], 0 offset:208 ; 4-byte Folded Reload
	buffer_load_dword v99, off, s[24:27], 0 offset:212 ; 4-byte Folded Reload
	;; [unrolled: 1-line block ×4, first 2 shown]
	v_lshl_add_u32 v97, v96, 4, v94
	s_cmp_lt_i32 s3, 7
	s_waitcnt vmcnt(0)
	ds_write2_b64 v97, v[98:99], v[100:101] offset1:1
	s_waitcnt lgkmcnt(0)
	s_barrier
	ds_read2_b64 v[117:120], v94 offset0:10 offset1:11
	v_mov_b32_e32 v97, 5
	s_cbranch_scc1 .LBB82_107
; %bb.105:
	v_add_u32_e32 v98, 0x60, v94
	s_mov_b32 s0, 6
	v_mov_b32_e32 v97, 5
.LBB82_106:                             ; =>This Inner Loop Header: Depth=1
	s_waitcnt lgkmcnt(0)
	v_cmp_gt_f64_e32 vcc, 0, v[117:118]
	v_xor_b32_e32 v103, 0x80000000, v118
	ds_read2_b64 v[99:102], v98 offset1:1
	v_xor_b32_e32 v105, 0x80000000, v120
	v_add_u32_e32 v98, 16, v98
	s_waitcnt lgkmcnt(0)
	v_xor_b32_e32 v107, 0x80000000, v102
	v_cndmask_b32_e32 v104, v118, v103, vcc
	v_cmp_gt_f64_e32 vcc, 0, v[119:120]
	v_mov_b32_e32 v103, v117
	v_cndmask_b32_e32 v106, v120, v105, vcc
	v_cmp_gt_f64_e32 vcc, 0, v[99:100]
	v_mov_b32_e32 v105, v119
	v_add_f64 v[103:104], v[103:104], v[105:106]
	v_xor_b32_e32 v105, 0x80000000, v100
	v_cndmask_b32_e32 v106, v100, v105, vcc
	v_cmp_gt_f64_e32 vcc, 0, v[101:102]
	v_mov_b32_e32 v105, v99
	v_cndmask_b32_e32 v108, v102, v107, vcc
	v_mov_b32_e32 v107, v101
	v_add_f64 v[105:106], v[105:106], v[107:108]
	v_cmp_lt_f64_e32 vcc, v[103:104], v[105:106]
	v_cndmask_b32_e32 v117, v117, v99, vcc
	v_mov_b32_e32 v99, s0
	s_add_i32 s0, s0, 1
	v_cndmask_b32_e32 v118, v118, v100, vcc
	v_cndmask_b32_e32 v120, v120, v102, vcc
	;; [unrolled: 1-line block ×4, first 2 shown]
	s_cmp_lg_u32 s3, s0
	s_cbranch_scc1 .LBB82_106
.LBB82_107:
	s_waitcnt lgkmcnt(0)
	v_cmp_eq_f64_e32 vcc, 0, v[117:118]
	v_cmp_eq_f64_e64 s[0:1], 0, v[119:120]
	s_and_b64 s[0:1], vcc, s[0:1]
	s_and_saveexec_b64 s[18:19], s[0:1]
	s_xor_b64 s[0:1], exec, s[18:19]
; %bb.108:
	v_cmp_ne_u32_e32 vcc, 0, v95
	v_cndmask_b32_e32 v95, 6, v95, vcc
; %bb.109:
	s_andn2_saveexec_b64 s[0:1], s[0:1]
	s_cbranch_execz .LBB82_115
; %bb.110:
	v_cmp_ngt_f64_e64 s[18:19], |v[117:118]|, |v[119:120]|
	s_and_saveexec_b64 s[20:21], s[18:19]
	s_xor_b64 s[18:19], exec, s[20:21]
	s_cbranch_execz .LBB82_112
; %bb.111:
	v_div_scale_f64 v[98:99], s[20:21], v[119:120], v[119:120], v[117:118]
	v_rcp_f64_e32 v[100:101], v[98:99]
	v_fma_f64 v[102:103], -v[98:99], v[100:101], 1.0
	v_fma_f64 v[100:101], v[100:101], v[102:103], v[100:101]
	v_div_scale_f64 v[102:103], vcc, v[117:118], v[119:120], v[117:118]
	v_fma_f64 v[104:105], -v[98:99], v[100:101], 1.0
	v_fma_f64 v[100:101], v[100:101], v[104:105], v[100:101]
	v_mul_f64 v[104:105], v[102:103], v[100:101]
	v_fma_f64 v[98:99], -v[98:99], v[104:105], v[102:103]
	v_div_fmas_f64 v[98:99], v[98:99], v[100:101], v[104:105]
	v_div_fixup_f64 v[98:99], v[98:99], v[119:120], v[117:118]
	v_fma_f64 v[100:101], v[117:118], v[98:99], v[119:120]
	v_div_scale_f64 v[102:103], s[20:21], v[100:101], v[100:101], 1.0
	v_div_scale_f64 v[108:109], vcc, 1.0, v[100:101], 1.0
	v_rcp_f64_e32 v[104:105], v[102:103]
	v_fma_f64 v[106:107], -v[102:103], v[104:105], 1.0
	v_fma_f64 v[104:105], v[104:105], v[106:107], v[104:105]
	v_fma_f64 v[106:107], -v[102:103], v[104:105], 1.0
	v_fma_f64 v[104:105], v[104:105], v[106:107], v[104:105]
	v_mul_f64 v[106:107], v[108:109], v[104:105]
	v_fma_f64 v[102:103], -v[102:103], v[106:107], v[108:109]
	v_div_fmas_f64 v[102:103], v[102:103], v[104:105], v[106:107]
	v_div_fixup_f64 v[119:120], v[102:103], v[100:101], 1.0
	v_mul_f64 v[117:118], v[98:99], v[119:120]
	v_xor_b32_e32 v120, 0x80000000, v120
.LBB82_112:
	s_andn2_saveexec_b64 s[18:19], s[18:19]
	s_cbranch_execz .LBB82_114
; %bb.113:
	v_div_scale_f64 v[98:99], s[20:21], v[117:118], v[117:118], v[119:120]
	v_rcp_f64_e32 v[100:101], v[98:99]
	v_fma_f64 v[102:103], -v[98:99], v[100:101], 1.0
	v_fma_f64 v[100:101], v[100:101], v[102:103], v[100:101]
	v_div_scale_f64 v[102:103], vcc, v[119:120], v[117:118], v[119:120]
	v_fma_f64 v[104:105], -v[98:99], v[100:101], 1.0
	v_fma_f64 v[100:101], v[100:101], v[104:105], v[100:101]
	v_mul_f64 v[104:105], v[102:103], v[100:101]
	v_fma_f64 v[98:99], -v[98:99], v[104:105], v[102:103]
	v_div_fmas_f64 v[98:99], v[98:99], v[100:101], v[104:105]
	v_div_fixup_f64 v[98:99], v[98:99], v[117:118], v[119:120]
	v_fma_f64 v[100:101], v[119:120], v[98:99], v[117:118]
	v_div_scale_f64 v[102:103], s[20:21], v[100:101], v[100:101], 1.0
	v_div_scale_f64 v[108:109], vcc, 1.0, v[100:101], 1.0
	v_rcp_f64_e32 v[104:105], v[102:103]
	v_fma_f64 v[106:107], -v[102:103], v[104:105], 1.0
	v_fma_f64 v[104:105], v[104:105], v[106:107], v[104:105]
	v_fma_f64 v[106:107], -v[102:103], v[104:105], 1.0
	v_fma_f64 v[104:105], v[104:105], v[106:107], v[104:105]
	v_mul_f64 v[106:107], v[108:109], v[104:105]
	v_fma_f64 v[102:103], -v[102:103], v[106:107], v[108:109]
	v_div_fmas_f64 v[102:103], v[102:103], v[104:105], v[106:107]
	v_div_fixup_f64 v[117:118], v[102:103], v[100:101], 1.0
	v_mul_f64 v[119:120], v[98:99], -v[117:118]
.LBB82_114:
	s_or_b64 exec, exec, s[18:19]
.LBB82_115:
	s_or_b64 exec, exec, s[0:1]
	v_cmp_ne_u32_e32 vcc, v96, v97
	s_and_saveexec_b64 s[0:1], vcc
	s_xor_b64 s[0:1], exec, s[0:1]
	s_cbranch_execz .LBB82_121
; %bb.116:
	v_cmp_eq_u32_e32 vcc, 5, v96
	s_and_saveexec_b64 s[18:19], vcc
	s_cbranch_execz .LBB82_120
; %bb.117:
	v_cmp_ne_u32_e32 vcc, 5, v97
	s_xor_b64 s[20:21], s[6:7], -1
	s_and_b64 s[22:23], s[20:21], vcc
	s_and_saveexec_b64 s[20:21], s[22:23]
	s_cbranch_execz .LBB82_119
; %bb.118:
	v_ashrrev_i32_e32 v98, 31, v97
	v_lshlrev_b64 v[98:99], 2, v[97:98]
	v_add_co_u32_e32 v98, vcc, v91, v98
	v_addc_co_u32_e32 v99, vcc, v92, v99, vcc
	global_load_dword v0, v[98:99], off
	global_load_dword v96, v[91:92], off offset:20
	s_waitcnt vmcnt(1)
	global_store_dword v[91:92], v0, off offset:20
	s_waitcnt vmcnt(1)
	global_store_dword v[98:99], v96, off
.LBB82_119:
	s_or_b64 exec, exec, s[20:21]
	v_mov_b32_e32 v96, v97
	v_mov_b32_e32 v0, v97
.LBB82_120:
	s_or_b64 exec, exec, s[18:19]
.LBB82_121:
	s_andn2_saveexec_b64 s[0:1], s[0:1]
	s_cbranch_execz .LBB82_123
; %bb.122:
	buffer_load_dword v96, off, s[24:27], 0 offset:192 ; 4-byte Folded Reload
	buffer_load_dword v97, off, s[24:27], 0 offset:196 ; 4-byte Folded Reload
	buffer_load_dword v98, off, s[24:27], 0 offset:200 ; 4-byte Folded Reload
	buffer_load_dword v99, off, s[24:27], 0 offset:204 ; 4-byte Folded Reload
	s_waitcnt vmcnt(0)
	ds_write2_b64 v94, v[96:97], v[98:99] offset0:12 offset1:13
	buffer_load_dword v96, off, s[24:27], 0 offset:176 ; 4-byte Folded Reload
	buffer_load_dword v97, off, s[24:27], 0 offset:180 ; 4-byte Folded Reload
	buffer_load_dword v98, off, s[24:27], 0 offset:184 ; 4-byte Folded Reload
	buffer_load_dword v99, off, s[24:27], 0 offset:188 ; 4-byte Folded Reload
	s_waitcnt vmcnt(0)
	ds_write2_b64 v94, v[96:97], v[98:99] offset0:14 offset1:15
	;; [unrolled: 6-line block ×12, first 2 shown]
	buffer_load_dword v96, off, s[24:27], 0 ; 4-byte Folded Reload
	buffer_load_dword v97, off, s[24:27], 0 offset:4 ; 4-byte Folded Reload
	buffer_load_dword v98, off, s[24:27], 0 offset:8 ; 4-byte Folded Reload
	;; [unrolled: 1-line block ×3, first 2 shown]
	s_waitcnt vmcnt(0)
	ds_write2_b64 v94, v[96:97], v[98:99] offset0:36 offset1:37
	ds_write2_b64 v94, v[85:86], v[87:88] offset0:38 offset1:39
	;; [unrolled: 1-line block ×24, first 2 shown]
	v_mov_b32_e32 v96, 5
.LBB82_123:
	s_or_b64 exec, exec, s[0:1]
	v_cmp_lt_i32_e32 vcc, 5, v96
	s_waitcnt vmcnt(0) lgkmcnt(0)
	s_barrier
	s_and_saveexec_b64 s[0:1], vcc
	s_cbranch_execz .LBB82_125
; %bb.124:
	buffer_load_dword v105, off, s[24:27], 0 offset:208 ; 4-byte Folded Reload
	buffer_load_dword v106, off, s[24:27], 0 offset:212 ; 4-byte Folded Reload
	;; [unrolled: 1-line block ×4, first 2 shown]
	s_waitcnt vmcnt(0)
	v_mul_f64 v[97:98], v[119:120], v[107:108]
	v_fma_f64 v[125:126], v[117:118], v[105:106], -v[97:98]
	v_mul_f64 v[97:98], v[117:118], v[107:108]
	v_fma_f64 v[107:108], v[119:120], v[105:106], v[97:98]
	ds_read2_b64 v[97:100], v94 offset0:12 offset1:13
	buffer_load_dword v103, off, s[24:27], 0 offset:192 ; 4-byte Folded Reload
	buffer_load_dword v104, off, s[24:27], 0 offset:196 ; 4-byte Folded Reload
	buffer_load_dword v105, off, s[24:27], 0 offset:200 ; 4-byte Folded Reload
	buffer_load_dword v106, off, s[24:27], 0 offset:204 ; 4-byte Folded Reload
	s_waitcnt lgkmcnt(0)
	v_mul_f64 v[101:102], v[99:100], v[107:108]
	v_fma_f64 v[101:102], v[97:98], v[125:126], -v[101:102]
	v_mul_f64 v[97:98], v[97:98], v[107:108]
	v_fma_f64 v[97:98], v[99:100], v[125:126], v[97:98]
	s_waitcnt vmcnt(2)
	v_add_f64 v[103:104], v[103:104], -v[101:102]
	s_waitcnt vmcnt(0)
	v_add_f64 v[105:106], v[105:106], -v[97:98]
	buffer_store_dword v103, off, s[24:27], 0 offset:192 ; 4-byte Folded Spill
	s_nop 0
	buffer_store_dword v104, off, s[24:27], 0 offset:196 ; 4-byte Folded Spill
	buffer_store_dword v105, off, s[24:27], 0 offset:200 ; 4-byte Folded Spill
	buffer_store_dword v106, off, s[24:27], 0 offset:204 ; 4-byte Folded Spill
	ds_read2_b64 v[97:100], v94 offset0:14 offset1:15
	buffer_load_dword v103, off, s[24:27], 0 offset:176 ; 4-byte Folded Reload
	buffer_load_dword v104, off, s[24:27], 0 offset:180 ; 4-byte Folded Reload
	buffer_load_dword v105, off, s[24:27], 0 offset:184 ; 4-byte Folded Reload
	buffer_load_dword v106, off, s[24:27], 0 offset:188 ; 4-byte Folded Reload
	s_waitcnt lgkmcnt(0)
	v_mul_f64 v[101:102], v[99:100], v[107:108]
	v_fma_f64 v[101:102], v[97:98], v[125:126], -v[101:102]
	v_mul_f64 v[97:98], v[97:98], v[107:108]
	v_fma_f64 v[97:98], v[99:100], v[125:126], v[97:98]
	s_waitcnt vmcnt(2)
	v_add_f64 v[103:104], v[103:104], -v[101:102]
	s_waitcnt vmcnt(0)
	v_add_f64 v[105:106], v[105:106], -v[97:98]
	buffer_store_dword v103, off, s[24:27], 0 offset:176 ; 4-byte Folded Spill
	s_nop 0
	buffer_store_dword v104, off, s[24:27], 0 offset:180 ; 4-byte Folded Spill
	buffer_store_dword v105, off, s[24:27], 0 offset:184 ; 4-byte Folded Spill
	buffer_store_dword v106, off, s[24:27], 0 offset:188 ; 4-byte Folded Spill
	;; [unrolled: 19-line block ×12, first 2 shown]
	ds_read2_b64 v[97:100], v94 offset0:36 offset1:37
	buffer_load_dword v103, off, s[24:27], 0 ; 4-byte Folded Reload
	buffer_load_dword v104, off, s[24:27], 0 offset:4 ; 4-byte Folded Reload
	buffer_load_dword v105, off, s[24:27], 0 offset:8 ; 4-byte Folded Reload
	;; [unrolled: 1-line block ×3, first 2 shown]
	s_waitcnt lgkmcnt(0)
	v_mul_f64 v[101:102], v[99:100], v[107:108]
	v_fma_f64 v[101:102], v[97:98], v[125:126], -v[101:102]
	v_mul_f64 v[97:98], v[97:98], v[107:108]
	v_fma_f64 v[97:98], v[99:100], v[125:126], v[97:98]
	s_waitcnt vmcnt(2)
	v_add_f64 v[103:104], v[103:104], -v[101:102]
	s_waitcnt vmcnt(0)
	v_add_f64 v[105:106], v[105:106], -v[97:98]
	buffer_store_dword v103, off, s[24:27], 0 ; 4-byte Folded Spill
	s_nop 0
	buffer_store_dword v104, off, s[24:27], 0 offset:4 ; 4-byte Folded Spill
	buffer_store_dword v105, off, s[24:27], 0 offset:8 ; 4-byte Folded Spill
	;; [unrolled: 1-line block ×3, first 2 shown]
	ds_read2_b64 v[97:100], v94 offset0:38 offset1:39
	v_mov_b32_e32 v105, v125
	v_mov_b32_e32 v106, v126
	s_waitcnt lgkmcnt(0)
	v_mul_f64 v[101:102], v[99:100], v[107:108]
	v_fma_f64 v[101:102], v[97:98], v[125:126], -v[101:102]
	v_mul_f64 v[97:98], v[97:98], v[107:108]
	v_add_f64 v[85:86], v[85:86], -v[101:102]
	v_fma_f64 v[97:98], v[99:100], v[125:126], v[97:98]
	v_add_f64 v[87:88], v[87:88], -v[97:98]
	ds_read2_b64 v[97:100], v94 offset0:40 offset1:41
	s_waitcnt lgkmcnt(0)
	v_mul_f64 v[101:102], v[99:100], v[107:108]
	v_fma_f64 v[101:102], v[97:98], v[125:126], -v[101:102]
	v_mul_f64 v[97:98], v[97:98], v[107:108]
	v_add_f64 v[81:82], v[81:82], -v[101:102]
	v_fma_f64 v[97:98], v[99:100], v[125:126], v[97:98]
	v_add_f64 v[83:84], v[83:84], -v[97:98]
	ds_read2_b64 v[97:100], v94 offset0:42 offset1:43
	;; [unrolled: 8-line block ×22, first 2 shown]
	s_waitcnt lgkmcnt(0)
	v_mul_f64 v[101:102], v[99:100], v[107:108]
	v_fma_f64 v[101:102], v[97:98], v[125:126], -v[101:102]
	v_mul_f64 v[97:98], v[97:98], v[107:108]
	buffer_store_dword v105, off, s[24:27], 0 offset:208 ; 4-byte Folded Spill
	s_nop 0
	buffer_store_dword v106, off, s[24:27], 0 offset:212 ; 4-byte Folded Spill
	buffer_store_dword v107, off, s[24:27], 0 offset:216 ; 4-byte Folded Spill
	;; [unrolled: 1-line block ×3, first 2 shown]
	v_add_f64 v[121:122], v[121:122], -v[101:102]
	v_fma_f64 v[97:98], v[99:100], v[125:126], v[97:98]
	v_add_f64 v[123:124], v[123:124], -v[97:98]
.LBB82_125:
	s_or_b64 exec, exec, s[0:1]
	s_waitcnt vmcnt(0)
	s_barrier
	buffer_load_dword v98, off, s[24:27], 0 offset:192 ; 4-byte Folded Reload
	buffer_load_dword v99, off, s[24:27], 0 offset:196 ; 4-byte Folded Reload
	;; [unrolled: 1-line block ×4, first 2 shown]
	v_lshl_add_u32 v97, v96, 4, v94
	s_cmp_lt_i32 s3, 8
	s_waitcnt vmcnt(0)
	ds_write2_b64 v97, v[98:99], v[100:101] offset1:1
	s_waitcnt lgkmcnt(0)
	s_barrier
	ds_read2_b64 v[117:120], v94 offset0:12 offset1:13
	v_mov_b32_e32 v97, 6
	s_cbranch_scc1 .LBB82_128
; %bb.126:
	v_add_u32_e32 v98, 0x70, v94
	s_mov_b32 s0, 7
	v_mov_b32_e32 v97, 6
.LBB82_127:                             ; =>This Inner Loop Header: Depth=1
	s_waitcnt lgkmcnt(0)
	v_cmp_gt_f64_e32 vcc, 0, v[117:118]
	v_xor_b32_e32 v103, 0x80000000, v118
	ds_read2_b64 v[99:102], v98 offset1:1
	v_xor_b32_e32 v105, 0x80000000, v120
	v_add_u32_e32 v98, 16, v98
	s_waitcnt lgkmcnt(0)
	v_xor_b32_e32 v107, 0x80000000, v102
	v_cndmask_b32_e32 v104, v118, v103, vcc
	v_cmp_gt_f64_e32 vcc, 0, v[119:120]
	v_mov_b32_e32 v103, v117
	v_cndmask_b32_e32 v106, v120, v105, vcc
	v_cmp_gt_f64_e32 vcc, 0, v[99:100]
	v_mov_b32_e32 v105, v119
	v_add_f64 v[103:104], v[103:104], v[105:106]
	v_xor_b32_e32 v105, 0x80000000, v100
	v_cndmask_b32_e32 v106, v100, v105, vcc
	v_cmp_gt_f64_e32 vcc, 0, v[101:102]
	v_mov_b32_e32 v105, v99
	v_cndmask_b32_e32 v108, v102, v107, vcc
	v_mov_b32_e32 v107, v101
	v_add_f64 v[105:106], v[105:106], v[107:108]
	v_cmp_lt_f64_e32 vcc, v[103:104], v[105:106]
	v_cndmask_b32_e32 v117, v117, v99, vcc
	v_mov_b32_e32 v99, s0
	s_add_i32 s0, s0, 1
	v_cndmask_b32_e32 v118, v118, v100, vcc
	v_cndmask_b32_e32 v120, v120, v102, vcc
	v_cndmask_b32_e32 v119, v119, v101, vcc
	v_cndmask_b32_e32 v97, v97, v99, vcc
	s_cmp_lg_u32 s3, s0
	s_cbranch_scc1 .LBB82_127
.LBB82_128:
	s_waitcnt lgkmcnt(0)
	v_cmp_eq_f64_e32 vcc, 0, v[117:118]
	v_cmp_eq_f64_e64 s[0:1], 0, v[119:120]
	s_and_b64 s[0:1], vcc, s[0:1]
	s_and_saveexec_b64 s[18:19], s[0:1]
	s_xor_b64 s[0:1], exec, s[18:19]
; %bb.129:
	v_cmp_ne_u32_e32 vcc, 0, v95
	v_cndmask_b32_e32 v95, 7, v95, vcc
; %bb.130:
	s_andn2_saveexec_b64 s[0:1], s[0:1]
	s_cbranch_execz .LBB82_136
; %bb.131:
	v_cmp_ngt_f64_e64 s[18:19], |v[117:118]|, |v[119:120]|
	s_and_saveexec_b64 s[20:21], s[18:19]
	s_xor_b64 s[18:19], exec, s[20:21]
	s_cbranch_execz .LBB82_133
; %bb.132:
	v_div_scale_f64 v[98:99], s[20:21], v[119:120], v[119:120], v[117:118]
	v_rcp_f64_e32 v[100:101], v[98:99]
	v_fma_f64 v[102:103], -v[98:99], v[100:101], 1.0
	v_fma_f64 v[100:101], v[100:101], v[102:103], v[100:101]
	v_div_scale_f64 v[102:103], vcc, v[117:118], v[119:120], v[117:118]
	v_fma_f64 v[104:105], -v[98:99], v[100:101], 1.0
	v_fma_f64 v[100:101], v[100:101], v[104:105], v[100:101]
	v_mul_f64 v[104:105], v[102:103], v[100:101]
	v_fma_f64 v[98:99], -v[98:99], v[104:105], v[102:103]
	v_div_fmas_f64 v[98:99], v[98:99], v[100:101], v[104:105]
	v_div_fixup_f64 v[98:99], v[98:99], v[119:120], v[117:118]
	v_fma_f64 v[100:101], v[117:118], v[98:99], v[119:120]
	v_div_scale_f64 v[102:103], s[20:21], v[100:101], v[100:101], 1.0
	v_div_scale_f64 v[108:109], vcc, 1.0, v[100:101], 1.0
	v_rcp_f64_e32 v[104:105], v[102:103]
	v_fma_f64 v[106:107], -v[102:103], v[104:105], 1.0
	v_fma_f64 v[104:105], v[104:105], v[106:107], v[104:105]
	v_fma_f64 v[106:107], -v[102:103], v[104:105], 1.0
	v_fma_f64 v[104:105], v[104:105], v[106:107], v[104:105]
	v_mul_f64 v[106:107], v[108:109], v[104:105]
	v_fma_f64 v[102:103], -v[102:103], v[106:107], v[108:109]
	v_div_fmas_f64 v[102:103], v[102:103], v[104:105], v[106:107]
	v_div_fixup_f64 v[119:120], v[102:103], v[100:101], 1.0
	v_mul_f64 v[117:118], v[98:99], v[119:120]
	v_xor_b32_e32 v120, 0x80000000, v120
.LBB82_133:
	s_andn2_saveexec_b64 s[18:19], s[18:19]
	s_cbranch_execz .LBB82_135
; %bb.134:
	v_div_scale_f64 v[98:99], s[20:21], v[117:118], v[117:118], v[119:120]
	v_rcp_f64_e32 v[100:101], v[98:99]
	v_fma_f64 v[102:103], -v[98:99], v[100:101], 1.0
	v_fma_f64 v[100:101], v[100:101], v[102:103], v[100:101]
	v_div_scale_f64 v[102:103], vcc, v[119:120], v[117:118], v[119:120]
	v_fma_f64 v[104:105], -v[98:99], v[100:101], 1.0
	v_fma_f64 v[100:101], v[100:101], v[104:105], v[100:101]
	v_mul_f64 v[104:105], v[102:103], v[100:101]
	v_fma_f64 v[98:99], -v[98:99], v[104:105], v[102:103]
	v_div_fmas_f64 v[98:99], v[98:99], v[100:101], v[104:105]
	v_div_fixup_f64 v[98:99], v[98:99], v[117:118], v[119:120]
	v_fma_f64 v[100:101], v[119:120], v[98:99], v[117:118]
	v_div_scale_f64 v[102:103], s[20:21], v[100:101], v[100:101], 1.0
	v_div_scale_f64 v[108:109], vcc, 1.0, v[100:101], 1.0
	v_rcp_f64_e32 v[104:105], v[102:103]
	v_fma_f64 v[106:107], -v[102:103], v[104:105], 1.0
	v_fma_f64 v[104:105], v[104:105], v[106:107], v[104:105]
	v_fma_f64 v[106:107], -v[102:103], v[104:105], 1.0
	v_fma_f64 v[104:105], v[104:105], v[106:107], v[104:105]
	v_mul_f64 v[106:107], v[108:109], v[104:105]
	v_fma_f64 v[102:103], -v[102:103], v[106:107], v[108:109]
	v_div_fmas_f64 v[102:103], v[102:103], v[104:105], v[106:107]
	v_div_fixup_f64 v[117:118], v[102:103], v[100:101], 1.0
	v_mul_f64 v[119:120], v[98:99], -v[117:118]
.LBB82_135:
	s_or_b64 exec, exec, s[18:19]
.LBB82_136:
	s_or_b64 exec, exec, s[0:1]
	v_cmp_ne_u32_e32 vcc, v96, v97
	s_and_saveexec_b64 s[0:1], vcc
	s_xor_b64 s[0:1], exec, s[0:1]
	s_cbranch_execz .LBB82_142
; %bb.137:
	v_cmp_eq_u32_e32 vcc, 6, v96
	s_and_saveexec_b64 s[18:19], vcc
	s_cbranch_execz .LBB82_141
; %bb.138:
	v_cmp_ne_u32_e32 vcc, 6, v97
	s_xor_b64 s[20:21], s[6:7], -1
	s_and_b64 s[22:23], s[20:21], vcc
	s_and_saveexec_b64 s[20:21], s[22:23]
	s_cbranch_execz .LBB82_140
; %bb.139:
	v_ashrrev_i32_e32 v98, 31, v97
	v_lshlrev_b64 v[98:99], 2, v[97:98]
	v_add_co_u32_e32 v98, vcc, v91, v98
	v_addc_co_u32_e32 v99, vcc, v92, v99, vcc
	global_load_dword v0, v[98:99], off
	global_load_dword v96, v[91:92], off offset:24
	s_waitcnt vmcnt(1)
	global_store_dword v[91:92], v0, off offset:24
	s_waitcnt vmcnt(1)
	global_store_dword v[98:99], v96, off
.LBB82_140:
	s_or_b64 exec, exec, s[20:21]
	v_mov_b32_e32 v96, v97
	v_mov_b32_e32 v0, v97
.LBB82_141:
	s_or_b64 exec, exec, s[18:19]
.LBB82_142:
	s_andn2_saveexec_b64 s[0:1], s[0:1]
	s_cbranch_execz .LBB82_144
; %bb.143:
	buffer_load_dword v96, off, s[24:27], 0 offset:176 ; 4-byte Folded Reload
	buffer_load_dword v97, off, s[24:27], 0 offset:180 ; 4-byte Folded Reload
	buffer_load_dword v98, off, s[24:27], 0 offset:184 ; 4-byte Folded Reload
	buffer_load_dword v99, off, s[24:27], 0 offset:188 ; 4-byte Folded Reload
	s_waitcnt vmcnt(0)
	ds_write2_b64 v94, v[96:97], v[98:99] offset0:14 offset1:15
	buffer_load_dword v96, off, s[24:27], 0 offset:160 ; 4-byte Folded Reload
	buffer_load_dword v97, off, s[24:27], 0 offset:164 ; 4-byte Folded Reload
	buffer_load_dword v98, off, s[24:27], 0 offset:168 ; 4-byte Folded Reload
	buffer_load_dword v99, off, s[24:27], 0 offset:172 ; 4-byte Folded Reload
	s_waitcnt vmcnt(0)
	ds_write2_b64 v94, v[96:97], v[98:99] offset0:16 offset1:17
	;; [unrolled: 6-line block ×11, first 2 shown]
	buffer_load_dword v96, off, s[24:27], 0 ; 4-byte Folded Reload
	buffer_load_dword v97, off, s[24:27], 0 offset:4 ; 4-byte Folded Reload
	buffer_load_dword v98, off, s[24:27], 0 offset:8 ; 4-byte Folded Reload
	buffer_load_dword v99, off, s[24:27], 0 offset:12 ; 4-byte Folded Reload
	s_waitcnt vmcnt(0)
	ds_write2_b64 v94, v[96:97], v[98:99] offset0:36 offset1:37
	ds_write2_b64 v94, v[85:86], v[87:88] offset0:38 offset1:39
	;; [unrolled: 1-line block ×24, first 2 shown]
	v_mov_b32_e32 v96, 6
.LBB82_144:
	s_or_b64 exec, exec, s[0:1]
	v_cmp_lt_i32_e32 vcc, 6, v96
	s_waitcnt vmcnt(0) lgkmcnt(0)
	s_barrier
	s_and_saveexec_b64 s[0:1], vcc
	s_cbranch_execz .LBB82_146
; %bb.145:
	buffer_load_dword v105, off, s[24:27], 0 offset:192 ; 4-byte Folded Reload
	buffer_load_dword v106, off, s[24:27], 0 offset:196 ; 4-byte Folded Reload
	;; [unrolled: 1-line block ×4, first 2 shown]
	s_waitcnt vmcnt(0)
	v_mul_f64 v[97:98], v[119:120], v[107:108]
	v_fma_f64 v[125:126], v[117:118], v[105:106], -v[97:98]
	v_mul_f64 v[97:98], v[117:118], v[107:108]
	v_fma_f64 v[107:108], v[119:120], v[105:106], v[97:98]
	ds_read2_b64 v[97:100], v94 offset0:14 offset1:15
	buffer_load_dword v103, off, s[24:27], 0 offset:176 ; 4-byte Folded Reload
	buffer_load_dword v104, off, s[24:27], 0 offset:180 ; 4-byte Folded Reload
	buffer_load_dword v105, off, s[24:27], 0 offset:184 ; 4-byte Folded Reload
	buffer_load_dword v106, off, s[24:27], 0 offset:188 ; 4-byte Folded Reload
	s_waitcnt lgkmcnt(0)
	v_mul_f64 v[101:102], v[99:100], v[107:108]
	v_fma_f64 v[101:102], v[97:98], v[125:126], -v[101:102]
	v_mul_f64 v[97:98], v[97:98], v[107:108]
	v_fma_f64 v[97:98], v[99:100], v[125:126], v[97:98]
	s_waitcnt vmcnt(2)
	v_add_f64 v[103:104], v[103:104], -v[101:102]
	s_waitcnt vmcnt(0)
	v_add_f64 v[105:106], v[105:106], -v[97:98]
	buffer_store_dword v103, off, s[24:27], 0 offset:176 ; 4-byte Folded Spill
	s_nop 0
	buffer_store_dword v104, off, s[24:27], 0 offset:180 ; 4-byte Folded Spill
	buffer_store_dword v105, off, s[24:27], 0 offset:184 ; 4-byte Folded Spill
	buffer_store_dword v106, off, s[24:27], 0 offset:188 ; 4-byte Folded Spill
	ds_read2_b64 v[97:100], v94 offset0:16 offset1:17
	buffer_load_dword v103, off, s[24:27], 0 offset:160 ; 4-byte Folded Reload
	buffer_load_dword v104, off, s[24:27], 0 offset:164 ; 4-byte Folded Reload
	buffer_load_dword v105, off, s[24:27], 0 offset:168 ; 4-byte Folded Reload
	buffer_load_dword v106, off, s[24:27], 0 offset:172 ; 4-byte Folded Reload
	s_waitcnt lgkmcnt(0)
	v_mul_f64 v[101:102], v[99:100], v[107:108]
	v_fma_f64 v[101:102], v[97:98], v[125:126], -v[101:102]
	v_mul_f64 v[97:98], v[97:98], v[107:108]
	v_fma_f64 v[97:98], v[99:100], v[125:126], v[97:98]
	s_waitcnt vmcnt(2)
	v_add_f64 v[103:104], v[103:104], -v[101:102]
	s_waitcnt vmcnt(0)
	v_add_f64 v[105:106], v[105:106], -v[97:98]
	buffer_store_dword v103, off, s[24:27], 0 offset:160 ; 4-byte Folded Spill
	s_nop 0
	buffer_store_dword v104, off, s[24:27], 0 offset:164 ; 4-byte Folded Spill
	buffer_store_dword v105, off, s[24:27], 0 offset:168 ; 4-byte Folded Spill
	buffer_store_dword v106, off, s[24:27], 0 offset:172 ; 4-byte Folded Spill
	;; [unrolled: 19-line block ×11, first 2 shown]
	ds_read2_b64 v[97:100], v94 offset0:36 offset1:37
	buffer_load_dword v103, off, s[24:27], 0 ; 4-byte Folded Reload
	buffer_load_dword v104, off, s[24:27], 0 offset:4 ; 4-byte Folded Reload
	buffer_load_dword v105, off, s[24:27], 0 offset:8 ; 4-byte Folded Reload
	;; [unrolled: 1-line block ×3, first 2 shown]
	s_waitcnt lgkmcnt(0)
	v_mul_f64 v[101:102], v[99:100], v[107:108]
	v_fma_f64 v[101:102], v[97:98], v[125:126], -v[101:102]
	v_mul_f64 v[97:98], v[97:98], v[107:108]
	v_fma_f64 v[97:98], v[99:100], v[125:126], v[97:98]
	s_waitcnt vmcnt(2)
	v_add_f64 v[103:104], v[103:104], -v[101:102]
	s_waitcnt vmcnt(0)
	v_add_f64 v[105:106], v[105:106], -v[97:98]
	buffer_store_dword v103, off, s[24:27], 0 ; 4-byte Folded Spill
	s_nop 0
	buffer_store_dword v104, off, s[24:27], 0 offset:4 ; 4-byte Folded Spill
	buffer_store_dword v105, off, s[24:27], 0 offset:8 ; 4-byte Folded Spill
	;; [unrolled: 1-line block ×3, first 2 shown]
	ds_read2_b64 v[97:100], v94 offset0:38 offset1:39
	v_mov_b32_e32 v105, v125
	v_mov_b32_e32 v106, v126
	s_waitcnt lgkmcnt(0)
	v_mul_f64 v[101:102], v[99:100], v[107:108]
	v_fma_f64 v[101:102], v[97:98], v[125:126], -v[101:102]
	v_mul_f64 v[97:98], v[97:98], v[107:108]
	v_add_f64 v[85:86], v[85:86], -v[101:102]
	v_fma_f64 v[97:98], v[99:100], v[125:126], v[97:98]
	v_add_f64 v[87:88], v[87:88], -v[97:98]
	ds_read2_b64 v[97:100], v94 offset0:40 offset1:41
	s_waitcnt lgkmcnt(0)
	v_mul_f64 v[101:102], v[99:100], v[107:108]
	v_fma_f64 v[101:102], v[97:98], v[125:126], -v[101:102]
	v_mul_f64 v[97:98], v[97:98], v[107:108]
	v_add_f64 v[81:82], v[81:82], -v[101:102]
	v_fma_f64 v[97:98], v[99:100], v[125:126], v[97:98]
	v_add_f64 v[83:84], v[83:84], -v[97:98]
	ds_read2_b64 v[97:100], v94 offset0:42 offset1:43
	;; [unrolled: 8-line block ×22, first 2 shown]
	s_waitcnt lgkmcnt(0)
	v_mul_f64 v[101:102], v[99:100], v[107:108]
	v_fma_f64 v[101:102], v[97:98], v[125:126], -v[101:102]
	v_mul_f64 v[97:98], v[97:98], v[107:108]
	buffer_store_dword v105, off, s[24:27], 0 offset:192 ; 4-byte Folded Spill
	s_nop 0
	buffer_store_dword v106, off, s[24:27], 0 offset:196 ; 4-byte Folded Spill
	buffer_store_dword v107, off, s[24:27], 0 offset:200 ; 4-byte Folded Spill
	;; [unrolled: 1-line block ×3, first 2 shown]
	v_add_f64 v[121:122], v[121:122], -v[101:102]
	v_fma_f64 v[97:98], v[99:100], v[125:126], v[97:98]
	v_add_f64 v[123:124], v[123:124], -v[97:98]
.LBB82_146:
	s_or_b64 exec, exec, s[0:1]
	s_waitcnt vmcnt(0)
	s_barrier
	buffer_load_dword v98, off, s[24:27], 0 offset:176 ; 4-byte Folded Reload
	buffer_load_dword v99, off, s[24:27], 0 offset:180 ; 4-byte Folded Reload
	;; [unrolled: 1-line block ×4, first 2 shown]
	v_lshl_add_u32 v97, v96, 4, v94
	s_cmp_lt_i32 s3, 9
	s_waitcnt vmcnt(0)
	ds_write2_b64 v97, v[98:99], v[100:101] offset1:1
	s_waitcnt lgkmcnt(0)
	s_barrier
	ds_read2_b64 v[117:120], v94 offset0:14 offset1:15
	v_mov_b32_e32 v97, 7
	s_cbranch_scc1 .LBB82_149
; %bb.147:
	v_add_u32_e32 v98, 0x80, v94
	s_mov_b32 s0, 8
	v_mov_b32_e32 v97, 7
.LBB82_148:                             ; =>This Inner Loop Header: Depth=1
	s_waitcnt lgkmcnt(0)
	v_cmp_gt_f64_e32 vcc, 0, v[117:118]
	v_xor_b32_e32 v103, 0x80000000, v118
	ds_read2_b64 v[99:102], v98 offset1:1
	v_xor_b32_e32 v105, 0x80000000, v120
	v_add_u32_e32 v98, 16, v98
	s_waitcnt lgkmcnt(0)
	v_xor_b32_e32 v107, 0x80000000, v102
	v_cndmask_b32_e32 v104, v118, v103, vcc
	v_cmp_gt_f64_e32 vcc, 0, v[119:120]
	v_mov_b32_e32 v103, v117
	v_cndmask_b32_e32 v106, v120, v105, vcc
	v_cmp_gt_f64_e32 vcc, 0, v[99:100]
	v_mov_b32_e32 v105, v119
	v_add_f64 v[103:104], v[103:104], v[105:106]
	v_xor_b32_e32 v105, 0x80000000, v100
	v_cndmask_b32_e32 v106, v100, v105, vcc
	v_cmp_gt_f64_e32 vcc, 0, v[101:102]
	v_mov_b32_e32 v105, v99
	v_cndmask_b32_e32 v108, v102, v107, vcc
	v_mov_b32_e32 v107, v101
	v_add_f64 v[105:106], v[105:106], v[107:108]
	v_cmp_lt_f64_e32 vcc, v[103:104], v[105:106]
	v_cndmask_b32_e32 v117, v117, v99, vcc
	v_mov_b32_e32 v99, s0
	s_add_i32 s0, s0, 1
	v_cndmask_b32_e32 v118, v118, v100, vcc
	v_cndmask_b32_e32 v120, v120, v102, vcc
	;; [unrolled: 1-line block ×4, first 2 shown]
	s_cmp_lg_u32 s3, s0
	s_cbranch_scc1 .LBB82_148
.LBB82_149:
	s_waitcnt lgkmcnt(0)
	v_cmp_eq_f64_e32 vcc, 0, v[117:118]
	v_cmp_eq_f64_e64 s[0:1], 0, v[119:120]
	s_and_b64 s[0:1], vcc, s[0:1]
	s_and_saveexec_b64 s[18:19], s[0:1]
	s_xor_b64 s[0:1], exec, s[18:19]
; %bb.150:
	v_cmp_ne_u32_e32 vcc, 0, v95
	v_cndmask_b32_e32 v95, 8, v95, vcc
; %bb.151:
	s_andn2_saveexec_b64 s[0:1], s[0:1]
	s_cbranch_execz .LBB82_157
; %bb.152:
	v_cmp_ngt_f64_e64 s[18:19], |v[117:118]|, |v[119:120]|
	s_and_saveexec_b64 s[20:21], s[18:19]
	s_xor_b64 s[18:19], exec, s[20:21]
	s_cbranch_execz .LBB82_154
; %bb.153:
	v_div_scale_f64 v[98:99], s[20:21], v[119:120], v[119:120], v[117:118]
	v_rcp_f64_e32 v[100:101], v[98:99]
	v_fma_f64 v[102:103], -v[98:99], v[100:101], 1.0
	v_fma_f64 v[100:101], v[100:101], v[102:103], v[100:101]
	v_div_scale_f64 v[102:103], vcc, v[117:118], v[119:120], v[117:118]
	v_fma_f64 v[104:105], -v[98:99], v[100:101], 1.0
	v_fma_f64 v[100:101], v[100:101], v[104:105], v[100:101]
	v_mul_f64 v[104:105], v[102:103], v[100:101]
	v_fma_f64 v[98:99], -v[98:99], v[104:105], v[102:103]
	v_div_fmas_f64 v[98:99], v[98:99], v[100:101], v[104:105]
	v_div_fixup_f64 v[98:99], v[98:99], v[119:120], v[117:118]
	v_fma_f64 v[100:101], v[117:118], v[98:99], v[119:120]
	v_div_scale_f64 v[102:103], s[20:21], v[100:101], v[100:101], 1.0
	v_div_scale_f64 v[108:109], vcc, 1.0, v[100:101], 1.0
	v_rcp_f64_e32 v[104:105], v[102:103]
	v_fma_f64 v[106:107], -v[102:103], v[104:105], 1.0
	v_fma_f64 v[104:105], v[104:105], v[106:107], v[104:105]
	v_fma_f64 v[106:107], -v[102:103], v[104:105], 1.0
	v_fma_f64 v[104:105], v[104:105], v[106:107], v[104:105]
	v_mul_f64 v[106:107], v[108:109], v[104:105]
	v_fma_f64 v[102:103], -v[102:103], v[106:107], v[108:109]
	v_div_fmas_f64 v[102:103], v[102:103], v[104:105], v[106:107]
	v_div_fixup_f64 v[119:120], v[102:103], v[100:101], 1.0
	v_mul_f64 v[117:118], v[98:99], v[119:120]
	v_xor_b32_e32 v120, 0x80000000, v120
.LBB82_154:
	s_andn2_saveexec_b64 s[18:19], s[18:19]
	s_cbranch_execz .LBB82_156
; %bb.155:
	v_div_scale_f64 v[98:99], s[20:21], v[117:118], v[117:118], v[119:120]
	v_rcp_f64_e32 v[100:101], v[98:99]
	v_fma_f64 v[102:103], -v[98:99], v[100:101], 1.0
	v_fma_f64 v[100:101], v[100:101], v[102:103], v[100:101]
	v_div_scale_f64 v[102:103], vcc, v[119:120], v[117:118], v[119:120]
	v_fma_f64 v[104:105], -v[98:99], v[100:101], 1.0
	v_fma_f64 v[100:101], v[100:101], v[104:105], v[100:101]
	v_mul_f64 v[104:105], v[102:103], v[100:101]
	v_fma_f64 v[98:99], -v[98:99], v[104:105], v[102:103]
	v_div_fmas_f64 v[98:99], v[98:99], v[100:101], v[104:105]
	v_div_fixup_f64 v[98:99], v[98:99], v[117:118], v[119:120]
	v_fma_f64 v[100:101], v[119:120], v[98:99], v[117:118]
	v_div_scale_f64 v[102:103], s[20:21], v[100:101], v[100:101], 1.0
	v_div_scale_f64 v[108:109], vcc, 1.0, v[100:101], 1.0
	v_rcp_f64_e32 v[104:105], v[102:103]
	v_fma_f64 v[106:107], -v[102:103], v[104:105], 1.0
	v_fma_f64 v[104:105], v[104:105], v[106:107], v[104:105]
	v_fma_f64 v[106:107], -v[102:103], v[104:105], 1.0
	v_fma_f64 v[104:105], v[104:105], v[106:107], v[104:105]
	v_mul_f64 v[106:107], v[108:109], v[104:105]
	v_fma_f64 v[102:103], -v[102:103], v[106:107], v[108:109]
	v_div_fmas_f64 v[102:103], v[102:103], v[104:105], v[106:107]
	v_div_fixup_f64 v[117:118], v[102:103], v[100:101], 1.0
	v_mul_f64 v[119:120], v[98:99], -v[117:118]
.LBB82_156:
	s_or_b64 exec, exec, s[18:19]
.LBB82_157:
	s_or_b64 exec, exec, s[0:1]
	v_cmp_ne_u32_e32 vcc, v96, v97
	s_and_saveexec_b64 s[0:1], vcc
	s_xor_b64 s[0:1], exec, s[0:1]
	s_cbranch_execz .LBB82_163
; %bb.158:
	v_cmp_eq_u32_e32 vcc, 7, v96
	s_and_saveexec_b64 s[18:19], vcc
	s_cbranch_execz .LBB82_162
; %bb.159:
	v_cmp_ne_u32_e32 vcc, 7, v97
	s_xor_b64 s[20:21], s[6:7], -1
	s_and_b64 s[22:23], s[20:21], vcc
	s_and_saveexec_b64 s[20:21], s[22:23]
	s_cbranch_execz .LBB82_161
; %bb.160:
	v_ashrrev_i32_e32 v98, 31, v97
	v_lshlrev_b64 v[98:99], 2, v[97:98]
	v_add_co_u32_e32 v98, vcc, v91, v98
	v_addc_co_u32_e32 v99, vcc, v92, v99, vcc
	global_load_dword v0, v[98:99], off
	global_load_dword v96, v[91:92], off offset:28
	s_waitcnt vmcnt(1)
	global_store_dword v[91:92], v0, off offset:28
	s_waitcnt vmcnt(1)
	global_store_dword v[98:99], v96, off
.LBB82_161:
	s_or_b64 exec, exec, s[20:21]
	v_mov_b32_e32 v96, v97
	v_mov_b32_e32 v0, v97
.LBB82_162:
	s_or_b64 exec, exec, s[18:19]
.LBB82_163:
	s_andn2_saveexec_b64 s[0:1], s[0:1]
	s_cbranch_execz .LBB82_165
; %bb.164:
	buffer_load_dword v96, off, s[24:27], 0 offset:160 ; 4-byte Folded Reload
	buffer_load_dword v97, off, s[24:27], 0 offset:164 ; 4-byte Folded Reload
	buffer_load_dword v98, off, s[24:27], 0 offset:168 ; 4-byte Folded Reload
	buffer_load_dword v99, off, s[24:27], 0 offset:172 ; 4-byte Folded Reload
	s_waitcnt vmcnt(0)
	ds_write2_b64 v94, v[96:97], v[98:99] offset0:16 offset1:17
	buffer_load_dword v96, off, s[24:27], 0 offset:144 ; 4-byte Folded Reload
	buffer_load_dword v97, off, s[24:27], 0 offset:148 ; 4-byte Folded Reload
	buffer_load_dword v98, off, s[24:27], 0 offset:152 ; 4-byte Folded Reload
	buffer_load_dword v99, off, s[24:27], 0 offset:156 ; 4-byte Folded Reload
	s_waitcnt vmcnt(0)
	ds_write2_b64 v94, v[96:97], v[98:99] offset0:18 offset1:19
	;; [unrolled: 6-line block ×10, first 2 shown]
	buffer_load_dword v96, off, s[24:27], 0 ; 4-byte Folded Reload
	buffer_load_dword v97, off, s[24:27], 0 offset:4 ; 4-byte Folded Reload
	buffer_load_dword v98, off, s[24:27], 0 offset:8 ; 4-byte Folded Reload
	;; [unrolled: 1-line block ×3, first 2 shown]
	s_waitcnt vmcnt(0)
	ds_write2_b64 v94, v[96:97], v[98:99] offset0:36 offset1:37
	ds_write2_b64 v94, v[85:86], v[87:88] offset0:38 offset1:39
	;; [unrolled: 1-line block ×24, first 2 shown]
	v_mov_b32_e32 v96, 7
.LBB82_165:
	s_or_b64 exec, exec, s[0:1]
	v_cmp_lt_i32_e32 vcc, 7, v96
	s_waitcnt vmcnt(0) lgkmcnt(0)
	s_barrier
	s_and_saveexec_b64 s[0:1], vcc
	s_cbranch_execz .LBB82_167
; %bb.166:
	buffer_load_dword v105, off, s[24:27], 0 offset:176 ; 4-byte Folded Reload
	buffer_load_dword v106, off, s[24:27], 0 offset:180 ; 4-byte Folded Reload
	;; [unrolled: 1-line block ×4, first 2 shown]
	s_waitcnt vmcnt(0)
	v_mul_f64 v[97:98], v[119:120], v[107:108]
	v_fma_f64 v[125:126], v[117:118], v[105:106], -v[97:98]
	v_mul_f64 v[97:98], v[117:118], v[107:108]
	v_fma_f64 v[107:108], v[119:120], v[105:106], v[97:98]
	ds_read2_b64 v[97:100], v94 offset0:16 offset1:17
	buffer_load_dword v103, off, s[24:27], 0 offset:160 ; 4-byte Folded Reload
	buffer_load_dword v104, off, s[24:27], 0 offset:164 ; 4-byte Folded Reload
	buffer_load_dword v105, off, s[24:27], 0 offset:168 ; 4-byte Folded Reload
	buffer_load_dword v106, off, s[24:27], 0 offset:172 ; 4-byte Folded Reload
	s_waitcnt lgkmcnt(0)
	v_mul_f64 v[101:102], v[99:100], v[107:108]
	v_fma_f64 v[101:102], v[97:98], v[125:126], -v[101:102]
	v_mul_f64 v[97:98], v[97:98], v[107:108]
	v_fma_f64 v[97:98], v[99:100], v[125:126], v[97:98]
	s_waitcnt vmcnt(2)
	v_add_f64 v[103:104], v[103:104], -v[101:102]
	s_waitcnt vmcnt(0)
	v_add_f64 v[105:106], v[105:106], -v[97:98]
	buffer_store_dword v103, off, s[24:27], 0 offset:160 ; 4-byte Folded Spill
	s_nop 0
	buffer_store_dword v104, off, s[24:27], 0 offset:164 ; 4-byte Folded Spill
	buffer_store_dword v105, off, s[24:27], 0 offset:168 ; 4-byte Folded Spill
	buffer_store_dword v106, off, s[24:27], 0 offset:172 ; 4-byte Folded Spill
	ds_read2_b64 v[97:100], v94 offset0:18 offset1:19
	buffer_load_dword v103, off, s[24:27], 0 offset:144 ; 4-byte Folded Reload
	buffer_load_dword v104, off, s[24:27], 0 offset:148 ; 4-byte Folded Reload
	buffer_load_dword v105, off, s[24:27], 0 offset:152 ; 4-byte Folded Reload
	buffer_load_dword v106, off, s[24:27], 0 offset:156 ; 4-byte Folded Reload
	s_waitcnt lgkmcnt(0)
	v_mul_f64 v[101:102], v[99:100], v[107:108]
	v_fma_f64 v[101:102], v[97:98], v[125:126], -v[101:102]
	v_mul_f64 v[97:98], v[97:98], v[107:108]
	v_fma_f64 v[97:98], v[99:100], v[125:126], v[97:98]
	s_waitcnt vmcnt(2)
	v_add_f64 v[103:104], v[103:104], -v[101:102]
	s_waitcnt vmcnt(0)
	v_add_f64 v[105:106], v[105:106], -v[97:98]
	buffer_store_dword v103, off, s[24:27], 0 offset:144 ; 4-byte Folded Spill
	s_nop 0
	buffer_store_dword v104, off, s[24:27], 0 offset:148 ; 4-byte Folded Spill
	buffer_store_dword v105, off, s[24:27], 0 offset:152 ; 4-byte Folded Spill
	buffer_store_dword v106, off, s[24:27], 0 offset:156 ; 4-byte Folded Spill
	;; [unrolled: 19-line block ×10, first 2 shown]
	ds_read2_b64 v[97:100], v94 offset0:36 offset1:37
	buffer_load_dword v103, off, s[24:27], 0 ; 4-byte Folded Reload
	buffer_load_dword v104, off, s[24:27], 0 offset:4 ; 4-byte Folded Reload
	buffer_load_dword v105, off, s[24:27], 0 offset:8 ; 4-byte Folded Reload
	;; [unrolled: 1-line block ×3, first 2 shown]
	s_waitcnt lgkmcnt(0)
	v_mul_f64 v[101:102], v[99:100], v[107:108]
	v_fma_f64 v[101:102], v[97:98], v[125:126], -v[101:102]
	v_mul_f64 v[97:98], v[97:98], v[107:108]
	v_fma_f64 v[97:98], v[99:100], v[125:126], v[97:98]
	s_waitcnt vmcnt(2)
	v_add_f64 v[103:104], v[103:104], -v[101:102]
	s_waitcnt vmcnt(0)
	v_add_f64 v[105:106], v[105:106], -v[97:98]
	buffer_store_dword v103, off, s[24:27], 0 ; 4-byte Folded Spill
	s_nop 0
	buffer_store_dword v104, off, s[24:27], 0 offset:4 ; 4-byte Folded Spill
	buffer_store_dword v105, off, s[24:27], 0 offset:8 ; 4-byte Folded Spill
	;; [unrolled: 1-line block ×3, first 2 shown]
	ds_read2_b64 v[97:100], v94 offset0:38 offset1:39
	v_mov_b32_e32 v105, v125
	v_mov_b32_e32 v106, v126
	s_waitcnt lgkmcnt(0)
	v_mul_f64 v[101:102], v[99:100], v[107:108]
	v_fma_f64 v[101:102], v[97:98], v[125:126], -v[101:102]
	v_mul_f64 v[97:98], v[97:98], v[107:108]
	v_add_f64 v[85:86], v[85:86], -v[101:102]
	v_fma_f64 v[97:98], v[99:100], v[125:126], v[97:98]
	v_add_f64 v[87:88], v[87:88], -v[97:98]
	ds_read2_b64 v[97:100], v94 offset0:40 offset1:41
	s_waitcnt lgkmcnt(0)
	v_mul_f64 v[101:102], v[99:100], v[107:108]
	v_fma_f64 v[101:102], v[97:98], v[125:126], -v[101:102]
	v_mul_f64 v[97:98], v[97:98], v[107:108]
	v_add_f64 v[81:82], v[81:82], -v[101:102]
	v_fma_f64 v[97:98], v[99:100], v[125:126], v[97:98]
	v_add_f64 v[83:84], v[83:84], -v[97:98]
	ds_read2_b64 v[97:100], v94 offset0:42 offset1:43
	;; [unrolled: 8-line block ×22, first 2 shown]
	s_waitcnt lgkmcnt(0)
	v_mul_f64 v[101:102], v[99:100], v[107:108]
	v_fma_f64 v[101:102], v[97:98], v[125:126], -v[101:102]
	v_mul_f64 v[97:98], v[97:98], v[107:108]
	buffer_store_dword v105, off, s[24:27], 0 offset:176 ; 4-byte Folded Spill
	s_nop 0
	buffer_store_dword v106, off, s[24:27], 0 offset:180 ; 4-byte Folded Spill
	buffer_store_dword v107, off, s[24:27], 0 offset:184 ; 4-byte Folded Spill
	;; [unrolled: 1-line block ×3, first 2 shown]
	v_add_f64 v[121:122], v[121:122], -v[101:102]
	v_fma_f64 v[97:98], v[99:100], v[125:126], v[97:98]
	v_add_f64 v[123:124], v[123:124], -v[97:98]
.LBB82_167:
	s_or_b64 exec, exec, s[0:1]
	s_waitcnt vmcnt(0)
	s_barrier
	buffer_load_dword v98, off, s[24:27], 0 offset:160 ; 4-byte Folded Reload
	buffer_load_dword v99, off, s[24:27], 0 offset:164 ; 4-byte Folded Reload
	;; [unrolled: 1-line block ×4, first 2 shown]
	v_lshl_add_u32 v97, v96, 4, v94
	s_cmp_lt_i32 s3, 10
	s_waitcnt vmcnt(0)
	ds_write2_b64 v97, v[98:99], v[100:101] offset1:1
	s_waitcnt lgkmcnt(0)
	s_barrier
	ds_read2_b64 v[117:120], v94 offset0:16 offset1:17
	v_mov_b32_e32 v97, 8
	s_cbranch_scc1 .LBB82_170
; %bb.168:
	v_add_u32_e32 v98, 0x90, v94
	s_mov_b32 s0, 9
	v_mov_b32_e32 v97, 8
.LBB82_169:                             ; =>This Inner Loop Header: Depth=1
	s_waitcnt lgkmcnt(0)
	v_cmp_gt_f64_e32 vcc, 0, v[117:118]
	v_xor_b32_e32 v103, 0x80000000, v118
	ds_read2_b64 v[99:102], v98 offset1:1
	v_xor_b32_e32 v105, 0x80000000, v120
	v_add_u32_e32 v98, 16, v98
	s_waitcnt lgkmcnt(0)
	v_xor_b32_e32 v107, 0x80000000, v102
	v_cndmask_b32_e32 v104, v118, v103, vcc
	v_cmp_gt_f64_e32 vcc, 0, v[119:120]
	v_mov_b32_e32 v103, v117
	v_cndmask_b32_e32 v106, v120, v105, vcc
	v_cmp_gt_f64_e32 vcc, 0, v[99:100]
	v_mov_b32_e32 v105, v119
	v_add_f64 v[103:104], v[103:104], v[105:106]
	v_xor_b32_e32 v105, 0x80000000, v100
	v_cndmask_b32_e32 v106, v100, v105, vcc
	v_cmp_gt_f64_e32 vcc, 0, v[101:102]
	v_mov_b32_e32 v105, v99
	v_cndmask_b32_e32 v108, v102, v107, vcc
	v_mov_b32_e32 v107, v101
	v_add_f64 v[105:106], v[105:106], v[107:108]
	v_cmp_lt_f64_e32 vcc, v[103:104], v[105:106]
	v_cndmask_b32_e32 v117, v117, v99, vcc
	v_mov_b32_e32 v99, s0
	s_add_i32 s0, s0, 1
	v_cndmask_b32_e32 v118, v118, v100, vcc
	v_cndmask_b32_e32 v120, v120, v102, vcc
	;; [unrolled: 1-line block ×4, first 2 shown]
	s_cmp_lg_u32 s3, s0
	s_cbranch_scc1 .LBB82_169
.LBB82_170:
	s_waitcnt lgkmcnt(0)
	v_cmp_eq_f64_e32 vcc, 0, v[117:118]
	v_cmp_eq_f64_e64 s[0:1], 0, v[119:120]
	s_and_b64 s[0:1], vcc, s[0:1]
	s_and_saveexec_b64 s[18:19], s[0:1]
	s_xor_b64 s[0:1], exec, s[18:19]
; %bb.171:
	v_cmp_ne_u32_e32 vcc, 0, v95
	v_cndmask_b32_e32 v95, 9, v95, vcc
; %bb.172:
	s_andn2_saveexec_b64 s[0:1], s[0:1]
	s_cbranch_execz .LBB82_178
; %bb.173:
	v_cmp_ngt_f64_e64 s[18:19], |v[117:118]|, |v[119:120]|
	s_and_saveexec_b64 s[20:21], s[18:19]
	s_xor_b64 s[18:19], exec, s[20:21]
	s_cbranch_execz .LBB82_175
; %bb.174:
	v_div_scale_f64 v[98:99], s[20:21], v[119:120], v[119:120], v[117:118]
	v_rcp_f64_e32 v[100:101], v[98:99]
	v_fma_f64 v[102:103], -v[98:99], v[100:101], 1.0
	v_fma_f64 v[100:101], v[100:101], v[102:103], v[100:101]
	v_div_scale_f64 v[102:103], vcc, v[117:118], v[119:120], v[117:118]
	v_fma_f64 v[104:105], -v[98:99], v[100:101], 1.0
	v_fma_f64 v[100:101], v[100:101], v[104:105], v[100:101]
	v_mul_f64 v[104:105], v[102:103], v[100:101]
	v_fma_f64 v[98:99], -v[98:99], v[104:105], v[102:103]
	v_div_fmas_f64 v[98:99], v[98:99], v[100:101], v[104:105]
	v_div_fixup_f64 v[98:99], v[98:99], v[119:120], v[117:118]
	v_fma_f64 v[100:101], v[117:118], v[98:99], v[119:120]
	v_div_scale_f64 v[102:103], s[20:21], v[100:101], v[100:101], 1.0
	v_div_scale_f64 v[108:109], vcc, 1.0, v[100:101], 1.0
	v_rcp_f64_e32 v[104:105], v[102:103]
	v_fma_f64 v[106:107], -v[102:103], v[104:105], 1.0
	v_fma_f64 v[104:105], v[104:105], v[106:107], v[104:105]
	v_fma_f64 v[106:107], -v[102:103], v[104:105], 1.0
	v_fma_f64 v[104:105], v[104:105], v[106:107], v[104:105]
	v_mul_f64 v[106:107], v[108:109], v[104:105]
	v_fma_f64 v[102:103], -v[102:103], v[106:107], v[108:109]
	v_div_fmas_f64 v[102:103], v[102:103], v[104:105], v[106:107]
	v_div_fixup_f64 v[119:120], v[102:103], v[100:101], 1.0
	v_mul_f64 v[117:118], v[98:99], v[119:120]
	v_xor_b32_e32 v120, 0x80000000, v120
.LBB82_175:
	s_andn2_saveexec_b64 s[18:19], s[18:19]
	s_cbranch_execz .LBB82_177
; %bb.176:
	v_div_scale_f64 v[98:99], s[20:21], v[117:118], v[117:118], v[119:120]
	v_rcp_f64_e32 v[100:101], v[98:99]
	v_fma_f64 v[102:103], -v[98:99], v[100:101], 1.0
	v_fma_f64 v[100:101], v[100:101], v[102:103], v[100:101]
	v_div_scale_f64 v[102:103], vcc, v[119:120], v[117:118], v[119:120]
	v_fma_f64 v[104:105], -v[98:99], v[100:101], 1.0
	v_fma_f64 v[100:101], v[100:101], v[104:105], v[100:101]
	v_mul_f64 v[104:105], v[102:103], v[100:101]
	v_fma_f64 v[98:99], -v[98:99], v[104:105], v[102:103]
	v_div_fmas_f64 v[98:99], v[98:99], v[100:101], v[104:105]
	v_div_fixup_f64 v[98:99], v[98:99], v[117:118], v[119:120]
	v_fma_f64 v[100:101], v[119:120], v[98:99], v[117:118]
	v_div_scale_f64 v[102:103], s[20:21], v[100:101], v[100:101], 1.0
	v_div_scale_f64 v[108:109], vcc, 1.0, v[100:101], 1.0
	v_rcp_f64_e32 v[104:105], v[102:103]
	v_fma_f64 v[106:107], -v[102:103], v[104:105], 1.0
	v_fma_f64 v[104:105], v[104:105], v[106:107], v[104:105]
	v_fma_f64 v[106:107], -v[102:103], v[104:105], 1.0
	v_fma_f64 v[104:105], v[104:105], v[106:107], v[104:105]
	v_mul_f64 v[106:107], v[108:109], v[104:105]
	v_fma_f64 v[102:103], -v[102:103], v[106:107], v[108:109]
	v_div_fmas_f64 v[102:103], v[102:103], v[104:105], v[106:107]
	v_div_fixup_f64 v[117:118], v[102:103], v[100:101], 1.0
	v_mul_f64 v[119:120], v[98:99], -v[117:118]
.LBB82_177:
	s_or_b64 exec, exec, s[18:19]
.LBB82_178:
	s_or_b64 exec, exec, s[0:1]
	v_cmp_ne_u32_e32 vcc, v96, v97
	s_and_saveexec_b64 s[0:1], vcc
	s_xor_b64 s[0:1], exec, s[0:1]
	s_cbranch_execz .LBB82_184
; %bb.179:
	v_cmp_eq_u32_e32 vcc, 8, v96
	s_and_saveexec_b64 s[18:19], vcc
	s_cbranch_execz .LBB82_183
; %bb.180:
	v_cmp_ne_u32_e32 vcc, 8, v97
	s_xor_b64 s[20:21], s[6:7], -1
	s_and_b64 s[22:23], s[20:21], vcc
	s_and_saveexec_b64 s[20:21], s[22:23]
	s_cbranch_execz .LBB82_182
; %bb.181:
	v_ashrrev_i32_e32 v98, 31, v97
	v_lshlrev_b64 v[98:99], 2, v[97:98]
	v_add_co_u32_e32 v98, vcc, v91, v98
	v_addc_co_u32_e32 v99, vcc, v92, v99, vcc
	global_load_dword v0, v[98:99], off
	global_load_dword v96, v[91:92], off offset:32
	s_waitcnt vmcnt(1)
	global_store_dword v[91:92], v0, off offset:32
	s_waitcnt vmcnt(1)
	global_store_dword v[98:99], v96, off
.LBB82_182:
	s_or_b64 exec, exec, s[20:21]
	v_mov_b32_e32 v96, v97
	v_mov_b32_e32 v0, v97
.LBB82_183:
	s_or_b64 exec, exec, s[18:19]
.LBB82_184:
	s_andn2_saveexec_b64 s[0:1], s[0:1]
	s_cbranch_execz .LBB82_186
; %bb.185:
	buffer_load_dword v96, off, s[24:27], 0 offset:144 ; 4-byte Folded Reload
	buffer_load_dword v97, off, s[24:27], 0 offset:148 ; 4-byte Folded Reload
	buffer_load_dword v98, off, s[24:27], 0 offset:152 ; 4-byte Folded Reload
	buffer_load_dword v99, off, s[24:27], 0 offset:156 ; 4-byte Folded Reload
	s_waitcnt vmcnt(0)
	ds_write2_b64 v94, v[96:97], v[98:99] offset0:18 offset1:19
	buffer_load_dword v96, off, s[24:27], 0 offset:128 ; 4-byte Folded Reload
	buffer_load_dword v97, off, s[24:27], 0 offset:132 ; 4-byte Folded Reload
	buffer_load_dword v98, off, s[24:27], 0 offset:136 ; 4-byte Folded Reload
	buffer_load_dword v99, off, s[24:27], 0 offset:140 ; 4-byte Folded Reload
	s_waitcnt vmcnt(0)
	ds_write2_b64 v94, v[96:97], v[98:99] offset0:20 offset1:21
	;; [unrolled: 6-line block ×9, first 2 shown]
	buffer_load_dword v96, off, s[24:27], 0 ; 4-byte Folded Reload
	buffer_load_dword v97, off, s[24:27], 0 offset:4 ; 4-byte Folded Reload
	buffer_load_dword v98, off, s[24:27], 0 offset:8 ; 4-byte Folded Reload
	;; [unrolled: 1-line block ×3, first 2 shown]
	s_waitcnt vmcnt(0)
	ds_write2_b64 v94, v[96:97], v[98:99] offset0:36 offset1:37
	ds_write2_b64 v94, v[85:86], v[87:88] offset0:38 offset1:39
	;; [unrolled: 1-line block ×24, first 2 shown]
	v_mov_b32_e32 v96, 8
.LBB82_186:
	s_or_b64 exec, exec, s[0:1]
	v_cmp_lt_i32_e32 vcc, 8, v96
	s_waitcnt vmcnt(0) lgkmcnt(0)
	s_barrier
	s_and_saveexec_b64 s[0:1], vcc
	s_cbranch_execz .LBB82_188
; %bb.187:
	buffer_load_dword v105, off, s[24:27], 0 offset:160 ; 4-byte Folded Reload
	buffer_load_dword v106, off, s[24:27], 0 offset:164 ; 4-byte Folded Reload
	;; [unrolled: 1-line block ×4, first 2 shown]
	s_waitcnt vmcnt(0)
	v_mul_f64 v[97:98], v[119:120], v[107:108]
	v_fma_f64 v[125:126], v[117:118], v[105:106], -v[97:98]
	v_mul_f64 v[97:98], v[117:118], v[107:108]
	v_fma_f64 v[107:108], v[119:120], v[105:106], v[97:98]
	ds_read2_b64 v[97:100], v94 offset0:18 offset1:19
	buffer_load_dword v103, off, s[24:27], 0 offset:144 ; 4-byte Folded Reload
	buffer_load_dword v104, off, s[24:27], 0 offset:148 ; 4-byte Folded Reload
	buffer_load_dword v105, off, s[24:27], 0 offset:152 ; 4-byte Folded Reload
	buffer_load_dword v106, off, s[24:27], 0 offset:156 ; 4-byte Folded Reload
	s_waitcnt lgkmcnt(0)
	v_mul_f64 v[101:102], v[99:100], v[107:108]
	v_fma_f64 v[101:102], v[97:98], v[125:126], -v[101:102]
	v_mul_f64 v[97:98], v[97:98], v[107:108]
	v_fma_f64 v[97:98], v[99:100], v[125:126], v[97:98]
	s_waitcnt vmcnt(2)
	v_add_f64 v[103:104], v[103:104], -v[101:102]
	s_waitcnt vmcnt(0)
	v_add_f64 v[105:106], v[105:106], -v[97:98]
	buffer_store_dword v103, off, s[24:27], 0 offset:144 ; 4-byte Folded Spill
	s_nop 0
	buffer_store_dword v104, off, s[24:27], 0 offset:148 ; 4-byte Folded Spill
	buffer_store_dword v105, off, s[24:27], 0 offset:152 ; 4-byte Folded Spill
	buffer_store_dword v106, off, s[24:27], 0 offset:156 ; 4-byte Folded Spill
	ds_read2_b64 v[97:100], v94 offset0:20 offset1:21
	buffer_load_dword v103, off, s[24:27], 0 offset:128 ; 4-byte Folded Reload
	buffer_load_dword v104, off, s[24:27], 0 offset:132 ; 4-byte Folded Reload
	buffer_load_dword v105, off, s[24:27], 0 offset:136 ; 4-byte Folded Reload
	buffer_load_dword v106, off, s[24:27], 0 offset:140 ; 4-byte Folded Reload
	s_waitcnt lgkmcnt(0)
	v_mul_f64 v[101:102], v[99:100], v[107:108]
	v_fma_f64 v[101:102], v[97:98], v[125:126], -v[101:102]
	v_mul_f64 v[97:98], v[97:98], v[107:108]
	v_fma_f64 v[97:98], v[99:100], v[125:126], v[97:98]
	s_waitcnt vmcnt(2)
	v_add_f64 v[103:104], v[103:104], -v[101:102]
	s_waitcnt vmcnt(0)
	v_add_f64 v[105:106], v[105:106], -v[97:98]
	buffer_store_dword v103, off, s[24:27], 0 offset:128 ; 4-byte Folded Spill
	s_nop 0
	buffer_store_dword v104, off, s[24:27], 0 offset:132 ; 4-byte Folded Spill
	buffer_store_dword v105, off, s[24:27], 0 offset:136 ; 4-byte Folded Spill
	buffer_store_dword v106, off, s[24:27], 0 offset:140 ; 4-byte Folded Spill
	;; [unrolled: 19-line block ×9, first 2 shown]
	ds_read2_b64 v[97:100], v94 offset0:36 offset1:37
	buffer_load_dword v103, off, s[24:27], 0 ; 4-byte Folded Reload
	buffer_load_dword v104, off, s[24:27], 0 offset:4 ; 4-byte Folded Reload
	buffer_load_dword v105, off, s[24:27], 0 offset:8 ; 4-byte Folded Reload
	;; [unrolled: 1-line block ×3, first 2 shown]
	s_waitcnt lgkmcnt(0)
	v_mul_f64 v[101:102], v[99:100], v[107:108]
	v_fma_f64 v[101:102], v[97:98], v[125:126], -v[101:102]
	v_mul_f64 v[97:98], v[97:98], v[107:108]
	v_fma_f64 v[97:98], v[99:100], v[125:126], v[97:98]
	s_waitcnt vmcnt(2)
	v_add_f64 v[103:104], v[103:104], -v[101:102]
	s_waitcnt vmcnt(0)
	v_add_f64 v[105:106], v[105:106], -v[97:98]
	buffer_store_dword v103, off, s[24:27], 0 ; 4-byte Folded Spill
	s_nop 0
	buffer_store_dword v104, off, s[24:27], 0 offset:4 ; 4-byte Folded Spill
	buffer_store_dword v105, off, s[24:27], 0 offset:8 ; 4-byte Folded Spill
	;; [unrolled: 1-line block ×3, first 2 shown]
	ds_read2_b64 v[97:100], v94 offset0:38 offset1:39
	v_mov_b32_e32 v105, v125
	v_mov_b32_e32 v106, v126
	s_waitcnt lgkmcnt(0)
	v_mul_f64 v[101:102], v[99:100], v[107:108]
	v_fma_f64 v[101:102], v[97:98], v[125:126], -v[101:102]
	v_mul_f64 v[97:98], v[97:98], v[107:108]
	v_add_f64 v[85:86], v[85:86], -v[101:102]
	v_fma_f64 v[97:98], v[99:100], v[125:126], v[97:98]
	v_add_f64 v[87:88], v[87:88], -v[97:98]
	ds_read2_b64 v[97:100], v94 offset0:40 offset1:41
	s_waitcnt lgkmcnt(0)
	v_mul_f64 v[101:102], v[99:100], v[107:108]
	v_fma_f64 v[101:102], v[97:98], v[125:126], -v[101:102]
	v_mul_f64 v[97:98], v[97:98], v[107:108]
	v_add_f64 v[81:82], v[81:82], -v[101:102]
	v_fma_f64 v[97:98], v[99:100], v[125:126], v[97:98]
	v_add_f64 v[83:84], v[83:84], -v[97:98]
	ds_read2_b64 v[97:100], v94 offset0:42 offset1:43
	;; [unrolled: 8-line block ×22, first 2 shown]
	s_waitcnt lgkmcnt(0)
	v_mul_f64 v[101:102], v[99:100], v[107:108]
	v_fma_f64 v[101:102], v[97:98], v[125:126], -v[101:102]
	v_mul_f64 v[97:98], v[97:98], v[107:108]
	buffer_store_dword v105, off, s[24:27], 0 offset:160 ; 4-byte Folded Spill
	s_nop 0
	buffer_store_dword v106, off, s[24:27], 0 offset:164 ; 4-byte Folded Spill
	buffer_store_dword v107, off, s[24:27], 0 offset:168 ; 4-byte Folded Spill
	;; [unrolled: 1-line block ×3, first 2 shown]
	v_add_f64 v[121:122], v[121:122], -v[101:102]
	v_fma_f64 v[97:98], v[99:100], v[125:126], v[97:98]
	v_add_f64 v[123:124], v[123:124], -v[97:98]
.LBB82_188:
	s_or_b64 exec, exec, s[0:1]
	s_waitcnt vmcnt(0)
	s_barrier
	buffer_load_dword v98, off, s[24:27], 0 offset:144 ; 4-byte Folded Reload
	buffer_load_dword v99, off, s[24:27], 0 offset:148 ; 4-byte Folded Reload
	buffer_load_dword v100, off, s[24:27], 0 offset:152 ; 4-byte Folded Reload
	buffer_load_dword v101, off, s[24:27], 0 offset:156 ; 4-byte Folded Reload
	v_lshl_add_u32 v97, v96, 4, v94
	s_cmp_lt_i32 s3, 11
	s_waitcnt vmcnt(0)
	ds_write2_b64 v97, v[98:99], v[100:101] offset1:1
	s_waitcnt lgkmcnt(0)
	s_barrier
	ds_read2_b64 v[117:120], v94 offset0:18 offset1:19
	v_mov_b32_e32 v97, 9
	s_cbranch_scc1 .LBB82_191
; %bb.189:
	v_add_u32_e32 v98, 0xa0, v94
	s_mov_b32 s0, 10
	v_mov_b32_e32 v97, 9
.LBB82_190:                             ; =>This Inner Loop Header: Depth=1
	s_waitcnt lgkmcnt(0)
	v_cmp_gt_f64_e32 vcc, 0, v[117:118]
	v_xor_b32_e32 v103, 0x80000000, v118
	ds_read2_b64 v[99:102], v98 offset1:1
	v_xor_b32_e32 v105, 0x80000000, v120
	v_add_u32_e32 v98, 16, v98
	s_waitcnt lgkmcnt(0)
	v_xor_b32_e32 v107, 0x80000000, v102
	v_cndmask_b32_e32 v104, v118, v103, vcc
	v_cmp_gt_f64_e32 vcc, 0, v[119:120]
	v_mov_b32_e32 v103, v117
	v_cndmask_b32_e32 v106, v120, v105, vcc
	v_cmp_gt_f64_e32 vcc, 0, v[99:100]
	v_mov_b32_e32 v105, v119
	v_add_f64 v[103:104], v[103:104], v[105:106]
	v_xor_b32_e32 v105, 0x80000000, v100
	v_cndmask_b32_e32 v106, v100, v105, vcc
	v_cmp_gt_f64_e32 vcc, 0, v[101:102]
	v_mov_b32_e32 v105, v99
	v_cndmask_b32_e32 v108, v102, v107, vcc
	v_mov_b32_e32 v107, v101
	v_add_f64 v[105:106], v[105:106], v[107:108]
	v_cmp_lt_f64_e32 vcc, v[103:104], v[105:106]
	v_cndmask_b32_e32 v117, v117, v99, vcc
	v_mov_b32_e32 v99, s0
	s_add_i32 s0, s0, 1
	v_cndmask_b32_e32 v118, v118, v100, vcc
	v_cndmask_b32_e32 v120, v120, v102, vcc
	;; [unrolled: 1-line block ×4, first 2 shown]
	s_cmp_lg_u32 s3, s0
	s_cbranch_scc1 .LBB82_190
.LBB82_191:
	s_waitcnt lgkmcnt(0)
	v_cmp_eq_f64_e32 vcc, 0, v[117:118]
	v_cmp_eq_f64_e64 s[0:1], 0, v[119:120]
	s_and_b64 s[0:1], vcc, s[0:1]
	s_and_saveexec_b64 s[18:19], s[0:1]
	s_xor_b64 s[0:1], exec, s[18:19]
; %bb.192:
	v_cmp_ne_u32_e32 vcc, 0, v95
	v_cndmask_b32_e32 v95, 10, v95, vcc
; %bb.193:
	s_andn2_saveexec_b64 s[0:1], s[0:1]
	s_cbranch_execz .LBB82_199
; %bb.194:
	v_cmp_ngt_f64_e64 s[18:19], |v[117:118]|, |v[119:120]|
	s_and_saveexec_b64 s[20:21], s[18:19]
	s_xor_b64 s[18:19], exec, s[20:21]
	s_cbranch_execz .LBB82_196
; %bb.195:
	v_div_scale_f64 v[98:99], s[20:21], v[119:120], v[119:120], v[117:118]
	v_rcp_f64_e32 v[100:101], v[98:99]
	v_fma_f64 v[102:103], -v[98:99], v[100:101], 1.0
	v_fma_f64 v[100:101], v[100:101], v[102:103], v[100:101]
	v_div_scale_f64 v[102:103], vcc, v[117:118], v[119:120], v[117:118]
	v_fma_f64 v[104:105], -v[98:99], v[100:101], 1.0
	v_fma_f64 v[100:101], v[100:101], v[104:105], v[100:101]
	v_mul_f64 v[104:105], v[102:103], v[100:101]
	v_fma_f64 v[98:99], -v[98:99], v[104:105], v[102:103]
	v_div_fmas_f64 v[98:99], v[98:99], v[100:101], v[104:105]
	v_div_fixup_f64 v[98:99], v[98:99], v[119:120], v[117:118]
	v_fma_f64 v[100:101], v[117:118], v[98:99], v[119:120]
	v_div_scale_f64 v[102:103], s[20:21], v[100:101], v[100:101], 1.0
	v_div_scale_f64 v[108:109], vcc, 1.0, v[100:101], 1.0
	v_rcp_f64_e32 v[104:105], v[102:103]
	v_fma_f64 v[106:107], -v[102:103], v[104:105], 1.0
	v_fma_f64 v[104:105], v[104:105], v[106:107], v[104:105]
	v_fma_f64 v[106:107], -v[102:103], v[104:105], 1.0
	v_fma_f64 v[104:105], v[104:105], v[106:107], v[104:105]
	v_mul_f64 v[106:107], v[108:109], v[104:105]
	v_fma_f64 v[102:103], -v[102:103], v[106:107], v[108:109]
	v_div_fmas_f64 v[102:103], v[102:103], v[104:105], v[106:107]
	v_div_fixup_f64 v[119:120], v[102:103], v[100:101], 1.0
	v_mul_f64 v[117:118], v[98:99], v[119:120]
	v_xor_b32_e32 v120, 0x80000000, v120
.LBB82_196:
	s_andn2_saveexec_b64 s[18:19], s[18:19]
	s_cbranch_execz .LBB82_198
; %bb.197:
	v_div_scale_f64 v[98:99], s[20:21], v[117:118], v[117:118], v[119:120]
	v_rcp_f64_e32 v[100:101], v[98:99]
	v_fma_f64 v[102:103], -v[98:99], v[100:101], 1.0
	v_fma_f64 v[100:101], v[100:101], v[102:103], v[100:101]
	v_div_scale_f64 v[102:103], vcc, v[119:120], v[117:118], v[119:120]
	v_fma_f64 v[104:105], -v[98:99], v[100:101], 1.0
	v_fma_f64 v[100:101], v[100:101], v[104:105], v[100:101]
	v_mul_f64 v[104:105], v[102:103], v[100:101]
	v_fma_f64 v[98:99], -v[98:99], v[104:105], v[102:103]
	v_div_fmas_f64 v[98:99], v[98:99], v[100:101], v[104:105]
	v_div_fixup_f64 v[98:99], v[98:99], v[117:118], v[119:120]
	v_fma_f64 v[100:101], v[119:120], v[98:99], v[117:118]
	v_div_scale_f64 v[102:103], s[20:21], v[100:101], v[100:101], 1.0
	v_div_scale_f64 v[108:109], vcc, 1.0, v[100:101], 1.0
	v_rcp_f64_e32 v[104:105], v[102:103]
	v_fma_f64 v[106:107], -v[102:103], v[104:105], 1.0
	v_fma_f64 v[104:105], v[104:105], v[106:107], v[104:105]
	v_fma_f64 v[106:107], -v[102:103], v[104:105], 1.0
	v_fma_f64 v[104:105], v[104:105], v[106:107], v[104:105]
	v_mul_f64 v[106:107], v[108:109], v[104:105]
	v_fma_f64 v[102:103], -v[102:103], v[106:107], v[108:109]
	v_div_fmas_f64 v[102:103], v[102:103], v[104:105], v[106:107]
	v_div_fixup_f64 v[117:118], v[102:103], v[100:101], 1.0
	v_mul_f64 v[119:120], v[98:99], -v[117:118]
.LBB82_198:
	s_or_b64 exec, exec, s[18:19]
.LBB82_199:
	s_or_b64 exec, exec, s[0:1]
	v_cmp_ne_u32_e32 vcc, v96, v97
	s_and_saveexec_b64 s[0:1], vcc
	s_xor_b64 s[0:1], exec, s[0:1]
	s_cbranch_execz .LBB82_205
; %bb.200:
	v_cmp_eq_u32_e32 vcc, 9, v96
	s_and_saveexec_b64 s[18:19], vcc
	s_cbranch_execz .LBB82_204
; %bb.201:
	v_cmp_ne_u32_e32 vcc, 9, v97
	s_xor_b64 s[20:21], s[6:7], -1
	s_and_b64 s[22:23], s[20:21], vcc
	s_and_saveexec_b64 s[20:21], s[22:23]
	s_cbranch_execz .LBB82_203
; %bb.202:
	v_ashrrev_i32_e32 v98, 31, v97
	v_lshlrev_b64 v[98:99], 2, v[97:98]
	v_add_co_u32_e32 v98, vcc, v91, v98
	v_addc_co_u32_e32 v99, vcc, v92, v99, vcc
	global_load_dword v0, v[98:99], off
	global_load_dword v96, v[91:92], off offset:36
	s_waitcnt vmcnt(1)
	global_store_dword v[91:92], v0, off offset:36
	s_waitcnt vmcnt(1)
	global_store_dword v[98:99], v96, off
.LBB82_203:
	s_or_b64 exec, exec, s[20:21]
	v_mov_b32_e32 v96, v97
	v_mov_b32_e32 v0, v97
.LBB82_204:
	s_or_b64 exec, exec, s[18:19]
.LBB82_205:
	s_andn2_saveexec_b64 s[0:1], s[0:1]
	s_cbranch_execz .LBB82_207
; %bb.206:
	buffer_load_dword v96, off, s[24:27], 0 offset:128 ; 4-byte Folded Reload
	buffer_load_dword v97, off, s[24:27], 0 offset:132 ; 4-byte Folded Reload
	buffer_load_dword v98, off, s[24:27], 0 offset:136 ; 4-byte Folded Reload
	buffer_load_dword v99, off, s[24:27], 0 offset:140 ; 4-byte Folded Reload
	s_waitcnt vmcnt(0)
	ds_write2_b64 v94, v[96:97], v[98:99] offset0:20 offset1:21
	buffer_load_dword v96, off, s[24:27], 0 offset:112 ; 4-byte Folded Reload
	buffer_load_dword v97, off, s[24:27], 0 offset:116 ; 4-byte Folded Reload
	buffer_load_dword v98, off, s[24:27], 0 offset:120 ; 4-byte Folded Reload
	buffer_load_dword v99, off, s[24:27], 0 offset:124 ; 4-byte Folded Reload
	s_waitcnt vmcnt(0)
	ds_write2_b64 v94, v[96:97], v[98:99] offset0:22 offset1:23
	;; [unrolled: 6-line block ×8, first 2 shown]
	buffer_load_dword v96, off, s[24:27], 0 ; 4-byte Folded Reload
	buffer_load_dword v97, off, s[24:27], 0 offset:4 ; 4-byte Folded Reload
	buffer_load_dword v98, off, s[24:27], 0 offset:8 ; 4-byte Folded Reload
	;; [unrolled: 1-line block ×3, first 2 shown]
	s_waitcnt vmcnt(0)
	ds_write2_b64 v94, v[96:97], v[98:99] offset0:36 offset1:37
	ds_write2_b64 v94, v[85:86], v[87:88] offset0:38 offset1:39
	;; [unrolled: 1-line block ×24, first 2 shown]
	v_mov_b32_e32 v96, 9
.LBB82_207:
	s_or_b64 exec, exec, s[0:1]
	v_cmp_lt_i32_e32 vcc, 9, v96
	s_waitcnt vmcnt(0) lgkmcnt(0)
	s_barrier
	s_and_saveexec_b64 s[0:1], vcc
	s_cbranch_execz .LBB82_209
; %bb.208:
	buffer_load_dword v105, off, s[24:27], 0 offset:144 ; 4-byte Folded Reload
	buffer_load_dword v106, off, s[24:27], 0 offset:148 ; 4-byte Folded Reload
	;; [unrolled: 1-line block ×4, first 2 shown]
	s_waitcnt vmcnt(0)
	v_mul_f64 v[97:98], v[119:120], v[107:108]
	v_fma_f64 v[125:126], v[117:118], v[105:106], -v[97:98]
	v_mul_f64 v[97:98], v[117:118], v[107:108]
	v_fma_f64 v[107:108], v[119:120], v[105:106], v[97:98]
	ds_read2_b64 v[97:100], v94 offset0:20 offset1:21
	buffer_load_dword v103, off, s[24:27], 0 offset:128 ; 4-byte Folded Reload
	buffer_load_dword v104, off, s[24:27], 0 offset:132 ; 4-byte Folded Reload
	buffer_load_dword v105, off, s[24:27], 0 offset:136 ; 4-byte Folded Reload
	buffer_load_dword v106, off, s[24:27], 0 offset:140 ; 4-byte Folded Reload
	s_waitcnt lgkmcnt(0)
	v_mul_f64 v[101:102], v[99:100], v[107:108]
	v_fma_f64 v[101:102], v[97:98], v[125:126], -v[101:102]
	v_mul_f64 v[97:98], v[97:98], v[107:108]
	v_fma_f64 v[97:98], v[99:100], v[125:126], v[97:98]
	s_waitcnt vmcnt(2)
	v_add_f64 v[103:104], v[103:104], -v[101:102]
	s_waitcnt vmcnt(0)
	v_add_f64 v[105:106], v[105:106], -v[97:98]
	buffer_store_dword v103, off, s[24:27], 0 offset:128 ; 4-byte Folded Spill
	s_nop 0
	buffer_store_dword v104, off, s[24:27], 0 offset:132 ; 4-byte Folded Spill
	buffer_store_dword v105, off, s[24:27], 0 offset:136 ; 4-byte Folded Spill
	buffer_store_dword v106, off, s[24:27], 0 offset:140 ; 4-byte Folded Spill
	ds_read2_b64 v[97:100], v94 offset0:22 offset1:23
	buffer_load_dword v103, off, s[24:27], 0 offset:112 ; 4-byte Folded Reload
	buffer_load_dword v104, off, s[24:27], 0 offset:116 ; 4-byte Folded Reload
	buffer_load_dword v105, off, s[24:27], 0 offset:120 ; 4-byte Folded Reload
	buffer_load_dword v106, off, s[24:27], 0 offset:124 ; 4-byte Folded Reload
	s_waitcnt lgkmcnt(0)
	v_mul_f64 v[101:102], v[99:100], v[107:108]
	v_fma_f64 v[101:102], v[97:98], v[125:126], -v[101:102]
	v_mul_f64 v[97:98], v[97:98], v[107:108]
	v_fma_f64 v[97:98], v[99:100], v[125:126], v[97:98]
	s_waitcnt vmcnt(2)
	v_add_f64 v[103:104], v[103:104], -v[101:102]
	s_waitcnt vmcnt(0)
	v_add_f64 v[105:106], v[105:106], -v[97:98]
	buffer_store_dword v103, off, s[24:27], 0 offset:112 ; 4-byte Folded Spill
	s_nop 0
	buffer_store_dword v104, off, s[24:27], 0 offset:116 ; 4-byte Folded Spill
	buffer_store_dword v105, off, s[24:27], 0 offset:120 ; 4-byte Folded Spill
	buffer_store_dword v106, off, s[24:27], 0 offset:124 ; 4-byte Folded Spill
	;; [unrolled: 19-line block ×8, first 2 shown]
	ds_read2_b64 v[97:100], v94 offset0:36 offset1:37
	buffer_load_dword v103, off, s[24:27], 0 ; 4-byte Folded Reload
	buffer_load_dword v104, off, s[24:27], 0 offset:4 ; 4-byte Folded Reload
	buffer_load_dword v105, off, s[24:27], 0 offset:8 ; 4-byte Folded Reload
	;; [unrolled: 1-line block ×3, first 2 shown]
	s_waitcnt lgkmcnt(0)
	v_mul_f64 v[101:102], v[99:100], v[107:108]
	v_fma_f64 v[101:102], v[97:98], v[125:126], -v[101:102]
	v_mul_f64 v[97:98], v[97:98], v[107:108]
	v_fma_f64 v[97:98], v[99:100], v[125:126], v[97:98]
	s_waitcnt vmcnt(2)
	v_add_f64 v[103:104], v[103:104], -v[101:102]
	s_waitcnt vmcnt(0)
	v_add_f64 v[105:106], v[105:106], -v[97:98]
	buffer_store_dword v103, off, s[24:27], 0 ; 4-byte Folded Spill
	s_nop 0
	buffer_store_dword v104, off, s[24:27], 0 offset:4 ; 4-byte Folded Spill
	buffer_store_dword v105, off, s[24:27], 0 offset:8 ; 4-byte Folded Spill
	;; [unrolled: 1-line block ×3, first 2 shown]
	ds_read2_b64 v[97:100], v94 offset0:38 offset1:39
	v_mov_b32_e32 v105, v125
	v_mov_b32_e32 v106, v126
	s_waitcnt lgkmcnt(0)
	v_mul_f64 v[101:102], v[99:100], v[107:108]
	v_fma_f64 v[101:102], v[97:98], v[125:126], -v[101:102]
	v_mul_f64 v[97:98], v[97:98], v[107:108]
	v_add_f64 v[85:86], v[85:86], -v[101:102]
	v_fma_f64 v[97:98], v[99:100], v[125:126], v[97:98]
	v_add_f64 v[87:88], v[87:88], -v[97:98]
	ds_read2_b64 v[97:100], v94 offset0:40 offset1:41
	s_waitcnt lgkmcnt(0)
	v_mul_f64 v[101:102], v[99:100], v[107:108]
	v_fma_f64 v[101:102], v[97:98], v[125:126], -v[101:102]
	v_mul_f64 v[97:98], v[97:98], v[107:108]
	v_add_f64 v[81:82], v[81:82], -v[101:102]
	v_fma_f64 v[97:98], v[99:100], v[125:126], v[97:98]
	v_add_f64 v[83:84], v[83:84], -v[97:98]
	ds_read2_b64 v[97:100], v94 offset0:42 offset1:43
	;; [unrolled: 8-line block ×22, first 2 shown]
	s_waitcnt lgkmcnt(0)
	v_mul_f64 v[101:102], v[99:100], v[107:108]
	v_fma_f64 v[101:102], v[97:98], v[125:126], -v[101:102]
	v_mul_f64 v[97:98], v[97:98], v[107:108]
	buffer_store_dword v105, off, s[24:27], 0 offset:144 ; 4-byte Folded Spill
	s_nop 0
	buffer_store_dword v106, off, s[24:27], 0 offset:148 ; 4-byte Folded Spill
	buffer_store_dword v107, off, s[24:27], 0 offset:152 ; 4-byte Folded Spill
	buffer_store_dword v108, off, s[24:27], 0 offset:156 ; 4-byte Folded Spill
	v_add_f64 v[121:122], v[121:122], -v[101:102]
	v_fma_f64 v[97:98], v[99:100], v[125:126], v[97:98]
	v_add_f64 v[123:124], v[123:124], -v[97:98]
.LBB82_209:
	s_or_b64 exec, exec, s[0:1]
	s_waitcnt vmcnt(0)
	s_barrier
	buffer_load_dword v98, off, s[24:27], 0 offset:128 ; 4-byte Folded Reload
	buffer_load_dword v99, off, s[24:27], 0 offset:132 ; 4-byte Folded Reload
	;; [unrolled: 1-line block ×4, first 2 shown]
	v_lshl_add_u32 v97, v96, 4, v94
	s_cmp_lt_i32 s3, 12
	s_waitcnt vmcnt(0)
	ds_write2_b64 v97, v[98:99], v[100:101] offset1:1
	s_waitcnt lgkmcnt(0)
	s_barrier
	ds_read2_b64 v[117:120], v94 offset0:20 offset1:21
	v_mov_b32_e32 v97, 10
	s_cbranch_scc1 .LBB82_212
; %bb.210:
	v_add_u32_e32 v98, 0xb0, v94
	s_mov_b32 s0, 11
	v_mov_b32_e32 v97, 10
.LBB82_211:                             ; =>This Inner Loop Header: Depth=1
	s_waitcnt lgkmcnt(0)
	v_cmp_gt_f64_e32 vcc, 0, v[117:118]
	v_xor_b32_e32 v103, 0x80000000, v118
	ds_read2_b64 v[99:102], v98 offset1:1
	v_xor_b32_e32 v105, 0x80000000, v120
	v_add_u32_e32 v98, 16, v98
	s_waitcnt lgkmcnt(0)
	v_xor_b32_e32 v107, 0x80000000, v102
	v_cndmask_b32_e32 v104, v118, v103, vcc
	v_cmp_gt_f64_e32 vcc, 0, v[119:120]
	v_mov_b32_e32 v103, v117
	v_cndmask_b32_e32 v106, v120, v105, vcc
	v_cmp_gt_f64_e32 vcc, 0, v[99:100]
	v_mov_b32_e32 v105, v119
	v_add_f64 v[103:104], v[103:104], v[105:106]
	v_xor_b32_e32 v105, 0x80000000, v100
	v_cndmask_b32_e32 v106, v100, v105, vcc
	v_cmp_gt_f64_e32 vcc, 0, v[101:102]
	v_mov_b32_e32 v105, v99
	v_cndmask_b32_e32 v108, v102, v107, vcc
	v_mov_b32_e32 v107, v101
	v_add_f64 v[105:106], v[105:106], v[107:108]
	v_cmp_lt_f64_e32 vcc, v[103:104], v[105:106]
	v_cndmask_b32_e32 v117, v117, v99, vcc
	v_mov_b32_e32 v99, s0
	s_add_i32 s0, s0, 1
	v_cndmask_b32_e32 v118, v118, v100, vcc
	v_cndmask_b32_e32 v120, v120, v102, vcc
	;; [unrolled: 1-line block ×4, first 2 shown]
	s_cmp_lg_u32 s3, s0
	s_cbranch_scc1 .LBB82_211
.LBB82_212:
	s_waitcnt lgkmcnt(0)
	v_cmp_eq_f64_e32 vcc, 0, v[117:118]
	v_cmp_eq_f64_e64 s[0:1], 0, v[119:120]
	s_and_b64 s[0:1], vcc, s[0:1]
	s_and_saveexec_b64 s[18:19], s[0:1]
	s_xor_b64 s[0:1], exec, s[18:19]
; %bb.213:
	v_cmp_ne_u32_e32 vcc, 0, v95
	v_cndmask_b32_e32 v95, 11, v95, vcc
; %bb.214:
	s_andn2_saveexec_b64 s[0:1], s[0:1]
	s_cbranch_execz .LBB82_220
; %bb.215:
	v_cmp_ngt_f64_e64 s[18:19], |v[117:118]|, |v[119:120]|
	s_and_saveexec_b64 s[20:21], s[18:19]
	s_xor_b64 s[18:19], exec, s[20:21]
	s_cbranch_execz .LBB82_217
; %bb.216:
	v_div_scale_f64 v[98:99], s[20:21], v[119:120], v[119:120], v[117:118]
	v_rcp_f64_e32 v[100:101], v[98:99]
	v_fma_f64 v[102:103], -v[98:99], v[100:101], 1.0
	v_fma_f64 v[100:101], v[100:101], v[102:103], v[100:101]
	v_div_scale_f64 v[102:103], vcc, v[117:118], v[119:120], v[117:118]
	v_fma_f64 v[104:105], -v[98:99], v[100:101], 1.0
	v_fma_f64 v[100:101], v[100:101], v[104:105], v[100:101]
	v_mul_f64 v[104:105], v[102:103], v[100:101]
	v_fma_f64 v[98:99], -v[98:99], v[104:105], v[102:103]
	v_div_fmas_f64 v[98:99], v[98:99], v[100:101], v[104:105]
	v_div_fixup_f64 v[98:99], v[98:99], v[119:120], v[117:118]
	v_fma_f64 v[100:101], v[117:118], v[98:99], v[119:120]
	v_div_scale_f64 v[102:103], s[20:21], v[100:101], v[100:101], 1.0
	v_div_scale_f64 v[108:109], vcc, 1.0, v[100:101], 1.0
	v_rcp_f64_e32 v[104:105], v[102:103]
	v_fma_f64 v[106:107], -v[102:103], v[104:105], 1.0
	v_fma_f64 v[104:105], v[104:105], v[106:107], v[104:105]
	v_fma_f64 v[106:107], -v[102:103], v[104:105], 1.0
	v_fma_f64 v[104:105], v[104:105], v[106:107], v[104:105]
	v_mul_f64 v[106:107], v[108:109], v[104:105]
	v_fma_f64 v[102:103], -v[102:103], v[106:107], v[108:109]
	v_div_fmas_f64 v[102:103], v[102:103], v[104:105], v[106:107]
	v_div_fixup_f64 v[119:120], v[102:103], v[100:101], 1.0
	v_mul_f64 v[117:118], v[98:99], v[119:120]
	v_xor_b32_e32 v120, 0x80000000, v120
.LBB82_217:
	s_andn2_saveexec_b64 s[18:19], s[18:19]
	s_cbranch_execz .LBB82_219
; %bb.218:
	v_div_scale_f64 v[98:99], s[20:21], v[117:118], v[117:118], v[119:120]
	v_rcp_f64_e32 v[100:101], v[98:99]
	v_fma_f64 v[102:103], -v[98:99], v[100:101], 1.0
	v_fma_f64 v[100:101], v[100:101], v[102:103], v[100:101]
	v_div_scale_f64 v[102:103], vcc, v[119:120], v[117:118], v[119:120]
	v_fma_f64 v[104:105], -v[98:99], v[100:101], 1.0
	v_fma_f64 v[100:101], v[100:101], v[104:105], v[100:101]
	v_mul_f64 v[104:105], v[102:103], v[100:101]
	v_fma_f64 v[98:99], -v[98:99], v[104:105], v[102:103]
	v_div_fmas_f64 v[98:99], v[98:99], v[100:101], v[104:105]
	v_div_fixup_f64 v[98:99], v[98:99], v[117:118], v[119:120]
	v_fma_f64 v[100:101], v[119:120], v[98:99], v[117:118]
	v_div_scale_f64 v[102:103], s[20:21], v[100:101], v[100:101], 1.0
	v_div_scale_f64 v[108:109], vcc, 1.0, v[100:101], 1.0
	v_rcp_f64_e32 v[104:105], v[102:103]
	v_fma_f64 v[106:107], -v[102:103], v[104:105], 1.0
	v_fma_f64 v[104:105], v[104:105], v[106:107], v[104:105]
	v_fma_f64 v[106:107], -v[102:103], v[104:105], 1.0
	v_fma_f64 v[104:105], v[104:105], v[106:107], v[104:105]
	v_mul_f64 v[106:107], v[108:109], v[104:105]
	v_fma_f64 v[102:103], -v[102:103], v[106:107], v[108:109]
	v_div_fmas_f64 v[102:103], v[102:103], v[104:105], v[106:107]
	v_div_fixup_f64 v[117:118], v[102:103], v[100:101], 1.0
	v_mul_f64 v[119:120], v[98:99], -v[117:118]
.LBB82_219:
	s_or_b64 exec, exec, s[18:19]
.LBB82_220:
	s_or_b64 exec, exec, s[0:1]
	v_cmp_ne_u32_e32 vcc, v96, v97
	s_and_saveexec_b64 s[0:1], vcc
	s_xor_b64 s[0:1], exec, s[0:1]
	s_cbranch_execz .LBB82_226
; %bb.221:
	v_cmp_eq_u32_e32 vcc, 10, v96
	s_and_saveexec_b64 s[18:19], vcc
	s_cbranch_execz .LBB82_225
; %bb.222:
	v_cmp_ne_u32_e32 vcc, 10, v97
	s_xor_b64 s[20:21], s[6:7], -1
	s_and_b64 s[22:23], s[20:21], vcc
	s_and_saveexec_b64 s[20:21], s[22:23]
	s_cbranch_execz .LBB82_224
; %bb.223:
	v_ashrrev_i32_e32 v98, 31, v97
	v_lshlrev_b64 v[98:99], 2, v[97:98]
	v_add_co_u32_e32 v98, vcc, v91, v98
	v_addc_co_u32_e32 v99, vcc, v92, v99, vcc
	global_load_dword v0, v[98:99], off
	global_load_dword v96, v[91:92], off offset:40
	s_waitcnt vmcnt(1)
	global_store_dword v[91:92], v0, off offset:40
	s_waitcnt vmcnt(1)
	global_store_dword v[98:99], v96, off
.LBB82_224:
	s_or_b64 exec, exec, s[20:21]
	v_mov_b32_e32 v96, v97
	v_mov_b32_e32 v0, v97
.LBB82_225:
	s_or_b64 exec, exec, s[18:19]
.LBB82_226:
	s_andn2_saveexec_b64 s[0:1], s[0:1]
	s_cbranch_execz .LBB82_228
; %bb.227:
	buffer_load_dword v96, off, s[24:27], 0 offset:112 ; 4-byte Folded Reload
	buffer_load_dword v97, off, s[24:27], 0 offset:116 ; 4-byte Folded Reload
	buffer_load_dword v98, off, s[24:27], 0 offset:120 ; 4-byte Folded Reload
	buffer_load_dword v99, off, s[24:27], 0 offset:124 ; 4-byte Folded Reload
	s_waitcnt vmcnt(0)
	ds_write2_b64 v94, v[96:97], v[98:99] offset0:22 offset1:23
	buffer_load_dword v96, off, s[24:27], 0 offset:96 ; 4-byte Folded Reload
	buffer_load_dword v97, off, s[24:27], 0 offset:100 ; 4-byte Folded Reload
	buffer_load_dword v98, off, s[24:27], 0 offset:104 ; 4-byte Folded Reload
	buffer_load_dword v99, off, s[24:27], 0 offset:108 ; 4-byte Folded Reload
	s_waitcnt vmcnt(0)
	ds_write2_b64 v94, v[96:97], v[98:99] offset0:24 offset1:25
	buffer_load_dword v96, off, s[24:27], 0 offset:80 ; 4-byte Folded Reload
	buffer_load_dword v97, off, s[24:27], 0 offset:84 ; 4-byte Folded Reload
	buffer_load_dword v98, off, s[24:27], 0 offset:88 ; 4-byte Folded Reload
	buffer_load_dword v99, off, s[24:27], 0 offset:92 ; 4-byte Folded Reload
	s_waitcnt vmcnt(0)
	ds_write2_b64 v94, v[96:97], v[98:99] offset0:26 offset1:27
	buffer_load_dword v96, off, s[24:27], 0 offset:64 ; 4-byte Folded Reload
	buffer_load_dword v97, off, s[24:27], 0 offset:68 ; 4-byte Folded Reload
	buffer_load_dword v98, off, s[24:27], 0 offset:72 ; 4-byte Folded Reload
	buffer_load_dword v99, off, s[24:27], 0 offset:76 ; 4-byte Folded Reload
	s_waitcnt vmcnt(0)
	ds_write2_b64 v94, v[96:97], v[98:99] offset0:28 offset1:29
	buffer_load_dword v96, off, s[24:27], 0 offset:48 ; 4-byte Folded Reload
	buffer_load_dword v97, off, s[24:27], 0 offset:52 ; 4-byte Folded Reload
	buffer_load_dword v98, off, s[24:27], 0 offset:56 ; 4-byte Folded Reload
	buffer_load_dword v99, off, s[24:27], 0 offset:60 ; 4-byte Folded Reload
	s_waitcnt vmcnt(0)
	ds_write2_b64 v94, v[96:97], v[98:99] offset0:30 offset1:31
	buffer_load_dword v96, off, s[24:27], 0 offset:32 ; 4-byte Folded Reload
	buffer_load_dword v97, off, s[24:27], 0 offset:36 ; 4-byte Folded Reload
	buffer_load_dword v98, off, s[24:27], 0 offset:40 ; 4-byte Folded Reload
	buffer_load_dword v99, off, s[24:27], 0 offset:44 ; 4-byte Folded Reload
	s_waitcnt vmcnt(0)
	ds_write2_b64 v94, v[96:97], v[98:99] offset0:32 offset1:33
	buffer_load_dword v96, off, s[24:27], 0 offset:16 ; 4-byte Folded Reload
	buffer_load_dword v97, off, s[24:27], 0 offset:20 ; 4-byte Folded Reload
	buffer_load_dword v98, off, s[24:27], 0 offset:24 ; 4-byte Folded Reload
	buffer_load_dword v99, off, s[24:27], 0 offset:28 ; 4-byte Folded Reload
	s_waitcnt vmcnt(0)
	ds_write2_b64 v94, v[96:97], v[98:99] offset0:34 offset1:35
	buffer_load_dword v96, off, s[24:27], 0 ; 4-byte Folded Reload
	buffer_load_dword v97, off, s[24:27], 0 offset:4 ; 4-byte Folded Reload
	buffer_load_dword v98, off, s[24:27], 0 offset:8 ; 4-byte Folded Reload
	;; [unrolled: 1-line block ×3, first 2 shown]
	s_waitcnt vmcnt(0)
	ds_write2_b64 v94, v[96:97], v[98:99] offset0:36 offset1:37
	ds_write2_b64 v94, v[85:86], v[87:88] offset0:38 offset1:39
	ds_write2_b64 v94, v[81:82], v[83:84] offset0:40 offset1:41
	ds_write2_b64 v94, v[77:78], v[79:80] offset0:42 offset1:43
	ds_write2_b64 v94, v[73:74], v[75:76] offset0:44 offset1:45
	ds_write2_b64 v94, v[69:70], v[71:72] offset0:46 offset1:47
	ds_write2_b64 v94, v[65:66], v[67:68] offset0:48 offset1:49
	ds_write2_b64 v94, v[61:62], v[63:64] offset0:50 offset1:51
	ds_write2_b64 v94, v[57:58], v[59:60] offset0:52 offset1:53
	ds_write2_b64 v94, v[53:54], v[55:56] offset0:54 offset1:55
	ds_write2_b64 v94, v[49:50], v[51:52] offset0:56 offset1:57
	ds_write2_b64 v94, v[45:46], v[47:48] offset0:58 offset1:59
	ds_write2_b64 v94, v[41:42], v[43:44] offset0:60 offset1:61
	ds_write2_b64 v94, v[37:38], v[39:40] offset0:62 offset1:63
	ds_write2_b64 v94, v[33:34], v[35:36] offset0:64 offset1:65
	ds_write2_b64 v94, v[29:30], v[31:32] offset0:66 offset1:67
	ds_write2_b64 v94, v[25:26], v[27:28] offset0:68 offset1:69
	ds_write2_b64 v94, v[21:22], v[23:24] offset0:70 offset1:71
	ds_write2_b64 v94, v[17:18], v[19:20] offset0:72 offset1:73
	ds_write2_b64 v94, v[13:14], v[15:16] offset0:74 offset1:75
	ds_write2_b64 v94, v[9:10], v[11:12] offset0:76 offset1:77
	ds_write2_b64 v94, v[5:6], v[7:8] offset0:78 offset1:79
	ds_write2_b64 v94, v[1:2], v[3:4] offset0:80 offset1:81
	ds_write2_b64 v94, v[121:122], v[123:124] offset0:82 offset1:83
	v_mov_b32_e32 v96, 10
.LBB82_228:
	s_or_b64 exec, exec, s[0:1]
	v_cmp_lt_i32_e32 vcc, 10, v96
	s_waitcnt vmcnt(0) lgkmcnt(0)
	s_barrier
	s_and_saveexec_b64 s[0:1], vcc
	s_cbranch_execz .LBB82_230
; %bb.229:
	buffer_load_dword v105, off, s[24:27], 0 offset:128 ; 4-byte Folded Reload
	buffer_load_dword v106, off, s[24:27], 0 offset:132 ; 4-byte Folded Reload
	buffer_load_dword v107, off, s[24:27], 0 offset:136 ; 4-byte Folded Reload
	buffer_load_dword v108, off, s[24:27], 0 offset:140 ; 4-byte Folded Reload
	s_waitcnt vmcnt(0)
	v_mul_f64 v[97:98], v[119:120], v[107:108]
	v_fma_f64 v[125:126], v[117:118], v[105:106], -v[97:98]
	v_mul_f64 v[97:98], v[117:118], v[107:108]
	v_fma_f64 v[107:108], v[119:120], v[105:106], v[97:98]
	ds_read2_b64 v[97:100], v94 offset0:22 offset1:23
	buffer_load_dword v103, off, s[24:27], 0 offset:112 ; 4-byte Folded Reload
	buffer_load_dword v104, off, s[24:27], 0 offset:116 ; 4-byte Folded Reload
	buffer_load_dword v105, off, s[24:27], 0 offset:120 ; 4-byte Folded Reload
	buffer_load_dword v106, off, s[24:27], 0 offset:124 ; 4-byte Folded Reload
	s_waitcnt lgkmcnt(0)
	v_mul_f64 v[101:102], v[99:100], v[107:108]
	v_fma_f64 v[101:102], v[97:98], v[125:126], -v[101:102]
	v_mul_f64 v[97:98], v[97:98], v[107:108]
	v_fma_f64 v[97:98], v[99:100], v[125:126], v[97:98]
	s_waitcnt vmcnt(2)
	v_add_f64 v[103:104], v[103:104], -v[101:102]
	s_waitcnt vmcnt(0)
	v_add_f64 v[105:106], v[105:106], -v[97:98]
	buffer_store_dword v103, off, s[24:27], 0 offset:112 ; 4-byte Folded Spill
	s_nop 0
	buffer_store_dword v104, off, s[24:27], 0 offset:116 ; 4-byte Folded Spill
	buffer_store_dword v105, off, s[24:27], 0 offset:120 ; 4-byte Folded Spill
	buffer_store_dword v106, off, s[24:27], 0 offset:124 ; 4-byte Folded Spill
	ds_read2_b64 v[97:100], v94 offset0:24 offset1:25
	buffer_load_dword v103, off, s[24:27], 0 offset:96 ; 4-byte Folded Reload
	buffer_load_dword v104, off, s[24:27], 0 offset:100 ; 4-byte Folded Reload
	buffer_load_dword v105, off, s[24:27], 0 offset:104 ; 4-byte Folded Reload
	buffer_load_dword v106, off, s[24:27], 0 offset:108 ; 4-byte Folded Reload
	s_waitcnt lgkmcnt(0)
	v_mul_f64 v[101:102], v[99:100], v[107:108]
	v_fma_f64 v[101:102], v[97:98], v[125:126], -v[101:102]
	v_mul_f64 v[97:98], v[97:98], v[107:108]
	v_fma_f64 v[97:98], v[99:100], v[125:126], v[97:98]
	s_waitcnt vmcnt(2)
	v_add_f64 v[103:104], v[103:104], -v[101:102]
	s_waitcnt vmcnt(0)
	v_add_f64 v[105:106], v[105:106], -v[97:98]
	buffer_store_dword v103, off, s[24:27], 0 offset:96 ; 4-byte Folded Spill
	s_nop 0
	buffer_store_dword v104, off, s[24:27], 0 offset:100 ; 4-byte Folded Spill
	buffer_store_dword v105, off, s[24:27], 0 offset:104 ; 4-byte Folded Spill
	buffer_store_dword v106, off, s[24:27], 0 offset:108 ; 4-byte Folded Spill
	ds_read2_b64 v[97:100], v94 offset0:26 offset1:27
	buffer_load_dword v103, off, s[24:27], 0 offset:80 ; 4-byte Folded Reload
	buffer_load_dword v104, off, s[24:27], 0 offset:84 ; 4-byte Folded Reload
	buffer_load_dword v105, off, s[24:27], 0 offset:88 ; 4-byte Folded Reload
	buffer_load_dword v106, off, s[24:27], 0 offset:92 ; 4-byte Folded Reload
	s_waitcnt lgkmcnt(0)
	v_mul_f64 v[101:102], v[99:100], v[107:108]
	v_fma_f64 v[101:102], v[97:98], v[125:126], -v[101:102]
	v_mul_f64 v[97:98], v[97:98], v[107:108]
	v_fma_f64 v[97:98], v[99:100], v[125:126], v[97:98]
	s_waitcnt vmcnt(2)
	v_add_f64 v[103:104], v[103:104], -v[101:102]
	s_waitcnt vmcnt(0)
	v_add_f64 v[105:106], v[105:106], -v[97:98]
	buffer_store_dword v103, off, s[24:27], 0 offset:80 ; 4-byte Folded Spill
	s_nop 0
	buffer_store_dword v104, off, s[24:27], 0 offset:84 ; 4-byte Folded Spill
	buffer_store_dword v105, off, s[24:27], 0 offset:88 ; 4-byte Folded Spill
	buffer_store_dword v106, off, s[24:27], 0 offset:92 ; 4-byte Folded Spill
	ds_read2_b64 v[97:100], v94 offset0:28 offset1:29
	buffer_load_dword v103, off, s[24:27], 0 offset:64 ; 4-byte Folded Reload
	buffer_load_dword v104, off, s[24:27], 0 offset:68 ; 4-byte Folded Reload
	buffer_load_dword v105, off, s[24:27], 0 offset:72 ; 4-byte Folded Reload
	buffer_load_dword v106, off, s[24:27], 0 offset:76 ; 4-byte Folded Reload
	s_waitcnt lgkmcnt(0)
	v_mul_f64 v[101:102], v[99:100], v[107:108]
	v_fma_f64 v[101:102], v[97:98], v[125:126], -v[101:102]
	v_mul_f64 v[97:98], v[97:98], v[107:108]
	v_fma_f64 v[97:98], v[99:100], v[125:126], v[97:98]
	s_waitcnt vmcnt(2)
	v_add_f64 v[103:104], v[103:104], -v[101:102]
	s_waitcnt vmcnt(0)
	v_add_f64 v[105:106], v[105:106], -v[97:98]
	buffer_store_dword v103, off, s[24:27], 0 offset:64 ; 4-byte Folded Spill
	s_nop 0
	buffer_store_dword v104, off, s[24:27], 0 offset:68 ; 4-byte Folded Spill
	buffer_store_dword v105, off, s[24:27], 0 offset:72 ; 4-byte Folded Spill
	buffer_store_dword v106, off, s[24:27], 0 offset:76 ; 4-byte Folded Spill
	ds_read2_b64 v[97:100], v94 offset0:30 offset1:31
	buffer_load_dword v103, off, s[24:27], 0 offset:48 ; 4-byte Folded Reload
	buffer_load_dword v104, off, s[24:27], 0 offset:52 ; 4-byte Folded Reload
	buffer_load_dword v105, off, s[24:27], 0 offset:56 ; 4-byte Folded Reload
	buffer_load_dword v106, off, s[24:27], 0 offset:60 ; 4-byte Folded Reload
	s_waitcnt lgkmcnt(0)
	v_mul_f64 v[101:102], v[99:100], v[107:108]
	v_fma_f64 v[101:102], v[97:98], v[125:126], -v[101:102]
	v_mul_f64 v[97:98], v[97:98], v[107:108]
	v_fma_f64 v[97:98], v[99:100], v[125:126], v[97:98]
	s_waitcnt vmcnt(2)
	v_add_f64 v[103:104], v[103:104], -v[101:102]
	s_waitcnt vmcnt(0)
	v_add_f64 v[105:106], v[105:106], -v[97:98]
	buffer_store_dword v103, off, s[24:27], 0 offset:48 ; 4-byte Folded Spill
	s_nop 0
	buffer_store_dword v104, off, s[24:27], 0 offset:52 ; 4-byte Folded Spill
	buffer_store_dword v105, off, s[24:27], 0 offset:56 ; 4-byte Folded Spill
	buffer_store_dword v106, off, s[24:27], 0 offset:60 ; 4-byte Folded Spill
	ds_read2_b64 v[97:100], v94 offset0:32 offset1:33
	buffer_load_dword v103, off, s[24:27], 0 offset:32 ; 4-byte Folded Reload
	buffer_load_dword v104, off, s[24:27], 0 offset:36 ; 4-byte Folded Reload
	buffer_load_dword v105, off, s[24:27], 0 offset:40 ; 4-byte Folded Reload
	buffer_load_dword v106, off, s[24:27], 0 offset:44 ; 4-byte Folded Reload
	s_waitcnt lgkmcnt(0)
	v_mul_f64 v[101:102], v[99:100], v[107:108]
	v_fma_f64 v[101:102], v[97:98], v[125:126], -v[101:102]
	v_mul_f64 v[97:98], v[97:98], v[107:108]
	v_fma_f64 v[97:98], v[99:100], v[125:126], v[97:98]
	s_waitcnt vmcnt(2)
	v_add_f64 v[103:104], v[103:104], -v[101:102]
	s_waitcnt vmcnt(0)
	v_add_f64 v[105:106], v[105:106], -v[97:98]
	buffer_store_dword v103, off, s[24:27], 0 offset:32 ; 4-byte Folded Spill
	s_nop 0
	buffer_store_dword v104, off, s[24:27], 0 offset:36 ; 4-byte Folded Spill
	buffer_store_dword v105, off, s[24:27], 0 offset:40 ; 4-byte Folded Spill
	buffer_store_dword v106, off, s[24:27], 0 offset:44 ; 4-byte Folded Spill
	ds_read2_b64 v[97:100], v94 offset0:34 offset1:35
	buffer_load_dword v103, off, s[24:27], 0 offset:16 ; 4-byte Folded Reload
	buffer_load_dword v104, off, s[24:27], 0 offset:20 ; 4-byte Folded Reload
	buffer_load_dword v105, off, s[24:27], 0 offset:24 ; 4-byte Folded Reload
	buffer_load_dword v106, off, s[24:27], 0 offset:28 ; 4-byte Folded Reload
	s_waitcnt lgkmcnt(0)
	v_mul_f64 v[101:102], v[99:100], v[107:108]
	v_fma_f64 v[101:102], v[97:98], v[125:126], -v[101:102]
	v_mul_f64 v[97:98], v[97:98], v[107:108]
	v_fma_f64 v[97:98], v[99:100], v[125:126], v[97:98]
	s_waitcnt vmcnt(2)
	v_add_f64 v[103:104], v[103:104], -v[101:102]
	s_waitcnt vmcnt(0)
	v_add_f64 v[105:106], v[105:106], -v[97:98]
	buffer_store_dword v103, off, s[24:27], 0 offset:16 ; 4-byte Folded Spill
	s_nop 0
	buffer_store_dword v104, off, s[24:27], 0 offset:20 ; 4-byte Folded Spill
	buffer_store_dword v105, off, s[24:27], 0 offset:24 ; 4-byte Folded Spill
	buffer_store_dword v106, off, s[24:27], 0 offset:28 ; 4-byte Folded Spill
	ds_read2_b64 v[97:100], v94 offset0:36 offset1:37
	buffer_load_dword v103, off, s[24:27], 0 ; 4-byte Folded Reload
	buffer_load_dword v104, off, s[24:27], 0 offset:4 ; 4-byte Folded Reload
	buffer_load_dword v105, off, s[24:27], 0 offset:8 ; 4-byte Folded Reload
	buffer_load_dword v106, off, s[24:27], 0 offset:12 ; 4-byte Folded Reload
	s_waitcnt lgkmcnt(0)
	v_mul_f64 v[101:102], v[99:100], v[107:108]
	v_fma_f64 v[101:102], v[97:98], v[125:126], -v[101:102]
	v_mul_f64 v[97:98], v[97:98], v[107:108]
	v_fma_f64 v[97:98], v[99:100], v[125:126], v[97:98]
	s_waitcnt vmcnt(2)
	v_add_f64 v[103:104], v[103:104], -v[101:102]
	s_waitcnt vmcnt(0)
	v_add_f64 v[105:106], v[105:106], -v[97:98]
	buffer_store_dword v103, off, s[24:27], 0 ; 4-byte Folded Spill
	s_nop 0
	buffer_store_dword v104, off, s[24:27], 0 offset:4 ; 4-byte Folded Spill
	buffer_store_dword v105, off, s[24:27], 0 offset:8 ; 4-byte Folded Spill
	;; [unrolled: 1-line block ×3, first 2 shown]
	ds_read2_b64 v[97:100], v94 offset0:38 offset1:39
	v_mov_b32_e32 v105, v125
	v_mov_b32_e32 v106, v126
	s_waitcnt lgkmcnt(0)
	v_mul_f64 v[101:102], v[99:100], v[107:108]
	v_fma_f64 v[101:102], v[97:98], v[125:126], -v[101:102]
	v_mul_f64 v[97:98], v[97:98], v[107:108]
	v_add_f64 v[85:86], v[85:86], -v[101:102]
	v_fma_f64 v[97:98], v[99:100], v[125:126], v[97:98]
	v_add_f64 v[87:88], v[87:88], -v[97:98]
	ds_read2_b64 v[97:100], v94 offset0:40 offset1:41
	s_waitcnt lgkmcnt(0)
	v_mul_f64 v[101:102], v[99:100], v[107:108]
	v_fma_f64 v[101:102], v[97:98], v[125:126], -v[101:102]
	v_mul_f64 v[97:98], v[97:98], v[107:108]
	v_add_f64 v[81:82], v[81:82], -v[101:102]
	v_fma_f64 v[97:98], v[99:100], v[125:126], v[97:98]
	v_add_f64 v[83:84], v[83:84], -v[97:98]
	ds_read2_b64 v[97:100], v94 offset0:42 offset1:43
	;; [unrolled: 8-line block ×22, first 2 shown]
	s_waitcnt lgkmcnt(0)
	v_mul_f64 v[101:102], v[99:100], v[107:108]
	v_fma_f64 v[101:102], v[97:98], v[125:126], -v[101:102]
	v_mul_f64 v[97:98], v[97:98], v[107:108]
	buffer_store_dword v105, off, s[24:27], 0 offset:128 ; 4-byte Folded Spill
	s_nop 0
	buffer_store_dword v106, off, s[24:27], 0 offset:132 ; 4-byte Folded Spill
	buffer_store_dword v107, off, s[24:27], 0 offset:136 ; 4-byte Folded Spill
	;; [unrolled: 1-line block ×3, first 2 shown]
	v_add_f64 v[121:122], v[121:122], -v[101:102]
	v_fma_f64 v[97:98], v[99:100], v[125:126], v[97:98]
	v_add_f64 v[123:124], v[123:124], -v[97:98]
.LBB82_230:
	s_or_b64 exec, exec, s[0:1]
	s_waitcnt vmcnt(0)
	s_barrier
	buffer_load_dword v98, off, s[24:27], 0 offset:112 ; 4-byte Folded Reload
	buffer_load_dword v99, off, s[24:27], 0 offset:116 ; 4-byte Folded Reload
	;; [unrolled: 1-line block ×4, first 2 shown]
	v_lshl_add_u32 v97, v96, 4, v94
	s_cmp_lt_i32 s3, 13
	s_waitcnt vmcnt(0)
	ds_write2_b64 v97, v[98:99], v[100:101] offset1:1
	s_waitcnt lgkmcnt(0)
	s_barrier
	ds_read2_b64 v[117:120], v94 offset0:22 offset1:23
	v_mov_b32_e32 v97, 11
	s_cbranch_scc1 .LBB82_233
; %bb.231:
	v_add_u32_e32 v98, 0xc0, v94
	s_mov_b32 s0, 12
	v_mov_b32_e32 v97, 11
.LBB82_232:                             ; =>This Inner Loop Header: Depth=1
	s_waitcnt lgkmcnt(0)
	v_cmp_gt_f64_e32 vcc, 0, v[117:118]
	v_xor_b32_e32 v103, 0x80000000, v118
	ds_read2_b64 v[99:102], v98 offset1:1
	v_xor_b32_e32 v105, 0x80000000, v120
	v_add_u32_e32 v98, 16, v98
	s_waitcnt lgkmcnt(0)
	v_xor_b32_e32 v107, 0x80000000, v102
	v_cndmask_b32_e32 v104, v118, v103, vcc
	v_cmp_gt_f64_e32 vcc, 0, v[119:120]
	v_mov_b32_e32 v103, v117
	v_cndmask_b32_e32 v106, v120, v105, vcc
	v_cmp_gt_f64_e32 vcc, 0, v[99:100]
	v_mov_b32_e32 v105, v119
	v_add_f64 v[103:104], v[103:104], v[105:106]
	v_xor_b32_e32 v105, 0x80000000, v100
	v_cndmask_b32_e32 v106, v100, v105, vcc
	v_cmp_gt_f64_e32 vcc, 0, v[101:102]
	v_mov_b32_e32 v105, v99
	v_cndmask_b32_e32 v108, v102, v107, vcc
	v_mov_b32_e32 v107, v101
	v_add_f64 v[105:106], v[105:106], v[107:108]
	v_cmp_lt_f64_e32 vcc, v[103:104], v[105:106]
	v_cndmask_b32_e32 v117, v117, v99, vcc
	v_mov_b32_e32 v99, s0
	s_add_i32 s0, s0, 1
	v_cndmask_b32_e32 v118, v118, v100, vcc
	v_cndmask_b32_e32 v120, v120, v102, vcc
	;; [unrolled: 1-line block ×4, first 2 shown]
	s_cmp_lg_u32 s3, s0
	s_cbranch_scc1 .LBB82_232
.LBB82_233:
	s_waitcnt lgkmcnt(0)
	v_cmp_eq_f64_e32 vcc, 0, v[117:118]
	v_cmp_eq_f64_e64 s[0:1], 0, v[119:120]
	s_and_b64 s[0:1], vcc, s[0:1]
	s_and_saveexec_b64 s[18:19], s[0:1]
	s_xor_b64 s[0:1], exec, s[18:19]
; %bb.234:
	v_cmp_ne_u32_e32 vcc, 0, v95
	v_cndmask_b32_e32 v95, 12, v95, vcc
; %bb.235:
	s_andn2_saveexec_b64 s[0:1], s[0:1]
	s_cbranch_execz .LBB82_241
; %bb.236:
	v_cmp_ngt_f64_e64 s[18:19], |v[117:118]|, |v[119:120]|
	s_and_saveexec_b64 s[20:21], s[18:19]
	s_xor_b64 s[18:19], exec, s[20:21]
	s_cbranch_execz .LBB82_238
; %bb.237:
	v_div_scale_f64 v[98:99], s[20:21], v[119:120], v[119:120], v[117:118]
	v_rcp_f64_e32 v[100:101], v[98:99]
	v_fma_f64 v[102:103], -v[98:99], v[100:101], 1.0
	v_fma_f64 v[100:101], v[100:101], v[102:103], v[100:101]
	v_div_scale_f64 v[102:103], vcc, v[117:118], v[119:120], v[117:118]
	v_fma_f64 v[104:105], -v[98:99], v[100:101], 1.0
	v_fma_f64 v[100:101], v[100:101], v[104:105], v[100:101]
	v_mul_f64 v[104:105], v[102:103], v[100:101]
	v_fma_f64 v[98:99], -v[98:99], v[104:105], v[102:103]
	v_div_fmas_f64 v[98:99], v[98:99], v[100:101], v[104:105]
	v_div_fixup_f64 v[98:99], v[98:99], v[119:120], v[117:118]
	v_fma_f64 v[100:101], v[117:118], v[98:99], v[119:120]
	v_div_scale_f64 v[102:103], s[20:21], v[100:101], v[100:101], 1.0
	v_div_scale_f64 v[108:109], vcc, 1.0, v[100:101], 1.0
	v_rcp_f64_e32 v[104:105], v[102:103]
	v_fma_f64 v[106:107], -v[102:103], v[104:105], 1.0
	v_fma_f64 v[104:105], v[104:105], v[106:107], v[104:105]
	v_fma_f64 v[106:107], -v[102:103], v[104:105], 1.0
	v_fma_f64 v[104:105], v[104:105], v[106:107], v[104:105]
	v_mul_f64 v[106:107], v[108:109], v[104:105]
	v_fma_f64 v[102:103], -v[102:103], v[106:107], v[108:109]
	v_div_fmas_f64 v[102:103], v[102:103], v[104:105], v[106:107]
	v_div_fixup_f64 v[119:120], v[102:103], v[100:101], 1.0
	v_mul_f64 v[117:118], v[98:99], v[119:120]
	v_xor_b32_e32 v120, 0x80000000, v120
.LBB82_238:
	s_andn2_saveexec_b64 s[18:19], s[18:19]
	s_cbranch_execz .LBB82_240
; %bb.239:
	v_div_scale_f64 v[98:99], s[20:21], v[117:118], v[117:118], v[119:120]
	v_rcp_f64_e32 v[100:101], v[98:99]
	v_fma_f64 v[102:103], -v[98:99], v[100:101], 1.0
	v_fma_f64 v[100:101], v[100:101], v[102:103], v[100:101]
	v_div_scale_f64 v[102:103], vcc, v[119:120], v[117:118], v[119:120]
	v_fma_f64 v[104:105], -v[98:99], v[100:101], 1.0
	v_fma_f64 v[100:101], v[100:101], v[104:105], v[100:101]
	v_mul_f64 v[104:105], v[102:103], v[100:101]
	v_fma_f64 v[98:99], -v[98:99], v[104:105], v[102:103]
	v_div_fmas_f64 v[98:99], v[98:99], v[100:101], v[104:105]
	v_div_fixup_f64 v[98:99], v[98:99], v[117:118], v[119:120]
	v_fma_f64 v[100:101], v[119:120], v[98:99], v[117:118]
	v_div_scale_f64 v[102:103], s[20:21], v[100:101], v[100:101], 1.0
	v_div_scale_f64 v[108:109], vcc, 1.0, v[100:101], 1.0
	v_rcp_f64_e32 v[104:105], v[102:103]
	v_fma_f64 v[106:107], -v[102:103], v[104:105], 1.0
	v_fma_f64 v[104:105], v[104:105], v[106:107], v[104:105]
	v_fma_f64 v[106:107], -v[102:103], v[104:105], 1.0
	v_fma_f64 v[104:105], v[104:105], v[106:107], v[104:105]
	v_mul_f64 v[106:107], v[108:109], v[104:105]
	v_fma_f64 v[102:103], -v[102:103], v[106:107], v[108:109]
	v_div_fmas_f64 v[102:103], v[102:103], v[104:105], v[106:107]
	v_div_fixup_f64 v[117:118], v[102:103], v[100:101], 1.0
	v_mul_f64 v[119:120], v[98:99], -v[117:118]
.LBB82_240:
	s_or_b64 exec, exec, s[18:19]
.LBB82_241:
	s_or_b64 exec, exec, s[0:1]
	v_cmp_ne_u32_e32 vcc, v96, v97
	s_and_saveexec_b64 s[0:1], vcc
	s_xor_b64 s[0:1], exec, s[0:1]
	s_cbranch_execz .LBB82_247
; %bb.242:
	v_cmp_eq_u32_e32 vcc, 11, v96
	s_and_saveexec_b64 s[18:19], vcc
	s_cbranch_execz .LBB82_246
; %bb.243:
	v_cmp_ne_u32_e32 vcc, 11, v97
	s_xor_b64 s[20:21], s[6:7], -1
	s_and_b64 s[22:23], s[20:21], vcc
	s_and_saveexec_b64 s[20:21], s[22:23]
	s_cbranch_execz .LBB82_245
; %bb.244:
	v_ashrrev_i32_e32 v98, 31, v97
	v_lshlrev_b64 v[98:99], 2, v[97:98]
	v_add_co_u32_e32 v98, vcc, v91, v98
	v_addc_co_u32_e32 v99, vcc, v92, v99, vcc
	global_load_dword v0, v[98:99], off
	global_load_dword v96, v[91:92], off offset:44
	s_waitcnt vmcnt(1)
	global_store_dword v[91:92], v0, off offset:44
	s_waitcnt vmcnt(1)
	global_store_dword v[98:99], v96, off
.LBB82_245:
	s_or_b64 exec, exec, s[20:21]
	v_mov_b32_e32 v96, v97
	v_mov_b32_e32 v0, v97
.LBB82_246:
	s_or_b64 exec, exec, s[18:19]
.LBB82_247:
	s_andn2_saveexec_b64 s[0:1], s[0:1]
	s_cbranch_execz .LBB82_249
; %bb.248:
	buffer_load_dword v96, off, s[24:27], 0 offset:96 ; 4-byte Folded Reload
	buffer_load_dword v97, off, s[24:27], 0 offset:100 ; 4-byte Folded Reload
	buffer_load_dword v98, off, s[24:27], 0 offset:104 ; 4-byte Folded Reload
	buffer_load_dword v99, off, s[24:27], 0 offset:108 ; 4-byte Folded Reload
	s_waitcnt vmcnt(0)
	ds_write2_b64 v94, v[96:97], v[98:99] offset0:24 offset1:25
	buffer_load_dword v96, off, s[24:27], 0 offset:80 ; 4-byte Folded Reload
	buffer_load_dword v97, off, s[24:27], 0 offset:84 ; 4-byte Folded Reload
	buffer_load_dword v98, off, s[24:27], 0 offset:88 ; 4-byte Folded Reload
	buffer_load_dword v99, off, s[24:27], 0 offset:92 ; 4-byte Folded Reload
	s_waitcnt vmcnt(0)
	ds_write2_b64 v94, v[96:97], v[98:99] offset0:26 offset1:27
	;; [unrolled: 6-line block ×6, first 2 shown]
	buffer_load_dword v96, off, s[24:27], 0 ; 4-byte Folded Reload
	buffer_load_dword v97, off, s[24:27], 0 offset:4 ; 4-byte Folded Reload
	buffer_load_dword v98, off, s[24:27], 0 offset:8 ; 4-byte Folded Reload
	;; [unrolled: 1-line block ×3, first 2 shown]
	s_waitcnt vmcnt(0)
	ds_write2_b64 v94, v[96:97], v[98:99] offset0:36 offset1:37
	ds_write2_b64 v94, v[85:86], v[87:88] offset0:38 offset1:39
	;; [unrolled: 1-line block ×24, first 2 shown]
	v_mov_b32_e32 v96, 11
.LBB82_249:
	s_or_b64 exec, exec, s[0:1]
	v_cmp_lt_i32_e32 vcc, 11, v96
	s_waitcnt vmcnt(0) lgkmcnt(0)
	s_barrier
	s_and_saveexec_b64 s[0:1], vcc
	s_cbranch_execz .LBB82_251
; %bb.250:
	buffer_load_dword v105, off, s[24:27], 0 offset:112 ; 4-byte Folded Reload
	buffer_load_dword v106, off, s[24:27], 0 offset:116 ; 4-byte Folded Reload
	;; [unrolled: 1-line block ×4, first 2 shown]
	s_waitcnt vmcnt(0)
	v_mul_f64 v[97:98], v[119:120], v[107:108]
	v_fma_f64 v[125:126], v[117:118], v[105:106], -v[97:98]
	v_mul_f64 v[97:98], v[117:118], v[107:108]
	v_fma_f64 v[107:108], v[119:120], v[105:106], v[97:98]
	ds_read2_b64 v[97:100], v94 offset0:24 offset1:25
	buffer_load_dword v103, off, s[24:27], 0 offset:96 ; 4-byte Folded Reload
	buffer_load_dword v104, off, s[24:27], 0 offset:100 ; 4-byte Folded Reload
	buffer_load_dword v105, off, s[24:27], 0 offset:104 ; 4-byte Folded Reload
	buffer_load_dword v106, off, s[24:27], 0 offset:108 ; 4-byte Folded Reload
	s_waitcnt lgkmcnt(0)
	v_mul_f64 v[101:102], v[99:100], v[107:108]
	v_fma_f64 v[101:102], v[97:98], v[125:126], -v[101:102]
	v_mul_f64 v[97:98], v[97:98], v[107:108]
	v_fma_f64 v[97:98], v[99:100], v[125:126], v[97:98]
	s_waitcnt vmcnt(2)
	v_add_f64 v[103:104], v[103:104], -v[101:102]
	s_waitcnt vmcnt(0)
	v_add_f64 v[105:106], v[105:106], -v[97:98]
	buffer_store_dword v103, off, s[24:27], 0 offset:96 ; 4-byte Folded Spill
	s_nop 0
	buffer_store_dword v104, off, s[24:27], 0 offset:100 ; 4-byte Folded Spill
	buffer_store_dword v105, off, s[24:27], 0 offset:104 ; 4-byte Folded Spill
	buffer_store_dword v106, off, s[24:27], 0 offset:108 ; 4-byte Folded Spill
	ds_read2_b64 v[97:100], v94 offset0:26 offset1:27
	buffer_load_dword v103, off, s[24:27], 0 offset:80 ; 4-byte Folded Reload
	buffer_load_dword v104, off, s[24:27], 0 offset:84 ; 4-byte Folded Reload
	buffer_load_dword v105, off, s[24:27], 0 offset:88 ; 4-byte Folded Reload
	buffer_load_dword v106, off, s[24:27], 0 offset:92 ; 4-byte Folded Reload
	s_waitcnt lgkmcnt(0)
	v_mul_f64 v[101:102], v[99:100], v[107:108]
	v_fma_f64 v[101:102], v[97:98], v[125:126], -v[101:102]
	v_mul_f64 v[97:98], v[97:98], v[107:108]
	v_fma_f64 v[97:98], v[99:100], v[125:126], v[97:98]
	s_waitcnt vmcnt(2)
	v_add_f64 v[103:104], v[103:104], -v[101:102]
	s_waitcnt vmcnt(0)
	v_add_f64 v[105:106], v[105:106], -v[97:98]
	buffer_store_dword v103, off, s[24:27], 0 offset:80 ; 4-byte Folded Spill
	s_nop 0
	buffer_store_dword v104, off, s[24:27], 0 offset:84 ; 4-byte Folded Spill
	buffer_store_dword v105, off, s[24:27], 0 offset:88 ; 4-byte Folded Spill
	buffer_store_dword v106, off, s[24:27], 0 offset:92 ; 4-byte Folded Spill
	;; [unrolled: 19-line block ×6, first 2 shown]
	ds_read2_b64 v[97:100], v94 offset0:36 offset1:37
	buffer_load_dword v103, off, s[24:27], 0 ; 4-byte Folded Reload
	buffer_load_dword v104, off, s[24:27], 0 offset:4 ; 4-byte Folded Reload
	buffer_load_dword v105, off, s[24:27], 0 offset:8 ; 4-byte Folded Reload
	;; [unrolled: 1-line block ×3, first 2 shown]
	s_waitcnt lgkmcnt(0)
	v_mul_f64 v[101:102], v[99:100], v[107:108]
	v_fma_f64 v[101:102], v[97:98], v[125:126], -v[101:102]
	v_mul_f64 v[97:98], v[97:98], v[107:108]
	v_fma_f64 v[97:98], v[99:100], v[125:126], v[97:98]
	s_waitcnt vmcnt(2)
	v_add_f64 v[103:104], v[103:104], -v[101:102]
	s_waitcnt vmcnt(0)
	v_add_f64 v[105:106], v[105:106], -v[97:98]
	buffer_store_dword v103, off, s[24:27], 0 ; 4-byte Folded Spill
	s_nop 0
	buffer_store_dword v104, off, s[24:27], 0 offset:4 ; 4-byte Folded Spill
	buffer_store_dword v105, off, s[24:27], 0 offset:8 ; 4-byte Folded Spill
	;; [unrolled: 1-line block ×3, first 2 shown]
	ds_read2_b64 v[97:100], v94 offset0:38 offset1:39
	v_mov_b32_e32 v105, v125
	v_mov_b32_e32 v106, v126
	s_waitcnt lgkmcnt(0)
	v_mul_f64 v[101:102], v[99:100], v[107:108]
	v_fma_f64 v[101:102], v[97:98], v[125:126], -v[101:102]
	v_mul_f64 v[97:98], v[97:98], v[107:108]
	v_add_f64 v[85:86], v[85:86], -v[101:102]
	v_fma_f64 v[97:98], v[99:100], v[125:126], v[97:98]
	v_add_f64 v[87:88], v[87:88], -v[97:98]
	ds_read2_b64 v[97:100], v94 offset0:40 offset1:41
	s_waitcnt lgkmcnt(0)
	v_mul_f64 v[101:102], v[99:100], v[107:108]
	v_fma_f64 v[101:102], v[97:98], v[125:126], -v[101:102]
	v_mul_f64 v[97:98], v[97:98], v[107:108]
	v_add_f64 v[81:82], v[81:82], -v[101:102]
	v_fma_f64 v[97:98], v[99:100], v[125:126], v[97:98]
	v_add_f64 v[83:84], v[83:84], -v[97:98]
	ds_read2_b64 v[97:100], v94 offset0:42 offset1:43
	s_waitcnt lgkmcnt(0)
	v_mul_f64 v[101:102], v[99:100], v[107:108]
	v_fma_f64 v[101:102], v[97:98], v[125:126], -v[101:102]
	v_mul_f64 v[97:98], v[97:98], v[107:108]
	v_add_f64 v[77:78], v[77:78], -v[101:102]
	v_fma_f64 v[97:98], v[99:100], v[125:126], v[97:98]
	v_add_f64 v[79:80], v[79:80], -v[97:98]
	ds_read2_b64 v[97:100], v94 offset0:44 offset1:45
	s_waitcnt lgkmcnt(0)
	v_mul_f64 v[101:102], v[99:100], v[107:108]
	v_fma_f64 v[101:102], v[97:98], v[125:126], -v[101:102]
	v_mul_f64 v[97:98], v[97:98], v[107:108]
	v_add_f64 v[73:74], v[73:74], -v[101:102]
	v_fma_f64 v[97:98], v[99:100], v[125:126], v[97:98]
	v_add_f64 v[75:76], v[75:76], -v[97:98]
	ds_read2_b64 v[97:100], v94 offset0:46 offset1:47
	s_waitcnt lgkmcnt(0)
	v_mul_f64 v[101:102], v[99:100], v[107:108]
	v_fma_f64 v[101:102], v[97:98], v[125:126], -v[101:102]
	v_mul_f64 v[97:98], v[97:98], v[107:108]
	v_add_f64 v[69:70], v[69:70], -v[101:102]
	v_fma_f64 v[97:98], v[99:100], v[125:126], v[97:98]
	v_add_f64 v[71:72], v[71:72], -v[97:98]
	ds_read2_b64 v[97:100], v94 offset0:48 offset1:49
	s_waitcnt lgkmcnt(0)
	v_mul_f64 v[101:102], v[99:100], v[107:108]
	v_fma_f64 v[101:102], v[97:98], v[125:126], -v[101:102]
	v_mul_f64 v[97:98], v[97:98], v[107:108]
	v_add_f64 v[65:66], v[65:66], -v[101:102]
	v_fma_f64 v[97:98], v[99:100], v[125:126], v[97:98]
	v_add_f64 v[67:68], v[67:68], -v[97:98]
	ds_read2_b64 v[97:100], v94 offset0:50 offset1:51
	s_waitcnt lgkmcnt(0)
	v_mul_f64 v[101:102], v[99:100], v[107:108]
	v_fma_f64 v[101:102], v[97:98], v[125:126], -v[101:102]
	v_mul_f64 v[97:98], v[97:98], v[107:108]
	v_add_f64 v[61:62], v[61:62], -v[101:102]
	v_fma_f64 v[97:98], v[99:100], v[125:126], v[97:98]
	v_add_f64 v[63:64], v[63:64], -v[97:98]
	ds_read2_b64 v[97:100], v94 offset0:52 offset1:53
	s_waitcnt lgkmcnt(0)
	v_mul_f64 v[101:102], v[99:100], v[107:108]
	v_fma_f64 v[101:102], v[97:98], v[125:126], -v[101:102]
	v_mul_f64 v[97:98], v[97:98], v[107:108]
	v_add_f64 v[57:58], v[57:58], -v[101:102]
	v_fma_f64 v[97:98], v[99:100], v[125:126], v[97:98]
	v_add_f64 v[59:60], v[59:60], -v[97:98]
	ds_read2_b64 v[97:100], v94 offset0:54 offset1:55
	s_waitcnt lgkmcnt(0)
	v_mul_f64 v[101:102], v[99:100], v[107:108]
	v_fma_f64 v[101:102], v[97:98], v[125:126], -v[101:102]
	v_mul_f64 v[97:98], v[97:98], v[107:108]
	v_add_f64 v[53:54], v[53:54], -v[101:102]
	v_fma_f64 v[97:98], v[99:100], v[125:126], v[97:98]
	v_add_f64 v[55:56], v[55:56], -v[97:98]
	ds_read2_b64 v[97:100], v94 offset0:56 offset1:57
	s_waitcnt lgkmcnt(0)
	v_mul_f64 v[101:102], v[99:100], v[107:108]
	v_fma_f64 v[101:102], v[97:98], v[125:126], -v[101:102]
	v_mul_f64 v[97:98], v[97:98], v[107:108]
	v_add_f64 v[49:50], v[49:50], -v[101:102]
	v_fma_f64 v[97:98], v[99:100], v[125:126], v[97:98]
	v_add_f64 v[51:52], v[51:52], -v[97:98]
	ds_read2_b64 v[97:100], v94 offset0:58 offset1:59
	s_waitcnt lgkmcnt(0)
	v_mul_f64 v[101:102], v[99:100], v[107:108]
	v_fma_f64 v[101:102], v[97:98], v[125:126], -v[101:102]
	v_mul_f64 v[97:98], v[97:98], v[107:108]
	v_add_f64 v[45:46], v[45:46], -v[101:102]
	v_fma_f64 v[97:98], v[99:100], v[125:126], v[97:98]
	v_add_f64 v[47:48], v[47:48], -v[97:98]
	ds_read2_b64 v[97:100], v94 offset0:60 offset1:61
	s_waitcnt lgkmcnt(0)
	v_mul_f64 v[101:102], v[99:100], v[107:108]
	v_fma_f64 v[101:102], v[97:98], v[125:126], -v[101:102]
	v_mul_f64 v[97:98], v[97:98], v[107:108]
	v_add_f64 v[41:42], v[41:42], -v[101:102]
	v_fma_f64 v[97:98], v[99:100], v[125:126], v[97:98]
	v_add_f64 v[43:44], v[43:44], -v[97:98]
	ds_read2_b64 v[97:100], v94 offset0:62 offset1:63
	s_waitcnt lgkmcnt(0)
	v_mul_f64 v[101:102], v[99:100], v[107:108]
	v_fma_f64 v[101:102], v[97:98], v[125:126], -v[101:102]
	v_mul_f64 v[97:98], v[97:98], v[107:108]
	v_add_f64 v[37:38], v[37:38], -v[101:102]
	v_fma_f64 v[97:98], v[99:100], v[125:126], v[97:98]
	v_add_f64 v[39:40], v[39:40], -v[97:98]
	ds_read2_b64 v[97:100], v94 offset0:64 offset1:65
	s_waitcnt lgkmcnt(0)
	v_mul_f64 v[101:102], v[99:100], v[107:108]
	v_fma_f64 v[101:102], v[97:98], v[125:126], -v[101:102]
	v_mul_f64 v[97:98], v[97:98], v[107:108]
	v_add_f64 v[33:34], v[33:34], -v[101:102]
	v_fma_f64 v[97:98], v[99:100], v[125:126], v[97:98]
	v_add_f64 v[35:36], v[35:36], -v[97:98]
	ds_read2_b64 v[97:100], v94 offset0:66 offset1:67
	s_waitcnt lgkmcnt(0)
	v_mul_f64 v[101:102], v[99:100], v[107:108]
	v_fma_f64 v[101:102], v[97:98], v[125:126], -v[101:102]
	v_mul_f64 v[97:98], v[97:98], v[107:108]
	v_add_f64 v[29:30], v[29:30], -v[101:102]
	v_fma_f64 v[97:98], v[99:100], v[125:126], v[97:98]
	v_add_f64 v[31:32], v[31:32], -v[97:98]
	ds_read2_b64 v[97:100], v94 offset0:68 offset1:69
	s_waitcnt lgkmcnt(0)
	v_mul_f64 v[101:102], v[99:100], v[107:108]
	v_fma_f64 v[101:102], v[97:98], v[125:126], -v[101:102]
	v_mul_f64 v[97:98], v[97:98], v[107:108]
	v_add_f64 v[25:26], v[25:26], -v[101:102]
	v_fma_f64 v[97:98], v[99:100], v[125:126], v[97:98]
	v_add_f64 v[27:28], v[27:28], -v[97:98]
	ds_read2_b64 v[97:100], v94 offset0:70 offset1:71
	s_waitcnt lgkmcnt(0)
	v_mul_f64 v[101:102], v[99:100], v[107:108]
	v_fma_f64 v[101:102], v[97:98], v[125:126], -v[101:102]
	v_mul_f64 v[97:98], v[97:98], v[107:108]
	v_add_f64 v[21:22], v[21:22], -v[101:102]
	v_fma_f64 v[97:98], v[99:100], v[125:126], v[97:98]
	v_add_f64 v[23:24], v[23:24], -v[97:98]
	ds_read2_b64 v[97:100], v94 offset0:72 offset1:73
	s_waitcnt lgkmcnt(0)
	v_mul_f64 v[101:102], v[99:100], v[107:108]
	v_fma_f64 v[101:102], v[97:98], v[125:126], -v[101:102]
	v_mul_f64 v[97:98], v[97:98], v[107:108]
	v_add_f64 v[17:18], v[17:18], -v[101:102]
	v_fma_f64 v[97:98], v[99:100], v[125:126], v[97:98]
	v_add_f64 v[19:20], v[19:20], -v[97:98]
	ds_read2_b64 v[97:100], v94 offset0:74 offset1:75
	s_waitcnt lgkmcnt(0)
	v_mul_f64 v[101:102], v[99:100], v[107:108]
	v_fma_f64 v[101:102], v[97:98], v[125:126], -v[101:102]
	v_mul_f64 v[97:98], v[97:98], v[107:108]
	v_add_f64 v[13:14], v[13:14], -v[101:102]
	v_fma_f64 v[97:98], v[99:100], v[125:126], v[97:98]
	v_add_f64 v[15:16], v[15:16], -v[97:98]
	ds_read2_b64 v[97:100], v94 offset0:76 offset1:77
	s_waitcnt lgkmcnt(0)
	v_mul_f64 v[101:102], v[99:100], v[107:108]
	v_fma_f64 v[101:102], v[97:98], v[125:126], -v[101:102]
	v_mul_f64 v[97:98], v[97:98], v[107:108]
	v_add_f64 v[9:10], v[9:10], -v[101:102]
	v_fma_f64 v[97:98], v[99:100], v[125:126], v[97:98]
	v_add_f64 v[11:12], v[11:12], -v[97:98]
	ds_read2_b64 v[97:100], v94 offset0:78 offset1:79
	s_waitcnt lgkmcnt(0)
	v_mul_f64 v[101:102], v[99:100], v[107:108]
	v_fma_f64 v[101:102], v[97:98], v[125:126], -v[101:102]
	v_mul_f64 v[97:98], v[97:98], v[107:108]
	v_add_f64 v[5:6], v[5:6], -v[101:102]
	v_fma_f64 v[97:98], v[99:100], v[125:126], v[97:98]
	v_add_f64 v[7:8], v[7:8], -v[97:98]
	ds_read2_b64 v[97:100], v94 offset0:80 offset1:81
	s_waitcnt lgkmcnt(0)
	v_mul_f64 v[101:102], v[99:100], v[107:108]
	v_fma_f64 v[101:102], v[97:98], v[125:126], -v[101:102]
	v_mul_f64 v[97:98], v[97:98], v[107:108]
	v_add_f64 v[1:2], v[1:2], -v[101:102]
	v_fma_f64 v[97:98], v[99:100], v[125:126], v[97:98]
	v_add_f64 v[3:4], v[3:4], -v[97:98]
	ds_read2_b64 v[97:100], v94 offset0:82 offset1:83
	s_waitcnt lgkmcnt(0)
	v_mul_f64 v[101:102], v[99:100], v[107:108]
	v_fma_f64 v[101:102], v[97:98], v[125:126], -v[101:102]
	v_mul_f64 v[97:98], v[97:98], v[107:108]
	buffer_store_dword v105, off, s[24:27], 0 offset:112 ; 4-byte Folded Spill
	s_nop 0
	buffer_store_dword v106, off, s[24:27], 0 offset:116 ; 4-byte Folded Spill
	buffer_store_dword v107, off, s[24:27], 0 offset:120 ; 4-byte Folded Spill
	;; [unrolled: 1-line block ×3, first 2 shown]
	v_add_f64 v[121:122], v[121:122], -v[101:102]
	v_fma_f64 v[97:98], v[99:100], v[125:126], v[97:98]
	v_add_f64 v[123:124], v[123:124], -v[97:98]
.LBB82_251:
	s_or_b64 exec, exec, s[0:1]
	s_waitcnt vmcnt(0)
	s_barrier
	buffer_load_dword v98, off, s[24:27], 0 offset:96 ; 4-byte Folded Reload
	buffer_load_dword v99, off, s[24:27], 0 offset:100 ; 4-byte Folded Reload
	;; [unrolled: 1-line block ×4, first 2 shown]
	v_lshl_add_u32 v97, v96, 4, v94
	s_cmp_lt_i32 s3, 14
	s_waitcnt vmcnt(0)
	ds_write2_b64 v97, v[98:99], v[100:101] offset1:1
	s_waitcnt lgkmcnt(0)
	s_barrier
	ds_read2_b64 v[117:120], v94 offset0:24 offset1:25
	v_mov_b32_e32 v97, 12
	s_cbranch_scc1 .LBB82_254
; %bb.252:
	v_add_u32_e32 v98, 0xd0, v94
	s_mov_b32 s0, 13
	v_mov_b32_e32 v97, 12
.LBB82_253:                             ; =>This Inner Loop Header: Depth=1
	s_waitcnt lgkmcnt(0)
	v_cmp_gt_f64_e32 vcc, 0, v[117:118]
	v_xor_b32_e32 v103, 0x80000000, v118
	ds_read2_b64 v[99:102], v98 offset1:1
	v_xor_b32_e32 v105, 0x80000000, v120
	v_add_u32_e32 v98, 16, v98
	s_waitcnt lgkmcnt(0)
	v_xor_b32_e32 v107, 0x80000000, v102
	v_cndmask_b32_e32 v104, v118, v103, vcc
	v_cmp_gt_f64_e32 vcc, 0, v[119:120]
	v_mov_b32_e32 v103, v117
	v_cndmask_b32_e32 v106, v120, v105, vcc
	v_cmp_gt_f64_e32 vcc, 0, v[99:100]
	v_mov_b32_e32 v105, v119
	v_add_f64 v[103:104], v[103:104], v[105:106]
	v_xor_b32_e32 v105, 0x80000000, v100
	v_cndmask_b32_e32 v106, v100, v105, vcc
	v_cmp_gt_f64_e32 vcc, 0, v[101:102]
	v_mov_b32_e32 v105, v99
	v_cndmask_b32_e32 v108, v102, v107, vcc
	v_mov_b32_e32 v107, v101
	v_add_f64 v[105:106], v[105:106], v[107:108]
	v_cmp_lt_f64_e32 vcc, v[103:104], v[105:106]
	v_cndmask_b32_e32 v117, v117, v99, vcc
	v_mov_b32_e32 v99, s0
	s_add_i32 s0, s0, 1
	v_cndmask_b32_e32 v118, v118, v100, vcc
	v_cndmask_b32_e32 v120, v120, v102, vcc
	;; [unrolled: 1-line block ×4, first 2 shown]
	s_cmp_lg_u32 s3, s0
	s_cbranch_scc1 .LBB82_253
.LBB82_254:
	s_waitcnt lgkmcnt(0)
	v_cmp_eq_f64_e32 vcc, 0, v[117:118]
	v_cmp_eq_f64_e64 s[0:1], 0, v[119:120]
	s_and_b64 s[0:1], vcc, s[0:1]
	s_and_saveexec_b64 s[18:19], s[0:1]
	s_xor_b64 s[0:1], exec, s[18:19]
; %bb.255:
	v_cmp_ne_u32_e32 vcc, 0, v95
	v_cndmask_b32_e32 v95, 13, v95, vcc
; %bb.256:
	s_andn2_saveexec_b64 s[0:1], s[0:1]
	s_cbranch_execz .LBB82_262
; %bb.257:
	v_cmp_ngt_f64_e64 s[18:19], |v[117:118]|, |v[119:120]|
	s_and_saveexec_b64 s[20:21], s[18:19]
	s_xor_b64 s[18:19], exec, s[20:21]
	s_cbranch_execz .LBB82_259
; %bb.258:
	v_div_scale_f64 v[98:99], s[20:21], v[119:120], v[119:120], v[117:118]
	v_rcp_f64_e32 v[100:101], v[98:99]
	v_fma_f64 v[102:103], -v[98:99], v[100:101], 1.0
	v_fma_f64 v[100:101], v[100:101], v[102:103], v[100:101]
	v_div_scale_f64 v[102:103], vcc, v[117:118], v[119:120], v[117:118]
	v_fma_f64 v[104:105], -v[98:99], v[100:101], 1.0
	v_fma_f64 v[100:101], v[100:101], v[104:105], v[100:101]
	v_mul_f64 v[104:105], v[102:103], v[100:101]
	v_fma_f64 v[98:99], -v[98:99], v[104:105], v[102:103]
	v_div_fmas_f64 v[98:99], v[98:99], v[100:101], v[104:105]
	v_div_fixup_f64 v[98:99], v[98:99], v[119:120], v[117:118]
	v_fma_f64 v[100:101], v[117:118], v[98:99], v[119:120]
	v_div_scale_f64 v[102:103], s[20:21], v[100:101], v[100:101], 1.0
	v_div_scale_f64 v[108:109], vcc, 1.0, v[100:101], 1.0
	v_rcp_f64_e32 v[104:105], v[102:103]
	v_fma_f64 v[106:107], -v[102:103], v[104:105], 1.0
	v_fma_f64 v[104:105], v[104:105], v[106:107], v[104:105]
	v_fma_f64 v[106:107], -v[102:103], v[104:105], 1.0
	v_fma_f64 v[104:105], v[104:105], v[106:107], v[104:105]
	v_mul_f64 v[106:107], v[108:109], v[104:105]
	v_fma_f64 v[102:103], -v[102:103], v[106:107], v[108:109]
	v_div_fmas_f64 v[102:103], v[102:103], v[104:105], v[106:107]
	v_div_fixup_f64 v[119:120], v[102:103], v[100:101], 1.0
	v_mul_f64 v[117:118], v[98:99], v[119:120]
	v_xor_b32_e32 v120, 0x80000000, v120
.LBB82_259:
	s_andn2_saveexec_b64 s[18:19], s[18:19]
	s_cbranch_execz .LBB82_261
; %bb.260:
	v_div_scale_f64 v[98:99], s[20:21], v[117:118], v[117:118], v[119:120]
	v_rcp_f64_e32 v[100:101], v[98:99]
	v_fma_f64 v[102:103], -v[98:99], v[100:101], 1.0
	v_fma_f64 v[100:101], v[100:101], v[102:103], v[100:101]
	v_div_scale_f64 v[102:103], vcc, v[119:120], v[117:118], v[119:120]
	v_fma_f64 v[104:105], -v[98:99], v[100:101], 1.0
	v_fma_f64 v[100:101], v[100:101], v[104:105], v[100:101]
	v_mul_f64 v[104:105], v[102:103], v[100:101]
	v_fma_f64 v[98:99], -v[98:99], v[104:105], v[102:103]
	v_div_fmas_f64 v[98:99], v[98:99], v[100:101], v[104:105]
	v_div_fixup_f64 v[98:99], v[98:99], v[117:118], v[119:120]
	v_fma_f64 v[100:101], v[119:120], v[98:99], v[117:118]
	v_div_scale_f64 v[102:103], s[20:21], v[100:101], v[100:101], 1.0
	v_div_scale_f64 v[108:109], vcc, 1.0, v[100:101], 1.0
	v_rcp_f64_e32 v[104:105], v[102:103]
	v_fma_f64 v[106:107], -v[102:103], v[104:105], 1.0
	v_fma_f64 v[104:105], v[104:105], v[106:107], v[104:105]
	v_fma_f64 v[106:107], -v[102:103], v[104:105], 1.0
	v_fma_f64 v[104:105], v[104:105], v[106:107], v[104:105]
	v_mul_f64 v[106:107], v[108:109], v[104:105]
	v_fma_f64 v[102:103], -v[102:103], v[106:107], v[108:109]
	v_div_fmas_f64 v[102:103], v[102:103], v[104:105], v[106:107]
	v_div_fixup_f64 v[117:118], v[102:103], v[100:101], 1.0
	v_mul_f64 v[119:120], v[98:99], -v[117:118]
.LBB82_261:
	s_or_b64 exec, exec, s[18:19]
.LBB82_262:
	s_or_b64 exec, exec, s[0:1]
	v_cmp_ne_u32_e32 vcc, v96, v97
	s_and_saveexec_b64 s[0:1], vcc
	s_xor_b64 s[0:1], exec, s[0:1]
	s_cbranch_execz .LBB82_268
; %bb.263:
	v_cmp_eq_u32_e32 vcc, 12, v96
	s_and_saveexec_b64 s[18:19], vcc
	s_cbranch_execz .LBB82_267
; %bb.264:
	v_cmp_ne_u32_e32 vcc, 12, v97
	s_xor_b64 s[20:21], s[6:7], -1
	s_and_b64 s[22:23], s[20:21], vcc
	s_and_saveexec_b64 s[20:21], s[22:23]
	s_cbranch_execz .LBB82_266
; %bb.265:
	v_ashrrev_i32_e32 v98, 31, v97
	v_lshlrev_b64 v[98:99], 2, v[97:98]
	v_add_co_u32_e32 v98, vcc, v91, v98
	v_addc_co_u32_e32 v99, vcc, v92, v99, vcc
	global_load_dword v0, v[98:99], off
	global_load_dword v96, v[91:92], off offset:48
	s_waitcnt vmcnt(1)
	global_store_dword v[91:92], v0, off offset:48
	s_waitcnt vmcnt(1)
	global_store_dword v[98:99], v96, off
.LBB82_266:
	s_or_b64 exec, exec, s[20:21]
	v_mov_b32_e32 v96, v97
	v_mov_b32_e32 v0, v97
.LBB82_267:
	s_or_b64 exec, exec, s[18:19]
.LBB82_268:
	s_andn2_saveexec_b64 s[0:1], s[0:1]
	s_cbranch_execz .LBB82_270
; %bb.269:
	buffer_load_dword v96, off, s[24:27], 0 offset:80 ; 4-byte Folded Reload
	buffer_load_dword v97, off, s[24:27], 0 offset:84 ; 4-byte Folded Reload
	buffer_load_dword v98, off, s[24:27], 0 offset:88 ; 4-byte Folded Reload
	buffer_load_dword v99, off, s[24:27], 0 offset:92 ; 4-byte Folded Reload
	s_waitcnt vmcnt(0)
	ds_write2_b64 v94, v[96:97], v[98:99] offset0:26 offset1:27
	buffer_load_dword v96, off, s[24:27], 0 offset:64 ; 4-byte Folded Reload
	buffer_load_dword v97, off, s[24:27], 0 offset:68 ; 4-byte Folded Reload
	buffer_load_dword v98, off, s[24:27], 0 offset:72 ; 4-byte Folded Reload
	buffer_load_dword v99, off, s[24:27], 0 offset:76 ; 4-byte Folded Reload
	s_waitcnt vmcnt(0)
	ds_write2_b64 v94, v[96:97], v[98:99] offset0:28 offset1:29
	buffer_load_dword v96, off, s[24:27], 0 offset:48 ; 4-byte Folded Reload
	buffer_load_dword v97, off, s[24:27], 0 offset:52 ; 4-byte Folded Reload
	buffer_load_dword v98, off, s[24:27], 0 offset:56 ; 4-byte Folded Reload
	buffer_load_dword v99, off, s[24:27], 0 offset:60 ; 4-byte Folded Reload
	s_waitcnt vmcnt(0)
	ds_write2_b64 v94, v[96:97], v[98:99] offset0:30 offset1:31
	buffer_load_dword v96, off, s[24:27], 0 offset:32 ; 4-byte Folded Reload
	buffer_load_dword v97, off, s[24:27], 0 offset:36 ; 4-byte Folded Reload
	buffer_load_dword v98, off, s[24:27], 0 offset:40 ; 4-byte Folded Reload
	buffer_load_dword v99, off, s[24:27], 0 offset:44 ; 4-byte Folded Reload
	s_waitcnt vmcnt(0)
	ds_write2_b64 v94, v[96:97], v[98:99] offset0:32 offset1:33
	buffer_load_dword v96, off, s[24:27], 0 offset:16 ; 4-byte Folded Reload
	buffer_load_dword v97, off, s[24:27], 0 offset:20 ; 4-byte Folded Reload
	buffer_load_dword v98, off, s[24:27], 0 offset:24 ; 4-byte Folded Reload
	buffer_load_dword v99, off, s[24:27], 0 offset:28 ; 4-byte Folded Reload
	s_waitcnt vmcnt(0)
	ds_write2_b64 v94, v[96:97], v[98:99] offset0:34 offset1:35
	buffer_load_dword v96, off, s[24:27], 0 ; 4-byte Folded Reload
	buffer_load_dword v97, off, s[24:27], 0 offset:4 ; 4-byte Folded Reload
	buffer_load_dword v98, off, s[24:27], 0 offset:8 ; 4-byte Folded Reload
	;; [unrolled: 1-line block ×3, first 2 shown]
	s_waitcnt vmcnt(0)
	ds_write2_b64 v94, v[96:97], v[98:99] offset0:36 offset1:37
	ds_write2_b64 v94, v[85:86], v[87:88] offset0:38 offset1:39
	;; [unrolled: 1-line block ×24, first 2 shown]
	v_mov_b32_e32 v96, 12
.LBB82_270:
	s_or_b64 exec, exec, s[0:1]
	v_cmp_lt_i32_e32 vcc, 12, v96
	s_waitcnt vmcnt(0) lgkmcnt(0)
	s_barrier
	s_and_saveexec_b64 s[0:1], vcc
	s_cbranch_execz .LBB82_272
; %bb.271:
	buffer_load_dword v105, off, s[24:27], 0 offset:96 ; 4-byte Folded Reload
	buffer_load_dword v106, off, s[24:27], 0 offset:100 ; 4-byte Folded Reload
	;; [unrolled: 1-line block ×4, first 2 shown]
	s_waitcnt vmcnt(0)
	v_mul_f64 v[97:98], v[119:120], v[107:108]
	v_fma_f64 v[125:126], v[117:118], v[105:106], -v[97:98]
	v_mul_f64 v[97:98], v[117:118], v[107:108]
	v_fma_f64 v[107:108], v[119:120], v[105:106], v[97:98]
	ds_read2_b64 v[97:100], v94 offset0:26 offset1:27
	buffer_load_dword v103, off, s[24:27], 0 offset:80 ; 4-byte Folded Reload
	buffer_load_dword v104, off, s[24:27], 0 offset:84 ; 4-byte Folded Reload
	buffer_load_dword v105, off, s[24:27], 0 offset:88 ; 4-byte Folded Reload
	buffer_load_dword v106, off, s[24:27], 0 offset:92 ; 4-byte Folded Reload
	s_waitcnt lgkmcnt(0)
	v_mul_f64 v[101:102], v[99:100], v[107:108]
	v_fma_f64 v[101:102], v[97:98], v[125:126], -v[101:102]
	v_mul_f64 v[97:98], v[97:98], v[107:108]
	v_fma_f64 v[97:98], v[99:100], v[125:126], v[97:98]
	s_waitcnt vmcnt(2)
	v_add_f64 v[103:104], v[103:104], -v[101:102]
	s_waitcnt vmcnt(0)
	v_add_f64 v[105:106], v[105:106], -v[97:98]
	buffer_store_dword v103, off, s[24:27], 0 offset:80 ; 4-byte Folded Spill
	s_nop 0
	buffer_store_dword v104, off, s[24:27], 0 offset:84 ; 4-byte Folded Spill
	buffer_store_dword v105, off, s[24:27], 0 offset:88 ; 4-byte Folded Spill
	buffer_store_dword v106, off, s[24:27], 0 offset:92 ; 4-byte Folded Spill
	ds_read2_b64 v[97:100], v94 offset0:28 offset1:29
	buffer_load_dword v103, off, s[24:27], 0 offset:64 ; 4-byte Folded Reload
	buffer_load_dword v104, off, s[24:27], 0 offset:68 ; 4-byte Folded Reload
	buffer_load_dword v105, off, s[24:27], 0 offset:72 ; 4-byte Folded Reload
	buffer_load_dword v106, off, s[24:27], 0 offset:76 ; 4-byte Folded Reload
	s_waitcnt lgkmcnt(0)
	v_mul_f64 v[101:102], v[99:100], v[107:108]
	v_fma_f64 v[101:102], v[97:98], v[125:126], -v[101:102]
	v_mul_f64 v[97:98], v[97:98], v[107:108]
	v_fma_f64 v[97:98], v[99:100], v[125:126], v[97:98]
	s_waitcnt vmcnt(2)
	v_add_f64 v[103:104], v[103:104], -v[101:102]
	s_waitcnt vmcnt(0)
	v_add_f64 v[105:106], v[105:106], -v[97:98]
	buffer_store_dword v103, off, s[24:27], 0 offset:64 ; 4-byte Folded Spill
	s_nop 0
	buffer_store_dword v104, off, s[24:27], 0 offset:68 ; 4-byte Folded Spill
	buffer_store_dword v105, off, s[24:27], 0 offset:72 ; 4-byte Folded Spill
	buffer_store_dword v106, off, s[24:27], 0 offset:76 ; 4-byte Folded Spill
	;; [unrolled: 19-line block ×5, first 2 shown]
	ds_read2_b64 v[97:100], v94 offset0:36 offset1:37
	buffer_load_dword v103, off, s[24:27], 0 ; 4-byte Folded Reload
	buffer_load_dword v104, off, s[24:27], 0 offset:4 ; 4-byte Folded Reload
	buffer_load_dword v105, off, s[24:27], 0 offset:8 ; 4-byte Folded Reload
	;; [unrolled: 1-line block ×3, first 2 shown]
	s_waitcnt lgkmcnt(0)
	v_mul_f64 v[101:102], v[99:100], v[107:108]
	v_fma_f64 v[101:102], v[97:98], v[125:126], -v[101:102]
	v_mul_f64 v[97:98], v[97:98], v[107:108]
	v_fma_f64 v[97:98], v[99:100], v[125:126], v[97:98]
	s_waitcnt vmcnt(2)
	v_add_f64 v[103:104], v[103:104], -v[101:102]
	s_waitcnt vmcnt(0)
	v_add_f64 v[105:106], v[105:106], -v[97:98]
	buffer_store_dword v103, off, s[24:27], 0 ; 4-byte Folded Spill
	s_nop 0
	buffer_store_dword v104, off, s[24:27], 0 offset:4 ; 4-byte Folded Spill
	buffer_store_dword v105, off, s[24:27], 0 offset:8 ; 4-byte Folded Spill
	;; [unrolled: 1-line block ×3, first 2 shown]
	ds_read2_b64 v[97:100], v94 offset0:38 offset1:39
	v_mov_b32_e32 v105, v125
	v_mov_b32_e32 v106, v126
	s_waitcnt lgkmcnt(0)
	v_mul_f64 v[101:102], v[99:100], v[107:108]
	v_fma_f64 v[101:102], v[97:98], v[125:126], -v[101:102]
	v_mul_f64 v[97:98], v[97:98], v[107:108]
	v_add_f64 v[85:86], v[85:86], -v[101:102]
	v_fma_f64 v[97:98], v[99:100], v[125:126], v[97:98]
	v_add_f64 v[87:88], v[87:88], -v[97:98]
	ds_read2_b64 v[97:100], v94 offset0:40 offset1:41
	s_waitcnt lgkmcnt(0)
	v_mul_f64 v[101:102], v[99:100], v[107:108]
	v_fma_f64 v[101:102], v[97:98], v[125:126], -v[101:102]
	v_mul_f64 v[97:98], v[97:98], v[107:108]
	v_add_f64 v[81:82], v[81:82], -v[101:102]
	v_fma_f64 v[97:98], v[99:100], v[125:126], v[97:98]
	v_add_f64 v[83:84], v[83:84], -v[97:98]
	ds_read2_b64 v[97:100], v94 offset0:42 offset1:43
	;; [unrolled: 8-line block ×22, first 2 shown]
	s_waitcnt lgkmcnt(0)
	v_mul_f64 v[101:102], v[99:100], v[107:108]
	v_fma_f64 v[101:102], v[97:98], v[125:126], -v[101:102]
	v_mul_f64 v[97:98], v[97:98], v[107:108]
	buffer_store_dword v105, off, s[24:27], 0 offset:96 ; 4-byte Folded Spill
	s_nop 0
	buffer_store_dword v106, off, s[24:27], 0 offset:100 ; 4-byte Folded Spill
	buffer_store_dword v107, off, s[24:27], 0 offset:104 ; 4-byte Folded Spill
	;; [unrolled: 1-line block ×3, first 2 shown]
	v_add_f64 v[121:122], v[121:122], -v[101:102]
	v_fma_f64 v[97:98], v[99:100], v[125:126], v[97:98]
	v_add_f64 v[123:124], v[123:124], -v[97:98]
.LBB82_272:
	s_or_b64 exec, exec, s[0:1]
	s_waitcnt vmcnt(0)
	s_barrier
	buffer_load_dword v98, off, s[24:27], 0 offset:80 ; 4-byte Folded Reload
	buffer_load_dword v99, off, s[24:27], 0 offset:84 ; 4-byte Folded Reload
	buffer_load_dword v100, off, s[24:27], 0 offset:88 ; 4-byte Folded Reload
	buffer_load_dword v101, off, s[24:27], 0 offset:92 ; 4-byte Folded Reload
	v_lshl_add_u32 v97, v96, 4, v94
	s_cmp_lt_i32 s3, 15
	s_waitcnt vmcnt(0)
	ds_write2_b64 v97, v[98:99], v[100:101] offset1:1
	s_waitcnt lgkmcnt(0)
	s_barrier
	ds_read2_b64 v[117:120], v94 offset0:26 offset1:27
	v_mov_b32_e32 v97, 13
	s_cbranch_scc1 .LBB82_275
; %bb.273:
	v_add_u32_e32 v98, 0xe0, v94
	s_mov_b32 s0, 14
	v_mov_b32_e32 v97, 13
.LBB82_274:                             ; =>This Inner Loop Header: Depth=1
	s_waitcnt lgkmcnt(0)
	v_cmp_gt_f64_e32 vcc, 0, v[117:118]
	v_xor_b32_e32 v103, 0x80000000, v118
	ds_read2_b64 v[99:102], v98 offset1:1
	v_xor_b32_e32 v105, 0x80000000, v120
	v_add_u32_e32 v98, 16, v98
	s_waitcnt lgkmcnt(0)
	v_xor_b32_e32 v107, 0x80000000, v102
	v_cndmask_b32_e32 v104, v118, v103, vcc
	v_cmp_gt_f64_e32 vcc, 0, v[119:120]
	v_mov_b32_e32 v103, v117
	v_cndmask_b32_e32 v106, v120, v105, vcc
	v_cmp_gt_f64_e32 vcc, 0, v[99:100]
	v_mov_b32_e32 v105, v119
	v_add_f64 v[103:104], v[103:104], v[105:106]
	v_xor_b32_e32 v105, 0x80000000, v100
	v_cndmask_b32_e32 v106, v100, v105, vcc
	v_cmp_gt_f64_e32 vcc, 0, v[101:102]
	v_mov_b32_e32 v105, v99
	v_cndmask_b32_e32 v108, v102, v107, vcc
	v_mov_b32_e32 v107, v101
	v_add_f64 v[105:106], v[105:106], v[107:108]
	v_cmp_lt_f64_e32 vcc, v[103:104], v[105:106]
	v_cndmask_b32_e32 v117, v117, v99, vcc
	v_mov_b32_e32 v99, s0
	s_add_i32 s0, s0, 1
	v_cndmask_b32_e32 v118, v118, v100, vcc
	v_cndmask_b32_e32 v120, v120, v102, vcc
	;; [unrolled: 1-line block ×4, first 2 shown]
	s_cmp_lg_u32 s3, s0
	s_cbranch_scc1 .LBB82_274
.LBB82_275:
	s_waitcnt lgkmcnt(0)
	v_cmp_eq_f64_e32 vcc, 0, v[117:118]
	v_cmp_eq_f64_e64 s[0:1], 0, v[119:120]
	s_and_b64 s[0:1], vcc, s[0:1]
	s_and_saveexec_b64 s[18:19], s[0:1]
	s_xor_b64 s[0:1], exec, s[18:19]
; %bb.276:
	v_cmp_ne_u32_e32 vcc, 0, v95
	v_cndmask_b32_e32 v95, 14, v95, vcc
; %bb.277:
	s_andn2_saveexec_b64 s[0:1], s[0:1]
	s_cbranch_execz .LBB82_283
; %bb.278:
	v_cmp_ngt_f64_e64 s[18:19], |v[117:118]|, |v[119:120]|
	s_and_saveexec_b64 s[20:21], s[18:19]
	s_xor_b64 s[18:19], exec, s[20:21]
	s_cbranch_execz .LBB82_280
; %bb.279:
	v_div_scale_f64 v[98:99], s[20:21], v[119:120], v[119:120], v[117:118]
	v_rcp_f64_e32 v[100:101], v[98:99]
	v_fma_f64 v[102:103], -v[98:99], v[100:101], 1.0
	v_fma_f64 v[100:101], v[100:101], v[102:103], v[100:101]
	v_div_scale_f64 v[102:103], vcc, v[117:118], v[119:120], v[117:118]
	v_fma_f64 v[104:105], -v[98:99], v[100:101], 1.0
	v_fma_f64 v[100:101], v[100:101], v[104:105], v[100:101]
	v_mul_f64 v[104:105], v[102:103], v[100:101]
	v_fma_f64 v[98:99], -v[98:99], v[104:105], v[102:103]
	v_div_fmas_f64 v[98:99], v[98:99], v[100:101], v[104:105]
	v_div_fixup_f64 v[98:99], v[98:99], v[119:120], v[117:118]
	v_fma_f64 v[100:101], v[117:118], v[98:99], v[119:120]
	v_div_scale_f64 v[102:103], s[20:21], v[100:101], v[100:101], 1.0
	v_div_scale_f64 v[108:109], vcc, 1.0, v[100:101], 1.0
	v_rcp_f64_e32 v[104:105], v[102:103]
	v_fma_f64 v[106:107], -v[102:103], v[104:105], 1.0
	v_fma_f64 v[104:105], v[104:105], v[106:107], v[104:105]
	v_fma_f64 v[106:107], -v[102:103], v[104:105], 1.0
	v_fma_f64 v[104:105], v[104:105], v[106:107], v[104:105]
	v_mul_f64 v[106:107], v[108:109], v[104:105]
	v_fma_f64 v[102:103], -v[102:103], v[106:107], v[108:109]
	v_div_fmas_f64 v[102:103], v[102:103], v[104:105], v[106:107]
	v_div_fixup_f64 v[119:120], v[102:103], v[100:101], 1.0
	v_mul_f64 v[117:118], v[98:99], v[119:120]
	v_xor_b32_e32 v120, 0x80000000, v120
.LBB82_280:
	s_andn2_saveexec_b64 s[18:19], s[18:19]
	s_cbranch_execz .LBB82_282
; %bb.281:
	v_div_scale_f64 v[98:99], s[20:21], v[117:118], v[117:118], v[119:120]
	v_rcp_f64_e32 v[100:101], v[98:99]
	v_fma_f64 v[102:103], -v[98:99], v[100:101], 1.0
	v_fma_f64 v[100:101], v[100:101], v[102:103], v[100:101]
	v_div_scale_f64 v[102:103], vcc, v[119:120], v[117:118], v[119:120]
	v_fma_f64 v[104:105], -v[98:99], v[100:101], 1.0
	v_fma_f64 v[100:101], v[100:101], v[104:105], v[100:101]
	v_mul_f64 v[104:105], v[102:103], v[100:101]
	v_fma_f64 v[98:99], -v[98:99], v[104:105], v[102:103]
	v_div_fmas_f64 v[98:99], v[98:99], v[100:101], v[104:105]
	v_div_fixup_f64 v[98:99], v[98:99], v[117:118], v[119:120]
	v_fma_f64 v[100:101], v[119:120], v[98:99], v[117:118]
	v_div_scale_f64 v[102:103], s[20:21], v[100:101], v[100:101], 1.0
	v_div_scale_f64 v[108:109], vcc, 1.0, v[100:101], 1.0
	v_rcp_f64_e32 v[104:105], v[102:103]
	v_fma_f64 v[106:107], -v[102:103], v[104:105], 1.0
	v_fma_f64 v[104:105], v[104:105], v[106:107], v[104:105]
	v_fma_f64 v[106:107], -v[102:103], v[104:105], 1.0
	v_fma_f64 v[104:105], v[104:105], v[106:107], v[104:105]
	v_mul_f64 v[106:107], v[108:109], v[104:105]
	v_fma_f64 v[102:103], -v[102:103], v[106:107], v[108:109]
	v_div_fmas_f64 v[102:103], v[102:103], v[104:105], v[106:107]
	v_div_fixup_f64 v[117:118], v[102:103], v[100:101], 1.0
	v_mul_f64 v[119:120], v[98:99], -v[117:118]
.LBB82_282:
	s_or_b64 exec, exec, s[18:19]
.LBB82_283:
	s_or_b64 exec, exec, s[0:1]
	v_cmp_ne_u32_e32 vcc, v96, v97
	s_and_saveexec_b64 s[0:1], vcc
	s_xor_b64 s[0:1], exec, s[0:1]
	s_cbranch_execz .LBB82_289
; %bb.284:
	v_cmp_eq_u32_e32 vcc, 13, v96
	s_and_saveexec_b64 s[18:19], vcc
	s_cbranch_execz .LBB82_288
; %bb.285:
	v_cmp_ne_u32_e32 vcc, 13, v97
	s_xor_b64 s[20:21], s[6:7], -1
	s_and_b64 s[22:23], s[20:21], vcc
	s_and_saveexec_b64 s[20:21], s[22:23]
	s_cbranch_execz .LBB82_287
; %bb.286:
	v_ashrrev_i32_e32 v98, 31, v97
	v_lshlrev_b64 v[98:99], 2, v[97:98]
	v_add_co_u32_e32 v98, vcc, v91, v98
	v_addc_co_u32_e32 v99, vcc, v92, v99, vcc
	global_load_dword v0, v[98:99], off
	global_load_dword v96, v[91:92], off offset:52
	s_waitcnt vmcnt(1)
	global_store_dword v[91:92], v0, off offset:52
	s_waitcnt vmcnt(1)
	global_store_dword v[98:99], v96, off
.LBB82_287:
	s_or_b64 exec, exec, s[20:21]
	v_mov_b32_e32 v96, v97
	v_mov_b32_e32 v0, v97
.LBB82_288:
	s_or_b64 exec, exec, s[18:19]
.LBB82_289:
	s_andn2_saveexec_b64 s[0:1], s[0:1]
	s_cbranch_execz .LBB82_291
; %bb.290:
	buffer_load_dword v96, off, s[24:27], 0 offset:64 ; 4-byte Folded Reload
	buffer_load_dword v97, off, s[24:27], 0 offset:68 ; 4-byte Folded Reload
	buffer_load_dword v98, off, s[24:27], 0 offset:72 ; 4-byte Folded Reload
	buffer_load_dword v99, off, s[24:27], 0 offset:76 ; 4-byte Folded Reload
	s_waitcnt vmcnt(0)
	ds_write2_b64 v94, v[96:97], v[98:99] offset0:28 offset1:29
	buffer_load_dword v96, off, s[24:27], 0 offset:48 ; 4-byte Folded Reload
	buffer_load_dword v97, off, s[24:27], 0 offset:52 ; 4-byte Folded Reload
	buffer_load_dword v98, off, s[24:27], 0 offset:56 ; 4-byte Folded Reload
	buffer_load_dword v99, off, s[24:27], 0 offset:60 ; 4-byte Folded Reload
	s_waitcnt vmcnt(0)
	ds_write2_b64 v94, v[96:97], v[98:99] offset0:30 offset1:31
	;; [unrolled: 6-line block ×4, first 2 shown]
	buffer_load_dword v96, off, s[24:27], 0 ; 4-byte Folded Reload
	buffer_load_dword v97, off, s[24:27], 0 offset:4 ; 4-byte Folded Reload
	buffer_load_dword v98, off, s[24:27], 0 offset:8 ; 4-byte Folded Reload
	;; [unrolled: 1-line block ×3, first 2 shown]
	s_waitcnt vmcnt(0)
	ds_write2_b64 v94, v[96:97], v[98:99] offset0:36 offset1:37
	ds_write2_b64 v94, v[85:86], v[87:88] offset0:38 offset1:39
	;; [unrolled: 1-line block ×24, first 2 shown]
	v_mov_b32_e32 v96, 13
.LBB82_291:
	s_or_b64 exec, exec, s[0:1]
	v_cmp_lt_i32_e32 vcc, 13, v96
	s_waitcnt vmcnt(0) lgkmcnt(0)
	s_barrier
	s_and_saveexec_b64 s[0:1], vcc
	s_cbranch_execz .LBB82_293
; %bb.292:
	buffer_load_dword v105, off, s[24:27], 0 offset:80 ; 4-byte Folded Reload
	buffer_load_dword v106, off, s[24:27], 0 offset:84 ; 4-byte Folded Reload
	;; [unrolled: 1-line block ×4, first 2 shown]
	s_waitcnt vmcnt(0)
	v_mul_f64 v[97:98], v[119:120], v[107:108]
	v_fma_f64 v[125:126], v[117:118], v[105:106], -v[97:98]
	v_mul_f64 v[97:98], v[117:118], v[107:108]
	v_fma_f64 v[107:108], v[119:120], v[105:106], v[97:98]
	ds_read2_b64 v[97:100], v94 offset0:28 offset1:29
	buffer_load_dword v103, off, s[24:27], 0 offset:64 ; 4-byte Folded Reload
	buffer_load_dword v104, off, s[24:27], 0 offset:68 ; 4-byte Folded Reload
	buffer_load_dword v105, off, s[24:27], 0 offset:72 ; 4-byte Folded Reload
	buffer_load_dword v106, off, s[24:27], 0 offset:76 ; 4-byte Folded Reload
	s_waitcnt lgkmcnt(0)
	v_mul_f64 v[101:102], v[99:100], v[107:108]
	v_fma_f64 v[101:102], v[97:98], v[125:126], -v[101:102]
	v_mul_f64 v[97:98], v[97:98], v[107:108]
	v_fma_f64 v[97:98], v[99:100], v[125:126], v[97:98]
	s_waitcnt vmcnt(2)
	v_add_f64 v[103:104], v[103:104], -v[101:102]
	s_waitcnt vmcnt(0)
	v_add_f64 v[105:106], v[105:106], -v[97:98]
	buffer_store_dword v103, off, s[24:27], 0 offset:64 ; 4-byte Folded Spill
	s_nop 0
	buffer_store_dword v104, off, s[24:27], 0 offset:68 ; 4-byte Folded Spill
	buffer_store_dword v105, off, s[24:27], 0 offset:72 ; 4-byte Folded Spill
	buffer_store_dword v106, off, s[24:27], 0 offset:76 ; 4-byte Folded Spill
	ds_read2_b64 v[97:100], v94 offset0:30 offset1:31
	buffer_load_dword v103, off, s[24:27], 0 offset:48 ; 4-byte Folded Reload
	buffer_load_dword v104, off, s[24:27], 0 offset:52 ; 4-byte Folded Reload
	buffer_load_dword v105, off, s[24:27], 0 offset:56 ; 4-byte Folded Reload
	buffer_load_dword v106, off, s[24:27], 0 offset:60 ; 4-byte Folded Reload
	s_waitcnt lgkmcnt(0)
	v_mul_f64 v[101:102], v[99:100], v[107:108]
	v_fma_f64 v[101:102], v[97:98], v[125:126], -v[101:102]
	v_mul_f64 v[97:98], v[97:98], v[107:108]
	v_fma_f64 v[97:98], v[99:100], v[125:126], v[97:98]
	s_waitcnt vmcnt(2)
	v_add_f64 v[103:104], v[103:104], -v[101:102]
	s_waitcnt vmcnt(0)
	v_add_f64 v[105:106], v[105:106], -v[97:98]
	buffer_store_dword v103, off, s[24:27], 0 offset:48 ; 4-byte Folded Spill
	s_nop 0
	buffer_store_dword v104, off, s[24:27], 0 offset:52 ; 4-byte Folded Spill
	buffer_store_dword v105, off, s[24:27], 0 offset:56 ; 4-byte Folded Spill
	buffer_store_dword v106, off, s[24:27], 0 offset:60 ; 4-byte Folded Spill
	ds_read2_b64 v[97:100], v94 offset0:32 offset1:33
	buffer_load_dword v103, off, s[24:27], 0 offset:32 ; 4-byte Folded Reload
	buffer_load_dword v104, off, s[24:27], 0 offset:36 ; 4-byte Folded Reload
	buffer_load_dword v105, off, s[24:27], 0 offset:40 ; 4-byte Folded Reload
	buffer_load_dword v106, off, s[24:27], 0 offset:44 ; 4-byte Folded Reload
	s_waitcnt lgkmcnt(0)
	v_mul_f64 v[101:102], v[99:100], v[107:108]
	v_fma_f64 v[101:102], v[97:98], v[125:126], -v[101:102]
	v_mul_f64 v[97:98], v[97:98], v[107:108]
	v_fma_f64 v[97:98], v[99:100], v[125:126], v[97:98]
	s_waitcnt vmcnt(2)
	v_add_f64 v[103:104], v[103:104], -v[101:102]
	s_waitcnt vmcnt(0)
	v_add_f64 v[105:106], v[105:106], -v[97:98]
	buffer_store_dword v103, off, s[24:27], 0 offset:32 ; 4-byte Folded Spill
	s_nop 0
	buffer_store_dword v104, off, s[24:27], 0 offset:36 ; 4-byte Folded Spill
	buffer_store_dword v105, off, s[24:27], 0 offset:40 ; 4-byte Folded Spill
	buffer_store_dword v106, off, s[24:27], 0 offset:44 ; 4-byte Folded Spill
	ds_read2_b64 v[97:100], v94 offset0:34 offset1:35
	buffer_load_dword v103, off, s[24:27], 0 offset:16 ; 4-byte Folded Reload
	buffer_load_dword v104, off, s[24:27], 0 offset:20 ; 4-byte Folded Reload
	buffer_load_dword v105, off, s[24:27], 0 offset:24 ; 4-byte Folded Reload
	buffer_load_dword v106, off, s[24:27], 0 offset:28 ; 4-byte Folded Reload
	s_waitcnt lgkmcnt(0)
	v_mul_f64 v[101:102], v[99:100], v[107:108]
	v_fma_f64 v[101:102], v[97:98], v[125:126], -v[101:102]
	v_mul_f64 v[97:98], v[97:98], v[107:108]
	v_fma_f64 v[97:98], v[99:100], v[125:126], v[97:98]
	s_waitcnt vmcnt(2)
	v_add_f64 v[103:104], v[103:104], -v[101:102]
	s_waitcnt vmcnt(0)
	v_add_f64 v[105:106], v[105:106], -v[97:98]
	buffer_store_dword v103, off, s[24:27], 0 offset:16 ; 4-byte Folded Spill
	s_nop 0
	buffer_store_dword v104, off, s[24:27], 0 offset:20 ; 4-byte Folded Spill
	buffer_store_dword v105, off, s[24:27], 0 offset:24 ; 4-byte Folded Spill
	buffer_store_dword v106, off, s[24:27], 0 offset:28 ; 4-byte Folded Spill
	ds_read2_b64 v[97:100], v94 offset0:36 offset1:37
	buffer_load_dword v103, off, s[24:27], 0 ; 4-byte Folded Reload
	buffer_load_dword v104, off, s[24:27], 0 offset:4 ; 4-byte Folded Reload
	buffer_load_dword v105, off, s[24:27], 0 offset:8 ; 4-byte Folded Reload
	;; [unrolled: 1-line block ×3, first 2 shown]
	s_waitcnt lgkmcnt(0)
	v_mul_f64 v[101:102], v[99:100], v[107:108]
	v_fma_f64 v[101:102], v[97:98], v[125:126], -v[101:102]
	v_mul_f64 v[97:98], v[97:98], v[107:108]
	v_fma_f64 v[97:98], v[99:100], v[125:126], v[97:98]
	s_waitcnt vmcnt(2)
	v_add_f64 v[103:104], v[103:104], -v[101:102]
	s_waitcnt vmcnt(0)
	v_add_f64 v[105:106], v[105:106], -v[97:98]
	buffer_store_dword v103, off, s[24:27], 0 ; 4-byte Folded Spill
	s_nop 0
	buffer_store_dword v104, off, s[24:27], 0 offset:4 ; 4-byte Folded Spill
	buffer_store_dword v105, off, s[24:27], 0 offset:8 ; 4-byte Folded Spill
	;; [unrolled: 1-line block ×3, first 2 shown]
	ds_read2_b64 v[97:100], v94 offset0:38 offset1:39
	v_mov_b32_e32 v105, v125
	v_mov_b32_e32 v106, v126
	s_waitcnt lgkmcnt(0)
	v_mul_f64 v[101:102], v[99:100], v[107:108]
	v_fma_f64 v[101:102], v[97:98], v[125:126], -v[101:102]
	v_mul_f64 v[97:98], v[97:98], v[107:108]
	v_add_f64 v[85:86], v[85:86], -v[101:102]
	v_fma_f64 v[97:98], v[99:100], v[125:126], v[97:98]
	v_add_f64 v[87:88], v[87:88], -v[97:98]
	ds_read2_b64 v[97:100], v94 offset0:40 offset1:41
	s_waitcnt lgkmcnt(0)
	v_mul_f64 v[101:102], v[99:100], v[107:108]
	v_fma_f64 v[101:102], v[97:98], v[125:126], -v[101:102]
	v_mul_f64 v[97:98], v[97:98], v[107:108]
	v_add_f64 v[81:82], v[81:82], -v[101:102]
	v_fma_f64 v[97:98], v[99:100], v[125:126], v[97:98]
	v_add_f64 v[83:84], v[83:84], -v[97:98]
	ds_read2_b64 v[97:100], v94 offset0:42 offset1:43
	;; [unrolled: 8-line block ×22, first 2 shown]
	s_waitcnt lgkmcnt(0)
	v_mul_f64 v[101:102], v[99:100], v[107:108]
	v_fma_f64 v[101:102], v[97:98], v[125:126], -v[101:102]
	v_mul_f64 v[97:98], v[97:98], v[107:108]
	buffer_store_dword v105, off, s[24:27], 0 offset:80 ; 4-byte Folded Spill
	s_nop 0
	buffer_store_dword v106, off, s[24:27], 0 offset:84 ; 4-byte Folded Spill
	buffer_store_dword v107, off, s[24:27], 0 offset:88 ; 4-byte Folded Spill
	;; [unrolled: 1-line block ×3, first 2 shown]
	v_add_f64 v[121:122], v[121:122], -v[101:102]
	v_fma_f64 v[97:98], v[99:100], v[125:126], v[97:98]
	v_add_f64 v[123:124], v[123:124], -v[97:98]
.LBB82_293:
	s_or_b64 exec, exec, s[0:1]
	s_waitcnt vmcnt(0)
	s_barrier
	buffer_load_dword v98, off, s[24:27], 0 offset:64 ; 4-byte Folded Reload
	buffer_load_dword v99, off, s[24:27], 0 offset:68 ; 4-byte Folded Reload
	;; [unrolled: 1-line block ×4, first 2 shown]
	v_lshl_add_u32 v97, v96, 4, v94
	s_cmp_lt_i32 s3, 16
	s_waitcnt vmcnt(0)
	ds_write2_b64 v97, v[98:99], v[100:101] offset1:1
	s_waitcnt lgkmcnt(0)
	s_barrier
	ds_read2_b64 v[117:120], v94 offset0:28 offset1:29
	v_mov_b32_e32 v97, 14
	s_cbranch_scc1 .LBB82_296
; %bb.294:
	v_add_u32_e32 v98, 0xf0, v94
	s_mov_b32 s0, 15
	v_mov_b32_e32 v97, 14
.LBB82_295:                             ; =>This Inner Loop Header: Depth=1
	s_waitcnt lgkmcnt(0)
	v_cmp_gt_f64_e32 vcc, 0, v[117:118]
	v_xor_b32_e32 v103, 0x80000000, v118
	ds_read2_b64 v[99:102], v98 offset1:1
	v_xor_b32_e32 v105, 0x80000000, v120
	v_add_u32_e32 v98, 16, v98
	s_waitcnt lgkmcnt(0)
	v_xor_b32_e32 v107, 0x80000000, v102
	v_cndmask_b32_e32 v104, v118, v103, vcc
	v_cmp_gt_f64_e32 vcc, 0, v[119:120]
	v_mov_b32_e32 v103, v117
	v_cndmask_b32_e32 v106, v120, v105, vcc
	v_cmp_gt_f64_e32 vcc, 0, v[99:100]
	v_mov_b32_e32 v105, v119
	v_add_f64 v[103:104], v[103:104], v[105:106]
	v_xor_b32_e32 v105, 0x80000000, v100
	v_cndmask_b32_e32 v106, v100, v105, vcc
	v_cmp_gt_f64_e32 vcc, 0, v[101:102]
	v_mov_b32_e32 v105, v99
	v_cndmask_b32_e32 v108, v102, v107, vcc
	v_mov_b32_e32 v107, v101
	v_add_f64 v[105:106], v[105:106], v[107:108]
	v_cmp_lt_f64_e32 vcc, v[103:104], v[105:106]
	v_cndmask_b32_e32 v117, v117, v99, vcc
	v_mov_b32_e32 v99, s0
	s_add_i32 s0, s0, 1
	v_cndmask_b32_e32 v118, v118, v100, vcc
	v_cndmask_b32_e32 v120, v120, v102, vcc
	;; [unrolled: 1-line block ×4, first 2 shown]
	s_cmp_lg_u32 s3, s0
	s_cbranch_scc1 .LBB82_295
.LBB82_296:
	s_waitcnt lgkmcnt(0)
	v_cmp_eq_f64_e32 vcc, 0, v[117:118]
	v_cmp_eq_f64_e64 s[0:1], 0, v[119:120]
	s_and_b64 s[0:1], vcc, s[0:1]
	s_and_saveexec_b64 s[18:19], s[0:1]
	s_xor_b64 s[0:1], exec, s[18:19]
; %bb.297:
	v_cmp_ne_u32_e32 vcc, 0, v95
	v_cndmask_b32_e32 v95, 15, v95, vcc
; %bb.298:
	s_andn2_saveexec_b64 s[0:1], s[0:1]
	s_cbranch_execz .LBB82_304
; %bb.299:
	v_cmp_ngt_f64_e64 s[18:19], |v[117:118]|, |v[119:120]|
	s_and_saveexec_b64 s[20:21], s[18:19]
	s_xor_b64 s[18:19], exec, s[20:21]
	s_cbranch_execz .LBB82_301
; %bb.300:
	v_div_scale_f64 v[98:99], s[20:21], v[119:120], v[119:120], v[117:118]
	v_rcp_f64_e32 v[100:101], v[98:99]
	v_fma_f64 v[102:103], -v[98:99], v[100:101], 1.0
	v_fma_f64 v[100:101], v[100:101], v[102:103], v[100:101]
	v_div_scale_f64 v[102:103], vcc, v[117:118], v[119:120], v[117:118]
	v_fma_f64 v[104:105], -v[98:99], v[100:101], 1.0
	v_fma_f64 v[100:101], v[100:101], v[104:105], v[100:101]
	v_mul_f64 v[104:105], v[102:103], v[100:101]
	v_fma_f64 v[98:99], -v[98:99], v[104:105], v[102:103]
	v_div_fmas_f64 v[98:99], v[98:99], v[100:101], v[104:105]
	v_div_fixup_f64 v[98:99], v[98:99], v[119:120], v[117:118]
	v_fma_f64 v[100:101], v[117:118], v[98:99], v[119:120]
	v_div_scale_f64 v[102:103], s[20:21], v[100:101], v[100:101], 1.0
	v_div_scale_f64 v[108:109], vcc, 1.0, v[100:101], 1.0
	v_rcp_f64_e32 v[104:105], v[102:103]
	v_fma_f64 v[106:107], -v[102:103], v[104:105], 1.0
	v_fma_f64 v[104:105], v[104:105], v[106:107], v[104:105]
	v_fma_f64 v[106:107], -v[102:103], v[104:105], 1.0
	v_fma_f64 v[104:105], v[104:105], v[106:107], v[104:105]
	v_mul_f64 v[106:107], v[108:109], v[104:105]
	v_fma_f64 v[102:103], -v[102:103], v[106:107], v[108:109]
	v_div_fmas_f64 v[102:103], v[102:103], v[104:105], v[106:107]
	v_div_fixup_f64 v[119:120], v[102:103], v[100:101], 1.0
	v_mul_f64 v[117:118], v[98:99], v[119:120]
	v_xor_b32_e32 v120, 0x80000000, v120
.LBB82_301:
	s_andn2_saveexec_b64 s[18:19], s[18:19]
	s_cbranch_execz .LBB82_303
; %bb.302:
	v_div_scale_f64 v[98:99], s[20:21], v[117:118], v[117:118], v[119:120]
	v_rcp_f64_e32 v[100:101], v[98:99]
	v_fma_f64 v[102:103], -v[98:99], v[100:101], 1.0
	v_fma_f64 v[100:101], v[100:101], v[102:103], v[100:101]
	v_div_scale_f64 v[102:103], vcc, v[119:120], v[117:118], v[119:120]
	v_fma_f64 v[104:105], -v[98:99], v[100:101], 1.0
	v_fma_f64 v[100:101], v[100:101], v[104:105], v[100:101]
	v_mul_f64 v[104:105], v[102:103], v[100:101]
	v_fma_f64 v[98:99], -v[98:99], v[104:105], v[102:103]
	v_div_fmas_f64 v[98:99], v[98:99], v[100:101], v[104:105]
	v_div_fixup_f64 v[98:99], v[98:99], v[117:118], v[119:120]
	v_fma_f64 v[100:101], v[119:120], v[98:99], v[117:118]
	v_div_scale_f64 v[102:103], s[20:21], v[100:101], v[100:101], 1.0
	v_div_scale_f64 v[108:109], vcc, 1.0, v[100:101], 1.0
	v_rcp_f64_e32 v[104:105], v[102:103]
	v_fma_f64 v[106:107], -v[102:103], v[104:105], 1.0
	v_fma_f64 v[104:105], v[104:105], v[106:107], v[104:105]
	v_fma_f64 v[106:107], -v[102:103], v[104:105], 1.0
	v_fma_f64 v[104:105], v[104:105], v[106:107], v[104:105]
	v_mul_f64 v[106:107], v[108:109], v[104:105]
	v_fma_f64 v[102:103], -v[102:103], v[106:107], v[108:109]
	v_div_fmas_f64 v[102:103], v[102:103], v[104:105], v[106:107]
	v_div_fixup_f64 v[117:118], v[102:103], v[100:101], 1.0
	v_mul_f64 v[119:120], v[98:99], -v[117:118]
.LBB82_303:
	s_or_b64 exec, exec, s[18:19]
.LBB82_304:
	s_or_b64 exec, exec, s[0:1]
	v_cmp_ne_u32_e32 vcc, v96, v97
	s_and_saveexec_b64 s[0:1], vcc
	s_xor_b64 s[0:1], exec, s[0:1]
	s_cbranch_execz .LBB82_310
; %bb.305:
	v_cmp_eq_u32_e32 vcc, 14, v96
	s_and_saveexec_b64 s[18:19], vcc
	s_cbranch_execz .LBB82_309
; %bb.306:
	v_cmp_ne_u32_e32 vcc, 14, v97
	s_xor_b64 s[20:21], s[6:7], -1
	s_and_b64 s[22:23], s[20:21], vcc
	s_and_saveexec_b64 s[20:21], s[22:23]
	s_cbranch_execz .LBB82_308
; %bb.307:
	v_ashrrev_i32_e32 v98, 31, v97
	v_lshlrev_b64 v[98:99], 2, v[97:98]
	v_add_co_u32_e32 v98, vcc, v91, v98
	v_addc_co_u32_e32 v99, vcc, v92, v99, vcc
	global_load_dword v0, v[98:99], off
	global_load_dword v96, v[91:92], off offset:56
	s_waitcnt vmcnt(1)
	global_store_dword v[91:92], v0, off offset:56
	s_waitcnt vmcnt(1)
	global_store_dword v[98:99], v96, off
.LBB82_308:
	s_or_b64 exec, exec, s[20:21]
	v_mov_b32_e32 v96, v97
	v_mov_b32_e32 v0, v97
.LBB82_309:
	s_or_b64 exec, exec, s[18:19]
.LBB82_310:
	s_andn2_saveexec_b64 s[0:1], s[0:1]
	s_cbranch_execz .LBB82_312
; %bb.311:
	buffer_load_dword v96, off, s[24:27], 0 offset:48 ; 4-byte Folded Reload
	buffer_load_dword v97, off, s[24:27], 0 offset:52 ; 4-byte Folded Reload
	buffer_load_dword v98, off, s[24:27], 0 offset:56 ; 4-byte Folded Reload
	buffer_load_dword v99, off, s[24:27], 0 offset:60 ; 4-byte Folded Reload
	s_waitcnt vmcnt(0)
	ds_write2_b64 v94, v[96:97], v[98:99] offset0:30 offset1:31
	buffer_load_dword v96, off, s[24:27], 0 offset:32 ; 4-byte Folded Reload
	buffer_load_dword v97, off, s[24:27], 0 offset:36 ; 4-byte Folded Reload
	buffer_load_dword v98, off, s[24:27], 0 offset:40 ; 4-byte Folded Reload
	buffer_load_dword v99, off, s[24:27], 0 offset:44 ; 4-byte Folded Reload
	s_waitcnt vmcnt(0)
	ds_write2_b64 v94, v[96:97], v[98:99] offset0:32 offset1:33
	;; [unrolled: 6-line block ×3, first 2 shown]
	buffer_load_dword v96, off, s[24:27], 0 ; 4-byte Folded Reload
	buffer_load_dword v97, off, s[24:27], 0 offset:4 ; 4-byte Folded Reload
	buffer_load_dword v98, off, s[24:27], 0 offset:8 ; 4-byte Folded Reload
	;; [unrolled: 1-line block ×3, first 2 shown]
	s_waitcnt vmcnt(0)
	ds_write2_b64 v94, v[96:97], v[98:99] offset0:36 offset1:37
	ds_write2_b64 v94, v[85:86], v[87:88] offset0:38 offset1:39
	ds_write2_b64 v94, v[81:82], v[83:84] offset0:40 offset1:41
	ds_write2_b64 v94, v[77:78], v[79:80] offset0:42 offset1:43
	ds_write2_b64 v94, v[73:74], v[75:76] offset0:44 offset1:45
	ds_write2_b64 v94, v[69:70], v[71:72] offset0:46 offset1:47
	ds_write2_b64 v94, v[65:66], v[67:68] offset0:48 offset1:49
	ds_write2_b64 v94, v[61:62], v[63:64] offset0:50 offset1:51
	ds_write2_b64 v94, v[57:58], v[59:60] offset0:52 offset1:53
	ds_write2_b64 v94, v[53:54], v[55:56] offset0:54 offset1:55
	ds_write2_b64 v94, v[49:50], v[51:52] offset0:56 offset1:57
	ds_write2_b64 v94, v[45:46], v[47:48] offset0:58 offset1:59
	ds_write2_b64 v94, v[41:42], v[43:44] offset0:60 offset1:61
	ds_write2_b64 v94, v[37:38], v[39:40] offset0:62 offset1:63
	ds_write2_b64 v94, v[33:34], v[35:36] offset0:64 offset1:65
	ds_write2_b64 v94, v[29:30], v[31:32] offset0:66 offset1:67
	ds_write2_b64 v94, v[25:26], v[27:28] offset0:68 offset1:69
	ds_write2_b64 v94, v[21:22], v[23:24] offset0:70 offset1:71
	ds_write2_b64 v94, v[17:18], v[19:20] offset0:72 offset1:73
	ds_write2_b64 v94, v[13:14], v[15:16] offset0:74 offset1:75
	ds_write2_b64 v94, v[9:10], v[11:12] offset0:76 offset1:77
	ds_write2_b64 v94, v[5:6], v[7:8] offset0:78 offset1:79
	ds_write2_b64 v94, v[1:2], v[3:4] offset0:80 offset1:81
	ds_write2_b64 v94, v[121:122], v[123:124] offset0:82 offset1:83
	v_mov_b32_e32 v96, 14
.LBB82_312:
	s_or_b64 exec, exec, s[0:1]
	v_cmp_lt_i32_e32 vcc, 14, v96
	s_waitcnt vmcnt(0) lgkmcnt(0)
	s_barrier
	s_and_saveexec_b64 s[0:1], vcc
	s_cbranch_execz .LBB82_314
; %bb.313:
	buffer_load_dword v105, off, s[24:27], 0 offset:64 ; 4-byte Folded Reload
	buffer_load_dword v106, off, s[24:27], 0 offset:68 ; 4-byte Folded Reload
	buffer_load_dword v107, off, s[24:27], 0 offset:72 ; 4-byte Folded Reload
	buffer_load_dword v108, off, s[24:27], 0 offset:76 ; 4-byte Folded Reload
	s_waitcnt vmcnt(0)
	v_mul_f64 v[97:98], v[119:120], v[107:108]
	v_fma_f64 v[125:126], v[117:118], v[105:106], -v[97:98]
	v_mul_f64 v[97:98], v[117:118], v[107:108]
	v_fma_f64 v[107:108], v[119:120], v[105:106], v[97:98]
	ds_read2_b64 v[97:100], v94 offset0:30 offset1:31
	buffer_load_dword v103, off, s[24:27], 0 offset:48 ; 4-byte Folded Reload
	buffer_load_dword v104, off, s[24:27], 0 offset:52 ; 4-byte Folded Reload
	buffer_load_dword v105, off, s[24:27], 0 offset:56 ; 4-byte Folded Reload
	buffer_load_dword v106, off, s[24:27], 0 offset:60 ; 4-byte Folded Reload
	s_waitcnt lgkmcnt(0)
	v_mul_f64 v[101:102], v[99:100], v[107:108]
	v_fma_f64 v[101:102], v[97:98], v[125:126], -v[101:102]
	v_mul_f64 v[97:98], v[97:98], v[107:108]
	v_fma_f64 v[97:98], v[99:100], v[125:126], v[97:98]
	s_waitcnt vmcnt(2)
	v_add_f64 v[103:104], v[103:104], -v[101:102]
	s_waitcnt vmcnt(0)
	v_add_f64 v[105:106], v[105:106], -v[97:98]
	buffer_store_dword v103, off, s[24:27], 0 offset:48 ; 4-byte Folded Spill
	s_nop 0
	buffer_store_dword v104, off, s[24:27], 0 offset:52 ; 4-byte Folded Spill
	buffer_store_dword v105, off, s[24:27], 0 offset:56 ; 4-byte Folded Spill
	buffer_store_dword v106, off, s[24:27], 0 offset:60 ; 4-byte Folded Spill
	ds_read2_b64 v[97:100], v94 offset0:32 offset1:33
	buffer_load_dword v103, off, s[24:27], 0 offset:32 ; 4-byte Folded Reload
	buffer_load_dword v104, off, s[24:27], 0 offset:36 ; 4-byte Folded Reload
	buffer_load_dword v105, off, s[24:27], 0 offset:40 ; 4-byte Folded Reload
	buffer_load_dword v106, off, s[24:27], 0 offset:44 ; 4-byte Folded Reload
	s_waitcnt lgkmcnt(0)
	v_mul_f64 v[101:102], v[99:100], v[107:108]
	v_fma_f64 v[101:102], v[97:98], v[125:126], -v[101:102]
	v_mul_f64 v[97:98], v[97:98], v[107:108]
	v_fma_f64 v[97:98], v[99:100], v[125:126], v[97:98]
	s_waitcnt vmcnt(2)
	v_add_f64 v[103:104], v[103:104], -v[101:102]
	s_waitcnt vmcnt(0)
	v_add_f64 v[105:106], v[105:106], -v[97:98]
	buffer_store_dword v103, off, s[24:27], 0 offset:32 ; 4-byte Folded Spill
	s_nop 0
	buffer_store_dword v104, off, s[24:27], 0 offset:36 ; 4-byte Folded Spill
	buffer_store_dword v105, off, s[24:27], 0 offset:40 ; 4-byte Folded Spill
	buffer_store_dword v106, off, s[24:27], 0 offset:44 ; 4-byte Folded Spill
	;; [unrolled: 19-line block ×3, first 2 shown]
	ds_read2_b64 v[97:100], v94 offset0:36 offset1:37
	buffer_load_dword v103, off, s[24:27], 0 ; 4-byte Folded Reload
	buffer_load_dword v104, off, s[24:27], 0 offset:4 ; 4-byte Folded Reload
	buffer_load_dword v105, off, s[24:27], 0 offset:8 ; 4-byte Folded Reload
	;; [unrolled: 1-line block ×3, first 2 shown]
	s_waitcnt lgkmcnt(0)
	v_mul_f64 v[101:102], v[99:100], v[107:108]
	v_fma_f64 v[101:102], v[97:98], v[125:126], -v[101:102]
	v_mul_f64 v[97:98], v[97:98], v[107:108]
	v_fma_f64 v[97:98], v[99:100], v[125:126], v[97:98]
	s_waitcnt vmcnt(2)
	v_add_f64 v[103:104], v[103:104], -v[101:102]
	s_waitcnt vmcnt(0)
	v_add_f64 v[105:106], v[105:106], -v[97:98]
	buffer_store_dword v103, off, s[24:27], 0 ; 4-byte Folded Spill
	s_nop 0
	buffer_store_dword v104, off, s[24:27], 0 offset:4 ; 4-byte Folded Spill
	buffer_store_dword v105, off, s[24:27], 0 offset:8 ; 4-byte Folded Spill
	buffer_store_dword v106, off, s[24:27], 0 offset:12 ; 4-byte Folded Spill
	ds_read2_b64 v[97:100], v94 offset0:38 offset1:39
	v_mov_b32_e32 v105, v125
	v_mov_b32_e32 v106, v126
	s_waitcnt lgkmcnt(0)
	v_mul_f64 v[101:102], v[99:100], v[107:108]
	v_fma_f64 v[101:102], v[97:98], v[125:126], -v[101:102]
	v_mul_f64 v[97:98], v[97:98], v[107:108]
	v_add_f64 v[85:86], v[85:86], -v[101:102]
	v_fma_f64 v[97:98], v[99:100], v[125:126], v[97:98]
	v_add_f64 v[87:88], v[87:88], -v[97:98]
	ds_read2_b64 v[97:100], v94 offset0:40 offset1:41
	s_waitcnt lgkmcnt(0)
	v_mul_f64 v[101:102], v[99:100], v[107:108]
	v_fma_f64 v[101:102], v[97:98], v[125:126], -v[101:102]
	v_mul_f64 v[97:98], v[97:98], v[107:108]
	v_add_f64 v[81:82], v[81:82], -v[101:102]
	v_fma_f64 v[97:98], v[99:100], v[125:126], v[97:98]
	v_add_f64 v[83:84], v[83:84], -v[97:98]
	ds_read2_b64 v[97:100], v94 offset0:42 offset1:43
	s_waitcnt lgkmcnt(0)
	v_mul_f64 v[101:102], v[99:100], v[107:108]
	v_fma_f64 v[101:102], v[97:98], v[125:126], -v[101:102]
	v_mul_f64 v[97:98], v[97:98], v[107:108]
	v_add_f64 v[77:78], v[77:78], -v[101:102]
	v_fma_f64 v[97:98], v[99:100], v[125:126], v[97:98]
	v_add_f64 v[79:80], v[79:80], -v[97:98]
	ds_read2_b64 v[97:100], v94 offset0:44 offset1:45
	s_waitcnt lgkmcnt(0)
	v_mul_f64 v[101:102], v[99:100], v[107:108]
	v_fma_f64 v[101:102], v[97:98], v[125:126], -v[101:102]
	v_mul_f64 v[97:98], v[97:98], v[107:108]
	v_add_f64 v[73:74], v[73:74], -v[101:102]
	v_fma_f64 v[97:98], v[99:100], v[125:126], v[97:98]
	v_add_f64 v[75:76], v[75:76], -v[97:98]
	ds_read2_b64 v[97:100], v94 offset0:46 offset1:47
	s_waitcnt lgkmcnt(0)
	v_mul_f64 v[101:102], v[99:100], v[107:108]
	v_fma_f64 v[101:102], v[97:98], v[125:126], -v[101:102]
	v_mul_f64 v[97:98], v[97:98], v[107:108]
	v_add_f64 v[69:70], v[69:70], -v[101:102]
	v_fma_f64 v[97:98], v[99:100], v[125:126], v[97:98]
	v_add_f64 v[71:72], v[71:72], -v[97:98]
	ds_read2_b64 v[97:100], v94 offset0:48 offset1:49
	s_waitcnt lgkmcnt(0)
	v_mul_f64 v[101:102], v[99:100], v[107:108]
	v_fma_f64 v[101:102], v[97:98], v[125:126], -v[101:102]
	v_mul_f64 v[97:98], v[97:98], v[107:108]
	v_add_f64 v[65:66], v[65:66], -v[101:102]
	v_fma_f64 v[97:98], v[99:100], v[125:126], v[97:98]
	v_add_f64 v[67:68], v[67:68], -v[97:98]
	ds_read2_b64 v[97:100], v94 offset0:50 offset1:51
	s_waitcnt lgkmcnt(0)
	v_mul_f64 v[101:102], v[99:100], v[107:108]
	v_fma_f64 v[101:102], v[97:98], v[125:126], -v[101:102]
	v_mul_f64 v[97:98], v[97:98], v[107:108]
	v_add_f64 v[61:62], v[61:62], -v[101:102]
	v_fma_f64 v[97:98], v[99:100], v[125:126], v[97:98]
	v_add_f64 v[63:64], v[63:64], -v[97:98]
	ds_read2_b64 v[97:100], v94 offset0:52 offset1:53
	s_waitcnt lgkmcnt(0)
	v_mul_f64 v[101:102], v[99:100], v[107:108]
	v_fma_f64 v[101:102], v[97:98], v[125:126], -v[101:102]
	v_mul_f64 v[97:98], v[97:98], v[107:108]
	v_add_f64 v[57:58], v[57:58], -v[101:102]
	v_fma_f64 v[97:98], v[99:100], v[125:126], v[97:98]
	v_add_f64 v[59:60], v[59:60], -v[97:98]
	ds_read2_b64 v[97:100], v94 offset0:54 offset1:55
	s_waitcnt lgkmcnt(0)
	v_mul_f64 v[101:102], v[99:100], v[107:108]
	v_fma_f64 v[101:102], v[97:98], v[125:126], -v[101:102]
	v_mul_f64 v[97:98], v[97:98], v[107:108]
	v_add_f64 v[53:54], v[53:54], -v[101:102]
	v_fma_f64 v[97:98], v[99:100], v[125:126], v[97:98]
	v_add_f64 v[55:56], v[55:56], -v[97:98]
	ds_read2_b64 v[97:100], v94 offset0:56 offset1:57
	s_waitcnt lgkmcnt(0)
	v_mul_f64 v[101:102], v[99:100], v[107:108]
	v_fma_f64 v[101:102], v[97:98], v[125:126], -v[101:102]
	v_mul_f64 v[97:98], v[97:98], v[107:108]
	v_add_f64 v[49:50], v[49:50], -v[101:102]
	v_fma_f64 v[97:98], v[99:100], v[125:126], v[97:98]
	v_add_f64 v[51:52], v[51:52], -v[97:98]
	ds_read2_b64 v[97:100], v94 offset0:58 offset1:59
	s_waitcnt lgkmcnt(0)
	v_mul_f64 v[101:102], v[99:100], v[107:108]
	v_fma_f64 v[101:102], v[97:98], v[125:126], -v[101:102]
	v_mul_f64 v[97:98], v[97:98], v[107:108]
	v_add_f64 v[45:46], v[45:46], -v[101:102]
	v_fma_f64 v[97:98], v[99:100], v[125:126], v[97:98]
	v_add_f64 v[47:48], v[47:48], -v[97:98]
	ds_read2_b64 v[97:100], v94 offset0:60 offset1:61
	s_waitcnt lgkmcnt(0)
	v_mul_f64 v[101:102], v[99:100], v[107:108]
	v_fma_f64 v[101:102], v[97:98], v[125:126], -v[101:102]
	v_mul_f64 v[97:98], v[97:98], v[107:108]
	v_add_f64 v[41:42], v[41:42], -v[101:102]
	v_fma_f64 v[97:98], v[99:100], v[125:126], v[97:98]
	v_add_f64 v[43:44], v[43:44], -v[97:98]
	ds_read2_b64 v[97:100], v94 offset0:62 offset1:63
	s_waitcnt lgkmcnt(0)
	v_mul_f64 v[101:102], v[99:100], v[107:108]
	v_fma_f64 v[101:102], v[97:98], v[125:126], -v[101:102]
	v_mul_f64 v[97:98], v[97:98], v[107:108]
	v_add_f64 v[37:38], v[37:38], -v[101:102]
	v_fma_f64 v[97:98], v[99:100], v[125:126], v[97:98]
	v_add_f64 v[39:40], v[39:40], -v[97:98]
	ds_read2_b64 v[97:100], v94 offset0:64 offset1:65
	s_waitcnt lgkmcnt(0)
	v_mul_f64 v[101:102], v[99:100], v[107:108]
	v_fma_f64 v[101:102], v[97:98], v[125:126], -v[101:102]
	v_mul_f64 v[97:98], v[97:98], v[107:108]
	v_add_f64 v[33:34], v[33:34], -v[101:102]
	v_fma_f64 v[97:98], v[99:100], v[125:126], v[97:98]
	v_add_f64 v[35:36], v[35:36], -v[97:98]
	ds_read2_b64 v[97:100], v94 offset0:66 offset1:67
	s_waitcnt lgkmcnt(0)
	v_mul_f64 v[101:102], v[99:100], v[107:108]
	v_fma_f64 v[101:102], v[97:98], v[125:126], -v[101:102]
	v_mul_f64 v[97:98], v[97:98], v[107:108]
	v_add_f64 v[29:30], v[29:30], -v[101:102]
	v_fma_f64 v[97:98], v[99:100], v[125:126], v[97:98]
	v_add_f64 v[31:32], v[31:32], -v[97:98]
	ds_read2_b64 v[97:100], v94 offset0:68 offset1:69
	s_waitcnt lgkmcnt(0)
	v_mul_f64 v[101:102], v[99:100], v[107:108]
	v_fma_f64 v[101:102], v[97:98], v[125:126], -v[101:102]
	v_mul_f64 v[97:98], v[97:98], v[107:108]
	v_add_f64 v[25:26], v[25:26], -v[101:102]
	v_fma_f64 v[97:98], v[99:100], v[125:126], v[97:98]
	v_add_f64 v[27:28], v[27:28], -v[97:98]
	ds_read2_b64 v[97:100], v94 offset0:70 offset1:71
	s_waitcnt lgkmcnt(0)
	v_mul_f64 v[101:102], v[99:100], v[107:108]
	v_fma_f64 v[101:102], v[97:98], v[125:126], -v[101:102]
	v_mul_f64 v[97:98], v[97:98], v[107:108]
	v_add_f64 v[21:22], v[21:22], -v[101:102]
	v_fma_f64 v[97:98], v[99:100], v[125:126], v[97:98]
	v_add_f64 v[23:24], v[23:24], -v[97:98]
	ds_read2_b64 v[97:100], v94 offset0:72 offset1:73
	s_waitcnt lgkmcnt(0)
	v_mul_f64 v[101:102], v[99:100], v[107:108]
	v_fma_f64 v[101:102], v[97:98], v[125:126], -v[101:102]
	v_mul_f64 v[97:98], v[97:98], v[107:108]
	v_add_f64 v[17:18], v[17:18], -v[101:102]
	v_fma_f64 v[97:98], v[99:100], v[125:126], v[97:98]
	v_add_f64 v[19:20], v[19:20], -v[97:98]
	ds_read2_b64 v[97:100], v94 offset0:74 offset1:75
	s_waitcnt lgkmcnt(0)
	v_mul_f64 v[101:102], v[99:100], v[107:108]
	v_fma_f64 v[101:102], v[97:98], v[125:126], -v[101:102]
	v_mul_f64 v[97:98], v[97:98], v[107:108]
	v_add_f64 v[13:14], v[13:14], -v[101:102]
	v_fma_f64 v[97:98], v[99:100], v[125:126], v[97:98]
	v_add_f64 v[15:16], v[15:16], -v[97:98]
	ds_read2_b64 v[97:100], v94 offset0:76 offset1:77
	s_waitcnt lgkmcnt(0)
	v_mul_f64 v[101:102], v[99:100], v[107:108]
	v_fma_f64 v[101:102], v[97:98], v[125:126], -v[101:102]
	v_mul_f64 v[97:98], v[97:98], v[107:108]
	v_add_f64 v[9:10], v[9:10], -v[101:102]
	v_fma_f64 v[97:98], v[99:100], v[125:126], v[97:98]
	v_add_f64 v[11:12], v[11:12], -v[97:98]
	ds_read2_b64 v[97:100], v94 offset0:78 offset1:79
	s_waitcnt lgkmcnt(0)
	v_mul_f64 v[101:102], v[99:100], v[107:108]
	v_fma_f64 v[101:102], v[97:98], v[125:126], -v[101:102]
	v_mul_f64 v[97:98], v[97:98], v[107:108]
	v_add_f64 v[5:6], v[5:6], -v[101:102]
	v_fma_f64 v[97:98], v[99:100], v[125:126], v[97:98]
	v_add_f64 v[7:8], v[7:8], -v[97:98]
	ds_read2_b64 v[97:100], v94 offset0:80 offset1:81
	s_waitcnt lgkmcnt(0)
	v_mul_f64 v[101:102], v[99:100], v[107:108]
	v_fma_f64 v[101:102], v[97:98], v[125:126], -v[101:102]
	v_mul_f64 v[97:98], v[97:98], v[107:108]
	v_add_f64 v[1:2], v[1:2], -v[101:102]
	v_fma_f64 v[97:98], v[99:100], v[125:126], v[97:98]
	v_add_f64 v[3:4], v[3:4], -v[97:98]
	ds_read2_b64 v[97:100], v94 offset0:82 offset1:83
	s_waitcnt lgkmcnt(0)
	v_mul_f64 v[101:102], v[99:100], v[107:108]
	v_fma_f64 v[101:102], v[97:98], v[125:126], -v[101:102]
	v_mul_f64 v[97:98], v[97:98], v[107:108]
	buffer_store_dword v105, off, s[24:27], 0 offset:64 ; 4-byte Folded Spill
	s_nop 0
	buffer_store_dword v106, off, s[24:27], 0 offset:68 ; 4-byte Folded Spill
	buffer_store_dword v107, off, s[24:27], 0 offset:72 ; 4-byte Folded Spill
	;; [unrolled: 1-line block ×3, first 2 shown]
	v_add_f64 v[121:122], v[121:122], -v[101:102]
	v_fma_f64 v[97:98], v[99:100], v[125:126], v[97:98]
	v_add_f64 v[123:124], v[123:124], -v[97:98]
.LBB82_314:
	s_or_b64 exec, exec, s[0:1]
	s_waitcnt vmcnt(0)
	s_barrier
	buffer_load_dword v98, off, s[24:27], 0 offset:48 ; 4-byte Folded Reload
	buffer_load_dword v99, off, s[24:27], 0 offset:52 ; 4-byte Folded Reload
	;; [unrolled: 1-line block ×4, first 2 shown]
	v_lshl_add_u32 v97, v96, 4, v94
	s_cmp_lt_i32 s3, 17
	s_waitcnt vmcnt(0)
	ds_write2_b64 v97, v[98:99], v[100:101] offset1:1
	s_waitcnt lgkmcnt(0)
	s_barrier
	ds_read2_b64 v[117:120], v94 offset0:30 offset1:31
	v_mov_b32_e32 v97, 15
	s_cbranch_scc1 .LBB82_317
; %bb.315:
	v_add_u32_e32 v98, 0x100, v94
	s_mov_b32 s0, 16
	v_mov_b32_e32 v97, 15
.LBB82_316:                             ; =>This Inner Loop Header: Depth=1
	s_waitcnt lgkmcnt(0)
	v_cmp_gt_f64_e32 vcc, 0, v[117:118]
	v_xor_b32_e32 v103, 0x80000000, v118
	ds_read2_b64 v[99:102], v98 offset1:1
	v_xor_b32_e32 v105, 0x80000000, v120
	v_add_u32_e32 v98, 16, v98
	s_waitcnt lgkmcnt(0)
	v_xor_b32_e32 v107, 0x80000000, v102
	v_cndmask_b32_e32 v104, v118, v103, vcc
	v_cmp_gt_f64_e32 vcc, 0, v[119:120]
	v_mov_b32_e32 v103, v117
	v_cndmask_b32_e32 v106, v120, v105, vcc
	v_cmp_gt_f64_e32 vcc, 0, v[99:100]
	v_mov_b32_e32 v105, v119
	v_add_f64 v[103:104], v[103:104], v[105:106]
	v_xor_b32_e32 v105, 0x80000000, v100
	v_cndmask_b32_e32 v106, v100, v105, vcc
	v_cmp_gt_f64_e32 vcc, 0, v[101:102]
	v_mov_b32_e32 v105, v99
	v_cndmask_b32_e32 v108, v102, v107, vcc
	v_mov_b32_e32 v107, v101
	v_add_f64 v[105:106], v[105:106], v[107:108]
	v_cmp_lt_f64_e32 vcc, v[103:104], v[105:106]
	v_cndmask_b32_e32 v117, v117, v99, vcc
	v_mov_b32_e32 v99, s0
	s_add_i32 s0, s0, 1
	v_cndmask_b32_e32 v118, v118, v100, vcc
	v_cndmask_b32_e32 v120, v120, v102, vcc
	;; [unrolled: 1-line block ×4, first 2 shown]
	s_cmp_lg_u32 s3, s0
	s_cbranch_scc1 .LBB82_316
.LBB82_317:
	s_waitcnt lgkmcnt(0)
	v_cmp_eq_f64_e32 vcc, 0, v[117:118]
	v_cmp_eq_f64_e64 s[0:1], 0, v[119:120]
	s_and_b64 s[0:1], vcc, s[0:1]
	s_and_saveexec_b64 s[18:19], s[0:1]
	s_xor_b64 s[0:1], exec, s[18:19]
; %bb.318:
	v_cmp_ne_u32_e32 vcc, 0, v95
	v_cndmask_b32_e32 v95, 16, v95, vcc
; %bb.319:
	s_andn2_saveexec_b64 s[0:1], s[0:1]
	s_cbranch_execz .LBB82_325
; %bb.320:
	v_cmp_ngt_f64_e64 s[18:19], |v[117:118]|, |v[119:120]|
	s_and_saveexec_b64 s[20:21], s[18:19]
	s_xor_b64 s[18:19], exec, s[20:21]
	s_cbranch_execz .LBB82_322
; %bb.321:
	v_div_scale_f64 v[98:99], s[20:21], v[119:120], v[119:120], v[117:118]
	v_rcp_f64_e32 v[100:101], v[98:99]
	v_fma_f64 v[102:103], -v[98:99], v[100:101], 1.0
	v_fma_f64 v[100:101], v[100:101], v[102:103], v[100:101]
	v_div_scale_f64 v[102:103], vcc, v[117:118], v[119:120], v[117:118]
	v_fma_f64 v[104:105], -v[98:99], v[100:101], 1.0
	v_fma_f64 v[100:101], v[100:101], v[104:105], v[100:101]
	v_mul_f64 v[104:105], v[102:103], v[100:101]
	v_fma_f64 v[98:99], -v[98:99], v[104:105], v[102:103]
	v_div_fmas_f64 v[98:99], v[98:99], v[100:101], v[104:105]
	v_div_fixup_f64 v[98:99], v[98:99], v[119:120], v[117:118]
	v_fma_f64 v[100:101], v[117:118], v[98:99], v[119:120]
	v_div_scale_f64 v[102:103], s[20:21], v[100:101], v[100:101], 1.0
	v_div_scale_f64 v[108:109], vcc, 1.0, v[100:101], 1.0
	v_rcp_f64_e32 v[104:105], v[102:103]
	v_fma_f64 v[106:107], -v[102:103], v[104:105], 1.0
	v_fma_f64 v[104:105], v[104:105], v[106:107], v[104:105]
	v_fma_f64 v[106:107], -v[102:103], v[104:105], 1.0
	v_fma_f64 v[104:105], v[104:105], v[106:107], v[104:105]
	v_mul_f64 v[106:107], v[108:109], v[104:105]
	v_fma_f64 v[102:103], -v[102:103], v[106:107], v[108:109]
	v_div_fmas_f64 v[102:103], v[102:103], v[104:105], v[106:107]
	v_div_fixup_f64 v[119:120], v[102:103], v[100:101], 1.0
	v_mul_f64 v[117:118], v[98:99], v[119:120]
	v_xor_b32_e32 v120, 0x80000000, v120
.LBB82_322:
	s_andn2_saveexec_b64 s[18:19], s[18:19]
	s_cbranch_execz .LBB82_324
; %bb.323:
	v_div_scale_f64 v[98:99], s[20:21], v[117:118], v[117:118], v[119:120]
	v_rcp_f64_e32 v[100:101], v[98:99]
	v_fma_f64 v[102:103], -v[98:99], v[100:101], 1.0
	v_fma_f64 v[100:101], v[100:101], v[102:103], v[100:101]
	v_div_scale_f64 v[102:103], vcc, v[119:120], v[117:118], v[119:120]
	v_fma_f64 v[104:105], -v[98:99], v[100:101], 1.0
	v_fma_f64 v[100:101], v[100:101], v[104:105], v[100:101]
	v_mul_f64 v[104:105], v[102:103], v[100:101]
	v_fma_f64 v[98:99], -v[98:99], v[104:105], v[102:103]
	v_div_fmas_f64 v[98:99], v[98:99], v[100:101], v[104:105]
	v_div_fixup_f64 v[98:99], v[98:99], v[117:118], v[119:120]
	v_fma_f64 v[100:101], v[119:120], v[98:99], v[117:118]
	v_div_scale_f64 v[102:103], s[20:21], v[100:101], v[100:101], 1.0
	v_div_scale_f64 v[108:109], vcc, 1.0, v[100:101], 1.0
	v_rcp_f64_e32 v[104:105], v[102:103]
	v_fma_f64 v[106:107], -v[102:103], v[104:105], 1.0
	v_fma_f64 v[104:105], v[104:105], v[106:107], v[104:105]
	v_fma_f64 v[106:107], -v[102:103], v[104:105], 1.0
	v_fma_f64 v[104:105], v[104:105], v[106:107], v[104:105]
	v_mul_f64 v[106:107], v[108:109], v[104:105]
	v_fma_f64 v[102:103], -v[102:103], v[106:107], v[108:109]
	v_div_fmas_f64 v[102:103], v[102:103], v[104:105], v[106:107]
	v_div_fixup_f64 v[117:118], v[102:103], v[100:101], 1.0
	v_mul_f64 v[119:120], v[98:99], -v[117:118]
.LBB82_324:
	s_or_b64 exec, exec, s[18:19]
.LBB82_325:
	s_or_b64 exec, exec, s[0:1]
	v_cmp_ne_u32_e32 vcc, v96, v97
	s_and_saveexec_b64 s[0:1], vcc
	s_xor_b64 s[0:1], exec, s[0:1]
	s_cbranch_execz .LBB82_331
; %bb.326:
	v_cmp_eq_u32_e32 vcc, 15, v96
	s_and_saveexec_b64 s[18:19], vcc
	s_cbranch_execz .LBB82_330
; %bb.327:
	v_cmp_ne_u32_e32 vcc, 15, v97
	s_xor_b64 s[20:21], s[6:7], -1
	s_and_b64 s[22:23], s[20:21], vcc
	s_and_saveexec_b64 s[20:21], s[22:23]
	s_cbranch_execz .LBB82_329
; %bb.328:
	v_ashrrev_i32_e32 v98, 31, v97
	v_lshlrev_b64 v[98:99], 2, v[97:98]
	v_add_co_u32_e32 v98, vcc, v91, v98
	v_addc_co_u32_e32 v99, vcc, v92, v99, vcc
	global_load_dword v0, v[98:99], off
	global_load_dword v96, v[91:92], off offset:60
	s_waitcnt vmcnt(1)
	global_store_dword v[91:92], v0, off offset:60
	s_waitcnt vmcnt(1)
	global_store_dword v[98:99], v96, off
.LBB82_329:
	s_or_b64 exec, exec, s[20:21]
	v_mov_b32_e32 v96, v97
	v_mov_b32_e32 v0, v97
.LBB82_330:
	s_or_b64 exec, exec, s[18:19]
.LBB82_331:
	s_andn2_saveexec_b64 s[0:1], s[0:1]
	s_cbranch_execz .LBB82_333
; %bb.332:
	buffer_load_dword v96, off, s[24:27], 0 offset:32 ; 4-byte Folded Reload
	buffer_load_dword v97, off, s[24:27], 0 offset:36 ; 4-byte Folded Reload
	;; [unrolled: 1-line block ×4, first 2 shown]
	s_waitcnt vmcnt(0)
	ds_write2_b64 v94, v[96:97], v[98:99] offset0:32 offset1:33
	buffer_load_dword v96, off, s[24:27], 0 offset:16 ; 4-byte Folded Reload
	buffer_load_dword v97, off, s[24:27], 0 offset:20 ; 4-byte Folded Reload
	;; [unrolled: 1-line block ×4, first 2 shown]
	s_waitcnt vmcnt(0)
	ds_write2_b64 v94, v[96:97], v[98:99] offset0:34 offset1:35
	buffer_load_dword v96, off, s[24:27], 0 ; 4-byte Folded Reload
	buffer_load_dword v97, off, s[24:27], 0 offset:4 ; 4-byte Folded Reload
	buffer_load_dword v98, off, s[24:27], 0 offset:8 ; 4-byte Folded Reload
	buffer_load_dword v99, off, s[24:27], 0 offset:12 ; 4-byte Folded Reload
	s_waitcnt vmcnt(0)
	ds_write2_b64 v94, v[96:97], v[98:99] offset0:36 offset1:37
	ds_write2_b64 v94, v[85:86], v[87:88] offset0:38 offset1:39
	;; [unrolled: 1-line block ×24, first 2 shown]
	v_mov_b32_e32 v96, 15
.LBB82_333:
	s_or_b64 exec, exec, s[0:1]
	v_cmp_lt_i32_e32 vcc, 15, v96
	s_waitcnt vmcnt(0) lgkmcnt(0)
	s_barrier
	s_and_saveexec_b64 s[0:1], vcc
	s_cbranch_execz .LBB82_335
; %bb.334:
	buffer_load_dword v105, off, s[24:27], 0 offset:48 ; 4-byte Folded Reload
	buffer_load_dword v106, off, s[24:27], 0 offset:52 ; 4-byte Folded Reload
	buffer_load_dword v107, off, s[24:27], 0 offset:56 ; 4-byte Folded Reload
	buffer_load_dword v108, off, s[24:27], 0 offset:60 ; 4-byte Folded Reload
	s_waitcnt vmcnt(0)
	v_mul_f64 v[97:98], v[119:120], v[107:108]
	v_fma_f64 v[109:110], v[117:118], v[105:106], -v[97:98]
	v_mul_f64 v[97:98], v[117:118], v[107:108]
	v_fma_f64 v[107:108], v[119:120], v[105:106], v[97:98]
	ds_read2_b64 v[97:100], v94 offset0:32 offset1:33
	buffer_load_dword v103, off, s[24:27], 0 offset:32 ; 4-byte Folded Reload
	buffer_load_dword v104, off, s[24:27], 0 offset:36 ; 4-byte Folded Reload
	;; [unrolled: 1-line block ×4, first 2 shown]
	s_waitcnt lgkmcnt(0)
	v_mul_f64 v[101:102], v[99:100], v[107:108]
	v_fma_f64 v[101:102], v[97:98], v[109:110], -v[101:102]
	v_mul_f64 v[97:98], v[97:98], v[107:108]
	v_fma_f64 v[97:98], v[99:100], v[109:110], v[97:98]
	s_waitcnt vmcnt(2)
	v_add_f64 v[103:104], v[103:104], -v[101:102]
	s_waitcnt vmcnt(0)
	v_add_f64 v[105:106], v[105:106], -v[97:98]
	buffer_store_dword v103, off, s[24:27], 0 offset:32 ; 4-byte Folded Spill
	s_nop 0
	buffer_store_dword v104, off, s[24:27], 0 offset:36 ; 4-byte Folded Spill
	buffer_store_dword v105, off, s[24:27], 0 offset:40 ; 4-byte Folded Spill
	;; [unrolled: 1-line block ×3, first 2 shown]
	ds_read2_b64 v[97:100], v94 offset0:34 offset1:35
	buffer_load_dword v103, off, s[24:27], 0 offset:16 ; 4-byte Folded Reload
	buffer_load_dword v104, off, s[24:27], 0 offset:20 ; 4-byte Folded Reload
	;; [unrolled: 1-line block ×4, first 2 shown]
	s_waitcnt lgkmcnt(0)
	v_mul_f64 v[101:102], v[99:100], v[107:108]
	v_fma_f64 v[101:102], v[97:98], v[109:110], -v[101:102]
	v_mul_f64 v[97:98], v[97:98], v[107:108]
	v_fma_f64 v[97:98], v[99:100], v[109:110], v[97:98]
	s_waitcnt vmcnt(2)
	v_add_f64 v[103:104], v[103:104], -v[101:102]
	s_waitcnt vmcnt(0)
	v_add_f64 v[105:106], v[105:106], -v[97:98]
	buffer_store_dword v103, off, s[24:27], 0 offset:16 ; 4-byte Folded Spill
	s_nop 0
	buffer_store_dword v104, off, s[24:27], 0 offset:20 ; 4-byte Folded Spill
	buffer_store_dword v105, off, s[24:27], 0 offset:24 ; 4-byte Folded Spill
	;; [unrolled: 1-line block ×3, first 2 shown]
	ds_read2_b64 v[97:100], v94 offset0:36 offset1:37
	buffer_load_dword v103, off, s[24:27], 0 ; 4-byte Folded Reload
	buffer_load_dword v104, off, s[24:27], 0 offset:4 ; 4-byte Folded Reload
	buffer_load_dword v105, off, s[24:27], 0 offset:8 ; 4-byte Folded Reload
	;; [unrolled: 1-line block ×3, first 2 shown]
	s_waitcnt lgkmcnt(0)
	v_mul_f64 v[101:102], v[99:100], v[107:108]
	v_fma_f64 v[101:102], v[97:98], v[109:110], -v[101:102]
	v_mul_f64 v[97:98], v[97:98], v[107:108]
	v_fma_f64 v[97:98], v[99:100], v[109:110], v[97:98]
	s_waitcnt vmcnt(2)
	v_add_f64 v[103:104], v[103:104], -v[101:102]
	s_waitcnt vmcnt(0)
	v_add_f64 v[105:106], v[105:106], -v[97:98]
	buffer_store_dword v103, off, s[24:27], 0 ; 4-byte Folded Spill
	s_nop 0
	buffer_store_dword v104, off, s[24:27], 0 offset:4 ; 4-byte Folded Spill
	buffer_store_dword v105, off, s[24:27], 0 offset:8 ; 4-byte Folded Spill
	;; [unrolled: 1-line block ×3, first 2 shown]
	ds_read2_b64 v[97:100], v94 offset0:38 offset1:39
	v_mov_b32_e32 v105, v109
	v_mov_b32_e32 v106, v110
	s_waitcnt lgkmcnt(0)
	v_mul_f64 v[101:102], v[99:100], v[107:108]
	v_fma_f64 v[101:102], v[97:98], v[109:110], -v[101:102]
	v_mul_f64 v[97:98], v[97:98], v[107:108]
	v_add_f64 v[85:86], v[85:86], -v[101:102]
	v_fma_f64 v[97:98], v[99:100], v[109:110], v[97:98]
	v_add_f64 v[87:88], v[87:88], -v[97:98]
	ds_read2_b64 v[97:100], v94 offset0:40 offset1:41
	s_waitcnt lgkmcnt(0)
	v_mul_f64 v[101:102], v[99:100], v[107:108]
	v_fma_f64 v[101:102], v[97:98], v[109:110], -v[101:102]
	v_mul_f64 v[97:98], v[97:98], v[107:108]
	v_add_f64 v[81:82], v[81:82], -v[101:102]
	v_fma_f64 v[97:98], v[99:100], v[109:110], v[97:98]
	v_add_f64 v[83:84], v[83:84], -v[97:98]
	ds_read2_b64 v[97:100], v94 offset0:42 offset1:43
	;; [unrolled: 8-line block ×22, first 2 shown]
	s_waitcnt lgkmcnt(0)
	v_mul_f64 v[101:102], v[99:100], v[107:108]
	v_fma_f64 v[101:102], v[97:98], v[109:110], -v[101:102]
	v_mul_f64 v[97:98], v[97:98], v[107:108]
	buffer_store_dword v105, off, s[24:27], 0 offset:48 ; 4-byte Folded Spill
	s_nop 0
	buffer_store_dword v106, off, s[24:27], 0 offset:52 ; 4-byte Folded Spill
	buffer_store_dword v107, off, s[24:27], 0 offset:56 ; 4-byte Folded Spill
	;; [unrolled: 1-line block ×3, first 2 shown]
	v_add_f64 v[121:122], v[121:122], -v[101:102]
	v_fma_f64 v[97:98], v[99:100], v[109:110], v[97:98]
	v_add_f64 v[123:124], v[123:124], -v[97:98]
.LBB82_335:
	s_or_b64 exec, exec, s[0:1]
	s_waitcnt vmcnt(0)
	s_barrier
	buffer_load_dword v98, off, s[24:27], 0 offset:32 ; 4-byte Folded Reload
	buffer_load_dword v99, off, s[24:27], 0 offset:36 ; 4-byte Folded Reload
	;; [unrolled: 1-line block ×4, first 2 shown]
	v_lshl_add_u32 v97, v96, 4, v94
	s_cmp_lt_i32 s3, 18
	s_waitcnt vmcnt(0)
	ds_write2_b64 v97, v[98:99], v[100:101] offset1:1
	s_waitcnt lgkmcnt(0)
	s_barrier
	ds_read2_b64 v[117:120], v94 offset0:32 offset1:33
	v_mov_b32_e32 v97, 16
	s_cbranch_scc1 .LBB82_338
; %bb.336:
	v_add_u32_e32 v98, 0x110, v94
	s_mov_b32 s0, 17
	v_mov_b32_e32 v97, 16
.LBB82_337:                             ; =>This Inner Loop Header: Depth=1
	s_waitcnt lgkmcnt(0)
	v_cmp_gt_f64_e32 vcc, 0, v[117:118]
	v_xor_b32_e32 v103, 0x80000000, v118
	ds_read2_b64 v[99:102], v98 offset1:1
	v_xor_b32_e32 v105, 0x80000000, v120
	v_add_u32_e32 v98, 16, v98
	s_waitcnt lgkmcnt(0)
	v_xor_b32_e32 v107, 0x80000000, v102
	v_cndmask_b32_e32 v104, v118, v103, vcc
	v_cmp_gt_f64_e32 vcc, 0, v[119:120]
	v_mov_b32_e32 v103, v117
	v_cndmask_b32_e32 v106, v120, v105, vcc
	v_cmp_gt_f64_e32 vcc, 0, v[99:100]
	v_mov_b32_e32 v105, v119
	v_add_f64 v[103:104], v[103:104], v[105:106]
	v_xor_b32_e32 v105, 0x80000000, v100
	v_cndmask_b32_e32 v106, v100, v105, vcc
	v_cmp_gt_f64_e32 vcc, 0, v[101:102]
	v_mov_b32_e32 v105, v99
	v_cndmask_b32_e32 v108, v102, v107, vcc
	v_mov_b32_e32 v107, v101
	v_add_f64 v[105:106], v[105:106], v[107:108]
	v_cmp_lt_f64_e32 vcc, v[103:104], v[105:106]
	v_cndmask_b32_e32 v117, v117, v99, vcc
	v_mov_b32_e32 v99, s0
	s_add_i32 s0, s0, 1
	v_cndmask_b32_e32 v118, v118, v100, vcc
	v_cndmask_b32_e32 v120, v120, v102, vcc
	;; [unrolled: 1-line block ×4, first 2 shown]
	s_cmp_lg_u32 s3, s0
	s_cbranch_scc1 .LBB82_337
.LBB82_338:
	s_waitcnt lgkmcnt(0)
	v_cmp_eq_f64_e32 vcc, 0, v[117:118]
	v_cmp_eq_f64_e64 s[0:1], 0, v[119:120]
	s_and_b64 s[0:1], vcc, s[0:1]
	s_and_saveexec_b64 s[18:19], s[0:1]
	s_xor_b64 s[0:1], exec, s[18:19]
; %bb.339:
	v_cmp_ne_u32_e32 vcc, 0, v95
	v_cndmask_b32_e32 v95, 17, v95, vcc
; %bb.340:
	s_andn2_saveexec_b64 s[0:1], s[0:1]
	s_cbranch_execz .LBB82_346
; %bb.341:
	v_cmp_ngt_f64_e64 s[18:19], |v[117:118]|, |v[119:120]|
	s_and_saveexec_b64 s[20:21], s[18:19]
	s_xor_b64 s[18:19], exec, s[20:21]
	s_cbranch_execz .LBB82_343
; %bb.342:
	v_div_scale_f64 v[98:99], s[20:21], v[119:120], v[119:120], v[117:118]
	v_rcp_f64_e32 v[100:101], v[98:99]
	v_fma_f64 v[102:103], -v[98:99], v[100:101], 1.0
	v_fma_f64 v[100:101], v[100:101], v[102:103], v[100:101]
	v_div_scale_f64 v[102:103], vcc, v[117:118], v[119:120], v[117:118]
	v_fma_f64 v[104:105], -v[98:99], v[100:101], 1.0
	v_fma_f64 v[100:101], v[100:101], v[104:105], v[100:101]
	v_mul_f64 v[104:105], v[102:103], v[100:101]
	v_fma_f64 v[98:99], -v[98:99], v[104:105], v[102:103]
	v_div_fmas_f64 v[98:99], v[98:99], v[100:101], v[104:105]
	v_div_fixup_f64 v[98:99], v[98:99], v[119:120], v[117:118]
	v_fma_f64 v[100:101], v[117:118], v[98:99], v[119:120]
	v_div_scale_f64 v[102:103], s[20:21], v[100:101], v[100:101], 1.0
	v_div_scale_f64 v[108:109], vcc, 1.0, v[100:101], 1.0
	v_rcp_f64_e32 v[104:105], v[102:103]
	v_fma_f64 v[106:107], -v[102:103], v[104:105], 1.0
	v_fma_f64 v[104:105], v[104:105], v[106:107], v[104:105]
	v_fma_f64 v[106:107], -v[102:103], v[104:105], 1.0
	v_fma_f64 v[104:105], v[104:105], v[106:107], v[104:105]
	v_mul_f64 v[106:107], v[108:109], v[104:105]
	v_fma_f64 v[102:103], -v[102:103], v[106:107], v[108:109]
	v_div_fmas_f64 v[102:103], v[102:103], v[104:105], v[106:107]
	v_div_fixup_f64 v[119:120], v[102:103], v[100:101], 1.0
	v_mul_f64 v[117:118], v[98:99], v[119:120]
	v_xor_b32_e32 v120, 0x80000000, v120
.LBB82_343:
	s_andn2_saveexec_b64 s[18:19], s[18:19]
	s_cbranch_execz .LBB82_345
; %bb.344:
	v_div_scale_f64 v[98:99], s[20:21], v[117:118], v[117:118], v[119:120]
	v_rcp_f64_e32 v[100:101], v[98:99]
	v_fma_f64 v[102:103], -v[98:99], v[100:101], 1.0
	v_fma_f64 v[100:101], v[100:101], v[102:103], v[100:101]
	v_div_scale_f64 v[102:103], vcc, v[119:120], v[117:118], v[119:120]
	v_fma_f64 v[104:105], -v[98:99], v[100:101], 1.0
	v_fma_f64 v[100:101], v[100:101], v[104:105], v[100:101]
	v_mul_f64 v[104:105], v[102:103], v[100:101]
	v_fma_f64 v[98:99], -v[98:99], v[104:105], v[102:103]
	v_div_fmas_f64 v[98:99], v[98:99], v[100:101], v[104:105]
	v_div_fixup_f64 v[98:99], v[98:99], v[117:118], v[119:120]
	v_fma_f64 v[100:101], v[119:120], v[98:99], v[117:118]
	v_div_scale_f64 v[102:103], s[20:21], v[100:101], v[100:101], 1.0
	v_div_scale_f64 v[108:109], vcc, 1.0, v[100:101], 1.0
	v_rcp_f64_e32 v[104:105], v[102:103]
	v_fma_f64 v[106:107], -v[102:103], v[104:105], 1.0
	v_fma_f64 v[104:105], v[104:105], v[106:107], v[104:105]
	v_fma_f64 v[106:107], -v[102:103], v[104:105], 1.0
	v_fma_f64 v[104:105], v[104:105], v[106:107], v[104:105]
	v_mul_f64 v[106:107], v[108:109], v[104:105]
	v_fma_f64 v[102:103], -v[102:103], v[106:107], v[108:109]
	v_div_fmas_f64 v[102:103], v[102:103], v[104:105], v[106:107]
	v_div_fixup_f64 v[117:118], v[102:103], v[100:101], 1.0
	v_mul_f64 v[119:120], v[98:99], -v[117:118]
.LBB82_345:
	s_or_b64 exec, exec, s[18:19]
.LBB82_346:
	s_or_b64 exec, exec, s[0:1]
	v_cmp_ne_u32_e32 vcc, v96, v97
	s_and_saveexec_b64 s[0:1], vcc
	s_xor_b64 s[0:1], exec, s[0:1]
	s_cbranch_execz .LBB82_352
; %bb.347:
	v_cmp_eq_u32_e32 vcc, 16, v96
	s_and_saveexec_b64 s[18:19], vcc
	s_cbranch_execz .LBB82_351
; %bb.348:
	v_cmp_ne_u32_e32 vcc, 16, v97
	s_xor_b64 s[20:21], s[6:7], -1
	s_and_b64 s[22:23], s[20:21], vcc
	s_and_saveexec_b64 s[20:21], s[22:23]
	s_cbranch_execz .LBB82_350
; %bb.349:
	v_ashrrev_i32_e32 v98, 31, v97
	v_lshlrev_b64 v[98:99], 2, v[97:98]
	v_add_co_u32_e32 v98, vcc, v91, v98
	v_addc_co_u32_e32 v99, vcc, v92, v99, vcc
	global_load_dword v0, v[98:99], off
	global_load_dword v96, v[91:92], off offset:64
	s_waitcnt vmcnt(1)
	global_store_dword v[91:92], v0, off offset:64
	s_waitcnt vmcnt(1)
	global_store_dword v[98:99], v96, off
.LBB82_350:
	s_or_b64 exec, exec, s[20:21]
	v_mov_b32_e32 v96, v97
	v_mov_b32_e32 v0, v97
.LBB82_351:
	s_or_b64 exec, exec, s[18:19]
.LBB82_352:
	s_andn2_saveexec_b64 s[0:1], s[0:1]
	s_cbranch_execz .LBB82_354
; %bb.353:
	buffer_load_dword v96, off, s[24:27], 0 offset:16 ; 4-byte Folded Reload
	buffer_load_dword v97, off, s[24:27], 0 offset:20 ; 4-byte Folded Reload
	;; [unrolled: 1-line block ×4, first 2 shown]
	s_waitcnt vmcnt(0)
	ds_write2_b64 v94, v[96:97], v[98:99] offset0:34 offset1:35
	buffer_load_dword v96, off, s[24:27], 0 ; 4-byte Folded Reload
	buffer_load_dword v97, off, s[24:27], 0 offset:4 ; 4-byte Folded Reload
	buffer_load_dword v98, off, s[24:27], 0 offset:8 ; 4-byte Folded Reload
	;; [unrolled: 1-line block ×3, first 2 shown]
	s_waitcnt vmcnt(0)
	ds_write2_b64 v94, v[96:97], v[98:99] offset0:36 offset1:37
	ds_write2_b64 v94, v[85:86], v[87:88] offset0:38 offset1:39
	;; [unrolled: 1-line block ×24, first 2 shown]
	v_mov_b32_e32 v96, 16
.LBB82_354:
	s_or_b64 exec, exec, s[0:1]
	v_cmp_lt_i32_e32 vcc, 16, v96
	s_waitcnt vmcnt(0) lgkmcnt(0)
	s_barrier
	s_and_saveexec_b64 s[0:1], vcc
	s_cbranch_execz .LBB82_356
; %bb.355:
	buffer_load_dword v107, off, s[24:27], 0 offset:32 ; 4-byte Folded Reload
	buffer_load_dword v108, off, s[24:27], 0 offset:36 ; 4-byte Folded Reload
	;; [unrolled: 1-line block ×4, first 2 shown]
	s_waitcnt vmcnt(0)
	v_mul_f64 v[97:98], v[119:120], v[109:110]
	v_mul_f64 v[99:100], v[117:118], v[109:110]
	v_fma_f64 v[97:98], v[117:118], v[107:108], -v[97:98]
	v_fma_f64 v[109:110], v[119:120], v[107:108], v[99:100]
	ds_read2_b64 v[99:102], v94 offset0:34 offset1:35
	buffer_load_dword v105, off, s[24:27], 0 offset:16 ; 4-byte Folded Reload
	buffer_load_dword v106, off, s[24:27], 0 offset:20 ; 4-byte Folded Reload
	;; [unrolled: 1-line block ×4, first 2 shown]
	s_waitcnt lgkmcnt(0)
	v_mul_f64 v[103:104], v[101:102], v[109:110]
	v_fma_f64 v[103:104], v[99:100], v[97:98], -v[103:104]
	v_mul_f64 v[99:100], v[99:100], v[109:110]
	v_fma_f64 v[99:100], v[101:102], v[97:98], v[99:100]
	s_waitcnt vmcnt(2)
	v_add_f64 v[105:106], v[105:106], -v[103:104]
	s_waitcnt vmcnt(0)
	v_add_f64 v[107:108], v[107:108], -v[99:100]
	buffer_store_dword v105, off, s[24:27], 0 offset:16 ; 4-byte Folded Spill
	s_nop 0
	buffer_store_dword v106, off, s[24:27], 0 offset:20 ; 4-byte Folded Spill
	buffer_store_dword v107, off, s[24:27], 0 offset:24 ; 4-byte Folded Spill
	buffer_store_dword v108, off, s[24:27], 0 offset:28 ; 4-byte Folded Spill
	ds_read2_b64 v[99:102], v94 offset0:36 offset1:37
	buffer_load_dword v105, off, s[24:27], 0 ; 4-byte Folded Reload
	buffer_load_dword v106, off, s[24:27], 0 offset:4 ; 4-byte Folded Reload
	buffer_load_dword v107, off, s[24:27], 0 offset:8 ; 4-byte Folded Reload
	;; [unrolled: 1-line block ×3, first 2 shown]
	s_waitcnt lgkmcnt(0)
	v_mul_f64 v[103:104], v[101:102], v[109:110]
	v_fma_f64 v[103:104], v[99:100], v[97:98], -v[103:104]
	v_mul_f64 v[99:100], v[99:100], v[109:110]
	v_fma_f64 v[99:100], v[101:102], v[97:98], v[99:100]
	s_waitcnt vmcnt(2)
	v_add_f64 v[105:106], v[105:106], -v[103:104]
	s_waitcnt vmcnt(0)
	v_add_f64 v[107:108], v[107:108], -v[99:100]
	buffer_store_dword v105, off, s[24:27], 0 ; 4-byte Folded Spill
	s_nop 0
	buffer_store_dword v106, off, s[24:27], 0 offset:4 ; 4-byte Folded Spill
	buffer_store_dword v107, off, s[24:27], 0 offset:8 ; 4-byte Folded Spill
	;; [unrolled: 1-line block ×3, first 2 shown]
	ds_read2_b64 v[99:102], v94 offset0:38 offset1:39
	v_mov_b32_e32 v108, v98
	v_mov_b32_e32 v107, v97
	s_waitcnt lgkmcnt(0)
	v_mul_f64 v[103:104], v[101:102], v[109:110]
	v_fma_f64 v[103:104], v[99:100], v[97:98], -v[103:104]
	v_mul_f64 v[99:100], v[99:100], v[109:110]
	v_add_f64 v[85:86], v[85:86], -v[103:104]
	v_fma_f64 v[99:100], v[101:102], v[97:98], v[99:100]
	v_add_f64 v[87:88], v[87:88], -v[99:100]
	ds_read2_b64 v[99:102], v94 offset0:40 offset1:41
	s_waitcnt lgkmcnt(0)
	v_mul_f64 v[103:104], v[101:102], v[109:110]
	v_fma_f64 v[103:104], v[99:100], v[97:98], -v[103:104]
	v_mul_f64 v[99:100], v[99:100], v[109:110]
	v_add_f64 v[81:82], v[81:82], -v[103:104]
	v_fma_f64 v[99:100], v[101:102], v[97:98], v[99:100]
	v_add_f64 v[83:84], v[83:84], -v[99:100]
	ds_read2_b64 v[99:102], v94 offset0:42 offset1:43
	;; [unrolled: 8-line block ×22, first 2 shown]
	s_waitcnt lgkmcnt(0)
	v_mul_f64 v[103:104], v[101:102], v[109:110]
	v_fma_f64 v[103:104], v[99:100], v[97:98], -v[103:104]
	v_mul_f64 v[99:100], v[99:100], v[109:110]
	buffer_store_dword v107, off, s[24:27], 0 offset:32 ; 4-byte Folded Spill
	s_nop 0
	buffer_store_dword v108, off, s[24:27], 0 offset:36 ; 4-byte Folded Spill
	buffer_store_dword v109, off, s[24:27], 0 offset:40 ; 4-byte Folded Spill
	;; [unrolled: 1-line block ×3, first 2 shown]
	v_add_f64 v[121:122], v[121:122], -v[103:104]
	v_fma_f64 v[99:100], v[101:102], v[97:98], v[99:100]
	v_add_f64 v[123:124], v[123:124], -v[99:100]
.LBB82_356:
	s_or_b64 exec, exec, s[0:1]
	s_waitcnt vmcnt(0)
	s_barrier
	buffer_load_dword v98, off, s[24:27], 0 offset:16 ; 4-byte Folded Reload
	buffer_load_dword v99, off, s[24:27], 0 offset:20 ; 4-byte Folded Reload
	;; [unrolled: 1-line block ×4, first 2 shown]
	v_lshl_add_u32 v97, v96, 4, v94
	s_cmp_lt_i32 s3, 19
	s_waitcnt vmcnt(0)
	ds_write2_b64 v97, v[98:99], v[100:101] offset1:1
	s_waitcnt lgkmcnt(0)
	s_barrier
	ds_read2_b64 v[117:120], v94 offset0:34 offset1:35
	v_mov_b32_e32 v97, 17
	s_cbranch_scc1 .LBB82_359
; %bb.357:
	v_add_u32_e32 v98, 0x120, v94
	s_mov_b32 s0, 18
	v_mov_b32_e32 v97, 17
.LBB82_358:                             ; =>This Inner Loop Header: Depth=1
	s_waitcnt lgkmcnt(0)
	v_cmp_gt_f64_e32 vcc, 0, v[117:118]
	v_xor_b32_e32 v103, 0x80000000, v118
	ds_read2_b64 v[99:102], v98 offset1:1
	v_xor_b32_e32 v105, 0x80000000, v120
	v_add_u32_e32 v98, 16, v98
	s_waitcnt lgkmcnt(0)
	v_xor_b32_e32 v107, 0x80000000, v102
	v_cndmask_b32_e32 v104, v118, v103, vcc
	v_cmp_gt_f64_e32 vcc, 0, v[119:120]
	v_mov_b32_e32 v103, v117
	v_cndmask_b32_e32 v106, v120, v105, vcc
	v_cmp_gt_f64_e32 vcc, 0, v[99:100]
	v_mov_b32_e32 v105, v119
	v_add_f64 v[103:104], v[103:104], v[105:106]
	v_xor_b32_e32 v105, 0x80000000, v100
	v_cndmask_b32_e32 v106, v100, v105, vcc
	v_cmp_gt_f64_e32 vcc, 0, v[101:102]
	v_mov_b32_e32 v105, v99
	v_cndmask_b32_e32 v108, v102, v107, vcc
	v_mov_b32_e32 v107, v101
	v_add_f64 v[105:106], v[105:106], v[107:108]
	v_cmp_lt_f64_e32 vcc, v[103:104], v[105:106]
	v_cndmask_b32_e32 v117, v117, v99, vcc
	v_mov_b32_e32 v99, s0
	s_add_i32 s0, s0, 1
	v_cndmask_b32_e32 v118, v118, v100, vcc
	v_cndmask_b32_e32 v120, v120, v102, vcc
	;; [unrolled: 1-line block ×4, first 2 shown]
	s_cmp_lg_u32 s3, s0
	s_cbranch_scc1 .LBB82_358
.LBB82_359:
	s_waitcnt lgkmcnt(0)
	v_cmp_eq_f64_e32 vcc, 0, v[117:118]
	v_cmp_eq_f64_e64 s[0:1], 0, v[119:120]
	s_and_b64 s[0:1], vcc, s[0:1]
	s_and_saveexec_b64 s[18:19], s[0:1]
	s_xor_b64 s[0:1], exec, s[18:19]
; %bb.360:
	v_cmp_ne_u32_e32 vcc, 0, v95
	v_cndmask_b32_e32 v95, 18, v95, vcc
; %bb.361:
	s_andn2_saveexec_b64 s[0:1], s[0:1]
	s_cbranch_execz .LBB82_367
; %bb.362:
	v_cmp_ngt_f64_e64 s[18:19], |v[117:118]|, |v[119:120]|
	s_and_saveexec_b64 s[20:21], s[18:19]
	s_xor_b64 s[18:19], exec, s[20:21]
	s_cbranch_execz .LBB82_364
; %bb.363:
	v_div_scale_f64 v[98:99], s[20:21], v[119:120], v[119:120], v[117:118]
	v_rcp_f64_e32 v[100:101], v[98:99]
	v_fma_f64 v[102:103], -v[98:99], v[100:101], 1.0
	v_fma_f64 v[100:101], v[100:101], v[102:103], v[100:101]
	v_div_scale_f64 v[102:103], vcc, v[117:118], v[119:120], v[117:118]
	v_fma_f64 v[104:105], -v[98:99], v[100:101], 1.0
	v_fma_f64 v[100:101], v[100:101], v[104:105], v[100:101]
	v_mul_f64 v[104:105], v[102:103], v[100:101]
	v_fma_f64 v[98:99], -v[98:99], v[104:105], v[102:103]
	v_div_fmas_f64 v[98:99], v[98:99], v[100:101], v[104:105]
	v_div_fixup_f64 v[98:99], v[98:99], v[119:120], v[117:118]
	v_fma_f64 v[100:101], v[117:118], v[98:99], v[119:120]
	v_div_scale_f64 v[102:103], s[20:21], v[100:101], v[100:101], 1.0
	v_div_scale_f64 v[108:109], vcc, 1.0, v[100:101], 1.0
	v_rcp_f64_e32 v[104:105], v[102:103]
	v_fma_f64 v[106:107], -v[102:103], v[104:105], 1.0
	v_fma_f64 v[104:105], v[104:105], v[106:107], v[104:105]
	v_fma_f64 v[106:107], -v[102:103], v[104:105], 1.0
	v_fma_f64 v[104:105], v[104:105], v[106:107], v[104:105]
	v_mul_f64 v[106:107], v[108:109], v[104:105]
	v_fma_f64 v[102:103], -v[102:103], v[106:107], v[108:109]
	v_div_fmas_f64 v[102:103], v[102:103], v[104:105], v[106:107]
	v_div_fixup_f64 v[119:120], v[102:103], v[100:101], 1.0
	v_mul_f64 v[117:118], v[98:99], v[119:120]
	v_xor_b32_e32 v120, 0x80000000, v120
.LBB82_364:
	s_andn2_saveexec_b64 s[18:19], s[18:19]
	s_cbranch_execz .LBB82_366
; %bb.365:
	v_div_scale_f64 v[98:99], s[20:21], v[117:118], v[117:118], v[119:120]
	v_rcp_f64_e32 v[100:101], v[98:99]
	v_fma_f64 v[102:103], -v[98:99], v[100:101], 1.0
	v_fma_f64 v[100:101], v[100:101], v[102:103], v[100:101]
	v_div_scale_f64 v[102:103], vcc, v[119:120], v[117:118], v[119:120]
	v_fma_f64 v[104:105], -v[98:99], v[100:101], 1.0
	v_fma_f64 v[100:101], v[100:101], v[104:105], v[100:101]
	v_mul_f64 v[104:105], v[102:103], v[100:101]
	v_fma_f64 v[98:99], -v[98:99], v[104:105], v[102:103]
	v_div_fmas_f64 v[98:99], v[98:99], v[100:101], v[104:105]
	v_div_fixup_f64 v[98:99], v[98:99], v[117:118], v[119:120]
	v_fma_f64 v[100:101], v[119:120], v[98:99], v[117:118]
	v_div_scale_f64 v[102:103], s[20:21], v[100:101], v[100:101], 1.0
	v_div_scale_f64 v[108:109], vcc, 1.0, v[100:101], 1.0
	v_rcp_f64_e32 v[104:105], v[102:103]
	v_fma_f64 v[106:107], -v[102:103], v[104:105], 1.0
	v_fma_f64 v[104:105], v[104:105], v[106:107], v[104:105]
	v_fma_f64 v[106:107], -v[102:103], v[104:105], 1.0
	v_fma_f64 v[104:105], v[104:105], v[106:107], v[104:105]
	v_mul_f64 v[106:107], v[108:109], v[104:105]
	v_fma_f64 v[102:103], -v[102:103], v[106:107], v[108:109]
	v_div_fmas_f64 v[102:103], v[102:103], v[104:105], v[106:107]
	v_div_fixup_f64 v[117:118], v[102:103], v[100:101], 1.0
	v_mul_f64 v[119:120], v[98:99], -v[117:118]
.LBB82_366:
	s_or_b64 exec, exec, s[18:19]
.LBB82_367:
	s_or_b64 exec, exec, s[0:1]
	v_cmp_ne_u32_e32 vcc, v96, v97
	s_and_saveexec_b64 s[0:1], vcc
	s_xor_b64 s[0:1], exec, s[0:1]
	s_cbranch_execz .LBB82_373
; %bb.368:
	v_cmp_eq_u32_e32 vcc, 17, v96
	s_and_saveexec_b64 s[18:19], vcc
	s_cbranch_execz .LBB82_372
; %bb.369:
	v_cmp_ne_u32_e32 vcc, 17, v97
	s_xor_b64 s[20:21], s[6:7], -1
	s_and_b64 s[22:23], s[20:21], vcc
	s_and_saveexec_b64 s[20:21], s[22:23]
	s_cbranch_execz .LBB82_371
; %bb.370:
	v_ashrrev_i32_e32 v98, 31, v97
	v_lshlrev_b64 v[98:99], 2, v[97:98]
	v_add_co_u32_e32 v98, vcc, v91, v98
	v_addc_co_u32_e32 v99, vcc, v92, v99, vcc
	global_load_dword v0, v[98:99], off
	global_load_dword v96, v[91:92], off offset:68
	s_waitcnt vmcnt(1)
	global_store_dword v[91:92], v0, off offset:68
	s_waitcnt vmcnt(1)
	global_store_dword v[98:99], v96, off
.LBB82_371:
	s_or_b64 exec, exec, s[20:21]
	v_mov_b32_e32 v96, v97
	v_mov_b32_e32 v0, v97
.LBB82_372:
	s_or_b64 exec, exec, s[18:19]
.LBB82_373:
	s_andn2_saveexec_b64 s[0:1], s[0:1]
	s_cbranch_execz .LBB82_375
; %bb.374:
	buffer_load_dword v96, off, s[24:27], 0 ; 4-byte Folded Reload
	buffer_load_dword v97, off, s[24:27], 0 offset:4 ; 4-byte Folded Reload
	buffer_load_dword v98, off, s[24:27], 0 offset:8 ; 4-byte Folded Reload
	;; [unrolled: 1-line block ×3, first 2 shown]
	s_waitcnt vmcnt(0)
	ds_write2_b64 v94, v[96:97], v[98:99] offset0:36 offset1:37
	ds_write2_b64 v94, v[85:86], v[87:88] offset0:38 offset1:39
	;; [unrolled: 1-line block ×24, first 2 shown]
	v_mov_b32_e32 v96, 17
.LBB82_375:
	s_or_b64 exec, exec, s[0:1]
	v_cmp_lt_i32_e32 vcc, 17, v96
	s_waitcnt vmcnt(0) lgkmcnt(0)
	s_barrier
	s_and_saveexec_b64 s[0:1], vcc
	s_cbranch_execz .LBB82_377
; %bb.376:
	buffer_load_dword v105, off, s[24:27], 0 offset:16 ; 4-byte Folded Reload
	buffer_load_dword v106, off, s[24:27], 0 offset:20 ; 4-byte Folded Reload
	;; [unrolled: 1-line block ×4, first 2 shown]
	s_waitcnt vmcnt(0)
	v_mul_f64 v[97:98], v[119:120], v[107:108]
	v_fma_f64 v[125:126], v[117:118], v[105:106], -v[97:98]
	v_mul_f64 v[97:98], v[117:118], v[107:108]
	v_fma_f64 v[107:108], v[119:120], v[105:106], v[97:98]
	ds_read2_b64 v[97:100], v94 offset0:36 offset1:37
	buffer_load_dword v103, off, s[24:27], 0 ; 4-byte Folded Reload
	buffer_load_dword v104, off, s[24:27], 0 offset:4 ; 4-byte Folded Reload
	buffer_load_dword v105, off, s[24:27], 0 offset:8 ; 4-byte Folded Reload
	;; [unrolled: 1-line block ×3, first 2 shown]
	s_waitcnt lgkmcnt(0)
	v_mul_f64 v[101:102], v[99:100], v[107:108]
	v_fma_f64 v[101:102], v[97:98], v[125:126], -v[101:102]
	v_mul_f64 v[97:98], v[97:98], v[107:108]
	v_fma_f64 v[97:98], v[99:100], v[125:126], v[97:98]
	s_waitcnt vmcnt(2)
	v_add_f64 v[103:104], v[103:104], -v[101:102]
	s_waitcnt vmcnt(0)
	v_add_f64 v[105:106], v[105:106], -v[97:98]
	buffer_store_dword v103, off, s[24:27], 0 ; 4-byte Folded Spill
	s_nop 0
	buffer_store_dword v104, off, s[24:27], 0 offset:4 ; 4-byte Folded Spill
	buffer_store_dword v105, off, s[24:27], 0 offset:8 ; 4-byte Folded Spill
	;; [unrolled: 1-line block ×3, first 2 shown]
	ds_read2_b64 v[97:100], v94 offset0:38 offset1:39
	v_mov_b32_e32 v105, v125
	v_mov_b32_e32 v106, v126
	s_waitcnt lgkmcnt(0)
	v_mul_f64 v[101:102], v[99:100], v[107:108]
	v_fma_f64 v[101:102], v[97:98], v[125:126], -v[101:102]
	v_mul_f64 v[97:98], v[97:98], v[107:108]
	v_add_f64 v[85:86], v[85:86], -v[101:102]
	v_fma_f64 v[97:98], v[99:100], v[125:126], v[97:98]
	v_add_f64 v[87:88], v[87:88], -v[97:98]
	ds_read2_b64 v[97:100], v94 offset0:40 offset1:41
	s_waitcnt lgkmcnt(0)
	v_mul_f64 v[101:102], v[99:100], v[107:108]
	v_fma_f64 v[101:102], v[97:98], v[125:126], -v[101:102]
	v_mul_f64 v[97:98], v[97:98], v[107:108]
	v_add_f64 v[81:82], v[81:82], -v[101:102]
	v_fma_f64 v[97:98], v[99:100], v[125:126], v[97:98]
	v_add_f64 v[83:84], v[83:84], -v[97:98]
	ds_read2_b64 v[97:100], v94 offset0:42 offset1:43
	;; [unrolled: 8-line block ×22, first 2 shown]
	s_waitcnt lgkmcnt(0)
	v_mul_f64 v[101:102], v[99:100], v[107:108]
	v_fma_f64 v[101:102], v[97:98], v[125:126], -v[101:102]
	v_mul_f64 v[97:98], v[97:98], v[107:108]
	buffer_store_dword v105, off, s[24:27], 0 offset:16 ; 4-byte Folded Spill
	s_nop 0
	buffer_store_dword v106, off, s[24:27], 0 offset:20 ; 4-byte Folded Spill
	buffer_store_dword v107, off, s[24:27], 0 offset:24 ; 4-byte Folded Spill
	;; [unrolled: 1-line block ×3, first 2 shown]
	v_add_f64 v[121:122], v[121:122], -v[101:102]
	v_fma_f64 v[97:98], v[99:100], v[125:126], v[97:98]
	v_add_f64 v[123:124], v[123:124], -v[97:98]
.LBB82_377:
	s_or_b64 exec, exec, s[0:1]
	s_waitcnt vmcnt(0)
	s_barrier
	buffer_load_dword v98, off, s[24:27], 0 ; 4-byte Folded Reload
	buffer_load_dword v99, off, s[24:27], 0 offset:4 ; 4-byte Folded Reload
	buffer_load_dword v100, off, s[24:27], 0 offset:8 ; 4-byte Folded Reload
	;; [unrolled: 1-line block ×3, first 2 shown]
	v_lshl_add_u32 v97, v96, 4, v94
	s_cmp_lt_i32 s3, 20
	s_waitcnt vmcnt(0)
	ds_write2_b64 v97, v[98:99], v[100:101] offset1:1
	s_waitcnt lgkmcnt(0)
	s_barrier
	ds_read2_b64 v[117:120], v94 offset0:36 offset1:37
	v_mov_b32_e32 v97, 18
	s_cbranch_scc1 .LBB82_380
; %bb.378:
	v_add_u32_e32 v98, 0x130, v94
	s_mov_b32 s0, 19
	v_mov_b32_e32 v97, 18
.LBB82_379:                             ; =>This Inner Loop Header: Depth=1
	s_waitcnt lgkmcnt(0)
	v_cmp_gt_f64_e32 vcc, 0, v[117:118]
	v_xor_b32_e32 v103, 0x80000000, v118
	ds_read2_b64 v[99:102], v98 offset1:1
	v_xor_b32_e32 v105, 0x80000000, v120
	v_add_u32_e32 v98, 16, v98
	s_waitcnt lgkmcnt(0)
	v_xor_b32_e32 v107, 0x80000000, v102
	v_cndmask_b32_e32 v104, v118, v103, vcc
	v_cmp_gt_f64_e32 vcc, 0, v[119:120]
	v_mov_b32_e32 v103, v117
	v_cndmask_b32_e32 v106, v120, v105, vcc
	v_cmp_gt_f64_e32 vcc, 0, v[99:100]
	v_mov_b32_e32 v105, v119
	v_add_f64 v[103:104], v[103:104], v[105:106]
	v_xor_b32_e32 v105, 0x80000000, v100
	v_cndmask_b32_e32 v106, v100, v105, vcc
	v_cmp_gt_f64_e32 vcc, 0, v[101:102]
	v_mov_b32_e32 v105, v99
	v_cndmask_b32_e32 v108, v102, v107, vcc
	v_mov_b32_e32 v107, v101
	v_add_f64 v[105:106], v[105:106], v[107:108]
	v_cmp_lt_f64_e32 vcc, v[103:104], v[105:106]
	v_cndmask_b32_e32 v117, v117, v99, vcc
	v_mov_b32_e32 v99, s0
	s_add_i32 s0, s0, 1
	v_cndmask_b32_e32 v118, v118, v100, vcc
	v_cndmask_b32_e32 v120, v120, v102, vcc
	;; [unrolled: 1-line block ×4, first 2 shown]
	s_cmp_lg_u32 s3, s0
	s_cbranch_scc1 .LBB82_379
.LBB82_380:
	s_waitcnt lgkmcnt(0)
	v_cmp_eq_f64_e32 vcc, 0, v[117:118]
	v_cmp_eq_f64_e64 s[0:1], 0, v[119:120]
	s_and_b64 s[0:1], vcc, s[0:1]
	s_and_saveexec_b64 s[18:19], s[0:1]
	s_xor_b64 s[0:1], exec, s[18:19]
; %bb.381:
	v_cmp_ne_u32_e32 vcc, 0, v95
	v_cndmask_b32_e32 v95, 19, v95, vcc
; %bb.382:
	s_andn2_saveexec_b64 s[0:1], s[0:1]
	s_cbranch_execz .LBB82_388
; %bb.383:
	v_cmp_ngt_f64_e64 s[18:19], |v[117:118]|, |v[119:120]|
	s_and_saveexec_b64 s[20:21], s[18:19]
	s_xor_b64 s[18:19], exec, s[20:21]
	s_cbranch_execz .LBB82_385
; %bb.384:
	v_div_scale_f64 v[98:99], s[20:21], v[119:120], v[119:120], v[117:118]
	v_rcp_f64_e32 v[100:101], v[98:99]
	v_fma_f64 v[102:103], -v[98:99], v[100:101], 1.0
	v_fma_f64 v[100:101], v[100:101], v[102:103], v[100:101]
	v_div_scale_f64 v[102:103], vcc, v[117:118], v[119:120], v[117:118]
	v_fma_f64 v[104:105], -v[98:99], v[100:101], 1.0
	v_fma_f64 v[100:101], v[100:101], v[104:105], v[100:101]
	v_mul_f64 v[104:105], v[102:103], v[100:101]
	v_fma_f64 v[98:99], -v[98:99], v[104:105], v[102:103]
	v_div_fmas_f64 v[98:99], v[98:99], v[100:101], v[104:105]
	v_div_fixup_f64 v[98:99], v[98:99], v[119:120], v[117:118]
	v_fma_f64 v[100:101], v[117:118], v[98:99], v[119:120]
	v_div_scale_f64 v[102:103], s[20:21], v[100:101], v[100:101], 1.0
	v_div_scale_f64 v[108:109], vcc, 1.0, v[100:101], 1.0
	v_rcp_f64_e32 v[104:105], v[102:103]
	v_fma_f64 v[106:107], -v[102:103], v[104:105], 1.0
	v_fma_f64 v[104:105], v[104:105], v[106:107], v[104:105]
	v_fma_f64 v[106:107], -v[102:103], v[104:105], 1.0
	v_fma_f64 v[104:105], v[104:105], v[106:107], v[104:105]
	v_mul_f64 v[106:107], v[108:109], v[104:105]
	v_fma_f64 v[102:103], -v[102:103], v[106:107], v[108:109]
	v_div_fmas_f64 v[102:103], v[102:103], v[104:105], v[106:107]
	v_div_fixup_f64 v[119:120], v[102:103], v[100:101], 1.0
	v_mul_f64 v[117:118], v[98:99], v[119:120]
	v_xor_b32_e32 v120, 0x80000000, v120
.LBB82_385:
	s_andn2_saveexec_b64 s[18:19], s[18:19]
	s_cbranch_execz .LBB82_387
; %bb.386:
	v_div_scale_f64 v[98:99], s[20:21], v[117:118], v[117:118], v[119:120]
	v_rcp_f64_e32 v[100:101], v[98:99]
	v_fma_f64 v[102:103], -v[98:99], v[100:101], 1.0
	v_fma_f64 v[100:101], v[100:101], v[102:103], v[100:101]
	v_div_scale_f64 v[102:103], vcc, v[119:120], v[117:118], v[119:120]
	v_fma_f64 v[104:105], -v[98:99], v[100:101], 1.0
	v_fma_f64 v[100:101], v[100:101], v[104:105], v[100:101]
	v_mul_f64 v[104:105], v[102:103], v[100:101]
	v_fma_f64 v[98:99], -v[98:99], v[104:105], v[102:103]
	v_div_fmas_f64 v[98:99], v[98:99], v[100:101], v[104:105]
	v_div_fixup_f64 v[98:99], v[98:99], v[117:118], v[119:120]
	v_fma_f64 v[100:101], v[119:120], v[98:99], v[117:118]
	v_div_scale_f64 v[102:103], s[20:21], v[100:101], v[100:101], 1.0
	v_div_scale_f64 v[108:109], vcc, 1.0, v[100:101], 1.0
	v_rcp_f64_e32 v[104:105], v[102:103]
	v_fma_f64 v[106:107], -v[102:103], v[104:105], 1.0
	v_fma_f64 v[104:105], v[104:105], v[106:107], v[104:105]
	v_fma_f64 v[106:107], -v[102:103], v[104:105], 1.0
	v_fma_f64 v[104:105], v[104:105], v[106:107], v[104:105]
	v_mul_f64 v[106:107], v[108:109], v[104:105]
	v_fma_f64 v[102:103], -v[102:103], v[106:107], v[108:109]
	v_div_fmas_f64 v[102:103], v[102:103], v[104:105], v[106:107]
	v_div_fixup_f64 v[117:118], v[102:103], v[100:101], 1.0
	v_mul_f64 v[119:120], v[98:99], -v[117:118]
.LBB82_387:
	s_or_b64 exec, exec, s[18:19]
.LBB82_388:
	s_or_b64 exec, exec, s[0:1]
	v_cmp_ne_u32_e32 vcc, v96, v97
	s_and_saveexec_b64 s[0:1], vcc
	s_xor_b64 s[0:1], exec, s[0:1]
	s_cbranch_execz .LBB82_394
; %bb.389:
	v_cmp_eq_u32_e32 vcc, 18, v96
	s_and_saveexec_b64 s[18:19], vcc
	s_cbranch_execz .LBB82_393
; %bb.390:
	v_cmp_ne_u32_e32 vcc, 18, v97
	s_xor_b64 s[20:21], s[6:7], -1
	s_and_b64 s[22:23], s[20:21], vcc
	s_and_saveexec_b64 s[20:21], s[22:23]
	s_cbranch_execz .LBB82_392
; %bb.391:
	v_ashrrev_i32_e32 v98, 31, v97
	v_lshlrev_b64 v[98:99], 2, v[97:98]
	v_add_co_u32_e32 v98, vcc, v91, v98
	v_addc_co_u32_e32 v99, vcc, v92, v99, vcc
	global_load_dword v0, v[98:99], off
	global_load_dword v96, v[91:92], off offset:72
	s_waitcnt vmcnt(1)
	global_store_dword v[91:92], v0, off offset:72
	s_waitcnt vmcnt(1)
	global_store_dword v[98:99], v96, off
.LBB82_392:
	s_or_b64 exec, exec, s[20:21]
	v_mov_b32_e32 v96, v97
	v_mov_b32_e32 v0, v97
.LBB82_393:
	s_or_b64 exec, exec, s[18:19]
.LBB82_394:
	s_andn2_saveexec_b64 s[0:1], s[0:1]
	s_cbranch_execz .LBB82_396
; %bb.395:
	v_mov_b32_e32 v96, 18
	ds_write2_b64 v94, v[85:86], v[87:88] offset0:38 offset1:39
	ds_write2_b64 v94, v[81:82], v[83:84] offset0:40 offset1:41
	;; [unrolled: 1-line block ×23, first 2 shown]
.LBB82_396:
	s_or_b64 exec, exec, s[0:1]
	v_cmp_lt_i32_e32 vcc, 18, v96
	s_waitcnt vmcnt(0) lgkmcnt(0)
	s_barrier
	s_and_saveexec_b64 s[0:1], vcc
	s_cbranch_execz .LBB82_398
; %bb.397:
	buffer_load_dword v99, off, s[24:27], 0 ; 4-byte Folded Reload
	buffer_load_dword v100, off, s[24:27], 0 offset:4 ; 4-byte Folded Reload
	buffer_load_dword v101, off, s[24:27], 0 offset:8 ; 4-byte Folded Reload
	;; [unrolled: 1-line block ×3, first 2 shown]
	v_mov_b32_e32 v89, v91
	v_mov_b32_e32 v90, v92
	s_waitcnt vmcnt(0)
	v_mul_f64 v[91:92], v[117:118], v[101:102]
	v_mul_f64 v[97:98], v[119:120], v[101:102]
	v_fma_f64 v[101:102], v[119:120], v[99:100], v[91:92]
	v_fma_f64 v[125:126], v[117:118], v[99:100], -v[97:98]
	ds_read2_b64 v[97:100], v94 offset0:38 offset1:39
	v_mov_b32_e32 v92, v90
	v_mov_b32_e32 v91, v89
	s_waitcnt lgkmcnt(0)
	v_mul_f64 v[89:90], v[99:100], v[101:102]
	v_fma_f64 v[89:90], v[97:98], v[125:126], -v[89:90]
	v_mul_f64 v[97:98], v[97:98], v[101:102]
	v_add_f64 v[85:86], v[85:86], -v[89:90]
	v_fma_f64 v[97:98], v[99:100], v[125:126], v[97:98]
	v_add_f64 v[87:88], v[87:88], -v[97:98]
	ds_read2_b64 v[97:100], v94 offset0:40 offset1:41
	s_waitcnt lgkmcnt(0)
	v_mul_f64 v[89:90], v[99:100], v[101:102]
	v_fma_f64 v[89:90], v[97:98], v[125:126], -v[89:90]
	v_mul_f64 v[97:98], v[97:98], v[101:102]
	v_add_f64 v[81:82], v[81:82], -v[89:90]
	v_fma_f64 v[97:98], v[99:100], v[125:126], v[97:98]
	v_add_f64 v[83:84], v[83:84], -v[97:98]
	ds_read2_b64 v[97:100], v94 offset0:42 offset1:43
	;; [unrolled: 8-line block ×22, first 2 shown]
	s_waitcnt lgkmcnt(0)
	v_mul_f64 v[89:90], v[99:100], v[101:102]
	v_fma_f64 v[89:90], v[97:98], v[125:126], -v[89:90]
	v_mul_f64 v[97:98], v[97:98], v[101:102]
	v_add_f64 v[121:122], v[121:122], -v[89:90]
	v_fma_f64 v[97:98], v[99:100], v[125:126], v[97:98]
	v_mov_b32_e32 v99, v125
	v_mov_b32_e32 v100, v126
	buffer_store_dword v99, off, s[24:27], 0 ; 4-byte Folded Spill
	s_nop 0
	buffer_store_dword v100, off, s[24:27], 0 offset:4 ; 4-byte Folded Spill
	buffer_store_dword v101, off, s[24:27], 0 offset:8 ; 4-byte Folded Spill
	;; [unrolled: 1-line block ×3, first 2 shown]
	v_add_f64 v[123:124], v[123:124], -v[97:98]
.LBB82_398:
	s_or_b64 exec, exec, s[0:1]
	v_lshl_add_u32 v97, v96, 4, v94
	s_waitcnt vmcnt(0)
	s_barrier
	ds_write2_b64 v97, v[85:86], v[87:88] offset1:1
	s_waitcnt lgkmcnt(0)
	s_barrier
	ds_read2_b64 v[117:120], v94 offset0:38 offset1:39
	s_cmp_lt_i32 s3, 21
	v_mov_b32_e32 v97, 19
	s_cbranch_scc1 .LBB82_401
; %bb.399:
	v_add_u32_e32 v98, 0x140, v94
	s_mov_b32 s0, 20
	v_mov_b32_e32 v97, 19
.LBB82_400:                             ; =>This Inner Loop Header: Depth=1
	s_waitcnt lgkmcnt(0)
	v_cmp_gt_f64_e32 vcc, 0, v[117:118]
	v_xor_b32_e32 v103, 0x80000000, v118
	ds_read2_b64 v[99:102], v98 offset1:1
	v_xor_b32_e32 v105, 0x80000000, v120
	v_add_u32_e32 v98, 16, v98
	s_waitcnt lgkmcnt(0)
	v_xor_b32_e32 v107, 0x80000000, v102
	v_cndmask_b32_e32 v104, v118, v103, vcc
	v_cmp_gt_f64_e32 vcc, 0, v[119:120]
	v_mov_b32_e32 v103, v117
	v_cndmask_b32_e32 v106, v120, v105, vcc
	v_cmp_gt_f64_e32 vcc, 0, v[99:100]
	v_mov_b32_e32 v105, v119
	v_add_f64 v[103:104], v[103:104], v[105:106]
	v_xor_b32_e32 v105, 0x80000000, v100
	v_cndmask_b32_e32 v106, v100, v105, vcc
	v_cmp_gt_f64_e32 vcc, 0, v[101:102]
	v_mov_b32_e32 v105, v99
	v_cndmask_b32_e32 v108, v102, v107, vcc
	v_mov_b32_e32 v107, v101
	v_add_f64 v[105:106], v[105:106], v[107:108]
	v_cmp_lt_f64_e32 vcc, v[103:104], v[105:106]
	v_cndmask_b32_e32 v117, v117, v99, vcc
	v_mov_b32_e32 v99, s0
	s_add_i32 s0, s0, 1
	v_cndmask_b32_e32 v118, v118, v100, vcc
	v_cndmask_b32_e32 v120, v120, v102, vcc
	;; [unrolled: 1-line block ×4, first 2 shown]
	s_cmp_lg_u32 s3, s0
	s_cbranch_scc1 .LBB82_400
.LBB82_401:
	s_waitcnt lgkmcnt(0)
	v_cmp_eq_f64_e32 vcc, 0, v[117:118]
	v_cmp_eq_f64_e64 s[0:1], 0, v[119:120]
	s_and_b64 s[0:1], vcc, s[0:1]
	s_and_saveexec_b64 s[18:19], s[0:1]
	s_xor_b64 s[0:1], exec, s[18:19]
; %bb.402:
	v_cmp_ne_u32_e32 vcc, 0, v95
	v_cndmask_b32_e32 v95, 20, v95, vcc
; %bb.403:
	s_andn2_saveexec_b64 s[0:1], s[0:1]
	s_cbranch_execz .LBB82_409
; %bb.404:
	v_cmp_ngt_f64_e64 s[18:19], |v[117:118]|, |v[119:120]|
	s_and_saveexec_b64 s[20:21], s[18:19]
	s_xor_b64 s[18:19], exec, s[20:21]
	s_cbranch_execz .LBB82_406
; %bb.405:
	v_div_scale_f64 v[98:99], s[20:21], v[119:120], v[119:120], v[117:118]
	v_rcp_f64_e32 v[100:101], v[98:99]
	v_fma_f64 v[102:103], -v[98:99], v[100:101], 1.0
	v_fma_f64 v[100:101], v[100:101], v[102:103], v[100:101]
	v_div_scale_f64 v[102:103], vcc, v[117:118], v[119:120], v[117:118]
	v_fma_f64 v[104:105], -v[98:99], v[100:101], 1.0
	v_fma_f64 v[100:101], v[100:101], v[104:105], v[100:101]
	v_mul_f64 v[104:105], v[102:103], v[100:101]
	v_fma_f64 v[98:99], -v[98:99], v[104:105], v[102:103]
	v_div_fmas_f64 v[98:99], v[98:99], v[100:101], v[104:105]
	v_div_fixup_f64 v[98:99], v[98:99], v[119:120], v[117:118]
	v_fma_f64 v[100:101], v[117:118], v[98:99], v[119:120]
	v_div_scale_f64 v[102:103], s[20:21], v[100:101], v[100:101], 1.0
	v_div_scale_f64 v[108:109], vcc, 1.0, v[100:101], 1.0
	v_rcp_f64_e32 v[104:105], v[102:103]
	v_fma_f64 v[106:107], -v[102:103], v[104:105], 1.0
	v_fma_f64 v[104:105], v[104:105], v[106:107], v[104:105]
	v_fma_f64 v[106:107], -v[102:103], v[104:105], 1.0
	v_fma_f64 v[104:105], v[104:105], v[106:107], v[104:105]
	v_mul_f64 v[106:107], v[108:109], v[104:105]
	v_fma_f64 v[102:103], -v[102:103], v[106:107], v[108:109]
	v_div_fmas_f64 v[102:103], v[102:103], v[104:105], v[106:107]
	v_div_fixup_f64 v[119:120], v[102:103], v[100:101], 1.0
	v_mul_f64 v[117:118], v[98:99], v[119:120]
	v_xor_b32_e32 v120, 0x80000000, v120
.LBB82_406:
	s_andn2_saveexec_b64 s[18:19], s[18:19]
	s_cbranch_execz .LBB82_408
; %bb.407:
	v_div_scale_f64 v[98:99], s[20:21], v[117:118], v[117:118], v[119:120]
	v_rcp_f64_e32 v[100:101], v[98:99]
	v_fma_f64 v[102:103], -v[98:99], v[100:101], 1.0
	v_fma_f64 v[100:101], v[100:101], v[102:103], v[100:101]
	v_div_scale_f64 v[102:103], vcc, v[119:120], v[117:118], v[119:120]
	v_fma_f64 v[104:105], -v[98:99], v[100:101], 1.0
	v_fma_f64 v[100:101], v[100:101], v[104:105], v[100:101]
	v_mul_f64 v[104:105], v[102:103], v[100:101]
	v_fma_f64 v[98:99], -v[98:99], v[104:105], v[102:103]
	v_div_fmas_f64 v[98:99], v[98:99], v[100:101], v[104:105]
	v_div_fixup_f64 v[98:99], v[98:99], v[117:118], v[119:120]
	v_fma_f64 v[100:101], v[119:120], v[98:99], v[117:118]
	v_div_scale_f64 v[102:103], s[20:21], v[100:101], v[100:101], 1.0
	v_div_scale_f64 v[108:109], vcc, 1.0, v[100:101], 1.0
	v_rcp_f64_e32 v[104:105], v[102:103]
	v_fma_f64 v[106:107], -v[102:103], v[104:105], 1.0
	v_fma_f64 v[104:105], v[104:105], v[106:107], v[104:105]
	v_fma_f64 v[106:107], -v[102:103], v[104:105], 1.0
	v_fma_f64 v[104:105], v[104:105], v[106:107], v[104:105]
	v_mul_f64 v[106:107], v[108:109], v[104:105]
	v_fma_f64 v[102:103], -v[102:103], v[106:107], v[108:109]
	v_div_fmas_f64 v[102:103], v[102:103], v[104:105], v[106:107]
	v_div_fixup_f64 v[117:118], v[102:103], v[100:101], 1.0
	v_mul_f64 v[119:120], v[98:99], -v[117:118]
.LBB82_408:
	s_or_b64 exec, exec, s[18:19]
.LBB82_409:
	s_or_b64 exec, exec, s[0:1]
	v_cmp_ne_u32_e32 vcc, v96, v97
	s_and_saveexec_b64 s[0:1], vcc
	s_xor_b64 s[0:1], exec, s[0:1]
	s_cbranch_execz .LBB82_415
; %bb.410:
	v_cmp_eq_u32_e32 vcc, 19, v96
	s_and_saveexec_b64 s[18:19], vcc
	s_cbranch_execz .LBB82_414
; %bb.411:
	v_cmp_ne_u32_e32 vcc, 19, v97
	s_xor_b64 s[20:21], s[6:7], -1
	s_and_b64 s[22:23], s[20:21], vcc
	s_and_saveexec_b64 s[20:21], s[22:23]
	s_cbranch_execz .LBB82_413
; %bb.412:
	v_ashrrev_i32_e32 v98, 31, v97
	v_lshlrev_b64 v[98:99], 2, v[97:98]
	v_add_co_u32_e32 v98, vcc, v91, v98
	v_addc_co_u32_e32 v99, vcc, v92, v99, vcc
	global_load_dword v0, v[98:99], off
	global_load_dword v96, v[91:92], off offset:76
	s_waitcnt vmcnt(1)
	global_store_dword v[91:92], v0, off offset:76
	s_waitcnt vmcnt(1)
	global_store_dword v[98:99], v96, off
.LBB82_413:
	s_or_b64 exec, exec, s[20:21]
	v_mov_b32_e32 v96, v97
	v_mov_b32_e32 v0, v97
.LBB82_414:
	s_or_b64 exec, exec, s[18:19]
.LBB82_415:
	s_andn2_saveexec_b64 s[0:1], s[0:1]
	s_cbranch_execz .LBB82_417
; %bb.416:
	v_mov_b32_e32 v96, 19
	ds_write2_b64 v94, v[81:82], v[83:84] offset0:40 offset1:41
	ds_write2_b64 v94, v[77:78], v[79:80] offset0:42 offset1:43
	;; [unrolled: 1-line block ×22, first 2 shown]
.LBB82_417:
	s_or_b64 exec, exec, s[0:1]
	v_cmp_lt_i32_e32 vcc, 19, v96
	s_waitcnt vmcnt(0) lgkmcnt(0)
	s_barrier
	s_and_saveexec_b64 s[0:1], vcc
	s_cbranch_execz .LBB82_419
; %bb.418:
	v_mul_f64 v[97:98], v[119:120], v[87:88]
	v_mul_f64 v[87:88], v[117:118], v[87:88]
	v_fma_f64 v[125:126], v[117:118], v[85:86], -v[97:98]
	v_fma_f64 v[87:88], v[119:120], v[85:86], v[87:88]
	ds_read2_b64 v[97:100], v94 offset0:40 offset1:41
	s_waitcnt lgkmcnt(0)
	v_mul_f64 v[85:86], v[99:100], v[87:88]
	v_fma_f64 v[85:86], v[97:98], v[125:126], -v[85:86]
	v_mul_f64 v[97:98], v[97:98], v[87:88]
	v_add_f64 v[81:82], v[81:82], -v[85:86]
	v_fma_f64 v[97:98], v[99:100], v[125:126], v[97:98]
	v_add_f64 v[83:84], v[83:84], -v[97:98]
	ds_read2_b64 v[97:100], v94 offset0:42 offset1:43
	s_waitcnt lgkmcnt(0)
	v_mul_f64 v[85:86], v[99:100], v[87:88]
	v_fma_f64 v[85:86], v[97:98], v[125:126], -v[85:86]
	v_mul_f64 v[97:98], v[97:98], v[87:88]
	v_add_f64 v[77:78], v[77:78], -v[85:86]
	v_fma_f64 v[97:98], v[99:100], v[125:126], v[97:98]
	v_add_f64 v[79:80], v[79:80], -v[97:98]
	;; [unrolled: 8-line block ×21, first 2 shown]
	ds_read2_b64 v[97:100], v94 offset0:82 offset1:83
	s_waitcnt lgkmcnt(0)
	v_mul_f64 v[85:86], v[99:100], v[87:88]
	v_fma_f64 v[85:86], v[97:98], v[125:126], -v[85:86]
	v_mul_f64 v[97:98], v[97:98], v[87:88]
	v_add_f64 v[121:122], v[121:122], -v[85:86]
	v_fma_f64 v[97:98], v[99:100], v[125:126], v[97:98]
	v_mov_b32_e32 v85, v125
	v_mov_b32_e32 v86, v126
	v_add_f64 v[123:124], v[123:124], -v[97:98]
.LBB82_419:
	s_or_b64 exec, exec, s[0:1]
	v_lshl_add_u32 v97, v96, 4, v94
	s_barrier
	ds_write2_b64 v97, v[81:82], v[83:84] offset1:1
	s_waitcnt lgkmcnt(0)
	s_barrier
	ds_read2_b64 v[117:120], v94 offset0:40 offset1:41
	s_cmp_lt_i32 s3, 22
	v_mov_b32_e32 v97, 20
	s_cbranch_scc1 .LBB82_422
; %bb.420:
	v_add_u32_e32 v98, 0x150, v94
	s_mov_b32 s0, 21
	v_mov_b32_e32 v97, 20
.LBB82_421:                             ; =>This Inner Loop Header: Depth=1
	s_waitcnt lgkmcnt(0)
	v_cmp_gt_f64_e32 vcc, 0, v[117:118]
	v_xor_b32_e32 v103, 0x80000000, v118
	ds_read2_b64 v[99:102], v98 offset1:1
	v_xor_b32_e32 v105, 0x80000000, v120
	v_add_u32_e32 v98, 16, v98
	s_waitcnt lgkmcnt(0)
	v_xor_b32_e32 v107, 0x80000000, v102
	v_cndmask_b32_e32 v104, v118, v103, vcc
	v_cmp_gt_f64_e32 vcc, 0, v[119:120]
	v_mov_b32_e32 v103, v117
	v_cndmask_b32_e32 v106, v120, v105, vcc
	v_cmp_gt_f64_e32 vcc, 0, v[99:100]
	v_mov_b32_e32 v105, v119
	v_add_f64 v[103:104], v[103:104], v[105:106]
	v_xor_b32_e32 v105, 0x80000000, v100
	v_cndmask_b32_e32 v106, v100, v105, vcc
	v_cmp_gt_f64_e32 vcc, 0, v[101:102]
	v_mov_b32_e32 v105, v99
	v_cndmask_b32_e32 v108, v102, v107, vcc
	v_mov_b32_e32 v107, v101
	v_add_f64 v[105:106], v[105:106], v[107:108]
	v_cmp_lt_f64_e32 vcc, v[103:104], v[105:106]
	v_cndmask_b32_e32 v117, v117, v99, vcc
	v_mov_b32_e32 v99, s0
	s_add_i32 s0, s0, 1
	v_cndmask_b32_e32 v118, v118, v100, vcc
	v_cndmask_b32_e32 v120, v120, v102, vcc
	;; [unrolled: 1-line block ×4, first 2 shown]
	s_cmp_lg_u32 s3, s0
	s_cbranch_scc1 .LBB82_421
.LBB82_422:
	s_waitcnt lgkmcnt(0)
	v_cmp_eq_f64_e32 vcc, 0, v[117:118]
	v_cmp_eq_f64_e64 s[0:1], 0, v[119:120]
	s_and_b64 s[0:1], vcc, s[0:1]
	s_and_saveexec_b64 s[18:19], s[0:1]
	s_xor_b64 s[0:1], exec, s[18:19]
; %bb.423:
	v_cmp_ne_u32_e32 vcc, 0, v95
	v_cndmask_b32_e32 v95, 21, v95, vcc
; %bb.424:
	s_andn2_saveexec_b64 s[0:1], s[0:1]
	s_cbranch_execz .LBB82_430
; %bb.425:
	v_cmp_ngt_f64_e64 s[18:19], |v[117:118]|, |v[119:120]|
	s_and_saveexec_b64 s[20:21], s[18:19]
	s_xor_b64 s[18:19], exec, s[20:21]
	s_cbranch_execz .LBB82_427
; %bb.426:
	v_div_scale_f64 v[98:99], s[20:21], v[119:120], v[119:120], v[117:118]
	v_rcp_f64_e32 v[100:101], v[98:99]
	v_fma_f64 v[102:103], -v[98:99], v[100:101], 1.0
	v_fma_f64 v[100:101], v[100:101], v[102:103], v[100:101]
	v_div_scale_f64 v[102:103], vcc, v[117:118], v[119:120], v[117:118]
	v_fma_f64 v[104:105], -v[98:99], v[100:101], 1.0
	v_fma_f64 v[100:101], v[100:101], v[104:105], v[100:101]
	v_mul_f64 v[104:105], v[102:103], v[100:101]
	v_fma_f64 v[98:99], -v[98:99], v[104:105], v[102:103]
	v_div_fmas_f64 v[98:99], v[98:99], v[100:101], v[104:105]
	v_div_fixup_f64 v[98:99], v[98:99], v[119:120], v[117:118]
	v_fma_f64 v[100:101], v[117:118], v[98:99], v[119:120]
	v_div_scale_f64 v[102:103], s[20:21], v[100:101], v[100:101], 1.0
	v_div_scale_f64 v[108:109], vcc, 1.0, v[100:101], 1.0
	v_rcp_f64_e32 v[104:105], v[102:103]
	v_fma_f64 v[106:107], -v[102:103], v[104:105], 1.0
	v_fma_f64 v[104:105], v[104:105], v[106:107], v[104:105]
	v_fma_f64 v[106:107], -v[102:103], v[104:105], 1.0
	v_fma_f64 v[104:105], v[104:105], v[106:107], v[104:105]
	v_mul_f64 v[106:107], v[108:109], v[104:105]
	v_fma_f64 v[102:103], -v[102:103], v[106:107], v[108:109]
	v_div_fmas_f64 v[102:103], v[102:103], v[104:105], v[106:107]
	v_div_fixup_f64 v[119:120], v[102:103], v[100:101], 1.0
	v_mul_f64 v[117:118], v[98:99], v[119:120]
	v_xor_b32_e32 v120, 0x80000000, v120
.LBB82_427:
	s_andn2_saveexec_b64 s[18:19], s[18:19]
	s_cbranch_execz .LBB82_429
; %bb.428:
	v_div_scale_f64 v[98:99], s[20:21], v[117:118], v[117:118], v[119:120]
	v_rcp_f64_e32 v[100:101], v[98:99]
	v_fma_f64 v[102:103], -v[98:99], v[100:101], 1.0
	v_fma_f64 v[100:101], v[100:101], v[102:103], v[100:101]
	v_div_scale_f64 v[102:103], vcc, v[119:120], v[117:118], v[119:120]
	v_fma_f64 v[104:105], -v[98:99], v[100:101], 1.0
	v_fma_f64 v[100:101], v[100:101], v[104:105], v[100:101]
	v_mul_f64 v[104:105], v[102:103], v[100:101]
	v_fma_f64 v[98:99], -v[98:99], v[104:105], v[102:103]
	v_div_fmas_f64 v[98:99], v[98:99], v[100:101], v[104:105]
	v_div_fixup_f64 v[98:99], v[98:99], v[117:118], v[119:120]
	v_fma_f64 v[100:101], v[119:120], v[98:99], v[117:118]
	v_div_scale_f64 v[102:103], s[20:21], v[100:101], v[100:101], 1.0
	v_div_scale_f64 v[108:109], vcc, 1.0, v[100:101], 1.0
	v_rcp_f64_e32 v[104:105], v[102:103]
	v_fma_f64 v[106:107], -v[102:103], v[104:105], 1.0
	v_fma_f64 v[104:105], v[104:105], v[106:107], v[104:105]
	v_fma_f64 v[106:107], -v[102:103], v[104:105], 1.0
	v_fma_f64 v[104:105], v[104:105], v[106:107], v[104:105]
	v_mul_f64 v[106:107], v[108:109], v[104:105]
	v_fma_f64 v[102:103], -v[102:103], v[106:107], v[108:109]
	v_div_fmas_f64 v[102:103], v[102:103], v[104:105], v[106:107]
	v_div_fixup_f64 v[117:118], v[102:103], v[100:101], 1.0
	v_mul_f64 v[119:120], v[98:99], -v[117:118]
.LBB82_429:
	s_or_b64 exec, exec, s[18:19]
.LBB82_430:
	s_or_b64 exec, exec, s[0:1]
	v_cmp_ne_u32_e32 vcc, v96, v97
	s_and_saveexec_b64 s[0:1], vcc
	s_xor_b64 s[0:1], exec, s[0:1]
	s_cbranch_execz .LBB82_436
; %bb.431:
	v_cmp_eq_u32_e32 vcc, 20, v96
	s_and_saveexec_b64 s[18:19], vcc
	s_cbranch_execz .LBB82_435
; %bb.432:
	v_cmp_ne_u32_e32 vcc, 20, v97
	s_xor_b64 s[20:21], s[6:7], -1
	s_and_b64 s[22:23], s[20:21], vcc
	s_and_saveexec_b64 s[20:21], s[22:23]
	s_cbranch_execz .LBB82_434
; %bb.433:
	v_ashrrev_i32_e32 v98, 31, v97
	v_lshlrev_b64 v[98:99], 2, v[97:98]
	v_add_co_u32_e32 v98, vcc, v91, v98
	v_addc_co_u32_e32 v99, vcc, v92, v99, vcc
	global_load_dword v0, v[98:99], off
	global_load_dword v96, v[91:92], off offset:80
	s_waitcnt vmcnt(1)
	global_store_dword v[91:92], v0, off offset:80
	s_waitcnt vmcnt(1)
	global_store_dword v[98:99], v96, off
.LBB82_434:
	s_or_b64 exec, exec, s[20:21]
	v_mov_b32_e32 v96, v97
	v_mov_b32_e32 v0, v97
.LBB82_435:
	s_or_b64 exec, exec, s[18:19]
.LBB82_436:
	s_andn2_saveexec_b64 s[0:1], s[0:1]
	s_cbranch_execz .LBB82_438
; %bb.437:
	v_mov_b32_e32 v96, 20
	ds_write2_b64 v94, v[77:78], v[79:80] offset0:42 offset1:43
	ds_write2_b64 v94, v[73:74], v[75:76] offset0:44 offset1:45
	;; [unrolled: 1-line block ×21, first 2 shown]
.LBB82_438:
	s_or_b64 exec, exec, s[0:1]
	v_cmp_lt_i32_e32 vcc, 20, v96
	s_waitcnt vmcnt(0) lgkmcnt(0)
	s_barrier
	s_and_saveexec_b64 s[0:1], vcc
	s_cbranch_execz .LBB82_440
; %bb.439:
	v_mul_f64 v[97:98], v[119:120], v[83:84]
	v_mul_f64 v[83:84], v[117:118], v[83:84]
	v_fma_f64 v[125:126], v[117:118], v[81:82], -v[97:98]
	v_fma_f64 v[83:84], v[119:120], v[81:82], v[83:84]
	ds_read2_b64 v[97:100], v94 offset0:42 offset1:43
	s_waitcnt lgkmcnt(0)
	v_mul_f64 v[81:82], v[99:100], v[83:84]
	v_fma_f64 v[81:82], v[97:98], v[125:126], -v[81:82]
	v_mul_f64 v[97:98], v[97:98], v[83:84]
	v_add_f64 v[77:78], v[77:78], -v[81:82]
	v_fma_f64 v[97:98], v[99:100], v[125:126], v[97:98]
	v_add_f64 v[79:80], v[79:80], -v[97:98]
	ds_read2_b64 v[97:100], v94 offset0:44 offset1:45
	s_waitcnt lgkmcnt(0)
	v_mul_f64 v[81:82], v[99:100], v[83:84]
	v_fma_f64 v[81:82], v[97:98], v[125:126], -v[81:82]
	v_mul_f64 v[97:98], v[97:98], v[83:84]
	v_add_f64 v[73:74], v[73:74], -v[81:82]
	v_fma_f64 v[97:98], v[99:100], v[125:126], v[97:98]
	v_add_f64 v[75:76], v[75:76], -v[97:98]
	;; [unrolled: 8-line block ×20, first 2 shown]
	ds_read2_b64 v[97:100], v94 offset0:82 offset1:83
	s_waitcnt lgkmcnt(0)
	v_mul_f64 v[81:82], v[99:100], v[83:84]
	v_fma_f64 v[81:82], v[97:98], v[125:126], -v[81:82]
	v_mul_f64 v[97:98], v[97:98], v[83:84]
	v_add_f64 v[121:122], v[121:122], -v[81:82]
	v_fma_f64 v[97:98], v[99:100], v[125:126], v[97:98]
	v_mov_b32_e32 v81, v125
	v_mov_b32_e32 v82, v126
	v_add_f64 v[123:124], v[123:124], -v[97:98]
.LBB82_440:
	s_or_b64 exec, exec, s[0:1]
	v_lshl_add_u32 v97, v96, 4, v94
	s_barrier
	ds_write2_b64 v97, v[77:78], v[79:80] offset1:1
	s_waitcnt lgkmcnt(0)
	s_barrier
	ds_read2_b64 v[117:120], v94 offset0:42 offset1:43
	s_cmp_lt_i32 s3, 23
	v_mov_b32_e32 v97, 21
	s_cbranch_scc1 .LBB82_443
; %bb.441:
	v_add_u32_e32 v98, 0x160, v94
	s_mov_b32 s0, 22
	v_mov_b32_e32 v97, 21
.LBB82_442:                             ; =>This Inner Loop Header: Depth=1
	s_waitcnt lgkmcnt(0)
	v_cmp_gt_f64_e32 vcc, 0, v[117:118]
	v_xor_b32_e32 v103, 0x80000000, v118
	ds_read2_b64 v[99:102], v98 offset1:1
	v_xor_b32_e32 v105, 0x80000000, v120
	v_add_u32_e32 v98, 16, v98
	s_waitcnt lgkmcnt(0)
	v_xor_b32_e32 v107, 0x80000000, v102
	v_cndmask_b32_e32 v104, v118, v103, vcc
	v_cmp_gt_f64_e32 vcc, 0, v[119:120]
	v_mov_b32_e32 v103, v117
	v_cndmask_b32_e32 v106, v120, v105, vcc
	v_cmp_gt_f64_e32 vcc, 0, v[99:100]
	v_mov_b32_e32 v105, v119
	v_add_f64 v[103:104], v[103:104], v[105:106]
	v_xor_b32_e32 v105, 0x80000000, v100
	v_cndmask_b32_e32 v106, v100, v105, vcc
	v_cmp_gt_f64_e32 vcc, 0, v[101:102]
	v_mov_b32_e32 v105, v99
	v_cndmask_b32_e32 v108, v102, v107, vcc
	v_mov_b32_e32 v107, v101
	v_add_f64 v[105:106], v[105:106], v[107:108]
	v_cmp_lt_f64_e32 vcc, v[103:104], v[105:106]
	v_cndmask_b32_e32 v117, v117, v99, vcc
	v_mov_b32_e32 v99, s0
	s_add_i32 s0, s0, 1
	v_cndmask_b32_e32 v118, v118, v100, vcc
	v_cndmask_b32_e32 v120, v120, v102, vcc
	;; [unrolled: 1-line block ×4, first 2 shown]
	s_cmp_lg_u32 s3, s0
	s_cbranch_scc1 .LBB82_442
.LBB82_443:
	s_waitcnt lgkmcnt(0)
	v_cmp_eq_f64_e32 vcc, 0, v[117:118]
	v_cmp_eq_f64_e64 s[0:1], 0, v[119:120]
	s_and_b64 s[0:1], vcc, s[0:1]
	s_and_saveexec_b64 s[18:19], s[0:1]
	s_xor_b64 s[0:1], exec, s[18:19]
; %bb.444:
	v_cmp_ne_u32_e32 vcc, 0, v95
	v_cndmask_b32_e32 v95, 22, v95, vcc
; %bb.445:
	s_andn2_saveexec_b64 s[0:1], s[0:1]
	s_cbranch_execz .LBB82_451
; %bb.446:
	v_cmp_ngt_f64_e64 s[18:19], |v[117:118]|, |v[119:120]|
	s_and_saveexec_b64 s[20:21], s[18:19]
	s_xor_b64 s[18:19], exec, s[20:21]
	s_cbranch_execz .LBB82_448
; %bb.447:
	v_div_scale_f64 v[98:99], s[20:21], v[119:120], v[119:120], v[117:118]
	v_rcp_f64_e32 v[100:101], v[98:99]
	v_fma_f64 v[102:103], -v[98:99], v[100:101], 1.0
	v_fma_f64 v[100:101], v[100:101], v[102:103], v[100:101]
	v_div_scale_f64 v[102:103], vcc, v[117:118], v[119:120], v[117:118]
	v_fma_f64 v[104:105], -v[98:99], v[100:101], 1.0
	v_fma_f64 v[100:101], v[100:101], v[104:105], v[100:101]
	v_mul_f64 v[104:105], v[102:103], v[100:101]
	v_fma_f64 v[98:99], -v[98:99], v[104:105], v[102:103]
	v_div_fmas_f64 v[98:99], v[98:99], v[100:101], v[104:105]
	v_div_fixup_f64 v[98:99], v[98:99], v[119:120], v[117:118]
	v_fma_f64 v[100:101], v[117:118], v[98:99], v[119:120]
	v_div_scale_f64 v[102:103], s[20:21], v[100:101], v[100:101], 1.0
	v_div_scale_f64 v[108:109], vcc, 1.0, v[100:101], 1.0
	v_rcp_f64_e32 v[104:105], v[102:103]
	v_fma_f64 v[106:107], -v[102:103], v[104:105], 1.0
	v_fma_f64 v[104:105], v[104:105], v[106:107], v[104:105]
	v_fma_f64 v[106:107], -v[102:103], v[104:105], 1.0
	v_fma_f64 v[104:105], v[104:105], v[106:107], v[104:105]
	v_mul_f64 v[106:107], v[108:109], v[104:105]
	v_fma_f64 v[102:103], -v[102:103], v[106:107], v[108:109]
	v_div_fmas_f64 v[102:103], v[102:103], v[104:105], v[106:107]
	v_div_fixup_f64 v[119:120], v[102:103], v[100:101], 1.0
	v_mul_f64 v[117:118], v[98:99], v[119:120]
	v_xor_b32_e32 v120, 0x80000000, v120
.LBB82_448:
	s_andn2_saveexec_b64 s[18:19], s[18:19]
	s_cbranch_execz .LBB82_450
; %bb.449:
	v_div_scale_f64 v[98:99], s[20:21], v[117:118], v[117:118], v[119:120]
	v_rcp_f64_e32 v[100:101], v[98:99]
	v_fma_f64 v[102:103], -v[98:99], v[100:101], 1.0
	v_fma_f64 v[100:101], v[100:101], v[102:103], v[100:101]
	v_div_scale_f64 v[102:103], vcc, v[119:120], v[117:118], v[119:120]
	v_fma_f64 v[104:105], -v[98:99], v[100:101], 1.0
	v_fma_f64 v[100:101], v[100:101], v[104:105], v[100:101]
	v_mul_f64 v[104:105], v[102:103], v[100:101]
	v_fma_f64 v[98:99], -v[98:99], v[104:105], v[102:103]
	v_div_fmas_f64 v[98:99], v[98:99], v[100:101], v[104:105]
	v_div_fixup_f64 v[98:99], v[98:99], v[117:118], v[119:120]
	v_fma_f64 v[100:101], v[119:120], v[98:99], v[117:118]
	v_div_scale_f64 v[102:103], s[20:21], v[100:101], v[100:101], 1.0
	v_div_scale_f64 v[108:109], vcc, 1.0, v[100:101], 1.0
	v_rcp_f64_e32 v[104:105], v[102:103]
	v_fma_f64 v[106:107], -v[102:103], v[104:105], 1.0
	v_fma_f64 v[104:105], v[104:105], v[106:107], v[104:105]
	v_fma_f64 v[106:107], -v[102:103], v[104:105], 1.0
	v_fma_f64 v[104:105], v[104:105], v[106:107], v[104:105]
	v_mul_f64 v[106:107], v[108:109], v[104:105]
	v_fma_f64 v[102:103], -v[102:103], v[106:107], v[108:109]
	v_div_fmas_f64 v[102:103], v[102:103], v[104:105], v[106:107]
	v_div_fixup_f64 v[117:118], v[102:103], v[100:101], 1.0
	v_mul_f64 v[119:120], v[98:99], -v[117:118]
.LBB82_450:
	s_or_b64 exec, exec, s[18:19]
.LBB82_451:
	s_or_b64 exec, exec, s[0:1]
	v_cmp_ne_u32_e32 vcc, v96, v97
	s_and_saveexec_b64 s[0:1], vcc
	s_xor_b64 s[0:1], exec, s[0:1]
	s_cbranch_execz .LBB82_457
; %bb.452:
	v_cmp_eq_u32_e32 vcc, 21, v96
	s_and_saveexec_b64 s[18:19], vcc
	s_cbranch_execz .LBB82_456
; %bb.453:
	v_cmp_ne_u32_e32 vcc, 21, v97
	s_xor_b64 s[20:21], s[6:7], -1
	s_and_b64 s[22:23], s[20:21], vcc
	s_and_saveexec_b64 s[20:21], s[22:23]
	s_cbranch_execz .LBB82_455
; %bb.454:
	v_ashrrev_i32_e32 v98, 31, v97
	v_lshlrev_b64 v[98:99], 2, v[97:98]
	v_add_co_u32_e32 v98, vcc, v91, v98
	v_addc_co_u32_e32 v99, vcc, v92, v99, vcc
	global_load_dword v0, v[98:99], off
	global_load_dword v96, v[91:92], off offset:84
	s_waitcnt vmcnt(1)
	global_store_dword v[91:92], v0, off offset:84
	s_waitcnt vmcnt(1)
	global_store_dword v[98:99], v96, off
.LBB82_455:
	s_or_b64 exec, exec, s[20:21]
	v_mov_b32_e32 v96, v97
	v_mov_b32_e32 v0, v97
.LBB82_456:
	s_or_b64 exec, exec, s[18:19]
.LBB82_457:
	s_andn2_saveexec_b64 s[0:1], s[0:1]
	s_cbranch_execz .LBB82_459
; %bb.458:
	v_mov_b32_e32 v96, 21
	ds_write2_b64 v94, v[73:74], v[75:76] offset0:44 offset1:45
	ds_write2_b64 v94, v[69:70], v[71:72] offset0:46 offset1:47
	;; [unrolled: 1-line block ×20, first 2 shown]
.LBB82_459:
	s_or_b64 exec, exec, s[0:1]
	v_cmp_lt_i32_e32 vcc, 21, v96
	s_waitcnt vmcnt(0) lgkmcnt(0)
	s_barrier
	s_and_saveexec_b64 s[0:1], vcc
	s_cbranch_execz .LBB82_461
; %bb.460:
	v_mul_f64 v[97:98], v[119:120], v[79:80]
	v_mul_f64 v[79:80], v[117:118], v[79:80]
	v_fma_f64 v[125:126], v[117:118], v[77:78], -v[97:98]
	v_fma_f64 v[79:80], v[119:120], v[77:78], v[79:80]
	ds_read2_b64 v[97:100], v94 offset0:44 offset1:45
	s_waitcnt lgkmcnt(0)
	v_mul_f64 v[77:78], v[99:100], v[79:80]
	v_fma_f64 v[77:78], v[97:98], v[125:126], -v[77:78]
	v_mul_f64 v[97:98], v[97:98], v[79:80]
	v_add_f64 v[73:74], v[73:74], -v[77:78]
	v_fma_f64 v[97:98], v[99:100], v[125:126], v[97:98]
	v_add_f64 v[75:76], v[75:76], -v[97:98]
	ds_read2_b64 v[97:100], v94 offset0:46 offset1:47
	s_waitcnt lgkmcnt(0)
	v_mul_f64 v[77:78], v[99:100], v[79:80]
	v_fma_f64 v[77:78], v[97:98], v[125:126], -v[77:78]
	v_mul_f64 v[97:98], v[97:98], v[79:80]
	v_add_f64 v[69:70], v[69:70], -v[77:78]
	v_fma_f64 v[97:98], v[99:100], v[125:126], v[97:98]
	v_add_f64 v[71:72], v[71:72], -v[97:98]
	;; [unrolled: 8-line block ×19, first 2 shown]
	ds_read2_b64 v[97:100], v94 offset0:82 offset1:83
	s_waitcnt lgkmcnt(0)
	v_mul_f64 v[77:78], v[99:100], v[79:80]
	v_fma_f64 v[77:78], v[97:98], v[125:126], -v[77:78]
	v_mul_f64 v[97:98], v[97:98], v[79:80]
	v_add_f64 v[121:122], v[121:122], -v[77:78]
	v_fma_f64 v[97:98], v[99:100], v[125:126], v[97:98]
	v_mov_b32_e32 v77, v125
	v_mov_b32_e32 v78, v126
	v_add_f64 v[123:124], v[123:124], -v[97:98]
.LBB82_461:
	s_or_b64 exec, exec, s[0:1]
	v_lshl_add_u32 v97, v96, 4, v94
	s_barrier
	ds_write2_b64 v97, v[73:74], v[75:76] offset1:1
	s_waitcnt lgkmcnt(0)
	s_barrier
	ds_read2_b64 v[117:120], v94 offset0:44 offset1:45
	s_cmp_lt_i32 s3, 24
	v_mov_b32_e32 v97, 22
	s_cbranch_scc1 .LBB82_464
; %bb.462:
	v_add_u32_e32 v98, 0x170, v94
	s_mov_b32 s0, 23
	v_mov_b32_e32 v97, 22
.LBB82_463:                             ; =>This Inner Loop Header: Depth=1
	s_waitcnt lgkmcnt(0)
	v_cmp_gt_f64_e32 vcc, 0, v[117:118]
	v_xor_b32_e32 v103, 0x80000000, v118
	ds_read2_b64 v[99:102], v98 offset1:1
	v_xor_b32_e32 v105, 0x80000000, v120
	v_add_u32_e32 v98, 16, v98
	s_waitcnt lgkmcnt(0)
	v_xor_b32_e32 v107, 0x80000000, v102
	v_cndmask_b32_e32 v104, v118, v103, vcc
	v_cmp_gt_f64_e32 vcc, 0, v[119:120]
	v_mov_b32_e32 v103, v117
	v_cndmask_b32_e32 v106, v120, v105, vcc
	v_cmp_gt_f64_e32 vcc, 0, v[99:100]
	v_mov_b32_e32 v105, v119
	v_add_f64 v[103:104], v[103:104], v[105:106]
	v_xor_b32_e32 v105, 0x80000000, v100
	v_cndmask_b32_e32 v106, v100, v105, vcc
	v_cmp_gt_f64_e32 vcc, 0, v[101:102]
	v_mov_b32_e32 v105, v99
	v_cndmask_b32_e32 v108, v102, v107, vcc
	v_mov_b32_e32 v107, v101
	v_add_f64 v[105:106], v[105:106], v[107:108]
	v_cmp_lt_f64_e32 vcc, v[103:104], v[105:106]
	v_cndmask_b32_e32 v117, v117, v99, vcc
	v_mov_b32_e32 v99, s0
	s_add_i32 s0, s0, 1
	v_cndmask_b32_e32 v118, v118, v100, vcc
	v_cndmask_b32_e32 v120, v120, v102, vcc
	;; [unrolled: 1-line block ×4, first 2 shown]
	s_cmp_lg_u32 s3, s0
	s_cbranch_scc1 .LBB82_463
.LBB82_464:
	s_waitcnt lgkmcnt(0)
	v_cmp_eq_f64_e32 vcc, 0, v[117:118]
	v_cmp_eq_f64_e64 s[0:1], 0, v[119:120]
	s_and_b64 s[0:1], vcc, s[0:1]
	s_and_saveexec_b64 s[18:19], s[0:1]
	s_xor_b64 s[0:1], exec, s[18:19]
; %bb.465:
	v_cmp_ne_u32_e32 vcc, 0, v95
	v_cndmask_b32_e32 v95, 23, v95, vcc
; %bb.466:
	s_andn2_saveexec_b64 s[0:1], s[0:1]
	s_cbranch_execz .LBB82_472
; %bb.467:
	v_cmp_ngt_f64_e64 s[18:19], |v[117:118]|, |v[119:120]|
	s_and_saveexec_b64 s[20:21], s[18:19]
	s_xor_b64 s[18:19], exec, s[20:21]
	s_cbranch_execz .LBB82_469
; %bb.468:
	v_div_scale_f64 v[98:99], s[20:21], v[119:120], v[119:120], v[117:118]
	v_rcp_f64_e32 v[100:101], v[98:99]
	v_fma_f64 v[102:103], -v[98:99], v[100:101], 1.0
	v_fma_f64 v[100:101], v[100:101], v[102:103], v[100:101]
	v_div_scale_f64 v[102:103], vcc, v[117:118], v[119:120], v[117:118]
	v_fma_f64 v[104:105], -v[98:99], v[100:101], 1.0
	v_fma_f64 v[100:101], v[100:101], v[104:105], v[100:101]
	v_mul_f64 v[104:105], v[102:103], v[100:101]
	v_fma_f64 v[98:99], -v[98:99], v[104:105], v[102:103]
	v_div_fmas_f64 v[98:99], v[98:99], v[100:101], v[104:105]
	v_div_fixup_f64 v[98:99], v[98:99], v[119:120], v[117:118]
	v_fma_f64 v[100:101], v[117:118], v[98:99], v[119:120]
	v_div_scale_f64 v[102:103], s[20:21], v[100:101], v[100:101], 1.0
	v_div_scale_f64 v[108:109], vcc, 1.0, v[100:101], 1.0
	v_rcp_f64_e32 v[104:105], v[102:103]
	v_fma_f64 v[106:107], -v[102:103], v[104:105], 1.0
	v_fma_f64 v[104:105], v[104:105], v[106:107], v[104:105]
	v_fma_f64 v[106:107], -v[102:103], v[104:105], 1.0
	v_fma_f64 v[104:105], v[104:105], v[106:107], v[104:105]
	v_mul_f64 v[106:107], v[108:109], v[104:105]
	v_fma_f64 v[102:103], -v[102:103], v[106:107], v[108:109]
	v_div_fmas_f64 v[102:103], v[102:103], v[104:105], v[106:107]
	v_div_fixup_f64 v[119:120], v[102:103], v[100:101], 1.0
	v_mul_f64 v[117:118], v[98:99], v[119:120]
	v_xor_b32_e32 v120, 0x80000000, v120
.LBB82_469:
	s_andn2_saveexec_b64 s[18:19], s[18:19]
	s_cbranch_execz .LBB82_471
; %bb.470:
	v_div_scale_f64 v[98:99], s[20:21], v[117:118], v[117:118], v[119:120]
	v_rcp_f64_e32 v[100:101], v[98:99]
	v_fma_f64 v[102:103], -v[98:99], v[100:101], 1.0
	v_fma_f64 v[100:101], v[100:101], v[102:103], v[100:101]
	v_div_scale_f64 v[102:103], vcc, v[119:120], v[117:118], v[119:120]
	v_fma_f64 v[104:105], -v[98:99], v[100:101], 1.0
	v_fma_f64 v[100:101], v[100:101], v[104:105], v[100:101]
	v_mul_f64 v[104:105], v[102:103], v[100:101]
	v_fma_f64 v[98:99], -v[98:99], v[104:105], v[102:103]
	v_div_fmas_f64 v[98:99], v[98:99], v[100:101], v[104:105]
	v_div_fixup_f64 v[98:99], v[98:99], v[117:118], v[119:120]
	v_fma_f64 v[100:101], v[119:120], v[98:99], v[117:118]
	v_div_scale_f64 v[102:103], s[20:21], v[100:101], v[100:101], 1.0
	v_div_scale_f64 v[108:109], vcc, 1.0, v[100:101], 1.0
	v_rcp_f64_e32 v[104:105], v[102:103]
	v_fma_f64 v[106:107], -v[102:103], v[104:105], 1.0
	v_fma_f64 v[104:105], v[104:105], v[106:107], v[104:105]
	v_fma_f64 v[106:107], -v[102:103], v[104:105], 1.0
	v_fma_f64 v[104:105], v[104:105], v[106:107], v[104:105]
	v_mul_f64 v[106:107], v[108:109], v[104:105]
	v_fma_f64 v[102:103], -v[102:103], v[106:107], v[108:109]
	v_div_fmas_f64 v[102:103], v[102:103], v[104:105], v[106:107]
	v_div_fixup_f64 v[117:118], v[102:103], v[100:101], 1.0
	v_mul_f64 v[119:120], v[98:99], -v[117:118]
.LBB82_471:
	s_or_b64 exec, exec, s[18:19]
.LBB82_472:
	s_or_b64 exec, exec, s[0:1]
	v_cmp_ne_u32_e32 vcc, v96, v97
	s_and_saveexec_b64 s[0:1], vcc
	s_xor_b64 s[0:1], exec, s[0:1]
	s_cbranch_execz .LBB82_478
; %bb.473:
	v_cmp_eq_u32_e32 vcc, 22, v96
	s_and_saveexec_b64 s[18:19], vcc
	s_cbranch_execz .LBB82_477
; %bb.474:
	v_cmp_ne_u32_e32 vcc, 22, v97
	s_xor_b64 s[20:21], s[6:7], -1
	s_and_b64 s[22:23], s[20:21], vcc
	s_and_saveexec_b64 s[20:21], s[22:23]
	s_cbranch_execz .LBB82_476
; %bb.475:
	v_ashrrev_i32_e32 v98, 31, v97
	v_lshlrev_b64 v[98:99], 2, v[97:98]
	v_add_co_u32_e32 v98, vcc, v91, v98
	v_addc_co_u32_e32 v99, vcc, v92, v99, vcc
	global_load_dword v0, v[98:99], off
	global_load_dword v96, v[91:92], off offset:88
	s_waitcnt vmcnt(1)
	global_store_dword v[91:92], v0, off offset:88
	s_waitcnt vmcnt(1)
	global_store_dword v[98:99], v96, off
.LBB82_476:
	s_or_b64 exec, exec, s[20:21]
	v_mov_b32_e32 v96, v97
	v_mov_b32_e32 v0, v97
.LBB82_477:
	s_or_b64 exec, exec, s[18:19]
.LBB82_478:
	s_andn2_saveexec_b64 s[0:1], s[0:1]
	s_cbranch_execz .LBB82_480
; %bb.479:
	v_mov_b32_e32 v96, 22
	ds_write2_b64 v94, v[69:70], v[71:72] offset0:46 offset1:47
	ds_write2_b64 v94, v[65:66], v[67:68] offset0:48 offset1:49
	;; [unrolled: 1-line block ×19, first 2 shown]
.LBB82_480:
	s_or_b64 exec, exec, s[0:1]
	v_cmp_lt_i32_e32 vcc, 22, v96
	s_waitcnt vmcnt(0) lgkmcnt(0)
	s_barrier
	s_and_saveexec_b64 s[0:1], vcc
	s_cbranch_execz .LBB82_482
; %bb.481:
	v_mul_f64 v[97:98], v[119:120], v[75:76]
	v_mul_f64 v[75:76], v[117:118], v[75:76]
	v_fma_f64 v[125:126], v[117:118], v[73:74], -v[97:98]
	v_fma_f64 v[75:76], v[119:120], v[73:74], v[75:76]
	ds_read2_b64 v[97:100], v94 offset0:46 offset1:47
	s_waitcnt lgkmcnt(0)
	v_mul_f64 v[73:74], v[99:100], v[75:76]
	v_fma_f64 v[73:74], v[97:98], v[125:126], -v[73:74]
	v_mul_f64 v[97:98], v[97:98], v[75:76]
	v_add_f64 v[69:70], v[69:70], -v[73:74]
	v_fma_f64 v[97:98], v[99:100], v[125:126], v[97:98]
	v_add_f64 v[71:72], v[71:72], -v[97:98]
	ds_read2_b64 v[97:100], v94 offset0:48 offset1:49
	s_waitcnt lgkmcnt(0)
	v_mul_f64 v[73:74], v[99:100], v[75:76]
	v_fma_f64 v[73:74], v[97:98], v[125:126], -v[73:74]
	v_mul_f64 v[97:98], v[97:98], v[75:76]
	v_add_f64 v[65:66], v[65:66], -v[73:74]
	v_fma_f64 v[97:98], v[99:100], v[125:126], v[97:98]
	v_add_f64 v[67:68], v[67:68], -v[97:98]
	;; [unrolled: 8-line block ×18, first 2 shown]
	ds_read2_b64 v[97:100], v94 offset0:82 offset1:83
	s_waitcnt lgkmcnt(0)
	v_mul_f64 v[73:74], v[99:100], v[75:76]
	v_fma_f64 v[73:74], v[97:98], v[125:126], -v[73:74]
	v_mul_f64 v[97:98], v[97:98], v[75:76]
	v_add_f64 v[121:122], v[121:122], -v[73:74]
	v_fma_f64 v[97:98], v[99:100], v[125:126], v[97:98]
	v_mov_b32_e32 v73, v125
	v_mov_b32_e32 v74, v126
	v_add_f64 v[123:124], v[123:124], -v[97:98]
.LBB82_482:
	s_or_b64 exec, exec, s[0:1]
	v_lshl_add_u32 v97, v96, 4, v94
	s_barrier
	ds_write2_b64 v97, v[69:70], v[71:72] offset1:1
	s_waitcnt lgkmcnt(0)
	s_barrier
	ds_read2_b64 v[117:120], v94 offset0:46 offset1:47
	s_cmp_lt_i32 s3, 25
	v_mov_b32_e32 v97, 23
	s_cbranch_scc1 .LBB82_485
; %bb.483:
	v_add_u32_e32 v98, 0x180, v94
	s_mov_b32 s0, 24
	v_mov_b32_e32 v97, 23
.LBB82_484:                             ; =>This Inner Loop Header: Depth=1
	s_waitcnt lgkmcnt(0)
	v_cmp_gt_f64_e32 vcc, 0, v[117:118]
	v_xor_b32_e32 v103, 0x80000000, v118
	ds_read2_b64 v[99:102], v98 offset1:1
	v_xor_b32_e32 v105, 0x80000000, v120
	v_add_u32_e32 v98, 16, v98
	s_waitcnt lgkmcnt(0)
	v_xor_b32_e32 v107, 0x80000000, v102
	v_cndmask_b32_e32 v104, v118, v103, vcc
	v_cmp_gt_f64_e32 vcc, 0, v[119:120]
	v_mov_b32_e32 v103, v117
	v_cndmask_b32_e32 v106, v120, v105, vcc
	v_cmp_gt_f64_e32 vcc, 0, v[99:100]
	v_mov_b32_e32 v105, v119
	v_add_f64 v[103:104], v[103:104], v[105:106]
	v_xor_b32_e32 v105, 0x80000000, v100
	v_cndmask_b32_e32 v106, v100, v105, vcc
	v_cmp_gt_f64_e32 vcc, 0, v[101:102]
	v_mov_b32_e32 v105, v99
	v_cndmask_b32_e32 v108, v102, v107, vcc
	v_mov_b32_e32 v107, v101
	v_add_f64 v[105:106], v[105:106], v[107:108]
	v_cmp_lt_f64_e32 vcc, v[103:104], v[105:106]
	v_cndmask_b32_e32 v117, v117, v99, vcc
	v_mov_b32_e32 v99, s0
	s_add_i32 s0, s0, 1
	v_cndmask_b32_e32 v118, v118, v100, vcc
	v_cndmask_b32_e32 v120, v120, v102, vcc
	;; [unrolled: 1-line block ×4, first 2 shown]
	s_cmp_lg_u32 s3, s0
	s_cbranch_scc1 .LBB82_484
.LBB82_485:
	s_waitcnt lgkmcnt(0)
	v_cmp_eq_f64_e32 vcc, 0, v[117:118]
	v_cmp_eq_f64_e64 s[0:1], 0, v[119:120]
	s_and_b64 s[0:1], vcc, s[0:1]
	s_and_saveexec_b64 s[18:19], s[0:1]
	s_xor_b64 s[0:1], exec, s[18:19]
; %bb.486:
	v_cmp_ne_u32_e32 vcc, 0, v95
	v_cndmask_b32_e32 v95, 24, v95, vcc
; %bb.487:
	s_andn2_saveexec_b64 s[0:1], s[0:1]
	s_cbranch_execz .LBB82_493
; %bb.488:
	v_cmp_ngt_f64_e64 s[18:19], |v[117:118]|, |v[119:120]|
	s_and_saveexec_b64 s[20:21], s[18:19]
	s_xor_b64 s[18:19], exec, s[20:21]
	s_cbranch_execz .LBB82_490
; %bb.489:
	v_div_scale_f64 v[98:99], s[20:21], v[119:120], v[119:120], v[117:118]
	v_rcp_f64_e32 v[100:101], v[98:99]
	v_fma_f64 v[102:103], -v[98:99], v[100:101], 1.0
	v_fma_f64 v[100:101], v[100:101], v[102:103], v[100:101]
	v_div_scale_f64 v[102:103], vcc, v[117:118], v[119:120], v[117:118]
	v_fma_f64 v[104:105], -v[98:99], v[100:101], 1.0
	v_fma_f64 v[100:101], v[100:101], v[104:105], v[100:101]
	v_mul_f64 v[104:105], v[102:103], v[100:101]
	v_fma_f64 v[98:99], -v[98:99], v[104:105], v[102:103]
	v_div_fmas_f64 v[98:99], v[98:99], v[100:101], v[104:105]
	v_div_fixup_f64 v[98:99], v[98:99], v[119:120], v[117:118]
	v_fma_f64 v[100:101], v[117:118], v[98:99], v[119:120]
	v_div_scale_f64 v[102:103], s[20:21], v[100:101], v[100:101], 1.0
	v_div_scale_f64 v[108:109], vcc, 1.0, v[100:101], 1.0
	v_rcp_f64_e32 v[104:105], v[102:103]
	v_fma_f64 v[106:107], -v[102:103], v[104:105], 1.0
	v_fma_f64 v[104:105], v[104:105], v[106:107], v[104:105]
	v_fma_f64 v[106:107], -v[102:103], v[104:105], 1.0
	v_fma_f64 v[104:105], v[104:105], v[106:107], v[104:105]
	v_mul_f64 v[106:107], v[108:109], v[104:105]
	v_fma_f64 v[102:103], -v[102:103], v[106:107], v[108:109]
	v_div_fmas_f64 v[102:103], v[102:103], v[104:105], v[106:107]
	v_div_fixup_f64 v[119:120], v[102:103], v[100:101], 1.0
	v_mul_f64 v[117:118], v[98:99], v[119:120]
	v_xor_b32_e32 v120, 0x80000000, v120
.LBB82_490:
	s_andn2_saveexec_b64 s[18:19], s[18:19]
	s_cbranch_execz .LBB82_492
; %bb.491:
	v_div_scale_f64 v[98:99], s[20:21], v[117:118], v[117:118], v[119:120]
	v_rcp_f64_e32 v[100:101], v[98:99]
	v_fma_f64 v[102:103], -v[98:99], v[100:101], 1.0
	v_fma_f64 v[100:101], v[100:101], v[102:103], v[100:101]
	v_div_scale_f64 v[102:103], vcc, v[119:120], v[117:118], v[119:120]
	v_fma_f64 v[104:105], -v[98:99], v[100:101], 1.0
	v_fma_f64 v[100:101], v[100:101], v[104:105], v[100:101]
	v_mul_f64 v[104:105], v[102:103], v[100:101]
	v_fma_f64 v[98:99], -v[98:99], v[104:105], v[102:103]
	v_div_fmas_f64 v[98:99], v[98:99], v[100:101], v[104:105]
	v_div_fixup_f64 v[98:99], v[98:99], v[117:118], v[119:120]
	v_fma_f64 v[100:101], v[119:120], v[98:99], v[117:118]
	v_div_scale_f64 v[102:103], s[20:21], v[100:101], v[100:101], 1.0
	v_div_scale_f64 v[108:109], vcc, 1.0, v[100:101], 1.0
	v_rcp_f64_e32 v[104:105], v[102:103]
	v_fma_f64 v[106:107], -v[102:103], v[104:105], 1.0
	v_fma_f64 v[104:105], v[104:105], v[106:107], v[104:105]
	v_fma_f64 v[106:107], -v[102:103], v[104:105], 1.0
	v_fma_f64 v[104:105], v[104:105], v[106:107], v[104:105]
	v_mul_f64 v[106:107], v[108:109], v[104:105]
	v_fma_f64 v[102:103], -v[102:103], v[106:107], v[108:109]
	v_div_fmas_f64 v[102:103], v[102:103], v[104:105], v[106:107]
	v_div_fixup_f64 v[117:118], v[102:103], v[100:101], 1.0
	v_mul_f64 v[119:120], v[98:99], -v[117:118]
.LBB82_492:
	s_or_b64 exec, exec, s[18:19]
.LBB82_493:
	s_or_b64 exec, exec, s[0:1]
	v_cmp_ne_u32_e32 vcc, v96, v97
	s_and_saveexec_b64 s[0:1], vcc
	s_xor_b64 s[0:1], exec, s[0:1]
	s_cbranch_execz .LBB82_499
; %bb.494:
	v_cmp_eq_u32_e32 vcc, 23, v96
	s_and_saveexec_b64 s[18:19], vcc
	s_cbranch_execz .LBB82_498
; %bb.495:
	v_cmp_ne_u32_e32 vcc, 23, v97
	s_xor_b64 s[20:21], s[6:7], -1
	s_and_b64 s[22:23], s[20:21], vcc
	s_and_saveexec_b64 s[20:21], s[22:23]
	s_cbranch_execz .LBB82_497
; %bb.496:
	v_ashrrev_i32_e32 v98, 31, v97
	v_lshlrev_b64 v[98:99], 2, v[97:98]
	v_add_co_u32_e32 v98, vcc, v91, v98
	v_addc_co_u32_e32 v99, vcc, v92, v99, vcc
	global_load_dword v0, v[98:99], off
	global_load_dword v96, v[91:92], off offset:92
	s_waitcnt vmcnt(1)
	global_store_dword v[91:92], v0, off offset:92
	s_waitcnt vmcnt(1)
	global_store_dword v[98:99], v96, off
.LBB82_497:
	s_or_b64 exec, exec, s[20:21]
	v_mov_b32_e32 v96, v97
	v_mov_b32_e32 v0, v97
.LBB82_498:
	s_or_b64 exec, exec, s[18:19]
.LBB82_499:
	s_andn2_saveexec_b64 s[0:1], s[0:1]
	s_cbranch_execz .LBB82_501
; %bb.500:
	v_mov_b32_e32 v96, 23
	ds_write2_b64 v94, v[65:66], v[67:68] offset0:48 offset1:49
	ds_write2_b64 v94, v[61:62], v[63:64] offset0:50 offset1:51
	ds_write2_b64 v94, v[57:58], v[59:60] offset0:52 offset1:53
	ds_write2_b64 v94, v[53:54], v[55:56] offset0:54 offset1:55
	ds_write2_b64 v94, v[49:50], v[51:52] offset0:56 offset1:57
	ds_write2_b64 v94, v[45:46], v[47:48] offset0:58 offset1:59
	ds_write2_b64 v94, v[41:42], v[43:44] offset0:60 offset1:61
	ds_write2_b64 v94, v[37:38], v[39:40] offset0:62 offset1:63
	ds_write2_b64 v94, v[33:34], v[35:36] offset0:64 offset1:65
	ds_write2_b64 v94, v[29:30], v[31:32] offset0:66 offset1:67
	ds_write2_b64 v94, v[25:26], v[27:28] offset0:68 offset1:69
	ds_write2_b64 v94, v[21:22], v[23:24] offset0:70 offset1:71
	ds_write2_b64 v94, v[17:18], v[19:20] offset0:72 offset1:73
	ds_write2_b64 v94, v[13:14], v[15:16] offset0:74 offset1:75
	ds_write2_b64 v94, v[9:10], v[11:12] offset0:76 offset1:77
	ds_write2_b64 v94, v[5:6], v[7:8] offset0:78 offset1:79
	ds_write2_b64 v94, v[1:2], v[3:4] offset0:80 offset1:81
	ds_write2_b64 v94, v[121:122], v[123:124] offset0:82 offset1:83
.LBB82_501:
	s_or_b64 exec, exec, s[0:1]
	v_cmp_lt_i32_e32 vcc, 23, v96
	s_waitcnt vmcnt(0) lgkmcnt(0)
	s_barrier
	s_and_saveexec_b64 s[0:1], vcc
	s_cbranch_execz .LBB82_503
; %bb.502:
	v_mul_f64 v[97:98], v[119:120], v[71:72]
	v_mul_f64 v[71:72], v[117:118], v[71:72]
	ds_read2_b64 v[99:102], v94 offset0:48 offset1:49
	v_fma_f64 v[97:98], v[117:118], v[69:70], -v[97:98]
	v_fma_f64 v[71:72], v[119:120], v[69:70], v[71:72]
	s_waitcnt lgkmcnt(0)
	v_mul_f64 v[69:70], v[101:102], v[71:72]
	v_fma_f64 v[69:70], v[99:100], v[97:98], -v[69:70]
	v_mul_f64 v[99:100], v[99:100], v[71:72]
	v_add_f64 v[65:66], v[65:66], -v[69:70]
	v_fma_f64 v[99:100], v[101:102], v[97:98], v[99:100]
	v_add_f64 v[67:68], v[67:68], -v[99:100]
	ds_read2_b64 v[99:102], v94 offset0:50 offset1:51
	s_waitcnt lgkmcnt(0)
	v_mul_f64 v[69:70], v[101:102], v[71:72]
	v_fma_f64 v[69:70], v[99:100], v[97:98], -v[69:70]
	v_mul_f64 v[99:100], v[99:100], v[71:72]
	v_add_f64 v[61:62], v[61:62], -v[69:70]
	v_fma_f64 v[99:100], v[101:102], v[97:98], v[99:100]
	v_add_f64 v[63:64], v[63:64], -v[99:100]
	ds_read2_b64 v[99:102], v94 offset0:52 offset1:53
	;; [unrolled: 8-line block ×17, first 2 shown]
	s_waitcnt lgkmcnt(0)
	v_mul_f64 v[69:70], v[101:102], v[71:72]
	v_fma_f64 v[69:70], v[99:100], v[97:98], -v[69:70]
	v_mul_f64 v[99:100], v[99:100], v[71:72]
	v_add_f64 v[121:122], v[121:122], -v[69:70]
	v_fma_f64 v[99:100], v[101:102], v[97:98], v[99:100]
	v_mov_b32_e32 v69, v97
	v_mov_b32_e32 v70, v98
	v_add_f64 v[123:124], v[123:124], -v[99:100]
.LBB82_503:
	s_or_b64 exec, exec, s[0:1]
	v_lshl_add_u32 v97, v96, 4, v94
	s_barrier
	ds_write2_b64 v97, v[65:66], v[67:68] offset1:1
	s_waitcnt lgkmcnt(0)
	s_barrier
	ds_read2_b64 v[117:120], v94 offset0:48 offset1:49
	s_cmp_lt_i32 s3, 26
	v_mov_b32_e32 v97, 24
	s_cbranch_scc1 .LBB82_506
; %bb.504:
	v_add_u32_e32 v98, 0x190, v94
	s_mov_b32 s0, 25
	v_mov_b32_e32 v97, 24
.LBB82_505:                             ; =>This Inner Loop Header: Depth=1
	s_waitcnt lgkmcnt(0)
	v_cmp_gt_f64_e32 vcc, 0, v[117:118]
	v_xor_b32_e32 v103, 0x80000000, v118
	ds_read2_b64 v[99:102], v98 offset1:1
	v_xor_b32_e32 v105, 0x80000000, v120
	v_add_u32_e32 v98, 16, v98
	s_waitcnt lgkmcnt(0)
	v_xor_b32_e32 v107, 0x80000000, v102
	v_cndmask_b32_e32 v104, v118, v103, vcc
	v_cmp_gt_f64_e32 vcc, 0, v[119:120]
	v_mov_b32_e32 v103, v117
	v_cndmask_b32_e32 v106, v120, v105, vcc
	v_cmp_gt_f64_e32 vcc, 0, v[99:100]
	v_mov_b32_e32 v105, v119
	v_add_f64 v[103:104], v[103:104], v[105:106]
	v_xor_b32_e32 v105, 0x80000000, v100
	v_cndmask_b32_e32 v106, v100, v105, vcc
	v_cmp_gt_f64_e32 vcc, 0, v[101:102]
	v_mov_b32_e32 v105, v99
	v_cndmask_b32_e32 v108, v102, v107, vcc
	v_mov_b32_e32 v107, v101
	v_add_f64 v[105:106], v[105:106], v[107:108]
	v_cmp_lt_f64_e32 vcc, v[103:104], v[105:106]
	v_cndmask_b32_e32 v117, v117, v99, vcc
	v_mov_b32_e32 v99, s0
	s_add_i32 s0, s0, 1
	v_cndmask_b32_e32 v118, v118, v100, vcc
	v_cndmask_b32_e32 v120, v120, v102, vcc
	;; [unrolled: 1-line block ×4, first 2 shown]
	s_cmp_lg_u32 s3, s0
	s_cbranch_scc1 .LBB82_505
.LBB82_506:
	s_waitcnt lgkmcnt(0)
	v_cmp_eq_f64_e32 vcc, 0, v[117:118]
	v_cmp_eq_f64_e64 s[0:1], 0, v[119:120]
	s_and_b64 s[0:1], vcc, s[0:1]
	s_and_saveexec_b64 s[18:19], s[0:1]
	s_xor_b64 s[0:1], exec, s[18:19]
; %bb.507:
	v_cmp_ne_u32_e32 vcc, 0, v95
	v_cndmask_b32_e32 v95, 25, v95, vcc
; %bb.508:
	s_andn2_saveexec_b64 s[0:1], s[0:1]
	s_cbranch_execz .LBB82_514
; %bb.509:
	v_cmp_ngt_f64_e64 s[18:19], |v[117:118]|, |v[119:120]|
	s_and_saveexec_b64 s[20:21], s[18:19]
	s_xor_b64 s[18:19], exec, s[20:21]
	s_cbranch_execz .LBB82_511
; %bb.510:
	v_div_scale_f64 v[98:99], s[20:21], v[119:120], v[119:120], v[117:118]
	v_rcp_f64_e32 v[100:101], v[98:99]
	v_fma_f64 v[102:103], -v[98:99], v[100:101], 1.0
	v_fma_f64 v[100:101], v[100:101], v[102:103], v[100:101]
	v_div_scale_f64 v[102:103], vcc, v[117:118], v[119:120], v[117:118]
	v_fma_f64 v[104:105], -v[98:99], v[100:101], 1.0
	v_fma_f64 v[100:101], v[100:101], v[104:105], v[100:101]
	v_mul_f64 v[104:105], v[102:103], v[100:101]
	v_fma_f64 v[98:99], -v[98:99], v[104:105], v[102:103]
	v_div_fmas_f64 v[98:99], v[98:99], v[100:101], v[104:105]
	v_div_fixup_f64 v[98:99], v[98:99], v[119:120], v[117:118]
	v_fma_f64 v[100:101], v[117:118], v[98:99], v[119:120]
	v_div_scale_f64 v[102:103], s[20:21], v[100:101], v[100:101], 1.0
	v_div_scale_f64 v[108:109], vcc, 1.0, v[100:101], 1.0
	v_rcp_f64_e32 v[104:105], v[102:103]
	v_fma_f64 v[106:107], -v[102:103], v[104:105], 1.0
	v_fma_f64 v[104:105], v[104:105], v[106:107], v[104:105]
	v_fma_f64 v[106:107], -v[102:103], v[104:105], 1.0
	v_fma_f64 v[104:105], v[104:105], v[106:107], v[104:105]
	v_mul_f64 v[106:107], v[108:109], v[104:105]
	v_fma_f64 v[102:103], -v[102:103], v[106:107], v[108:109]
	v_div_fmas_f64 v[102:103], v[102:103], v[104:105], v[106:107]
	v_div_fixup_f64 v[119:120], v[102:103], v[100:101], 1.0
	v_mul_f64 v[117:118], v[98:99], v[119:120]
	v_xor_b32_e32 v120, 0x80000000, v120
.LBB82_511:
	s_andn2_saveexec_b64 s[18:19], s[18:19]
	s_cbranch_execz .LBB82_513
; %bb.512:
	v_div_scale_f64 v[98:99], s[20:21], v[117:118], v[117:118], v[119:120]
	v_rcp_f64_e32 v[100:101], v[98:99]
	v_fma_f64 v[102:103], -v[98:99], v[100:101], 1.0
	v_fma_f64 v[100:101], v[100:101], v[102:103], v[100:101]
	v_div_scale_f64 v[102:103], vcc, v[119:120], v[117:118], v[119:120]
	v_fma_f64 v[104:105], -v[98:99], v[100:101], 1.0
	v_fma_f64 v[100:101], v[100:101], v[104:105], v[100:101]
	v_mul_f64 v[104:105], v[102:103], v[100:101]
	v_fma_f64 v[98:99], -v[98:99], v[104:105], v[102:103]
	v_div_fmas_f64 v[98:99], v[98:99], v[100:101], v[104:105]
	v_div_fixup_f64 v[98:99], v[98:99], v[117:118], v[119:120]
	v_fma_f64 v[100:101], v[119:120], v[98:99], v[117:118]
	v_div_scale_f64 v[102:103], s[20:21], v[100:101], v[100:101], 1.0
	v_div_scale_f64 v[108:109], vcc, 1.0, v[100:101], 1.0
	v_rcp_f64_e32 v[104:105], v[102:103]
	v_fma_f64 v[106:107], -v[102:103], v[104:105], 1.0
	v_fma_f64 v[104:105], v[104:105], v[106:107], v[104:105]
	v_fma_f64 v[106:107], -v[102:103], v[104:105], 1.0
	v_fma_f64 v[104:105], v[104:105], v[106:107], v[104:105]
	v_mul_f64 v[106:107], v[108:109], v[104:105]
	v_fma_f64 v[102:103], -v[102:103], v[106:107], v[108:109]
	v_div_fmas_f64 v[102:103], v[102:103], v[104:105], v[106:107]
	v_div_fixup_f64 v[117:118], v[102:103], v[100:101], 1.0
	v_mul_f64 v[119:120], v[98:99], -v[117:118]
.LBB82_513:
	s_or_b64 exec, exec, s[18:19]
.LBB82_514:
	s_or_b64 exec, exec, s[0:1]
	v_cmp_ne_u32_e32 vcc, v96, v97
	s_and_saveexec_b64 s[0:1], vcc
	s_xor_b64 s[0:1], exec, s[0:1]
	s_cbranch_execz .LBB82_520
; %bb.515:
	v_cmp_eq_u32_e32 vcc, 24, v96
	s_and_saveexec_b64 s[18:19], vcc
	s_cbranch_execz .LBB82_519
; %bb.516:
	v_cmp_ne_u32_e32 vcc, 24, v97
	s_xor_b64 s[20:21], s[6:7], -1
	s_and_b64 s[22:23], s[20:21], vcc
	s_and_saveexec_b64 s[20:21], s[22:23]
	s_cbranch_execz .LBB82_518
; %bb.517:
	v_ashrrev_i32_e32 v98, 31, v97
	v_lshlrev_b64 v[98:99], 2, v[97:98]
	v_add_co_u32_e32 v98, vcc, v91, v98
	v_addc_co_u32_e32 v99, vcc, v92, v99, vcc
	global_load_dword v0, v[98:99], off
	global_load_dword v96, v[91:92], off offset:96
	s_waitcnt vmcnt(1)
	global_store_dword v[91:92], v0, off offset:96
	s_waitcnt vmcnt(1)
	global_store_dword v[98:99], v96, off
.LBB82_518:
	s_or_b64 exec, exec, s[20:21]
	v_mov_b32_e32 v96, v97
	v_mov_b32_e32 v0, v97
.LBB82_519:
	s_or_b64 exec, exec, s[18:19]
.LBB82_520:
	s_andn2_saveexec_b64 s[0:1], s[0:1]
	s_cbranch_execz .LBB82_522
; %bb.521:
	v_mov_b32_e32 v96, 24
	ds_write2_b64 v94, v[61:62], v[63:64] offset0:50 offset1:51
	ds_write2_b64 v94, v[57:58], v[59:60] offset0:52 offset1:53
	;; [unrolled: 1-line block ×17, first 2 shown]
.LBB82_522:
	s_or_b64 exec, exec, s[0:1]
	v_cmp_lt_i32_e32 vcc, 24, v96
	s_waitcnt vmcnt(0) lgkmcnt(0)
	s_barrier
	s_and_saveexec_b64 s[0:1], vcc
	s_cbranch_execz .LBB82_524
; %bb.523:
	v_mul_f64 v[97:98], v[119:120], v[67:68]
	v_mul_f64 v[67:68], v[117:118], v[67:68]
	ds_read2_b64 v[99:102], v94 offset0:50 offset1:51
	v_fma_f64 v[97:98], v[117:118], v[65:66], -v[97:98]
	v_fma_f64 v[67:68], v[119:120], v[65:66], v[67:68]
	s_waitcnt lgkmcnt(0)
	v_mul_f64 v[65:66], v[101:102], v[67:68]
	v_fma_f64 v[65:66], v[99:100], v[97:98], -v[65:66]
	v_mul_f64 v[99:100], v[99:100], v[67:68]
	v_add_f64 v[61:62], v[61:62], -v[65:66]
	v_fma_f64 v[99:100], v[101:102], v[97:98], v[99:100]
	v_add_f64 v[63:64], v[63:64], -v[99:100]
	ds_read2_b64 v[99:102], v94 offset0:52 offset1:53
	s_waitcnt lgkmcnt(0)
	v_mul_f64 v[65:66], v[101:102], v[67:68]
	v_fma_f64 v[65:66], v[99:100], v[97:98], -v[65:66]
	v_mul_f64 v[99:100], v[99:100], v[67:68]
	v_add_f64 v[57:58], v[57:58], -v[65:66]
	v_fma_f64 v[99:100], v[101:102], v[97:98], v[99:100]
	v_add_f64 v[59:60], v[59:60], -v[99:100]
	ds_read2_b64 v[99:102], v94 offset0:54 offset1:55
	;; [unrolled: 8-line block ×16, first 2 shown]
	s_waitcnt lgkmcnt(0)
	v_mul_f64 v[65:66], v[101:102], v[67:68]
	v_fma_f64 v[65:66], v[99:100], v[97:98], -v[65:66]
	v_mul_f64 v[99:100], v[99:100], v[67:68]
	v_add_f64 v[121:122], v[121:122], -v[65:66]
	v_fma_f64 v[99:100], v[101:102], v[97:98], v[99:100]
	v_mov_b32_e32 v65, v97
	v_mov_b32_e32 v66, v98
	v_add_f64 v[123:124], v[123:124], -v[99:100]
.LBB82_524:
	s_or_b64 exec, exec, s[0:1]
	v_lshl_add_u32 v97, v96, 4, v94
	s_barrier
	ds_write2_b64 v97, v[61:62], v[63:64] offset1:1
	s_waitcnt lgkmcnt(0)
	s_barrier
	ds_read2_b64 v[117:120], v94 offset0:50 offset1:51
	s_cmp_lt_i32 s3, 27
	v_mov_b32_e32 v97, 25
	s_cbranch_scc1 .LBB82_527
; %bb.525:
	v_add_u32_e32 v98, 0x1a0, v94
	s_mov_b32 s0, 26
	v_mov_b32_e32 v97, 25
.LBB82_526:                             ; =>This Inner Loop Header: Depth=1
	s_waitcnt lgkmcnt(0)
	v_cmp_gt_f64_e32 vcc, 0, v[117:118]
	v_xor_b32_e32 v103, 0x80000000, v118
	ds_read2_b64 v[99:102], v98 offset1:1
	v_xor_b32_e32 v105, 0x80000000, v120
	v_add_u32_e32 v98, 16, v98
	s_waitcnt lgkmcnt(0)
	v_xor_b32_e32 v107, 0x80000000, v102
	v_cndmask_b32_e32 v104, v118, v103, vcc
	v_cmp_gt_f64_e32 vcc, 0, v[119:120]
	v_mov_b32_e32 v103, v117
	v_cndmask_b32_e32 v106, v120, v105, vcc
	v_cmp_gt_f64_e32 vcc, 0, v[99:100]
	v_mov_b32_e32 v105, v119
	v_add_f64 v[103:104], v[103:104], v[105:106]
	v_xor_b32_e32 v105, 0x80000000, v100
	v_cndmask_b32_e32 v106, v100, v105, vcc
	v_cmp_gt_f64_e32 vcc, 0, v[101:102]
	v_mov_b32_e32 v105, v99
	v_cndmask_b32_e32 v108, v102, v107, vcc
	v_mov_b32_e32 v107, v101
	v_add_f64 v[105:106], v[105:106], v[107:108]
	v_cmp_lt_f64_e32 vcc, v[103:104], v[105:106]
	v_cndmask_b32_e32 v117, v117, v99, vcc
	v_mov_b32_e32 v99, s0
	s_add_i32 s0, s0, 1
	v_cndmask_b32_e32 v118, v118, v100, vcc
	v_cndmask_b32_e32 v120, v120, v102, vcc
	;; [unrolled: 1-line block ×4, first 2 shown]
	s_cmp_lg_u32 s3, s0
	s_cbranch_scc1 .LBB82_526
.LBB82_527:
	s_waitcnt lgkmcnt(0)
	v_cmp_eq_f64_e32 vcc, 0, v[117:118]
	v_cmp_eq_f64_e64 s[0:1], 0, v[119:120]
	s_and_b64 s[0:1], vcc, s[0:1]
	s_and_saveexec_b64 s[18:19], s[0:1]
	s_xor_b64 s[0:1], exec, s[18:19]
; %bb.528:
	v_cmp_ne_u32_e32 vcc, 0, v95
	v_cndmask_b32_e32 v95, 26, v95, vcc
; %bb.529:
	s_andn2_saveexec_b64 s[0:1], s[0:1]
	s_cbranch_execz .LBB82_535
; %bb.530:
	v_cmp_ngt_f64_e64 s[18:19], |v[117:118]|, |v[119:120]|
	s_and_saveexec_b64 s[20:21], s[18:19]
	s_xor_b64 s[18:19], exec, s[20:21]
	s_cbranch_execz .LBB82_532
; %bb.531:
	v_div_scale_f64 v[98:99], s[20:21], v[119:120], v[119:120], v[117:118]
	v_rcp_f64_e32 v[100:101], v[98:99]
	v_fma_f64 v[102:103], -v[98:99], v[100:101], 1.0
	v_fma_f64 v[100:101], v[100:101], v[102:103], v[100:101]
	v_div_scale_f64 v[102:103], vcc, v[117:118], v[119:120], v[117:118]
	v_fma_f64 v[104:105], -v[98:99], v[100:101], 1.0
	v_fma_f64 v[100:101], v[100:101], v[104:105], v[100:101]
	v_mul_f64 v[104:105], v[102:103], v[100:101]
	v_fma_f64 v[98:99], -v[98:99], v[104:105], v[102:103]
	v_div_fmas_f64 v[98:99], v[98:99], v[100:101], v[104:105]
	v_div_fixup_f64 v[98:99], v[98:99], v[119:120], v[117:118]
	v_fma_f64 v[100:101], v[117:118], v[98:99], v[119:120]
	v_div_scale_f64 v[102:103], s[20:21], v[100:101], v[100:101], 1.0
	v_div_scale_f64 v[108:109], vcc, 1.0, v[100:101], 1.0
	v_rcp_f64_e32 v[104:105], v[102:103]
	v_fma_f64 v[106:107], -v[102:103], v[104:105], 1.0
	v_fma_f64 v[104:105], v[104:105], v[106:107], v[104:105]
	v_fma_f64 v[106:107], -v[102:103], v[104:105], 1.0
	v_fma_f64 v[104:105], v[104:105], v[106:107], v[104:105]
	v_mul_f64 v[106:107], v[108:109], v[104:105]
	v_fma_f64 v[102:103], -v[102:103], v[106:107], v[108:109]
	v_div_fmas_f64 v[102:103], v[102:103], v[104:105], v[106:107]
	v_div_fixup_f64 v[119:120], v[102:103], v[100:101], 1.0
	v_mul_f64 v[117:118], v[98:99], v[119:120]
	v_xor_b32_e32 v120, 0x80000000, v120
.LBB82_532:
	s_andn2_saveexec_b64 s[18:19], s[18:19]
	s_cbranch_execz .LBB82_534
; %bb.533:
	v_div_scale_f64 v[98:99], s[20:21], v[117:118], v[117:118], v[119:120]
	v_rcp_f64_e32 v[100:101], v[98:99]
	v_fma_f64 v[102:103], -v[98:99], v[100:101], 1.0
	v_fma_f64 v[100:101], v[100:101], v[102:103], v[100:101]
	v_div_scale_f64 v[102:103], vcc, v[119:120], v[117:118], v[119:120]
	v_fma_f64 v[104:105], -v[98:99], v[100:101], 1.0
	v_fma_f64 v[100:101], v[100:101], v[104:105], v[100:101]
	v_mul_f64 v[104:105], v[102:103], v[100:101]
	v_fma_f64 v[98:99], -v[98:99], v[104:105], v[102:103]
	v_div_fmas_f64 v[98:99], v[98:99], v[100:101], v[104:105]
	v_div_fixup_f64 v[98:99], v[98:99], v[117:118], v[119:120]
	v_fma_f64 v[100:101], v[119:120], v[98:99], v[117:118]
	v_div_scale_f64 v[102:103], s[20:21], v[100:101], v[100:101], 1.0
	v_div_scale_f64 v[108:109], vcc, 1.0, v[100:101], 1.0
	v_rcp_f64_e32 v[104:105], v[102:103]
	v_fma_f64 v[106:107], -v[102:103], v[104:105], 1.0
	v_fma_f64 v[104:105], v[104:105], v[106:107], v[104:105]
	v_fma_f64 v[106:107], -v[102:103], v[104:105], 1.0
	v_fma_f64 v[104:105], v[104:105], v[106:107], v[104:105]
	v_mul_f64 v[106:107], v[108:109], v[104:105]
	v_fma_f64 v[102:103], -v[102:103], v[106:107], v[108:109]
	v_div_fmas_f64 v[102:103], v[102:103], v[104:105], v[106:107]
	v_div_fixup_f64 v[117:118], v[102:103], v[100:101], 1.0
	v_mul_f64 v[119:120], v[98:99], -v[117:118]
.LBB82_534:
	s_or_b64 exec, exec, s[18:19]
.LBB82_535:
	s_or_b64 exec, exec, s[0:1]
	v_cmp_ne_u32_e32 vcc, v96, v97
	s_and_saveexec_b64 s[0:1], vcc
	s_xor_b64 s[0:1], exec, s[0:1]
	s_cbranch_execz .LBB82_541
; %bb.536:
	v_cmp_eq_u32_e32 vcc, 25, v96
	s_and_saveexec_b64 s[18:19], vcc
	s_cbranch_execz .LBB82_540
; %bb.537:
	v_cmp_ne_u32_e32 vcc, 25, v97
	s_xor_b64 s[20:21], s[6:7], -1
	s_and_b64 s[22:23], s[20:21], vcc
	s_and_saveexec_b64 s[20:21], s[22:23]
	s_cbranch_execz .LBB82_539
; %bb.538:
	v_ashrrev_i32_e32 v98, 31, v97
	v_lshlrev_b64 v[98:99], 2, v[97:98]
	v_add_co_u32_e32 v98, vcc, v91, v98
	v_addc_co_u32_e32 v99, vcc, v92, v99, vcc
	global_load_dword v0, v[98:99], off
	global_load_dword v96, v[91:92], off offset:100
	s_waitcnt vmcnt(1)
	global_store_dword v[91:92], v0, off offset:100
	s_waitcnt vmcnt(1)
	global_store_dword v[98:99], v96, off
.LBB82_539:
	s_or_b64 exec, exec, s[20:21]
	v_mov_b32_e32 v96, v97
	v_mov_b32_e32 v0, v97
.LBB82_540:
	s_or_b64 exec, exec, s[18:19]
.LBB82_541:
	s_andn2_saveexec_b64 s[0:1], s[0:1]
	s_cbranch_execz .LBB82_543
; %bb.542:
	v_mov_b32_e32 v96, 25
	ds_write2_b64 v94, v[57:58], v[59:60] offset0:52 offset1:53
	ds_write2_b64 v94, v[53:54], v[55:56] offset0:54 offset1:55
	ds_write2_b64 v94, v[49:50], v[51:52] offset0:56 offset1:57
	ds_write2_b64 v94, v[45:46], v[47:48] offset0:58 offset1:59
	ds_write2_b64 v94, v[41:42], v[43:44] offset0:60 offset1:61
	ds_write2_b64 v94, v[37:38], v[39:40] offset0:62 offset1:63
	ds_write2_b64 v94, v[33:34], v[35:36] offset0:64 offset1:65
	ds_write2_b64 v94, v[29:30], v[31:32] offset0:66 offset1:67
	ds_write2_b64 v94, v[25:26], v[27:28] offset0:68 offset1:69
	ds_write2_b64 v94, v[21:22], v[23:24] offset0:70 offset1:71
	ds_write2_b64 v94, v[17:18], v[19:20] offset0:72 offset1:73
	ds_write2_b64 v94, v[13:14], v[15:16] offset0:74 offset1:75
	ds_write2_b64 v94, v[9:10], v[11:12] offset0:76 offset1:77
	ds_write2_b64 v94, v[5:6], v[7:8] offset0:78 offset1:79
	ds_write2_b64 v94, v[1:2], v[3:4] offset0:80 offset1:81
	ds_write2_b64 v94, v[121:122], v[123:124] offset0:82 offset1:83
.LBB82_543:
	s_or_b64 exec, exec, s[0:1]
	v_cmp_lt_i32_e32 vcc, 25, v96
	s_waitcnt vmcnt(0) lgkmcnt(0)
	s_barrier
	s_and_saveexec_b64 s[0:1], vcc
	s_cbranch_execz .LBB82_545
; %bb.544:
	v_mul_f64 v[97:98], v[117:118], v[63:64]
	v_mul_f64 v[63:64], v[119:120], v[63:64]
	ds_read2_b64 v[99:102], v94 offset0:52 offset1:53
	v_fma_f64 v[97:98], v[119:120], v[61:62], v[97:98]
	v_fma_f64 v[61:62], v[117:118], v[61:62], -v[63:64]
	s_waitcnt lgkmcnt(0)
	v_mul_f64 v[63:64], v[101:102], v[97:98]
	v_fma_f64 v[63:64], v[99:100], v[61:62], -v[63:64]
	v_mul_f64 v[99:100], v[99:100], v[97:98]
	v_add_f64 v[57:58], v[57:58], -v[63:64]
	v_fma_f64 v[99:100], v[101:102], v[61:62], v[99:100]
	v_add_f64 v[59:60], v[59:60], -v[99:100]
	ds_read2_b64 v[99:102], v94 offset0:54 offset1:55
	s_waitcnt lgkmcnt(0)
	v_mul_f64 v[63:64], v[101:102], v[97:98]
	v_fma_f64 v[63:64], v[99:100], v[61:62], -v[63:64]
	v_mul_f64 v[99:100], v[99:100], v[97:98]
	v_add_f64 v[53:54], v[53:54], -v[63:64]
	v_fma_f64 v[99:100], v[101:102], v[61:62], v[99:100]
	v_add_f64 v[55:56], v[55:56], -v[99:100]
	ds_read2_b64 v[99:102], v94 offset0:56 offset1:57
	s_waitcnt lgkmcnt(0)
	v_mul_f64 v[63:64], v[101:102], v[97:98]
	v_fma_f64 v[63:64], v[99:100], v[61:62], -v[63:64]
	v_mul_f64 v[99:100], v[99:100], v[97:98]
	v_add_f64 v[49:50], v[49:50], -v[63:64]
	v_fma_f64 v[99:100], v[101:102], v[61:62], v[99:100]
	v_add_f64 v[51:52], v[51:52], -v[99:100]
	ds_read2_b64 v[99:102], v94 offset0:58 offset1:59
	s_waitcnt lgkmcnt(0)
	v_mul_f64 v[63:64], v[101:102], v[97:98]
	v_fma_f64 v[63:64], v[99:100], v[61:62], -v[63:64]
	v_mul_f64 v[99:100], v[99:100], v[97:98]
	v_add_f64 v[45:46], v[45:46], -v[63:64]
	v_fma_f64 v[99:100], v[101:102], v[61:62], v[99:100]
	v_add_f64 v[47:48], v[47:48], -v[99:100]
	ds_read2_b64 v[99:102], v94 offset0:60 offset1:61
	s_waitcnt lgkmcnt(0)
	v_mul_f64 v[63:64], v[101:102], v[97:98]
	v_fma_f64 v[63:64], v[99:100], v[61:62], -v[63:64]
	v_mul_f64 v[99:100], v[99:100], v[97:98]
	v_add_f64 v[41:42], v[41:42], -v[63:64]
	v_fma_f64 v[99:100], v[101:102], v[61:62], v[99:100]
	v_add_f64 v[43:44], v[43:44], -v[99:100]
	ds_read2_b64 v[99:102], v94 offset0:62 offset1:63
	s_waitcnt lgkmcnt(0)
	v_mul_f64 v[63:64], v[101:102], v[97:98]
	v_fma_f64 v[63:64], v[99:100], v[61:62], -v[63:64]
	v_mul_f64 v[99:100], v[99:100], v[97:98]
	v_add_f64 v[37:38], v[37:38], -v[63:64]
	v_fma_f64 v[99:100], v[101:102], v[61:62], v[99:100]
	v_add_f64 v[39:40], v[39:40], -v[99:100]
	ds_read2_b64 v[99:102], v94 offset0:64 offset1:65
	s_waitcnt lgkmcnt(0)
	v_mul_f64 v[63:64], v[101:102], v[97:98]
	v_fma_f64 v[63:64], v[99:100], v[61:62], -v[63:64]
	v_mul_f64 v[99:100], v[99:100], v[97:98]
	v_add_f64 v[33:34], v[33:34], -v[63:64]
	v_fma_f64 v[99:100], v[101:102], v[61:62], v[99:100]
	v_add_f64 v[35:36], v[35:36], -v[99:100]
	ds_read2_b64 v[99:102], v94 offset0:66 offset1:67
	s_waitcnt lgkmcnt(0)
	v_mul_f64 v[63:64], v[101:102], v[97:98]
	v_fma_f64 v[63:64], v[99:100], v[61:62], -v[63:64]
	v_mul_f64 v[99:100], v[99:100], v[97:98]
	v_add_f64 v[29:30], v[29:30], -v[63:64]
	v_fma_f64 v[99:100], v[101:102], v[61:62], v[99:100]
	v_add_f64 v[31:32], v[31:32], -v[99:100]
	ds_read2_b64 v[99:102], v94 offset0:68 offset1:69
	s_waitcnt lgkmcnt(0)
	v_mul_f64 v[63:64], v[101:102], v[97:98]
	v_fma_f64 v[63:64], v[99:100], v[61:62], -v[63:64]
	v_mul_f64 v[99:100], v[99:100], v[97:98]
	v_add_f64 v[25:26], v[25:26], -v[63:64]
	v_fma_f64 v[99:100], v[101:102], v[61:62], v[99:100]
	v_add_f64 v[27:28], v[27:28], -v[99:100]
	ds_read2_b64 v[99:102], v94 offset0:70 offset1:71
	s_waitcnt lgkmcnt(0)
	v_mul_f64 v[63:64], v[101:102], v[97:98]
	v_fma_f64 v[63:64], v[99:100], v[61:62], -v[63:64]
	v_mul_f64 v[99:100], v[99:100], v[97:98]
	v_add_f64 v[21:22], v[21:22], -v[63:64]
	v_fma_f64 v[99:100], v[101:102], v[61:62], v[99:100]
	v_add_f64 v[23:24], v[23:24], -v[99:100]
	ds_read2_b64 v[99:102], v94 offset0:72 offset1:73
	s_waitcnt lgkmcnt(0)
	v_mul_f64 v[63:64], v[101:102], v[97:98]
	v_fma_f64 v[63:64], v[99:100], v[61:62], -v[63:64]
	v_mul_f64 v[99:100], v[99:100], v[97:98]
	v_add_f64 v[17:18], v[17:18], -v[63:64]
	v_fma_f64 v[99:100], v[101:102], v[61:62], v[99:100]
	v_add_f64 v[19:20], v[19:20], -v[99:100]
	ds_read2_b64 v[99:102], v94 offset0:74 offset1:75
	s_waitcnt lgkmcnt(0)
	v_mul_f64 v[63:64], v[101:102], v[97:98]
	v_fma_f64 v[63:64], v[99:100], v[61:62], -v[63:64]
	v_mul_f64 v[99:100], v[99:100], v[97:98]
	v_add_f64 v[13:14], v[13:14], -v[63:64]
	v_fma_f64 v[99:100], v[101:102], v[61:62], v[99:100]
	v_add_f64 v[15:16], v[15:16], -v[99:100]
	ds_read2_b64 v[99:102], v94 offset0:76 offset1:77
	s_waitcnt lgkmcnt(0)
	v_mul_f64 v[63:64], v[101:102], v[97:98]
	v_fma_f64 v[63:64], v[99:100], v[61:62], -v[63:64]
	v_mul_f64 v[99:100], v[99:100], v[97:98]
	v_add_f64 v[9:10], v[9:10], -v[63:64]
	v_fma_f64 v[99:100], v[101:102], v[61:62], v[99:100]
	v_add_f64 v[11:12], v[11:12], -v[99:100]
	ds_read2_b64 v[99:102], v94 offset0:78 offset1:79
	s_waitcnt lgkmcnt(0)
	v_mul_f64 v[63:64], v[101:102], v[97:98]
	v_fma_f64 v[63:64], v[99:100], v[61:62], -v[63:64]
	v_mul_f64 v[99:100], v[99:100], v[97:98]
	v_add_f64 v[5:6], v[5:6], -v[63:64]
	v_fma_f64 v[99:100], v[101:102], v[61:62], v[99:100]
	v_add_f64 v[7:8], v[7:8], -v[99:100]
	ds_read2_b64 v[99:102], v94 offset0:80 offset1:81
	s_waitcnt lgkmcnt(0)
	v_mul_f64 v[63:64], v[101:102], v[97:98]
	v_fma_f64 v[63:64], v[99:100], v[61:62], -v[63:64]
	v_mul_f64 v[99:100], v[99:100], v[97:98]
	v_add_f64 v[1:2], v[1:2], -v[63:64]
	v_fma_f64 v[99:100], v[101:102], v[61:62], v[99:100]
	v_add_f64 v[3:4], v[3:4], -v[99:100]
	ds_read2_b64 v[99:102], v94 offset0:82 offset1:83
	s_waitcnt lgkmcnt(0)
	v_mul_f64 v[63:64], v[101:102], v[97:98]
	v_fma_f64 v[63:64], v[99:100], v[61:62], -v[63:64]
	v_mul_f64 v[99:100], v[99:100], v[97:98]
	v_add_f64 v[121:122], v[121:122], -v[63:64]
	v_fma_f64 v[99:100], v[101:102], v[61:62], v[99:100]
	v_mov_b32_e32 v63, v97
	v_mov_b32_e32 v64, v98
	v_add_f64 v[123:124], v[123:124], -v[99:100]
.LBB82_545:
	s_or_b64 exec, exec, s[0:1]
	v_lshl_add_u32 v97, v96, 4, v94
	s_barrier
	ds_write2_b64 v97, v[57:58], v[59:60] offset1:1
	s_waitcnt lgkmcnt(0)
	s_barrier
	ds_read2_b64 v[117:120], v94 offset0:52 offset1:53
	s_cmp_lt_i32 s3, 28
	v_mov_b32_e32 v97, 26
	s_cbranch_scc1 .LBB82_548
; %bb.546:
	v_add_u32_e32 v98, 0x1b0, v94
	s_mov_b32 s0, 27
	v_mov_b32_e32 v97, 26
.LBB82_547:                             ; =>This Inner Loop Header: Depth=1
	s_waitcnt lgkmcnt(0)
	v_cmp_gt_f64_e32 vcc, 0, v[117:118]
	v_xor_b32_e32 v103, 0x80000000, v118
	ds_read2_b64 v[99:102], v98 offset1:1
	v_xor_b32_e32 v105, 0x80000000, v120
	v_add_u32_e32 v98, 16, v98
	s_waitcnt lgkmcnt(0)
	v_xor_b32_e32 v107, 0x80000000, v102
	v_cndmask_b32_e32 v104, v118, v103, vcc
	v_cmp_gt_f64_e32 vcc, 0, v[119:120]
	v_mov_b32_e32 v103, v117
	v_cndmask_b32_e32 v106, v120, v105, vcc
	v_cmp_gt_f64_e32 vcc, 0, v[99:100]
	v_mov_b32_e32 v105, v119
	v_add_f64 v[103:104], v[103:104], v[105:106]
	v_xor_b32_e32 v105, 0x80000000, v100
	v_cndmask_b32_e32 v106, v100, v105, vcc
	v_cmp_gt_f64_e32 vcc, 0, v[101:102]
	v_mov_b32_e32 v105, v99
	v_cndmask_b32_e32 v108, v102, v107, vcc
	v_mov_b32_e32 v107, v101
	v_add_f64 v[105:106], v[105:106], v[107:108]
	v_cmp_lt_f64_e32 vcc, v[103:104], v[105:106]
	v_cndmask_b32_e32 v117, v117, v99, vcc
	v_mov_b32_e32 v99, s0
	s_add_i32 s0, s0, 1
	v_cndmask_b32_e32 v118, v118, v100, vcc
	v_cndmask_b32_e32 v120, v120, v102, vcc
	v_cndmask_b32_e32 v119, v119, v101, vcc
	v_cndmask_b32_e32 v97, v97, v99, vcc
	s_cmp_lg_u32 s3, s0
	s_cbranch_scc1 .LBB82_547
.LBB82_548:
	s_waitcnt lgkmcnt(0)
	v_cmp_eq_f64_e32 vcc, 0, v[117:118]
	v_cmp_eq_f64_e64 s[0:1], 0, v[119:120]
	s_and_b64 s[0:1], vcc, s[0:1]
	s_and_saveexec_b64 s[18:19], s[0:1]
	s_xor_b64 s[0:1], exec, s[18:19]
; %bb.549:
	v_cmp_ne_u32_e32 vcc, 0, v95
	v_cndmask_b32_e32 v95, 27, v95, vcc
; %bb.550:
	s_andn2_saveexec_b64 s[0:1], s[0:1]
	s_cbranch_execz .LBB82_556
; %bb.551:
	v_cmp_ngt_f64_e64 s[18:19], |v[117:118]|, |v[119:120]|
	s_and_saveexec_b64 s[20:21], s[18:19]
	s_xor_b64 s[18:19], exec, s[20:21]
	s_cbranch_execz .LBB82_553
; %bb.552:
	v_div_scale_f64 v[98:99], s[20:21], v[119:120], v[119:120], v[117:118]
	v_rcp_f64_e32 v[100:101], v[98:99]
	v_fma_f64 v[102:103], -v[98:99], v[100:101], 1.0
	v_fma_f64 v[100:101], v[100:101], v[102:103], v[100:101]
	v_div_scale_f64 v[102:103], vcc, v[117:118], v[119:120], v[117:118]
	v_fma_f64 v[104:105], -v[98:99], v[100:101], 1.0
	v_fma_f64 v[100:101], v[100:101], v[104:105], v[100:101]
	v_mul_f64 v[104:105], v[102:103], v[100:101]
	v_fma_f64 v[98:99], -v[98:99], v[104:105], v[102:103]
	v_div_fmas_f64 v[98:99], v[98:99], v[100:101], v[104:105]
	v_div_fixup_f64 v[98:99], v[98:99], v[119:120], v[117:118]
	v_fma_f64 v[100:101], v[117:118], v[98:99], v[119:120]
	v_div_scale_f64 v[102:103], s[20:21], v[100:101], v[100:101], 1.0
	v_div_scale_f64 v[108:109], vcc, 1.0, v[100:101], 1.0
	v_rcp_f64_e32 v[104:105], v[102:103]
	v_fma_f64 v[106:107], -v[102:103], v[104:105], 1.0
	v_fma_f64 v[104:105], v[104:105], v[106:107], v[104:105]
	v_fma_f64 v[106:107], -v[102:103], v[104:105], 1.0
	v_fma_f64 v[104:105], v[104:105], v[106:107], v[104:105]
	v_mul_f64 v[106:107], v[108:109], v[104:105]
	v_fma_f64 v[102:103], -v[102:103], v[106:107], v[108:109]
	v_div_fmas_f64 v[102:103], v[102:103], v[104:105], v[106:107]
	v_div_fixup_f64 v[119:120], v[102:103], v[100:101], 1.0
	v_mul_f64 v[117:118], v[98:99], v[119:120]
	v_xor_b32_e32 v120, 0x80000000, v120
.LBB82_553:
	s_andn2_saveexec_b64 s[18:19], s[18:19]
	s_cbranch_execz .LBB82_555
; %bb.554:
	v_div_scale_f64 v[98:99], s[20:21], v[117:118], v[117:118], v[119:120]
	v_rcp_f64_e32 v[100:101], v[98:99]
	v_fma_f64 v[102:103], -v[98:99], v[100:101], 1.0
	v_fma_f64 v[100:101], v[100:101], v[102:103], v[100:101]
	v_div_scale_f64 v[102:103], vcc, v[119:120], v[117:118], v[119:120]
	v_fma_f64 v[104:105], -v[98:99], v[100:101], 1.0
	v_fma_f64 v[100:101], v[100:101], v[104:105], v[100:101]
	v_mul_f64 v[104:105], v[102:103], v[100:101]
	v_fma_f64 v[98:99], -v[98:99], v[104:105], v[102:103]
	v_div_fmas_f64 v[98:99], v[98:99], v[100:101], v[104:105]
	v_div_fixup_f64 v[98:99], v[98:99], v[117:118], v[119:120]
	v_fma_f64 v[100:101], v[119:120], v[98:99], v[117:118]
	v_div_scale_f64 v[102:103], s[20:21], v[100:101], v[100:101], 1.0
	v_div_scale_f64 v[108:109], vcc, 1.0, v[100:101], 1.0
	v_rcp_f64_e32 v[104:105], v[102:103]
	v_fma_f64 v[106:107], -v[102:103], v[104:105], 1.0
	v_fma_f64 v[104:105], v[104:105], v[106:107], v[104:105]
	v_fma_f64 v[106:107], -v[102:103], v[104:105], 1.0
	v_fma_f64 v[104:105], v[104:105], v[106:107], v[104:105]
	v_mul_f64 v[106:107], v[108:109], v[104:105]
	v_fma_f64 v[102:103], -v[102:103], v[106:107], v[108:109]
	v_div_fmas_f64 v[102:103], v[102:103], v[104:105], v[106:107]
	v_div_fixup_f64 v[117:118], v[102:103], v[100:101], 1.0
	v_mul_f64 v[119:120], v[98:99], -v[117:118]
.LBB82_555:
	s_or_b64 exec, exec, s[18:19]
.LBB82_556:
	s_or_b64 exec, exec, s[0:1]
	v_cmp_ne_u32_e32 vcc, v96, v97
	s_and_saveexec_b64 s[0:1], vcc
	s_xor_b64 s[0:1], exec, s[0:1]
	s_cbranch_execz .LBB82_562
; %bb.557:
	v_cmp_eq_u32_e32 vcc, 26, v96
	s_and_saveexec_b64 s[18:19], vcc
	s_cbranch_execz .LBB82_561
; %bb.558:
	v_cmp_ne_u32_e32 vcc, 26, v97
	s_xor_b64 s[20:21], s[6:7], -1
	s_and_b64 s[22:23], s[20:21], vcc
	s_and_saveexec_b64 s[20:21], s[22:23]
	s_cbranch_execz .LBB82_560
; %bb.559:
	v_ashrrev_i32_e32 v98, 31, v97
	v_lshlrev_b64 v[98:99], 2, v[97:98]
	v_add_co_u32_e32 v98, vcc, v91, v98
	v_addc_co_u32_e32 v99, vcc, v92, v99, vcc
	global_load_dword v0, v[98:99], off
	global_load_dword v96, v[91:92], off offset:104
	s_waitcnt vmcnt(1)
	global_store_dword v[91:92], v0, off offset:104
	s_waitcnt vmcnt(1)
	global_store_dword v[98:99], v96, off
.LBB82_560:
	s_or_b64 exec, exec, s[20:21]
	v_mov_b32_e32 v96, v97
	v_mov_b32_e32 v0, v97
.LBB82_561:
	s_or_b64 exec, exec, s[18:19]
.LBB82_562:
	s_andn2_saveexec_b64 s[0:1], s[0:1]
	s_cbranch_execz .LBB82_564
; %bb.563:
	v_mov_b32_e32 v96, 26
	ds_write2_b64 v94, v[53:54], v[55:56] offset0:54 offset1:55
	ds_write2_b64 v94, v[49:50], v[51:52] offset0:56 offset1:57
	;; [unrolled: 1-line block ×15, first 2 shown]
.LBB82_564:
	s_or_b64 exec, exec, s[0:1]
	v_cmp_lt_i32_e32 vcc, 26, v96
	s_waitcnt vmcnt(0) lgkmcnt(0)
	s_barrier
	s_and_saveexec_b64 s[0:1], vcc
	s_cbranch_execz .LBB82_566
; %bb.565:
	v_mul_f64 v[97:98], v[117:118], v[59:60]
	v_mul_f64 v[59:60], v[119:120], v[59:60]
	ds_read2_b64 v[99:102], v94 offset0:54 offset1:55
	v_fma_f64 v[97:98], v[119:120], v[57:58], v[97:98]
	v_fma_f64 v[57:58], v[117:118], v[57:58], -v[59:60]
	s_waitcnt lgkmcnt(0)
	v_mul_f64 v[59:60], v[101:102], v[97:98]
	v_fma_f64 v[59:60], v[99:100], v[57:58], -v[59:60]
	v_mul_f64 v[99:100], v[99:100], v[97:98]
	v_add_f64 v[53:54], v[53:54], -v[59:60]
	v_fma_f64 v[99:100], v[101:102], v[57:58], v[99:100]
	v_add_f64 v[55:56], v[55:56], -v[99:100]
	ds_read2_b64 v[99:102], v94 offset0:56 offset1:57
	s_waitcnt lgkmcnt(0)
	v_mul_f64 v[59:60], v[101:102], v[97:98]
	v_fma_f64 v[59:60], v[99:100], v[57:58], -v[59:60]
	v_mul_f64 v[99:100], v[99:100], v[97:98]
	v_add_f64 v[49:50], v[49:50], -v[59:60]
	v_fma_f64 v[99:100], v[101:102], v[57:58], v[99:100]
	v_add_f64 v[51:52], v[51:52], -v[99:100]
	ds_read2_b64 v[99:102], v94 offset0:58 offset1:59
	;; [unrolled: 8-line block ×14, first 2 shown]
	s_waitcnt lgkmcnt(0)
	v_mul_f64 v[59:60], v[101:102], v[97:98]
	v_fma_f64 v[59:60], v[99:100], v[57:58], -v[59:60]
	v_mul_f64 v[99:100], v[99:100], v[97:98]
	v_add_f64 v[121:122], v[121:122], -v[59:60]
	v_fma_f64 v[99:100], v[101:102], v[57:58], v[99:100]
	v_mov_b32_e32 v59, v97
	v_mov_b32_e32 v60, v98
	v_add_f64 v[123:124], v[123:124], -v[99:100]
.LBB82_566:
	s_or_b64 exec, exec, s[0:1]
	v_lshl_add_u32 v97, v96, 4, v94
	s_barrier
	ds_write2_b64 v97, v[53:54], v[55:56] offset1:1
	s_waitcnt lgkmcnt(0)
	s_barrier
	ds_read2_b64 v[117:120], v94 offset0:54 offset1:55
	s_cmp_lt_i32 s3, 29
	v_mov_b32_e32 v97, 27
	s_cbranch_scc1 .LBB82_569
; %bb.567:
	v_add_u32_e32 v98, 0x1c0, v94
	s_mov_b32 s0, 28
	v_mov_b32_e32 v97, 27
.LBB82_568:                             ; =>This Inner Loop Header: Depth=1
	s_waitcnt lgkmcnt(0)
	v_cmp_gt_f64_e32 vcc, 0, v[117:118]
	v_xor_b32_e32 v103, 0x80000000, v118
	ds_read2_b64 v[99:102], v98 offset1:1
	v_xor_b32_e32 v105, 0x80000000, v120
	v_add_u32_e32 v98, 16, v98
	s_waitcnt lgkmcnt(0)
	v_xor_b32_e32 v107, 0x80000000, v102
	v_cndmask_b32_e32 v104, v118, v103, vcc
	v_cmp_gt_f64_e32 vcc, 0, v[119:120]
	v_mov_b32_e32 v103, v117
	v_cndmask_b32_e32 v106, v120, v105, vcc
	v_cmp_gt_f64_e32 vcc, 0, v[99:100]
	v_mov_b32_e32 v105, v119
	v_add_f64 v[103:104], v[103:104], v[105:106]
	v_xor_b32_e32 v105, 0x80000000, v100
	v_cndmask_b32_e32 v106, v100, v105, vcc
	v_cmp_gt_f64_e32 vcc, 0, v[101:102]
	v_mov_b32_e32 v105, v99
	v_cndmask_b32_e32 v108, v102, v107, vcc
	v_mov_b32_e32 v107, v101
	v_add_f64 v[105:106], v[105:106], v[107:108]
	v_cmp_lt_f64_e32 vcc, v[103:104], v[105:106]
	v_cndmask_b32_e32 v117, v117, v99, vcc
	v_mov_b32_e32 v99, s0
	s_add_i32 s0, s0, 1
	v_cndmask_b32_e32 v118, v118, v100, vcc
	v_cndmask_b32_e32 v120, v120, v102, vcc
	;; [unrolled: 1-line block ×4, first 2 shown]
	s_cmp_lg_u32 s3, s0
	s_cbranch_scc1 .LBB82_568
.LBB82_569:
	s_waitcnt lgkmcnt(0)
	v_cmp_eq_f64_e32 vcc, 0, v[117:118]
	v_cmp_eq_f64_e64 s[0:1], 0, v[119:120]
	s_and_b64 s[0:1], vcc, s[0:1]
	s_and_saveexec_b64 s[18:19], s[0:1]
	s_xor_b64 s[0:1], exec, s[18:19]
; %bb.570:
	v_cmp_ne_u32_e32 vcc, 0, v95
	v_cndmask_b32_e32 v95, 28, v95, vcc
; %bb.571:
	s_andn2_saveexec_b64 s[0:1], s[0:1]
	s_cbranch_execz .LBB82_577
; %bb.572:
	v_cmp_ngt_f64_e64 s[18:19], |v[117:118]|, |v[119:120]|
	s_and_saveexec_b64 s[20:21], s[18:19]
	s_xor_b64 s[18:19], exec, s[20:21]
	s_cbranch_execz .LBB82_574
; %bb.573:
	v_div_scale_f64 v[98:99], s[20:21], v[119:120], v[119:120], v[117:118]
	v_rcp_f64_e32 v[100:101], v[98:99]
	v_fma_f64 v[102:103], -v[98:99], v[100:101], 1.0
	v_fma_f64 v[100:101], v[100:101], v[102:103], v[100:101]
	v_div_scale_f64 v[102:103], vcc, v[117:118], v[119:120], v[117:118]
	v_fma_f64 v[104:105], -v[98:99], v[100:101], 1.0
	v_fma_f64 v[100:101], v[100:101], v[104:105], v[100:101]
	v_mul_f64 v[104:105], v[102:103], v[100:101]
	v_fma_f64 v[98:99], -v[98:99], v[104:105], v[102:103]
	v_div_fmas_f64 v[98:99], v[98:99], v[100:101], v[104:105]
	v_div_fixup_f64 v[98:99], v[98:99], v[119:120], v[117:118]
	v_fma_f64 v[100:101], v[117:118], v[98:99], v[119:120]
	v_div_scale_f64 v[102:103], s[20:21], v[100:101], v[100:101], 1.0
	v_div_scale_f64 v[108:109], vcc, 1.0, v[100:101], 1.0
	v_rcp_f64_e32 v[104:105], v[102:103]
	v_fma_f64 v[106:107], -v[102:103], v[104:105], 1.0
	v_fma_f64 v[104:105], v[104:105], v[106:107], v[104:105]
	v_fma_f64 v[106:107], -v[102:103], v[104:105], 1.0
	v_fma_f64 v[104:105], v[104:105], v[106:107], v[104:105]
	v_mul_f64 v[106:107], v[108:109], v[104:105]
	v_fma_f64 v[102:103], -v[102:103], v[106:107], v[108:109]
	v_div_fmas_f64 v[102:103], v[102:103], v[104:105], v[106:107]
	v_div_fixup_f64 v[119:120], v[102:103], v[100:101], 1.0
	v_mul_f64 v[117:118], v[98:99], v[119:120]
	v_xor_b32_e32 v120, 0x80000000, v120
.LBB82_574:
	s_andn2_saveexec_b64 s[18:19], s[18:19]
	s_cbranch_execz .LBB82_576
; %bb.575:
	v_div_scale_f64 v[98:99], s[20:21], v[117:118], v[117:118], v[119:120]
	v_rcp_f64_e32 v[100:101], v[98:99]
	v_fma_f64 v[102:103], -v[98:99], v[100:101], 1.0
	v_fma_f64 v[100:101], v[100:101], v[102:103], v[100:101]
	v_div_scale_f64 v[102:103], vcc, v[119:120], v[117:118], v[119:120]
	v_fma_f64 v[104:105], -v[98:99], v[100:101], 1.0
	v_fma_f64 v[100:101], v[100:101], v[104:105], v[100:101]
	v_mul_f64 v[104:105], v[102:103], v[100:101]
	v_fma_f64 v[98:99], -v[98:99], v[104:105], v[102:103]
	v_div_fmas_f64 v[98:99], v[98:99], v[100:101], v[104:105]
	v_div_fixup_f64 v[98:99], v[98:99], v[117:118], v[119:120]
	v_fma_f64 v[100:101], v[119:120], v[98:99], v[117:118]
	v_div_scale_f64 v[102:103], s[20:21], v[100:101], v[100:101], 1.0
	v_div_scale_f64 v[108:109], vcc, 1.0, v[100:101], 1.0
	v_rcp_f64_e32 v[104:105], v[102:103]
	v_fma_f64 v[106:107], -v[102:103], v[104:105], 1.0
	v_fma_f64 v[104:105], v[104:105], v[106:107], v[104:105]
	v_fma_f64 v[106:107], -v[102:103], v[104:105], 1.0
	v_fma_f64 v[104:105], v[104:105], v[106:107], v[104:105]
	v_mul_f64 v[106:107], v[108:109], v[104:105]
	v_fma_f64 v[102:103], -v[102:103], v[106:107], v[108:109]
	v_div_fmas_f64 v[102:103], v[102:103], v[104:105], v[106:107]
	v_div_fixup_f64 v[117:118], v[102:103], v[100:101], 1.0
	v_mul_f64 v[119:120], v[98:99], -v[117:118]
.LBB82_576:
	s_or_b64 exec, exec, s[18:19]
.LBB82_577:
	s_or_b64 exec, exec, s[0:1]
	v_cmp_ne_u32_e32 vcc, v96, v97
	s_and_saveexec_b64 s[0:1], vcc
	s_xor_b64 s[0:1], exec, s[0:1]
	s_cbranch_execz .LBB82_583
; %bb.578:
	v_cmp_eq_u32_e32 vcc, 27, v96
	s_and_saveexec_b64 s[18:19], vcc
	s_cbranch_execz .LBB82_582
; %bb.579:
	v_cmp_ne_u32_e32 vcc, 27, v97
	s_xor_b64 s[20:21], s[6:7], -1
	s_and_b64 s[22:23], s[20:21], vcc
	s_and_saveexec_b64 s[20:21], s[22:23]
	s_cbranch_execz .LBB82_581
; %bb.580:
	v_ashrrev_i32_e32 v98, 31, v97
	v_lshlrev_b64 v[98:99], 2, v[97:98]
	v_add_co_u32_e32 v98, vcc, v91, v98
	v_addc_co_u32_e32 v99, vcc, v92, v99, vcc
	global_load_dword v0, v[98:99], off
	global_load_dword v96, v[91:92], off offset:108
	s_waitcnt vmcnt(1)
	global_store_dword v[91:92], v0, off offset:108
	s_waitcnt vmcnt(1)
	global_store_dword v[98:99], v96, off
.LBB82_581:
	s_or_b64 exec, exec, s[20:21]
	v_mov_b32_e32 v96, v97
	v_mov_b32_e32 v0, v97
.LBB82_582:
	s_or_b64 exec, exec, s[18:19]
.LBB82_583:
	s_andn2_saveexec_b64 s[0:1], s[0:1]
	s_cbranch_execz .LBB82_585
; %bb.584:
	v_mov_b32_e32 v96, 27
	ds_write2_b64 v94, v[49:50], v[51:52] offset0:56 offset1:57
	ds_write2_b64 v94, v[45:46], v[47:48] offset0:58 offset1:59
	;; [unrolled: 1-line block ×14, first 2 shown]
.LBB82_585:
	s_or_b64 exec, exec, s[0:1]
	v_cmp_lt_i32_e32 vcc, 27, v96
	s_waitcnt vmcnt(0) lgkmcnt(0)
	s_barrier
	s_and_saveexec_b64 s[0:1], vcc
	s_cbranch_execz .LBB82_587
; %bb.586:
	v_mul_f64 v[97:98], v[117:118], v[55:56]
	v_mul_f64 v[55:56], v[119:120], v[55:56]
	ds_read2_b64 v[99:102], v94 offset0:56 offset1:57
	v_fma_f64 v[97:98], v[119:120], v[53:54], v[97:98]
	v_fma_f64 v[53:54], v[117:118], v[53:54], -v[55:56]
	s_waitcnt lgkmcnt(0)
	v_mul_f64 v[55:56], v[101:102], v[97:98]
	v_fma_f64 v[55:56], v[99:100], v[53:54], -v[55:56]
	v_mul_f64 v[99:100], v[99:100], v[97:98]
	v_add_f64 v[49:50], v[49:50], -v[55:56]
	v_fma_f64 v[99:100], v[101:102], v[53:54], v[99:100]
	v_add_f64 v[51:52], v[51:52], -v[99:100]
	ds_read2_b64 v[99:102], v94 offset0:58 offset1:59
	s_waitcnt lgkmcnt(0)
	v_mul_f64 v[55:56], v[101:102], v[97:98]
	v_fma_f64 v[55:56], v[99:100], v[53:54], -v[55:56]
	v_mul_f64 v[99:100], v[99:100], v[97:98]
	v_add_f64 v[45:46], v[45:46], -v[55:56]
	v_fma_f64 v[99:100], v[101:102], v[53:54], v[99:100]
	v_add_f64 v[47:48], v[47:48], -v[99:100]
	ds_read2_b64 v[99:102], v94 offset0:60 offset1:61
	;; [unrolled: 8-line block ×13, first 2 shown]
	s_waitcnt lgkmcnt(0)
	v_mul_f64 v[55:56], v[101:102], v[97:98]
	v_fma_f64 v[55:56], v[99:100], v[53:54], -v[55:56]
	v_mul_f64 v[99:100], v[99:100], v[97:98]
	v_add_f64 v[121:122], v[121:122], -v[55:56]
	v_fma_f64 v[99:100], v[101:102], v[53:54], v[99:100]
	v_mov_b32_e32 v55, v97
	v_mov_b32_e32 v56, v98
	v_add_f64 v[123:124], v[123:124], -v[99:100]
.LBB82_587:
	s_or_b64 exec, exec, s[0:1]
	v_lshl_add_u32 v97, v96, 4, v94
	s_barrier
	ds_write2_b64 v97, v[49:50], v[51:52] offset1:1
	s_waitcnt lgkmcnt(0)
	s_barrier
	ds_read2_b64 v[117:120], v94 offset0:56 offset1:57
	s_cmp_lt_i32 s3, 30
	v_mov_b32_e32 v97, 28
	s_cbranch_scc1 .LBB82_590
; %bb.588:
	v_add_u32_e32 v98, 0x1d0, v94
	s_mov_b32 s0, 29
	v_mov_b32_e32 v97, 28
.LBB82_589:                             ; =>This Inner Loop Header: Depth=1
	s_waitcnt lgkmcnt(0)
	v_cmp_gt_f64_e32 vcc, 0, v[117:118]
	v_xor_b32_e32 v103, 0x80000000, v118
	ds_read2_b64 v[99:102], v98 offset1:1
	v_xor_b32_e32 v105, 0x80000000, v120
	v_add_u32_e32 v98, 16, v98
	s_waitcnt lgkmcnt(0)
	v_xor_b32_e32 v107, 0x80000000, v102
	v_cndmask_b32_e32 v104, v118, v103, vcc
	v_cmp_gt_f64_e32 vcc, 0, v[119:120]
	v_mov_b32_e32 v103, v117
	v_cndmask_b32_e32 v106, v120, v105, vcc
	v_cmp_gt_f64_e32 vcc, 0, v[99:100]
	v_mov_b32_e32 v105, v119
	v_add_f64 v[103:104], v[103:104], v[105:106]
	v_xor_b32_e32 v105, 0x80000000, v100
	v_cndmask_b32_e32 v106, v100, v105, vcc
	v_cmp_gt_f64_e32 vcc, 0, v[101:102]
	v_mov_b32_e32 v105, v99
	v_cndmask_b32_e32 v108, v102, v107, vcc
	v_mov_b32_e32 v107, v101
	v_add_f64 v[105:106], v[105:106], v[107:108]
	v_cmp_lt_f64_e32 vcc, v[103:104], v[105:106]
	v_cndmask_b32_e32 v117, v117, v99, vcc
	v_mov_b32_e32 v99, s0
	s_add_i32 s0, s0, 1
	v_cndmask_b32_e32 v118, v118, v100, vcc
	v_cndmask_b32_e32 v120, v120, v102, vcc
	;; [unrolled: 1-line block ×4, first 2 shown]
	s_cmp_lg_u32 s3, s0
	s_cbranch_scc1 .LBB82_589
.LBB82_590:
	s_waitcnt lgkmcnt(0)
	v_cmp_eq_f64_e32 vcc, 0, v[117:118]
	v_cmp_eq_f64_e64 s[0:1], 0, v[119:120]
	s_and_b64 s[0:1], vcc, s[0:1]
	s_and_saveexec_b64 s[18:19], s[0:1]
	s_xor_b64 s[0:1], exec, s[18:19]
; %bb.591:
	v_cmp_ne_u32_e32 vcc, 0, v95
	v_cndmask_b32_e32 v95, 29, v95, vcc
; %bb.592:
	s_andn2_saveexec_b64 s[0:1], s[0:1]
	s_cbranch_execz .LBB82_598
; %bb.593:
	v_cmp_ngt_f64_e64 s[18:19], |v[117:118]|, |v[119:120]|
	s_and_saveexec_b64 s[20:21], s[18:19]
	s_xor_b64 s[18:19], exec, s[20:21]
	s_cbranch_execz .LBB82_595
; %bb.594:
	v_div_scale_f64 v[98:99], s[20:21], v[119:120], v[119:120], v[117:118]
	v_rcp_f64_e32 v[100:101], v[98:99]
	v_fma_f64 v[102:103], -v[98:99], v[100:101], 1.0
	v_fma_f64 v[100:101], v[100:101], v[102:103], v[100:101]
	v_div_scale_f64 v[102:103], vcc, v[117:118], v[119:120], v[117:118]
	v_fma_f64 v[104:105], -v[98:99], v[100:101], 1.0
	v_fma_f64 v[100:101], v[100:101], v[104:105], v[100:101]
	v_mul_f64 v[104:105], v[102:103], v[100:101]
	v_fma_f64 v[98:99], -v[98:99], v[104:105], v[102:103]
	v_div_fmas_f64 v[98:99], v[98:99], v[100:101], v[104:105]
	v_div_fixup_f64 v[98:99], v[98:99], v[119:120], v[117:118]
	v_fma_f64 v[100:101], v[117:118], v[98:99], v[119:120]
	v_div_scale_f64 v[102:103], s[20:21], v[100:101], v[100:101], 1.0
	v_div_scale_f64 v[108:109], vcc, 1.0, v[100:101], 1.0
	v_rcp_f64_e32 v[104:105], v[102:103]
	v_fma_f64 v[106:107], -v[102:103], v[104:105], 1.0
	v_fma_f64 v[104:105], v[104:105], v[106:107], v[104:105]
	v_fma_f64 v[106:107], -v[102:103], v[104:105], 1.0
	v_fma_f64 v[104:105], v[104:105], v[106:107], v[104:105]
	v_mul_f64 v[106:107], v[108:109], v[104:105]
	v_fma_f64 v[102:103], -v[102:103], v[106:107], v[108:109]
	v_div_fmas_f64 v[102:103], v[102:103], v[104:105], v[106:107]
	v_div_fixup_f64 v[119:120], v[102:103], v[100:101], 1.0
	v_mul_f64 v[117:118], v[98:99], v[119:120]
	v_xor_b32_e32 v120, 0x80000000, v120
.LBB82_595:
	s_andn2_saveexec_b64 s[18:19], s[18:19]
	s_cbranch_execz .LBB82_597
; %bb.596:
	v_div_scale_f64 v[98:99], s[20:21], v[117:118], v[117:118], v[119:120]
	v_rcp_f64_e32 v[100:101], v[98:99]
	v_fma_f64 v[102:103], -v[98:99], v[100:101], 1.0
	v_fma_f64 v[100:101], v[100:101], v[102:103], v[100:101]
	v_div_scale_f64 v[102:103], vcc, v[119:120], v[117:118], v[119:120]
	v_fma_f64 v[104:105], -v[98:99], v[100:101], 1.0
	v_fma_f64 v[100:101], v[100:101], v[104:105], v[100:101]
	v_mul_f64 v[104:105], v[102:103], v[100:101]
	v_fma_f64 v[98:99], -v[98:99], v[104:105], v[102:103]
	v_div_fmas_f64 v[98:99], v[98:99], v[100:101], v[104:105]
	v_div_fixup_f64 v[98:99], v[98:99], v[117:118], v[119:120]
	v_fma_f64 v[100:101], v[119:120], v[98:99], v[117:118]
	v_div_scale_f64 v[102:103], s[20:21], v[100:101], v[100:101], 1.0
	v_div_scale_f64 v[108:109], vcc, 1.0, v[100:101], 1.0
	v_rcp_f64_e32 v[104:105], v[102:103]
	v_fma_f64 v[106:107], -v[102:103], v[104:105], 1.0
	v_fma_f64 v[104:105], v[104:105], v[106:107], v[104:105]
	v_fma_f64 v[106:107], -v[102:103], v[104:105], 1.0
	v_fma_f64 v[104:105], v[104:105], v[106:107], v[104:105]
	v_mul_f64 v[106:107], v[108:109], v[104:105]
	v_fma_f64 v[102:103], -v[102:103], v[106:107], v[108:109]
	v_div_fmas_f64 v[102:103], v[102:103], v[104:105], v[106:107]
	v_div_fixup_f64 v[117:118], v[102:103], v[100:101], 1.0
	v_mul_f64 v[119:120], v[98:99], -v[117:118]
.LBB82_597:
	s_or_b64 exec, exec, s[18:19]
.LBB82_598:
	s_or_b64 exec, exec, s[0:1]
	v_cmp_ne_u32_e32 vcc, v96, v97
	s_and_saveexec_b64 s[0:1], vcc
	s_xor_b64 s[0:1], exec, s[0:1]
	s_cbranch_execz .LBB82_604
; %bb.599:
	v_cmp_eq_u32_e32 vcc, 28, v96
	s_and_saveexec_b64 s[18:19], vcc
	s_cbranch_execz .LBB82_603
; %bb.600:
	v_cmp_ne_u32_e32 vcc, 28, v97
	s_xor_b64 s[20:21], s[6:7], -1
	s_and_b64 s[22:23], s[20:21], vcc
	s_and_saveexec_b64 s[20:21], s[22:23]
	s_cbranch_execz .LBB82_602
; %bb.601:
	v_ashrrev_i32_e32 v98, 31, v97
	v_lshlrev_b64 v[98:99], 2, v[97:98]
	v_add_co_u32_e32 v98, vcc, v91, v98
	v_addc_co_u32_e32 v99, vcc, v92, v99, vcc
	global_load_dword v0, v[98:99], off
	global_load_dword v96, v[91:92], off offset:112
	s_waitcnt vmcnt(1)
	global_store_dword v[91:92], v0, off offset:112
	s_waitcnt vmcnt(1)
	global_store_dword v[98:99], v96, off
.LBB82_602:
	s_or_b64 exec, exec, s[20:21]
	v_mov_b32_e32 v96, v97
	v_mov_b32_e32 v0, v97
.LBB82_603:
	s_or_b64 exec, exec, s[18:19]
.LBB82_604:
	s_andn2_saveexec_b64 s[0:1], s[0:1]
	s_cbranch_execz .LBB82_606
; %bb.605:
	v_mov_b32_e32 v96, 28
	ds_write2_b64 v94, v[45:46], v[47:48] offset0:58 offset1:59
	ds_write2_b64 v94, v[41:42], v[43:44] offset0:60 offset1:61
	;; [unrolled: 1-line block ×13, first 2 shown]
.LBB82_606:
	s_or_b64 exec, exec, s[0:1]
	v_cmp_lt_i32_e32 vcc, 28, v96
	s_waitcnt vmcnt(0) lgkmcnt(0)
	s_barrier
	s_and_saveexec_b64 s[0:1], vcc
	s_cbranch_execz .LBB82_608
; %bb.607:
	v_mul_f64 v[97:98], v[117:118], v[51:52]
	v_mul_f64 v[51:52], v[119:120], v[51:52]
	ds_read2_b64 v[99:102], v94 offset0:58 offset1:59
	v_fma_f64 v[97:98], v[119:120], v[49:50], v[97:98]
	v_fma_f64 v[49:50], v[117:118], v[49:50], -v[51:52]
	s_waitcnt lgkmcnt(0)
	v_mul_f64 v[51:52], v[101:102], v[97:98]
	v_fma_f64 v[51:52], v[99:100], v[49:50], -v[51:52]
	v_mul_f64 v[99:100], v[99:100], v[97:98]
	v_add_f64 v[45:46], v[45:46], -v[51:52]
	v_fma_f64 v[99:100], v[101:102], v[49:50], v[99:100]
	v_add_f64 v[47:48], v[47:48], -v[99:100]
	ds_read2_b64 v[99:102], v94 offset0:60 offset1:61
	s_waitcnt lgkmcnt(0)
	v_mul_f64 v[51:52], v[101:102], v[97:98]
	v_fma_f64 v[51:52], v[99:100], v[49:50], -v[51:52]
	v_mul_f64 v[99:100], v[99:100], v[97:98]
	v_add_f64 v[41:42], v[41:42], -v[51:52]
	v_fma_f64 v[99:100], v[101:102], v[49:50], v[99:100]
	v_add_f64 v[43:44], v[43:44], -v[99:100]
	ds_read2_b64 v[99:102], v94 offset0:62 offset1:63
	;; [unrolled: 8-line block ×12, first 2 shown]
	s_waitcnt lgkmcnt(0)
	v_mul_f64 v[51:52], v[101:102], v[97:98]
	v_fma_f64 v[51:52], v[99:100], v[49:50], -v[51:52]
	v_mul_f64 v[99:100], v[99:100], v[97:98]
	v_add_f64 v[121:122], v[121:122], -v[51:52]
	v_fma_f64 v[99:100], v[101:102], v[49:50], v[99:100]
	v_mov_b32_e32 v51, v97
	v_mov_b32_e32 v52, v98
	v_add_f64 v[123:124], v[123:124], -v[99:100]
.LBB82_608:
	s_or_b64 exec, exec, s[0:1]
	v_lshl_add_u32 v97, v96, 4, v94
	s_barrier
	ds_write2_b64 v97, v[45:46], v[47:48] offset1:1
	s_waitcnt lgkmcnt(0)
	s_barrier
	ds_read2_b64 v[117:120], v94 offset0:58 offset1:59
	s_cmp_lt_i32 s3, 31
	v_mov_b32_e32 v97, 29
	s_cbranch_scc1 .LBB82_611
; %bb.609:
	v_add_u32_e32 v98, 0x1e0, v94
	s_mov_b32 s0, 30
	v_mov_b32_e32 v97, 29
.LBB82_610:                             ; =>This Inner Loop Header: Depth=1
	s_waitcnt lgkmcnt(0)
	v_cmp_gt_f64_e32 vcc, 0, v[117:118]
	v_xor_b32_e32 v103, 0x80000000, v118
	ds_read2_b64 v[99:102], v98 offset1:1
	v_xor_b32_e32 v105, 0x80000000, v120
	v_add_u32_e32 v98, 16, v98
	s_waitcnt lgkmcnt(0)
	v_xor_b32_e32 v107, 0x80000000, v102
	v_cndmask_b32_e32 v104, v118, v103, vcc
	v_cmp_gt_f64_e32 vcc, 0, v[119:120]
	v_mov_b32_e32 v103, v117
	v_cndmask_b32_e32 v106, v120, v105, vcc
	v_cmp_gt_f64_e32 vcc, 0, v[99:100]
	v_mov_b32_e32 v105, v119
	v_add_f64 v[103:104], v[103:104], v[105:106]
	v_xor_b32_e32 v105, 0x80000000, v100
	v_cndmask_b32_e32 v106, v100, v105, vcc
	v_cmp_gt_f64_e32 vcc, 0, v[101:102]
	v_mov_b32_e32 v105, v99
	v_cndmask_b32_e32 v108, v102, v107, vcc
	v_mov_b32_e32 v107, v101
	v_add_f64 v[105:106], v[105:106], v[107:108]
	v_cmp_lt_f64_e32 vcc, v[103:104], v[105:106]
	v_cndmask_b32_e32 v117, v117, v99, vcc
	v_mov_b32_e32 v99, s0
	s_add_i32 s0, s0, 1
	v_cndmask_b32_e32 v118, v118, v100, vcc
	v_cndmask_b32_e32 v120, v120, v102, vcc
	;; [unrolled: 1-line block ×4, first 2 shown]
	s_cmp_lg_u32 s3, s0
	s_cbranch_scc1 .LBB82_610
.LBB82_611:
	s_waitcnt lgkmcnt(0)
	v_cmp_eq_f64_e32 vcc, 0, v[117:118]
	v_cmp_eq_f64_e64 s[0:1], 0, v[119:120]
	s_and_b64 s[0:1], vcc, s[0:1]
	s_and_saveexec_b64 s[18:19], s[0:1]
	s_xor_b64 s[0:1], exec, s[18:19]
; %bb.612:
	v_cmp_ne_u32_e32 vcc, 0, v95
	v_cndmask_b32_e32 v95, 30, v95, vcc
; %bb.613:
	s_andn2_saveexec_b64 s[0:1], s[0:1]
	s_cbranch_execz .LBB82_619
; %bb.614:
	v_cmp_ngt_f64_e64 s[18:19], |v[117:118]|, |v[119:120]|
	s_and_saveexec_b64 s[20:21], s[18:19]
	s_xor_b64 s[18:19], exec, s[20:21]
	s_cbranch_execz .LBB82_616
; %bb.615:
	v_div_scale_f64 v[98:99], s[20:21], v[119:120], v[119:120], v[117:118]
	v_rcp_f64_e32 v[100:101], v[98:99]
	v_fma_f64 v[102:103], -v[98:99], v[100:101], 1.0
	v_fma_f64 v[100:101], v[100:101], v[102:103], v[100:101]
	v_div_scale_f64 v[102:103], vcc, v[117:118], v[119:120], v[117:118]
	v_fma_f64 v[104:105], -v[98:99], v[100:101], 1.0
	v_fma_f64 v[100:101], v[100:101], v[104:105], v[100:101]
	v_mul_f64 v[104:105], v[102:103], v[100:101]
	v_fma_f64 v[98:99], -v[98:99], v[104:105], v[102:103]
	v_div_fmas_f64 v[98:99], v[98:99], v[100:101], v[104:105]
	v_div_fixup_f64 v[98:99], v[98:99], v[119:120], v[117:118]
	v_fma_f64 v[100:101], v[117:118], v[98:99], v[119:120]
	v_div_scale_f64 v[102:103], s[20:21], v[100:101], v[100:101], 1.0
	v_div_scale_f64 v[108:109], vcc, 1.0, v[100:101], 1.0
	v_rcp_f64_e32 v[104:105], v[102:103]
	v_fma_f64 v[106:107], -v[102:103], v[104:105], 1.0
	v_fma_f64 v[104:105], v[104:105], v[106:107], v[104:105]
	v_fma_f64 v[106:107], -v[102:103], v[104:105], 1.0
	v_fma_f64 v[104:105], v[104:105], v[106:107], v[104:105]
	v_mul_f64 v[106:107], v[108:109], v[104:105]
	v_fma_f64 v[102:103], -v[102:103], v[106:107], v[108:109]
	v_div_fmas_f64 v[102:103], v[102:103], v[104:105], v[106:107]
	v_div_fixup_f64 v[119:120], v[102:103], v[100:101], 1.0
	v_mul_f64 v[117:118], v[98:99], v[119:120]
	v_xor_b32_e32 v120, 0x80000000, v120
.LBB82_616:
	s_andn2_saveexec_b64 s[18:19], s[18:19]
	s_cbranch_execz .LBB82_618
; %bb.617:
	v_div_scale_f64 v[98:99], s[20:21], v[117:118], v[117:118], v[119:120]
	v_rcp_f64_e32 v[100:101], v[98:99]
	v_fma_f64 v[102:103], -v[98:99], v[100:101], 1.0
	v_fma_f64 v[100:101], v[100:101], v[102:103], v[100:101]
	v_div_scale_f64 v[102:103], vcc, v[119:120], v[117:118], v[119:120]
	v_fma_f64 v[104:105], -v[98:99], v[100:101], 1.0
	v_fma_f64 v[100:101], v[100:101], v[104:105], v[100:101]
	v_mul_f64 v[104:105], v[102:103], v[100:101]
	v_fma_f64 v[98:99], -v[98:99], v[104:105], v[102:103]
	v_div_fmas_f64 v[98:99], v[98:99], v[100:101], v[104:105]
	v_div_fixup_f64 v[98:99], v[98:99], v[117:118], v[119:120]
	v_fma_f64 v[100:101], v[119:120], v[98:99], v[117:118]
	v_div_scale_f64 v[102:103], s[20:21], v[100:101], v[100:101], 1.0
	v_div_scale_f64 v[108:109], vcc, 1.0, v[100:101], 1.0
	v_rcp_f64_e32 v[104:105], v[102:103]
	v_fma_f64 v[106:107], -v[102:103], v[104:105], 1.0
	v_fma_f64 v[104:105], v[104:105], v[106:107], v[104:105]
	v_fma_f64 v[106:107], -v[102:103], v[104:105], 1.0
	v_fma_f64 v[104:105], v[104:105], v[106:107], v[104:105]
	v_mul_f64 v[106:107], v[108:109], v[104:105]
	v_fma_f64 v[102:103], -v[102:103], v[106:107], v[108:109]
	v_div_fmas_f64 v[102:103], v[102:103], v[104:105], v[106:107]
	v_div_fixup_f64 v[117:118], v[102:103], v[100:101], 1.0
	v_mul_f64 v[119:120], v[98:99], -v[117:118]
.LBB82_618:
	s_or_b64 exec, exec, s[18:19]
.LBB82_619:
	s_or_b64 exec, exec, s[0:1]
	v_cmp_ne_u32_e32 vcc, v96, v97
	s_and_saveexec_b64 s[0:1], vcc
	s_xor_b64 s[0:1], exec, s[0:1]
	s_cbranch_execz .LBB82_625
; %bb.620:
	v_cmp_eq_u32_e32 vcc, 29, v96
	s_and_saveexec_b64 s[18:19], vcc
	s_cbranch_execz .LBB82_624
; %bb.621:
	v_cmp_ne_u32_e32 vcc, 29, v97
	s_xor_b64 s[20:21], s[6:7], -1
	s_and_b64 s[22:23], s[20:21], vcc
	s_and_saveexec_b64 s[20:21], s[22:23]
	s_cbranch_execz .LBB82_623
; %bb.622:
	v_ashrrev_i32_e32 v98, 31, v97
	v_lshlrev_b64 v[98:99], 2, v[97:98]
	v_add_co_u32_e32 v98, vcc, v91, v98
	v_addc_co_u32_e32 v99, vcc, v92, v99, vcc
	global_load_dword v0, v[98:99], off
	global_load_dword v96, v[91:92], off offset:116
	s_waitcnt vmcnt(1)
	global_store_dword v[91:92], v0, off offset:116
	s_waitcnt vmcnt(1)
	global_store_dword v[98:99], v96, off
.LBB82_623:
	s_or_b64 exec, exec, s[20:21]
	v_mov_b32_e32 v96, v97
	v_mov_b32_e32 v0, v97
.LBB82_624:
	s_or_b64 exec, exec, s[18:19]
.LBB82_625:
	s_andn2_saveexec_b64 s[0:1], s[0:1]
	s_cbranch_execz .LBB82_627
; %bb.626:
	v_mov_b32_e32 v96, 29
	ds_write2_b64 v94, v[41:42], v[43:44] offset0:60 offset1:61
	ds_write2_b64 v94, v[37:38], v[39:40] offset0:62 offset1:63
	;; [unrolled: 1-line block ×12, first 2 shown]
.LBB82_627:
	s_or_b64 exec, exec, s[0:1]
	v_cmp_lt_i32_e32 vcc, 29, v96
	s_waitcnt vmcnt(0) lgkmcnt(0)
	s_barrier
	s_and_saveexec_b64 s[0:1], vcc
	s_cbranch_execz .LBB82_629
; %bb.628:
	v_mul_f64 v[97:98], v[117:118], v[47:48]
	v_mul_f64 v[47:48], v[119:120], v[47:48]
	ds_read2_b64 v[99:102], v94 offset0:60 offset1:61
	v_fma_f64 v[97:98], v[119:120], v[45:46], v[97:98]
	v_fma_f64 v[45:46], v[117:118], v[45:46], -v[47:48]
	s_waitcnt lgkmcnt(0)
	v_mul_f64 v[47:48], v[101:102], v[97:98]
	v_fma_f64 v[47:48], v[99:100], v[45:46], -v[47:48]
	v_mul_f64 v[99:100], v[99:100], v[97:98]
	v_add_f64 v[41:42], v[41:42], -v[47:48]
	v_fma_f64 v[99:100], v[101:102], v[45:46], v[99:100]
	v_add_f64 v[43:44], v[43:44], -v[99:100]
	ds_read2_b64 v[99:102], v94 offset0:62 offset1:63
	s_waitcnt lgkmcnt(0)
	v_mul_f64 v[47:48], v[101:102], v[97:98]
	v_fma_f64 v[47:48], v[99:100], v[45:46], -v[47:48]
	v_mul_f64 v[99:100], v[99:100], v[97:98]
	v_add_f64 v[37:38], v[37:38], -v[47:48]
	v_fma_f64 v[99:100], v[101:102], v[45:46], v[99:100]
	v_add_f64 v[39:40], v[39:40], -v[99:100]
	ds_read2_b64 v[99:102], v94 offset0:64 offset1:65
	;; [unrolled: 8-line block ×11, first 2 shown]
	s_waitcnt lgkmcnt(0)
	v_mul_f64 v[47:48], v[101:102], v[97:98]
	v_fma_f64 v[47:48], v[99:100], v[45:46], -v[47:48]
	v_mul_f64 v[99:100], v[99:100], v[97:98]
	v_add_f64 v[121:122], v[121:122], -v[47:48]
	v_fma_f64 v[99:100], v[101:102], v[45:46], v[99:100]
	v_mov_b32_e32 v47, v97
	v_mov_b32_e32 v48, v98
	v_add_f64 v[123:124], v[123:124], -v[99:100]
.LBB82_629:
	s_or_b64 exec, exec, s[0:1]
	v_lshl_add_u32 v97, v96, 4, v94
	s_barrier
	ds_write2_b64 v97, v[41:42], v[43:44] offset1:1
	s_waitcnt lgkmcnt(0)
	s_barrier
	ds_read2_b64 v[117:120], v94 offset0:60 offset1:61
	s_cmp_lt_i32 s3, 32
	v_mov_b32_e32 v97, 30
	s_cbranch_scc1 .LBB82_632
; %bb.630:
	v_add_u32_e32 v98, 0x1f0, v94
	s_mov_b32 s0, 31
	v_mov_b32_e32 v97, 30
.LBB82_631:                             ; =>This Inner Loop Header: Depth=1
	s_waitcnt lgkmcnt(0)
	v_cmp_gt_f64_e32 vcc, 0, v[117:118]
	v_xor_b32_e32 v103, 0x80000000, v118
	ds_read2_b64 v[99:102], v98 offset1:1
	v_xor_b32_e32 v105, 0x80000000, v120
	v_add_u32_e32 v98, 16, v98
	s_waitcnt lgkmcnt(0)
	v_xor_b32_e32 v107, 0x80000000, v102
	v_cndmask_b32_e32 v104, v118, v103, vcc
	v_cmp_gt_f64_e32 vcc, 0, v[119:120]
	v_mov_b32_e32 v103, v117
	v_cndmask_b32_e32 v106, v120, v105, vcc
	v_cmp_gt_f64_e32 vcc, 0, v[99:100]
	v_mov_b32_e32 v105, v119
	v_add_f64 v[103:104], v[103:104], v[105:106]
	v_xor_b32_e32 v105, 0x80000000, v100
	v_cndmask_b32_e32 v106, v100, v105, vcc
	v_cmp_gt_f64_e32 vcc, 0, v[101:102]
	v_mov_b32_e32 v105, v99
	v_cndmask_b32_e32 v108, v102, v107, vcc
	v_mov_b32_e32 v107, v101
	v_add_f64 v[105:106], v[105:106], v[107:108]
	v_cmp_lt_f64_e32 vcc, v[103:104], v[105:106]
	v_cndmask_b32_e32 v117, v117, v99, vcc
	v_mov_b32_e32 v99, s0
	s_add_i32 s0, s0, 1
	v_cndmask_b32_e32 v118, v118, v100, vcc
	v_cndmask_b32_e32 v120, v120, v102, vcc
	;; [unrolled: 1-line block ×4, first 2 shown]
	s_cmp_lg_u32 s3, s0
	s_cbranch_scc1 .LBB82_631
.LBB82_632:
	s_waitcnt lgkmcnt(0)
	v_cmp_eq_f64_e32 vcc, 0, v[117:118]
	v_cmp_eq_f64_e64 s[0:1], 0, v[119:120]
	s_and_b64 s[0:1], vcc, s[0:1]
	s_and_saveexec_b64 s[18:19], s[0:1]
	s_xor_b64 s[0:1], exec, s[18:19]
; %bb.633:
	v_cmp_ne_u32_e32 vcc, 0, v95
	v_cndmask_b32_e32 v95, 31, v95, vcc
; %bb.634:
	s_andn2_saveexec_b64 s[0:1], s[0:1]
	s_cbranch_execz .LBB82_640
; %bb.635:
	v_cmp_ngt_f64_e64 s[18:19], |v[117:118]|, |v[119:120]|
	s_and_saveexec_b64 s[20:21], s[18:19]
	s_xor_b64 s[18:19], exec, s[20:21]
	s_cbranch_execz .LBB82_637
; %bb.636:
	v_div_scale_f64 v[98:99], s[20:21], v[119:120], v[119:120], v[117:118]
	v_rcp_f64_e32 v[100:101], v[98:99]
	v_fma_f64 v[102:103], -v[98:99], v[100:101], 1.0
	v_fma_f64 v[100:101], v[100:101], v[102:103], v[100:101]
	v_div_scale_f64 v[102:103], vcc, v[117:118], v[119:120], v[117:118]
	v_fma_f64 v[104:105], -v[98:99], v[100:101], 1.0
	v_fma_f64 v[100:101], v[100:101], v[104:105], v[100:101]
	v_mul_f64 v[104:105], v[102:103], v[100:101]
	v_fma_f64 v[98:99], -v[98:99], v[104:105], v[102:103]
	v_div_fmas_f64 v[98:99], v[98:99], v[100:101], v[104:105]
	v_div_fixup_f64 v[98:99], v[98:99], v[119:120], v[117:118]
	v_fma_f64 v[100:101], v[117:118], v[98:99], v[119:120]
	v_div_scale_f64 v[102:103], s[20:21], v[100:101], v[100:101], 1.0
	v_div_scale_f64 v[108:109], vcc, 1.0, v[100:101], 1.0
	v_rcp_f64_e32 v[104:105], v[102:103]
	v_fma_f64 v[106:107], -v[102:103], v[104:105], 1.0
	v_fma_f64 v[104:105], v[104:105], v[106:107], v[104:105]
	v_fma_f64 v[106:107], -v[102:103], v[104:105], 1.0
	v_fma_f64 v[104:105], v[104:105], v[106:107], v[104:105]
	v_mul_f64 v[106:107], v[108:109], v[104:105]
	v_fma_f64 v[102:103], -v[102:103], v[106:107], v[108:109]
	v_div_fmas_f64 v[102:103], v[102:103], v[104:105], v[106:107]
	v_div_fixup_f64 v[119:120], v[102:103], v[100:101], 1.0
	v_mul_f64 v[117:118], v[98:99], v[119:120]
	v_xor_b32_e32 v120, 0x80000000, v120
.LBB82_637:
	s_andn2_saveexec_b64 s[18:19], s[18:19]
	s_cbranch_execz .LBB82_639
; %bb.638:
	v_div_scale_f64 v[98:99], s[20:21], v[117:118], v[117:118], v[119:120]
	v_rcp_f64_e32 v[100:101], v[98:99]
	v_fma_f64 v[102:103], -v[98:99], v[100:101], 1.0
	v_fma_f64 v[100:101], v[100:101], v[102:103], v[100:101]
	v_div_scale_f64 v[102:103], vcc, v[119:120], v[117:118], v[119:120]
	v_fma_f64 v[104:105], -v[98:99], v[100:101], 1.0
	v_fma_f64 v[100:101], v[100:101], v[104:105], v[100:101]
	v_mul_f64 v[104:105], v[102:103], v[100:101]
	v_fma_f64 v[98:99], -v[98:99], v[104:105], v[102:103]
	v_div_fmas_f64 v[98:99], v[98:99], v[100:101], v[104:105]
	v_div_fixup_f64 v[98:99], v[98:99], v[117:118], v[119:120]
	v_fma_f64 v[100:101], v[119:120], v[98:99], v[117:118]
	v_div_scale_f64 v[102:103], s[20:21], v[100:101], v[100:101], 1.0
	v_div_scale_f64 v[108:109], vcc, 1.0, v[100:101], 1.0
	v_rcp_f64_e32 v[104:105], v[102:103]
	v_fma_f64 v[106:107], -v[102:103], v[104:105], 1.0
	v_fma_f64 v[104:105], v[104:105], v[106:107], v[104:105]
	v_fma_f64 v[106:107], -v[102:103], v[104:105], 1.0
	v_fma_f64 v[104:105], v[104:105], v[106:107], v[104:105]
	v_mul_f64 v[106:107], v[108:109], v[104:105]
	v_fma_f64 v[102:103], -v[102:103], v[106:107], v[108:109]
	v_div_fmas_f64 v[102:103], v[102:103], v[104:105], v[106:107]
	v_div_fixup_f64 v[117:118], v[102:103], v[100:101], 1.0
	v_mul_f64 v[119:120], v[98:99], -v[117:118]
.LBB82_639:
	s_or_b64 exec, exec, s[18:19]
.LBB82_640:
	s_or_b64 exec, exec, s[0:1]
	v_cmp_ne_u32_e32 vcc, v96, v97
	s_and_saveexec_b64 s[0:1], vcc
	s_xor_b64 s[0:1], exec, s[0:1]
	s_cbranch_execz .LBB82_646
; %bb.641:
	v_cmp_eq_u32_e32 vcc, 30, v96
	s_and_saveexec_b64 s[18:19], vcc
	s_cbranch_execz .LBB82_645
; %bb.642:
	v_cmp_ne_u32_e32 vcc, 30, v97
	s_xor_b64 s[20:21], s[6:7], -1
	s_and_b64 s[22:23], s[20:21], vcc
	s_and_saveexec_b64 s[20:21], s[22:23]
	s_cbranch_execz .LBB82_644
; %bb.643:
	v_ashrrev_i32_e32 v98, 31, v97
	v_lshlrev_b64 v[98:99], 2, v[97:98]
	v_add_co_u32_e32 v98, vcc, v91, v98
	v_addc_co_u32_e32 v99, vcc, v92, v99, vcc
	global_load_dword v0, v[98:99], off
	global_load_dword v96, v[91:92], off offset:120
	s_waitcnt vmcnt(1)
	global_store_dword v[91:92], v0, off offset:120
	s_waitcnt vmcnt(1)
	global_store_dword v[98:99], v96, off
.LBB82_644:
	s_or_b64 exec, exec, s[20:21]
	v_mov_b32_e32 v96, v97
	v_mov_b32_e32 v0, v97
.LBB82_645:
	s_or_b64 exec, exec, s[18:19]
.LBB82_646:
	s_andn2_saveexec_b64 s[0:1], s[0:1]
	s_cbranch_execz .LBB82_648
; %bb.647:
	v_mov_b32_e32 v96, 30
	ds_write2_b64 v94, v[37:38], v[39:40] offset0:62 offset1:63
	ds_write2_b64 v94, v[33:34], v[35:36] offset0:64 offset1:65
	;; [unrolled: 1-line block ×11, first 2 shown]
.LBB82_648:
	s_or_b64 exec, exec, s[0:1]
	v_cmp_lt_i32_e32 vcc, 30, v96
	s_waitcnt vmcnt(0) lgkmcnt(0)
	s_barrier
	s_and_saveexec_b64 s[0:1], vcc
	s_cbranch_execz .LBB82_650
; %bb.649:
	v_mul_f64 v[97:98], v[117:118], v[43:44]
	v_mul_f64 v[43:44], v[119:120], v[43:44]
	ds_read2_b64 v[99:102], v94 offset0:62 offset1:63
	v_fma_f64 v[97:98], v[119:120], v[41:42], v[97:98]
	v_fma_f64 v[41:42], v[117:118], v[41:42], -v[43:44]
	s_waitcnt lgkmcnt(0)
	v_mul_f64 v[43:44], v[101:102], v[97:98]
	v_fma_f64 v[43:44], v[99:100], v[41:42], -v[43:44]
	v_mul_f64 v[99:100], v[99:100], v[97:98]
	v_add_f64 v[37:38], v[37:38], -v[43:44]
	v_fma_f64 v[99:100], v[101:102], v[41:42], v[99:100]
	v_add_f64 v[39:40], v[39:40], -v[99:100]
	ds_read2_b64 v[99:102], v94 offset0:64 offset1:65
	s_waitcnt lgkmcnt(0)
	v_mul_f64 v[43:44], v[101:102], v[97:98]
	v_fma_f64 v[43:44], v[99:100], v[41:42], -v[43:44]
	v_mul_f64 v[99:100], v[99:100], v[97:98]
	v_add_f64 v[33:34], v[33:34], -v[43:44]
	v_fma_f64 v[99:100], v[101:102], v[41:42], v[99:100]
	v_add_f64 v[35:36], v[35:36], -v[99:100]
	ds_read2_b64 v[99:102], v94 offset0:66 offset1:67
	;; [unrolled: 8-line block ×10, first 2 shown]
	s_waitcnt lgkmcnt(0)
	v_mul_f64 v[43:44], v[101:102], v[97:98]
	v_fma_f64 v[43:44], v[99:100], v[41:42], -v[43:44]
	v_mul_f64 v[99:100], v[99:100], v[97:98]
	v_add_f64 v[121:122], v[121:122], -v[43:44]
	v_fma_f64 v[99:100], v[101:102], v[41:42], v[99:100]
	v_mov_b32_e32 v43, v97
	v_mov_b32_e32 v44, v98
	v_add_f64 v[123:124], v[123:124], -v[99:100]
.LBB82_650:
	s_or_b64 exec, exec, s[0:1]
	v_lshl_add_u32 v97, v96, 4, v94
	s_barrier
	ds_write2_b64 v97, v[37:38], v[39:40] offset1:1
	s_waitcnt lgkmcnt(0)
	s_barrier
	ds_read2_b64 v[117:120], v94 offset0:62 offset1:63
	s_cmp_lt_i32 s3, 33
	v_mov_b32_e32 v97, 31
	s_cbranch_scc1 .LBB82_653
; %bb.651:
	v_add_u32_e32 v98, 0x200, v94
	s_mov_b32 s0, 32
	v_mov_b32_e32 v97, 31
.LBB82_652:                             ; =>This Inner Loop Header: Depth=1
	s_waitcnt lgkmcnt(0)
	v_cmp_gt_f64_e32 vcc, 0, v[117:118]
	v_xor_b32_e32 v103, 0x80000000, v118
	ds_read2_b64 v[99:102], v98 offset1:1
	v_xor_b32_e32 v105, 0x80000000, v120
	v_add_u32_e32 v98, 16, v98
	s_waitcnt lgkmcnt(0)
	v_xor_b32_e32 v107, 0x80000000, v102
	v_cndmask_b32_e32 v104, v118, v103, vcc
	v_cmp_gt_f64_e32 vcc, 0, v[119:120]
	v_mov_b32_e32 v103, v117
	v_cndmask_b32_e32 v106, v120, v105, vcc
	v_cmp_gt_f64_e32 vcc, 0, v[99:100]
	v_mov_b32_e32 v105, v119
	v_add_f64 v[103:104], v[103:104], v[105:106]
	v_xor_b32_e32 v105, 0x80000000, v100
	v_cndmask_b32_e32 v106, v100, v105, vcc
	v_cmp_gt_f64_e32 vcc, 0, v[101:102]
	v_mov_b32_e32 v105, v99
	v_cndmask_b32_e32 v108, v102, v107, vcc
	v_mov_b32_e32 v107, v101
	v_add_f64 v[105:106], v[105:106], v[107:108]
	v_cmp_lt_f64_e32 vcc, v[103:104], v[105:106]
	v_cndmask_b32_e32 v117, v117, v99, vcc
	v_mov_b32_e32 v99, s0
	s_add_i32 s0, s0, 1
	v_cndmask_b32_e32 v118, v118, v100, vcc
	v_cndmask_b32_e32 v120, v120, v102, vcc
	v_cndmask_b32_e32 v119, v119, v101, vcc
	v_cndmask_b32_e32 v97, v97, v99, vcc
	s_cmp_lg_u32 s3, s0
	s_cbranch_scc1 .LBB82_652
.LBB82_653:
	s_waitcnt lgkmcnt(0)
	v_cmp_eq_f64_e32 vcc, 0, v[117:118]
	v_cmp_eq_f64_e64 s[0:1], 0, v[119:120]
	s_and_b64 s[0:1], vcc, s[0:1]
	s_and_saveexec_b64 s[18:19], s[0:1]
	s_xor_b64 s[0:1], exec, s[18:19]
; %bb.654:
	v_cmp_ne_u32_e32 vcc, 0, v95
	v_cndmask_b32_e32 v95, 32, v95, vcc
; %bb.655:
	s_andn2_saveexec_b64 s[0:1], s[0:1]
	s_cbranch_execz .LBB82_661
; %bb.656:
	v_cmp_ngt_f64_e64 s[18:19], |v[117:118]|, |v[119:120]|
	s_and_saveexec_b64 s[20:21], s[18:19]
	s_xor_b64 s[18:19], exec, s[20:21]
	s_cbranch_execz .LBB82_658
; %bb.657:
	v_div_scale_f64 v[98:99], s[20:21], v[119:120], v[119:120], v[117:118]
	v_rcp_f64_e32 v[100:101], v[98:99]
	v_fma_f64 v[102:103], -v[98:99], v[100:101], 1.0
	v_fma_f64 v[100:101], v[100:101], v[102:103], v[100:101]
	v_div_scale_f64 v[102:103], vcc, v[117:118], v[119:120], v[117:118]
	v_fma_f64 v[104:105], -v[98:99], v[100:101], 1.0
	v_fma_f64 v[100:101], v[100:101], v[104:105], v[100:101]
	v_mul_f64 v[104:105], v[102:103], v[100:101]
	v_fma_f64 v[98:99], -v[98:99], v[104:105], v[102:103]
	v_div_fmas_f64 v[98:99], v[98:99], v[100:101], v[104:105]
	v_div_fixup_f64 v[98:99], v[98:99], v[119:120], v[117:118]
	v_fma_f64 v[100:101], v[117:118], v[98:99], v[119:120]
	v_div_scale_f64 v[102:103], s[20:21], v[100:101], v[100:101], 1.0
	v_div_scale_f64 v[108:109], vcc, 1.0, v[100:101], 1.0
	v_rcp_f64_e32 v[104:105], v[102:103]
	v_fma_f64 v[106:107], -v[102:103], v[104:105], 1.0
	v_fma_f64 v[104:105], v[104:105], v[106:107], v[104:105]
	v_fma_f64 v[106:107], -v[102:103], v[104:105], 1.0
	v_fma_f64 v[104:105], v[104:105], v[106:107], v[104:105]
	v_mul_f64 v[106:107], v[108:109], v[104:105]
	v_fma_f64 v[102:103], -v[102:103], v[106:107], v[108:109]
	v_div_fmas_f64 v[102:103], v[102:103], v[104:105], v[106:107]
	v_div_fixup_f64 v[119:120], v[102:103], v[100:101], 1.0
	v_mul_f64 v[117:118], v[98:99], v[119:120]
	v_xor_b32_e32 v120, 0x80000000, v120
.LBB82_658:
	s_andn2_saveexec_b64 s[18:19], s[18:19]
	s_cbranch_execz .LBB82_660
; %bb.659:
	v_div_scale_f64 v[98:99], s[20:21], v[117:118], v[117:118], v[119:120]
	v_rcp_f64_e32 v[100:101], v[98:99]
	v_fma_f64 v[102:103], -v[98:99], v[100:101], 1.0
	v_fma_f64 v[100:101], v[100:101], v[102:103], v[100:101]
	v_div_scale_f64 v[102:103], vcc, v[119:120], v[117:118], v[119:120]
	v_fma_f64 v[104:105], -v[98:99], v[100:101], 1.0
	v_fma_f64 v[100:101], v[100:101], v[104:105], v[100:101]
	v_mul_f64 v[104:105], v[102:103], v[100:101]
	v_fma_f64 v[98:99], -v[98:99], v[104:105], v[102:103]
	v_div_fmas_f64 v[98:99], v[98:99], v[100:101], v[104:105]
	v_div_fixup_f64 v[98:99], v[98:99], v[117:118], v[119:120]
	v_fma_f64 v[100:101], v[119:120], v[98:99], v[117:118]
	v_div_scale_f64 v[102:103], s[20:21], v[100:101], v[100:101], 1.0
	v_div_scale_f64 v[108:109], vcc, 1.0, v[100:101], 1.0
	v_rcp_f64_e32 v[104:105], v[102:103]
	v_fma_f64 v[106:107], -v[102:103], v[104:105], 1.0
	v_fma_f64 v[104:105], v[104:105], v[106:107], v[104:105]
	v_fma_f64 v[106:107], -v[102:103], v[104:105], 1.0
	v_fma_f64 v[104:105], v[104:105], v[106:107], v[104:105]
	v_mul_f64 v[106:107], v[108:109], v[104:105]
	v_fma_f64 v[102:103], -v[102:103], v[106:107], v[108:109]
	v_div_fmas_f64 v[102:103], v[102:103], v[104:105], v[106:107]
	v_div_fixup_f64 v[117:118], v[102:103], v[100:101], 1.0
	v_mul_f64 v[119:120], v[98:99], -v[117:118]
.LBB82_660:
	s_or_b64 exec, exec, s[18:19]
.LBB82_661:
	s_or_b64 exec, exec, s[0:1]
	v_cmp_ne_u32_e32 vcc, v96, v97
	s_and_saveexec_b64 s[0:1], vcc
	s_xor_b64 s[0:1], exec, s[0:1]
	s_cbranch_execz .LBB82_667
; %bb.662:
	v_cmp_eq_u32_e32 vcc, 31, v96
	s_and_saveexec_b64 s[18:19], vcc
	s_cbranch_execz .LBB82_666
; %bb.663:
	v_cmp_ne_u32_e32 vcc, 31, v97
	s_xor_b64 s[20:21], s[6:7], -1
	s_and_b64 s[22:23], s[20:21], vcc
	s_and_saveexec_b64 s[20:21], s[22:23]
	s_cbranch_execz .LBB82_665
; %bb.664:
	v_ashrrev_i32_e32 v98, 31, v97
	v_lshlrev_b64 v[98:99], 2, v[97:98]
	v_add_co_u32_e32 v98, vcc, v91, v98
	v_addc_co_u32_e32 v99, vcc, v92, v99, vcc
	global_load_dword v0, v[98:99], off
	global_load_dword v96, v[91:92], off offset:124
	s_waitcnt vmcnt(1)
	global_store_dword v[91:92], v0, off offset:124
	s_waitcnt vmcnt(1)
	global_store_dword v[98:99], v96, off
.LBB82_665:
	s_or_b64 exec, exec, s[20:21]
	v_mov_b32_e32 v96, v97
	v_mov_b32_e32 v0, v97
.LBB82_666:
	s_or_b64 exec, exec, s[18:19]
.LBB82_667:
	s_andn2_saveexec_b64 s[0:1], s[0:1]
	s_cbranch_execz .LBB82_669
; %bb.668:
	v_mov_b32_e32 v96, 31
	ds_write2_b64 v94, v[33:34], v[35:36] offset0:64 offset1:65
	ds_write2_b64 v94, v[29:30], v[31:32] offset0:66 offset1:67
	;; [unrolled: 1-line block ×10, first 2 shown]
.LBB82_669:
	s_or_b64 exec, exec, s[0:1]
	v_cmp_lt_i32_e32 vcc, 31, v96
	s_waitcnt vmcnt(0) lgkmcnt(0)
	s_barrier
	s_and_saveexec_b64 s[0:1], vcc
	s_cbranch_execz .LBB82_671
; %bb.670:
	v_mul_f64 v[97:98], v[117:118], v[39:40]
	v_mul_f64 v[39:40], v[119:120], v[39:40]
	ds_read2_b64 v[99:102], v94 offset0:64 offset1:65
	v_fma_f64 v[97:98], v[119:120], v[37:38], v[97:98]
	v_fma_f64 v[37:38], v[117:118], v[37:38], -v[39:40]
	s_waitcnt lgkmcnt(0)
	v_mul_f64 v[39:40], v[101:102], v[97:98]
	v_fma_f64 v[39:40], v[99:100], v[37:38], -v[39:40]
	v_mul_f64 v[99:100], v[99:100], v[97:98]
	v_add_f64 v[33:34], v[33:34], -v[39:40]
	v_fma_f64 v[99:100], v[101:102], v[37:38], v[99:100]
	v_add_f64 v[35:36], v[35:36], -v[99:100]
	ds_read2_b64 v[99:102], v94 offset0:66 offset1:67
	s_waitcnt lgkmcnt(0)
	v_mul_f64 v[39:40], v[101:102], v[97:98]
	v_fma_f64 v[39:40], v[99:100], v[37:38], -v[39:40]
	v_mul_f64 v[99:100], v[99:100], v[97:98]
	v_add_f64 v[29:30], v[29:30], -v[39:40]
	v_fma_f64 v[99:100], v[101:102], v[37:38], v[99:100]
	v_add_f64 v[31:32], v[31:32], -v[99:100]
	ds_read2_b64 v[99:102], v94 offset0:68 offset1:69
	s_waitcnt lgkmcnt(0)
	v_mul_f64 v[39:40], v[101:102], v[97:98]
	v_fma_f64 v[39:40], v[99:100], v[37:38], -v[39:40]
	v_mul_f64 v[99:100], v[99:100], v[97:98]
	v_add_f64 v[25:26], v[25:26], -v[39:40]
	v_fma_f64 v[99:100], v[101:102], v[37:38], v[99:100]
	v_add_f64 v[27:28], v[27:28], -v[99:100]
	ds_read2_b64 v[99:102], v94 offset0:70 offset1:71
	s_waitcnt lgkmcnt(0)
	v_mul_f64 v[39:40], v[101:102], v[97:98]
	v_fma_f64 v[39:40], v[99:100], v[37:38], -v[39:40]
	v_mul_f64 v[99:100], v[99:100], v[97:98]
	v_add_f64 v[21:22], v[21:22], -v[39:40]
	v_fma_f64 v[99:100], v[101:102], v[37:38], v[99:100]
	v_add_f64 v[23:24], v[23:24], -v[99:100]
	ds_read2_b64 v[99:102], v94 offset0:72 offset1:73
	s_waitcnt lgkmcnt(0)
	v_mul_f64 v[39:40], v[101:102], v[97:98]
	v_fma_f64 v[39:40], v[99:100], v[37:38], -v[39:40]
	v_mul_f64 v[99:100], v[99:100], v[97:98]
	v_add_f64 v[17:18], v[17:18], -v[39:40]
	v_fma_f64 v[99:100], v[101:102], v[37:38], v[99:100]
	v_add_f64 v[19:20], v[19:20], -v[99:100]
	ds_read2_b64 v[99:102], v94 offset0:74 offset1:75
	s_waitcnt lgkmcnt(0)
	v_mul_f64 v[39:40], v[101:102], v[97:98]
	v_fma_f64 v[39:40], v[99:100], v[37:38], -v[39:40]
	v_mul_f64 v[99:100], v[99:100], v[97:98]
	v_add_f64 v[13:14], v[13:14], -v[39:40]
	v_fma_f64 v[99:100], v[101:102], v[37:38], v[99:100]
	v_add_f64 v[15:16], v[15:16], -v[99:100]
	ds_read2_b64 v[99:102], v94 offset0:76 offset1:77
	s_waitcnt lgkmcnt(0)
	v_mul_f64 v[39:40], v[101:102], v[97:98]
	v_fma_f64 v[39:40], v[99:100], v[37:38], -v[39:40]
	v_mul_f64 v[99:100], v[99:100], v[97:98]
	v_add_f64 v[9:10], v[9:10], -v[39:40]
	v_fma_f64 v[99:100], v[101:102], v[37:38], v[99:100]
	v_add_f64 v[11:12], v[11:12], -v[99:100]
	ds_read2_b64 v[99:102], v94 offset0:78 offset1:79
	s_waitcnt lgkmcnt(0)
	v_mul_f64 v[39:40], v[101:102], v[97:98]
	v_fma_f64 v[39:40], v[99:100], v[37:38], -v[39:40]
	v_mul_f64 v[99:100], v[99:100], v[97:98]
	v_add_f64 v[5:6], v[5:6], -v[39:40]
	v_fma_f64 v[99:100], v[101:102], v[37:38], v[99:100]
	v_add_f64 v[7:8], v[7:8], -v[99:100]
	ds_read2_b64 v[99:102], v94 offset0:80 offset1:81
	s_waitcnt lgkmcnt(0)
	v_mul_f64 v[39:40], v[101:102], v[97:98]
	v_fma_f64 v[39:40], v[99:100], v[37:38], -v[39:40]
	v_mul_f64 v[99:100], v[99:100], v[97:98]
	v_add_f64 v[1:2], v[1:2], -v[39:40]
	v_fma_f64 v[99:100], v[101:102], v[37:38], v[99:100]
	v_add_f64 v[3:4], v[3:4], -v[99:100]
	ds_read2_b64 v[99:102], v94 offset0:82 offset1:83
	s_waitcnt lgkmcnt(0)
	v_mul_f64 v[39:40], v[101:102], v[97:98]
	v_fma_f64 v[39:40], v[99:100], v[37:38], -v[39:40]
	v_mul_f64 v[99:100], v[99:100], v[97:98]
	v_add_f64 v[121:122], v[121:122], -v[39:40]
	v_fma_f64 v[99:100], v[101:102], v[37:38], v[99:100]
	v_mov_b32_e32 v39, v97
	v_mov_b32_e32 v40, v98
	v_add_f64 v[123:124], v[123:124], -v[99:100]
.LBB82_671:
	s_or_b64 exec, exec, s[0:1]
	v_lshl_add_u32 v97, v96, 4, v94
	s_barrier
	ds_write2_b64 v97, v[33:34], v[35:36] offset1:1
	s_waitcnt lgkmcnt(0)
	s_barrier
	ds_read2_b64 v[117:120], v94 offset0:64 offset1:65
	s_cmp_lt_i32 s3, 34
	v_mov_b32_e32 v97, 32
	s_cbranch_scc1 .LBB82_674
; %bb.672:
	v_add_u32_e32 v98, 0x210, v94
	s_mov_b32 s0, 33
	v_mov_b32_e32 v97, 32
.LBB82_673:                             ; =>This Inner Loop Header: Depth=1
	s_waitcnt lgkmcnt(0)
	v_cmp_gt_f64_e32 vcc, 0, v[117:118]
	v_xor_b32_e32 v103, 0x80000000, v118
	ds_read2_b64 v[99:102], v98 offset1:1
	v_xor_b32_e32 v105, 0x80000000, v120
	v_add_u32_e32 v98, 16, v98
	s_waitcnt lgkmcnt(0)
	v_xor_b32_e32 v107, 0x80000000, v102
	v_cndmask_b32_e32 v104, v118, v103, vcc
	v_cmp_gt_f64_e32 vcc, 0, v[119:120]
	v_mov_b32_e32 v103, v117
	v_cndmask_b32_e32 v106, v120, v105, vcc
	v_cmp_gt_f64_e32 vcc, 0, v[99:100]
	v_mov_b32_e32 v105, v119
	v_add_f64 v[103:104], v[103:104], v[105:106]
	v_xor_b32_e32 v105, 0x80000000, v100
	v_cndmask_b32_e32 v106, v100, v105, vcc
	v_cmp_gt_f64_e32 vcc, 0, v[101:102]
	v_mov_b32_e32 v105, v99
	v_cndmask_b32_e32 v108, v102, v107, vcc
	v_mov_b32_e32 v107, v101
	v_add_f64 v[105:106], v[105:106], v[107:108]
	v_cmp_lt_f64_e32 vcc, v[103:104], v[105:106]
	v_cndmask_b32_e32 v117, v117, v99, vcc
	v_mov_b32_e32 v99, s0
	s_add_i32 s0, s0, 1
	v_cndmask_b32_e32 v118, v118, v100, vcc
	v_cndmask_b32_e32 v120, v120, v102, vcc
	;; [unrolled: 1-line block ×4, first 2 shown]
	s_cmp_lg_u32 s3, s0
	s_cbranch_scc1 .LBB82_673
.LBB82_674:
	s_waitcnt lgkmcnt(0)
	v_cmp_eq_f64_e32 vcc, 0, v[117:118]
	v_cmp_eq_f64_e64 s[0:1], 0, v[119:120]
	s_and_b64 s[0:1], vcc, s[0:1]
	s_and_saveexec_b64 s[18:19], s[0:1]
	s_xor_b64 s[0:1], exec, s[18:19]
; %bb.675:
	v_cmp_ne_u32_e32 vcc, 0, v95
	v_cndmask_b32_e32 v95, 33, v95, vcc
; %bb.676:
	s_andn2_saveexec_b64 s[0:1], s[0:1]
	s_cbranch_execz .LBB82_682
; %bb.677:
	v_cmp_ngt_f64_e64 s[18:19], |v[117:118]|, |v[119:120]|
	s_and_saveexec_b64 s[20:21], s[18:19]
	s_xor_b64 s[18:19], exec, s[20:21]
	s_cbranch_execz .LBB82_679
; %bb.678:
	v_div_scale_f64 v[98:99], s[20:21], v[119:120], v[119:120], v[117:118]
	v_rcp_f64_e32 v[100:101], v[98:99]
	v_fma_f64 v[102:103], -v[98:99], v[100:101], 1.0
	v_fma_f64 v[100:101], v[100:101], v[102:103], v[100:101]
	v_div_scale_f64 v[102:103], vcc, v[117:118], v[119:120], v[117:118]
	v_fma_f64 v[104:105], -v[98:99], v[100:101], 1.0
	v_fma_f64 v[100:101], v[100:101], v[104:105], v[100:101]
	v_mul_f64 v[104:105], v[102:103], v[100:101]
	v_fma_f64 v[98:99], -v[98:99], v[104:105], v[102:103]
	v_div_fmas_f64 v[98:99], v[98:99], v[100:101], v[104:105]
	v_div_fixup_f64 v[98:99], v[98:99], v[119:120], v[117:118]
	v_fma_f64 v[100:101], v[117:118], v[98:99], v[119:120]
	v_div_scale_f64 v[102:103], s[20:21], v[100:101], v[100:101], 1.0
	v_div_scale_f64 v[108:109], vcc, 1.0, v[100:101], 1.0
	v_rcp_f64_e32 v[104:105], v[102:103]
	v_fma_f64 v[106:107], -v[102:103], v[104:105], 1.0
	v_fma_f64 v[104:105], v[104:105], v[106:107], v[104:105]
	v_fma_f64 v[106:107], -v[102:103], v[104:105], 1.0
	v_fma_f64 v[104:105], v[104:105], v[106:107], v[104:105]
	v_mul_f64 v[106:107], v[108:109], v[104:105]
	v_fma_f64 v[102:103], -v[102:103], v[106:107], v[108:109]
	v_div_fmas_f64 v[102:103], v[102:103], v[104:105], v[106:107]
	v_div_fixup_f64 v[119:120], v[102:103], v[100:101], 1.0
	v_mul_f64 v[117:118], v[98:99], v[119:120]
	v_xor_b32_e32 v120, 0x80000000, v120
.LBB82_679:
	s_andn2_saveexec_b64 s[18:19], s[18:19]
	s_cbranch_execz .LBB82_681
; %bb.680:
	v_div_scale_f64 v[98:99], s[20:21], v[117:118], v[117:118], v[119:120]
	v_rcp_f64_e32 v[100:101], v[98:99]
	v_fma_f64 v[102:103], -v[98:99], v[100:101], 1.0
	v_fma_f64 v[100:101], v[100:101], v[102:103], v[100:101]
	v_div_scale_f64 v[102:103], vcc, v[119:120], v[117:118], v[119:120]
	v_fma_f64 v[104:105], -v[98:99], v[100:101], 1.0
	v_fma_f64 v[100:101], v[100:101], v[104:105], v[100:101]
	v_mul_f64 v[104:105], v[102:103], v[100:101]
	v_fma_f64 v[98:99], -v[98:99], v[104:105], v[102:103]
	v_div_fmas_f64 v[98:99], v[98:99], v[100:101], v[104:105]
	v_div_fixup_f64 v[98:99], v[98:99], v[117:118], v[119:120]
	v_fma_f64 v[100:101], v[119:120], v[98:99], v[117:118]
	v_div_scale_f64 v[102:103], s[20:21], v[100:101], v[100:101], 1.0
	v_div_scale_f64 v[108:109], vcc, 1.0, v[100:101], 1.0
	v_rcp_f64_e32 v[104:105], v[102:103]
	v_fma_f64 v[106:107], -v[102:103], v[104:105], 1.0
	v_fma_f64 v[104:105], v[104:105], v[106:107], v[104:105]
	v_fma_f64 v[106:107], -v[102:103], v[104:105], 1.0
	v_fma_f64 v[104:105], v[104:105], v[106:107], v[104:105]
	v_mul_f64 v[106:107], v[108:109], v[104:105]
	v_fma_f64 v[102:103], -v[102:103], v[106:107], v[108:109]
	v_div_fmas_f64 v[102:103], v[102:103], v[104:105], v[106:107]
	v_div_fixup_f64 v[117:118], v[102:103], v[100:101], 1.0
	v_mul_f64 v[119:120], v[98:99], -v[117:118]
.LBB82_681:
	s_or_b64 exec, exec, s[18:19]
.LBB82_682:
	s_or_b64 exec, exec, s[0:1]
	v_cmp_ne_u32_e32 vcc, v96, v97
	s_and_saveexec_b64 s[0:1], vcc
	s_xor_b64 s[0:1], exec, s[0:1]
	s_cbranch_execz .LBB82_688
; %bb.683:
	v_cmp_eq_u32_e32 vcc, 32, v96
	s_and_saveexec_b64 s[18:19], vcc
	s_cbranch_execz .LBB82_687
; %bb.684:
	v_cmp_ne_u32_e32 vcc, 32, v97
	s_xor_b64 s[20:21], s[6:7], -1
	s_and_b64 s[22:23], s[20:21], vcc
	s_and_saveexec_b64 s[20:21], s[22:23]
	s_cbranch_execz .LBB82_686
; %bb.685:
	v_ashrrev_i32_e32 v98, 31, v97
	v_lshlrev_b64 v[98:99], 2, v[97:98]
	v_add_co_u32_e32 v98, vcc, v91, v98
	v_addc_co_u32_e32 v99, vcc, v92, v99, vcc
	global_load_dword v0, v[98:99], off
	global_load_dword v96, v[91:92], off offset:128
	s_waitcnt vmcnt(1)
	global_store_dword v[91:92], v0, off offset:128
	s_waitcnt vmcnt(1)
	global_store_dword v[98:99], v96, off
.LBB82_686:
	s_or_b64 exec, exec, s[20:21]
	v_mov_b32_e32 v96, v97
	v_mov_b32_e32 v0, v97
.LBB82_687:
	s_or_b64 exec, exec, s[18:19]
.LBB82_688:
	s_andn2_saveexec_b64 s[0:1], s[0:1]
	s_cbranch_execz .LBB82_690
; %bb.689:
	v_mov_b32_e32 v96, 32
	ds_write2_b64 v94, v[29:30], v[31:32] offset0:66 offset1:67
	ds_write2_b64 v94, v[25:26], v[27:28] offset0:68 offset1:69
	;; [unrolled: 1-line block ×9, first 2 shown]
.LBB82_690:
	s_or_b64 exec, exec, s[0:1]
	v_cmp_lt_i32_e32 vcc, 32, v96
	s_waitcnt vmcnt(0) lgkmcnt(0)
	s_barrier
	s_and_saveexec_b64 s[0:1], vcc
	s_cbranch_execz .LBB82_692
; %bb.691:
	v_mul_f64 v[97:98], v[117:118], v[35:36]
	v_mul_f64 v[35:36], v[119:120], v[35:36]
	ds_read2_b64 v[99:102], v94 offset0:66 offset1:67
	v_fma_f64 v[97:98], v[119:120], v[33:34], v[97:98]
	v_fma_f64 v[33:34], v[117:118], v[33:34], -v[35:36]
	s_waitcnt lgkmcnt(0)
	v_mul_f64 v[35:36], v[101:102], v[97:98]
	v_fma_f64 v[35:36], v[99:100], v[33:34], -v[35:36]
	v_mul_f64 v[99:100], v[99:100], v[97:98]
	v_add_f64 v[29:30], v[29:30], -v[35:36]
	v_fma_f64 v[99:100], v[101:102], v[33:34], v[99:100]
	v_add_f64 v[31:32], v[31:32], -v[99:100]
	ds_read2_b64 v[99:102], v94 offset0:68 offset1:69
	s_waitcnt lgkmcnt(0)
	v_mul_f64 v[35:36], v[101:102], v[97:98]
	v_fma_f64 v[35:36], v[99:100], v[33:34], -v[35:36]
	v_mul_f64 v[99:100], v[99:100], v[97:98]
	v_add_f64 v[25:26], v[25:26], -v[35:36]
	v_fma_f64 v[99:100], v[101:102], v[33:34], v[99:100]
	v_add_f64 v[27:28], v[27:28], -v[99:100]
	ds_read2_b64 v[99:102], v94 offset0:70 offset1:71
	;; [unrolled: 8-line block ×8, first 2 shown]
	s_waitcnt lgkmcnt(0)
	v_mul_f64 v[35:36], v[101:102], v[97:98]
	v_fma_f64 v[35:36], v[99:100], v[33:34], -v[35:36]
	v_mul_f64 v[99:100], v[99:100], v[97:98]
	v_add_f64 v[121:122], v[121:122], -v[35:36]
	v_fma_f64 v[99:100], v[101:102], v[33:34], v[99:100]
	v_mov_b32_e32 v35, v97
	v_mov_b32_e32 v36, v98
	v_add_f64 v[123:124], v[123:124], -v[99:100]
.LBB82_692:
	s_or_b64 exec, exec, s[0:1]
	v_lshl_add_u32 v97, v96, 4, v94
	s_barrier
	ds_write2_b64 v97, v[29:30], v[31:32] offset1:1
	s_waitcnt lgkmcnt(0)
	s_barrier
	ds_read2_b64 v[117:120], v94 offset0:66 offset1:67
	s_cmp_lt_i32 s3, 35
	v_mov_b32_e32 v97, 33
	s_cbranch_scc1 .LBB82_695
; %bb.693:
	v_add_u32_e32 v98, 0x220, v94
	s_mov_b32 s0, 34
	v_mov_b32_e32 v97, 33
.LBB82_694:                             ; =>This Inner Loop Header: Depth=1
	s_waitcnt lgkmcnt(0)
	v_cmp_gt_f64_e32 vcc, 0, v[117:118]
	v_xor_b32_e32 v103, 0x80000000, v118
	ds_read2_b64 v[99:102], v98 offset1:1
	v_xor_b32_e32 v105, 0x80000000, v120
	v_add_u32_e32 v98, 16, v98
	s_waitcnt lgkmcnt(0)
	v_xor_b32_e32 v107, 0x80000000, v102
	v_cndmask_b32_e32 v104, v118, v103, vcc
	v_cmp_gt_f64_e32 vcc, 0, v[119:120]
	v_mov_b32_e32 v103, v117
	v_cndmask_b32_e32 v106, v120, v105, vcc
	v_cmp_gt_f64_e32 vcc, 0, v[99:100]
	v_mov_b32_e32 v105, v119
	v_add_f64 v[103:104], v[103:104], v[105:106]
	v_xor_b32_e32 v105, 0x80000000, v100
	v_cndmask_b32_e32 v106, v100, v105, vcc
	v_cmp_gt_f64_e32 vcc, 0, v[101:102]
	v_mov_b32_e32 v105, v99
	v_cndmask_b32_e32 v108, v102, v107, vcc
	v_mov_b32_e32 v107, v101
	v_add_f64 v[105:106], v[105:106], v[107:108]
	v_cmp_lt_f64_e32 vcc, v[103:104], v[105:106]
	v_cndmask_b32_e32 v117, v117, v99, vcc
	v_mov_b32_e32 v99, s0
	s_add_i32 s0, s0, 1
	v_cndmask_b32_e32 v118, v118, v100, vcc
	v_cndmask_b32_e32 v120, v120, v102, vcc
	;; [unrolled: 1-line block ×4, first 2 shown]
	s_cmp_lg_u32 s3, s0
	s_cbranch_scc1 .LBB82_694
.LBB82_695:
	s_waitcnt lgkmcnt(0)
	v_cmp_eq_f64_e32 vcc, 0, v[117:118]
	v_cmp_eq_f64_e64 s[0:1], 0, v[119:120]
	s_and_b64 s[0:1], vcc, s[0:1]
	s_and_saveexec_b64 s[18:19], s[0:1]
	s_xor_b64 s[0:1], exec, s[18:19]
; %bb.696:
	v_cmp_ne_u32_e32 vcc, 0, v95
	v_cndmask_b32_e32 v95, 34, v95, vcc
; %bb.697:
	s_andn2_saveexec_b64 s[0:1], s[0:1]
	s_cbranch_execz .LBB82_703
; %bb.698:
	v_cmp_ngt_f64_e64 s[18:19], |v[117:118]|, |v[119:120]|
	s_and_saveexec_b64 s[20:21], s[18:19]
	s_xor_b64 s[18:19], exec, s[20:21]
	s_cbranch_execz .LBB82_700
; %bb.699:
	v_div_scale_f64 v[98:99], s[20:21], v[119:120], v[119:120], v[117:118]
	v_rcp_f64_e32 v[100:101], v[98:99]
	v_fma_f64 v[102:103], -v[98:99], v[100:101], 1.0
	v_fma_f64 v[100:101], v[100:101], v[102:103], v[100:101]
	v_div_scale_f64 v[102:103], vcc, v[117:118], v[119:120], v[117:118]
	v_fma_f64 v[104:105], -v[98:99], v[100:101], 1.0
	v_fma_f64 v[100:101], v[100:101], v[104:105], v[100:101]
	v_mul_f64 v[104:105], v[102:103], v[100:101]
	v_fma_f64 v[98:99], -v[98:99], v[104:105], v[102:103]
	v_div_fmas_f64 v[98:99], v[98:99], v[100:101], v[104:105]
	v_div_fixup_f64 v[98:99], v[98:99], v[119:120], v[117:118]
	v_fma_f64 v[100:101], v[117:118], v[98:99], v[119:120]
	v_div_scale_f64 v[102:103], s[20:21], v[100:101], v[100:101], 1.0
	v_div_scale_f64 v[108:109], vcc, 1.0, v[100:101], 1.0
	v_rcp_f64_e32 v[104:105], v[102:103]
	v_fma_f64 v[106:107], -v[102:103], v[104:105], 1.0
	v_fma_f64 v[104:105], v[104:105], v[106:107], v[104:105]
	v_fma_f64 v[106:107], -v[102:103], v[104:105], 1.0
	v_fma_f64 v[104:105], v[104:105], v[106:107], v[104:105]
	v_mul_f64 v[106:107], v[108:109], v[104:105]
	v_fma_f64 v[102:103], -v[102:103], v[106:107], v[108:109]
	v_div_fmas_f64 v[102:103], v[102:103], v[104:105], v[106:107]
	v_div_fixup_f64 v[119:120], v[102:103], v[100:101], 1.0
	v_mul_f64 v[117:118], v[98:99], v[119:120]
	v_xor_b32_e32 v120, 0x80000000, v120
.LBB82_700:
	s_andn2_saveexec_b64 s[18:19], s[18:19]
	s_cbranch_execz .LBB82_702
; %bb.701:
	v_div_scale_f64 v[98:99], s[20:21], v[117:118], v[117:118], v[119:120]
	v_rcp_f64_e32 v[100:101], v[98:99]
	v_fma_f64 v[102:103], -v[98:99], v[100:101], 1.0
	v_fma_f64 v[100:101], v[100:101], v[102:103], v[100:101]
	v_div_scale_f64 v[102:103], vcc, v[119:120], v[117:118], v[119:120]
	v_fma_f64 v[104:105], -v[98:99], v[100:101], 1.0
	v_fma_f64 v[100:101], v[100:101], v[104:105], v[100:101]
	v_mul_f64 v[104:105], v[102:103], v[100:101]
	v_fma_f64 v[98:99], -v[98:99], v[104:105], v[102:103]
	v_div_fmas_f64 v[98:99], v[98:99], v[100:101], v[104:105]
	v_div_fixup_f64 v[98:99], v[98:99], v[117:118], v[119:120]
	v_fma_f64 v[100:101], v[119:120], v[98:99], v[117:118]
	v_div_scale_f64 v[102:103], s[20:21], v[100:101], v[100:101], 1.0
	v_div_scale_f64 v[108:109], vcc, 1.0, v[100:101], 1.0
	v_rcp_f64_e32 v[104:105], v[102:103]
	v_fma_f64 v[106:107], -v[102:103], v[104:105], 1.0
	v_fma_f64 v[104:105], v[104:105], v[106:107], v[104:105]
	v_fma_f64 v[106:107], -v[102:103], v[104:105], 1.0
	v_fma_f64 v[104:105], v[104:105], v[106:107], v[104:105]
	v_mul_f64 v[106:107], v[108:109], v[104:105]
	v_fma_f64 v[102:103], -v[102:103], v[106:107], v[108:109]
	v_div_fmas_f64 v[102:103], v[102:103], v[104:105], v[106:107]
	v_div_fixup_f64 v[117:118], v[102:103], v[100:101], 1.0
	v_mul_f64 v[119:120], v[98:99], -v[117:118]
.LBB82_702:
	s_or_b64 exec, exec, s[18:19]
.LBB82_703:
	s_or_b64 exec, exec, s[0:1]
	v_cmp_ne_u32_e32 vcc, v96, v97
	s_and_saveexec_b64 s[0:1], vcc
	s_xor_b64 s[0:1], exec, s[0:1]
	s_cbranch_execz .LBB82_709
; %bb.704:
	v_cmp_eq_u32_e32 vcc, 33, v96
	s_and_saveexec_b64 s[18:19], vcc
	s_cbranch_execz .LBB82_708
; %bb.705:
	v_cmp_ne_u32_e32 vcc, 33, v97
	s_xor_b64 s[20:21], s[6:7], -1
	s_and_b64 s[22:23], s[20:21], vcc
	s_and_saveexec_b64 s[20:21], s[22:23]
	s_cbranch_execz .LBB82_707
; %bb.706:
	v_ashrrev_i32_e32 v98, 31, v97
	v_lshlrev_b64 v[98:99], 2, v[97:98]
	v_add_co_u32_e32 v98, vcc, v91, v98
	v_addc_co_u32_e32 v99, vcc, v92, v99, vcc
	global_load_dword v0, v[98:99], off
	global_load_dword v96, v[91:92], off offset:132
	s_waitcnt vmcnt(1)
	global_store_dword v[91:92], v0, off offset:132
	s_waitcnt vmcnt(1)
	global_store_dword v[98:99], v96, off
.LBB82_707:
	s_or_b64 exec, exec, s[20:21]
	v_mov_b32_e32 v96, v97
	v_mov_b32_e32 v0, v97
.LBB82_708:
	s_or_b64 exec, exec, s[18:19]
.LBB82_709:
	s_andn2_saveexec_b64 s[0:1], s[0:1]
	s_cbranch_execz .LBB82_711
; %bb.710:
	v_mov_b32_e32 v96, 33
	ds_write2_b64 v94, v[25:26], v[27:28] offset0:68 offset1:69
	ds_write2_b64 v94, v[21:22], v[23:24] offset0:70 offset1:71
	;; [unrolled: 1-line block ×8, first 2 shown]
.LBB82_711:
	s_or_b64 exec, exec, s[0:1]
	v_cmp_lt_i32_e32 vcc, 33, v96
	s_waitcnt vmcnt(0) lgkmcnt(0)
	s_barrier
	s_and_saveexec_b64 s[0:1], vcc
	s_cbranch_execz .LBB82_713
; %bb.712:
	v_mul_f64 v[97:98], v[117:118], v[31:32]
	v_mul_f64 v[31:32], v[119:120], v[31:32]
	ds_read2_b64 v[99:102], v94 offset0:68 offset1:69
	v_fma_f64 v[97:98], v[119:120], v[29:30], v[97:98]
	v_fma_f64 v[29:30], v[117:118], v[29:30], -v[31:32]
	s_waitcnt lgkmcnt(0)
	v_mul_f64 v[31:32], v[101:102], v[97:98]
	v_fma_f64 v[31:32], v[99:100], v[29:30], -v[31:32]
	v_mul_f64 v[99:100], v[99:100], v[97:98]
	v_add_f64 v[25:26], v[25:26], -v[31:32]
	v_fma_f64 v[99:100], v[101:102], v[29:30], v[99:100]
	v_add_f64 v[27:28], v[27:28], -v[99:100]
	ds_read2_b64 v[99:102], v94 offset0:70 offset1:71
	s_waitcnt lgkmcnt(0)
	v_mul_f64 v[31:32], v[101:102], v[97:98]
	v_fma_f64 v[31:32], v[99:100], v[29:30], -v[31:32]
	v_mul_f64 v[99:100], v[99:100], v[97:98]
	v_add_f64 v[21:22], v[21:22], -v[31:32]
	v_fma_f64 v[99:100], v[101:102], v[29:30], v[99:100]
	v_add_f64 v[23:24], v[23:24], -v[99:100]
	ds_read2_b64 v[99:102], v94 offset0:72 offset1:73
	;; [unrolled: 8-line block ×7, first 2 shown]
	s_waitcnt lgkmcnt(0)
	v_mul_f64 v[31:32], v[101:102], v[97:98]
	v_fma_f64 v[31:32], v[99:100], v[29:30], -v[31:32]
	v_mul_f64 v[99:100], v[99:100], v[97:98]
	v_add_f64 v[121:122], v[121:122], -v[31:32]
	v_fma_f64 v[99:100], v[101:102], v[29:30], v[99:100]
	v_mov_b32_e32 v31, v97
	v_mov_b32_e32 v32, v98
	v_add_f64 v[123:124], v[123:124], -v[99:100]
.LBB82_713:
	s_or_b64 exec, exec, s[0:1]
	v_lshl_add_u32 v97, v96, 4, v94
	s_barrier
	ds_write2_b64 v97, v[25:26], v[27:28] offset1:1
	s_waitcnt lgkmcnt(0)
	s_barrier
	ds_read2_b64 v[117:120], v94 offset0:68 offset1:69
	s_cmp_lt_i32 s3, 36
	v_mov_b32_e32 v97, 34
	s_cbranch_scc1 .LBB82_716
; %bb.714:
	v_add_u32_e32 v98, 0x230, v94
	s_mov_b32 s0, 35
	v_mov_b32_e32 v97, 34
.LBB82_715:                             ; =>This Inner Loop Header: Depth=1
	s_waitcnt lgkmcnt(0)
	v_cmp_gt_f64_e32 vcc, 0, v[117:118]
	v_xor_b32_e32 v103, 0x80000000, v118
	ds_read2_b64 v[99:102], v98 offset1:1
	v_xor_b32_e32 v105, 0x80000000, v120
	v_add_u32_e32 v98, 16, v98
	s_waitcnt lgkmcnt(0)
	v_xor_b32_e32 v107, 0x80000000, v102
	v_cndmask_b32_e32 v104, v118, v103, vcc
	v_cmp_gt_f64_e32 vcc, 0, v[119:120]
	v_mov_b32_e32 v103, v117
	v_cndmask_b32_e32 v106, v120, v105, vcc
	v_cmp_gt_f64_e32 vcc, 0, v[99:100]
	v_mov_b32_e32 v105, v119
	v_add_f64 v[103:104], v[103:104], v[105:106]
	v_xor_b32_e32 v105, 0x80000000, v100
	v_cndmask_b32_e32 v106, v100, v105, vcc
	v_cmp_gt_f64_e32 vcc, 0, v[101:102]
	v_mov_b32_e32 v105, v99
	v_cndmask_b32_e32 v108, v102, v107, vcc
	v_mov_b32_e32 v107, v101
	v_add_f64 v[105:106], v[105:106], v[107:108]
	v_cmp_lt_f64_e32 vcc, v[103:104], v[105:106]
	v_cndmask_b32_e32 v117, v117, v99, vcc
	v_mov_b32_e32 v99, s0
	s_add_i32 s0, s0, 1
	v_cndmask_b32_e32 v118, v118, v100, vcc
	v_cndmask_b32_e32 v120, v120, v102, vcc
	;; [unrolled: 1-line block ×4, first 2 shown]
	s_cmp_lg_u32 s3, s0
	s_cbranch_scc1 .LBB82_715
.LBB82_716:
	s_waitcnt lgkmcnt(0)
	v_cmp_eq_f64_e32 vcc, 0, v[117:118]
	v_cmp_eq_f64_e64 s[0:1], 0, v[119:120]
	s_and_b64 s[0:1], vcc, s[0:1]
	s_and_saveexec_b64 s[18:19], s[0:1]
	s_xor_b64 s[0:1], exec, s[18:19]
; %bb.717:
	v_cmp_ne_u32_e32 vcc, 0, v95
	v_cndmask_b32_e32 v95, 35, v95, vcc
; %bb.718:
	s_andn2_saveexec_b64 s[0:1], s[0:1]
	s_cbranch_execz .LBB82_724
; %bb.719:
	v_cmp_ngt_f64_e64 s[18:19], |v[117:118]|, |v[119:120]|
	s_and_saveexec_b64 s[20:21], s[18:19]
	s_xor_b64 s[18:19], exec, s[20:21]
	s_cbranch_execz .LBB82_721
; %bb.720:
	v_div_scale_f64 v[98:99], s[20:21], v[119:120], v[119:120], v[117:118]
	v_rcp_f64_e32 v[100:101], v[98:99]
	v_fma_f64 v[102:103], -v[98:99], v[100:101], 1.0
	v_fma_f64 v[100:101], v[100:101], v[102:103], v[100:101]
	v_div_scale_f64 v[102:103], vcc, v[117:118], v[119:120], v[117:118]
	v_fma_f64 v[104:105], -v[98:99], v[100:101], 1.0
	v_fma_f64 v[100:101], v[100:101], v[104:105], v[100:101]
	v_mul_f64 v[104:105], v[102:103], v[100:101]
	v_fma_f64 v[98:99], -v[98:99], v[104:105], v[102:103]
	v_div_fmas_f64 v[98:99], v[98:99], v[100:101], v[104:105]
	v_div_fixup_f64 v[98:99], v[98:99], v[119:120], v[117:118]
	v_fma_f64 v[100:101], v[117:118], v[98:99], v[119:120]
	v_div_scale_f64 v[102:103], s[20:21], v[100:101], v[100:101], 1.0
	v_div_scale_f64 v[108:109], vcc, 1.0, v[100:101], 1.0
	v_rcp_f64_e32 v[104:105], v[102:103]
	v_fma_f64 v[106:107], -v[102:103], v[104:105], 1.0
	v_fma_f64 v[104:105], v[104:105], v[106:107], v[104:105]
	v_fma_f64 v[106:107], -v[102:103], v[104:105], 1.0
	v_fma_f64 v[104:105], v[104:105], v[106:107], v[104:105]
	v_mul_f64 v[106:107], v[108:109], v[104:105]
	v_fma_f64 v[102:103], -v[102:103], v[106:107], v[108:109]
	v_div_fmas_f64 v[102:103], v[102:103], v[104:105], v[106:107]
	v_div_fixup_f64 v[119:120], v[102:103], v[100:101], 1.0
	v_mul_f64 v[117:118], v[98:99], v[119:120]
	v_xor_b32_e32 v120, 0x80000000, v120
.LBB82_721:
	s_andn2_saveexec_b64 s[18:19], s[18:19]
	s_cbranch_execz .LBB82_723
; %bb.722:
	v_div_scale_f64 v[98:99], s[20:21], v[117:118], v[117:118], v[119:120]
	v_rcp_f64_e32 v[100:101], v[98:99]
	v_fma_f64 v[102:103], -v[98:99], v[100:101], 1.0
	v_fma_f64 v[100:101], v[100:101], v[102:103], v[100:101]
	v_div_scale_f64 v[102:103], vcc, v[119:120], v[117:118], v[119:120]
	v_fma_f64 v[104:105], -v[98:99], v[100:101], 1.0
	v_fma_f64 v[100:101], v[100:101], v[104:105], v[100:101]
	v_mul_f64 v[104:105], v[102:103], v[100:101]
	v_fma_f64 v[98:99], -v[98:99], v[104:105], v[102:103]
	v_div_fmas_f64 v[98:99], v[98:99], v[100:101], v[104:105]
	v_div_fixup_f64 v[98:99], v[98:99], v[117:118], v[119:120]
	v_fma_f64 v[100:101], v[119:120], v[98:99], v[117:118]
	v_div_scale_f64 v[102:103], s[20:21], v[100:101], v[100:101], 1.0
	v_div_scale_f64 v[108:109], vcc, 1.0, v[100:101], 1.0
	v_rcp_f64_e32 v[104:105], v[102:103]
	v_fma_f64 v[106:107], -v[102:103], v[104:105], 1.0
	v_fma_f64 v[104:105], v[104:105], v[106:107], v[104:105]
	v_fma_f64 v[106:107], -v[102:103], v[104:105], 1.0
	v_fma_f64 v[104:105], v[104:105], v[106:107], v[104:105]
	v_mul_f64 v[106:107], v[108:109], v[104:105]
	v_fma_f64 v[102:103], -v[102:103], v[106:107], v[108:109]
	v_div_fmas_f64 v[102:103], v[102:103], v[104:105], v[106:107]
	v_div_fixup_f64 v[117:118], v[102:103], v[100:101], 1.0
	v_mul_f64 v[119:120], v[98:99], -v[117:118]
.LBB82_723:
	s_or_b64 exec, exec, s[18:19]
.LBB82_724:
	s_or_b64 exec, exec, s[0:1]
	v_cmp_ne_u32_e32 vcc, v96, v97
	s_and_saveexec_b64 s[0:1], vcc
	s_xor_b64 s[0:1], exec, s[0:1]
	s_cbranch_execz .LBB82_730
; %bb.725:
	v_cmp_eq_u32_e32 vcc, 34, v96
	s_and_saveexec_b64 s[18:19], vcc
	s_cbranch_execz .LBB82_729
; %bb.726:
	v_cmp_ne_u32_e32 vcc, 34, v97
	s_xor_b64 s[20:21], s[6:7], -1
	s_and_b64 s[22:23], s[20:21], vcc
	s_and_saveexec_b64 s[20:21], s[22:23]
	s_cbranch_execz .LBB82_728
; %bb.727:
	v_ashrrev_i32_e32 v98, 31, v97
	v_lshlrev_b64 v[98:99], 2, v[97:98]
	v_add_co_u32_e32 v98, vcc, v91, v98
	v_addc_co_u32_e32 v99, vcc, v92, v99, vcc
	global_load_dword v0, v[98:99], off
	global_load_dword v96, v[91:92], off offset:136
	s_waitcnt vmcnt(1)
	global_store_dword v[91:92], v0, off offset:136
	s_waitcnt vmcnt(1)
	global_store_dword v[98:99], v96, off
.LBB82_728:
	s_or_b64 exec, exec, s[20:21]
	v_mov_b32_e32 v96, v97
	v_mov_b32_e32 v0, v97
.LBB82_729:
	s_or_b64 exec, exec, s[18:19]
.LBB82_730:
	s_andn2_saveexec_b64 s[0:1], s[0:1]
	s_cbranch_execz .LBB82_732
; %bb.731:
	v_mov_b32_e32 v96, 34
	ds_write2_b64 v94, v[21:22], v[23:24] offset0:70 offset1:71
	ds_write2_b64 v94, v[17:18], v[19:20] offset0:72 offset1:73
	;; [unrolled: 1-line block ×7, first 2 shown]
.LBB82_732:
	s_or_b64 exec, exec, s[0:1]
	v_cmp_lt_i32_e32 vcc, 34, v96
	s_waitcnt vmcnt(0) lgkmcnt(0)
	s_barrier
	s_and_saveexec_b64 s[0:1], vcc
	s_cbranch_execz .LBB82_734
; %bb.733:
	v_mul_f64 v[97:98], v[117:118], v[27:28]
	v_mul_f64 v[27:28], v[119:120], v[27:28]
	ds_read2_b64 v[99:102], v94 offset0:70 offset1:71
	v_fma_f64 v[97:98], v[119:120], v[25:26], v[97:98]
	v_fma_f64 v[25:26], v[117:118], v[25:26], -v[27:28]
	s_waitcnt lgkmcnt(0)
	v_mul_f64 v[27:28], v[101:102], v[97:98]
	v_fma_f64 v[27:28], v[99:100], v[25:26], -v[27:28]
	v_mul_f64 v[99:100], v[99:100], v[97:98]
	v_add_f64 v[21:22], v[21:22], -v[27:28]
	v_fma_f64 v[99:100], v[101:102], v[25:26], v[99:100]
	v_add_f64 v[23:24], v[23:24], -v[99:100]
	ds_read2_b64 v[99:102], v94 offset0:72 offset1:73
	s_waitcnt lgkmcnt(0)
	v_mul_f64 v[27:28], v[101:102], v[97:98]
	v_fma_f64 v[27:28], v[99:100], v[25:26], -v[27:28]
	v_mul_f64 v[99:100], v[99:100], v[97:98]
	v_add_f64 v[17:18], v[17:18], -v[27:28]
	v_fma_f64 v[99:100], v[101:102], v[25:26], v[99:100]
	v_add_f64 v[19:20], v[19:20], -v[99:100]
	ds_read2_b64 v[99:102], v94 offset0:74 offset1:75
	;; [unrolled: 8-line block ×6, first 2 shown]
	s_waitcnt lgkmcnt(0)
	v_mul_f64 v[27:28], v[101:102], v[97:98]
	v_fma_f64 v[27:28], v[99:100], v[25:26], -v[27:28]
	v_mul_f64 v[99:100], v[99:100], v[97:98]
	v_add_f64 v[121:122], v[121:122], -v[27:28]
	v_fma_f64 v[99:100], v[101:102], v[25:26], v[99:100]
	v_mov_b32_e32 v27, v97
	v_mov_b32_e32 v28, v98
	v_add_f64 v[123:124], v[123:124], -v[99:100]
.LBB82_734:
	s_or_b64 exec, exec, s[0:1]
	v_lshl_add_u32 v97, v96, 4, v94
	s_barrier
	ds_write2_b64 v97, v[21:22], v[23:24] offset1:1
	s_waitcnt lgkmcnt(0)
	s_barrier
	ds_read2_b64 v[117:120], v94 offset0:70 offset1:71
	s_cmp_lt_i32 s3, 37
	v_mov_b32_e32 v97, 35
	s_cbranch_scc1 .LBB82_737
; %bb.735:
	v_add_u32_e32 v98, 0x240, v94
	s_mov_b32 s0, 36
	v_mov_b32_e32 v97, 35
.LBB82_736:                             ; =>This Inner Loop Header: Depth=1
	s_waitcnt lgkmcnt(0)
	v_cmp_gt_f64_e32 vcc, 0, v[117:118]
	v_xor_b32_e32 v103, 0x80000000, v118
	ds_read2_b64 v[99:102], v98 offset1:1
	v_xor_b32_e32 v105, 0x80000000, v120
	v_add_u32_e32 v98, 16, v98
	s_waitcnt lgkmcnt(0)
	v_xor_b32_e32 v107, 0x80000000, v102
	v_cndmask_b32_e32 v104, v118, v103, vcc
	v_cmp_gt_f64_e32 vcc, 0, v[119:120]
	v_mov_b32_e32 v103, v117
	v_cndmask_b32_e32 v106, v120, v105, vcc
	v_cmp_gt_f64_e32 vcc, 0, v[99:100]
	v_mov_b32_e32 v105, v119
	v_add_f64 v[103:104], v[103:104], v[105:106]
	v_xor_b32_e32 v105, 0x80000000, v100
	v_cndmask_b32_e32 v106, v100, v105, vcc
	v_cmp_gt_f64_e32 vcc, 0, v[101:102]
	v_mov_b32_e32 v105, v99
	v_cndmask_b32_e32 v108, v102, v107, vcc
	v_mov_b32_e32 v107, v101
	v_add_f64 v[105:106], v[105:106], v[107:108]
	v_cmp_lt_f64_e32 vcc, v[103:104], v[105:106]
	v_cndmask_b32_e32 v117, v117, v99, vcc
	v_mov_b32_e32 v99, s0
	s_add_i32 s0, s0, 1
	v_cndmask_b32_e32 v118, v118, v100, vcc
	v_cndmask_b32_e32 v120, v120, v102, vcc
	;; [unrolled: 1-line block ×4, first 2 shown]
	s_cmp_lg_u32 s3, s0
	s_cbranch_scc1 .LBB82_736
.LBB82_737:
	s_waitcnt lgkmcnt(0)
	v_cmp_eq_f64_e32 vcc, 0, v[117:118]
	v_cmp_eq_f64_e64 s[0:1], 0, v[119:120]
	s_and_b64 s[0:1], vcc, s[0:1]
	s_and_saveexec_b64 s[18:19], s[0:1]
	s_xor_b64 s[0:1], exec, s[18:19]
; %bb.738:
	v_cmp_ne_u32_e32 vcc, 0, v95
	v_cndmask_b32_e32 v95, 36, v95, vcc
; %bb.739:
	s_andn2_saveexec_b64 s[0:1], s[0:1]
	s_cbranch_execz .LBB82_745
; %bb.740:
	v_cmp_ngt_f64_e64 s[18:19], |v[117:118]|, |v[119:120]|
	s_and_saveexec_b64 s[20:21], s[18:19]
	s_xor_b64 s[18:19], exec, s[20:21]
	s_cbranch_execz .LBB82_742
; %bb.741:
	v_div_scale_f64 v[98:99], s[20:21], v[119:120], v[119:120], v[117:118]
	v_rcp_f64_e32 v[100:101], v[98:99]
	v_fma_f64 v[102:103], -v[98:99], v[100:101], 1.0
	v_fma_f64 v[100:101], v[100:101], v[102:103], v[100:101]
	v_div_scale_f64 v[102:103], vcc, v[117:118], v[119:120], v[117:118]
	v_fma_f64 v[104:105], -v[98:99], v[100:101], 1.0
	v_fma_f64 v[100:101], v[100:101], v[104:105], v[100:101]
	v_mul_f64 v[104:105], v[102:103], v[100:101]
	v_fma_f64 v[98:99], -v[98:99], v[104:105], v[102:103]
	v_div_fmas_f64 v[98:99], v[98:99], v[100:101], v[104:105]
	v_div_fixup_f64 v[98:99], v[98:99], v[119:120], v[117:118]
	v_fma_f64 v[100:101], v[117:118], v[98:99], v[119:120]
	v_div_scale_f64 v[102:103], s[20:21], v[100:101], v[100:101], 1.0
	v_div_scale_f64 v[108:109], vcc, 1.0, v[100:101], 1.0
	v_rcp_f64_e32 v[104:105], v[102:103]
	v_fma_f64 v[106:107], -v[102:103], v[104:105], 1.0
	v_fma_f64 v[104:105], v[104:105], v[106:107], v[104:105]
	v_fma_f64 v[106:107], -v[102:103], v[104:105], 1.0
	v_fma_f64 v[104:105], v[104:105], v[106:107], v[104:105]
	v_mul_f64 v[106:107], v[108:109], v[104:105]
	v_fma_f64 v[102:103], -v[102:103], v[106:107], v[108:109]
	v_div_fmas_f64 v[102:103], v[102:103], v[104:105], v[106:107]
	v_div_fixup_f64 v[119:120], v[102:103], v[100:101], 1.0
	v_mul_f64 v[117:118], v[98:99], v[119:120]
	v_xor_b32_e32 v120, 0x80000000, v120
.LBB82_742:
	s_andn2_saveexec_b64 s[18:19], s[18:19]
	s_cbranch_execz .LBB82_744
; %bb.743:
	v_div_scale_f64 v[98:99], s[20:21], v[117:118], v[117:118], v[119:120]
	v_rcp_f64_e32 v[100:101], v[98:99]
	v_fma_f64 v[102:103], -v[98:99], v[100:101], 1.0
	v_fma_f64 v[100:101], v[100:101], v[102:103], v[100:101]
	v_div_scale_f64 v[102:103], vcc, v[119:120], v[117:118], v[119:120]
	v_fma_f64 v[104:105], -v[98:99], v[100:101], 1.0
	v_fma_f64 v[100:101], v[100:101], v[104:105], v[100:101]
	v_mul_f64 v[104:105], v[102:103], v[100:101]
	v_fma_f64 v[98:99], -v[98:99], v[104:105], v[102:103]
	v_div_fmas_f64 v[98:99], v[98:99], v[100:101], v[104:105]
	v_div_fixup_f64 v[98:99], v[98:99], v[117:118], v[119:120]
	v_fma_f64 v[100:101], v[119:120], v[98:99], v[117:118]
	v_div_scale_f64 v[102:103], s[20:21], v[100:101], v[100:101], 1.0
	v_div_scale_f64 v[108:109], vcc, 1.0, v[100:101], 1.0
	v_rcp_f64_e32 v[104:105], v[102:103]
	v_fma_f64 v[106:107], -v[102:103], v[104:105], 1.0
	v_fma_f64 v[104:105], v[104:105], v[106:107], v[104:105]
	v_fma_f64 v[106:107], -v[102:103], v[104:105], 1.0
	v_fma_f64 v[104:105], v[104:105], v[106:107], v[104:105]
	v_mul_f64 v[106:107], v[108:109], v[104:105]
	v_fma_f64 v[102:103], -v[102:103], v[106:107], v[108:109]
	v_div_fmas_f64 v[102:103], v[102:103], v[104:105], v[106:107]
	v_div_fixup_f64 v[117:118], v[102:103], v[100:101], 1.0
	v_mul_f64 v[119:120], v[98:99], -v[117:118]
.LBB82_744:
	s_or_b64 exec, exec, s[18:19]
.LBB82_745:
	s_or_b64 exec, exec, s[0:1]
	v_cmp_ne_u32_e32 vcc, v96, v97
	s_and_saveexec_b64 s[0:1], vcc
	s_xor_b64 s[0:1], exec, s[0:1]
	s_cbranch_execz .LBB82_751
; %bb.746:
	v_cmp_eq_u32_e32 vcc, 35, v96
	s_and_saveexec_b64 s[18:19], vcc
	s_cbranch_execz .LBB82_750
; %bb.747:
	v_cmp_ne_u32_e32 vcc, 35, v97
	s_xor_b64 s[20:21], s[6:7], -1
	s_and_b64 s[22:23], s[20:21], vcc
	s_and_saveexec_b64 s[20:21], s[22:23]
	s_cbranch_execz .LBB82_749
; %bb.748:
	v_ashrrev_i32_e32 v98, 31, v97
	v_lshlrev_b64 v[98:99], 2, v[97:98]
	v_add_co_u32_e32 v98, vcc, v91, v98
	v_addc_co_u32_e32 v99, vcc, v92, v99, vcc
	global_load_dword v0, v[98:99], off
	global_load_dword v96, v[91:92], off offset:140
	s_waitcnt vmcnt(1)
	global_store_dword v[91:92], v0, off offset:140
	s_waitcnt vmcnt(1)
	global_store_dword v[98:99], v96, off
.LBB82_749:
	s_or_b64 exec, exec, s[20:21]
	v_mov_b32_e32 v96, v97
	v_mov_b32_e32 v0, v97
.LBB82_750:
	s_or_b64 exec, exec, s[18:19]
.LBB82_751:
	s_andn2_saveexec_b64 s[0:1], s[0:1]
	s_cbranch_execz .LBB82_753
; %bb.752:
	v_mov_b32_e32 v96, 35
	ds_write2_b64 v94, v[17:18], v[19:20] offset0:72 offset1:73
	ds_write2_b64 v94, v[13:14], v[15:16] offset0:74 offset1:75
	ds_write2_b64 v94, v[9:10], v[11:12] offset0:76 offset1:77
	ds_write2_b64 v94, v[5:6], v[7:8] offset0:78 offset1:79
	ds_write2_b64 v94, v[1:2], v[3:4] offset0:80 offset1:81
	ds_write2_b64 v94, v[121:122], v[123:124] offset0:82 offset1:83
.LBB82_753:
	s_or_b64 exec, exec, s[0:1]
	v_cmp_lt_i32_e32 vcc, 35, v96
	s_waitcnt vmcnt(0) lgkmcnt(0)
	s_barrier
	s_and_saveexec_b64 s[0:1], vcc
	s_cbranch_execz .LBB82_755
; %bb.754:
	v_mul_f64 v[97:98], v[117:118], v[23:24]
	v_mul_f64 v[23:24], v[119:120], v[23:24]
	ds_read2_b64 v[99:102], v94 offset0:72 offset1:73
	v_fma_f64 v[97:98], v[119:120], v[21:22], v[97:98]
	v_fma_f64 v[21:22], v[117:118], v[21:22], -v[23:24]
	s_waitcnt lgkmcnt(0)
	v_mul_f64 v[23:24], v[101:102], v[97:98]
	v_fma_f64 v[23:24], v[99:100], v[21:22], -v[23:24]
	v_mul_f64 v[99:100], v[99:100], v[97:98]
	v_add_f64 v[17:18], v[17:18], -v[23:24]
	v_fma_f64 v[99:100], v[101:102], v[21:22], v[99:100]
	v_add_f64 v[19:20], v[19:20], -v[99:100]
	ds_read2_b64 v[99:102], v94 offset0:74 offset1:75
	s_waitcnt lgkmcnt(0)
	v_mul_f64 v[23:24], v[101:102], v[97:98]
	v_fma_f64 v[23:24], v[99:100], v[21:22], -v[23:24]
	v_mul_f64 v[99:100], v[99:100], v[97:98]
	v_add_f64 v[13:14], v[13:14], -v[23:24]
	v_fma_f64 v[99:100], v[101:102], v[21:22], v[99:100]
	v_add_f64 v[15:16], v[15:16], -v[99:100]
	ds_read2_b64 v[99:102], v94 offset0:76 offset1:77
	;; [unrolled: 8-line block ×5, first 2 shown]
	s_waitcnt lgkmcnt(0)
	v_mul_f64 v[23:24], v[101:102], v[97:98]
	v_fma_f64 v[23:24], v[99:100], v[21:22], -v[23:24]
	v_mul_f64 v[99:100], v[99:100], v[97:98]
	v_add_f64 v[121:122], v[121:122], -v[23:24]
	v_fma_f64 v[99:100], v[101:102], v[21:22], v[99:100]
	v_mov_b32_e32 v23, v97
	v_mov_b32_e32 v24, v98
	v_add_f64 v[123:124], v[123:124], -v[99:100]
.LBB82_755:
	s_or_b64 exec, exec, s[0:1]
	v_lshl_add_u32 v97, v96, 4, v94
	s_barrier
	ds_write2_b64 v97, v[17:18], v[19:20] offset1:1
	s_waitcnt lgkmcnt(0)
	s_barrier
	ds_read2_b64 v[117:120], v94 offset0:72 offset1:73
	s_cmp_lt_i32 s3, 38
	v_mov_b32_e32 v97, 36
	s_cbranch_scc1 .LBB82_758
; %bb.756:
	v_add_u32_e32 v98, 0x250, v94
	s_mov_b32 s0, 37
	v_mov_b32_e32 v97, 36
.LBB82_757:                             ; =>This Inner Loop Header: Depth=1
	s_waitcnt lgkmcnt(0)
	v_cmp_gt_f64_e32 vcc, 0, v[117:118]
	v_xor_b32_e32 v103, 0x80000000, v118
	ds_read2_b64 v[99:102], v98 offset1:1
	v_xor_b32_e32 v105, 0x80000000, v120
	v_add_u32_e32 v98, 16, v98
	s_waitcnt lgkmcnt(0)
	v_xor_b32_e32 v107, 0x80000000, v102
	v_cndmask_b32_e32 v104, v118, v103, vcc
	v_cmp_gt_f64_e32 vcc, 0, v[119:120]
	v_mov_b32_e32 v103, v117
	v_cndmask_b32_e32 v106, v120, v105, vcc
	v_cmp_gt_f64_e32 vcc, 0, v[99:100]
	v_mov_b32_e32 v105, v119
	v_add_f64 v[103:104], v[103:104], v[105:106]
	v_xor_b32_e32 v105, 0x80000000, v100
	v_cndmask_b32_e32 v106, v100, v105, vcc
	v_cmp_gt_f64_e32 vcc, 0, v[101:102]
	v_mov_b32_e32 v105, v99
	v_cndmask_b32_e32 v108, v102, v107, vcc
	v_mov_b32_e32 v107, v101
	v_add_f64 v[105:106], v[105:106], v[107:108]
	v_cmp_lt_f64_e32 vcc, v[103:104], v[105:106]
	v_cndmask_b32_e32 v117, v117, v99, vcc
	v_mov_b32_e32 v99, s0
	s_add_i32 s0, s0, 1
	v_cndmask_b32_e32 v118, v118, v100, vcc
	v_cndmask_b32_e32 v120, v120, v102, vcc
	v_cndmask_b32_e32 v119, v119, v101, vcc
	v_cndmask_b32_e32 v97, v97, v99, vcc
	s_cmp_lg_u32 s3, s0
	s_cbranch_scc1 .LBB82_757
.LBB82_758:
	s_waitcnt lgkmcnt(0)
	v_cmp_eq_f64_e32 vcc, 0, v[117:118]
	v_cmp_eq_f64_e64 s[0:1], 0, v[119:120]
	s_and_b64 s[0:1], vcc, s[0:1]
	s_and_saveexec_b64 s[18:19], s[0:1]
	s_xor_b64 s[0:1], exec, s[18:19]
; %bb.759:
	v_cmp_ne_u32_e32 vcc, 0, v95
	v_cndmask_b32_e32 v95, 37, v95, vcc
; %bb.760:
	s_andn2_saveexec_b64 s[0:1], s[0:1]
	s_cbranch_execz .LBB82_766
; %bb.761:
	v_cmp_ngt_f64_e64 s[18:19], |v[117:118]|, |v[119:120]|
	s_and_saveexec_b64 s[20:21], s[18:19]
	s_xor_b64 s[18:19], exec, s[20:21]
	s_cbranch_execz .LBB82_763
; %bb.762:
	v_div_scale_f64 v[98:99], s[20:21], v[119:120], v[119:120], v[117:118]
	v_rcp_f64_e32 v[100:101], v[98:99]
	v_fma_f64 v[102:103], -v[98:99], v[100:101], 1.0
	v_fma_f64 v[100:101], v[100:101], v[102:103], v[100:101]
	v_div_scale_f64 v[102:103], vcc, v[117:118], v[119:120], v[117:118]
	v_fma_f64 v[104:105], -v[98:99], v[100:101], 1.0
	v_fma_f64 v[100:101], v[100:101], v[104:105], v[100:101]
	v_mul_f64 v[104:105], v[102:103], v[100:101]
	v_fma_f64 v[98:99], -v[98:99], v[104:105], v[102:103]
	v_div_fmas_f64 v[98:99], v[98:99], v[100:101], v[104:105]
	v_div_fixup_f64 v[98:99], v[98:99], v[119:120], v[117:118]
	v_fma_f64 v[100:101], v[117:118], v[98:99], v[119:120]
	v_div_scale_f64 v[102:103], s[20:21], v[100:101], v[100:101], 1.0
	v_div_scale_f64 v[108:109], vcc, 1.0, v[100:101], 1.0
	v_rcp_f64_e32 v[104:105], v[102:103]
	v_fma_f64 v[106:107], -v[102:103], v[104:105], 1.0
	v_fma_f64 v[104:105], v[104:105], v[106:107], v[104:105]
	v_fma_f64 v[106:107], -v[102:103], v[104:105], 1.0
	v_fma_f64 v[104:105], v[104:105], v[106:107], v[104:105]
	v_mul_f64 v[106:107], v[108:109], v[104:105]
	v_fma_f64 v[102:103], -v[102:103], v[106:107], v[108:109]
	v_div_fmas_f64 v[102:103], v[102:103], v[104:105], v[106:107]
	v_div_fixup_f64 v[119:120], v[102:103], v[100:101], 1.0
	v_mul_f64 v[117:118], v[98:99], v[119:120]
	v_xor_b32_e32 v120, 0x80000000, v120
.LBB82_763:
	s_andn2_saveexec_b64 s[18:19], s[18:19]
	s_cbranch_execz .LBB82_765
; %bb.764:
	v_div_scale_f64 v[98:99], s[20:21], v[117:118], v[117:118], v[119:120]
	v_rcp_f64_e32 v[100:101], v[98:99]
	v_fma_f64 v[102:103], -v[98:99], v[100:101], 1.0
	v_fma_f64 v[100:101], v[100:101], v[102:103], v[100:101]
	v_div_scale_f64 v[102:103], vcc, v[119:120], v[117:118], v[119:120]
	v_fma_f64 v[104:105], -v[98:99], v[100:101], 1.0
	v_fma_f64 v[100:101], v[100:101], v[104:105], v[100:101]
	v_mul_f64 v[104:105], v[102:103], v[100:101]
	v_fma_f64 v[98:99], -v[98:99], v[104:105], v[102:103]
	v_div_fmas_f64 v[98:99], v[98:99], v[100:101], v[104:105]
	v_div_fixup_f64 v[98:99], v[98:99], v[117:118], v[119:120]
	v_fma_f64 v[100:101], v[119:120], v[98:99], v[117:118]
	v_div_scale_f64 v[102:103], s[20:21], v[100:101], v[100:101], 1.0
	v_div_scale_f64 v[108:109], vcc, 1.0, v[100:101], 1.0
	v_rcp_f64_e32 v[104:105], v[102:103]
	v_fma_f64 v[106:107], -v[102:103], v[104:105], 1.0
	v_fma_f64 v[104:105], v[104:105], v[106:107], v[104:105]
	v_fma_f64 v[106:107], -v[102:103], v[104:105], 1.0
	v_fma_f64 v[104:105], v[104:105], v[106:107], v[104:105]
	v_mul_f64 v[106:107], v[108:109], v[104:105]
	v_fma_f64 v[102:103], -v[102:103], v[106:107], v[108:109]
	v_div_fmas_f64 v[102:103], v[102:103], v[104:105], v[106:107]
	v_div_fixup_f64 v[117:118], v[102:103], v[100:101], 1.0
	v_mul_f64 v[119:120], v[98:99], -v[117:118]
.LBB82_765:
	s_or_b64 exec, exec, s[18:19]
.LBB82_766:
	s_or_b64 exec, exec, s[0:1]
	v_cmp_ne_u32_e32 vcc, v96, v97
	s_and_saveexec_b64 s[0:1], vcc
	s_xor_b64 s[0:1], exec, s[0:1]
	s_cbranch_execz .LBB82_772
; %bb.767:
	v_cmp_eq_u32_e32 vcc, 36, v96
	s_and_saveexec_b64 s[18:19], vcc
	s_cbranch_execz .LBB82_771
; %bb.768:
	v_cmp_ne_u32_e32 vcc, 36, v97
	s_xor_b64 s[20:21], s[6:7], -1
	s_and_b64 s[22:23], s[20:21], vcc
	s_and_saveexec_b64 s[20:21], s[22:23]
	s_cbranch_execz .LBB82_770
; %bb.769:
	v_ashrrev_i32_e32 v98, 31, v97
	v_lshlrev_b64 v[98:99], 2, v[97:98]
	v_add_co_u32_e32 v98, vcc, v91, v98
	v_addc_co_u32_e32 v99, vcc, v92, v99, vcc
	global_load_dword v0, v[98:99], off
	global_load_dword v96, v[91:92], off offset:144
	s_waitcnt vmcnt(1)
	global_store_dword v[91:92], v0, off offset:144
	s_waitcnt vmcnt(1)
	global_store_dword v[98:99], v96, off
.LBB82_770:
	s_or_b64 exec, exec, s[20:21]
	v_mov_b32_e32 v96, v97
	v_mov_b32_e32 v0, v97
.LBB82_771:
	s_or_b64 exec, exec, s[18:19]
.LBB82_772:
	s_andn2_saveexec_b64 s[0:1], s[0:1]
	s_cbranch_execz .LBB82_774
; %bb.773:
	v_mov_b32_e32 v96, 36
	ds_write2_b64 v94, v[13:14], v[15:16] offset0:74 offset1:75
	ds_write2_b64 v94, v[9:10], v[11:12] offset0:76 offset1:77
	;; [unrolled: 1-line block ×5, first 2 shown]
.LBB82_774:
	s_or_b64 exec, exec, s[0:1]
	v_cmp_lt_i32_e32 vcc, 36, v96
	s_waitcnt vmcnt(0) lgkmcnt(0)
	s_barrier
	s_and_saveexec_b64 s[0:1], vcc
	s_cbranch_execz .LBB82_776
; %bb.775:
	v_mul_f64 v[97:98], v[117:118], v[19:20]
	v_mul_f64 v[19:20], v[119:120], v[19:20]
	v_fma_f64 v[101:102], v[119:120], v[17:18], v[97:98]
	ds_read2_b64 v[97:100], v94 offset0:74 offset1:75
	v_fma_f64 v[17:18], v[117:118], v[17:18], -v[19:20]
	s_waitcnt lgkmcnt(0)
	v_mul_f64 v[19:20], v[99:100], v[101:102]
	v_fma_f64 v[19:20], v[97:98], v[17:18], -v[19:20]
	v_mul_f64 v[97:98], v[97:98], v[101:102]
	v_add_f64 v[13:14], v[13:14], -v[19:20]
	v_fma_f64 v[97:98], v[99:100], v[17:18], v[97:98]
	v_add_f64 v[15:16], v[15:16], -v[97:98]
	ds_read2_b64 v[97:100], v94 offset0:76 offset1:77
	s_waitcnt lgkmcnt(0)
	v_mul_f64 v[19:20], v[99:100], v[101:102]
	v_fma_f64 v[19:20], v[97:98], v[17:18], -v[19:20]
	v_mul_f64 v[97:98], v[97:98], v[101:102]
	v_add_f64 v[9:10], v[9:10], -v[19:20]
	v_fma_f64 v[97:98], v[99:100], v[17:18], v[97:98]
	v_add_f64 v[11:12], v[11:12], -v[97:98]
	ds_read2_b64 v[97:100], v94 offset0:78 offset1:79
	;; [unrolled: 8-line block ×4, first 2 shown]
	s_waitcnt lgkmcnt(0)
	v_mul_f64 v[19:20], v[99:100], v[101:102]
	v_fma_f64 v[19:20], v[97:98], v[17:18], -v[19:20]
	v_mul_f64 v[97:98], v[97:98], v[101:102]
	v_add_f64 v[121:122], v[121:122], -v[19:20]
	v_fma_f64 v[97:98], v[99:100], v[17:18], v[97:98]
	v_mov_b32_e32 v19, v101
	v_mov_b32_e32 v20, v102
	v_add_f64 v[123:124], v[123:124], -v[97:98]
.LBB82_776:
	s_or_b64 exec, exec, s[0:1]
	v_lshl_add_u32 v97, v96, 4, v94
	s_barrier
	ds_write2_b64 v97, v[13:14], v[15:16] offset1:1
	s_waitcnt lgkmcnt(0)
	s_barrier
	ds_read2_b64 v[117:120], v94 offset0:74 offset1:75
	s_cmp_lt_i32 s3, 39
	v_mov_b32_e32 v97, 37
	s_cbranch_scc1 .LBB82_779
; %bb.777:
	v_add_u32_e32 v98, 0x260, v94
	s_mov_b32 s0, 38
	v_mov_b32_e32 v97, 37
.LBB82_778:                             ; =>This Inner Loop Header: Depth=1
	s_waitcnt lgkmcnt(0)
	v_cmp_gt_f64_e32 vcc, 0, v[117:118]
	v_xor_b32_e32 v103, 0x80000000, v118
	ds_read2_b64 v[99:102], v98 offset1:1
	v_xor_b32_e32 v105, 0x80000000, v120
	v_add_u32_e32 v98, 16, v98
	s_waitcnt lgkmcnt(0)
	v_xor_b32_e32 v107, 0x80000000, v102
	v_cndmask_b32_e32 v104, v118, v103, vcc
	v_cmp_gt_f64_e32 vcc, 0, v[119:120]
	v_mov_b32_e32 v103, v117
	v_cndmask_b32_e32 v106, v120, v105, vcc
	v_cmp_gt_f64_e32 vcc, 0, v[99:100]
	v_mov_b32_e32 v105, v119
	v_add_f64 v[103:104], v[103:104], v[105:106]
	v_xor_b32_e32 v105, 0x80000000, v100
	v_cndmask_b32_e32 v106, v100, v105, vcc
	v_cmp_gt_f64_e32 vcc, 0, v[101:102]
	v_mov_b32_e32 v105, v99
	v_cndmask_b32_e32 v108, v102, v107, vcc
	v_mov_b32_e32 v107, v101
	v_add_f64 v[105:106], v[105:106], v[107:108]
	v_cmp_lt_f64_e32 vcc, v[103:104], v[105:106]
	v_cndmask_b32_e32 v117, v117, v99, vcc
	v_mov_b32_e32 v99, s0
	s_add_i32 s0, s0, 1
	v_cndmask_b32_e32 v118, v118, v100, vcc
	v_cndmask_b32_e32 v120, v120, v102, vcc
	v_cndmask_b32_e32 v119, v119, v101, vcc
	v_cndmask_b32_e32 v97, v97, v99, vcc
	s_cmp_lg_u32 s3, s0
	s_cbranch_scc1 .LBB82_778
.LBB82_779:
	s_waitcnt lgkmcnt(0)
	v_cmp_eq_f64_e32 vcc, 0, v[117:118]
	v_cmp_eq_f64_e64 s[0:1], 0, v[119:120]
	s_and_b64 s[0:1], vcc, s[0:1]
	s_and_saveexec_b64 s[18:19], s[0:1]
	s_xor_b64 s[0:1], exec, s[18:19]
; %bb.780:
	v_cmp_ne_u32_e32 vcc, 0, v95
	v_cndmask_b32_e32 v95, 38, v95, vcc
; %bb.781:
	s_andn2_saveexec_b64 s[0:1], s[0:1]
	s_cbranch_execz .LBB82_787
; %bb.782:
	v_cmp_ngt_f64_e64 s[18:19], |v[117:118]|, |v[119:120]|
	s_and_saveexec_b64 s[20:21], s[18:19]
	s_xor_b64 s[18:19], exec, s[20:21]
	s_cbranch_execz .LBB82_784
; %bb.783:
	v_div_scale_f64 v[98:99], s[20:21], v[119:120], v[119:120], v[117:118]
	v_rcp_f64_e32 v[100:101], v[98:99]
	v_fma_f64 v[102:103], -v[98:99], v[100:101], 1.0
	v_fma_f64 v[100:101], v[100:101], v[102:103], v[100:101]
	v_div_scale_f64 v[102:103], vcc, v[117:118], v[119:120], v[117:118]
	v_fma_f64 v[104:105], -v[98:99], v[100:101], 1.0
	v_fma_f64 v[100:101], v[100:101], v[104:105], v[100:101]
	v_mul_f64 v[104:105], v[102:103], v[100:101]
	v_fma_f64 v[98:99], -v[98:99], v[104:105], v[102:103]
	v_div_fmas_f64 v[98:99], v[98:99], v[100:101], v[104:105]
	v_div_fixup_f64 v[98:99], v[98:99], v[119:120], v[117:118]
	v_fma_f64 v[100:101], v[117:118], v[98:99], v[119:120]
	v_div_scale_f64 v[102:103], s[20:21], v[100:101], v[100:101], 1.0
	v_div_scale_f64 v[108:109], vcc, 1.0, v[100:101], 1.0
	v_rcp_f64_e32 v[104:105], v[102:103]
	v_fma_f64 v[106:107], -v[102:103], v[104:105], 1.0
	v_fma_f64 v[104:105], v[104:105], v[106:107], v[104:105]
	v_fma_f64 v[106:107], -v[102:103], v[104:105], 1.0
	v_fma_f64 v[104:105], v[104:105], v[106:107], v[104:105]
	v_mul_f64 v[106:107], v[108:109], v[104:105]
	v_fma_f64 v[102:103], -v[102:103], v[106:107], v[108:109]
	v_div_fmas_f64 v[102:103], v[102:103], v[104:105], v[106:107]
	v_div_fixup_f64 v[119:120], v[102:103], v[100:101], 1.0
	v_mul_f64 v[117:118], v[98:99], v[119:120]
	v_xor_b32_e32 v120, 0x80000000, v120
.LBB82_784:
	s_andn2_saveexec_b64 s[18:19], s[18:19]
	s_cbranch_execz .LBB82_786
; %bb.785:
	v_div_scale_f64 v[98:99], s[20:21], v[117:118], v[117:118], v[119:120]
	v_rcp_f64_e32 v[100:101], v[98:99]
	v_fma_f64 v[102:103], -v[98:99], v[100:101], 1.0
	v_fma_f64 v[100:101], v[100:101], v[102:103], v[100:101]
	v_div_scale_f64 v[102:103], vcc, v[119:120], v[117:118], v[119:120]
	v_fma_f64 v[104:105], -v[98:99], v[100:101], 1.0
	v_fma_f64 v[100:101], v[100:101], v[104:105], v[100:101]
	v_mul_f64 v[104:105], v[102:103], v[100:101]
	v_fma_f64 v[98:99], -v[98:99], v[104:105], v[102:103]
	v_div_fmas_f64 v[98:99], v[98:99], v[100:101], v[104:105]
	v_div_fixup_f64 v[98:99], v[98:99], v[117:118], v[119:120]
	v_fma_f64 v[100:101], v[119:120], v[98:99], v[117:118]
	v_div_scale_f64 v[102:103], s[20:21], v[100:101], v[100:101], 1.0
	v_div_scale_f64 v[108:109], vcc, 1.0, v[100:101], 1.0
	v_rcp_f64_e32 v[104:105], v[102:103]
	v_fma_f64 v[106:107], -v[102:103], v[104:105], 1.0
	v_fma_f64 v[104:105], v[104:105], v[106:107], v[104:105]
	v_fma_f64 v[106:107], -v[102:103], v[104:105], 1.0
	v_fma_f64 v[104:105], v[104:105], v[106:107], v[104:105]
	v_mul_f64 v[106:107], v[108:109], v[104:105]
	v_fma_f64 v[102:103], -v[102:103], v[106:107], v[108:109]
	v_div_fmas_f64 v[102:103], v[102:103], v[104:105], v[106:107]
	v_div_fixup_f64 v[117:118], v[102:103], v[100:101], 1.0
	v_mul_f64 v[119:120], v[98:99], -v[117:118]
.LBB82_786:
	s_or_b64 exec, exec, s[18:19]
.LBB82_787:
	s_or_b64 exec, exec, s[0:1]
	v_cmp_ne_u32_e32 vcc, v96, v97
	s_and_saveexec_b64 s[0:1], vcc
	s_xor_b64 s[0:1], exec, s[0:1]
	s_cbranch_execz .LBB82_793
; %bb.788:
	v_cmp_eq_u32_e32 vcc, 37, v96
	s_and_saveexec_b64 s[18:19], vcc
	s_cbranch_execz .LBB82_792
; %bb.789:
	v_cmp_ne_u32_e32 vcc, 37, v97
	s_xor_b64 s[20:21], s[6:7], -1
	s_and_b64 s[22:23], s[20:21], vcc
	s_and_saveexec_b64 s[20:21], s[22:23]
	s_cbranch_execz .LBB82_791
; %bb.790:
	v_ashrrev_i32_e32 v98, 31, v97
	v_lshlrev_b64 v[98:99], 2, v[97:98]
	v_add_co_u32_e32 v98, vcc, v91, v98
	v_addc_co_u32_e32 v99, vcc, v92, v99, vcc
	global_load_dword v0, v[98:99], off
	global_load_dword v96, v[91:92], off offset:148
	s_waitcnt vmcnt(1)
	global_store_dword v[91:92], v0, off offset:148
	s_waitcnt vmcnt(1)
	global_store_dword v[98:99], v96, off
.LBB82_791:
	s_or_b64 exec, exec, s[20:21]
	v_mov_b32_e32 v96, v97
	v_mov_b32_e32 v0, v97
.LBB82_792:
	s_or_b64 exec, exec, s[18:19]
.LBB82_793:
	s_andn2_saveexec_b64 s[0:1], s[0:1]
	s_cbranch_execz .LBB82_795
; %bb.794:
	v_mov_b32_e32 v96, 37
	ds_write2_b64 v94, v[9:10], v[11:12] offset0:76 offset1:77
	ds_write2_b64 v94, v[5:6], v[7:8] offset0:78 offset1:79
	;; [unrolled: 1-line block ×4, first 2 shown]
.LBB82_795:
	s_or_b64 exec, exec, s[0:1]
	v_cmp_lt_i32_e32 vcc, 37, v96
	s_waitcnt vmcnt(0) lgkmcnt(0)
	s_barrier
	s_and_saveexec_b64 s[0:1], vcc
	s_cbranch_execz .LBB82_797
; %bb.796:
	v_mul_f64 v[97:98], v[117:118], v[15:16]
	v_mul_f64 v[15:16], v[119:120], v[15:16]
	v_fma_f64 v[101:102], v[119:120], v[13:14], v[97:98]
	ds_read2_b64 v[97:100], v94 offset0:76 offset1:77
	v_fma_f64 v[13:14], v[117:118], v[13:14], -v[15:16]
	s_waitcnt lgkmcnt(0)
	v_mul_f64 v[15:16], v[99:100], v[101:102]
	v_fma_f64 v[15:16], v[97:98], v[13:14], -v[15:16]
	v_mul_f64 v[97:98], v[97:98], v[101:102]
	v_add_f64 v[9:10], v[9:10], -v[15:16]
	v_fma_f64 v[97:98], v[99:100], v[13:14], v[97:98]
	v_add_f64 v[11:12], v[11:12], -v[97:98]
	ds_read2_b64 v[97:100], v94 offset0:78 offset1:79
	s_waitcnt lgkmcnt(0)
	v_mul_f64 v[15:16], v[99:100], v[101:102]
	v_fma_f64 v[15:16], v[97:98], v[13:14], -v[15:16]
	v_mul_f64 v[97:98], v[97:98], v[101:102]
	v_add_f64 v[5:6], v[5:6], -v[15:16]
	v_fma_f64 v[97:98], v[99:100], v[13:14], v[97:98]
	v_add_f64 v[7:8], v[7:8], -v[97:98]
	ds_read2_b64 v[97:100], v94 offset0:80 offset1:81
	;; [unrolled: 8-line block ×3, first 2 shown]
	s_waitcnt lgkmcnt(0)
	v_mul_f64 v[15:16], v[99:100], v[101:102]
	v_fma_f64 v[15:16], v[97:98], v[13:14], -v[15:16]
	v_mul_f64 v[97:98], v[97:98], v[101:102]
	v_add_f64 v[121:122], v[121:122], -v[15:16]
	v_fma_f64 v[97:98], v[99:100], v[13:14], v[97:98]
	v_mov_b32_e32 v15, v101
	v_mov_b32_e32 v16, v102
	v_add_f64 v[123:124], v[123:124], -v[97:98]
.LBB82_797:
	s_or_b64 exec, exec, s[0:1]
	v_lshl_add_u32 v97, v96, 4, v94
	s_barrier
	ds_write2_b64 v97, v[9:10], v[11:12] offset1:1
	s_waitcnt lgkmcnt(0)
	s_barrier
	ds_read2_b64 v[117:120], v94 offset0:76 offset1:77
	s_cmp_lt_i32 s3, 40
	v_mov_b32_e32 v97, 38
	s_cbranch_scc1 .LBB82_800
; %bb.798:
	v_add_u32_e32 v98, 0x270, v94
	s_mov_b32 s0, 39
	v_mov_b32_e32 v97, 38
.LBB82_799:                             ; =>This Inner Loop Header: Depth=1
	s_waitcnt lgkmcnt(0)
	v_cmp_gt_f64_e32 vcc, 0, v[117:118]
	v_xor_b32_e32 v103, 0x80000000, v118
	ds_read2_b64 v[99:102], v98 offset1:1
	v_xor_b32_e32 v105, 0x80000000, v120
	v_add_u32_e32 v98, 16, v98
	s_waitcnt lgkmcnt(0)
	v_xor_b32_e32 v107, 0x80000000, v102
	v_cndmask_b32_e32 v104, v118, v103, vcc
	v_cmp_gt_f64_e32 vcc, 0, v[119:120]
	v_mov_b32_e32 v103, v117
	v_cndmask_b32_e32 v106, v120, v105, vcc
	v_cmp_gt_f64_e32 vcc, 0, v[99:100]
	v_mov_b32_e32 v105, v119
	v_add_f64 v[103:104], v[103:104], v[105:106]
	v_xor_b32_e32 v105, 0x80000000, v100
	v_cndmask_b32_e32 v106, v100, v105, vcc
	v_cmp_gt_f64_e32 vcc, 0, v[101:102]
	v_mov_b32_e32 v105, v99
	v_cndmask_b32_e32 v108, v102, v107, vcc
	v_mov_b32_e32 v107, v101
	v_add_f64 v[105:106], v[105:106], v[107:108]
	v_cmp_lt_f64_e32 vcc, v[103:104], v[105:106]
	v_cndmask_b32_e32 v117, v117, v99, vcc
	v_mov_b32_e32 v99, s0
	s_add_i32 s0, s0, 1
	v_cndmask_b32_e32 v118, v118, v100, vcc
	v_cndmask_b32_e32 v120, v120, v102, vcc
	;; [unrolled: 1-line block ×4, first 2 shown]
	s_cmp_lg_u32 s3, s0
	s_cbranch_scc1 .LBB82_799
.LBB82_800:
	s_waitcnt lgkmcnt(0)
	v_cmp_eq_f64_e32 vcc, 0, v[117:118]
	v_cmp_eq_f64_e64 s[0:1], 0, v[119:120]
	s_and_b64 s[0:1], vcc, s[0:1]
	s_and_saveexec_b64 s[18:19], s[0:1]
	s_xor_b64 s[0:1], exec, s[18:19]
; %bb.801:
	v_cmp_ne_u32_e32 vcc, 0, v95
	v_cndmask_b32_e32 v95, 39, v95, vcc
; %bb.802:
	s_andn2_saveexec_b64 s[0:1], s[0:1]
	s_cbranch_execz .LBB82_808
; %bb.803:
	v_cmp_ngt_f64_e64 s[18:19], |v[117:118]|, |v[119:120]|
	s_and_saveexec_b64 s[20:21], s[18:19]
	s_xor_b64 s[18:19], exec, s[20:21]
	s_cbranch_execz .LBB82_805
; %bb.804:
	v_div_scale_f64 v[98:99], s[20:21], v[119:120], v[119:120], v[117:118]
	v_rcp_f64_e32 v[100:101], v[98:99]
	v_fma_f64 v[102:103], -v[98:99], v[100:101], 1.0
	v_fma_f64 v[100:101], v[100:101], v[102:103], v[100:101]
	v_div_scale_f64 v[102:103], vcc, v[117:118], v[119:120], v[117:118]
	v_fma_f64 v[104:105], -v[98:99], v[100:101], 1.0
	v_fma_f64 v[100:101], v[100:101], v[104:105], v[100:101]
	v_mul_f64 v[104:105], v[102:103], v[100:101]
	v_fma_f64 v[98:99], -v[98:99], v[104:105], v[102:103]
	v_div_fmas_f64 v[98:99], v[98:99], v[100:101], v[104:105]
	v_div_fixup_f64 v[98:99], v[98:99], v[119:120], v[117:118]
	v_fma_f64 v[100:101], v[117:118], v[98:99], v[119:120]
	v_div_scale_f64 v[102:103], s[20:21], v[100:101], v[100:101], 1.0
	v_div_scale_f64 v[108:109], vcc, 1.0, v[100:101], 1.0
	v_rcp_f64_e32 v[104:105], v[102:103]
	v_fma_f64 v[106:107], -v[102:103], v[104:105], 1.0
	v_fma_f64 v[104:105], v[104:105], v[106:107], v[104:105]
	v_fma_f64 v[106:107], -v[102:103], v[104:105], 1.0
	v_fma_f64 v[104:105], v[104:105], v[106:107], v[104:105]
	v_mul_f64 v[106:107], v[108:109], v[104:105]
	v_fma_f64 v[102:103], -v[102:103], v[106:107], v[108:109]
	v_div_fmas_f64 v[102:103], v[102:103], v[104:105], v[106:107]
	v_div_fixup_f64 v[119:120], v[102:103], v[100:101], 1.0
	v_mul_f64 v[117:118], v[98:99], v[119:120]
	v_xor_b32_e32 v120, 0x80000000, v120
.LBB82_805:
	s_andn2_saveexec_b64 s[18:19], s[18:19]
	s_cbranch_execz .LBB82_807
; %bb.806:
	v_div_scale_f64 v[98:99], s[20:21], v[117:118], v[117:118], v[119:120]
	v_rcp_f64_e32 v[100:101], v[98:99]
	v_fma_f64 v[102:103], -v[98:99], v[100:101], 1.0
	v_fma_f64 v[100:101], v[100:101], v[102:103], v[100:101]
	v_div_scale_f64 v[102:103], vcc, v[119:120], v[117:118], v[119:120]
	v_fma_f64 v[104:105], -v[98:99], v[100:101], 1.0
	v_fma_f64 v[100:101], v[100:101], v[104:105], v[100:101]
	v_mul_f64 v[104:105], v[102:103], v[100:101]
	v_fma_f64 v[98:99], -v[98:99], v[104:105], v[102:103]
	v_div_fmas_f64 v[98:99], v[98:99], v[100:101], v[104:105]
	v_div_fixup_f64 v[98:99], v[98:99], v[117:118], v[119:120]
	v_fma_f64 v[100:101], v[119:120], v[98:99], v[117:118]
	v_div_scale_f64 v[102:103], s[20:21], v[100:101], v[100:101], 1.0
	v_div_scale_f64 v[108:109], vcc, 1.0, v[100:101], 1.0
	v_rcp_f64_e32 v[104:105], v[102:103]
	v_fma_f64 v[106:107], -v[102:103], v[104:105], 1.0
	v_fma_f64 v[104:105], v[104:105], v[106:107], v[104:105]
	v_fma_f64 v[106:107], -v[102:103], v[104:105], 1.0
	v_fma_f64 v[104:105], v[104:105], v[106:107], v[104:105]
	v_mul_f64 v[106:107], v[108:109], v[104:105]
	v_fma_f64 v[102:103], -v[102:103], v[106:107], v[108:109]
	v_div_fmas_f64 v[102:103], v[102:103], v[104:105], v[106:107]
	v_div_fixup_f64 v[117:118], v[102:103], v[100:101], 1.0
	v_mul_f64 v[119:120], v[98:99], -v[117:118]
.LBB82_807:
	s_or_b64 exec, exec, s[18:19]
.LBB82_808:
	s_or_b64 exec, exec, s[0:1]
	v_cmp_ne_u32_e32 vcc, v96, v97
	s_and_saveexec_b64 s[0:1], vcc
	s_xor_b64 s[0:1], exec, s[0:1]
	s_cbranch_execz .LBB82_814
; %bb.809:
	v_cmp_eq_u32_e32 vcc, 38, v96
	s_and_saveexec_b64 s[18:19], vcc
	s_cbranch_execz .LBB82_813
; %bb.810:
	v_cmp_ne_u32_e32 vcc, 38, v97
	s_xor_b64 s[20:21], s[6:7], -1
	s_and_b64 s[22:23], s[20:21], vcc
	s_and_saveexec_b64 s[20:21], s[22:23]
	s_cbranch_execz .LBB82_812
; %bb.811:
	v_ashrrev_i32_e32 v98, 31, v97
	v_lshlrev_b64 v[98:99], 2, v[97:98]
	v_add_co_u32_e32 v98, vcc, v91, v98
	v_addc_co_u32_e32 v99, vcc, v92, v99, vcc
	global_load_dword v0, v[98:99], off
	global_load_dword v96, v[91:92], off offset:152
	s_waitcnt vmcnt(1)
	global_store_dword v[91:92], v0, off offset:152
	s_waitcnt vmcnt(1)
	global_store_dword v[98:99], v96, off
.LBB82_812:
	s_or_b64 exec, exec, s[20:21]
	v_mov_b32_e32 v96, v97
	v_mov_b32_e32 v0, v97
.LBB82_813:
	s_or_b64 exec, exec, s[18:19]
.LBB82_814:
	s_andn2_saveexec_b64 s[0:1], s[0:1]
	s_cbranch_execz .LBB82_816
; %bb.815:
	v_mov_b32_e32 v96, 38
	ds_write2_b64 v94, v[5:6], v[7:8] offset0:78 offset1:79
	ds_write2_b64 v94, v[1:2], v[3:4] offset0:80 offset1:81
	;; [unrolled: 1-line block ×3, first 2 shown]
.LBB82_816:
	s_or_b64 exec, exec, s[0:1]
	v_cmp_lt_i32_e32 vcc, 38, v96
	s_waitcnt vmcnt(0) lgkmcnt(0)
	s_barrier
	s_and_saveexec_b64 s[0:1], vcc
	s_cbranch_execz .LBB82_818
; %bb.817:
	v_mul_f64 v[97:98], v[117:118], v[11:12]
	v_mul_f64 v[11:12], v[119:120], v[11:12]
	v_fma_f64 v[101:102], v[119:120], v[9:10], v[97:98]
	ds_read2_b64 v[97:100], v94 offset0:78 offset1:79
	v_fma_f64 v[9:10], v[117:118], v[9:10], -v[11:12]
	s_waitcnt lgkmcnt(0)
	v_mul_f64 v[11:12], v[99:100], v[101:102]
	v_fma_f64 v[11:12], v[97:98], v[9:10], -v[11:12]
	v_mul_f64 v[97:98], v[97:98], v[101:102]
	v_add_f64 v[5:6], v[5:6], -v[11:12]
	v_fma_f64 v[97:98], v[99:100], v[9:10], v[97:98]
	v_add_f64 v[7:8], v[7:8], -v[97:98]
	ds_read2_b64 v[97:100], v94 offset0:80 offset1:81
	s_waitcnt lgkmcnt(0)
	v_mul_f64 v[11:12], v[99:100], v[101:102]
	v_fma_f64 v[11:12], v[97:98], v[9:10], -v[11:12]
	v_mul_f64 v[97:98], v[97:98], v[101:102]
	v_add_f64 v[1:2], v[1:2], -v[11:12]
	v_fma_f64 v[97:98], v[99:100], v[9:10], v[97:98]
	v_add_f64 v[3:4], v[3:4], -v[97:98]
	ds_read2_b64 v[97:100], v94 offset0:82 offset1:83
	s_waitcnt lgkmcnt(0)
	v_mul_f64 v[11:12], v[99:100], v[101:102]
	v_fma_f64 v[11:12], v[97:98], v[9:10], -v[11:12]
	v_mul_f64 v[97:98], v[97:98], v[101:102]
	v_add_f64 v[121:122], v[121:122], -v[11:12]
	v_fma_f64 v[97:98], v[99:100], v[9:10], v[97:98]
	v_mov_b32_e32 v11, v101
	v_mov_b32_e32 v12, v102
	v_add_f64 v[123:124], v[123:124], -v[97:98]
.LBB82_818:
	s_or_b64 exec, exec, s[0:1]
	v_lshl_add_u32 v97, v96, 4, v94
	s_barrier
	ds_write2_b64 v97, v[5:6], v[7:8] offset1:1
	s_waitcnt lgkmcnt(0)
	s_barrier
	ds_read2_b64 v[117:120], v94 offset0:78 offset1:79
	s_cmp_lt_i32 s3, 41
	v_mov_b32_e32 v97, 39
	s_cbranch_scc1 .LBB82_821
; %bb.819:
	v_add_u32_e32 v98, 0x280, v94
	s_mov_b32 s0, 40
	v_mov_b32_e32 v97, 39
.LBB82_820:                             ; =>This Inner Loop Header: Depth=1
	s_waitcnt lgkmcnt(0)
	v_cmp_gt_f64_e32 vcc, 0, v[117:118]
	v_xor_b32_e32 v103, 0x80000000, v118
	ds_read2_b64 v[99:102], v98 offset1:1
	v_xor_b32_e32 v105, 0x80000000, v120
	v_add_u32_e32 v98, 16, v98
	s_waitcnt lgkmcnt(0)
	v_xor_b32_e32 v107, 0x80000000, v102
	v_cndmask_b32_e32 v104, v118, v103, vcc
	v_cmp_gt_f64_e32 vcc, 0, v[119:120]
	v_mov_b32_e32 v103, v117
	v_cndmask_b32_e32 v106, v120, v105, vcc
	v_cmp_gt_f64_e32 vcc, 0, v[99:100]
	v_mov_b32_e32 v105, v119
	v_add_f64 v[103:104], v[103:104], v[105:106]
	v_xor_b32_e32 v105, 0x80000000, v100
	v_cndmask_b32_e32 v106, v100, v105, vcc
	v_cmp_gt_f64_e32 vcc, 0, v[101:102]
	v_mov_b32_e32 v105, v99
	v_cndmask_b32_e32 v108, v102, v107, vcc
	v_mov_b32_e32 v107, v101
	v_add_f64 v[105:106], v[105:106], v[107:108]
	v_cmp_lt_f64_e32 vcc, v[103:104], v[105:106]
	v_cndmask_b32_e32 v117, v117, v99, vcc
	v_mov_b32_e32 v99, s0
	s_add_i32 s0, s0, 1
	v_cndmask_b32_e32 v118, v118, v100, vcc
	v_cndmask_b32_e32 v120, v120, v102, vcc
	;; [unrolled: 1-line block ×4, first 2 shown]
	s_cmp_lg_u32 s3, s0
	s_cbranch_scc1 .LBB82_820
.LBB82_821:
	s_waitcnt lgkmcnt(0)
	v_cmp_eq_f64_e32 vcc, 0, v[117:118]
	v_cmp_eq_f64_e64 s[0:1], 0, v[119:120]
	s_and_b64 s[0:1], vcc, s[0:1]
	s_and_saveexec_b64 s[18:19], s[0:1]
	s_xor_b64 s[0:1], exec, s[18:19]
; %bb.822:
	v_cmp_ne_u32_e32 vcc, 0, v95
	v_cndmask_b32_e32 v95, 40, v95, vcc
; %bb.823:
	s_andn2_saveexec_b64 s[0:1], s[0:1]
	s_cbranch_execz .LBB82_829
; %bb.824:
	v_cmp_ngt_f64_e64 s[18:19], |v[117:118]|, |v[119:120]|
	s_and_saveexec_b64 s[20:21], s[18:19]
	s_xor_b64 s[18:19], exec, s[20:21]
	s_cbranch_execz .LBB82_826
; %bb.825:
	v_div_scale_f64 v[98:99], s[20:21], v[119:120], v[119:120], v[117:118]
	v_rcp_f64_e32 v[100:101], v[98:99]
	v_fma_f64 v[102:103], -v[98:99], v[100:101], 1.0
	v_fma_f64 v[100:101], v[100:101], v[102:103], v[100:101]
	v_div_scale_f64 v[102:103], vcc, v[117:118], v[119:120], v[117:118]
	v_fma_f64 v[104:105], -v[98:99], v[100:101], 1.0
	v_fma_f64 v[100:101], v[100:101], v[104:105], v[100:101]
	v_mul_f64 v[104:105], v[102:103], v[100:101]
	v_fma_f64 v[98:99], -v[98:99], v[104:105], v[102:103]
	v_div_fmas_f64 v[98:99], v[98:99], v[100:101], v[104:105]
	v_div_fixup_f64 v[98:99], v[98:99], v[119:120], v[117:118]
	v_fma_f64 v[100:101], v[117:118], v[98:99], v[119:120]
	v_div_scale_f64 v[102:103], s[20:21], v[100:101], v[100:101], 1.0
	v_div_scale_f64 v[108:109], vcc, 1.0, v[100:101], 1.0
	v_rcp_f64_e32 v[104:105], v[102:103]
	v_fma_f64 v[106:107], -v[102:103], v[104:105], 1.0
	v_fma_f64 v[104:105], v[104:105], v[106:107], v[104:105]
	v_fma_f64 v[106:107], -v[102:103], v[104:105], 1.0
	v_fma_f64 v[104:105], v[104:105], v[106:107], v[104:105]
	v_mul_f64 v[106:107], v[108:109], v[104:105]
	v_fma_f64 v[102:103], -v[102:103], v[106:107], v[108:109]
	v_div_fmas_f64 v[102:103], v[102:103], v[104:105], v[106:107]
	v_div_fixup_f64 v[119:120], v[102:103], v[100:101], 1.0
	v_mul_f64 v[117:118], v[98:99], v[119:120]
	v_xor_b32_e32 v120, 0x80000000, v120
.LBB82_826:
	s_andn2_saveexec_b64 s[18:19], s[18:19]
	s_cbranch_execz .LBB82_828
; %bb.827:
	v_div_scale_f64 v[98:99], s[20:21], v[117:118], v[117:118], v[119:120]
	v_rcp_f64_e32 v[100:101], v[98:99]
	v_fma_f64 v[102:103], -v[98:99], v[100:101], 1.0
	v_fma_f64 v[100:101], v[100:101], v[102:103], v[100:101]
	v_div_scale_f64 v[102:103], vcc, v[119:120], v[117:118], v[119:120]
	v_fma_f64 v[104:105], -v[98:99], v[100:101], 1.0
	v_fma_f64 v[100:101], v[100:101], v[104:105], v[100:101]
	v_mul_f64 v[104:105], v[102:103], v[100:101]
	v_fma_f64 v[98:99], -v[98:99], v[104:105], v[102:103]
	v_div_fmas_f64 v[98:99], v[98:99], v[100:101], v[104:105]
	v_div_fixup_f64 v[98:99], v[98:99], v[117:118], v[119:120]
	v_fma_f64 v[100:101], v[119:120], v[98:99], v[117:118]
	v_div_scale_f64 v[102:103], s[20:21], v[100:101], v[100:101], 1.0
	v_div_scale_f64 v[108:109], vcc, 1.0, v[100:101], 1.0
	v_rcp_f64_e32 v[104:105], v[102:103]
	v_fma_f64 v[106:107], -v[102:103], v[104:105], 1.0
	v_fma_f64 v[104:105], v[104:105], v[106:107], v[104:105]
	v_fma_f64 v[106:107], -v[102:103], v[104:105], 1.0
	v_fma_f64 v[104:105], v[104:105], v[106:107], v[104:105]
	v_mul_f64 v[106:107], v[108:109], v[104:105]
	v_fma_f64 v[102:103], -v[102:103], v[106:107], v[108:109]
	v_div_fmas_f64 v[102:103], v[102:103], v[104:105], v[106:107]
	v_div_fixup_f64 v[117:118], v[102:103], v[100:101], 1.0
	v_mul_f64 v[119:120], v[98:99], -v[117:118]
.LBB82_828:
	s_or_b64 exec, exec, s[18:19]
.LBB82_829:
	s_or_b64 exec, exec, s[0:1]
	v_cmp_ne_u32_e32 vcc, v96, v97
	s_and_saveexec_b64 s[0:1], vcc
	s_xor_b64 s[0:1], exec, s[0:1]
	s_cbranch_execz .LBB82_835
; %bb.830:
	v_cmp_eq_u32_e32 vcc, 39, v96
	s_and_saveexec_b64 s[18:19], vcc
	s_cbranch_execz .LBB82_834
; %bb.831:
	v_cmp_ne_u32_e32 vcc, 39, v97
	s_xor_b64 s[20:21], s[6:7], -1
	s_and_b64 s[22:23], s[20:21], vcc
	s_and_saveexec_b64 s[20:21], s[22:23]
	s_cbranch_execz .LBB82_833
; %bb.832:
	v_ashrrev_i32_e32 v98, 31, v97
	v_lshlrev_b64 v[98:99], 2, v[97:98]
	v_add_co_u32_e32 v98, vcc, v91, v98
	v_addc_co_u32_e32 v99, vcc, v92, v99, vcc
	global_load_dword v0, v[98:99], off
	global_load_dword v96, v[91:92], off offset:156
	s_waitcnt vmcnt(1)
	global_store_dword v[91:92], v0, off offset:156
	s_waitcnt vmcnt(1)
	global_store_dword v[98:99], v96, off
.LBB82_833:
	s_or_b64 exec, exec, s[20:21]
	v_mov_b32_e32 v96, v97
	v_mov_b32_e32 v0, v97
.LBB82_834:
	s_or_b64 exec, exec, s[18:19]
.LBB82_835:
	s_andn2_saveexec_b64 s[0:1], s[0:1]
	s_cbranch_execz .LBB82_837
; %bb.836:
	v_mov_b32_e32 v96, 39
	ds_write2_b64 v94, v[1:2], v[3:4] offset0:80 offset1:81
	ds_write2_b64 v94, v[121:122], v[123:124] offset0:82 offset1:83
.LBB82_837:
	s_or_b64 exec, exec, s[0:1]
	v_cmp_lt_i32_e32 vcc, 39, v96
	s_waitcnt vmcnt(0) lgkmcnt(0)
	s_barrier
	s_and_saveexec_b64 s[0:1], vcc
	s_cbranch_execz .LBB82_839
; %bb.838:
	v_mul_f64 v[97:98], v[117:118], v[7:8]
	v_mul_f64 v[7:8], v[119:120], v[7:8]
	v_fma_f64 v[101:102], v[119:120], v[5:6], v[97:98]
	ds_read2_b64 v[97:100], v94 offset0:80 offset1:81
	v_fma_f64 v[5:6], v[117:118], v[5:6], -v[7:8]
	s_waitcnt lgkmcnt(0)
	v_mul_f64 v[7:8], v[99:100], v[101:102]
	v_fma_f64 v[7:8], v[97:98], v[5:6], -v[7:8]
	v_mul_f64 v[97:98], v[97:98], v[101:102]
	v_add_f64 v[1:2], v[1:2], -v[7:8]
	v_fma_f64 v[97:98], v[99:100], v[5:6], v[97:98]
	v_add_f64 v[3:4], v[3:4], -v[97:98]
	ds_read2_b64 v[97:100], v94 offset0:82 offset1:83
	s_waitcnt lgkmcnt(0)
	v_mul_f64 v[7:8], v[99:100], v[101:102]
	v_fma_f64 v[7:8], v[97:98], v[5:6], -v[7:8]
	v_mul_f64 v[97:98], v[97:98], v[101:102]
	v_add_f64 v[121:122], v[121:122], -v[7:8]
	v_fma_f64 v[97:98], v[99:100], v[5:6], v[97:98]
	v_mov_b32_e32 v7, v101
	v_mov_b32_e32 v8, v102
	v_add_f64 v[123:124], v[123:124], -v[97:98]
.LBB82_839:
	s_or_b64 exec, exec, s[0:1]
	v_lshl_add_u32 v97, v96, 4, v94
	s_barrier
	ds_write2_b64 v97, v[1:2], v[3:4] offset1:1
	s_waitcnt lgkmcnt(0)
	s_barrier
	ds_read2_b64 v[117:120], v94 offset0:80 offset1:81
	s_cmp_lt_i32 s3, 42
	v_mov_b32_e32 v97, 40
	s_cbranch_scc1 .LBB82_842
; %bb.840:
	v_add_u32_e32 v98, 0x290, v94
	s_mov_b32 s0, 41
	v_mov_b32_e32 v97, 40
.LBB82_841:                             ; =>This Inner Loop Header: Depth=1
	s_waitcnt lgkmcnt(0)
	v_cmp_gt_f64_e32 vcc, 0, v[117:118]
	v_xor_b32_e32 v103, 0x80000000, v118
	ds_read2_b64 v[99:102], v98 offset1:1
	v_xor_b32_e32 v105, 0x80000000, v120
	v_add_u32_e32 v98, 16, v98
	s_waitcnt lgkmcnt(0)
	v_xor_b32_e32 v107, 0x80000000, v102
	v_cndmask_b32_e32 v104, v118, v103, vcc
	v_cmp_gt_f64_e32 vcc, 0, v[119:120]
	v_mov_b32_e32 v103, v117
	v_cndmask_b32_e32 v106, v120, v105, vcc
	v_cmp_gt_f64_e32 vcc, 0, v[99:100]
	v_mov_b32_e32 v105, v119
	v_add_f64 v[103:104], v[103:104], v[105:106]
	v_xor_b32_e32 v105, 0x80000000, v100
	v_cndmask_b32_e32 v106, v100, v105, vcc
	v_cmp_gt_f64_e32 vcc, 0, v[101:102]
	v_mov_b32_e32 v105, v99
	v_cndmask_b32_e32 v108, v102, v107, vcc
	v_mov_b32_e32 v107, v101
	v_add_f64 v[105:106], v[105:106], v[107:108]
	v_cmp_lt_f64_e32 vcc, v[103:104], v[105:106]
	v_cndmask_b32_e32 v117, v117, v99, vcc
	v_mov_b32_e32 v99, s0
	s_add_i32 s0, s0, 1
	v_cndmask_b32_e32 v118, v118, v100, vcc
	v_cndmask_b32_e32 v120, v120, v102, vcc
	;; [unrolled: 1-line block ×4, first 2 shown]
	s_cmp_lg_u32 s3, s0
	s_cbranch_scc1 .LBB82_841
.LBB82_842:
	s_waitcnt lgkmcnt(0)
	v_cmp_eq_f64_e32 vcc, 0, v[117:118]
	v_cmp_eq_f64_e64 s[0:1], 0, v[119:120]
	s_and_b64 s[0:1], vcc, s[0:1]
	s_and_saveexec_b64 s[18:19], s[0:1]
	s_xor_b64 s[0:1], exec, s[18:19]
; %bb.843:
	v_cmp_ne_u32_e32 vcc, 0, v95
	v_cndmask_b32_e32 v95, 41, v95, vcc
; %bb.844:
	s_andn2_saveexec_b64 s[0:1], s[0:1]
	s_cbranch_execz .LBB82_850
; %bb.845:
	v_cmp_ngt_f64_e64 s[18:19], |v[117:118]|, |v[119:120]|
	s_and_saveexec_b64 s[20:21], s[18:19]
	s_xor_b64 s[18:19], exec, s[20:21]
	s_cbranch_execz .LBB82_847
; %bb.846:
	v_div_scale_f64 v[98:99], s[20:21], v[119:120], v[119:120], v[117:118]
	v_rcp_f64_e32 v[100:101], v[98:99]
	v_fma_f64 v[102:103], -v[98:99], v[100:101], 1.0
	v_fma_f64 v[100:101], v[100:101], v[102:103], v[100:101]
	v_div_scale_f64 v[102:103], vcc, v[117:118], v[119:120], v[117:118]
	v_fma_f64 v[104:105], -v[98:99], v[100:101], 1.0
	v_fma_f64 v[100:101], v[100:101], v[104:105], v[100:101]
	v_mul_f64 v[104:105], v[102:103], v[100:101]
	v_fma_f64 v[98:99], -v[98:99], v[104:105], v[102:103]
	v_div_fmas_f64 v[98:99], v[98:99], v[100:101], v[104:105]
	v_div_fixup_f64 v[98:99], v[98:99], v[119:120], v[117:118]
	v_fma_f64 v[100:101], v[117:118], v[98:99], v[119:120]
	v_div_scale_f64 v[102:103], s[20:21], v[100:101], v[100:101], 1.0
	v_div_scale_f64 v[108:109], vcc, 1.0, v[100:101], 1.0
	v_rcp_f64_e32 v[104:105], v[102:103]
	v_fma_f64 v[106:107], -v[102:103], v[104:105], 1.0
	v_fma_f64 v[104:105], v[104:105], v[106:107], v[104:105]
	v_fma_f64 v[106:107], -v[102:103], v[104:105], 1.0
	v_fma_f64 v[104:105], v[104:105], v[106:107], v[104:105]
	v_mul_f64 v[106:107], v[108:109], v[104:105]
	v_fma_f64 v[102:103], -v[102:103], v[106:107], v[108:109]
	v_div_fmas_f64 v[102:103], v[102:103], v[104:105], v[106:107]
	v_div_fixup_f64 v[119:120], v[102:103], v[100:101], 1.0
	v_mul_f64 v[117:118], v[98:99], v[119:120]
	v_xor_b32_e32 v120, 0x80000000, v120
.LBB82_847:
	s_andn2_saveexec_b64 s[18:19], s[18:19]
	s_cbranch_execz .LBB82_849
; %bb.848:
	v_div_scale_f64 v[98:99], s[20:21], v[117:118], v[117:118], v[119:120]
	v_rcp_f64_e32 v[100:101], v[98:99]
	v_fma_f64 v[102:103], -v[98:99], v[100:101], 1.0
	v_fma_f64 v[100:101], v[100:101], v[102:103], v[100:101]
	v_div_scale_f64 v[102:103], vcc, v[119:120], v[117:118], v[119:120]
	v_fma_f64 v[104:105], -v[98:99], v[100:101], 1.0
	v_fma_f64 v[100:101], v[100:101], v[104:105], v[100:101]
	v_mul_f64 v[104:105], v[102:103], v[100:101]
	v_fma_f64 v[98:99], -v[98:99], v[104:105], v[102:103]
	v_div_fmas_f64 v[98:99], v[98:99], v[100:101], v[104:105]
	v_div_fixup_f64 v[98:99], v[98:99], v[117:118], v[119:120]
	v_fma_f64 v[100:101], v[119:120], v[98:99], v[117:118]
	v_div_scale_f64 v[102:103], s[20:21], v[100:101], v[100:101], 1.0
	v_div_scale_f64 v[108:109], vcc, 1.0, v[100:101], 1.0
	v_rcp_f64_e32 v[104:105], v[102:103]
	v_fma_f64 v[106:107], -v[102:103], v[104:105], 1.0
	v_fma_f64 v[104:105], v[104:105], v[106:107], v[104:105]
	v_fma_f64 v[106:107], -v[102:103], v[104:105], 1.0
	v_fma_f64 v[104:105], v[104:105], v[106:107], v[104:105]
	v_mul_f64 v[106:107], v[108:109], v[104:105]
	v_fma_f64 v[102:103], -v[102:103], v[106:107], v[108:109]
	v_div_fmas_f64 v[102:103], v[102:103], v[104:105], v[106:107]
	v_div_fixup_f64 v[117:118], v[102:103], v[100:101], 1.0
	v_mul_f64 v[119:120], v[98:99], -v[117:118]
.LBB82_849:
	s_or_b64 exec, exec, s[18:19]
.LBB82_850:
	s_or_b64 exec, exec, s[0:1]
	v_cmp_ne_u32_e32 vcc, v96, v97
	s_and_saveexec_b64 s[0:1], vcc
	s_xor_b64 s[0:1], exec, s[0:1]
	s_cbranch_execz .LBB82_856
; %bb.851:
	v_cmp_eq_u32_e32 vcc, 40, v96
	s_and_saveexec_b64 s[18:19], vcc
	s_cbranch_execz .LBB82_855
; %bb.852:
	v_cmp_ne_u32_e32 vcc, 40, v97
	s_xor_b64 s[20:21], s[6:7], -1
	s_and_b64 s[22:23], s[20:21], vcc
	s_and_saveexec_b64 s[20:21], s[22:23]
	s_cbranch_execz .LBB82_854
; %bb.853:
	v_ashrrev_i32_e32 v98, 31, v97
	v_lshlrev_b64 v[98:99], 2, v[97:98]
	v_add_co_u32_e32 v98, vcc, v91, v98
	v_addc_co_u32_e32 v99, vcc, v92, v99, vcc
	global_load_dword v0, v[98:99], off
	global_load_dword v96, v[91:92], off offset:160
	s_waitcnt vmcnt(1)
	global_store_dword v[91:92], v0, off offset:160
	s_waitcnt vmcnt(1)
	global_store_dword v[98:99], v96, off
.LBB82_854:
	s_or_b64 exec, exec, s[20:21]
	v_mov_b32_e32 v96, v97
	v_mov_b32_e32 v0, v97
.LBB82_855:
	s_or_b64 exec, exec, s[18:19]
.LBB82_856:
	s_andn2_saveexec_b64 s[0:1], s[0:1]
; %bb.857:
	v_mov_b32_e32 v96, 40
	ds_write2_b64 v94, v[121:122], v[123:124] offset0:82 offset1:83
; %bb.858:
	s_or_b64 exec, exec, s[0:1]
	v_cmp_lt_i32_e32 vcc, 40, v96
	s_waitcnt vmcnt(0) lgkmcnt(0)
	s_barrier
	s_and_saveexec_b64 s[0:1], vcc
	s_cbranch_execz .LBB82_860
; %bb.859:
	v_mul_f64 v[97:98], v[117:118], v[3:4]
	v_mul_f64 v[3:4], v[119:120], v[3:4]
	v_fma_f64 v[101:102], v[119:120], v[1:2], v[97:98]
	ds_read2_b64 v[97:100], v94 offset0:82 offset1:83
	v_fma_f64 v[1:2], v[117:118], v[1:2], -v[3:4]
	s_waitcnt lgkmcnt(0)
	v_mul_f64 v[3:4], v[99:100], v[101:102]
	v_fma_f64 v[3:4], v[97:98], v[1:2], -v[3:4]
	v_mul_f64 v[97:98], v[97:98], v[101:102]
	v_add_f64 v[121:122], v[121:122], -v[3:4]
	v_fma_f64 v[97:98], v[99:100], v[1:2], v[97:98]
	v_mov_b32_e32 v3, v101
	v_mov_b32_e32 v4, v102
	v_add_f64 v[123:124], v[123:124], -v[97:98]
.LBB82_860:
	s_or_b64 exec, exec, s[0:1]
	v_lshl_add_u32 v97, v96, 4, v94
	s_barrier
	ds_write2_b64 v97, v[121:122], v[123:124] offset1:1
	s_waitcnt lgkmcnt(0)
	s_barrier
	ds_read2_b64 v[117:120], v94 offset0:82 offset1:83
	s_cmp_lt_i32 s3, 43
	v_mov_b32_e32 v97, 41
	s_cbranch_scc1 .LBB82_863
; %bb.861:
	v_add_u32_e32 v94, 0x2a0, v94
	s_mov_b32 s0, 42
	v_mov_b32_e32 v97, 41
.LBB82_862:                             ; =>This Inner Loop Header: Depth=1
	s_waitcnt lgkmcnt(0)
	v_cmp_gt_f64_e32 vcc, 0, v[117:118]
	v_xor_b32_e32 v102, 0x80000000, v118
	ds_read2_b64 v[98:101], v94 offset1:1
	v_xor_b32_e32 v104, 0x80000000, v120
	v_add_u32_e32 v94, 16, v94
	s_waitcnt lgkmcnt(0)
	v_xor_b32_e32 v106, 0x80000000, v101
	v_cndmask_b32_e32 v103, v118, v102, vcc
	v_cmp_gt_f64_e32 vcc, 0, v[119:120]
	v_mov_b32_e32 v102, v117
	v_cndmask_b32_e32 v105, v120, v104, vcc
	v_cmp_gt_f64_e32 vcc, 0, v[98:99]
	v_mov_b32_e32 v104, v119
	v_add_f64 v[102:103], v[102:103], v[104:105]
	v_xor_b32_e32 v104, 0x80000000, v99
	v_cndmask_b32_e32 v105, v99, v104, vcc
	v_cmp_gt_f64_e32 vcc, 0, v[100:101]
	v_mov_b32_e32 v104, v98
	v_cndmask_b32_e32 v107, v101, v106, vcc
	v_mov_b32_e32 v106, v100
	v_add_f64 v[104:105], v[104:105], v[106:107]
	v_cmp_lt_f64_e32 vcc, v[102:103], v[104:105]
	v_cndmask_b32_e32 v117, v117, v98, vcc
	v_mov_b32_e32 v98, s0
	s_add_i32 s0, s0, 1
	v_cndmask_b32_e32 v118, v118, v99, vcc
	v_cndmask_b32_e32 v120, v120, v101, vcc
	v_cndmask_b32_e32 v119, v119, v100, vcc
	v_cndmask_b32_e32 v97, v97, v98, vcc
	s_cmp_lg_u32 s3, s0
	s_cbranch_scc1 .LBB82_862
.LBB82_863:
	s_waitcnt lgkmcnt(0)
	v_cmp_eq_f64_e32 vcc, 0, v[117:118]
	v_cmp_eq_f64_e64 s[0:1], 0, v[119:120]
	s_and_b64 s[0:1], vcc, s[0:1]
	s_and_saveexec_b64 s[18:19], s[0:1]
	s_xor_b64 s[0:1], exec, s[18:19]
; %bb.864:
	v_cmp_ne_u32_e32 vcc, 0, v95
	v_cndmask_b32_e32 v95, 42, v95, vcc
; %bb.865:
	s_andn2_saveexec_b64 s[0:1], s[0:1]
	s_cbranch_execz .LBB82_871
; %bb.866:
	v_cmp_ngt_f64_e64 s[18:19], |v[117:118]|, |v[119:120]|
	s_and_saveexec_b64 s[20:21], s[18:19]
	s_xor_b64 s[18:19], exec, s[20:21]
	s_cbranch_execz .LBB82_868
; %bb.867:
	v_div_scale_f64 v[98:99], s[20:21], v[119:120], v[119:120], v[117:118]
	v_rcp_f64_e32 v[100:101], v[98:99]
	v_fma_f64 v[102:103], -v[98:99], v[100:101], 1.0
	v_fma_f64 v[100:101], v[100:101], v[102:103], v[100:101]
	v_div_scale_f64 v[102:103], vcc, v[117:118], v[119:120], v[117:118]
	v_fma_f64 v[104:105], -v[98:99], v[100:101], 1.0
	v_fma_f64 v[100:101], v[100:101], v[104:105], v[100:101]
	v_mul_f64 v[104:105], v[102:103], v[100:101]
	v_fma_f64 v[98:99], -v[98:99], v[104:105], v[102:103]
	v_div_fmas_f64 v[98:99], v[98:99], v[100:101], v[104:105]
	v_div_fixup_f64 v[98:99], v[98:99], v[119:120], v[117:118]
	v_fma_f64 v[100:101], v[117:118], v[98:99], v[119:120]
	v_div_scale_f64 v[102:103], s[20:21], v[100:101], v[100:101], 1.0
	v_div_scale_f64 v[108:109], vcc, 1.0, v[100:101], 1.0
	v_rcp_f64_e32 v[104:105], v[102:103]
	v_fma_f64 v[106:107], -v[102:103], v[104:105], 1.0
	v_fma_f64 v[104:105], v[104:105], v[106:107], v[104:105]
	v_fma_f64 v[106:107], -v[102:103], v[104:105], 1.0
	v_fma_f64 v[104:105], v[104:105], v[106:107], v[104:105]
	v_mul_f64 v[106:107], v[108:109], v[104:105]
	v_fma_f64 v[102:103], -v[102:103], v[106:107], v[108:109]
	v_div_fmas_f64 v[102:103], v[102:103], v[104:105], v[106:107]
	v_div_fixup_f64 v[119:120], v[102:103], v[100:101], 1.0
	v_mul_f64 v[117:118], v[98:99], v[119:120]
	v_xor_b32_e32 v120, 0x80000000, v120
.LBB82_868:
	s_andn2_saveexec_b64 s[18:19], s[18:19]
	s_cbranch_execz .LBB82_870
; %bb.869:
	v_div_scale_f64 v[98:99], s[20:21], v[117:118], v[117:118], v[119:120]
	v_rcp_f64_e32 v[100:101], v[98:99]
	v_fma_f64 v[102:103], -v[98:99], v[100:101], 1.0
	v_fma_f64 v[100:101], v[100:101], v[102:103], v[100:101]
	v_div_scale_f64 v[102:103], vcc, v[119:120], v[117:118], v[119:120]
	v_fma_f64 v[104:105], -v[98:99], v[100:101], 1.0
	v_fma_f64 v[100:101], v[100:101], v[104:105], v[100:101]
	v_mul_f64 v[104:105], v[102:103], v[100:101]
	v_fma_f64 v[98:99], -v[98:99], v[104:105], v[102:103]
	v_div_fmas_f64 v[98:99], v[98:99], v[100:101], v[104:105]
	v_div_fixup_f64 v[98:99], v[98:99], v[117:118], v[119:120]
	v_fma_f64 v[100:101], v[119:120], v[98:99], v[117:118]
	v_div_scale_f64 v[102:103], s[20:21], v[100:101], v[100:101], 1.0
	v_div_scale_f64 v[108:109], vcc, 1.0, v[100:101], 1.0
	v_rcp_f64_e32 v[104:105], v[102:103]
	v_fma_f64 v[106:107], -v[102:103], v[104:105], 1.0
	v_fma_f64 v[104:105], v[104:105], v[106:107], v[104:105]
	v_fma_f64 v[106:107], -v[102:103], v[104:105], 1.0
	v_fma_f64 v[104:105], v[104:105], v[106:107], v[104:105]
	v_mul_f64 v[106:107], v[108:109], v[104:105]
	v_fma_f64 v[102:103], -v[102:103], v[106:107], v[108:109]
	v_div_fmas_f64 v[102:103], v[102:103], v[104:105], v[106:107]
	v_div_fixup_f64 v[117:118], v[102:103], v[100:101], 1.0
	v_mul_f64 v[119:120], v[98:99], -v[117:118]
.LBB82_870:
	s_or_b64 exec, exec, s[18:19]
.LBB82_871:
	s_or_b64 exec, exec, s[0:1]
	v_cmp_ne_u32_e32 vcc, v96, v97
	v_mov_b32_e32 v98, 41
	s_and_saveexec_b64 s[0:1], vcc
	s_cbranch_execz .LBB82_877
; %bb.872:
	v_cmp_eq_u32_e32 vcc, 41, v96
	s_and_saveexec_b64 s[18:19], vcc
	s_cbranch_execz .LBB82_876
; %bb.873:
	v_cmp_ne_u32_e32 vcc, 41, v97
	s_xor_b64 s[6:7], s[6:7], -1
	s_and_b64 s[20:21], s[6:7], vcc
	s_and_saveexec_b64 s[6:7], s[20:21]
	s_cbranch_execz .LBB82_875
; %bb.874:
	v_ashrrev_i32_e32 v98, 31, v97
	v_lshlrev_b64 v[98:99], 2, v[97:98]
	v_add_co_u32_e32 v98, vcc, v91, v98
	v_addc_co_u32_e32 v99, vcc, v92, v99, vcc
	global_load_dword v0, v[98:99], off
	global_load_dword v94, v[91:92], off offset:164
	s_waitcnt vmcnt(1)
	global_store_dword v[91:92], v0, off offset:164
	s_waitcnt vmcnt(1)
	global_store_dword v[98:99], v94, off
.LBB82_875:
	s_or_b64 exec, exec, s[6:7]
	v_mov_b32_e32 v96, v97
	v_mov_b32_e32 v0, v97
.LBB82_876:
	s_or_b64 exec, exec, s[18:19]
	v_mov_b32_e32 v98, v96
.LBB82_877:
	s_or_b64 exec, exec, s[0:1]
	v_cmp_gt_i32_e32 vcc, 42, v98
	v_ashrrev_i32_e32 v99, 31, v98
	s_waitcnt vmcnt(0)
	s_barrier
	s_barrier
	s_and_saveexec_b64 s[0:1], vcc
	s_cbranch_execz .LBB82_879
; %bb.878:
	v_mul_lo_u32 v94, s15, v113
	v_mul_lo_u32 v100, s14, v114
	v_mad_u64_u32 v[96:97], s[6:7], s14, v113, 0
	s_lshl_b64 s[6:7], s[12:13], 2
	v_add3_u32 v0, v0, s17, 1
	v_add3_u32 v97, v97, v100, v94
	v_lshlrev_b64 v[96:97], 2, v[96:97]
	v_mov_b32_e32 v94, s11
	v_add_co_u32_e32 v96, vcc, s10, v96
	v_addc_co_u32_e32 v94, vcc, v94, v97, vcc
	v_mov_b32_e32 v97, s7
	v_add_co_u32_e32 v100, vcc, s6, v96
	v_addc_co_u32_e32 v94, vcc, v94, v97, vcc
	v_lshlrev_b64 v[96:97], 2, v[98:99]
	v_add_co_u32_e32 v96, vcc, v100, v96
	v_addc_co_u32_e32 v97, vcc, v94, v97, vcc
	global_store_dword v[96:97], v0, off
.LBB82_879:
	s_or_b64 exec, exec, s[0:1]
	v_cmp_eq_u32_e32 vcc, 0, v98
	s_and_saveexec_b64 s[6:7], vcc
	s_cbranch_execz .LBB82_882
; %bb.880:
	v_lshlrev_b64 v[96:97], 2, v[113:114]
	v_mov_b32_e32 v0, s5
	v_add_co_u32_e32 v100, vcc, s4, v96
	v_addc_co_u32_e32 v101, vcc, v0, v97, vcc
	global_load_dword v0, v[100:101], off
	v_cmp_ne_u32_e64 s[0:1], 0, v95
	s_waitcnt vmcnt(0)
	v_cmp_eq_u32_e32 vcc, 0, v0
	s_and_b64 s[0:1], vcc, s[0:1]
	s_and_b64 exec, exec, s[0:1]
	s_cbranch_execz .LBB82_882
; %bb.881:
	v_add_u32_e32 v0, s17, v95
	global_store_dword v[100:101], v0, off
.LBB82_882:
	s_or_b64 exec, exec, s[6:7]
	buffer_load_dword v89, off, s[24:27], 0 offset:288 ; 4-byte Folded Reload
	buffer_load_dword v90, off, s[24:27], 0 offset:292 ; 4-byte Folded Reload
	;; [unrolled: 1-line block ×4, first 2 shown]
	v_mul_f64 v[94:95], v[117:118], v[123:124]
	v_mul_f64 v[96:97], v[119:120], v[123:124]
	v_cmp_lt_i32_e32 vcc, 41, v98
	v_mov_b32_e32 v0, s9
	v_fma_f64 v[94:95], v[119:120], v[121:122], v[94:95]
	v_fma_f64 v[96:97], v[117:118], v[121:122], -v[96:97]
	v_cndmask_b32_e32 v120, v124, v95, vcc
	v_cndmask_b32_e32 v119, v123, v94, vcc
	v_lshlrev_b64 v[94:95], 4, v[98:99]
	v_cndmask_b32_e32 v118, v122, v97, vcc
	v_cndmask_b32_e32 v117, v121, v96, vcc
	v_add_co_u32_e32 v94, vcc, v127, v94
	v_addc_co_u32_e32 v95, vcc, v93, v95, vcc
	s_waitcnt vmcnt(0)
	global_store_dwordx4 v[94:95], v[89:92], off
	buffer_load_dword v89, off, s[24:27], 0 offset:272 ; 4-byte Folded Reload
	s_nop 0
	buffer_load_dword v90, off, s[24:27], 0 offset:276 ; 4-byte Folded Reload
	buffer_load_dword v91, off, s[24:27], 0 offset:280 ; 4-byte Folded Reload
	;; [unrolled: 1-line block ×3, first 2 shown]
	v_add_co_u32_e32 v94, vcc, s8, v94
	v_addc_co_u32_e32 v95, vcc, v95, v0, vcc
	s_waitcnt vmcnt(0)
	global_store_dwordx4 v[94:95], v[89:92], off
	buffer_load_dword v89, off, s[24:27], 0 offset:256 ; 4-byte Folded Reload
	s_nop 0
	buffer_load_dword v90, off, s[24:27], 0 offset:260 ; 4-byte Folded Reload
	buffer_load_dword v91, off, s[24:27], 0 offset:264 ; 4-byte Folded Reload
	;; [unrolled: 1-line block ×3, first 2 shown]
	v_add_u32_e32 v94, s16, v98
	v_ashrrev_i32_e32 v95, 31, v94
	v_lshlrev_b64 v[95:96], 4, v[94:95]
	v_add_u32_e32 v94, s2, v94
	v_add_co_u32_e32 v95, vcc, v127, v95
	v_addc_co_u32_e32 v96, vcc, v93, v96, vcc
	s_waitcnt vmcnt(0)
	global_store_dwordx4 v[95:96], v[89:92], off
	buffer_load_dword v89, off, s[24:27], 0 offset:240 ; 4-byte Folded Reload
	s_nop 0
	buffer_load_dword v90, off, s[24:27], 0 offset:244 ; 4-byte Folded Reload
	buffer_load_dword v91, off, s[24:27], 0 offset:248 ; 4-byte Folded Reload
	buffer_load_dword v92, off, s[24:27], 0 offset:252 ; 4-byte Folded Reload
	v_ashrrev_i32_e32 v95, 31, v94
	v_lshlrev_b64 v[95:96], 4, v[94:95]
	v_add_u32_e32 v94, s2, v94
	v_add_co_u32_e32 v95, vcc, v127, v95
	v_addc_co_u32_e32 v96, vcc, v93, v96, vcc
	s_waitcnt vmcnt(0)
	global_store_dwordx4 v[95:96], v[89:92], off
	buffer_load_dword v89, off, s[24:27], 0 offset:224 ; 4-byte Folded Reload
	s_nop 0
	buffer_load_dword v90, off, s[24:27], 0 offset:228 ; 4-byte Folded Reload
	buffer_load_dword v91, off, s[24:27], 0 offset:232 ; 4-byte Folded Reload
	buffer_load_dword v92, off, s[24:27], 0 offset:236 ; 4-byte Folded Reload
	;; [unrolled: 12-line block ×15, first 2 shown]
	v_ashrrev_i32_e32 v95, 31, v94
	v_lshlrev_b64 v[95:96], 4, v[94:95]
	v_add_u32_e32 v94, s2, v94
	v_add_co_u32_e32 v95, vcc, v127, v95
	v_addc_co_u32_e32 v96, vcc, v93, v96, vcc
	s_waitcnt vmcnt(0)
	global_store_dwordx4 v[95:96], v[89:92], off
	buffer_load_dword v89, off, s[24:27], 0 ; 4-byte Folded Reload
	s_nop 0
	buffer_load_dword v90, off, s[24:27], 0 offset:4 ; 4-byte Folded Reload
	buffer_load_dword v91, off, s[24:27], 0 offset:8 ; 4-byte Folded Reload
	;; [unrolled: 1-line block ×3, first 2 shown]
	v_ashrrev_i32_e32 v95, 31, v94
	v_lshlrev_b64 v[95:96], 4, v[94:95]
	v_add_co_u32_e32 v95, vcc, v127, v95
	v_addc_co_u32_e32 v96, vcc, v93, v96, vcc
	s_waitcnt vmcnt(0)
	global_store_dwordx4 v[95:96], v[89:92], off
	s_nop 0
	v_add_u32_e32 v89, s2, v94
	v_ashrrev_i32_e32 v90, 31, v89
	v_lshlrev_b64 v[90:91], 4, v[89:90]
	v_add_co_u32_e32 v90, vcc, v127, v90
	v_addc_co_u32_e32 v91, vcc, v93, v91, vcc
	global_store_dwordx4 v[90:91], v[85:88], off
	s_nop 0
	v_add_u32_e32 v85, s2, v89
	v_ashrrev_i32_e32 v86, 31, v85
	v_lshlrev_b64 v[86:87], 4, v[85:86]
	v_add_co_u32_e32 v86, vcc, v127, v86
	v_addc_co_u32_e32 v87, vcc, v93, v87, vcc
	;; [unrolled: 7-line block ×21, first 2 shown]
	global_store_dwordx4 v[10:11], v[5:8], off
	s_nop 0
	v_add_u32_e32 v5, s2, v9
	v_ashrrev_i32_e32 v6, 31, v5
	v_lshlrev_b64 v[6:7], 4, v[5:6]
	v_add_u32_e32 v0, s2, v5
	v_add_co_u32_e32 v6, vcc, v127, v6
	v_addc_co_u32_e32 v7, vcc, v93, v7, vcc
	global_store_dwordx4 v[6:7], v[1:4], off
	s_nop 0
	v_ashrrev_i32_e32 v1, 31, v0
	v_lshlrev_b64 v[0:1], 4, v[0:1]
	v_add_co_u32_e32 v0, vcc, v127, v0
	v_addc_co_u32_e32 v1, vcc, v93, v1, vcc
	global_store_dwordx4 v[0:1], v[117:120], off
.LBB82_883:
	s_endpgm
	.section	.rodata,"a",@progbits
	.p2align	6, 0x0
	.amdhsa_kernel _ZN9rocsolver6v33100L18getf2_small_kernelILi42E19rocblas_complex_numIdEiiPS3_EEvT1_T3_lS5_lPS5_llPT2_S5_S5_S7_l
		.amdhsa_group_segment_fixed_size 0
		.amdhsa_private_segment_fixed_size 308
		.amdhsa_kernarg_size 352
		.amdhsa_user_sgpr_count 6
		.amdhsa_user_sgpr_private_segment_buffer 1
		.amdhsa_user_sgpr_dispatch_ptr 0
		.amdhsa_user_sgpr_queue_ptr 0
		.amdhsa_user_sgpr_kernarg_segment_ptr 1
		.amdhsa_user_sgpr_dispatch_id 0
		.amdhsa_user_sgpr_flat_scratch_init 0
		.amdhsa_user_sgpr_private_segment_size 0
		.amdhsa_uses_dynamic_stack 0
		.amdhsa_system_sgpr_private_segment_wavefront_offset 1
		.amdhsa_system_sgpr_workgroup_id_x 1
		.amdhsa_system_sgpr_workgroup_id_y 1
		.amdhsa_system_sgpr_workgroup_id_z 0
		.amdhsa_system_sgpr_workgroup_info 0
		.amdhsa_system_vgpr_workitem_id 1
		.amdhsa_next_free_vgpr 128
		.amdhsa_next_free_sgpr 28
		.amdhsa_reserve_vcc 1
		.amdhsa_reserve_flat_scratch 0
		.amdhsa_float_round_mode_32 0
		.amdhsa_float_round_mode_16_64 0
		.amdhsa_float_denorm_mode_32 3
		.amdhsa_float_denorm_mode_16_64 3
		.amdhsa_dx10_clamp 1
		.amdhsa_ieee_mode 1
		.amdhsa_fp16_overflow 0
		.amdhsa_exception_fp_ieee_invalid_op 0
		.amdhsa_exception_fp_denorm_src 0
		.amdhsa_exception_fp_ieee_div_zero 0
		.amdhsa_exception_fp_ieee_overflow 0
		.amdhsa_exception_fp_ieee_underflow 0
		.amdhsa_exception_fp_ieee_inexact 0
		.amdhsa_exception_int_div_zero 0
	.end_amdhsa_kernel
	.section	.text._ZN9rocsolver6v33100L18getf2_small_kernelILi42E19rocblas_complex_numIdEiiPS3_EEvT1_T3_lS5_lPS5_llPT2_S5_S5_S7_l,"axG",@progbits,_ZN9rocsolver6v33100L18getf2_small_kernelILi42E19rocblas_complex_numIdEiiPS3_EEvT1_T3_lS5_lPS5_llPT2_S5_S5_S7_l,comdat
.Lfunc_end82:
	.size	_ZN9rocsolver6v33100L18getf2_small_kernelILi42E19rocblas_complex_numIdEiiPS3_EEvT1_T3_lS5_lPS5_llPT2_S5_S5_S7_l, .Lfunc_end82-_ZN9rocsolver6v33100L18getf2_small_kernelILi42E19rocblas_complex_numIdEiiPS3_EEvT1_T3_lS5_lPS5_llPT2_S5_S5_S7_l
                                        ; -- End function
	.set _ZN9rocsolver6v33100L18getf2_small_kernelILi42E19rocblas_complex_numIdEiiPS3_EEvT1_T3_lS5_lPS5_llPT2_S5_S5_S7_l.num_vgpr, 128
	.set _ZN9rocsolver6v33100L18getf2_small_kernelILi42E19rocblas_complex_numIdEiiPS3_EEvT1_T3_lS5_lPS5_llPT2_S5_S5_S7_l.num_agpr, 0
	.set _ZN9rocsolver6v33100L18getf2_small_kernelILi42E19rocblas_complex_numIdEiiPS3_EEvT1_T3_lS5_lPS5_llPT2_S5_S5_S7_l.numbered_sgpr, 28
	.set _ZN9rocsolver6v33100L18getf2_small_kernelILi42E19rocblas_complex_numIdEiiPS3_EEvT1_T3_lS5_lPS5_llPT2_S5_S5_S7_l.num_named_barrier, 0
	.set _ZN9rocsolver6v33100L18getf2_small_kernelILi42E19rocblas_complex_numIdEiiPS3_EEvT1_T3_lS5_lPS5_llPT2_S5_S5_S7_l.private_seg_size, 308
	.set _ZN9rocsolver6v33100L18getf2_small_kernelILi42E19rocblas_complex_numIdEiiPS3_EEvT1_T3_lS5_lPS5_llPT2_S5_S5_S7_l.uses_vcc, 1
	.set _ZN9rocsolver6v33100L18getf2_small_kernelILi42E19rocblas_complex_numIdEiiPS3_EEvT1_T3_lS5_lPS5_llPT2_S5_S5_S7_l.uses_flat_scratch, 0
	.set _ZN9rocsolver6v33100L18getf2_small_kernelILi42E19rocblas_complex_numIdEiiPS3_EEvT1_T3_lS5_lPS5_llPT2_S5_S5_S7_l.has_dyn_sized_stack, 0
	.set _ZN9rocsolver6v33100L18getf2_small_kernelILi42E19rocblas_complex_numIdEiiPS3_EEvT1_T3_lS5_lPS5_llPT2_S5_S5_S7_l.has_recursion, 0
	.set _ZN9rocsolver6v33100L18getf2_small_kernelILi42E19rocblas_complex_numIdEiiPS3_EEvT1_T3_lS5_lPS5_llPT2_S5_S5_S7_l.has_indirect_call, 0
	.section	.AMDGPU.csdata,"",@progbits
; Kernel info:
; codeLenInByte = 121528
; TotalNumSgprs: 32
; NumVgprs: 128
; ScratchSize: 308
; MemoryBound: 0
; FloatMode: 240
; IeeeMode: 1
; LDSByteSize: 0 bytes/workgroup (compile time only)
; SGPRBlocks: 3
; VGPRBlocks: 31
; NumSGPRsForWavesPerEU: 32
; NumVGPRsForWavesPerEU: 128
; Occupancy: 2
; WaveLimiterHint : 0
; COMPUTE_PGM_RSRC2:SCRATCH_EN: 1
; COMPUTE_PGM_RSRC2:USER_SGPR: 6
; COMPUTE_PGM_RSRC2:TRAP_HANDLER: 0
; COMPUTE_PGM_RSRC2:TGID_X_EN: 1
; COMPUTE_PGM_RSRC2:TGID_Y_EN: 1
; COMPUTE_PGM_RSRC2:TGID_Z_EN: 0
; COMPUTE_PGM_RSRC2:TIDIG_COMP_CNT: 1
	.section	.text._ZN9rocsolver6v33100L23getf2_npvt_small_kernelILi42E19rocblas_complex_numIdEiiPS3_EEvT1_T3_lS5_lPT2_S5_S5_,"axG",@progbits,_ZN9rocsolver6v33100L23getf2_npvt_small_kernelILi42E19rocblas_complex_numIdEiiPS3_EEvT1_T3_lS5_lPT2_S5_S5_,comdat
	.globl	_ZN9rocsolver6v33100L23getf2_npvt_small_kernelILi42E19rocblas_complex_numIdEiiPS3_EEvT1_T3_lS5_lPT2_S5_S5_ ; -- Begin function _ZN9rocsolver6v33100L23getf2_npvt_small_kernelILi42E19rocblas_complex_numIdEiiPS3_EEvT1_T3_lS5_lPT2_S5_S5_
	.p2align	8
	.type	_ZN9rocsolver6v33100L23getf2_npvt_small_kernelILi42E19rocblas_complex_numIdEiiPS3_EEvT1_T3_lS5_lPT2_S5_S5_,@function
_ZN9rocsolver6v33100L23getf2_npvt_small_kernelILi42E19rocblas_complex_numIdEiiPS3_EEvT1_T3_lS5_lPT2_S5_S5_: ; @_ZN9rocsolver6v33100L23getf2_npvt_small_kernelILi42E19rocblas_complex_numIdEiiPS3_EEvT1_T3_lS5_lPT2_S5_S5_
; %bb.0:
	s_mov_b64 s[22:23], s[2:3]
	s_mov_b64 s[20:21], s[0:1]
	s_load_dword s0, s[4:5], 0x44
	s_load_dwordx2 s[12:13], s[4:5], 0x30
	s_add_u32 s20, s20, s8
	s_addc_u32 s21, s21, 0
	s_waitcnt lgkmcnt(0)
	s_lshr_b32 s2, s0, 16
	s_mul_i32 s7, s7, s2
	v_add_u32_e32 v3, s7, v1
	v_mov_b32_e32 v2, v3
	v_cmp_gt_i32_e32 vcc, s12, v3
	s_and_saveexec_b64 s[0:1], vcc
	s_cbranch_execz .LBB83_381
; %bb.1:
	s_load_dwordx4 s[8:11], s[4:5], 0x20
	s_load_dwordx4 s[16:19], s[4:5], 0x8
	v_ashrrev_i32_e32 v3, 31, v2
	s_mulk_i32 s2, 0x2a0
	s_waitcnt lgkmcnt(0)
	v_mul_lo_u32 v4, s9, v2
	v_mul_lo_u32 v5, s8, v3
	buffer_store_dword v2, off, s[20:23], 0 offset:1224 ; 4-byte Folded Spill
	s_nop 0
	buffer_store_dword v3, off, s[20:23], 0 offset:1228 ; 4-byte Folded Spill
	v_mov_b32_e32 v6, s17
	v_mad_u64_u32 v[2:3], s[0:1], s8, v2, 0
	s_load_dword s0, s[4:5], 0x18
	s_lshl_b64 s[4:5], s[18:19], 4
	v_add3_u32 v3, v3, v5, v4
	v_lshlrev_b64 v[2:3], 4, v[2:3]
	v_mov_b32_e32 v4, s5
	v_add_co_u32_e32 v2, vcc, s16, v2
	v_addc_co_u32_e32 v3, vcc, v6, v3, vcc
	v_add_co_u32_e32 v2, vcc, s4, v2
	s_waitcnt lgkmcnt(0)
	s_add_i32 s1, s0, s0
	v_addc_co_u32_e32 v3, vcc, v3, v4, vcc
	v_add_u32_e32 v4, s1, v0
	v_ashrrev_i32_e32 v5, 31, v4
	v_lshlrev_b64 v[5:6], 4, v[4:5]
	v_add_u32_e32 v4, s0, v4
	v_add_co_u32_e32 v91, vcc, v2, v5
	v_ashrrev_i32_e32 v5, 31, v4
	v_addc_co_u32_e32 v92, vcc, v3, v6, vcc
	v_lshlrev_b64 v[5:6], 4, v[4:5]
	v_add_u32_e32 v4, s0, v4
	v_add_co_u32_e32 v7, vcc, v2, v5
	v_ashrrev_i32_e32 v5, 31, v4
	v_addc_co_u32_e32 v8, vcc, v3, v6, vcc
	v_lshlrev_b64 v[5:6], 4, v[4:5]
	v_add_u32_e32 v4, s0, v4
	v_add_co_u32_e32 v57, vcc, v2, v5
	v_ashrrev_i32_e32 v5, 31, v4
	v_addc_co_u32_e32 v58, vcc, v3, v6, vcc
	v_lshlrev_b64 v[5:6], 4, v[4:5]
	v_add_u32_e32 v4, s0, v4
	v_add_co_u32_e32 v9, vcc, v2, v5
	v_ashrrev_i32_e32 v5, 31, v4
	v_addc_co_u32_e32 v10, vcc, v3, v6, vcc
	v_lshlrev_b64 v[5:6], 4, v[4:5]
	v_add_u32_e32 v4, s0, v4
	v_add_co_u32_e32 v11, vcc, v2, v5
	v_ashrrev_i32_e32 v5, 31, v4
	v_addc_co_u32_e32 v12, vcc, v3, v6, vcc
	v_lshlrev_b64 v[5:6], 4, v[4:5]
	v_add_u32_e32 v4, s0, v4
	v_add_co_u32_e32 v13, vcc, v2, v5
	v_ashrrev_i32_e32 v5, 31, v4
	v_addc_co_u32_e32 v14, vcc, v3, v6, vcc
	v_lshlrev_b64 v[5:6], 4, v[4:5]
	v_add_u32_e32 v4, s0, v4
	v_add_co_u32_e32 v15, vcc, v2, v5
	v_ashrrev_i32_e32 v5, 31, v4
	v_addc_co_u32_e32 v16, vcc, v3, v6, vcc
	v_lshlrev_b64 v[5:6], 4, v[4:5]
	v_add_u32_e32 v4, s0, v4
	v_add_co_u32_e32 v17, vcc, v2, v5
	v_ashrrev_i32_e32 v5, 31, v4
	v_addc_co_u32_e32 v18, vcc, v3, v6, vcc
	v_lshlrev_b64 v[5:6], 4, v[4:5]
	v_add_u32_e32 v4, s0, v4
	v_add_co_u32_e32 v19, vcc, v2, v5
	v_ashrrev_i32_e32 v5, 31, v4
	v_addc_co_u32_e32 v20, vcc, v3, v6, vcc
	v_lshlrev_b64 v[5:6], 4, v[4:5]
	v_add_u32_e32 v4, s0, v4
	v_add_co_u32_e32 v21, vcc, v2, v5
	v_ashrrev_i32_e32 v5, 31, v4
	v_addc_co_u32_e32 v22, vcc, v3, v6, vcc
	v_lshlrev_b64 v[5:6], 4, v[4:5]
	v_add_u32_e32 v4, s0, v4
	v_add_co_u32_e32 v23, vcc, v2, v5
	v_ashrrev_i32_e32 v5, 31, v4
	v_addc_co_u32_e32 v24, vcc, v3, v6, vcc
	v_lshlrev_b64 v[5:6], 4, v[4:5]
	v_add_u32_e32 v4, s0, v4
	v_add_co_u32_e32 v25, vcc, v2, v5
	v_ashrrev_i32_e32 v5, 31, v4
	v_addc_co_u32_e32 v26, vcc, v3, v6, vcc
	v_lshlrev_b64 v[5:6], 4, v[4:5]
	v_add_u32_e32 v4, s0, v4
	v_add_co_u32_e32 v27, vcc, v2, v5
	v_ashrrev_i32_e32 v5, 31, v4
	v_addc_co_u32_e32 v28, vcc, v3, v6, vcc
	v_lshlrev_b64 v[5:6], 4, v[4:5]
	v_add_u32_e32 v4, s0, v4
	v_add_co_u32_e32 v29, vcc, v2, v5
	v_ashrrev_i32_e32 v5, 31, v4
	v_addc_co_u32_e32 v30, vcc, v3, v6, vcc
	v_lshlrev_b64 v[5:6], 4, v[4:5]
	v_add_u32_e32 v4, s0, v4
	v_add_co_u32_e32 v31, vcc, v2, v5
	v_ashrrev_i32_e32 v5, 31, v4
	v_addc_co_u32_e32 v32, vcc, v3, v6, vcc
	v_lshlrev_b64 v[5:6], 4, v[4:5]
	v_add_u32_e32 v4, s0, v4
	v_add_co_u32_e32 v33, vcc, v2, v5
	v_ashrrev_i32_e32 v5, 31, v4
	v_addc_co_u32_e32 v34, vcc, v3, v6, vcc
	v_lshlrev_b64 v[5:6], 4, v[4:5]
	v_add_u32_e32 v4, s0, v4
	v_add_co_u32_e32 v35, vcc, v2, v5
	v_ashrrev_i32_e32 v5, 31, v4
	v_addc_co_u32_e32 v36, vcc, v3, v6, vcc
	v_lshlrev_b64 v[5:6], 4, v[4:5]
	v_add_u32_e32 v4, s0, v4
	v_add_co_u32_e32 v37, vcc, v2, v5
	v_ashrrev_i32_e32 v5, 31, v4
	v_addc_co_u32_e32 v38, vcc, v3, v6, vcc
	v_lshlrev_b64 v[5:6], 4, v[4:5]
	v_add_u32_e32 v4, s0, v4
	v_add_co_u32_e32 v39, vcc, v2, v5
	v_ashrrev_i32_e32 v5, 31, v4
	v_addc_co_u32_e32 v40, vcc, v3, v6, vcc
	v_lshlrev_b64 v[5:6], 4, v[4:5]
	v_add_u32_e32 v4, s0, v4
	v_add_co_u32_e32 v41, vcc, v2, v5
	v_ashrrev_i32_e32 v5, 31, v4
	v_addc_co_u32_e32 v42, vcc, v3, v6, vcc
	v_lshlrev_b64 v[5:6], 4, v[4:5]
	v_add_u32_e32 v4, s0, v4
	v_add_co_u32_e32 v43, vcc, v2, v5
	v_ashrrev_i32_e32 v5, 31, v4
	v_addc_co_u32_e32 v44, vcc, v3, v6, vcc
	v_lshlrev_b64 v[5:6], 4, v[4:5]
	v_add_u32_e32 v4, s0, v4
	v_add_co_u32_e32 v51, vcc, v2, v5
	v_ashrrev_i32_e32 v5, 31, v4
	v_addc_co_u32_e32 v52, vcc, v3, v6, vcc
	v_lshlrev_b64 v[5:6], 4, v[4:5]
	v_add_u32_e32 v4, s0, v4
	v_add_co_u32_e32 v53, vcc, v2, v5
	v_ashrrev_i32_e32 v5, 31, v4
	v_addc_co_u32_e32 v54, vcc, v3, v6, vcc
	v_lshlrev_b64 v[5:6], 4, v[4:5]
	v_add_u32_e32 v4, s0, v4
	v_add_co_u32_e32 v55, vcc, v2, v5
	v_ashrrev_i32_e32 v5, 31, v4
	v_addc_co_u32_e32 v56, vcc, v3, v6, vcc
	v_lshlrev_b64 v[5:6], 4, v[4:5]
	v_add_u32_e32 v4, s0, v4
	v_add_co_u32_e32 v45, vcc, v2, v5
	v_ashrrev_i32_e32 v5, 31, v4
	v_addc_co_u32_e32 v46, vcc, v3, v6, vcc
	v_lshlrev_b64 v[5:6], 4, v[4:5]
	v_add_u32_e32 v4, s0, v4
	v_add_co_u32_e32 v47, vcc, v2, v5
	v_ashrrev_i32_e32 v5, 31, v4
	v_addc_co_u32_e32 v48, vcc, v3, v6, vcc
	v_lshlrev_b64 v[5:6], 4, v[4:5]
	v_add_u32_e32 v4, s0, v4
	v_add_co_u32_e32 v49, vcc, v2, v5
	v_ashrrev_i32_e32 v5, 31, v4
	v_addc_co_u32_e32 v50, vcc, v3, v6, vcc
	v_lshlrev_b64 v[5:6], 4, v[4:5]
	v_add_u32_e32 v4, s0, v4
	v_add_co_u32_e32 v81, vcc, v2, v5
	v_ashrrev_i32_e32 v5, 31, v4
	v_addc_co_u32_e32 v82, vcc, v3, v6, vcc
	v_lshlrev_b64 v[5:6], 4, v[4:5]
	v_add_u32_e32 v4, s0, v4
	v_add_co_u32_e32 v89, vcc, v2, v5
	v_ashrrev_i32_e32 v5, 31, v4
	v_addc_co_u32_e32 v90, vcc, v3, v6, vcc
	v_lshlrev_b64 v[5:6], 4, v[4:5]
	v_add_u32_e32 v4, s0, v4
	v_add_co_u32_e32 v93, vcc, v2, v5
	v_ashrrev_i32_e32 v5, 31, v4
	v_addc_co_u32_e32 v94, vcc, v3, v6, vcc
	v_lshlrev_b64 v[5:6], 4, v[4:5]
	v_add_u32_e32 v4, s0, v4
	v_add_co_u32_e32 v95, vcc, v2, v5
	v_ashrrev_i32_e32 v5, 31, v4
	v_addc_co_u32_e32 v96, vcc, v3, v6, vcc
	v_lshlrev_b64 v[5:6], 4, v[4:5]
	v_add_u32_e32 v4, s0, v4
	v_add_co_u32_e32 v97, vcc, v2, v5
	v_ashrrev_i32_e32 v5, 31, v4
	v_addc_co_u32_e32 v98, vcc, v3, v6, vcc
	v_lshlrev_b64 v[5:6], 4, v[4:5]
	v_add_u32_e32 v4, s0, v4
	v_add_co_u32_e32 v99, vcc, v2, v5
	v_ashrrev_i32_e32 v5, 31, v4
	v_addc_co_u32_e32 v100, vcc, v3, v6, vcc
	v_lshlrev_b64 v[5:6], 4, v[4:5]
	v_add_u32_e32 v4, s0, v4
	v_add_co_u32_e32 v101, vcc, v2, v5
	v_ashrrev_i32_e32 v5, 31, v4
	v_addc_co_u32_e32 v102, vcc, v3, v6, vcc
	v_lshlrev_b64 v[5:6], 4, v[4:5]
	v_add_u32_e32 v4, s0, v4
	v_add_co_u32_e32 v103, vcc, v2, v5
	v_ashrrev_i32_e32 v5, 31, v4
	v_addc_co_u32_e32 v104, vcc, v3, v6, vcc
	v_lshlrev_b64 v[5:6], 4, v[4:5]
	v_add_u32_e32 v4, s0, v4
	v_add_co_u32_e32 v105, vcc, v2, v5
	v_ashrrev_i32_e32 v5, 31, v4
	v_addc_co_u32_e32 v106, vcc, v3, v6, vcc
	v_lshlrev_b64 v[5:6], 4, v[4:5]
	v_add_u32_e32 v4, s0, v4
	v_add_co_u32_e32 v107, vcc, v2, v5
	v_ashrrev_i32_e32 v5, 31, v4
	v_addc_co_u32_e32 v108, vcc, v3, v6, vcc
	v_lshlrev_b64 v[5:6], 4, v[4:5]
	v_add_u32_e32 v4, s0, v4
	v_add_co_u32_e32 v109, vcc, v2, v5
	v_ashrrev_i32_e32 v5, 31, v4
	v_addc_co_u32_e32 v110, vcc, v3, v6, vcc
	v_lshlrev_b64 v[5:6], 4, v[4:5]
	v_add_u32_e32 v4, s0, v4
	v_add_co_u32_e32 v111, vcc, v2, v5
	v_ashrrev_i32_e32 v5, 31, v4
	v_lshlrev_b64 v[4:5], 4, v[4:5]
	v_addc_co_u32_e32 v112, vcc, v3, v6, vcc
	v_add_co_u32_e32 v113, vcc, v2, v4
	v_addc_co_u32_e32 v114, vcc, v3, v5, vcc
	v_lshlrev_b32_e32 v4, 4, v0
	v_add_co_u32_e32 v4, vcc, v2, v4
	s_ashr_i32 s1, s0, 31
	v_addc_co_u32_e32 v5, vcc, 0, v3, vcc
	s_lshl_b64 s[0:1], s[0:1], 4
	v_mov_b32_e32 v2, s1
	v_add_co_u32_e32 v59, vcc, s0, v4
	v_addc_co_u32_e32 v60, vcc, v5, v2, vcc
	buffer_store_dword v4, off, s[20:23], 0 offset:664 ; 4-byte Folded Spill
	s_nop 0
	buffer_store_dword v5, off, s[20:23], 0 offset:668 ; 4-byte Folded Spill
	s_movk_i32 s0, 0x2a0
	s_add_i32 s1, s2, 0
	v_mad_u32_u24 v125, v1, s0, 0
	v_lshl_add_u32 v127, v1, 4, s1
	v_cmp_ne_u32_e64 s[2:3], 0, v0
	v_cmp_eq_u32_e64 s[0:1], 0, v0
	global_load_dwordx4 v[1:4], v[4:5], off
	s_waitcnt vmcnt(0)
	buffer_store_dword v1, off, s[20:23], 0 offset:304 ; 4-byte Folded Spill
	s_nop 0
	buffer_store_dword v2, off, s[20:23], 0 offset:308 ; 4-byte Folded Spill
	buffer_store_dword v3, off, s[20:23], 0 offset:312 ; 4-byte Folded Spill
	;; [unrolled: 1-line block ×4, first 2 shown]
	s_nop 0
	buffer_store_dword v60, off, s[20:23], 0 offset:676 ; 4-byte Folded Spill
	global_load_dwordx4 v[1:4], v[59:60], off
	s_waitcnt vmcnt(0)
	buffer_store_dword v1, off, s[20:23], 0 offset:288 ; 4-byte Folded Spill
	s_nop 0
	buffer_store_dword v2, off, s[20:23], 0 offset:292 ; 4-byte Folded Spill
	buffer_store_dword v3, off, s[20:23], 0 offset:296 ; 4-byte Folded Spill
	;; [unrolled: 1-line block ×3, first 2 shown]
	global_load_dwordx4 v[1:4], v[91:92], off
	s_waitcnt vmcnt(0)
	buffer_store_dword v1, off, s[20:23], 0 offset:272 ; 4-byte Folded Spill
	s_nop 0
	buffer_store_dword v2, off, s[20:23], 0 offset:276 ; 4-byte Folded Spill
	buffer_store_dword v3, off, s[20:23], 0 offset:280 ; 4-byte Folded Spill
	buffer_store_dword v4, off, s[20:23], 0 offset:284 ; 4-byte Folded Spill
	buffer_store_dword v7, off, s[20:23], 0 offset:336 ; 4-byte Folded Spill
	s_nop 0
	buffer_store_dword v8, off, s[20:23], 0 offset:340 ; 4-byte Folded Spill
	global_load_dwordx4 v[1:4], v[7:8], off
	s_waitcnt vmcnt(0)
	buffer_store_dword v1, off, s[20:23], 0 offset:256 ; 4-byte Folded Spill
	s_nop 0
	buffer_store_dword v2, off, s[20:23], 0 offset:260 ; 4-byte Folded Spill
	buffer_store_dword v3, off, s[20:23], 0 offset:264 ; 4-byte Folded Spill
	buffer_store_dword v4, off, s[20:23], 0 offset:268 ; 4-byte Folded Spill
	buffer_store_dword v57, off, s[20:23], 0 offset:640 ; 4-byte Folded Spill
	s_nop 0
	buffer_store_dword v58, off, s[20:23], 0 offset:644 ; 4-byte Folded Spill
	;; [unrolled: 10-line block ×14, first 2 shown]
	global_load_dwordx4 v[117:120], v[31:32], off
	s_nop 0
	buffer_store_dword v33, off, s[20:23], 0 offset:440 ; 4-byte Folded Spill
	s_nop 0
	buffer_store_dword v34, off, s[20:23], 0 offset:444 ; 4-byte Folded Spill
	global_load_dwordx4 v[85:88], v[33:34], off
	s_nop 0
	buffer_store_dword v35, off, s[20:23], 0 offset:448 ; 4-byte Folded Spill
	s_nop 0
	buffer_store_dword v36, off, s[20:23], 0 offset:452 ; 4-byte Folded Spill
	global_load_dwordx4 v[1:4], v[35:36], off
	s_waitcnt vmcnt(0)
	buffer_store_dword v1, off, s[20:23], 0 offset:48 ; 4-byte Folded Spill
	s_nop 0
	buffer_store_dword v2, off, s[20:23], 0 offset:52 ; 4-byte Folded Spill
	buffer_store_dword v3, off, s[20:23], 0 offset:56 ; 4-byte Folded Spill
	;; [unrolled: 1-line block ×4, first 2 shown]
	s_nop 0
	buffer_store_dword v38, off, s[20:23], 0 offset:460 ; 4-byte Folded Spill
	global_load_dwordx4 v[77:80], v[37:38], off
	s_nop 0
	buffer_store_dword v39, off, s[20:23], 0 offset:464 ; 4-byte Folded Spill
	s_nop 0
	buffer_store_dword v40, off, s[20:23], 0 offset:468 ; 4-byte Folded Spill
	global_load_dwordx4 v[1:4], v[39:40], off
	s_nop 0
	buffer_store_dword v41, off, s[20:23], 0 offset:472 ; 4-byte Folded Spill
	s_nop 0
	buffer_store_dword v42, off, s[20:23], 0 offset:476 ; 4-byte Folded Spill
	global_load_dwordx4 v[9:12], v[41:42], off
	s_waitcnt vmcnt(0)
	buffer_store_dword v9, off, s[20:23], 0 offset:32 ; 4-byte Folded Spill
	s_nop 0
	buffer_store_dword v10, off, s[20:23], 0 offset:36 ; 4-byte Folded Spill
	buffer_store_dword v11, off, s[20:23], 0 offset:40 ; 4-byte Folded Spill
	;; [unrolled: 1-line block ×4, first 2 shown]
	s_nop 0
	buffer_store_dword v44, off, s[20:23], 0 offset:484 ; 4-byte Folded Spill
	global_load_dwordx4 v[5:8], v[43:44], off
	s_waitcnt vmcnt(0)
	buffer_store_dword v5, off, s[20:23], 0 offset:16 ; 4-byte Folded Spill
	s_nop 0
	buffer_store_dword v6, off, s[20:23], 0 offset:20 ; 4-byte Folded Spill
	buffer_store_dword v7, off, s[20:23], 0 offset:24 ; 4-byte Folded Spill
	buffer_store_dword v8, off, s[20:23], 0 offset:28 ; 4-byte Folded Spill
	buffer_store_dword v51, off, s[20:23], 0 offset:624 ; 4-byte Folded Spill
	s_nop 0
	buffer_store_dword v52, off, s[20:23], 0 offset:628 ; 4-byte Folded Spill
	global_load_dwordx4 v[5:8], v[51:52], off
	s_waitcnt vmcnt(0)
	buffer_store_dword v5, off, s[20:23], 0 ; 4-byte Folded Spill
	s_nop 0
	buffer_store_dword v6, off, s[20:23], 0 offset:4 ; 4-byte Folded Spill
	buffer_store_dword v7, off, s[20:23], 0 offset:8 ; 4-byte Folded Spill
	buffer_store_dword v8, off, s[20:23], 0 offset:12 ; 4-byte Folded Spill
	buffer_store_dword v53, off, s[20:23], 0 offset:616 ; 4-byte Folded Spill
	s_nop 0
	buffer_store_dword v54, off, s[20:23], 0 offset:620 ; 4-byte Folded Spill
	global_load_dwordx4 v[65:68], v[53:54], off
	s_nop 0
	buffer_store_dword v55, off, s[20:23], 0 offset:632 ; 4-byte Folded Spill
	s_nop 0
	buffer_store_dword v56, off, s[20:23], 0 offset:636 ; 4-byte Folded Spill
	global_load_dwordx4 v[61:64], v[55:56], off
	s_nop 0
	buffer_store_dword v45, off, s[20:23], 0 offset:488 ; 4-byte Folded Spill
	;; [unrolled: 5-line block ×9, first 2 shown]
	s_nop 0
	buffer_store_dword v98, off, s[20:23], 0 offset:548 ; 4-byte Folded Spill
	v_mov_b32_e32 v96, v4
	v_mov_b32_e32 v95, v3
	;; [unrolled: 1-line block ×4, first 2 shown]
	global_load_dwordx4 v[29:32], v[97:98], off
	s_nop 0
	buffer_store_dword v99, off, s[20:23], 0 offset:552 ; 4-byte Folded Spill
	s_nop 0
	buffer_store_dword v100, off, s[20:23], 0 offset:556 ; 4-byte Folded Spill
	global_load_dwordx4 v[25:28], v[99:100], off
	s_nop 0
	buffer_store_dword v101, off, s[20:23], 0 offset:560 ; 4-byte Folded Spill
	s_nop 0
	buffer_store_dword v102, off, s[20:23], 0 offset:564 ; 4-byte Folded Spill
	;; [unrolled: 5-line block ×8, first 2 shown]
	global_load_dwordx4 v[121:124], v[113:114], off
	v_mov_b32_e32 v116, v88
	v_mov_b32_e32 v115, v87
	v_mov_b32_e32 v114, v86
	v_mov_b32_e32 v113, v85
	s_and_saveexec_b64 s[6:7], s[0:1]
	s_cbranch_execz .LBB83_8
; %bb.2:
	buffer_load_dword v81, off, s[20:23], 0 offset:304 ; 4-byte Folded Reload
	buffer_load_dword v82, off, s[20:23], 0 offset:308 ; 4-byte Folded Reload
	;; [unrolled: 1-line block ×4, first 2 shown]
	s_waitcnt vmcnt(0)
	ds_write2_b64 v127, v[81:82], v[83:84] offset1:1
	buffer_load_dword v81, off, s[20:23], 0 offset:288 ; 4-byte Folded Reload
	buffer_load_dword v82, off, s[20:23], 0 offset:292 ; 4-byte Folded Reload
	buffer_load_dword v83, off, s[20:23], 0 offset:296 ; 4-byte Folded Reload
	buffer_load_dword v84, off, s[20:23], 0 offset:300 ; 4-byte Folded Reload
	s_waitcnt vmcnt(0)
	ds_write2_b64 v125, v[81:82], v[83:84] offset0:2 offset1:3
	buffer_load_dword v81, off, s[20:23], 0 offset:272 ; 4-byte Folded Reload
	buffer_load_dword v82, off, s[20:23], 0 offset:276 ; 4-byte Folded Reload
	buffer_load_dword v83, off, s[20:23], 0 offset:280 ; 4-byte Folded Reload
	buffer_load_dword v84, off, s[20:23], 0 offset:284 ; 4-byte Folded Reload
	s_waitcnt vmcnt(0)
	ds_write2_b64 v125, v[81:82], v[83:84] offset0:4 offset1:5
	buffer_load_dword v81, off, s[20:23], 0 offset:256 ; 4-byte Folded Reload
	buffer_load_dword v82, off, s[20:23], 0 offset:260 ; 4-byte Folded Reload
	buffer_load_dword v83, off, s[20:23], 0 offset:264 ; 4-byte Folded Reload
	buffer_load_dword v84, off, s[20:23], 0 offset:268 ; 4-byte Folded Reload
	s_waitcnt vmcnt(0)
	ds_write2_b64 v125, v[81:82], v[83:84] offset0:6 offset1:7
	buffer_load_dword v81, off, s[20:23], 0 offset:240 ; 4-byte Folded Reload
	buffer_load_dword v82, off, s[20:23], 0 offset:244 ; 4-byte Folded Reload
	buffer_load_dword v83, off, s[20:23], 0 offset:248 ; 4-byte Folded Reload
	buffer_load_dword v84, off, s[20:23], 0 offset:252 ; 4-byte Folded Reload
	s_waitcnt vmcnt(0)
	ds_write2_b64 v125, v[81:82], v[83:84] offset0:8 offset1:9
	buffer_load_dword v81, off, s[20:23], 0 offset:224 ; 4-byte Folded Reload
	buffer_load_dword v82, off, s[20:23], 0 offset:228 ; 4-byte Folded Reload
	buffer_load_dword v83, off, s[20:23], 0 offset:232 ; 4-byte Folded Reload
	buffer_load_dword v84, off, s[20:23], 0 offset:236 ; 4-byte Folded Reload
	s_waitcnt vmcnt(0)
	ds_write2_b64 v125, v[81:82], v[83:84] offset0:10 offset1:11
	buffer_load_dword v81, off, s[20:23], 0 offset:208 ; 4-byte Folded Reload
	buffer_load_dword v82, off, s[20:23], 0 offset:212 ; 4-byte Folded Reload
	buffer_load_dword v83, off, s[20:23], 0 offset:216 ; 4-byte Folded Reload
	buffer_load_dword v84, off, s[20:23], 0 offset:220 ; 4-byte Folded Reload
	s_waitcnt vmcnt(0)
	ds_write2_b64 v125, v[81:82], v[83:84] offset0:12 offset1:13
	buffer_load_dword v81, off, s[20:23], 0 offset:192 ; 4-byte Folded Reload
	buffer_load_dword v82, off, s[20:23], 0 offset:196 ; 4-byte Folded Reload
	buffer_load_dword v83, off, s[20:23], 0 offset:200 ; 4-byte Folded Reload
	buffer_load_dword v84, off, s[20:23], 0 offset:204 ; 4-byte Folded Reload
	s_waitcnt vmcnt(0)
	ds_write2_b64 v125, v[81:82], v[83:84] offset0:14 offset1:15
	buffer_load_dword v81, off, s[20:23], 0 offset:176 ; 4-byte Folded Reload
	buffer_load_dword v82, off, s[20:23], 0 offset:180 ; 4-byte Folded Reload
	buffer_load_dword v83, off, s[20:23], 0 offset:184 ; 4-byte Folded Reload
	buffer_load_dword v84, off, s[20:23], 0 offset:188 ; 4-byte Folded Reload
	s_waitcnt vmcnt(0)
	ds_write2_b64 v125, v[81:82], v[83:84] offset0:16 offset1:17
	buffer_load_dword v81, off, s[20:23], 0 offset:160 ; 4-byte Folded Reload
	buffer_load_dword v82, off, s[20:23], 0 offset:164 ; 4-byte Folded Reload
	buffer_load_dword v83, off, s[20:23], 0 offset:168 ; 4-byte Folded Reload
	buffer_load_dword v84, off, s[20:23], 0 offset:172 ; 4-byte Folded Reload
	s_waitcnt vmcnt(0)
	ds_write2_b64 v125, v[81:82], v[83:84] offset0:18 offset1:19
	buffer_load_dword v81, off, s[20:23], 0 offset:144 ; 4-byte Folded Reload
	buffer_load_dword v82, off, s[20:23], 0 offset:148 ; 4-byte Folded Reload
	buffer_load_dword v83, off, s[20:23], 0 offset:152 ; 4-byte Folded Reload
	buffer_load_dword v84, off, s[20:23], 0 offset:156 ; 4-byte Folded Reload
	s_waitcnt vmcnt(0)
	ds_write2_b64 v125, v[81:82], v[83:84] offset0:20 offset1:21
	buffer_load_dword v81, off, s[20:23], 0 offset:128 ; 4-byte Folded Reload
	buffer_load_dword v82, off, s[20:23], 0 offset:132 ; 4-byte Folded Reload
	buffer_load_dword v83, off, s[20:23], 0 offset:136 ; 4-byte Folded Reload
	buffer_load_dword v84, off, s[20:23], 0 offset:140 ; 4-byte Folded Reload
	s_waitcnt vmcnt(0)
	ds_write2_b64 v125, v[81:82], v[83:84] offset0:22 offset1:23
	buffer_load_dword v81, off, s[20:23], 0 offset:112 ; 4-byte Folded Reload
	buffer_load_dword v82, off, s[20:23], 0 offset:116 ; 4-byte Folded Reload
	buffer_load_dword v83, off, s[20:23], 0 offset:120 ; 4-byte Folded Reload
	buffer_load_dword v84, off, s[20:23], 0 offset:124 ; 4-byte Folded Reload
	s_waitcnt vmcnt(0)
	ds_write2_b64 v125, v[81:82], v[83:84] offset0:24 offset1:25
	buffer_load_dword v81, off, s[20:23], 0 offset:96 ; 4-byte Folded Reload
	buffer_load_dword v82, off, s[20:23], 0 offset:100 ; 4-byte Folded Reload
	buffer_load_dword v83, off, s[20:23], 0 offset:104 ; 4-byte Folded Reload
	buffer_load_dword v84, off, s[20:23], 0 offset:108 ; 4-byte Folded Reload
	s_waitcnt vmcnt(0)
	ds_write2_b64 v125, v[81:82], v[83:84] offset0:26 offset1:27
	buffer_load_dword v81, off, s[20:23], 0 offset:80 ; 4-byte Folded Reload
	buffer_load_dword v82, off, s[20:23], 0 offset:84 ; 4-byte Folded Reload
	buffer_load_dword v83, off, s[20:23], 0 offset:88 ; 4-byte Folded Reload
	buffer_load_dword v84, off, s[20:23], 0 offset:92 ; 4-byte Folded Reload
	s_waitcnt vmcnt(0)
	ds_write2_b64 v125, v[81:82], v[83:84] offset0:28 offset1:29
	buffer_load_dword v81, off, s[20:23], 0 offset:64 ; 4-byte Folded Reload
	buffer_load_dword v82, off, s[20:23], 0 offset:68 ; 4-byte Folded Reload
	buffer_load_dword v83, off, s[20:23], 0 offset:72 ; 4-byte Folded Reload
	buffer_load_dword v84, off, s[20:23], 0 offset:76 ; 4-byte Folded Reload
	s_waitcnt vmcnt(0)
	ds_write2_b64 v125, v[81:82], v[83:84] offset0:30 offset1:31
	ds_write2_b64 v125, v[117:118], v[119:120] offset0:32 offset1:33
	ds_write2_b64 v125, v[113:114], v[115:116] offset0:34 offset1:35
	buffer_load_dword v81, off, s[20:23], 0 offset:48 ; 4-byte Folded Reload
	buffer_load_dword v82, off, s[20:23], 0 offset:52 ; 4-byte Folded Reload
	;; [unrolled: 1-line block ×4, first 2 shown]
	s_waitcnt vmcnt(0)
	ds_write2_b64 v125, v[81:82], v[83:84] offset0:36 offset1:37
	ds_write2_b64 v125, v[77:78], v[79:80] offset0:38 offset1:39
	;; [unrolled: 1-line block ×3, first 2 shown]
	buffer_load_dword v85, off, s[20:23], 0 offset:32 ; 4-byte Folded Reload
	buffer_load_dword v86, off, s[20:23], 0 offset:36 ; 4-byte Folded Reload
	buffer_load_dword v87, off, s[20:23], 0 offset:40 ; 4-byte Folded Reload
	buffer_load_dword v88, off, s[20:23], 0 offset:44 ; 4-byte Folded Reload
	s_waitcnt vmcnt(0)
	ds_write2_b64 v125, v[85:86], v[87:88] offset0:42 offset1:43
	buffer_load_dword v73, off, s[20:23], 0 offset:16 ; 4-byte Folded Reload
	buffer_load_dword v74, off, s[20:23], 0 offset:20 ; 4-byte Folded Reload
	;; [unrolled: 1-line block ×4, first 2 shown]
	s_waitcnt vmcnt(0)
	ds_write2_b64 v125, v[73:74], v[75:76] offset0:44 offset1:45
	buffer_load_dword v69, off, s[20:23], 0 ; 4-byte Folded Reload
	buffer_load_dword v70, off, s[20:23], 0 offset:4 ; 4-byte Folded Reload
	buffer_load_dword v71, off, s[20:23], 0 offset:8 ; 4-byte Folded Reload
	;; [unrolled: 1-line block ×3, first 2 shown]
	s_waitcnt vmcnt(0)
	ds_write2_b64 v125, v[69:70], v[71:72] offset0:46 offset1:47
	ds_write2_b64 v125, v[65:66], v[67:68] offset0:48 offset1:49
	;; [unrolled: 1-line block ×19, first 2 shown]
	ds_read2_b64 v[97:100], v127 offset1:1
	s_waitcnt lgkmcnt(0)
	v_cmp_neq_f64_e32 vcc, 0, v[97:98]
	v_cmp_neq_f64_e64 s[4:5], 0, v[99:100]
	s_or_b64 s[4:5], vcc, s[4:5]
	s_and_b64 exec, exec, s[4:5]
	s_cbranch_execz .LBB83_8
; %bb.3:
	v_cmp_ngt_f64_e64 s[4:5], |v[97:98]|, |v[99:100]|
                                        ; implicit-def: $vgpr101_vgpr102
	s_and_saveexec_b64 s[8:9], s[4:5]
	s_xor_b64 s[4:5], exec, s[8:9]
                                        ; implicit-def: $vgpr103_vgpr104
	s_cbranch_execz .LBB83_5
; %bb.4:
	v_div_scale_f64 v[101:102], s[8:9], v[99:100], v[99:100], v[97:98]
	v_rcp_f64_e32 v[103:104], v[101:102]
	v_fma_f64 v[105:106], -v[101:102], v[103:104], 1.0
	v_fma_f64 v[103:104], v[103:104], v[105:106], v[103:104]
	v_div_scale_f64 v[105:106], vcc, v[97:98], v[99:100], v[97:98]
	v_fma_f64 v[107:108], -v[101:102], v[103:104], 1.0
	v_fma_f64 v[103:104], v[103:104], v[107:108], v[103:104]
	v_mul_f64 v[107:108], v[105:106], v[103:104]
	v_fma_f64 v[101:102], -v[101:102], v[107:108], v[105:106]
	v_div_fmas_f64 v[101:102], v[101:102], v[103:104], v[107:108]
	v_div_fixup_f64 v[101:102], v[101:102], v[99:100], v[97:98]
	v_fma_f64 v[97:98], v[97:98], v[101:102], v[99:100]
	v_div_scale_f64 v[99:100], s[8:9], v[97:98], v[97:98], 1.0
	v_div_scale_f64 v[107:108], vcc, 1.0, v[97:98], 1.0
	v_rcp_f64_e32 v[103:104], v[99:100]
	v_fma_f64 v[105:106], -v[99:100], v[103:104], 1.0
	v_fma_f64 v[103:104], v[103:104], v[105:106], v[103:104]
	v_fma_f64 v[105:106], -v[99:100], v[103:104], 1.0
	v_fma_f64 v[103:104], v[103:104], v[105:106], v[103:104]
	v_mul_f64 v[105:106], v[107:108], v[103:104]
	v_fma_f64 v[99:100], -v[99:100], v[105:106], v[107:108]
	v_div_fmas_f64 v[99:100], v[99:100], v[103:104], v[105:106]
	v_div_fixup_f64 v[103:104], v[99:100], v[97:98], 1.0
                                        ; implicit-def: $vgpr97_vgpr98
	v_mul_f64 v[101:102], v[101:102], v[103:104]
	v_xor_b32_e32 v104, 0x80000000, v104
.LBB83_5:
	s_andn2_saveexec_b64 s[4:5], s[4:5]
	s_cbranch_execz .LBB83_7
; %bb.6:
	v_div_scale_f64 v[101:102], s[8:9], v[97:98], v[97:98], v[99:100]
	v_rcp_f64_e32 v[103:104], v[101:102]
	v_fma_f64 v[105:106], -v[101:102], v[103:104], 1.0
	v_fma_f64 v[103:104], v[103:104], v[105:106], v[103:104]
	v_div_scale_f64 v[105:106], vcc, v[99:100], v[97:98], v[99:100]
	v_fma_f64 v[107:108], -v[101:102], v[103:104], 1.0
	v_fma_f64 v[103:104], v[103:104], v[107:108], v[103:104]
	v_mul_f64 v[107:108], v[105:106], v[103:104]
	v_fma_f64 v[101:102], -v[101:102], v[107:108], v[105:106]
	v_div_fmas_f64 v[101:102], v[101:102], v[103:104], v[107:108]
	v_div_fixup_f64 v[103:104], v[101:102], v[97:98], v[99:100]
	v_fma_f64 v[97:98], v[99:100], v[103:104], v[97:98]
	v_div_scale_f64 v[99:100], s[8:9], v[97:98], v[97:98], 1.0
	v_div_scale_f64 v[107:108], vcc, 1.0, v[97:98], 1.0
	v_rcp_f64_e32 v[101:102], v[99:100]
	v_fma_f64 v[105:106], -v[99:100], v[101:102], 1.0
	v_fma_f64 v[101:102], v[101:102], v[105:106], v[101:102]
	v_fma_f64 v[105:106], -v[99:100], v[101:102], 1.0
	v_fma_f64 v[101:102], v[101:102], v[105:106], v[101:102]
	v_mul_f64 v[105:106], v[107:108], v[101:102]
	v_fma_f64 v[99:100], -v[99:100], v[105:106], v[107:108]
	v_div_fmas_f64 v[99:100], v[99:100], v[101:102], v[105:106]
	v_div_fixup_f64 v[101:102], v[99:100], v[97:98], 1.0
	v_mul_f64 v[103:104], v[103:104], -v[101:102]
.LBB83_7:
	s_or_b64 exec, exec, s[4:5]
	ds_write2_b64 v127, v[101:102], v[103:104] offset1:1
.LBB83_8:
	s_or_b64 exec, exec, s[6:7]
	s_waitcnt vmcnt(0) lgkmcnt(0)
	s_barrier
	ds_read2_b64 v[81:84], v127 offset1:1
	s_waitcnt lgkmcnt(0)
	buffer_store_dword v81, off, s[20:23], 0 offset:680 ; 4-byte Folded Spill
	s_nop 0
	buffer_store_dword v82, off, s[20:23], 0 offset:684 ; 4-byte Folded Spill
	buffer_store_dword v83, off, s[20:23], 0 offset:688 ; 4-byte Folded Spill
	buffer_store_dword v84, off, s[20:23], 0 offset:692 ; 4-byte Folded Spill
	s_and_saveexec_b64 s[4:5], s[2:3]
	s_cbranch_execz .LBB83_10
; %bb.9:
	buffer_load_dword v87, off, s[20:23], 0 offset:304 ; 4-byte Folded Reload
	buffer_load_dword v88, off, s[20:23], 0 offset:308 ; 4-byte Folded Reload
	;; [unrolled: 1-line block ×8, first 2 shown]
	s_waitcnt vmcnt(2)
	v_mul_f64 v[99:100], v[81:82], v[89:90]
	s_waitcnt vmcnt(0)
	v_mul_f64 v[97:98], v[83:84], v[89:90]
	v_fma_f64 v[89:90], v[83:84], v[87:88], v[99:100]
	ds_read2_b64 v[99:102], v125 offset0:2 offset1:3
	v_fma_f64 v[97:98], v[81:82], v[87:88], -v[97:98]
	buffer_load_dword v81, off, s[20:23], 0 offset:288 ; 4-byte Folded Reload
	buffer_load_dword v82, off, s[20:23], 0 offset:292 ; 4-byte Folded Reload
	buffer_load_dword v83, off, s[20:23], 0 offset:296 ; 4-byte Folded Reload
	buffer_load_dword v84, off, s[20:23], 0 offset:300 ; 4-byte Folded Reload
	s_waitcnt lgkmcnt(0)
	v_mul_f64 v[103:104], v[101:102], v[89:90]
	v_fma_f64 v[103:104], v[99:100], v[97:98], -v[103:104]
	v_mul_f64 v[99:100], v[99:100], v[89:90]
	v_fma_f64 v[99:100], v[101:102], v[97:98], v[99:100]
	s_waitcnt vmcnt(2)
	v_add_f64 v[81:82], v[81:82], -v[103:104]
	s_waitcnt vmcnt(0)
	v_add_f64 v[83:84], v[83:84], -v[99:100]
	buffer_store_dword v81, off, s[20:23], 0 offset:288 ; 4-byte Folded Spill
	s_nop 0
	buffer_store_dword v82, off, s[20:23], 0 offset:292 ; 4-byte Folded Spill
	buffer_store_dword v83, off, s[20:23], 0 offset:296 ; 4-byte Folded Spill
	buffer_store_dword v84, off, s[20:23], 0 offset:300 ; 4-byte Folded Spill
	ds_read2_b64 v[99:102], v125 offset0:4 offset1:5
	buffer_load_dword v81, off, s[20:23], 0 offset:272 ; 4-byte Folded Reload
	buffer_load_dword v82, off, s[20:23], 0 offset:276 ; 4-byte Folded Reload
	buffer_load_dword v83, off, s[20:23], 0 offset:280 ; 4-byte Folded Reload
	buffer_load_dword v84, off, s[20:23], 0 offset:284 ; 4-byte Folded Reload
	s_waitcnt lgkmcnt(0)
	v_mul_f64 v[103:104], v[101:102], v[89:90]
	v_fma_f64 v[103:104], v[99:100], v[97:98], -v[103:104]
	v_mul_f64 v[99:100], v[99:100], v[89:90]
	v_fma_f64 v[99:100], v[101:102], v[97:98], v[99:100]
	s_waitcnt vmcnt(2)
	v_add_f64 v[81:82], v[81:82], -v[103:104]
	s_waitcnt vmcnt(0)
	v_add_f64 v[83:84], v[83:84], -v[99:100]
	buffer_store_dword v81, off, s[20:23], 0 offset:272 ; 4-byte Folded Spill
	s_nop 0
	buffer_store_dword v82, off, s[20:23], 0 offset:276 ; 4-byte Folded Spill
	buffer_store_dword v83, off, s[20:23], 0 offset:280 ; 4-byte Folded Spill
	buffer_store_dword v84, off, s[20:23], 0 offset:284 ; 4-byte Folded Spill
	ds_read2_b64 v[99:102], v125 offset0:6 offset1:7
	;; [unrolled: 19-line block ×15, first 2 shown]
	s_waitcnt lgkmcnt(0)
	v_mul_f64 v[103:104], v[101:102], v[89:90]
	v_fma_f64 v[103:104], v[99:100], v[97:98], -v[103:104]
	v_mul_f64 v[99:100], v[99:100], v[89:90]
	v_add_f64 v[117:118], v[117:118], -v[103:104]
	v_fma_f64 v[99:100], v[101:102], v[97:98], v[99:100]
	v_add_f64 v[119:120], v[119:120], -v[99:100]
	ds_read2_b64 v[99:102], v125 offset0:34 offset1:35
	s_waitcnt lgkmcnt(0)
	v_mul_f64 v[103:104], v[101:102], v[89:90]
	v_fma_f64 v[103:104], v[99:100], v[97:98], -v[103:104]
	v_mul_f64 v[99:100], v[99:100], v[89:90]
	v_add_f64 v[113:114], v[113:114], -v[103:104]
	v_fma_f64 v[99:100], v[101:102], v[97:98], v[99:100]
	v_add_f64 v[115:116], v[115:116], -v[99:100]
	ds_read2_b64 v[99:102], v125 offset0:36 offset1:37
	buffer_load_dword v81, off, s[20:23], 0 offset:48 ; 4-byte Folded Reload
	buffer_load_dword v82, off, s[20:23], 0 offset:52 ; 4-byte Folded Reload
	;; [unrolled: 1-line block ×4, first 2 shown]
	s_waitcnt lgkmcnt(0)
	v_mul_f64 v[103:104], v[101:102], v[89:90]
	v_fma_f64 v[103:104], v[99:100], v[97:98], -v[103:104]
	v_mul_f64 v[99:100], v[99:100], v[89:90]
	v_fma_f64 v[99:100], v[101:102], v[97:98], v[99:100]
	s_waitcnt vmcnt(2)
	v_add_f64 v[81:82], v[81:82], -v[103:104]
	s_waitcnt vmcnt(0)
	v_add_f64 v[83:84], v[83:84], -v[99:100]
	buffer_store_dword v81, off, s[20:23], 0 offset:48 ; 4-byte Folded Spill
	s_nop 0
	buffer_store_dword v82, off, s[20:23], 0 offset:52 ; 4-byte Folded Spill
	buffer_store_dword v83, off, s[20:23], 0 offset:56 ; 4-byte Folded Spill
	;; [unrolled: 1-line block ×3, first 2 shown]
	ds_read2_b64 v[99:102], v125 offset0:38 offset1:39
	s_waitcnt lgkmcnt(0)
	v_mul_f64 v[103:104], v[101:102], v[89:90]
	v_fma_f64 v[103:104], v[99:100], v[97:98], -v[103:104]
	v_mul_f64 v[99:100], v[99:100], v[89:90]
	v_add_f64 v[77:78], v[77:78], -v[103:104]
	v_fma_f64 v[99:100], v[101:102], v[97:98], v[99:100]
	v_add_f64 v[79:80], v[79:80], -v[99:100]
	ds_read2_b64 v[99:102], v125 offset0:40 offset1:41
	s_waitcnt lgkmcnt(0)
	v_mul_f64 v[103:104], v[101:102], v[89:90]
	v_fma_f64 v[103:104], v[99:100], v[97:98], -v[103:104]
	v_mul_f64 v[99:100], v[99:100], v[89:90]
	v_add_f64 v[93:94], v[93:94], -v[103:104]
	v_fma_f64 v[99:100], v[101:102], v[97:98], v[99:100]
	v_add_f64 v[95:96], v[95:96], -v[99:100]
	ds_read2_b64 v[99:102], v125 offset0:42 offset1:43
	buffer_load_dword v85, off, s[20:23], 0 offset:32 ; 4-byte Folded Reload
	buffer_load_dword v86, off, s[20:23], 0 offset:36 ; 4-byte Folded Reload
	;; [unrolled: 1-line block ×4, first 2 shown]
	s_waitcnt lgkmcnt(0)
	v_mul_f64 v[103:104], v[101:102], v[89:90]
	v_fma_f64 v[103:104], v[99:100], v[97:98], -v[103:104]
	v_mul_f64 v[99:100], v[99:100], v[89:90]
	v_fma_f64 v[99:100], v[101:102], v[97:98], v[99:100]
	s_waitcnt vmcnt(2)
	v_add_f64 v[85:86], v[85:86], -v[103:104]
	s_waitcnt vmcnt(0)
	v_add_f64 v[87:88], v[87:88], -v[99:100]
	buffer_store_dword v85, off, s[20:23], 0 offset:32 ; 4-byte Folded Spill
	s_nop 0
	buffer_store_dword v86, off, s[20:23], 0 offset:36 ; 4-byte Folded Spill
	buffer_store_dword v87, off, s[20:23], 0 offset:40 ; 4-byte Folded Spill
	;; [unrolled: 1-line block ×3, first 2 shown]
	ds_read2_b64 v[99:102], v125 offset0:44 offset1:45
	buffer_load_dword v73, off, s[20:23], 0 offset:16 ; 4-byte Folded Reload
	buffer_load_dword v74, off, s[20:23], 0 offset:20 ; 4-byte Folded Reload
	;; [unrolled: 1-line block ×4, first 2 shown]
	v_mov_b32_e32 v87, v97
	v_mov_b32_e32 v88, v98
	s_waitcnt lgkmcnt(0)
	v_mul_f64 v[103:104], v[101:102], v[89:90]
	v_fma_f64 v[103:104], v[99:100], v[97:98], -v[103:104]
	v_mul_f64 v[99:100], v[99:100], v[89:90]
	v_fma_f64 v[99:100], v[101:102], v[97:98], v[99:100]
	s_waitcnt vmcnt(2)
	v_add_f64 v[73:74], v[73:74], -v[103:104]
	s_waitcnt vmcnt(0)
	v_add_f64 v[75:76], v[75:76], -v[99:100]
	buffer_store_dword v73, off, s[20:23], 0 offset:16 ; 4-byte Folded Spill
	s_nop 0
	buffer_store_dword v74, off, s[20:23], 0 offset:20 ; 4-byte Folded Spill
	buffer_store_dword v75, off, s[20:23], 0 offset:24 ; 4-byte Folded Spill
	;; [unrolled: 1-line block ×3, first 2 shown]
	ds_read2_b64 v[99:102], v125 offset0:46 offset1:47
	buffer_load_dword v69, off, s[20:23], 0 ; 4-byte Folded Reload
	buffer_load_dword v70, off, s[20:23], 0 offset:4 ; 4-byte Folded Reload
	buffer_load_dword v71, off, s[20:23], 0 offset:8 ; 4-byte Folded Reload
	;; [unrolled: 1-line block ×3, first 2 shown]
	s_waitcnt lgkmcnt(0)
	v_mul_f64 v[103:104], v[101:102], v[89:90]
	v_fma_f64 v[103:104], v[99:100], v[97:98], -v[103:104]
	v_mul_f64 v[99:100], v[99:100], v[89:90]
	v_fma_f64 v[99:100], v[101:102], v[97:98], v[99:100]
	s_waitcnt vmcnt(2)
	v_add_f64 v[69:70], v[69:70], -v[103:104]
	s_waitcnt vmcnt(0)
	v_add_f64 v[71:72], v[71:72], -v[99:100]
	buffer_store_dword v69, off, s[20:23], 0 ; 4-byte Folded Spill
	s_nop 0
	buffer_store_dword v70, off, s[20:23], 0 offset:4 ; 4-byte Folded Spill
	buffer_store_dword v71, off, s[20:23], 0 offset:8 ; 4-byte Folded Spill
	;; [unrolled: 1-line block ×3, first 2 shown]
	ds_read2_b64 v[99:102], v125 offset0:48 offset1:49
	s_waitcnt lgkmcnt(0)
	v_mul_f64 v[103:104], v[101:102], v[89:90]
	v_fma_f64 v[103:104], v[99:100], v[97:98], -v[103:104]
	v_mul_f64 v[99:100], v[99:100], v[89:90]
	v_add_f64 v[65:66], v[65:66], -v[103:104]
	v_fma_f64 v[99:100], v[101:102], v[97:98], v[99:100]
	v_add_f64 v[67:68], v[67:68], -v[99:100]
	ds_read2_b64 v[99:102], v125 offset0:50 offset1:51
	s_waitcnt lgkmcnt(0)
	v_mul_f64 v[103:104], v[101:102], v[89:90]
	v_fma_f64 v[103:104], v[99:100], v[97:98], -v[103:104]
	v_mul_f64 v[99:100], v[99:100], v[89:90]
	v_add_f64 v[61:62], v[61:62], -v[103:104]
	v_fma_f64 v[99:100], v[101:102], v[97:98], v[99:100]
	v_add_f64 v[63:64], v[63:64], -v[99:100]
	;; [unrolled: 8-line block ×17, first 2 shown]
	ds_read2_b64 v[99:102], v125 offset0:82 offset1:83
	s_waitcnt lgkmcnt(0)
	v_mul_f64 v[103:104], v[101:102], v[89:90]
	v_fma_f64 v[103:104], v[99:100], v[97:98], -v[103:104]
	v_mul_f64 v[99:100], v[99:100], v[89:90]
	buffer_store_dword v87, off, s[20:23], 0 offset:304 ; 4-byte Folded Spill
	s_nop 0
	buffer_store_dword v88, off, s[20:23], 0 offset:308 ; 4-byte Folded Spill
	buffer_store_dword v89, off, s[20:23], 0 offset:312 ; 4-byte Folded Spill
	;; [unrolled: 1-line block ×3, first 2 shown]
	v_add_f64 v[121:122], v[121:122], -v[103:104]
	v_fma_f64 v[99:100], v[101:102], v[97:98], v[99:100]
	v_add_f64 v[123:124], v[123:124], -v[99:100]
.LBB83_10:
	s_or_b64 exec, exec, s[4:5]
	v_cmp_eq_u32_e32 vcc, 1, v0
	s_waitcnt vmcnt(0)
	s_barrier
	s_and_saveexec_b64 s[4:5], vcc
	s_cbranch_execz .LBB83_17
; %bb.11:
	buffer_load_dword v81, off, s[20:23], 0 offset:288 ; 4-byte Folded Reload
	buffer_load_dword v82, off, s[20:23], 0 offset:292 ; 4-byte Folded Reload
	;; [unrolled: 1-line block ×4, first 2 shown]
	s_waitcnt vmcnt(0)
	ds_write2_b64 v127, v[81:82], v[83:84] offset1:1
	buffer_load_dword v81, off, s[20:23], 0 offset:272 ; 4-byte Folded Reload
	buffer_load_dword v82, off, s[20:23], 0 offset:276 ; 4-byte Folded Reload
	buffer_load_dword v83, off, s[20:23], 0 offset:280 ; 4-byte Folded Reload
	buffer_load_dword v84, off, s[20:23], 0 offset:284 ; 4-byte Folded Reload
	s_waitcnt vmcnt(0)
	ds_write2_b64 v125, v[81:82], v[83:84] offset0:4 offset1:5
	buffer_load_dword v81, off, s[20:23], 0 offset:256 ; 4-byte Folded Reload
	buffer_load_dword v82, off, s[20:23], 0 offset:260 ; 4-byte Folded Reload
	buffer_load_dword v83, off, s[20:23], 0 offset:264 ; 4-byte Folded Reload
	buffer_load_dword v84, off, s[20:23], 0 offset:268 ; 4-byte Folded Reload
	s_waitcnt vmcnt(0)
	ds_write2_b64 v125, v[81:82], v[83:84] offset0:6 offset1:7
	;; [unrolled: 6-line block ×14, first 2 shown]
	ds_write2_b64 v125, v[117:118], v[119:120] offset0:32 offset1:33
	ds_write2_b64 v125, v[113:114], v[115:116] offset0:34 offset1:35
	buffer_load_dword v81, off, s[20:23], 0 offset:48 ; 4-byte Folded Reload
	buffer_load_dword v82, off, s[20:23], 0 offset:52 ; 4-byte Folded Reload
	;; [unrolled: 1-line block ×4, first 2 shown]
	s_waitcnt vmcnt(0)
	ds_write2_b64 v125, v[81:82], v[83:84] offset0:36 offset1:37
	ds_write2_b64 v125, v[77:78], v[79:80] offset0:38 offset1:39
	;; [unrolled: 1-line block ×3, first 2 shown]
	buffer_load_dword v85, off, s[20:23], 0 offset:32 ; 4-byte Folded Reload
	buffer_load_dword v86, off, s[20:23], 0 offset:36 ; 4-byte Folded Reload
	;; [unrolled: 1-line block ×4, first 2 shown]
	s_waitcnt vmcnt(0)
	ds_write2_b64 v125, v[85:86], v[87:88] offset0:42 offset1:43
	buffer_load_dword v73, off, s[20:23], 0 offset:16 ; 4-byte Folded Reload
	buffer_load_dword v74, off, s[20:23], 0 offset:20 ; 4-byte Folded Reload
	buffer_load_dword v75, off, s[20:23], 0 offset:24 ; 4-byte Folded Reload
	buffer_load_dword v76, off, s[20:23], 0 offset:28 ; 4-byte Folded Reload
	s_waitcnt vmcnt(0)
	ds_write2_b64 v125, v[73:74], v[75:76] offset0:44 offset1:45
	buffer_load_dword v69, off, s[20:23], 0 ; 4-byte Folded Reload
	buffer_load_dword v70, off, s[20:23], 0 offset:4 ; 4-byte Folded Reload
	buffer_load_dword v71, off, s[20:23], 0 offset:8 ; 4-byte Folded Reload
	;; [unrolled: 1-line block ×3, first 2 shown]
	s_waitcnt vmcnt(0)
	ds_write2_b64 v125, v[69:70], v[71:72] offset0:46 offset1:47
	ds_write2_b64 v125, v[65:66], v[67:68] offset0:48 offset1:49
	;; [unrolled: 1-line block ×19, first 2 shown]
	ds_read2_b64 v[97:100], v127 offset1:1
	s_waitcnt lgkmcnt(0)
	v_cmp_neq_f64_e32 vcc, 0, v[97:98]
	v_cmp_neq_f64_e64 s[2:3], 0, v[99:100]
	s_or_b64 s[2:3], vcc, s[2:3]
	s_and_b64 exec, exec, s[2:3]
	s_cbranch_execz .LBB83_17
; %bb.12:
	v_cmp_ngt_f64_e64 s[2:3], |v[97:98]|, |v[99:100]|
                                        ; implicit-def: $vgpr101_vgpr102
	s_and_saveexec_b64 s[6:7], s[2:3]
	s_xor_b64 s[2:3], exec, s[6:7]
                                        ; implicit-def: $vgpr103_vgpr104
	s_cbranch_execz .LBB83_14
; %bb.13:
	v_div_scale_f64 v[101:102], s[6:7], v[99:100], v[99:100], v[97:98]
	v_rcp_f64_e32 v[103:104], v[101:102]
	v_fma_f64 v[105:106], -v[101:102], v[103:104], 1.0
	v_fma_f64 v[103:104], v[103:104], v[105:106], v[103:104]
	v_div_scale_f64 v[105:106], vcc, v[97:98], v[99:100], v[97:98]
	v_fma_f64 v[107:108], -v[101:102], v[103:104], 1.0
	v_fma_f64 v[103:104], v[103:104], v[107:108], v[103:104]
	v_mul_f64 v[107:108], v[105:106], v[103:104]
	v_fma_f64 v[101:102], -v[101:102], v[107:108], v[105:106]
	v_div_fmas_f64 v[101:102], v[101:102], v[103:104], v[107:108]
	v_div_fixup_f64 v[101:102], v[101:102], v[99:100], v[97:98]
	v_fma_f64 v[97:98], v[97:98], v[101:102], v[99:100]
	v_div_scale_f64 v[99:100], s[6:7], v[97:98], v[97:98], 1.0
	v_div_scale_f64 v[107:108], vcc, 1.0, v[97:98], 1.0
	v_rcp_f64_e32 v[103:104], v[99:100]
	v_fma_f64 v[105:106], -v[99:100], v[103:104], 1.0
	v_fma_f64 v[103:104], v[103:104], v[105:106], v[103:104]
	v_fma_f64 v[105:106], -v[99:100], v[103:104], 1.0
	v_fma_f64 v[103:104], v[103:104], v[105:106], v[103:104]
	v_mul_f64 v[105:106], v[107:108], v[103:104]
	v_fma_f64 v[99:100], -v[99:100], v[105:106], v[107:108]
	v_div_fmas_f64 v[99:100], v[99:100], v[103:104], v[105:106]
	v_div_fixup_f64 v[103:104], v[99:100], v[97:98], 1.0
                                        ; implicit-def: $vgpr97_vgpr98
	v_mul_f64 v[101:102], v[101:102], v[103:104]
	v_xor_b32_e32 v104, 0x80000000, v104
.LBB83_14:
	s_andn2_saveexec_b64 s[2:3], s[2:3]
	s_cbranch_execz .LBB83_16
; %bb.15:
	v_div_scale_f64 v[101:102], s[6:7], v[97:98], v[97:98], v[99:100]
	v_rcp_f64_e32 v[103:104], v[101:102]
	v_fma_f64 v[105:106], -v[101:102], v[103:104], 1.0
	v_fma_f64 v[103:104], v[103:104], v[105:106], v[103:104]
	v_div_scale_f64 v[105:106], vcc, v[99:100], v[97:98], v[99:100]
	v_fma_f64 v[107:108], -v[101:102], v[103:104], 1.0
	v_fma_f64 v[103:104], v[103:104], v[107:108], v[103:104]
	v_mul_f64 v[107:108], v[105:106], v[103:104]
	v_fma_f64 v[101:102], -v[101:102], v[107:108], v[105:106]
	v_div_fmas_f64 v[101:102], v[101:102], v[103:104], v[107:108]
	v_div_fixup_f64 v[103:104], v[101:102], v[97:98], v[99:100]
	v_fma_f64 v[97:98], v[99:100], v[103:104], v[97:98]
	v_div_scale_f64 v[99:100], s[6:7], v[97:98], v[97:98], 1.0
	v_div_scale_f64 v[107:108], vcc, 1.0, v[97:98], 1.0
	v_rcp_f64_e32 v[101:102], v[99:100]
	v_fma_f64 v[105:106], -v[99:100], v[101:102], 1.0
	v_fma_f64 v[101:102], v[101:102], v[105:106], v[101:102]
	v_fma_f64 v[105:106], -v[99:100], v[101:102], 1.0
	v_fma_f64 v[101:102], v[101:102], v[105:106], v[101:102]
	v_mul_f64 v[105:106], v[107:108], v[101:102]
	v_fma_f64 v[99:100], -v[99:100], v[105:106], v[107:108]
	v_div_fmas_f64 v[99:100], v[99:100], v[101:102], v[105:106]
	v_div_fixup_f64 v[101:102], v[99:100], v[97:98], 1.0
	v_mul_f64 v[103:104], v[103:104], -v[101:102]
.LBB83_16:
	s_or_b64 exec, exec, s[2:3]
	ds_write2_b64 v127, v[101:102], v[103:104] offset1:1
.LBB83_17:
	s_or_b64 exec, exec, s[4:5]
	s_waitcnt lgkmcnt(0)
	s_barrier
	ds_read2_b64 v[81:84], v127 offset1:1
	v_cmp_lt_u32_e32 vcc, 1, v0
	s_waitcnt lgkmcnt(0)
	buffer_store_dword v81, off, s[20:23], 0 offset:696 ; 4-byte Folded Spill
	s_nop 0
	buffer_store_dword v82, off, s[20:23], 0 offset:700 ; 4-byte Folded Spill
	buffer_store_dword v83, off, s[20:23], 0 offset:704 ; 4-byte Folded Spill
	;; [unrolled: 1-line block ×3, first 2 shown]
	s_and_saveexec_b64 s[2:3], vcc
	s_cbranch_execz .LBB83_19
; %bb.18:
	buffer_load_dword v87, off, s[20:23], 0 offset:288 ; 4-byte Folded Reload
	buffer_load_dword v88, off, s[20:23], 0 offset:292 ; 4-byte Folded Reload
	;; [unrolled: 1-line block ×8, first 2 shown]
	s_waitcnt vmcnt(2)
	v_mul_f64 v[99:100], v[81:82], v[89:90]
	s_waitcnt vmcnt(0)
	v_mul_f64 v[97:98], v[83:84], v[89:90]
	v_fma_f64 v[89:90], v[83:84], v[87:88], v[99:100]
	ds_read2_b64 v[99:102], v125 offset0:4 offset1:5
	v_fma_f64 v[97:98], v[81:82], v[87:88], -v[97:98]
	buffer_load_dword v81, off, s[20:23], 0 offset:272 ; 4-byte Folded Reload
	buffer_load_dword v82, off, s[20:23], 0 offset:276 ; 4-byte Folded Reload
	buffer_load_dword v83, off, s[20:23], 0 offset:280 ; 4-byte Folded Reload
	buffer_load_dword v84, off, s[20:23], 0 offset:284 ; 4-byte Folded Reload
	s_waitcnt lgkmcnt(0)
	v_mul_f64 v[103:104], v[101:102], v[89:90]
	v_fma_f64 v[103:104], v[99:100], v[97:98], -v[103:104]
	v_mul_f64 v[99:100], v[99:100], v[89:90]
	v_fma_f64 v[99:100], v[101:102], v[97:98], v[99:100]
	s_waitcnt vmcnt(2)
	v_add_f64 v[81:82], v[81:82], -v[103:104]
	s_waitcnt vmcnt(0)
	v_add_f64 v[83:84], v[83:84], -v[99:100]
	buffer_store_dword v81, off, s[20:23], 0 offset:272 ; 4-byte Folded Spill
	s_nop 0
	buffer_store_dword v82, off, s[20:23], 0 offset:276 ; 4-byte Folded Spill
	buffer_store_dword v83, off, s[20:23], 0 offset:280 ; 4-byte Folded Spill
	buffer_store_dword v84, off, s[20:23], 0 offset:284 ; 4-byte Folded Spill
	ds_read2_b64 v[99:102], v125 offset0:6 offset1:7
	buffer_load_dword v81, off, s[20:23], 0 offset:256 ; 4-byte Folded Reload
	buffer_load_dword v82, off, s[20:23], 0 offset:260 ; 4-byte Folded Reload
	buffer_load_dword v83, off, s[20:23], 0 offset:264 ; 4-byte Folded Reload
	buffer_load_dword v84, off, s[20:23], 0 offset:268 ; 4-byte Folded Reload
	s_waitcnt lgkmcnt(0)
	v_mul_f64 v[103:104], v[101:102], v[89:90]
	v_fma_f64 v[103:104], v[99:100], v[97:98], -v[103:104]
	v_mul_f64 v[99:100], v[99:100], v[89:90]
	v_fma_f64 v[99:100], v[101:102], v[97:98], v[99:100]
	s_waitcnt vmcnt(2)
	v_add_f64 v[81:82], v[81:82], -v[103:104]
	s_waitcnt vmcnt(0)
	v_add_f64 v[83:84], v[83:84], -v[99:100]
	buffer_store_dword v81, off, s[20:23], 0 offset:256 ; 4-byte Folded Spill
	s_nop 0
	buffer_store_dword v82, off, s[20:23], 0 offset:260 ; 4-byte Folded Spill
	buffer_store_dword v83, off, s[20:23], 0 offset:264 ; 4-byte Folded Spill
	buffer_store_dword v84, off, s[20:23], 0 offset:268 ; 4-byte Folded Spill
	ds_read2_b64 v[99:102], v125 offset0:8 offset1:9
	;; [unrolled: 19-line block ×14, first 2 shown]
	s_waitcnt lgkmcnt(0)
	v_mul_f64 v[103:104], v[101:102], v[89:90]
	v_fma_f64 v[103:104], v[99:100], v[97:98], -v[103:104]
	v_mul_f64 v[99:100], v[99:100], v[89:90]
	v_add_f64 v[117:118], v[117:118], -v[103:104]
	v_fma_f64 v[99:100], v[101:102], v[97:98], v[99:100]
	v_add_f64 v[119:120], v[119:120], -v[99:100]
	ds_read2_b64 v[99:102], v125 offset0:34 offset1:35
	s_waitcnt lgkmcnt(0)
	v_mul_f64 v[103:104], v[101:102], v[89:90]
	v_fma_f64 v[103:104], v[99:100], v[97:98], -v[103:104]
	v_mul_f64 v[99:100], v[99:100], v[89:90]
	v_add_f64 v[113:114], v[113:114], -v[103:104]
	v_fma_f64 v[99:100], v[101:102], v[97:98], v[99:100]
	v_add_f64 v[115:116], v[115:116], -v[99:100]
	ds_read2_b64 v[99:102], v125 offset0:36 offset1:37
	buffer_load_dword v81, off, s[20:23], 0 offset:48 ; 4-byte Folded Reload
	buffer_load_dword v82, off, s[20:23], 0 offset:52 ; 4-byte Folded Reload
	;; [unrolled: 1-line block ×4, first 2 shown]
	s_waitcnt lgkmcnt(0)
	v_mul_f64 v[103:104], v[101:102], v[89:90]
	v_fma_f64 v[103:104], v[99:100], v[97:98], -v[103:104]
	v_mul_f64 v[99:100], v[99:100], v[89:90]
	v_fma_f64 v[99:100], v[101:102], v[97:98], v[99:100]
	s_waitcnt vmcnt(2)
	v_add_f64 v[81:82], v[81:82], -v[103:104]
	s_waitcnt vmcnt(0)
	v_add_f64 v[83:84], v[83:84], -v[99:100]
	buffer_store_dword v81, off, s[20:23], 0 offset:48 ; 4-byte Folded Spill
	s_nop 0
	buffer_store_dword v82, off, s[20:23], 0 offset:52 ; 4-byte Folded Spill
	buffer_store_dword v83, off, s[20:23], 0 offset:56 ; 4-byte Folded Spill
	;; [unrolled: 1-line block ×3, first 2 shown]
	ds_read2_b64 v[99:102], v125 offset0:38 offset1:39
	s_waitcnt lgkmcnt(0)
	v_mul_f64 v[103:104], v[101:102], v[89:90]
	v_fma_f64 v[103:104], v[99:100], v[97:98], -v[103:104]
	v_mul_f64 v[99:100], v[99:100], v[89:90]
	v_add_f64 v[77:78], v[77:78], -v[103:104]
	v_fma_f64 v[99:100], v[101:102], v[97:98], v[99:100]
	v_add_f64 v[79:80], v[79:80], -v[99:100]
	ds_read2_b64 v[99:102], v125 offset0:40 offset1:41
	s_waitcnt lgkmcnt(0)
	v_mul_f64 v[103:104], v[101:102], v[89:90]
	v_fma_f64 v[103:104], v[99:100], v[97:98], -v[103:104]
	v_mul_f64 v[99:100], v[99:100], v[89:90]
	v_add_f64 v[93:94], v[93:94], -v[103:104]
	v_fma_f64 v[99:100], v[101:102], v[97:98], v[99:100]
	v_add_f64 v[95:96], v[95:96], -v[99:100]
	ds_read2_b64 v[99:102], v125 offset0:42 offset1:43
	buffer_load_dword v85, off, s[20:23], 0 offset:32 ; 4-byte Folded Reload
	buffer_load_dword v86, off, s[20:23], 0 offset:36 ; 4-byte Folded Reload
	buffer_load_dword v87, off, s[20:23], 0 offset:40 ; 4-byte Folded Reload
	buffer_load_dword v88, off, s[20:23], 0 offset:44 ; 4-byte Folded Reload
	s_waitcnt lgkmcnt(0)
	v_mul_f64 v[103:104], v[101:102], v[89:90]
	v_fma_f64 v[103:104], v[99:100], v[97:98], -v[103:104]
	v_mul_f64 v[99:100], v[99:100], v[89:90]
	v_fma_f64 v[99:100], v[101:102], v[97:98], v[99:100]
	s_waitcnt vmcnt(2)
	v_add_f64 v[85:86], v[85:86], -v[103:104]
	s_waitcnt vmcnt(0)
	v_add_f64 v[87:88], v[87:88], -v[99:100]
	buffer_store_dword v85, off, s[20:23], 0 offset:32 ; 4-byte Folded Spill
	s_nop 0
	buffer_store_dword v86, off, s[20:23], 0 offset:36 ; 4-byte Folded Spill
	buffer_store_dword v87, off, s[20:23], 0 offset:40 ; 4-byte Folded Spill
	;; [unrolled: 1-line block ×3, first 2 shown]
	ds_read2_b64 v[99:102], v125 offset0:44 offset1:45
	buffer_load_dword v73, off, s[20:23], 0 offset:16 ; 4-byte Folded Reload
	buffer_load_dword v74, off, s[20:23], 0 offset:20 ; 4-byte Folded Reload
	;; [unrolled: 1-line block ×4, first 2 shown]
	v_mov_b32_e32 v87, v97
	v_mov_b32_e32 v88, v98
	s_waitcnt lgkmcnt(0)
	v_mul_f64 v[103:104], v[101:102], v[89:90]
	v_fma_f64 v[103:104], v[99:100], v[97:98], -v[103:104]
	v_mul_f64 v[99:100], v[99:100], v[89:90]
	v_fma_f64 v[99:100], v[101:102], v[97:98], v[99:100]
	s_waitcnt vmcnt(2)
	v_add_f64 v[73:74], v[73:74], -v[103:104]
	s_waitcnt vmcnt(0)
	v_add_f64 v[75:76], v[75:76], -v[99:100]
	buffer_store_dword v73, off, s[20:23], 0 offset:16 ; 4-byte Folded Spill
	s_nop 0
	buffer_store_dword v74, off, s[20:23], 0 offset:20 ; 4-byte Folded Spill
	buffer_store_dword v75, off, s[20:23], 0 offset:24 ; 4-byte Folded Spill
	;; [unrolled: 1-line block ×3, first 2 shown]
	ds_read2_b64 v[99:102], v125 offset0:46 offset1:47
	buffer_load_dword v69, off, s[20:23], 0 ; 4-byte Folded Reload
	buffer_load_dword v70, off, s[20:23], 0 offset:4 ; 4-byte Folded Reload
	buffer_load_dword v71, off, s[20:23], 0 offset:8 ; 4-byte Folded Reload
	;; [unrolled: 1-line block ×3, first 2 shown]
	s_waitcnt lgkmcnt(0)
	v_mul_f64 v[103:104], v[101:102], v[89:90]
	v_fma_f64 v[103:104], v[99:100], v[97:98], -v[103:104]
	v_mul_f64 v[99:100], v[99:100], v[89:90]
	v_fma_f64 v[99:100], v[101:102], v[97:98], v[99:100]
	s_waitcnt vmcnt(2)
	v_add_f64 v[69:70], v[69:70], -v[103:104]
	s_waitcnt vmcnt(0)
	v_add_f64 v[71:72], v[71:72], -v[99:100]
	buffer_store_dword v69, off, s[20:23], 0 ; 4-byte Folded Spill
	s_nop 0
	buffer_store_dword v70, off, s[20:23], 0 offset:4 ; 4-byte Folded Spill
	buffer_store_dword v71, off, s[20:23], 0 offset:8 ; 4-byte Folded Spill
	buffer_store_dword v72, off, s[20:23], 0 offset:12 ; 4-byte Folded Spill
	ds_read2_b64 v[99:102], v125 offset0:48 offset1:49
	s_waitcnt lgkmcnt(0)
	v_mul_f64 v[103:104], v[101:102], v[89:90]
	v_fma_f64 v[103:104], v[99:100], v[97:98], -v[103:104]
	v_mul_f64 v[99:100], v[99:100], v[89:90]
	v_add_f64 v[65:66], v[65:66], -v[103:104]
	v_fma_f64 v[99:100], v[101:102], v[97:98], v[99:100]
	v_add_f64 v[67:68], v[67:68], -v[99:100]
	ds_read2_b64 v[99:102], v125 offset0:50 offset1:51
	s_waitcnt lgkmcnt(0)
	v_mul_f64 v[103:104], v[101:102], v[89:90]
	v_fma_f64 v[103:104], v[99:100], v[97:98], -v[103:104]
	v_mul_f64 v[99:100], v[99:100], v[89:90]
	v_add_f64 v[61:62], v[61:62], -v[103:104]
	v_fma_f64 v[99:100], v[101:102], v[97:98], v[99:100]
	v_add_f64 v[63:64], v[63:64], -v[99:100]
	;; [unrolled: 8-line block ×17, first 2 shown]
	ds_read2_b64 v[99:102], v125 offset0:82 offset1:83
	s_waitcnt lgkmcnt(0)
	v_mul_f64 v[103:104], v[101:102], v[89:90]
	v_fma_f64 v[103:104], v[99:100], v[97:98], -v[103:104]
	v_mul_f64 v[99:100], v[99:100], v[89:90]
	buffer_store_dword v87, off, s[20:23], 0 offset:288 ; 4-byte Folded Spill
	s_nop 0
	buffer_store_dword v88, off, s[20:23], 0 offset:292 ; 4-byte Folded Spill
	buffer_store_dword v89, off, s[20:23], 0 offset:296 ; 4-byte Folded Spill
	;; [unrolled: 1-line block ×3, first 2 shown]
	v_add_f64 v[121:122], v[121:122], -v[103:104]
	v_fma_f64 v[99:100], v[101:102], v[97:98], v[99:100]
	v_add_f64 v[123:124], v[123:124], -v[99:100]
.LBB83_19:
	s_or_b64 exec, exec, s[2:3]
	v_cmp_eq_u32_e32 vcc, 2, v0
	s_waitcnt vmcnt(0)
	s_barrier
	s_and_saveexec_b64 s[4:5], vcc
	s_cbranch_execz .LBB83_26
; %bb.20:
	buffer_load_dword v81, off, s[20:23], 0 offset:272 ; 4-byte Folded Reload
	buffer_load_dword v82, off, s[20:23], 0 offset:276 ; 4-byte Folded Reload
	;; [unrolled: 1-line block ×4, first 2 shown]
	s_waitcnt vmcnt(0)
	ds_write2_b64 v127, v[81:82], v[83:84] offset1:1
	buffer_load_dword v81, off, s[20:23], 0 offset:256 ; 4-byte Folded Reload
	buffer_load_dword v82, off, s[20:23], 0 offset:260 ; 4-byte Folded Reload
	buffer_load_dword v83, off, s[20:23], 0 offset:264 ; 4-byte Folded Reload
	buffer_load_dword v84, off, s[20:23], 0 offset:268 ; 4-byte Folded Reload
	s_waitcnt vmcnt(0)
	ds_write2_b64 v125, v[81:82], v[83:84] offset0:6 offset1:7
	buffer_load_dword v81, off, s[20:23], 0 offset:240 ; 4-byte Folded Reload
	buffer_load_dword v82, off, s[20:23], 0 offset:244 ; 4-byte Folded Reload
	buffer_load_dword v83, off, s[20:23], 0 offset:248 ; 4-byte Folded Reload
	buffer_load_dword v84, off, s[20:23], 0 offset:252 ; 4-byte Folded Reload
	s_waitcnt vmcnt(0)
	ds_write2_b64 v125, v[81:82], v[83:84] offset0:8 offset1:9
	;; [unrolled: 6-line block ×13, first 2 shown]
	ds_write2_b64 v125, v[117:118], v[119:120] offset0:32 offset1:33
	ds_write2_b64 v125, v[113:114], v[115:116] offset0:34 offset1:35
	buffer_load_dword v81, off, s[20:23], 0 offset:48 ; 4-byte Folded Reload
	buffer_load_dword v82, off, s[20:23], 0 offset:52 ; 4-byte Folded Reload
	;; [unrolled: 1-line block ×4, first 2 shown]
	s_waitcnt vmcnt(0)
	ds_write2_b64 v125, v[81:82], v[83:84] offset0:36 offset1:37
	ds_write2_b64 v125, v[77:78], v[79:80] offset0:38 offset1:39
	;; [unrolled: 1-line block ×3, first 2 shown]
	buffer_load_dword v85, off, s[20:23], 0 offset:32 ; 4-byte Folded Reload
	buffer_load_dword v86, off, s[20:23], 0 offset:36 ; 4-byte Folded Reload
	buffer_load_dword v87, off, s[20:23], 0 offset:40 ; 4-byte Folded Reload
	buffer_load_dword v88, off, s[20:23], 0 offset:44 ; 4-byte Folded Reload
	s_waitcnt vmcnt(0)
	ds_write2_b64 v125, v[85:86], v[87:88] offset0:42 offset1:43
	buffer_load_dword v73, off, s[20:23], 0 offset:16 ; 4-byte Folded Reload
	buffer_load_dword v74, off, s[20:23], 0 offset:20 ; 4-byte Folded Reload
	buffer_load_dword v75, off, s[20:23], 0 offset:24 ; 4-byte Folded Reload
	buffer_load_dword v76, off, s[20:23], 0 offset:28 ; 4-byte Folded Reload
	s_waitcnt vmcnt(0)
	ds_write2_b64 v125, v[73:74], v[75:76] offset0:44 offset1:45
	buffer_load_dword v69, off, s[20:23], 0 ; 4-byte Folded Reload
	buffer_load_dword v70, off, s[20:23], 0 offset:4 ; 4-byte Folded Reload
	buffer_load_dword v71, off, s[20:23], 0 offset:8 ; 4-byte Folded Reload
	;; [unrolled: 1-line block ×3, first 2 shown]
	s_waitcnt vmcnt(0)
	ds_write2_b64 v125, v[69:70], v[71:72] offset0:46 offset1:47
	ds_write2_b64 v125, v[65:66], v[67:68] offset0:48 offset1:49
	;; [unrolled: 1-line block ×19, first 2 shown]
	ds_read2_b64 v[97:100], v127 offset1:1
	s_waitcnt lgkmcnt(0)
	v_cmp_neq_f64_e32 vcc, 0, v[97:98]
	v_cmp_neq_f64_e64 s[2:3], 0, v[99:100]
	s_or_b64 s[2:3], vcc, s[2:3]
	s_and_b64 exec, exec, s[2:3]
	s_cbranch_execz .LBB83_26
; %bb.21:
	v_cmp_ngt_f64_e64 s[2:3], |v[97:98]|, |v[99:100]|
                                        ; implicit-def: $vgpr101_vgpr102
	s_and_saveexec_b64 s[6:7], s[2:3]
	s_xor_b64 s[2:3], exec, s[6:7]
                                        ; implicit-def: $vgpr103_vgpr104
	s_cbranch_execz .LBB83_23
; %bb.22:
	v_div_scale_f64 v[101:102], s[6:7], v[99:100], v[99:100], v[97:98]
	v_rcp_f64_e32 v[103:104], v[101:102]
	v_fma_f64 v[105:106], -v[101:102], v[103:104], 1.0
	v_fma_f64 v[103:104], v[103:104], v[105:106], v[103:104]
	v_div_scale_f64 v[105:106], vcc, v[97:98], v[99:100], v[97:98]
	v_fma_f64 v[107:108], -v[101:102], v[103:104], 1.0
	v_fma_f64 v[103:104], v[103:104], v[107:108], v[103:104]
	v_mul_f64 v[107:108], v[105:106], v[103:104]
	v_fma_f64 v[101:102], -v[101:102], v[107:108], v[105:106]
	v_div_fmas_f64 v[101:102], v[101:102], v[103:104], v[107:108]
	v_div_fixup_f64 v[101:102], v[101:102], v[99:100], v[97:98]
	v_fma_f64 v[97:98], v[97:98], v[101:102], v[99:100]
	v_div_scale_f64 v[99:100], s[6:7], v[97:98], v[97:98], 1.0
	v_div_scale_f64 v[107:108], vcc, 1.0, v[97:98], 1.0
	v_rcp_f64_e32 v[103:104], v[99:100]
	v_fma_f64 v[105:106], -v[99:100], v[103:104], 1.0
	v_fma_f64 v[103:104], v[103:104], v[105:106], v[103:104]
	v_fma_f64 v[105:106], -v[99:100], v[103:104], 1.0
	v_fma_f64 v[103:104], v[103:104], v[105:106], v[103:104]
	v_mul_f64 v[105:106], v[107:108], v[103:104]
	v_fma_f64 v[99:100], -v[99:100], v[105:106], v[107:108]
	v_div_fmas_f64 v[99:100], v[99:100], v[103:104], v[105:106]
	v_div_fixup_f64 v[103:104], v[99:100], v[97:98], 1.0
                                        ; implicit-def: $vgpr97_vgpr98
	v_mul_f64 v[101:102], v[101:102], v[103:104]
	v_xor_b32_e32 v104, 0x80000000, v104
.LBB83_23:
	s_andn2_saveexec_b64 s[2:3], s[2:3]
	s_cbranch_execz .LBB83_25
; %bb.24:
	v_div_scale_f64 v[101:102], s[6:7], v[97:98], v[97:98], v[99:100]
	v_rcp_f64_e32 v[103:104], v[101:102]
	v_fma_f64 v[105:106], -v[101:102], v[103:104], 1.0
	v_fma_f64 v[103:104], v[103:104], v[105:106], v[103:104]
	v_div_scale_f64 v[105:106], vcc, v[99:100], v[97:98], v[99:100]
	v_fma_f64 v[107:108], -v[101:102], v[103:104], 1.0
	v_fma_f64 v[103:104], v[103:104], v[107:108], v[103:104]
	v_mul_f64 v[107:108], v[105:106], v[103:104]
	v_fma_f64 v[101:102], -v[101:102], v[107:108], v[105:106]
	v_div_fmas_f64 v[101:102], v[101:102], v[103:104], v[107:108]
	v_div_fixup_f64 v[103:104], v[101:102], v[97:98], v[99:100]
	v_fma_f64 v[97:98], v[99:100], v[103:104], v[97:98]
	v_div_scale_f64 v[99:100], s[6:7], v[97:98], v[97:98], 1.0
	v_div_scale_f64 v[107:108], vcc, 1.0, v[97:98], 1.0
	v_rcp_f64_e32 v[101:102], v[99:100]
	v_fma_f64 v[105:106], -v[99:100], v[101:102], 1.0
	v_fma_f64 v[101:102], v[101:102], v[105:106], v[101:102]
	v_fma_f64 v[105:106], -v[99:100], v[101:102], 1.0
	v_fma_f64 v[101:102], v[101:102], v[105:106], v[101:102]
	v_mul_f64 v[105:106], v[107:108], v[101:102]
	v_fma_f64 v[99:100], -v[99:100], v[105:106], v[107:108]
	v_div_fmas_f64 v[99:100], v[99:100], v[101:102], v[105:106]
	v_div_fixup_f64 v[101:102], v[99:100], v[97:98], 1.0
	v_mul_f64 v[103:104], v[103:104], -v[101:102]
.LBB83_25:
	s_or_b64 exec, exec, s[2:3]
	ds_write2_b64 v127, v[101:102], v[103:104] offset1:1
.LBB83_26:
	s_or_b64 exec, exec, s[4:5]
	s_waitcnt lgkmcnt(0)
	s_barrier
	ds_read2_b64 v[81:84], v127 offset1:1
	v_cmp_lt_u32_e32 vcc, 2, v0
	s_waitcnt lgkmcnt(0)
	buffer_store_dword v81, off, s[20:23], 0 offset:712 ; 4-byte Folded Spill
	s_nop 0
	buffer_store_dword v82, off, s[20:23], 0 offset:716 ; 4-byte Folded Spill
	buffer_store_dword v83, off, s[20:23], 0 offset:720 ; 4-byte Folded Spill
	buffer_store_dword v84, off, s[20:23], 0 offset:724 ; 4-byte Folded Spill
	s_and_saveexec_b64 s[2:3], vcc
	s_cbranch_execz .LBB83_28
; %bb.27:
	buffer_load_dword v87, off, s[20:23], 0 offset:272 ; 4-byte Folded Reload
	buffer_load_dword v88, off, s[20:23], 0 offset:276 ; 4-byte Folded Reload
	;; [unrolled: 1-line block ×8, first 2 shown]
	s_waitcnt vmcnt(2)
	v_mul_f64 v[99:100], v[81:82], v[89:90]
	s_waitcnt vmcnt(0)
	v_mul_f64 v[97:98], v[83:84], v[89:90]
	v_fma_f64 v[89:90], v[83:84], v[87:88], v[99:100]
	ds_read2_b64 v[99:102], v125 offset0:6 offset1:7
	v_fma_f64 v[97:98], v[81:82], v[87:88], -v[97:98]
	buffer_load_dword v81, off, s[20:23], 0 offset:256 ; 4-byte Folded Reload
	buffer_load_dword v82, off, s[20:23], 0 offset:260 ; 4-byte Folded Reload
	buffer_load_dword v83, off, s[20:23], 0 offset:264 ; 4-byte Folded Reload
	buffer_load_dword v84, off, s[20:23], 0 offset:268 ; 4-byte Folded Reload
	s_waitcnt lgkmcnt(0)
	v_mul_f64 v[103:104], v[101:102], v[89:90]
	v_fma_f64 v[103:104], v[99:100], v[97:98], -v[103:104]
	v_mul_f64 v[99:100], v[99:100], v[89:90]
	v_fma_f64 v[99:100], v[101:102], v[97:98], v[99:100]
	s_waitcnt vmcnt(2)
	v_add_f64 v[81:82], v[81:82], -v[103:104]
	s_waitcnt vmcnt(0)
	v_add_f64 v[83:84], v[83:84], -v[99:100]
	buffer_store_dword v81, off, s[20:23], 0 offset:256 ; 4-byte Folded Spill
	s_nop 0
	buffer_store_dword v82, off, s[20:23], 0 offset:260 ; 4-byte Folded Spill
	buffer_store_dword v83, off, s[20:23], 0 offset:264 ; 4-byte Folded Spill
	buffer_store_dword v84, off, s[20:23], 0 offset:268 ; 4-byte Folded Spill
	ds_read2_b64 v[99:102], v125 offset0:8 offset1:9
	buffer_load_dword v81, off, s[20:23], 0 offset:240 ; 4-byte Folded Reload
	buffer_load_dword v82, off, s[20:23], 0 offset:244 ; 4-byte Folded Reload
	buffer_load_dword v83, off, s[20:23], 0 offset:248 ; 4-byte Folded Reload
	buffer_load_dword v84, off, s[20:23], 0 offset:252 ; 4-byte Folded Reload
	s_waitcnt lgkmcnt(0)
	v_mul_f64 v[103:104], v[101:102], v[89:90]
	v_fma_f64 v[103:104], v[99:100], v[97:98], -v[103:104]
	v_mul_f64 v[99:100], v[99:100], v[89:90]
	v_fma_f64 v[99:100], v[101:102], v[97:98], v[99:100]
	s_waitcnt vmcnt(2)
	v_add_f64 v[81:82], v[81:82], -v[103:104]
	s_waitcnt vmcnt(0)
	v_add_f64 v[83:84], v[83:84], -v[99:100]
	buffer_store_dword v81, off, s[20:23], 0 offset:240 ; 4-byte Folded Spill
	s_nop 0
	buffer_store_dword v82, off, s[20:23], 0 offset:244 ; 4-byte Folded Spill
	buffer_store_dword v83, off, s[20:23], 0 offset:248 ; 4-byte Folded Spill
	buffer_store_dword v84, off, s[20:23], 0 offset:252 ; 4-byte Folded Spill
	ds_read2_b64 v[99:102], v125 offset0:10 offset1:11
	;; [unrolled: 19-line block ×13, first 2 shown]
	s_waitcnt lgkmcnt(0)
	v_mul_f64 v[103:104], v[101:102], v[89:90]
	v_fma_f64 v[103:104], v[99:100], v[97:98], -v[103:104]
	v_mul_f64 v[99:100], v[99:100], v[89:90]
	v_add_f64 v[117:118], v[117:118], -v[103:104]
	v_fma_f64 v[99:100], v[101:102], v[97:98], v[99:100]
	v_add_f64 v[119:120], v[119:120], -v[99:100]
	ds_read2_b64 v[99:102], v125 offset0:34 offset1:35
	s_waitcnt lgkmcnt(0)
	v_mul_f64 v[103:104], v[101:102], v[89:90]
	v_fma_f64 v[103:104], v[99:100], v[97:98], -v[103:104]
	v_mul_f64 v[99:100], v[99:100], v[89:90]
	v_add_f64 v[113:114], v[113:114], -v[103:104]
	v_fma_f64 v[99:100], v[101:102], v[97:98], v[99:100]
	v_add_f64 v[115:116], v[115:116], -v[99:100]
	ds_read2_b64 v[99:102], v125 offset0:36 offset1:37
	buffer_load_dword v81, off, s[20:23], 0 offset:48 ; 4-byte Folded Reload
	buffer_load_dword v82, off, s[20:23], 0 offset:52 ; 4-byte Folded Reload
	;; [unrolled: 1-line block ×4, first 2 shown]
	s_waitcnt lgkmcnt(0)
	v_mul_f64 v[103:104], v[101:102], v[89:90]
	v_fma_f64 v[103:104], v[99:100], v[97:98], -v[103:104]
	v_mul_f64 v[99:100], v[99:100], v[89:90]
	v_fma_f64 v[99:100], v[101:102], v[97:98], v[99:100]
	s_waitcnt vmcnt(2)
	v_add_f64 v[81:82], v[81:82], -v[103:104]
	s_waitcnt vmcnt(0)
	v_add_f64 v[83:84], v[83:84], -v[99:100]
	buffer_store_dword v81, off, s[20:23], 0 offset:48 ; 4-byte Folded Spill
	s_nop 0
	buffer_store_dword v82, off, s[20:23], 0 offset:52 ; 4-byte Folded Spill
	buffer_store_dword v83, off, s[20:23], 0 offset:56 ; 4-byte Folded Spill
	;; [unrolled: 1-line block ×3, first 2 shown]
	ds_read2_b64 v[99:102], v125 offset0:38 offset1:39
	s_waitcnt lgkmcnt(0)
	v_mul_f64 v[103:104], v[101:102], v[89:90]
	v_fma_f64 v[103:104], v[99:100], v[97:98], -v[103:104]
	v_mul_f64 v[99:100], v[99:100], v[89:90]
	v_add_f64 v[77:78], v[77:78], -v[103:104]
	v_fma_f64 v[99:100], v[101:102], v[97:98], v[99:100]
	v_add_f64 v[79:80], v[79:80], -v[99:100]
	ds_read2_b64 v[99:102], v125 offset0:40 offset1:41
	s_waitcnt lgkmcnt(0)
	v_mul_f64 v[103:104], v[101:102], v[89:90]
	v_fma_f64 v[103:104], v[99:100], v[97:98], -v[103:104]
	v_mul_f64 v[99:100], v[99:100], v[89:90]
	v_add_f64 v[93:94], v[93:94], -v[103:104]
	v_fma_f64 v[99:100], v[101:102], v[97:98], v[99:100]
	v_add_f64 v[95:96], v[95:96], -v[99:100]
	ds_read2_b64 v[99:102], v125 offset0:42 offset1:43
	buffer_load_dword v85, off, s[20:23], 0 offset:32 ; 4-byte Folded Reload
	buffer_load_dword v86, off, s[20:23], 0 offset:36 ; 4-byte Folded Reload
	;; [unrolled: 1-line block ×4, first 2 shown]
	s_waitcnt lgkmcnt(0)
	v_mul_f64 v[103:104], v[101:102], v[89:90]
	v_fma_f64 v[103:104], v[99:100], v[97:98], -v[103:104]
	v_mul_f64 v[99:100], v[99:100], v[89:90]
	v_fma_f64 v[99:100], v[101:102], v[97:98], v[99:100]
	s_waitcnt vmcnt(2)
	v_add_f64 v[85:86], v[85:86], -v[103:104]
	s_waitcnt vmcnt(0)
	v_add_f64 v[87:88], v[87:88], -v[99:100]
	buffer_store_dword v85, off, s[20:23], 0 offset:32 ; 4-byte Folded Spill
	s_nop 0
	buffer_store_dword v86, off, s[20:23], 0 offset:36 ; 4-byte Folded Spill
	buffer_store_dword v87, off, s[20:23], 0 offset:40 ; 4-byte Folded Spill
	;; [unrolled: 1-line block ×3, first 2 shown]
	ds_read2_b64 v[99:102], v125 offset0:44 offset1:45
	buffer_load_dword v73, off, s[20:23], 0 offset:16 ; 4-byte Folded Reload
	buffer_load_dword v74, off, s[20:23], 0 offset:20 ; 4-byte Folded Reload
	;; [unrolled: 1-line block ×4, first 2 shown]
	v_mov_b32_e32 v87, v97
	v_mov_b32_e32 v88, v98
	s_waitcnt lgkmcnt(0)
	v_mul_f64 v[103:104], v[101:102], v[89:90]
	v_fma_f64 v[103:104], v[99:100], v[97:98], -v[103:104]
	v_mul_f64 v[99:100], v[99:100], v[89:90]
	v_fma_f64 v[99:100], v[101:102], v[97:98], v[99:100]
	s_waitcnt vmcnt(2)
	v_add_f64 v[73:74], v[73:74], -v[103:104]
	s_waitcnt vmcnt(0)
	v_add_f64 v[75:76], v[75:76], -v[99:100]
	buffer_store_dword v73, off, s[20:23], 0 offset:16 ; 4-byte Folded Spill
	s_nop 0
	buffer_store_dword v74, off, s[20:23], 0 offset:20 ; 4-byte Folded Spill
	buffer_store_dword v75, off, s[20:23], 0 offset:24 ; 4-byte Folded Spill
	;; [unrolled: 1-line block ×3, first 2 shown]
	ds_read2_b64 v[99:102], v125 offset0:46 offset1:47
	buffer_load_dword v69, off, s[20:23], 0 ; 4-byte Folded Reload
	buffer_load_dword v70, off, s[20:23], 0 offset:4 ; 4-byte Folded Reload
	buffer_load_dword v71, off, s[20:23], 0 offset:8 ; 4-byte Folded Reload
	;; [unrolled: 1-line block ×3, first 2 shown]
	s_waitcnt lgkmcnt(0)
	v_mul_f64 v[103:104], v[101:102], v[89:90]
	v_fma_f64 v[103:104], v[99:100], v[97:98], -v[103:104]
	v_mul_f64 v[99:100], v[99:100], v[89:90]
	v_fma_f64 v[99:100], v[101:102], v[97:98], v[99:100]
	s_waitcnt vmcnt(2)
	v_add_f64 v[69:70], v[69:70], -v[103:104]
	s_waitcnt vmcnt(0)
	v_add_f64 v[71:72], v[71:72], -v[99:100]
	buffer_store_dword v69, off, s[20:23], 0 ; 4-byte Folded Spill
	s_nop 0
	buffer_store_dword v70, off, s[20:23], 0 offset:4 ; 4-byte Folded Spill
	buffer_store_dword v71, off, s[20:23], 0 offset:8 ; 4-byte Folded Spill
	;; [unrolled: 1-line block ×3, first 2 shown]
	ds_read2_b64 v[99:102], v125 offset0:48 offset1:49
	s_waitcnt lgkmcnt(0)
	v_mul_f64 v[103:104], v[101:102], v[89:90]
	v_fma_f64 v[103:104], v[99:100], v[97:98], -v[103:104]
	v_mul_f64 v[99:100], v[99:100], v[89:90]
	v_add_f64 v[65:66], v[65:66], -v[103:104]
	v_fma_f64 v[99:100], v[101:102], v[97:98], v[99:100]
	v_add_f64 v[67:68], v[67:68], -v[99:100]
	ds_read2_b64 v[99:102], v125 offset0:50 offset1:51
	s_waitcnt lgkmcnt(0)
	v_mul_f64 v[103:104], v[101:102], v[89:90]
	v_fma_f64 v[103:104], v[99:100], v[97:98], -v[103:104]
	v_mul_f64 v[99:100], v[99:100], v[89:90]
	v_add_f64 v[61:62], v[61:62], -v[103:104]
	v_fma_f64 v[99:100], v[101:102], v[97:98], v[99:100]
	v_add_f64 v[63:64], v[63:64], -v[99:100]
	;; [unrolled: 8-line block ×17, first 2 shown]
	ds_read2_b64 v[99:102], v125 offset0:82 offset1:83
	s_waitcnt lgkmcnt(0)
	v_mul_f64 v[103:104], v[101:102], v[89:90]
	v_fma_f64 v[103:104], v[99:100], v[97:98], -v[103:104]
	v_mul_f64 v[99:100], v[99:100], v[89:90]
	buffer_store_dword v87, off, s[20:23], 0 offset:272 ; 4-byte Folded Spill
	s_nop 0
	buffer_store_dword v88, off, s[20:23], 0 offset:276 ; 4-byte Folded Spill
	buffer_store_dword v89, off, s[20:23], 0 offset:280 ; 4-byte Folded Spill
	;; [unrolled: 1-line block ×3, first 2 shown]
	v_add_f64 v[121:122], v[121:122], -v[103:104]
	v_fma_f64 v[99:100], v[101:102], v[97:98], v[99:100]
	v_add_f64 v[123:124], v[123:124], -v[99:100]
.LBB83_28:
	s_or_b64 exec, exec, s[2:3]
	v_cmp_eq_u32_e32 vcc, 3, v0
	s_waitcnt vmcnt(0)
	s_barrier
	s_and_saveexec_b64 s[4:5], vcc
	s_cbranch_execz .LBB83_35
; %bb.29:
	buffer_load_dword v81, off, s[20:23], 0 offset:256 ; 4-byte Folded Reload
	buffer_load_dword v82, off, s[20:23], 0 offset:260 ; 4-byte Folded Reload
	;; [unrolled: 1-line block ×4, first 2 shown]
	s_waitcnt vmcnt(0)
	ds_write2_b64 v127, v[81:82], v[83:84] offset1:1
	buffer_load_dword v81, off, s[20:23], 0 offset:240 ; 4-byte Folded Reload
	buffer_load_dword v82, off, s[20:23], 0 offset:244 ; 4-byte Folded Reload
	buffer_load_dword v83, off, s[20:23], 0 offset:248 ; 4-byte Folded Reload
	buffer_load_dword v84, off, s[20:23], 0 offset:252 ; 4-byte Folded Reload
	s_waitcnt vmcnt(0)
	ds_write2_b64 v125, v[81:82], v[83:84] offset0:8 offset1:9
	buffer_load_dword v81, off, s[20:23], 0 offset:224 ; 4-byte Folded Reload
	buffer_load_dword v82, off, s[20:23], 0 offset:228 ; 4-byte Folded Reload
	buffer_load_dword v83, off, s[20:23], 0 offset:232 ; 4-byte Folded Reload
	buffer_load_dword v84, off, s[20:23], 0 offset:236 ; 4-byte Folded Reload
	s_waitcnt vmcnt(0)
	ds_write2_b64 v125, v[81:82], v[83:84] offset0:10 offset1:11
	;; [unrolled: 6-line block ×12, first 2 shown]
	ds_write2_b64 v125, v[117:118], v[119:120] offset0:32 offset1:33
	ds_write2_b64 v125, v[113:114], v[115:116] offset0:34 offset1:35
	buffer_load_dword v81, off, s[20:23], 0 offset:48 ; 4-byte Folded Reload
	buffer_load_dword v82, off, s[20:23], 0 offset:52 ; 4-byte Folded Reload
	buffer_load_dword v83, off, s[20:23], 0 offset:56 ; 4-byte Folded Reload
	buffer_load_dword v84, off, s[20:23], 0 offset:60 ; 4-byte Folded Reload
	s_waitcnt vmcnt(0)
	ds_write2_b64 v125, v[81:82], v[83:84] offset0:36 offset1:37
	ds_write2_b64 v125, v[77:78], v[79:80] offset0:38 offset1:39
	;; [unrolled: 1-line block ×3, first 2 shown]
	buffer_load_dword v85, off, s[20:23], 0 offset:32 ; 4-byte Folded Reload
	buffer_load_dword v86, off, s[20:23], 0 offset:36 ; 4-byte Folded Reload
	;; [unrolled: 1-line block ×4, first 2 shown]
	s_waitcnt vmcnt(0)
	ds_write2_b64 v125, v[85:86], v[87:88] offset0:42 offset1:43
	buffer_load_dword v73, off, s[20:23], 0 offset:16 ; 4-byte Folded Reload
	buffer_load_dword v74, off, s[20:23], 0 offset:20 ; 4-byte Folded Reload
	;; [unrolled: 1-line block ×4, first 2 shown]
	s_waitcnt vmcnt(0)
	ds_write2_b64 v125, v[73:74], v[75:76] offset0:44 offset1:45
	buffer_load_dword v69, off, s[20:23], 0 ; 4-byte Folded Reload
	buffer_load_dword v70, off, s[20:23], 0 offset:4 ; 4-byte Folded Reload
	buffer_load_dword v71, off, s[20:23], 0 offset:8 ; 4-byte Folded Reload
	;; [unrolled: 1-line block ×3, first 2 shown]
	s_waitcnt vmcnt(0)
	ds_write2_b64 v125, v[69:70], v[71:72] offset0:46 offset1:47
	ds_write2_b64 v125, v[65:66], v[67:68] offset0:48 offset1:49
	;; [unrolled: 1-line block ×19, first 2 shown]
	ds_read2_b64 v[97:100], v127 offset1:1
	s_waitcnt lgkmcnt(0)
	v_cmp_neq_f64_e32 vcc, 0, v[97:98]
	v_cmp_neq_f64_e64 s[2:3], 0, v[99:100]
	s_or_b64 s[2:3], vcc, s[2:3]
	s_and_b64 exec, exec, s[2:3]
	s_cbranch_execz .LBB83_35
; %bb.30:
	v_cmp_ngt_f64_e64 s[2:3], |v[97:98]|, |v[99:100]|
                                        ; implicit-def: $vgpr101_vgpr102
	s_and_saveexec_b64 s[6:7], s[2:3]
	s_xor_b64 s[2:3], exec, s[6:7]
                                        ; implicit-def: $vgpr103_vgpr104
	s_cbranch_execz .LBB83_32
; %bb.31:
	v_div_scale_f64 v[101:102], s[6:7], v[99:100], v[99:100], v[97:98]
	v_rcp_f64_e32 v[103:104], v[101:102]
	v_fma_f64 v[105:106], -v[101:102], v[103:104], 1.0
	v_fma_f64 v[103:104], v[103:104], v[105:106], v[103:104]
	v_div_scale_f64 v[105:106], vcc, v[97:98], v[99:100], v[97:98]
	v_fma_f64 v[107:108], -v[101:102], v[103:104], 1.0
	v_fma_f64 v[103:104], v[103:104], v[107:108], v[103:104]
	v_mul_f64 v[107:108], v[105:106], v[103:104]
	v_fma_f64 v[101:102], -v[101:102], v[107:108], v[105:106]
	v_div_fmas_f64 v[101:102], v[101:102], v[103:104], v[107:108]
	v_div_fixup_f64 v[101:102], v[101:102], v[99:100], v[97:98]
	v_fma_f64 v[97:98], v[97:98], v[101:102], v[99:100]
	v_div_scale_f64 v[99:100], s[6:7], v[97:98], v[97:98], 1.0
	v_div_scale_f64 v[107:108], vcc, 1.0, v[97:98], 1.0
	v_rcp_f64_e32 v[103:104], v[99:100]
	v_fma_f64 v[105:106], -v[99:100], v[103:104], 1.0
	v_fma_f64 v[103:104], v[103:104], v[105:106], v[103:104]
	v_fma_f64 v[105:106], -v[99:100], v[103:104], 1.0
	v_fma_f64 v[103:104], v[103:104], v[105:106], v[103:104]
	v_mul_f64 v[105:106], v[107:108], v[103:104]
	v_fma_f64 v[99:100], -v[99:100], v[105:106], v[107:108]
	v_div_fmas_f64 v[99:100], v[99:100], v[103:104], v[105:106]
	v_div_fixup_f64 v[103:104], v[99:100], v[97:98], 1.0
                                        ; implicit-def: $vgpr97_vgpr98
	v_mul_f64 v[101:102], v[101:102], v[103:104]
	v_xor_b32_e32 v104, 0x80000000, v104
.LBB83_32:
	s_andn2_saveexec_b64 s[2:3], s[2:3]
	s_cbranch_execz .LBB83_34
; %bb.33:
	v_div_scale_f64 v[101:102], s[6:7], v[97:98], v[97:98], v[99:100]
	v_rcp_f64_e32 v[103:104], v[101:102]
	v_fma_f64 v[105:106], -v[101:102], v[103:104], 1.0
	v_fma_f64 v[103:104], v[103:104], v[105:106], v[103:104]
	v_div_scale_f64 v[105:106], vcc, v[99:100], v[97:98], v[99:100]
	v_fma_f64 v[107:108], -v[101:102], v[103:104], 1.0
	v_fma_f64 v[103:104], v[103:104], v[107:108], v[103:104]
	v_mul_f64 v[107:108], v[105:106], v[103:104]
	v_fma_f64 v[101:102], -v[101:102], v[107:108], v[105:106]
	v_div_fmas_f64 v[101:102], v[101:102], v[103:104], v[107:108]
	v_div_fixup_f64 v[103:104], v[101:102], v[97:98], v[99:100]
	v_fma_f64 v[97:98], v[99:100], v[103:104], v[97:98]
	v_div_scale_f64 v[99:100], s[6:7], v[97:98], v[97:98], 1.0
	v_div_scale_f64 v[107:108], vcc, 1.0, v[97:98], 1.0
	v_rcp_f64_e32 v[101:102], v[99:100]
	v_fma_f64 v[105:106], -v[99:100], v[101:102], 1.0
	v_fma_f64 v[101:102], v[101:102], v[105:106], v[101:102]
	v_fma_f64 v[105:106], -v[99:100], v[101:102], 1.0
	v_fma_f64 v[101:102], v[101:102], v[105:106], v[101:102]
	v_mul_f64 v[105:106], v[107:108], v[101:102]
	v_fma_f64 v[99:100], -v[99:100], v[105:106], v[107:108]
	v_div_fmas_f64 v[99:100], v[99:100], v[101:102], v[105:106]
	v_div_fixup_f64 v[101:102], v[99:100], v[97:98], 1.0
	v_mul_f64 v[103:104], v[103:104], -v[101:102]
.LBB83_34:
	s_or_b64 exec, exec, s[2:3]
	ds_write2_b64 v127, v[101:102], v[103:104] offset1:1
.LBB83_35:
	s_or_b64 exec, exec, s[4:5]
	s_waitcnt lgkmcnt(0)
	s_barrier
	ds_read2_b64 v[81:84], v127 offset1:1
	v_cmp_lt_u32_e32 vcc, 3, v0
	s_waitcnt lgkmcnt(0)
	buffer_store_dword v81, off, s[20:23], 0 offset:728 ; 4-byte Folded Spill
	s_nop 0
	buffer_store_dword v82, off, s[20:23], 0 offset:732 ; 4-byte Folded Spill
	buffer_store_dword v83, off, s[20:23], 0 offset:736 ; 4-byte Folded Spill
	;; [unrolled: 1-line block ×3, first 2 shown]
	s_and_saveexec_b64 s[2:3], vcc
	s_cbranch_execz .LBB83_37
; %bb.36:
	buffer_load_dword v87, off, s[20:23], 0 offset:256 ; 4-byte Folded Reload
	buffer_load_dword v88, off, s[20:23], 0 offset:260 ; 4-byte Folded Reload
	;; [unrolled: 1-line block ×8, first 2 shown]
	s_waitcnt vmcnt(2)
	v_mul_f64 v[99:100], v[81:82], v[89:90]
	s_waitcnt vmcnt(0)
	v_mul_f64 v[97:98], v[83:84], v[89:90]
	v_fma_f64 v[89:90], v[83:84], v[87:88], v[99:100]
	ds_read2_b64 v[99:102], v125 offset0:8 offset1:9
	v_fma_f64 v[97:98], v[81:82], v[87:88], -v[97:98]
	buffer_load_dword v81, off, s[20:23], 0 offset:240 ; 4-byte Folded Reload
	buffer_load_dword v82, off, s[20:23], 0 offset:244 ; 4-byte Folded Reload
	buffer_load_dword v83, off, s[20:23], 0 offset:248 ; 4-byte Folded Reload
	buffer_load_dword v84, off, s[20:23], 0 offset:252 ; 4-byte Folded Reload
	s_waitcnt lgkmcnt(0)
	v_mul_f64 v[103:104], v[101:102], v[89:90]
	v_fma_f64 v[103:104], v[99:100], v[97:98], -v[103:104]
	v_mul_f64 v[99:100], v[99:100], v[89:90]
	v_fma_f64 v[99:100], v[101:102], v[97:98], v[99:100]
	s_waitcnt vmcnt(2)
	v_add_f64 v[81:82], v[81:82], -v[103:104]
	s_waitcnt vmcnt(0)
	v_add_f64 v[83:84], v[83:84], -v[99:100]
	buffer_store_dword v81, off, s[20:23], 0 offset:240 ; 4-byte Folded Spill
	s_nop 0
	buffer_store_dword v82, off, s[20:23], 0 offset:244 ; 4-byte Folded Spill
	buffer_store_dword v83, off, s[20:23], 0 offset:248 ; 4-byte Folded Spill
	buffer_store_dword v84, off, s[20:23], 0 offset:252 ; 4-byte Folded Spill
	ds_read2_b64 v[99:102], v125 offset0:10 offset1:11
	buffer_load_dword v81, off, s[20:23], 0 offset:224 ; 4-byte Folded Reload
	buffer_load_dword v82, off, s[20:23], 0 offset:228 ; 4-byte Folded Reload
	buffer_load_dword v83, off, s[20:23], 0 offset:232 ; 4-byte Folded Reload
	buffer_load_dword v84, off, s[20:23], 0 offset:236 ; 4-byte Folded Reload
	s_waitcnt lgkmcnt(0)
	v_mul_f64 v[103:104], v[101:102], v[89:90]
	v_fma_f64 v[103:104], v[99:100], v[97:98], -v[103:104]
	v_mul_f64 v[99:100], v[99:100], v[89:90]
	v_fma_f64 v[99:100], v[101:102], v[97:98], v[99:100]
	s_waitcnt vmcnt(2)
	v_add_f64 v[81:82], v[81:82], -v[103:104]
	s_waitcnt vmcnt(0)
	v_add_f64 v[83:84], v[83:84], -v[99:100]
	buffer_store_dword v81, off, s[20:23], 0 offset:224 ; 4-byte Folded Spill
	s_nop 0
	buffer_store_dword v82, off, s[20:23], 0 offset:228 ; 4-byte Folded Spill
	buffer_store_dword v83, off, s[20:23], 0 offset:232 ; 4-byte Folded Spill
	buffer_store_dword v84, off, s[20:23], 0 offset:236 ; 4-byte Folded Spill
	ds_read2_b64 v[99:102], v125 offset0:12 offset1:13
	;; [unrolled: 19-line block ×12, first 2 shown]
	s_waitcnt lgkmcnt(0)
	v_mul_f64 v[103:104], v[101:102], v[89:90]
	v_fma_f64 v[103:104], v[99:100], v[97:98], -v[103:104]
	v_mul_f64 v[99:100], v[99:100], v[89:90]
	v_add_f64 v[117:118], v[117:118], -v[103:104]
	v_fma_f64 v[99:100], v[101:102], v[97:98], v[99:100]
	v_add_f64 v[119:120], v[119:120], -v[99:100]
	ds_read2_b64 v[99:102], v125 offset0:34 offset1:35
	s_waitcnt lgkmcnt(0)
	v_mul_f64 v[103:104], v[101:102], v[89:90]
	v_fma_f64 v[103:104], v[99:100], v[97:98], -v[103:104]
	v_mul_f64 v[99:100], v[99:100], v[89:90]
	v_add_f64 v[113:114], v[113:114], -v[103:104]
	v_fma_f64 v[99:100], v[101:102], v[97:98], v[99:100]
	v_add_f64 v[115:116], v[115:116], -v[99:100]
	ds_read2_b64 v[99:102], v125 offset0:36 offset1:37
	buffer_load_dword v81, off, s[20:23], 0 offset:48 ; 4-byte Folded Reload
	buffer_load_dword v82, off, s[20:23], 0 offset:52 ; 4-byte Folded Reload
	;; [unrolled: 1-line block ×4, first 2 shown]
	s_waitcnt lgkmcnt(0)
	v_mul_f64 v[103:104], v[101:102], v[89:90]
	v_fma_f64 v[103:104], v[99:100], v[97:98], -v[103:104]
	v_mul_f64 v[99:100], v[99:100], v[89:90]
	v_fma_f64 v[99:100], v[101:102], v[97:98], v[99:100]
	s_waitcnt vmcnt(2)
	v_add_f64 v[81:82], v[81:82], -v[103:104]
	s_waitcnt vmcnt(0)
	v_add_f64 v[83:84], v[83:84], -v[99:100]
	buffer_store_dword v81, off, s[20:23], 0 offset:48 ; 4-byte Folded Spill
	s_nop 0
	buffer_store_dword v82, off, s[20:23], 0 offset:52 ; 4-byte Folded Spill
	buffer_store_dword v83, off, s[20:23], 0 offset:56 ; 4-byte Folded Spill
	;; [unrolled: 1-line block ×3, first 2 shown]
	ds_read2_b64 v[99:102], v125 offset0:38 offset1:39
	s_waitcnt lgkmcnt(0)
	v_mul_f64 v[103:104], v[101:102], v[89:90]
	v_fma_f64 v[103:104], v[99:100], v[97:98], -v[103:104]
	v_mul_f64 v[99:100], v[99:100], v[89:90]
	v_add_f64 v[77:78], v[77:78], -v[103:104]
	v_fma_f64 v[99:100], v[101:102], v[97:98], v[99:100]
	v_add_f64 v[79:80], v[79:80], -v[99:100]
	ds_read2_b64 v[99:102], v125 offset0:40 offset1:41
	s_waitcnt lgkmcnt(0)
	v_mul_f64 v[103:104], v[101:102], v[89:90]
	v_fma_f64 v[103:104], v[99:100], v[97:98], -v[103:104]
	v_mul_f64 v[99:100], v[99:100], v[89:90]
	v_add_f64 v[93:94], v[93:94], -v[103:104]
	v_fma_f64 v[99:100], v[101:102], v[97:98], v[99:100]
	v_add_f64 v[95:96], v[95:96], -v[99:100]
	ds_read2_b64 v[99:102], v125 offset0:42 offset1:43
	buffer_load_dword v85, off, s[20:23], 0 offset:32 ; 4-byte Folded Reload
	buffer_load_dword v86, off, s[20:23], 0 offset:36 ; 4-byte Folded Reload
	buffer_load_dword v87, off, s[20:23], 0 offset:40 ; 4-byte Folded Reload
	buffer_load_dword v88, off, s[20:23], 0 offset:44 ; 4-byte Folded Reload
	s_waitcnt lgkmcnt(0)
	v_mul_f64 v[103:104], v[101:102], v[89:90]
	v_fma_f64 v[103:104], v[99:100], v[97:98], -v[103:104]
	v_mul_f64 v[99:100], v[99:100], v[89:90]
	v_fma_f64 v[99:100], v[101:102], v[97:98], v[99:100]
	s_waitcnt vmcnt(2)
	v_add_f64 v[85:86], v[85:86], -v[103:104]
	s_waitcnt vmcnt(0)
	v_add_f64 v[87:88], v[87:88], -v[99:100]
	buffer_store_dword v85, off, s[20:23], 0 offset:32 ; 4-byte Folded Spill
	s_nop 0
	buffer_store_dword v86, off, s[20:23], 0 offset:36 ; 4-byte Folded Spill
	buffer_store_dword v87, off, s[20:23], 0 offset:40 ; 4-byte Folded Spill
	;; [unrolled: 1-line block ×3, first 2 shown]
	ds_read2_b64 v[99:102], v125 offset0:44 offset1:45
	buffer_load_dword v73, off, s[20:23], 0 offset:16 ; 4-byte Folded Reload
	buffer_load_dword v74, off, s[20:23], 0 offset:20 ; 4-byte Folded Reload
	;; [unrolled: 1-line block ×4, first 2 shown]
	v_mov_b32_e32 v87, v97
	v_mov_b32_e32 v88, v98
	s_waitcnt lgkmcnt(0)
	v_mul_f64 v[103:104], v[101:102], v[89:90]
	v_fma_f64 v[103:104], v[99:100], v[97:98], -v[103:104]
	v_mul_f64 v[99:100], v[99:100], v[89:90]
	v_fma_f64 v[99:100], v[101:102], v[97:98], v[99:100]
	s_waitcnt vmcnt(2)
	v_add_f64 v[73:74], v[73:74], -v[103:104]
	s_waitcnt vmcnt(0)
	v_add_f64 v[75:76], v[75:76], -v[99:100]
	buffer_store_dword v73, off, s[20:23], 0 offset:16 ; 4-byte Folded Spill
	s_nop 0
	buffer_store_dword v74, off, s[20:23], 0 offset:20 ; 4-byte Folded Spill
	buffer_store_dword v75, off, s[20:23], 0 offset:24 ; 4-byte Folded Spill
	;; [unrolled: 1-line block ×3, first 2 shown]
	ds_read2_b64 v[99:102], v125 offset0:46 offset1:47
	buffer_load_dword v69, off, s[20:23], 0 ; 4-byte Folded Reload
	buffer_load_dword v70, off, s[20:23], 0 offset:4 ; 4-byte Folded Reload
	buffer_load_dword v71, off, s[20:23], 0 offset:8 ; 4-byte Folded Reload
	;; [unrolled: 1-line block ×3, first 2 shown]
	s_waitcnt lgkmcnt(0)
	v_mul_f64 v[103:104], v[101:102], v[89:90]
	v_fma_f64 v[103:104], v[99:100], v[97:98], -v[103:104]
	v_mul_f64 v[99:100], v[99:100], v[89:90]
	v_fma_f64 v[99:100], v[101:102], v[97:98], v[99:100]
	s_waitcnt vmcnt(2)
	v_add_f64 v[69:70], v[69:70], -v[103:104]
	s_waitcnt vmcnt(0)
	v_add_f64 v[71:72], v[71:72], -v[99:100]
	buffer_store_dword v69, off, s[20:23], 0 ; 4-byte Folded Spill
	s_nop 0
	buffer_store_dword v70, off, s[20:23], 0 offset:4 ; 4-byte Folded Spill
	buffer_store_dword v71, off, s[20:23], 0 offset:8 ; 4-byte Folded Spill
	;; [unrolled: 1-line block ×3, first 2 shown]
	ds_read2_b64 v[99:102], v125 offset0:48 offset1:49
	s_waitcnt lgkmcnt(0)
	v_mul_f64 v[103:104], v[101:102], v[89:90]
	v_fma_f64 v[103:104], v[99:100], v[97:98], -v[103:104]
	v_mul_f64 v[99:100], v[99:100], v[89:90]
	v_add_f64 v[65:66], v[65:66], -v[103:104]
	v_fma_f64 v[99:100], v[101:102], v[97:98], v[99:100]
	v_add_f64 v[67:68], v[67:68], -v[99:100]
	ds_read2_b64 v[99:102], v125 offset0:50 offset1:51
	s_waitcnt lgkmcnt(0)
	v_mul_f64 v[103:104], v[101:102], v[89:90]
	v_fma_f64 v[103:104], v[99:100], v[97:98], -v[103:104]
	v_mul_f64 v[99:100], v[99:100], v[89:90]
	v_add_f64 v[61:62], v[61:62], -v[103:104]
	v_fma_f64 v[99:100], v[101:102], v[97:98], v[99:100]
	v_add_f64 v[63:64], v[63:64], -v[99:100]
	;; [unrolled: 8-line block ×17, first 2 shown]
	ds_read2_b64 v[99:102], v125 offset0:82 offset1:83
	s_waitcnt lgkmcnt(0)
	v_mul_f64 v[103:104], v[101:102], v[89:90]
	v_fma_f64 v[103:104], v[99:100], v[97:98], -v[103:104]
	v_mul_f64 v[99:100], v[99:100], v[89:90]
	buffer_store_dword v87, off, s[20:23], 0 offset:256 ; 4-byte Folded Spill
	s_nop 0
	buffer_store_dword v88, off, s[20:23], 0 offset:260 ; 4-byte Folded Spill
	buffer_store_dword v89, off, s[20:23], 0 offset:264 ; 4-byte Folded Spill
	;; [unrolled: 1-line block ×3, first 2 shown]
	v_add_f64 v[121:122], v[121:122], -v[103:104]
	v_fma_f64 v[99:100], v[101:102], v[97:98], v[99:100]
	v_add_f64 v[123:124], v[123:124], -v[99:100]
.LBB83_37:
	s_or_b64 exec, exec, s[2:3]
	v_cmp_eq_u32_e32 vcc, 4, v0
	s_waitcnt vmcnt(0)
	s_barrier
	s_and_saveexec_b64 s[4:5], vcc
	s_cbranch_execz .LBB83_44
; %bb.38:
	buffer_load_dword v81, off, s[20:23], 0 offset:240 ; 4-byte Folded Reload
	buffer_load_dword v82, off, s[20:23], 0 offset:244 ; 4-byte Folded Reload
	;; [unrolled: 1-line block ×4, first 2 shown]
	s_waitcnt vmcnt(0)
	ds_write2_b64 v127, v[81:82], v[83:84] offset1:1
	buffer_load_dword v81, off, s[20:23], 0 offset:224 ; 4-byte Folded Reload
	buffer_load_dword v82, off, s[20:23], 0 offset:228 ; 4-byte Folded Reload
	buffer_load_dword v83, off, s[20:23], 0 offset:232 ; 4-byte Folded Reload
	buffer_load_dword v84, off, s[20:23], 0 offset:236 ; 4-byte Folded Reload
	s_waitcnt vmcnt(0)
	ds_write2_b64 v125, v[81:82], v[83:84] offset0:10 offset1:11
	buffer_load_dword v81, off, s[20:23], 0 offset:208 ; 4-byte Folded Reload
	buffer_load_dword v82, off, s[20:23], 0 offset:212 ; 4-byte Folded Reload
	buffer_load_dword v83, off, s[20:23], 0 offset:216 ; 4-byte Folded Reload
	buffer_load_dword v84, off, s[20:23], 0 offset:220 ; 4-byte Folded Reload
	s_waitcnt vmcnt(0)
	ds_write2_b64 v125, v[81:82], v[83:84] offset0:12 offset1:13
	;; [unrolled: 6-line block ×11, first 2 shown]
	ds_write2_b64 v125, v[117:118], v[119:120] offset0:32 offset1:33
	ds_write2_b64 v125, v[113:114], v[115:116] offset0:34 offset1:35
	buffer_load_dword v81, off, s[20:23], 0 offset:48 ; 4-byte Folded Reload
	buffer_load_dword v82, off, s[20:23], 0 offset:52 ; 4-byte Folded Reload
	;; [unrolled: 1-line block ×4, first 2 shown]
	s_waitcnt vmcnt(0)
	ds_write2_b64 v125, v[81:82], v[83:84] offset0:36 offset1:37
	ds_write2_b64 v125, v[77:78], v[79:80] offset0:38 offset1:39
	;; [unrolled: 1-line block ×3, first 2 shown]
	buffer_load_dword v85, off, s[20:23], 0 offset:32 ; 4-byte Folded Reload
	buffer_load_dword v86, off, s[20:23], 0 offset:36 ; 4-byte Folded Reload
	;; [unrolled: 1-line block ×4, first 2 shown]
	s_waitcnt vmcnt(0)
	ds_write2_b64 v125, v[85:86], v[87:88] offset0:42 offset1:43
	buffer_load_dword v73, off, s[20:23], 0 offset:16 ; 4-byte Folded Reload
	buffer_load_dword v74, off, s[20:23], 0 offset:20 ; 4-byte Folded Reload
	;; [unrolled: 1-line block ×4, first 2 shown]
	s_waitcnt vmcnt(0)
	ds_write2_b64 v125, v[73:74], v[75:76] offset0:44 offset1:45
	buffer_load_dword v69, off, s[20:23], 0 ; 4-byte Folded Reload
	buffer_load_dword v70, off, s[20:23], 0 offset:4 ; 4-byte Folded Reload
	buffer_load_dword v71, off, s[20:23], 0 offset:8 ; 4-byte Folded Reload
	;; [unrolled: 1-line block ×3, first 2 shown]
	s_waitcnt vmcnt(0)
	ds_write2_b64 v125, v[69:70], v[71:72] offset0:46 offset1:47
	ds_write2_b64 v125, v[65:66], v[67:68] offset0:48 offset1:49
	;; [unrolled: 1-line block ×19, first 2 shown]
	ds_read2_b64 v[97:100], v127 offset1:1
	s_waitcnt lgkmcnt(0)
	v_cmp_neq_f64_e32 vcc, 0, v[97:98]
	v_cmp_neq_f64_e64 s[2:3], 0, v[99:100]
	s_or_b64 s[2:3], vcc, s[2:3]
	s_and_b64 exec, exec, s[2:3]
	s_cbranch_execz .LBB83_44
; %bb.39:
	v_cmp_ngt_f64_e64 s[2:3], |v[97:98]|, |v[99:100]|
                                        ; implicit-def: $vgpr101_vgpr102
	s_and_saveexec_b64 s[6:7], s[2:3]
	s_xor_b64 s[2:3], exec, s[6:7]
                                        ; implicit-def: $vgpr103_vgpr104
	s_cbranch_execz .LBB83_41
; %bb.40:
	v_div_scale_f64 v[101:102], s[6:7], v[99:100], v[99:100], v[97:98]
	v_rcp_f64_e32 v[103:104], v[101:102]
	v_fma_f64 v[105:106], -v[101:102], v[103:104], 1.0
	v_fma_f64 v[103:104], v[103:104], v[105:106], v[103:104]
	v_div_scale_f64 v[105:106], vcc, v[97:98], v[99:100], v[97:98]
	v_fma_f64 v[107:108], -v[101:102], v[103:104], 1.0
	v_fma_f64 v[103:104], v[103:104], v[107:108], v[103:104]
	v_mul_f64 v[107:108], v[105:106], v[103:104]
	v_fma_f64 v[101:102], -v[101:102], v[107:108], v[105:106]
	v_div_fmas_f64 v[101:102], v[101:102], v[103:104], v[107:108]
	v_div_fixup_f64 v[101:102], v[101:102], v[99:100], v[97:98]
	v_fma_f64 v[97:98], v[97:98], v[101:102], v[99:100]
	v_div_scale_f64 v[99:100], s[6:7], v[97:98], v[97:98], 1.0
	v_div_scale_f64 v[107:108], vcc, 1.0, v[97:98], 1.0
	v_rcp_f64_e32 v[103:104], v[99:100]
	v_fma_f64 v[105:106], -v[99:100], v[103:104], 1.0
	v_fma_f64 v[103:104], v[103:104], v[105:106], v[103:104]
	v_fma_f64 v[105:106], -v[99:100], v[103:104], 1.0
	v_fma_f64 v[103:104], v[103:104], v[105:106], v[103:104]
	v_mul_f64 v[105:106], v[107:108], v[103:104]
	v_fma_f64 v[99:100], -v[99:100], v[105:106], v[107:108]
	v_div_fmas_f64 v[99:100], v[99:100], v[103:104], v[105:106]
	v_div_fixup_f64 v[103:104], v[99:100], v[97:98], 1.0
                                        ; implicit-def: $vgpr97_vgpr98
	v_mul_f64 v[101:102], v[101:102], v[103:104]
	v_xor_b32_e32 v104, 0x80000000, v104
.LBB83_41:
	s_andn2_saveexec_b64 s[2:3], s[2:3]
	s_cbranch_execz .LBB83_43
; %bb.42:
	v_div_scale_f64 v[101:102], s[6:7], v[97:98], v[97:98], v[99:100]
	v_rcp_f64_e32 v[103:104], v[101:102]
	v_fma_f64 v[105:106], -v[101:102], v[103:104], 1.0
	v_fma_f64 v[103:104], v[103:104], v[105:106], v[103:104]
	v_div_scale_f64 v[105:106], vcc, v[99:100], v[97:98], v[99:100]
	v_fma_f64 v[107:108], -v[101:102], v[103:104], 1.0
	v_fma_f64 v[103:104], v[103:104], v[107:108], v[103:104]
	v_mul_f64 v[107:108], v[105:106], v[103:104]
	v_fma_f64 v[101:102], -v[101:102], v[107:108], v[105:106]
	v_div_fmas_f64 v[101:102], v[101:102], v[103:104], v[107:108]
	v_div_fixup_f64 v[103:104], v[101:102], v[97:98], v[99:100]
	v_fma_f64 v[97:98], v[99:100], v[103:104], v[97:98]
	v_div_scale_f64 v[99:100], s[6:7], v[97:98], v[97:98], 1.0
	v_div_scale_f64 v[107:108], vcc, 1.0, v[97:98], 1.0
	v_rcp_f64_e32 v[101:102], v[99:100]
	v_fma_f64 v[105:106], -v[99:100], v[101:102], 1.0
	v_fma_f64 v[101:102], v[101:102], v[105:106], v[101:102]
	v_fma_f64 v[105:106], -v[99:100], v[101:102], 1.0
	v_fma_f64 v[101:102], v[101:102], v[105:106], v[101:102]
	v_mul_f64 v[105:106], v[107:108], v[101:102]
	v_fma_f64 v[99:100], -v[99:100], v[105:106], v[107:108]
	v_div_fmas_f64 v[99:100], v[99:100], v[101:102], v[105:106]
	v_div_fixup_f64 v[101:102], v[99:100], v[97:98], 1.0
	v_mul_f64 v[103:104], v[103:104], -v[101:102]
.LBB83_43:
	s_or_b64 exec, exec, s[2:3]
	ds_write2_b64 v127, v[101:102], v[103:104] offset1:1
.LBB83_44:
	s_or_b64 exec, exec, s[4:5]
	s_waitcnt lgkmcnt(0)
	s_barrier
	ds_read2_b64 v[81:84], v127 offset1:1
	v_cmp_lt_u32_e32 vcc, 4, v0
	s_waitcnt lgkmcnt(0)
	buffer_store_dword v81, off, s[20:23], 0 offset:744 ; 4-byte Folded Spill
	s_nop 0
	buffer_store_dword v82, off, s[20:23], 0 offset:748 ; 4-byte Folded Spill
	buffer_store_dword v83, off, s[20:23], 0 offset:752 ; 4-byte Folded Spill
	;; [unrolled: 1-line block ×3, first 2 shown]
	s_and_saveexec_b64 s[2:3], vcc
	s_cbranch_execz .LBB83_46
; %bb.45:
	buffer_load_dword v87, off, s[20:23], 0 offset:240 ; 4-byte Folded Reload
	buffer_load_dword v88, off, s[20:23], 0 offset:244 ; 4-byte Folded Reload
	;; [unrolled: 1-line block ×8, first 2 shown]
	s_waitcnt vmcnt(2)
	v_mul_f64 v[99:100], v[81:82], v[89:90]
	s_waitcnt vmcnt(0)
	v_mul_f64 v[97:98], v[83:84], v[89:90]
	v_fma_f64 v[89:90], v[83:84], v[87:88], v[99:100]
	ds_read2_b64 v[99:102], v125 offset0:10 offset1:11
	v_fma_f64 v[97:98], v[81:82], v[87:88], -v[97:98]
	buffer_load_dword v81, off, s[20:23], 0 offset:224 ; 4-byte Folded Reload
	buffer_load_dword v82, off, s[20:23], 0 offset:228 ; 4-byte Folded Reload
	buffer_load_dword v83, off, s[20:23], 0 offset:232 ; 4-byte Folded Reload
	buffer_load_dword v84, off, s[20:23], 0 offset:236 ; 4-byte Folded Reload
	s_waitcnt lgkmcnt(0)
	v_mul_f64 v[103:104], v[101:102], v[89:90]
	v_fma_f64 v[103:104], v[99:100], v[97:98], -v[103:104]
	v_mul_f64 v[99:100], v[99:100], v[89:90]
	v_fma_f64 v[99:100], v[101:102], v[97:98], v[99:100]
	s_waitcnt vmcnt(2)
	v_add_f64 v[81:82], v[81:82], -v[103:104]
	s_waitcnt vmcnt(0)
	v_add_f64 v[83:84], v[83:84], -v[99:100]
	buffer_store_dword v81, off, s[20:23], 0 offset:224 ; 4-byte Folded Spill
	s_nop 0
	buffer_store_dword v82, off, s[20:23], 0 offset:228 ; 4-byte Folded Spill
	buffer_store_dword v83, off, s[20:23], 0 offset:232 ; 4-byte Folded Spill
	buffer_store_dword v84, off, s[20:23], 0 offset:236 ; 4-byte Folded Spill
	ds_read2_b64 v[99:102], v125 offset0:12 offset1:13
	buffer_load_dword v81, off, s[20:23], 0 offset:208 ; 4-byte Folded Reload
	buffer_load_dword v82, off, s[20:23], 0 offset:212 ; 4-byte Folded Reload
	buffer_load_dword v83, off, s[20:23], 0 offset:216 ; 4-byte Folded Reload
	buffer_load_dword v84, off, s[20:23], 0 offset:220 ; 4-byte Folded Reload
	s_waitcnt lgkmcnt(0)
	v_mul_f64 v[103:104], v[101:102], v[89:90]
	v_fma_f64 v[103:104], v[99:100], v[97:98], -v[103:104]
	v_mul_f64 v[99:100], v[99:100], v[89:90]
	v_fma_f64 v[99:100], v[101:102], v[97:98], v[99:100]
	s_waitcnt vmcnt(2)
	v_add_f64 v[81:82], v[81:82], -v[103:104]
	s_waitcnt vmcnt(0)
	v_add_f64 v[83:84], v[83:84], -v[99:100]
	buffer_store_dword v81, off, s[20:23], 0 offset:208 ; 4-byte Folded Spill
	s_nop 0
	buffer_store_dword v82, off, s[20:23], 0 offset:212 ; 4-byte Folded Spill
	buffer_store_dword v83, off, s[20:23], 0 offset:216 ; 4-byte Folded Spill
	buffer_store_dword v84, off, s[20:23], 0 offset:220 ; 4-byte Folded Spill
	ds_read2_b64 v[99:102], v125 offset0:14 offset1:15
	;; [unrolled: 19-line block ×11, first 2 shown]
	s_waitcnt lgkmcnt(0)
	v_mul_f64 v[103:104], v[101:102], v[89:90]
	v_fma_f64 v[103:104], v[99:100], v[97:98], -v[103:104]
	v_mul_f64 v[99:100], v[99:100], v[89:90]
	v_add_f64 v[117:118], v[117:118], -v[103:104]
	v_fma_f64 v[99:100], v[101:102], v[97:98], v[99:100]
	v_add_f64 v[119:120], v[119:120], -v[99:100]
	ds_read2_b64 v[99:102], v125 offset0:34 offset1:35
	s_waitcnt lgkmcnt(0)
	v_mul_f64 v[103:104], v[101:102], v[89:90]
	v_fma_f64 v[103:104], v[99:100], v[97:98], -v[103:104]
	v_mul_f64 v[99:100], v[99:100], v[89:90]
	v_add_f64 v[113:114], v[113:114], -v[103:104]
	v_fma_f64 v[99:100], v[101:102], v[97:98], v[99:100]
	v_add_f64 v[115:116], v[115:116], -v[99:100]
	ds_read2_b64 v[99:102], v125 offset0:36 offset1:37
	buffer_load_dword v81, off, s[20:23], 0 offset:48 ; 4-byte Folded Reload
	buffer_load_dword v82, off, s[20:23], 0 offset:52 ; 4-byte Folded Reload
	;; [unrolled: 1-line block ×4, first 2 shown]
	s_waitcnt lgkmcnt(0)
	v_mul_f64 v[103:104], v[101:102], v[89:90]
	v_fma_f64 v[103:104], v[99:100], v[97:98], -v[103:104]
	v_mul_f64 v[99:100], v[99:100], v[89:90]
	v_fma_f64 v[99:100], v[101:102], v[97:98], v[99:100]
	s_waitcnt vmcnt(2)
	v_add_f64 v[81:82], v[81:82], -v[103:104]
	s_waitcnt vmcnt(0)
	v_add_f64 v[83:84], v[83:84], -v[99:100]
	buffer_store_dword v81, off, s[20:23], 0 offset:48 ; 4-byte Folded Spill
	s_nop 0
	buffer_store_dword v82, off, s[20:23], 0 offset:52 ; 4-byte Folded Spill
	buffer_store_dword v83, off, s[20:23], 0 offset:56 ; 4-byte Folded Spill
	;; [unrolled: 1-line block ×3, first 2 shown]
	ds_read2_b64 v[99:102], v125 offset0:38 offset1:39
	s_waitcnt lgkmcnt(0)
	v_mul_f64 v[103:104], v[101:102], v[89:90]
	v_fma_f64 v[103:104], v[99:100], v[97:98], -v[103:104]
	v_mul_f64 v[99:100], v[99:100], v[89:90]
	v_add_f64 v[77:78], v[77:78], -v[103:104]
	v_fma_f64 v[99:100], v[101:102], v[97:98], v[99:100]
	v_add_f64 v[79:80], v[79:80], -v[99:100]
	ds_read2_b64 v[99:102], v125 offset0:40 offset1:41
	s_waitcnt lgkmcnt(0)
	v_mul_f64 v[103:104], v[101:102], v[89:90]
	v_fma_f64 v[103:104], v[99:100], v[97:98], -v[103:104]
	v_mul_f64 v[99:100], v[99:100], v[89:90]
	v_add_f64 v[93:94], v[93:94], -v[103:104]
	v_fma_f64 v[99:100], v[101:102], v[97:98], v[99:100]
	v_add_f64 v[95:96], v[95:96], -v[99:100]
	ds_read2_b64 v[99:102], v125 offset0:42 offset1:43
	buffer_load_dword v85, off, s[20:23], 0 offset:32 ; 4-byte Folded Reload
	buffer_load_dword v86, off, s[20:23], 0 offset:36 ; 4-byte Folded Reload
	;; [unrolled: 1-line block ×4, first 2 shown]
	s_waitcnt lgkmcnt(0)
	v_mul_f64 v[103:104], v[101:102], v[89:90]
	v_fma_f64 v[103:104], v[99:100], v[97:98], -v[103:104]
	v_mul_f64 v[99:100], v[99:100], v[89:90]
	v_fma_f64 v[99:100], v[101:102], v[97:98], v[99:100]
	s_waitcnt vmcnt(2)
	v_add_f64 v[85:86], v[85:86], -v[103:104]
	s_waitcnt vmcnt(0)
	v_add_f64 v[87:88], v[87:88], -v[99:100]
	buffer_store_dword v85, off, s[20:23], 0 offset:32 ; 4-byte Folded Spill
	s_nop 0
	buffer_store_dword v86, off, s[20:23], 0 offset:36 ; 4-byte Folded Spill
	buffer_store_dword v87, off, s[20:23], 0 offset:40 ; 4-byte Folded Spill
	buffer_store_dword v88, off, s[20:23], 0 offset:44 ; 4-byte Folded Spill
	ds_read2_b64 v[99:102], v125 offset0:44 offset1:45
	buffer_load_dword v73, off, s[20:23], 0 offset:16 ; 4-byte Folded Reload
	buffer_load_dword v74, off, s[20:23], 0 offset:20 ; 4-byte Folded Reload
	;; [unrolled: 1-line block ×4, first 2 shown]
	v_mov_b32_e32 v87, v97
	v_mov_b32_e32 v88, v98
	s_waitcnt lgkmcnt(0)
	v_mul_f64 v[103:104], v[101:102], v[89:90]
	v_fma_f64 v[103:104], v[99:100], v[97:98], -v[103:104]
	v_mul_f64 v[99:100], v[99:100], v[89:90]
	v_fma_f64 v[99:100], v[101:102], v[97:98], v[99:100]
	s_waitcnt vmcnt(2)
	v_add_f64 v[73:74], v[73:74], -v[103:104]
	s_waitcnt vmcnt(0)
	v_add_f64 v[75:76], v[75:76], -v[99:100]
	buffer_store_dword v73, off, s[20:23], 0 offset:16 ; 4-byte Folded Spill
	s_nop 0
	buffer_store_dword v74, off, s[20:23], 0 offset:20 ; 4-byte Folded Spill
	buffer_store_dword v75, off, s[20:23], 0 offset:24 ; 4-byte Folded Spill
	;; [unrolled: 1-line block ×3, first 2 shown]
	ds_read2_b64 v[99:102], v125 offset0:46 offset1:47
	buffer_load_dword v69, off, s[20:23], 0 ; 4-byte Folded Reload
	buffer_load_dword v70, off, s[20:23], 0 offset:4 ; 4-byte Folded Reload
	buffer_load_dword v71, off, s[20:23], 0 offset:8 ; 4-byte Folded Reload
	;; [unrolled: 1-line block ×3, first 2 shown]
	s_waitcnt lgkmcnt(0)
	v_mul_f64 v[103:104], v[101:102], v[89:90]
	v_fma_f64 v[103:104], v[99:100], v[97:98], -v[103:104]
	v_mul_f64 v[99:100], v[99:100], v[89:90]
	v_fma_f64 v[99:100], v[101:102], v[97:98], v[99:100]
	s_waitcnt vmcnt(2)
	v_add_f64 v[69:70], v[69:70], -v[103:104]
	s_waitcnt vmcnt(0)
	v_add_f64 v[71:72], v[71:72], -v[99:100]
	buffer_store_dword v69, off, s[20:23], 0 ; 4-byte Folded Spill
	s_nop 0
	buffer_store_dword v70, off, s[20:23], 0 offset:4 ; 4-byte Folded Spill
	buffer_store_dword v71, off, s[20:23], 0 offset:8 ; 4-byte Folded Spill
	buffer_store_dword v72, off, s[20:23], 0 offset:12 ; 4-byte Folded Spill
	ds_read2_b64 v[99:102], v125 offset0:48 offset1:49
	s_waitcnt lgkmcnt(0)
	v_mul_f64 v[103:104], v[101:102], v[89:90]
	v_fma_f64 v[103:104], v[99:100], v[97:98], -v[103:104]
	v_mul_f64 v[99:100], v[99:100], v[89:90]
	v_add_f64 v[65:66], v[65:66], -v[103:104]
	v_fma_f64 v[99:100], v[101:102], v[97:98], v[99:100]
	v_add_f64 v[67:68], v[67:68], -v[99:100]
	ds_read2_b64 v[99:102], v125 offset0:50 offset1:51
	s_waitcnt lgkmcnt(0)
	v_mul_f64 v[103:104], v[101:102], v[89:90]
	v_fma_f64 v[103:104], v[99:100], v[97:98], -v[103:104]
	v_mul_f64 v[99:100], v[99:100], v[89:90]
	v_add_f64 v[61:62], v[61:62], -v[103:104]
	v_fma_f64 v[99:100], v[101:102], v[97:98], v[99:100]
	v_add_f64 v[63:64], v[63:64], -v[99:100]
	;; [unrolled: 8-line block ×17, first 2 shown]
	ds_read2_b64 v[99:102], v125 offset0:82 offset1:83
	s_waitcnt lgkmcnt(0)
	v_mul_f64 v[103:104], v[101:102], v[89:90]
	v_fma_f64 v[103:104], v[99:100], v[97:98], -v[103:104]
	v_mul_f64 v[99:100], v[99:100], v[89:90]
	buffer_store_dword v87, off, s[20:23], 0 offset:240 ; 4-byte Folded Spill
	s_nop 0
	buffer_store_dword v88, off, s[20:23], 0 offset:244 ; 4-byte Folded Spill
	buffer_store_dword v89, off, s[20:23], 0 offset:248 ; 4-byte Folded Spill
	;; [unrolled: 1-line block ×3, first 2 shown]
	v_add_f64 v[121:122], v[121:122], -v[103:104]
	v_fma_f64 v[99:100], v[101:102], v[97:98], v[99:100]
	v_add_f64 v[123:124], v[123:124], -v[99:100]
.LBB83_46:
	s_or_b64 exec, exec, s[2:3]
	v_cmp_eq_u32_e32 vcc, 5, v0
	s_waitcnt vmcnt(0)
	s_barrier
	s_and_saveexec_b64 s[4:5], vcc
	s_cbranch_execz .LBB83_53
; %bb.47:
	buffer_load_dword v81, off, s[20:23], 0 offset:224 ; 4-byte Folded Reload
	buffer_load_dword v82, off, s[20:23], 0 offset:228 ; 4-byte Folded Reload
	;; [unrolled: 1-line block ×4, first 2 shown]
	s_waitcnt vmcnt(0)
	ds_write2_b64 v127, v[81:82], v[83:84] offset1:1
	buffer_load_dword v81, off, s[20:23], 0 offset:208 ; 4-byte Folded Reload
	buffer_load_dword v82, off, s[20:23], 0 offset:212 ; 4-byte Folded Reload
	buffer_load_dword v83, off, s[20:23], 0 offset:216 ; 4-byte Folded Reload
	buffer_load_dword v84, off, s[20:23], 0 offset:220 ; 4-byte Folded Reload
	s_waitcnt vmcnt(0)
	ds_write2_b64 v125, v[81:82], v[83:84] offset0:12 offset1:13
	buffer_load_dword v81, off, s[20:23], 0 offset:192 ; 4-byte Folded Reload
	buffer_load_dword v82, off, s[20:23], 0 offset:196 ; 4-byte Folded Reload
	buffer_load_dword v83, off, s[20:23], 0 offset:200 ; 4-byte Folded Reload
	buffer_load_dword v84, off, s[20:23], 0 offset:204 ; 4-byte Folded Reload
	s_waitcnt vmcnt(0)
	ds_write2_b64 v125, v[81:82], v[83:84] offset0:14 offset1:15
	;; [unrolled: 6-line block ×10, first 2 shown]
	ds_write2_b64 v125, v[117:118], v[119:120] offset0:32 offset1:33
	ds_write2_b64 v125, v[113:114], v[115:116] offset0:34 offset1:35
	buffer_load_dword v81, off, s[20:23], 0 offset:48 ; 4-byte Folded Reload
	buffer_load_dword v82, off, s[20:23], 0 offset:52 ; 4-byte Folded Reload
	;; [unrolled: 1-line block ×4, first 2 shown]
	s_waitcnt vmcnt(0)
	ds_write2_b64 v125, v[81:82], v[83:84] offset0:36 offset1:37
	ds_write2_b64 v125, v[77:78], v[79:80] offset0:38 offset1:39
	;; [unrolled: 1-line block ×3, first 2 shown]
	buffer_load_dword v85, off, s[20:23], 0 offset:32 ; 4-byte Folded Reload
	buffer_load_dword v86, off, s[20:23], 0 offset:36 ; 4-byte Folded Reload
	;; [unrolled: 1-line block ×4, first 2 shown]
	s_waitcnt vmcnt(0)
	ds_write2_b64 v125, v[85:86], v[87:88] offset0:42 offset1:43
	buffer_load_dword v73, off, s[20:23], 0 offset:16 ; 4-byte Folded Reload
	buffer_load_dword v74, off, s[20:23], 0 offset:20 ; 4-byte Folded Reload
	buffer_load_dword v75, off, s[20:23], 0 offset:24 ; 4-byte Folded Reload
	buffer_load_dword v76, off, s[20:23], 0 offset:28 ; 4-byte Folded Reload
	s_waitcnt vmcnt(0)
	ds_write2_b64 v125, v[73:74], v[75:76] offset0:44 offset1:45
	buffer_load_dword v69, off, s[20:23], 0 ; 4-byte Folded Reload
	buffer_load_dword v70, off, s[20:23], 0 offset:4 ; 4-byte Folded Reload
	buffer_load_dword v71, off, s[20:23], 0 offset:8 ; 4-byte Folded Reload
	;; [unrolled: 1-line block ×3, first 2 shown]
	s_waitcnt vmcnt(0)
	ds_write2_b64 v125, v[69:70], v[71:72] offset0:46 offset1:47
	ds_write2_b64 v125, v[65:66], v[67:68] offset0:48 offset1:49
	;; [unrolled: 1-line block ×19, first 2 shown]
	ds_read2_b64 v[97:100], v127 offset1:1
	s_waitcnt lgkmcnt(0)
	v_cmp_neq_f64_e32 vcc, 0, v[97:98]
	v_cmp_neq_f64_e64 s[2:3], 0, v[99:100]
	s_or_b64 s[2:3], vcc, s[2:3]
	s_and_b64 exec, exec, s[2:3]
	s_cbranch_execz .LBB83_53
; %bb.48:
	v_cmp_ngt_f64_e64 s[2:3], |v[97:98]|, |v[99:100]|
                                        ; implicit-def: $vgpr101_vgpr102
	s_and_saveexec_b64 s[6:7], s[2:3]
	s_xor_b64 s[2:3], exec, s[6:7]
                                        ; implicit-def: $vgpr103_vgpr104
	s_cbranch_execz .LBB83_50
; %bb.49:
	v_div_scale_f64 v[101:102], s[6:7], v[99:100], v[99:100], v[97:98]
	v_rcp_f64_e32 v[103:104], v[101:102]
	v_fma_f64 v[105:106], -v[101:102], v[103:104], 1.0
	v_fma_f64 v[103:104], v[103:104], v[105:106], v[103:104]
	v_div_scale_f64 v[105:106], vcc, v[97:98], v[99:100], v[97:98]
	v_fma_f64 v[107:108], -v[101:102], v[103:104], 1.0
	v_fma_f64 v[103:104], v[103:104], v[107:108], v[103:104]
	v_mul_f64 v[107:108], v[105:106], v[103:104]
	v_fma_f64 v[101:102], -v[101:102], v[107:108], v[105:106]
	v_div_fmas_f64 v[101:102], v[101:102], v[103:104], v[107:108]
	v_div_fixup_f64 v[101:102], v[101:102], v[99:100], v[97:98]
	v_fma_f64 v[97:98], v[97:98], v[101:102], v[99:100]
	v_div_scale_f64 v[99:100], s[6:7], v[97:98], v[97:98], 1.0
	v_div_scale_f64 v[107:108], vcc, 1.0, v[97:98], 1.0
	v_rcp_f64_e32 v[103:104], v[99:100]
	v_fma_f64 v[105:106], -v[99:100], v[103:104], 1.0
	v_fma_f64 v[103:104], v[103:104], v[105:106], v[103:104]
	v_fma_f64 v[105:106], -v[99:100], v[103:104], 1.0
	v_fma_f64 v[103:104], v[103:104], v[105:106], v[103:104]
	v_mul_f64 v[105:106], v[107:108], v[103:104]
	v_fma_f64 v[99:100], -v[99:100], v[105:106], v[107:108]
	v_div_fmas_f64 v[99:100], v[99:100], v[103:104], v[105:106]
	v_div_fixup_f64 v[103:104], v[99:100], v[97:98], 1.0
                                        ; implicit-def: $vgpr97_vgpr98
	v_mul_f64 v[101:102], v[101:102], v[103:104]
	v_xor_b32_e32 v104, 0x80000000, v104
.LBB83_50:
	s_andn2_saveexec_b64 s[2:3], s[2:3]
	s_cbranch_execz .LBB83_52
; %bb.51:
	v_div_scale_f64 v[101:102], s[6:7], v[97:98], v[97:98], v[99:100]
	v_rcp_f64_e32 v[103:104], v[101:102]
	v_fma_f64 v[105:106], -v[101:102], v[103:104], 1.0
	v_fma_f64 v[103:104], v[103:104], v[105:106], v[103:104]
	v_div_scale_f64 v[105:106], vcc, v[99:100], v[97:98], v[99:100]
	v_fma_f64 v[107:108], -v[101:102], v[103:104], 1.0
	v_fma_f64 v[103:104], v[103:104], v[107:108], v[103:104]
	v_mul_f64 v[107:108], v[105:106], v[103:104]
	v_fma_f64 v[101:102], -v[101:102], v[107:108], v[105:106]
	v_div_fmas_f64 v[101:102], v[101:102], v[103:104], v[107:108]
	v_div_fixup_f64 v[103:104], v[101:102], v[97:98], v[99:100]
	v_fma_f64 v[97:98], v[99:100], v[103:104], v[97:98]
	v_div_scale_f64 v[99:100], s[6:7], v[97:98], v[97:98], 1.0
	v_div_scale_f64 v[107:108], vcc, 1.0, v[97:98], 1.0
	v_rcp_f64_e32 v[101:102], v[99:100]
	v_fma_f64 v[105:106], -v[99:100], v[101:102], 1.0
	v_fma_f64 v[101:102], v[101:102], v[105:106], v[101:102]
	v_fma_f64 v[105:106], -v[99:100], v[101:102], 1.0
	v_fma_f64 v[101:102], v[101:102], v[105:106], v[101:102]
	v_mul_f64 v[105:106], v[107:108], v[101:102]
	v_fma_f64 v[99:100], -v[99:100], v[105:106], v[107:108]
	v_div_fmas_f64 v[99:100], v[99:100], v[101:102], v[105:106]
	v_div_fixup_f64 v[101:102], v[99:100], v[97:98], 1.0
	v_mul_f64 v[103:104], v[103:104], -v[101:102]
.LBB83_52:
	s_or_b64 exec, exec, s[2:3]
	ds_write2_b64 v127, v[101:102], v[103:104] offset1:1
.LBB83_53:
	s_or_b64 exec, exec, s[4:5]
	s_waitcnt lgkmcnt(0)
	s_barrier
	ds_read2_b64 v[81:84], v127 offset1:1
	v_cmp_lt_u32_e32 vcc, 5, v0
	s_waitcnt lgkmcnt(0)
	buffer_store_dword v81, off, s[20:23], 0 offset:760 ; 4-byte Folded Spill
	s_nop 0
	buffer_store_dword v82, off, s[20:23], 0 offset:764 ; 4-byte Folded Spill
	buffer_store_dword v83, off, s[20:23], 0 offset:768 ; 4-byte Folded Spill
	;; [unrolled: 1-line block ×3, first 2 shown]
	s_and_saveexec_b64 s[2:3], vcc
	s_cbranch_execz .LBB83_55
; %bb.54:
	buffer_load_dword v87, off, s[20:23], 0 offset:224 ; 4-byte Folded Reload
	buffer_load_dword v88, off, s[20:23], 0 offset:228 ; 4-byte Folded Reload
	;; [unrolled: 1-line block ×8, first 2 shown]
	s_waitcnt vmcnt(2)
	v_mul_f64 v[99:100], v[81:82], v[89:90]
	s_waitcnt vmcnt(0)
	v_mul_f64 v[97:98], v[83:84], v[89:90]
	v_fma_f64 v[89:90], v[83:84], v[87:88], v[99:100]
	ds_read2_b64 v[99:102], v125 offset0:12 offset1:13
	v_fma_f64 v[97:98], v[81:82], v[87:88], -v[97:98]
	buffer_load_dword v81, off, s[20:23], 0 offset:208 ; 4-byte Folded Reload
	buffer_load_dword v82, off, s[20:23], 0 offset:212 ; 4-byte Folded Reload
	buffer_load_dword v83, off, s[20:23], 0 offset:216 ; 4-byte Folded Reload
	buffer_load_dword v84, off, s[20:23], 0 offset:220 ; 4-byte Folded Reload
	s_waitcnt lgkmcnt(0)
	v_mul_f64 v[103:104], v[101:102], v[89:90]
	v_fma_f64 v[103:104], v[99:100], v[97:98], -v[103:104]
	v_mul_f64 v[99:100], v[99:100], v[89:90]
	v_fma_f64 v[99:100], v[101:102], v[97:98], v[99:100]
	s_waitcnt vmcnt(2)
	v_add_f64 v[81:82], v[81:82], -v[103:104]
	s_waitcnt vmcnt(0)
	v_add_f64 v[83:84], v[83:84], -v[99:100]
	buffer_store_dword v81, off, s[20:23], 0 offset:208 ; 4-byte Folded Spill
	s_nop 0
	buffer_store_dword v82, off, s[20:23], 0 offset:212 ; 4-byte Folded Spill
	buffer_store_dword v83, off, s[20:23], 0 offset:216 ; 4-byte Folded Spill
	buffer_store_dword v84, off, s[20:23], 0 offset:220 ; 4-byte Folded Spill
	ds_read2_b64 v[99:102], v125 offset0:14 offset1:15
	buffer_load_dword v81, off, s[20:23], 0 offset:192 ; 4-byte Folded Reload
	buffer_load_dword v82, off, s[20:23], 0 offset:196 ; 4-byte Folded Reload
	buffer_load_dword v83, off, s[20:23], 0 offset:200 ; 4-byte Folded Reload
	buffer_load_dword v84, off, s[20:23], 0 offset:204 ; 4-byte Folded Reload
	s_waitcnt lgkmcnt(0)
	v_mul_f64 v[103:104], v[101:102], v[89:90]
	v_fma_f64 v[103:104], v[99:100], v[97:98], -v[103:104]
	v_mul_f64 v[99:100], v[99:100], v[89:90]
	v_fma_f64 v[99:100], v[101:102], v[97:98], v[99:100]
	s_waitcnt vmcnt(2)
	v_add_f64 v[81:82], v[81:82], -v[103:104]
	s_waitcnt vmcnt(0)
	v_add_f64 v[83:84], v[83:84], -v[99:100]
	buffer_store_dword v81, off, s[20:23], 0 offset:192 ; 4-byte Folded Spill
	s_nop 0
	buffer_store_dword v82, off, s[20:23], 0 offset:196 ; 4-byte Folded Spill
	buffer_store_dword v83, off, s[20:23], 0 offset:200 ; 4-byte Folded Spill
	buffer_store_dword v84, off, s[20:23], 0 offset:204 ; 4-byte Folded Spill
	ds_read2_b64 v[99:102], v125 offset0:16 offset1:17
	;; [unrolled: 19-line block ×10, first 2 shown]
	s_waitcnt lgkmcnt(0)
	v_mul_f64 v[103:104], v[101:102], v[89:90]
	v_fma_f64 v[103:104], v[99:100], v[97:98], -v[103:104]
	v_mul_f64 v[99:100], v[99:100], v[89:90]
	v_add_f64 v[117:118], v[117:118], -v[103:104]
	v_fma_f64 v[99:100], v[101:102], v[97:98], v[99:100]
	v_add_f64 v[119:120], v[119:120], -v[99:100]
	ds_read2_b64 v[99:102], v125 offset0:34 offset1:35
	s_waitcnt lgkmcnt(0)
	v_mul_f64 v[103:104], v[101:102], v[89:90]
	v_fma_f64 v[103:104], v[99:100], v[97:98], -v[103:104]
	v_mul_f64 v[99:100], v[99:100], v[89:90]
	v_add_f64 v[113:114], v[113:114], -v[103:104]
	v_fma_f64 v[99:100], v[101:102], v[97:98], v[99:100]
	v_add_f64 v[115:116], v[115:116], -v[99:100]
	ds_read2_b64 v[99:102], v125 offset0:36 offset1:37
	buffer_load_dword v81, off, s[20:23], 0 offset:48 ; 4-byte Folded Reload
	buffer_load_dword v82, off, s[20:23], 0 offset:52 ; 4-byte Folded Reload
	;; [unrolled: 1-line block ×4, first 2 shown]
	s_waitcnt lgkmcnt(0)
	v_mul_f64 v[103:104], v[101:102], v[89:90]
	v_fma_f64 v[103:104], v[99:100], v[97:98], -v[103:104]
	v_mul_f64 v[99:100], v[99:100], v[89:90]
	v_fma_f64 v[99:100], v[101:102], v[97:98], v[99:100]
	s_waitcnt vmcnt(2)
	v_add_f64 v[81:82], v[81:82], -v[103:104]
	s_waitcnt vmcnt(0)
	v_add_f64 v[83:84], v[83:84], -v[99:100]
	buffer_store_dword v81, off, s[20:23], 0 offset:48 ; 4-byte Folded Spill
	s_nop 0
	buffer_store_dword v82, off, s[20:23], 0 offset:52 ; 4-byte Folded Spill
	buffer_store_dword v83, off, s[20:23], 0 offset:56 ; 4-byte Folded Spill
	buffer_store_dword v84, off, s[20:23], 0 offset:60 ; 4-byte Folded Spill
	ds_read2_b64 v[99:102], v125 offset0:38 offset1:39
	s_waitcnt lgkmcnt(0)
	v_mul_f64 v[103:104], v[101:102], v[89:90]
	v_fma_f64 v[103:104], v[99:100], v[97:98], -v[103:104]
	v_mul_f64 v[99:100], v[99:100], v[89:90]
	v_add_f64 v[77:78], v[77:78], -v[103:104]
	v_fma_f64 v[99:100], v[101:102], v[97:98], v[99:100]
	v_add_f64 v[79:80], v[79:80], -v[99:100]
	ds_read2_b64 v[99:102], v125 offset0:40 offset1:41
	s_waitcnt lgkmcnt(0)
	v_mul_f64 v[103:104], v[101:102], v[89:90]
	v_fma_f64 v[103:104], v[99:100], v[97:98], -v[103:104]
	v_mul_f64 v[99:100], v[99:100], v[89:90]
	v_add_f64 v[93:94], v[93:94], -v[103:104]
	v_fma_f64 v[99:100], v[101:102], v[97:98], v[99:100]
	v_add_f64 v[95:96], v[95:96], -v[99:100]
	ds_read2_b64 v[99:102], v125 offset0:42 offset1:43
	buffer_load_dword v85, off, s[20:23], 0 offset:32 ; 4-byte Folded Reload
	buffer_load_dword v86, off, s[20:23], 0 offset:36 ; 4-byte Folded Reload
	;; [unrolled: 1-line block ×4, first 2 shown]
	s_waitcnt lgkmcnt(0)
	v_mul_f64 v[103:104], v[101:102], v[89:90]
	v_fma_f64 v[103:104], v[99:100], v[97:98], -v[103:104]
	v_mul_f64 v[99:100], v[99:100], v[89:90]
	v_fma_f64 v[99:100], v[101:102], v[97:98], v[99:100]
	s_waitcnt vmcnt(2)
	v_add_f64 v[85:86], v[85:86], -v[103:104]
	s_waitcnt vmcnt(0)
	v_add_f64 v[87:88], v[87:88], -v[99:100]
	buffer_store_dword v85, off, s[20:23], 0 offset:32 ; 4-byte Folded Spill
	s_nop 0
	buffer_store_dword v86, off, s[20:23], 0 offset:36 ; 4-byte Folded Spill
	buffer_store_dword v87, off, s[20:23], 0 offset:40 ; 4-byte Folded Spill
	;; [unrolled: 1-line block ×3, first 2 shown]
	ds_read2_b64 v[99:102], v125 offset0:44 offset1:45
	buffer_load_dword v73, off, s[20:23], 0 offset:16 ; 4-byte Folded Reload
	buffer_load_dword v74, off, s[20:23], 0 offset:20 ; 4-byte Folded Reload
	;; [unrolled: 1-line block ×4, first 2 shown]
	v_mov_b32_e32 v87, v97
	v_mov_b32_e32 v88, v98
	s_waitcnt lgkmcnt(0)
	v_mul_f64 v[103:104], v[101:102], v[89:90]
	v_fma_f64 v[103:104], v[99:100], v[97:98], -v[103:104]
	v_mul_f64 v[99:100], v[99:100], v[89:90]
	v_fma_f64 v[99:100], v[101:102], v[97:98], v[99:100]
	s_waitcnt vmcnt(2)
	v_add_f64 v[73:74], v[73:74], -v[103:104]
	s_waitcnt vmcnt(0)
	v_add_f64 v[75:76], v[75:76], -v[99:100]
	buffer_store_dword v73, off, s[20:23], 0 offset:16 ; 4-byte Folded Spill
	s_nop 0
	buffer_store_dword v74, off, s[20:23], 0 offset:20 ; 4-byte Folded Spill
	buffer_store_dword v75, off, s[20:23], 0 offset:24 ; 4-byte Folded Spill
	;; [unrolled: 1-line block ×3, first 2 shown]
	ds_read2_b64 v[99:102], v125 offset0:46 offset1:47
	buffer_load_dword v69, off, s[20:23], 0 ; 4-byte Folded Reload
	buffer_load_dword v70, off, s[20:23], 0 offset:4 ; 4-byte Folded Reload
	buffer_load_dword v71, off, s[20:23], 0 offset:8 ; 4-byte Folded Reload
	;; [unrolled: 1-line block ×3, first 2 shown]
	s_waitcnt lgkmcnt(0)
	v_mul_f64 v[103:104], v[101:102], v[89:90]
	v_fma_f64 v[103:104], v[99:100], v[97:98], -v[103:104]
	v_mul_f64 v[99:100], v[99:100], v[89:90]
	v_fma_f64 v[99:100], v[101:102], v[97:98], v[99:100]
	s_waitcnt vmcnt(2)
	v_add_f64 v[69:70], v[69:70], -v[103:104]
	s_waitcnt vmcnt(0)
	v_add_f64 v[71:72], v[71:72], -v[99:100]
	buffer_store_dword v69, off, s[20:23], 0 ; 4-byte Folded Spill
	s_nop 0
	buffer_store_dword v70, off, s[20:23], 0 offset:4 ; 4-byte Folded Spill
	buffer_store_dword v71, off, s[20:23], 0 offset:8 ; 4-byte Folded Spill
	;; [unrolled: 1-line block ×3, first 2 shown]
	ds_read2_b64 v[99:102], v125 offset0:48 offset1:49
	s_waitcnt lgkmcnt(0)
	v_mul_f64 v[103:104], v[101:102], v[89:90]
	v_fma_f64 v[103:104], v[99:100], v[97:98], -v[103:104]
	v_mul_f64 v[99:100], v[99:100], v[89:90]
	v_add_f64 v[65:66], v[65:66], -v[103:104]
	v_fma_f64 v[99:100], v[101:102], v[97:98], v[99:100]
	v_add_f64 v[67:68], v[67:68], -v[99:100]
	ds_read2_b64 v[99:102], v125 offset0:50 offset1:51
	s_waitcnt lgkmcnt(0)
	v_mul_f64 v[103:104], v[101:102], v[89:90]
	v_fma_f64 v[103:104], v[99:100], v[97:98], -v[103:104]
	v_mul_f64 v[99:100], v[99:100], v[89:90]
	v_add_f64 v[61:62], v[61:62], -v[103:104]
	v_fma_f64 v[99:100], v[101:102], v[97:98], v[99:100]
	v_add_f64 v[63:64], v[63:64], -v[99:100]
	;; [unrolled: 8-line block ×17, first 2 shown]
	ds_read2_b64 v[99:102], v125 offset0:82 offset1:83
	s_waitcnt lgkmcnt(0)
	v_mul_f64 v[103:104], v[101:102], v[89:90]
	v_fma_f64 v[103:104], v[99:100], v[97:98], -v[103:104]
	v_mul_f64 v[99:100], v[99:100], v[89:90]
	buffer_store_dword v87, off, s[20:23], 0 offset:224 ; 4-byte Folded Spill
	s_nop 0
	buffer_store_dword v88, off, s[20:23], 0 offset:228 ; 4-byte Folded Spill
	buffer_store_dword v89, off, s[20:23], 0 offset:232 ; 4-byte Folded Spill
	;; [unrolled: 1-line block ×3, first 2 shown]
	v_add_f64 v[121:122], v[121:122], -v[103:104]
	v_fma_f64 v[99:100], v[101:102], v[97:98], v[99:100]
	v_add_f64 v[123:124], v[123:124], -v[99:100]
.LBB83_55:
	s_or_b64 exec, exec, s[2:3]
	v_cmp_eq_u32_e32 vcc, 6, v0
	s_waitcnt vmcnt(0)
	s_barrier
	s_and_saveexec_b64 s[4:5], vcc
	s_cbranch_execz .LBB83_62
; %bb.56:
	buffer_load_dword v81, off, s[20:23], 0 offset:208 ; 4-byte Folded Reload
	buffer_load_dword v82, off, s[20:23], 0 offset:212 ; 4-byte Folded Reload
	;; [unrolled: 1-line block ×4, first 2 shown]
	s_waitcnt vmcnt(0)
	ds_write2_b64 v127, v[81:82], v[83:84] offset1:1
	buffer_load_dword v81, off, s[20:23], 0 offset:192 ; 4-byte Folded Reload
	buffer_load_dword v82, off, s[20:23], 0 offset:196 ; 4-byte Folded Reload
	buffer_load_dword v83, off, s[20:23], 0 offset:200 ; 4-byte Folded Reload
	buffer_load_dword v84, off, s[20:23], 0 offset:204 ; 4-byte Folded Reload
	s_waitcnt vmcnt(0)
	ds_write2_b64 v125, v[81:82], v[83:84] offset0:14 offset1:15
	buffer_load_dword v81, off, s[20:23], 0 offset:176 ; 4-byte Folded Reload
	buffer_load_dword v82, off, s[20:23], 0 offset:180 ; 4-byte Folded Reload
	buffer_load_dword v83, off, s[20:23], 0 offset:184 ; 4-byte Folded Reload
	buffer_load_dword v84, off, s[20:23], 0 offset:188 ; 4-byte Folded Reload
	s_waitcnt vmcnt(0)
	ds_write2_b64 v125, v[81:82], v[83:84] offset0:16 offset1:17
	;; [unrolled: 6-line block ×9, first 2 shown]
	ds_write2_b64 v125, v[117:118], v[119:120] offset0:32 offset1:33
	ds_write2_b64 v125, v[113:114], v[115:116] offset0:34 offset1:35
	buffer_load_dword v81, off, s[20:23], 0 offset:48 ; 4-byte Folded Reload
	buffer_load_dword v82, off, s[20:23], 0 offset:52 ; 4-byte Folded Reload
	;; [unrolled: 1-line block ×4, first 2 shown]
	s_waitcnt vmcnt(0)
	ds_write2_b64 v125, v[81:82], v[83:84] offset0:36 offset1:37
	ds_write2_b64 v125, v[77:78], v[79:80] offset0:38 offset1:39
	;; [unrolled: 1-line block ×3, first 2 shown]
	buffer_load_dword v85, off, s[20:23], 0 offset:32 ; 4-byte Folded Reload
	buffer_load_dword v86, off, s[20:23], 0 offset:36 ; 4-byte Folded Reload
	;; [unrolled: 1-line block ×4, first 2 shown]
	s_waitcnt vmcnt(0)
	ds_write2_b64 v125, v[85:86], v[87:88] offset0:42 offset1:43
	buffer_load_dword v73, off, s[20:23], 0 offset:16 ; 4-byte Folded Reload
	buffer_load_dword v74, off, s[20:23], 0 offset:20 ; 4-byte Folded Reload
	;; [unrolled: 1-line block ×4, first 2 shown]
	s_waitcnt vmcnt(0)
	ds_write2_b64 v125, v[73:74], v[75:76] offset0:44 offset1:45
	buffer_load_dword v69, off, s[20:23], 0 ; 4-byte Folded Reload
	buffer_load_dword v70, off, s[20:23], 0 offset:4 ; 4-byte Folded Reload
	buffer_load_dword v71, off, s[20:23], 0 offset:8 ; 4-byte Folded Reload
	;; [unrolled: 1-line block ×3, first 2 shown]
	s_waitcnt vmcnt(0)
	ds_write2_b64 v125, v[69:70], v[71:72] offset0:46 offset1:47
	ds_write2_b64 v125, v[65:66], v[67:68] offset0:48 offset1:49
	;; [unrolled: 1-line block ×19, first 2 shown]
	ds_read2_b64 v[97:100], v127 offset1:1
	s_waitcnt lgkmcnt(0)
	v_cmp_neq_f64_e32 vcc, 0, v[97:98]
	v_cmp_neq_f64_e64 s[2:3], 0, v[99:100]
	s_or_b64 s[2:3], vcc, s[2:3]
	s_and_b64 exec, exec, s[2:3]
	s_cbranch_execz .LBB83_62
; %bb.57:
	v_cmp_ngt_f64_e64 s[2:3], |v[97:98]|, |v[99:100]|
                                        ; implicit-def: $vgpr101_vgpr102
	s_and_saveexec_b64 s[6:7], s[2:3]
	s_xor_b64 s[2:3], exec, s[6:7]
                                        ; implicit-def: $vgpr103_vgpr104
	s_cbranch_execz .LBB83_59
; %bb.58:
	v_div_scale_f64 v[101:102], s[6:7], v[99:100], v[99:100], v[97:98]
	v_rcp_f64_e32 v[103:104], v[101:102]
	v_fma_f64 v[105:106], -v[101:102], v[103:104], 1.0
	v_fma_f64 v[103:104], v[103:104], v[105:106], v[103:104]
	v_div_scale_f64 v[105:106], vcc, v[97:98], v[99:100], v[97:98]
	v_fma_f64 v[107:108], -v[101:102], v[103:104], 1.0
	v_fma_f64 v[103:104], v[103:104], v[107:108], v[103:104]
	v_mul_f64 v[107:108], v[105:106], v[103:104]
	v_fma_f64 v[101:102], -v[101:102], v[107:108], v[105:106]
	v_div_fmas_f64 v[101:102], v[101:102], v[103:104], v[107:108]
	v_div_fixup_f64 v[101:102], v[101:102], v[99:100], v[97:98]
	v_fma_f64 v[97:98], v[97:98], v[101:102], v[99:100]
	v_div_scale_f64 v[99:100], s[6:7], v[97:98], v[97:98], 1.0
	v_div_scale_f64 v[107:108], vcc, 1.0, v[97:98], 1.0
	v_rcp_f64_e32 v[103:104], v[99:100]
	v_fma_f64 v[105:106], -v[99:100], v[103:104], 1.0
	v_fma_f64 v[103:104], v[103:104], v[105:106], v[103:104]
	v_fma_f64 v[105:106], -v[99:100], v[103:104], 1.0
	v_fma_f64 v[103:104], v[103:104], v[105:106], v[103:104]
	v_mul_f64 v[105:106], v[107:108], v[103:104]
	v_fma_f64 v[99:100], -v[99:100], v[105:106], v[107:108]
	v_div_fmas_f64 v[99:100], v[99:100], v[103:104], v[105:106]
	v_div_fixup_f64 v[103:104], v[99:100], v[97:98], 1.0
                                        ; implicit-def: $vgpr97_vgpr98
	v_mul_f64 v[101:102], v[101:102], v[103:104]
	v_xor_b32_e32 v104, 0x80000000, v104
.LBB83_59:
	s_andn2_saveexec_b64 s[2:3], s[2:3]
	s_cbranch_execz .LBB83_61
; %bb.60:
	v_div_scale_f64 v[101:102], s[6:7], v[97:98], v[97:98], v[99:100]
	v_rcp_f64_e32 v[103:104], v[101:102]
	v_fma_f64 v[105:106], -v[101:102], v[103:104], 1.0
	v_fma_f64 v[103:104], v[103:104], v[105:106], v[103:104]
	v_div_scale_f64 v[105:106], vcc, v[99:100], v[97:98], v[99:100]
	v_fma_f64 v[107:108], -v[101:102], v[103:104], 1.0
	v_fma_f64 v[103:104], v[103:104], v[107:108], v[103:104]
	v_mul_f64 v[107:108], v[105:106], v[103:104]
	v_fma_f64 v[101:102], -v[101:102], v[107:108], v[105:106]
	v_div_fmas_f64 v[101:102], v[101:102], v[103:104], v[107:108]
	v_div_fixup_f64 v[103:104], v[101:102], v[97:98], v[99:100]
	v_fma_f64 v[97:98], v[99:100], v[103:104], v[97:98]
	v_div_scale_f64 v[99:100], s[6:7], v[97:98], v[97:98], 1.0
	v_div_scale_f64 v[107:108], vcc, 1.0, v[97:98], 1.0
	v_rcp_f64_e32 v[101:102], v[99:100]
	v_fma_f64 v[105:106], -v[99:100], v[101:102], 1.0
	v_fma_f64 v[101:102], v[101:102], v[105:106], v[101:102]
	v_fma_f64 v[105:106], -v[99:100], v[101:102], 1.0
	v_fma_f64 v[101:102], v[101:102], v[105:106], v[101:102]
	v_mul_f64 v[105:106], v[107:108], v[101:102]
	v_fma_f64 v[99:100], -v[99:100], v[105:106], v[107:108]
	v_div_fmas_f64 v[99:100], v[99:100], v[101:102], v[105:106]
	v_div_fixup_f64 v[101:102], v[99:100], v[97:98], 1.0
	v_mul_f64 v[103:104], v[103:104], -v[101:102]
.LBB83_61:
	s_or_b64 exec, exec, s[2:3]
	ds_write2_b64 v127, v[101:102], v[103:104] offset1:1
.LBB83_62:
	s_or_b64 exec, exec, s[4:5]
	s_waitcnt lgkmcnt(0)
	s_barrier
	ds_read2_b64 v[81:84], v127 offset1:1
	v_cmp_lt_u32_e32 vcc, 6, v0
	s_waitcnt lgkmcnt(0)
	buffer_store_dword v81, off, s[20:23], 0 offset:776 ; 4-byte Folded Spill
	s_nop 0
	buffer_store_dword v82, off, s[20:23], 0 offset:780 ; 4-byte Folded Spill
	buffer_store_dword v83, off, s[20:23], 0 offset:784 ; 4-byte Folded Spill
	;; [unrolled: 1-line block ×3, first 2 shown]
	s_and_saveexec_b64 s[2:3], vcc
	s_cbranch_execz .LBB83_64
; %bb.63:
	buffer_load_dword v87, off, s[20:23], 0 offset:208 ; 4-byte Folded Reload
	buffer_load_dword v88, off, s[20:23], 0 offset:212 ; 4-byte Folded Reload
	;; [unrolled: 1-line block ×8, first 2 shown]
	s_waitcnt vmcnt(2)
	v_mul_f64 v[99:100], v[81:82], v[89:90]
	s_waitcnt vmcnt(0)
	v_mul_f64 v[97:98], v[83:84], v[89:90]
	v_fma_f64 v[89:90], v[83:84], v[87:88], v[99:100]
	ds_read2_b64 v[99:102], v125 offset0:14 offset1:15
	v_fma_f64 v[97:98], v[81:82], v[87:88], -v[97:98]
	buffer_load_dword v81, off, s[20:23], 0 offset:192 ; 4-byte Folded Reload
	buffer_load_dword v82, off, s[20:23], 0 offset:196 ; 4-byte Folded Reload
	buffer_load_dword v83, off, s[20:23], 0 offset:200 ; 4-byte Folded Reload
	buffer_load_dword v84, off, s[20:23], 0 offset:204 ; 4-byte Folded Reload
	s_waitcnt lgkmcnt(0)
	v_mul_f64 v[103:104], v[101:102], v[89:90]
	v_fma_f64 v[103:104], v[99:100], v[97:98], -v[103:104]
	v_mul_f64 v[99:100], v[99:100], v[89:90]
	v_fma_f64 v[99:100], v[101:102], v[97:98], v[99:100]
	s_waitcnt vmcnt(2)
	v_add_f64 v[81:82], v[81:82], -v[103:104]
	s_waitcnt vmcnt(0)
	v_add_f64 v[83:84], v[83:84], -v[99:100]
	buffer_store_dword v81, off, s[20:23], 0 offset:192 ; 4-byte Folded Spill
	s_nop 0
	buffer_store_dword v82, off, s[20:23], 0 offset:196 ; 4-byte Folded Spill
	buffer_store_dword v83, off, s[20:23], 0 offset:200 ; 4-byte Folded Spill
	buffer_store_dword v84, off, s[20:23], 0 offset:204 ; 4-byte Folded Spill
	ds_read2_b64 v[99:102], v125 offset0:16 offset1:17
	buffer_load_dword v81, off, s[20:23], 0 offset:176 ; 4-byte Folded Reload
	buffer_load_dword v82, off, s[20:23], 0 offset:180 ; 4-byte Folded Reload
	buffer_load_dword v83, off, s[20:23], 0 offset:184 ; 4-byte Folded Reload
	buffer_load_dword v84, off, s[20:23], 0 offset:188 ; 4-byte Folded Reload
	s_waitcnt lgkmcnt(0)
	v_mul_f64 v[103:104], v[101:102], v[89:90]
	v_fma_f64 v[103:104], v[99:100], v[97:98], -v[103:104]
	v_mul_f64 v[99:100], v[99:100], v[89:90]
	v_fma_f64 v[99:100], v[101:102], v[97:98], v[99:100]
	s_waitcnt vmcnt(2)
	v_add_f64 v[81:82], v[81:82], -v[103:104]
	s_waitcnt vmcnt(0)
	v_add_f64 v[83:84], v[83:84], -v[99:100]
	buffer_store_dword v81, off, s[20:23], 0 offset:176 ; 4-byte Folded Spill
	s_nop 0
	buffer_store_dword v82, off, s[20:23], 0 offset:180 ; 4-byte Folded Spill
	buffer_store_dword v83, off, s[20:23], 0 offset:184 ; 4-byte Folded Spill
	buffer_store_dword v84, off, s[20:23], 0 offset:188 ; 4-byte Folded Spill
	ds_read2_b64 v[99:102], v125 offset0:18 offset1:19
	;; [unrolled: 19-line block ×9, first 2 shown]
	s_waitcnt lgkmcnt(0)
	v_mul_f64 v[103:104], v[101:102], v[89:90]
	v_fma_f64 v[103:104], v[99:100], v[97:98], -v[103:104]
	v_mul_f64 v[99:100], v[99:100], v[89:90]
	v_add_f64 v[117:118], v[117:118], -v[103:104]
	v_fma_f64 v[99:100], v[101:102], v[97:98], v[99:100]
	v_add_f64 v[119:120], v[119:120], -v[99:100]
	ds_read2_b64 v[99:102], v125 offset0:34 offset1:35
	s_waitcnt lgkmcnt(0)
	v_mul_f64 v[103:104], v[101:102], v[89:90]
	v_fma_f64 v[103:104], v[99:100], v[97:98], -v[103:104]
	v_mul_f64 v[99:100], v[99:100], v[89:90]
	v_add_f64 v[113:114], v[113:114], -v[103:104]
	v_fma_f64 v[99:100], v[101:102], v[97:98], v[99:100]
	v_add_f64 v[115:116], v[115:116], -v[99:100]
	ds_read2_b64 v[99:102], v125 offset0:36 offset1:37
	buffer_load_dword v81, off, s[20:23], 0 offset:48 ; 4-byte Folded Reload
	buffer_load_dword v82, off, s[20:23], 0 offset:52 ; 4-byte Folded Reload
	;; [unrolled: 1-line block ×4, first 2 shown]
	s_waitcnt lgkmcnt(0)
	v_mul_f64 v[103:104], v[101:102], v[89:90]
	v_fma_f64 v[103:104], v[99:100], v[97:98], -v[103:104]
	v_mul_f64 v[99:100], v[99:100], v[89:90]
	v_fma_f64 v[99:100], v[101:102], v[97:98], v[99:100]
	s_waitcnt vmcnt(2)
	v_add_f64 v[81:82], v[81:82], -v[103:104]
	s_waitcnt vmcnt(0)
	v_add_f64 v[83:84], v[83:84], -v[99:100]
	buffer_store_dword v81, off, s[20:23], 0 offset:48 ; 4-byte Folded Spill
	s_nop 0
	buffer_store_dword v82, off, s[20:23], 0 offset:52 ; 4-byte Folded Spill
	buffer_store_dword v83, off, s[20:23], 0 offset:56 ; 4-byte Folded Spill
	;; [unrolled: 1-line block ×3, first 2 shown]
	ds_read2_b64 v[99:102], v125 offset0:38 offset1:39
	s_waitcnt lgkmcnt(0)
	v_mul_f64 v[103:104], v[101:102], v[89:90]
	v_fma_f64 v[103:104], v[99:100], v[97:98], -v[103:104]
	v_mul_f64 v[99:100], v[99:100], v[89:90]
	v_add_f64 v[77:78], v[77:78], -v[103:104]
	v_fma_f64 v[99:100], v[101:102], v[97:98], v[99:100]
	v_add_f64 v[79:80], v[79:80], -v[99:100]
	ds_read2_b64 v[99:102], v125 offset0:40 offset1:41
	s_waitcnt lgkmcnt(0)
	v_mul_f64 v[103:104], v[101:102], v[89:90]
	v_fma_f64 v[103:104], v[99:100], v[97:98], -v[103:104]
	v_mul_f64 v[99:100], v[99:100], v[89:90]
	v_add_f64 v[93:94], v[93:94], -v[103:104]
	v_fma_f64 v[99:100], v[101:102], v[97:98], v[99:100]
	v_add_f64 v[95:96], v[95:96], -v[99:100]
	ds_read2_b64 v[99:102], v125 offset0:42 offset1:43
	buffer_load_dword v85, off, s[20:23], 0 offset:32 ; 4-byte Folded Reload
	buffer_load_dword v86, off, s[20:23], 0 offset:36 ; 4-byte Folded Reload
	;; [unrolled: 1-line block ×4, first 2 shown]
	s_waitcnt lgkmcnt(0)
	v_mul_f64 v[103:104], v[101:102], v[89:90]
	v_fma_f64 v[103:104], v[99:100], v[97:98], -v[103:104]
	v_mul_f64 v[99:100], v[99:100], v[89:90]
	v_fma_f64 v[99:100], v[101:102], v[97:98], v[99:100]
	s_waitcnt vmcnt(2)
	v_add_f64 v[85:86], v[85:86], -v[103:104]
	s_waitcnt vmcnt(0)
	v_add_f64 v[87:88], v[87:88], -v[99:100]
	buffer_store_dword v85, off, s[20:23], 0 offset:32 ; 4-byte Folded Spill
	s_nop 0
	buffer_store_dword v86, off, s[20:23], 0 offset:36 ; 4-byte Folded Spill
	buffer_store_dword v87, off, s[20:23], 0 offset:40 ; 4-byte Folded Spill
	;; [unrolled: 1-line block ×3, first 2 shown]
	ds_read2_b64 v[99:102], v125 offset0:44 offset1:45
	buffer_load_dword v73, off, s[20:23], 0 offset:16 ; 4-byte Folded Reload
	buffer_load_dword v74, off, s[20:23], 0 offset:20 ; 4-byte Folded Reload
	;; [unrolled: 1-line block ×4, first 2 shown]
	v_mov_b32_e32 v87, v97
	v_mov_b32_e32 v88, v98
	s_waitcnt lgkmcnt(0)
	v_mul_f64 v[103:104], v[101:102], v[89:90]
	v_fma_f64 v[103:104], v[99:100], v[97:98], -v[103:104]
	v_mul_f64 v[99:100], v[99:100], v[89:90]
	v_fma_f64 v[99:100], v[101:102], v[97:98], v[99:100]
	s_waitcnt vmcnt(2)
	v_add_f64 v[73:74], v[73:74], -v[103:104]
	s_waitcnt vmcnt(0)
	v_add_f64 v[75:76], v[75:76], -v[99:100]
	buffer_store_dword v73, off, s[20:23], 0 offset:16 ; 4-byte Folded Spill
	s_nop 0
	buffer_store_dword v74, off, s[20:23], 0 offset:20 ; 4-byte Folded Spill
	buffer_store_dword v75, off, s[20:23], 0 offset:24 ; 4-byte Folded Spill
	;; [unrolled: 1-line block ×3, first 2 shown]
	ds_read2_b64 v[99:102], v125 offset0:46 offset1:47
	buffer_load_dword v69, off, s[20:23], 0 ; 4-byte Folded Reload
	buffer_load_dword v70, off, s[20:23], 0 offset:4 ; 4-byte Folded Reload
	buffer_load_dword v71, off, s[20:23], 0 offset:8 ; 4-byte Folded Reload
	;; [unrolled: 1-line block ×3, first 2 shown]
	s_waitcnt lgkmcnt(0)
	v_mul_f64 v[103:104], v[101:102], v[89:90]
	v_fma_f64 v[103:104], v[99:100], v[97:98], -v[103:104]
	v_mul_f64 v[99:100], v[99:100], v[89:90]
	v_fma_f64 v[99:100], v[101:102], v[97:98], v[99:100]
	s_waitcnt vmcnt(2)
	v_add_f64 v[69:70], v[69:70], -v[103:104]
	s_waitcnt vmcnt(0)
	v_add_f64 v[71:72], v[71:72], -v[99:100]
	buffer_store_dword v69, off, s[20:23], 0 ; 4-byte Folded Spill
	s_nop 0
	buffer_store_dword v70, off, s[20:23], 0 offset:4 ; 4-byte Folded Spill
	buffer_store_dword v71, off, s[20:23], 0 offset:8 ; 4-byte Folded Spill
	;; [unrolled: 1-line block ×3, first 2 shown]
	ds_read2_b64 v[99:102], v125 offset0:48 offset1:49
	s_waitcnt lgkmcnt(0)
	v_mul_f64 v[103:104], v[101:102], v[89:90]
	v_fma_f64 v[103:104], v[99:100], v[97:98], -v[103:104]
	v_mul_f64 v[99:100], v[99:100], v[89:90]
	v_add_f64 v[65:66], v[65:66], -v[103:104]
	v_fma_f64 v[99:100], v[101:102], v[97:98], v[99:100]
	v_add_f64 v[67:68], v[67:68], -v[99:100]
	ds_read2_b64 v[99:102], v125 offset0:50 offset1:51
	s_waitcnt lgkmcnt(0)
	v_mul_f64 v[103:104], v[101:102], v[89:90]
	v_fma_f64 v[103:104], v[99:100], v[97:98], -v[103:104]
	v_mul_f64 v[99:100], v[99:100], v[89:90]
	v_add_f64 v[61:62], v[61:62], -v[103:104]
	v_fma_f64 v[99:100], v[101:102], v[97:98], v[99:100]
	v_add_f64 v[63:64], v[63:64], -v[99:100]
	;; [unrolled: 8-line block ×17, first 2 shown]
	ds_read2_b64 v[99:102], v125 offset0:82 offset1:83
	s_waitcnt lgkmcnt(0)
	v_mul_f64 v[103:104], v[101:102], v[89:90]
	v_fma_f64 v[103:104], v[99:100], v[97:98], -v[103:104]
	v_mul_f64 v[99:100], v[99:100], v[89:90]
	buffer_store_dword v87, off, s[20:23], 0 offset:208 ; 4-byte Folded Spill
	s_nop 0
	buffer_store_dword v88, off, s[20:23], 0 offset:212 ; 4-byte Folded Spill
	buffer_store_dword v89, off, s[20:23], 0 offset:216 ; 4-byte Folded Spill
	buffer_store_dword v90, off, s[20:23], 0 offset:220 ; 4-byte Folded Spill
	v_add_f64 v[121:122], v[121:122], -v[103:104]
	v_fma_f64 v[99:100], v[101:102], v[97:98], v[99:100]
	v_add_f64 v[123:124], v[123:124], -v[99:100]
.LBB83_64:
	s_or_b64 exec, exec, s[2:3]
	v_cmp_eq_u32_e32 vcc, 7, v0
	s_waitcnt vmcnt(0)
	s_barrier
	s_and_saveexec_b64 s[4:5], vcc
	s_cbranch_execz .LBB83_71
; %bb.65:
	buffer_load_dword v81, off, s[20:23], 0 offset:192 ; 4-byte Folded Reload
	buffer_load_dword v82, off, s[20:23], 0 offset:196 ; 4-byte Folded Reload
	;; [unrolled: 1-line block ×4, first 2 shown]
	s_waitcnt vmcnt(0)
	ds_write2_b64 v127, v[81:82], v[83:84] offset1:1
	buffer_load_dword v81, off, s[20:23], 0 offset:176 ; 4-byte Folded Reload
	buffer_load_dword v82, off, s[20:23], 0 offset:180 ; 4-byte Folded Reload
	buffer_load_dword v83, off, s[20:23], 0 offset:184 ; 4-byte Folded Reload
	buffer_load_dword v84, off, s[20:23], 0 offset:188 ; 4-byte Folded Reload
	s_waitcnt vmcnt(0)
	ds_write2_b64 v125, v[81:82], v[83:84] offset0:16 offset1:17
	buffer_load_dword v81, off, s[20:23], 0 offset:160 ; 4-byte Folded Reload
	buffer_load_dword v82, off, s[20:23], 0 offset:164 ; 4-byte Folded Reload
	buffer_load_dword v83, off, s[20:23], 0 offset:168 ; 4-byte Folded Reload
	buffer_load_dword v84, off, s[20:23], 0 offset:172 ; 4-byte Folded Reload
	s_waitcnt vmcnt(0)
	ds_write2_b64 v125, v[81:82], v[83:84] offset0:18 offset1:19
	;; [unrolled: 6-line block ×8, first 2 shown]
	ds_write2_b64 v125, v[117:118], v[119:120] offset0:32 offset1:33
	ds_write2_b64 v125, v[113:114], v[115:116] offset0:34 offset1:35
	buffer_load_dword v81, off, s[20:23], 0 offset:48 ; 4-byte Folded Reload
	buffer_load_dword v82, off, s[20:23], 0 offset:52 ; 4-byte Folded Reload
	;; [unrolled: 1-line block ×4, first 2 shown]
	s_waitcnt vmcnt(0)
	ds_write2_b64 v125, v[81:82], v[83:84] offset0:36 offset1:37
	ds_write2_b64 v125, v[77:78], v[79:80] offset0:38 offset1:39
	;; [unrolled: 1-line block ×3, first 2 shown]
	buffer_load_dword v85, off, s[20:23], 0 offset:32 ; 4-byte Folded Reload
	buffer_load_dword v86, off, s[20:23], 0 offset:36 ; 4-byte Folded Reload
	buffer_load_dword v87, off, s[20:23], 0 offset:40 ; 4-byte Folded Reload
	buffer_load_dword v88, off, s[20:23], 0 offset:44 ; 4-byte Folded Reload
	s_waitcnt vmcnt(0)
	ds_write2_b64 v125, v[85:86], v[87:88] offset0:42 offset1:43
	buffer_load_dword v73, off, s[20:23], 0 offset:16 ; 4-byte Folded Reload
	buffer_load_dword v74, off, s[20:23], 0 offset:20 ; 4-byte Folded Reload
	;; [unrolled: 1-line block ×4, first 2 shown]
	s_waitcnt vmcnt(0)
	ds_write2_b64 v125, v[73:74], v[75:76] offset0:44 offset1:45
	buffer_load_dword v69, off, s[20:23], 0 ; 4-byte Folded Reload
	buffer_load_dword v70, off, s[20:23], 0 offset:4 ; 4-byte Folded Reload
	buffer_load_dword v71, off, s[20:23], 0 offset:8 ; 4-byte Folded Reload
	;; [unrolled: 1-line block ×3, first 2 shown]
	s_waitcnt vmcnt(0)
	ds_write2_b64 v125, v[69:70], v[71:72] offset0:46 offset1:47
	ds_write2_b64 v125, v[65:66], v[67:68] offset0:48 offset1:49
	;; [unrolled: 1-line block ×19, first 2 shown]
	ds_read2_b64 v[97:100], v127 offset1:1
	s_waitcnt lgkmcnt(0)
	v_cmp_neq_f64_e32 vcc, 0, v[97:98]
	v_cmp_neq_f64_e64 s[2:3], 0, v[99:100]
	s_or_b64 s[2:3], vcc, s[2:3]
	s_and_b64 exec, exec, s[2:3]
	s_cbranch_execz .LBB83_71
; %bb.66:
	v_cmp_ngt_f64_e64 s[2:3], |v[97:98]|, |v[99:100]|
                                        ; implicit-def: $vgpr101_vgpr102
	s_and_saveexec_b64 s[6:7], s[2:3]
	s_xor_b64 s[2:3], exec, s[6:7]
                                        ; implicit-def: $vgpr103_vgpr104
	s_cbranch_execz .LBB83_68
; %bb.67:
	v_div_scale_f64 v[101:102], s[6:7], v[99:100], v[99:100], v[97:98]
	v_rcp_f64_e32 v[103:104], v[101:102]
	v_fma_f64 v[105:106], -v[101:102], v[103:104], 1.0
	v_fma_f64 v[103:104], v[103:104], v[105:106], v[103:104]
	v_div_scale_f64 v[105:106], vcc, v[97:98], v[99:100], v[97:98]
	v_fma_f64 v[107:108], -v[101:102], v[103:104], 1.0
	v_fma_f64 v[103:104], v[103:104], v[107:108], v[103:104]
	v_mul_f64 v[107:108], v[105:106], v[103:104]
	v_fma_f64 v[101:102], -v[101:102], v[107:108], v[105:106]
	v_div_fmas_f64 v[101:102], v[101:102], v[103:104], v[107:108]
	v_div_fixup_f64 v[101:102], v[101:102], v[99:100], v[97:98]
	v_fma_f64 v[97:98], v[97:98], v[101:102], v[99:100]
	v_div_scale_f64 v[99:100], s[6:7], v[97:98], v[97:98], 1.0
	v_div_scale_f64 v[107:108], vcc, 1.0, v[97:98], 1.0
	v_rcp_f64_e32 v[103:104], v[99:100]
	v_fma_f64 v[105:106], -v[99:100], v[103:104], 1.0
	v_fma_f64 v[103:104], v[103:104], v[105:106], v[103:104]
	v_fma_f64 v[105:106], -v[99:100], v[103:104], 1.0
	v_fma_f64 v[103:104], v[103:104], v[105:106], v[103:104]
	v_mul_f64 v[105:106], v[107:108], v[103:104]
	v_fma_f64 v[99:100], -v[99:100], v[105:106], v[107:108]
	v_div_fmas_f64 v[99:100], v[99:100], v[103:104], v[105:106]
	v_div_fixup_f64 v[103:104], v[99:100], v[97:98], 1.0
                                        ; implicit-def: $vgpr97_vgpr98
	v_mul_f64 v[101:102], v[101:102], v[103:104]
	v_xor_b32_e32 v104, 0x80000000, v104
.LBB83_68:
	s_andn2_saveexec_b64 s[2:3], s[2:3]
	s_cbranch_execz .LBB83_70
; %bb.69:
	v_div_scale_f64 v[101:102], s[6:7], v[97:98], v[97:98], v[99:100]
	v_rcp_f64_e32 v[103:104], v[101:102]
	v_fma_f64 v[105:106], -v[101:102], v[103:104], 1.0
	v_fma_f64 v[103:104], v[103:104], v[105:106], v[103:104]
	v_div_scale_f64 v[105:106], vcc, v[99:100], v[97:98], v[99:100]
	v_fma_f64 v[107:108], -v[101:102], v[103:104], 1.0
	v_fma_f64 v[103:104], v[103:104], v[107:108], v[103:104]
	v_mul_f64 v[107:108], v[105:106], v[103:104]
	v_fma_f64 v[101:102], -v[101:102], v[107:108], v[105:106]
	v_div_fmas_f64 v[101:102], v[101:102], v[103:104], v[107:108]
	v_div_fixup_f64 v[103:104], v[101:102], v[97:98], v[99:100]
	v_fma_f64 v[97:98], v[99:100], v[103:104], v[97:98]
	v_div_scale_f64 v[99:100], s[6:7], v[97:98], v[97:98], 1.0
	v_div_scale_f64 v[107:108], vcc, 1.0, v[97:98], 1.0
	v_rcp_f64_e32 v[101:102], v[99:100]
	v_fma_f64 v[105:106], -v[99:100], v[101:102], 1.0
	v_fma_f64 v[101:102], v[101:102], v[105:106], v[101:102]
	v_fma_f64 v[105:106], -v[99:100], v[101:102], 1.0
	v_fma_f64 v[101:102], v[101:102], v[105:106], v[101:102]
	v_mul_f64 v[105:106], v[107:108], v[101:102]
	v_fma_f64 v[99:100], -v[99:100], v[105:106], v[107:108]
	v_div_fmas_f64 v[99:100], v[99:100], v[101:102], v[105:106]
	v_div_fixup_f64 v[101:102], v[99:100], v[97:98], 1.0
	v_mul_f64 v[103:104], v[103:104], -v[101:102]
.LBB83_70:
	s_or_b64 exec, exec, s[2:3]
	ds_write2_b64 v127, v[101:102], v[103:104] offset1:1
.LBB83_71:
	s_or_b64 exec, exec, s[4:5]
	s_waitcnt lgkmcnt(0)
	s_barrier
	ds_read2_b64 v[81:84], v127 offset1:1
	v_cmp_lt_u32_e32 vcc, 7, v0
	s_waitcnt lgkmcnt(0)
	buffer_store_dword v81, off, s[20:23], 0 offset:792 ; 4-byte Folded Spill
	s_nop 0
	buffer_store_dword v82, off, s[20:23], 0 offset:796 ; 4-byte Folded Spill
	buffer_store_dword v83, off, s[20:23], 0 offset:800 ; 4-byte Folded Spill
	;; [unrolled: 1-line block ×3, first 2 shown]
	s_and_saveexec_b64 s[2:3], vcc
	s_cbranch_execz .LBB83_73
; %bb.72:
	buffer_load_dword v87, off, s[20:23], 0 offset:192 ; 4-byte Folded Reload
	buffer_load_dword v88, off, s[20:23], 0 offset:196 ; 4-byte Folded Reload
	buffer_load_dword v89, off, s[20:23], 0 offset:200 ; 4-byte Folded Reload
	buffer_load_dword v90, off, s[20:23], 0 offset:204 ; 4-byte Folded Reload
	buffer_load_dword v81, off, s[20:23], 0 offset:792 ; 4-byte Folded Reload
	buffer_load_dword v82, off, s[20:23], 0 offset:796 ; 4-byte Folded Reload
	buffer_load_dword v83, off, s[20:23], 0 offset:800 ; 4-byte Folded Reload
	buffer_load_dword v84, off, s[20:23], 0 offset:804 ; 4-byte Folded Reload
	s_waitcnt vmcnt(2)
	v_mul_f64 v[99:100], v[81:82], v[89:90]
	s_waitcnt vmcnt(0)
	v_mul_f64 v[97:98], v[83:84], v[89:90]
	v_fma_f64 v[89:90], v[83:84], v[87:88], v[99:100]
	ds_read2_b64 v[99:102], v125 offset0:16 offset1:17
	v_fma_f64 v[97:98], v[81:82], v[87:88], -v[97:98]
	buffer_load_dword v81, off, s[20:23], 0 offset:176 ; 4-byte Folded Reload
	buffer_load_dword v82, off, s[20:23], 0 offset:180 ; 4-byte Folded Reload
	buffer_load_dword v83, off, s[20:23], 0 offset:184 ; 4-byte Folded Reload
	buffer_load_dword v84, off, s[20:23], 0 offset:188 ; 4-byte Folded Reload
	s_waitcnt lgkmcnt(0)
	v_mul_f64 v[103:104], v[101:102], v[89:90]
	v_fma_f64 v[103:104], v[99:100], v[97:98], -v[103:104]
	v_mul_f64 v[99:100], v[99:100], v[89:90]
	v_fma_f64 v[99:100], v[101:102], v[97:98], v[99:100]
	s_waitcnt vmcnt(2)
	v_add_f64 v[81:82], v[81:82], -v[103:104]
	s_waitcnt vmcnt(0)
	v_add_f64 v[83:84], v[83:84], -v[99:100]
	buffer_store_dword v81, off, s[20:23], 0 offset:176 ; 4-byte Folded Spill
	s_nop 0
	buffer_store_dword v82, off, s[20:23], 0 offset:180 ; 4-byte Folded Spill
	buffer_store_dword v83, off, s[20:23], 0 offset:184 ; 4-byte Folded Spill
	buffer_store_dword v84, off, s[20:23], 0 offset:188 ; 4-byte Folded Spill
	ds_read2_b64 v[99:102], v125 offset0:18 offset1:19
	buffer_load_dword v81, off, s[20:23], 0 offset:160 ; 4-byte Folded Reload
	buffer_load_dword v82, off, s[20:23], 0 offset:164 ; 4-byte Folded Reload
	buffer_load_dword v83, off, s[20:23], 0 offset:168 ; 4-byte Folded Reload
	buffer_load_dword v84, off, s[20:23], 0 offset:172 ; 4-byte Folded Reload
	s_waitcnt lgkmcnt(0)
	v_mul_f64 v[103:104], v[101:102], v[89:90]
	v_fma_f64 v[103:104], v[99:100], v[97:98], -v[103:104]
	v_mul_f64 v[99:100], v[99:100], v[89:90]
	v_fma_f64 v[99:100], v[101:102], v[97:98], v[99:100]
	s_waitcnt vmcnt(2)
	v_add_f64 v[81:82], v[81:82], -v[103:104]
	s_waitcnt vmcnt(0)
	v_add_f64 v[83:84], v[83:84], -v[99:100]
	buffer_store_dword v81, off, s[20:23], 0 offset:160 ; 4-byte Folded Spill
	s_nop 0
	buffer_store_dword v82, off, s[20:23], 0 offset:164 ; 4-byte Folded Spill
	buffer_store_dword v83, off, s[20:23], 0 offset:168 ; 4-byte Folded Spill
	buffer_store_dword v84, off, s[20:23], 0 offset:172 ; 4-byte Folded Spill
	ds_read2_b64 v[99:102], v125 offset0:20 offset1:21
	;; [unrolled: 19-line block ×8, first 2 shown]
	s_waitcnt lgkmcnt(0)
	v_mul_f64 v[103:104], v[101:102], v[89:90]
	v_fma_f64 v[103:104], v[99:100], v[97:98], -v[103:104]
	v_mul_f64 v[99:100], v[99:100], v[89:90]
	v_add_f64 v[117:118], v[117:118], -v[103:104]
	v_fma_f64 v[99:100], v[101:102], v[97:98], v[99:100]
	v_add_f64 v[119:120], v[119:120], -v[99:100]
	ds_read2_b64 v[99:102], v125 offset0:34 offset1:35
	s_waitcnt lgkmcnt(0)
	v_mul_f64 v[103:104], v[101:102], v[89:90]
	v_fma_f64 v[103:104], v[99:100], v[97:98], -v[103:104]
	v_mul_f64 v[99:100], v[99:100], v[89:90]
	v_add_f64 v[113:114], v[113:114], -v[103:104]
	v_fma_f64 v[99:100], v[101:102], v[97:98], v[99:100]
	v_add_f64 v[115:116], v[115:116], -v[99:100]
	ds_read2_b64 v[99:102], v125 offset0:36 offset1:37
	buffer_load_dword v81, off, s[20:23], 0 offset:48 ; 4-byte Folded Reload
	buffer_load_dword v82, off, s[20:23], 0 offset:52 ; 4-byte Folded Reload
	;; [unrolled: 1-line block ×4, first 2 shown]
	s_waitcnt lgkmcnt(0)
	v_mul_f64 v[103:104], v[101:102], v[89:90]
	v_fma_f64 v[103:104], v[99:100], v[97:98], -v[103:104]
	v_mul_f64 v[99:100], v[99:100], v[89:90]
	v_fma_f64 v[99:100], v[101:102], v[97:98], v[99:100]
	s_waitcnt vmcnt(2)
	v_add_f64 v[81:82], v[81:82], -v[103:104]
	s_waitcnt vmcnt(0)
	v_add_f64 v[83:84], v[83:84], -v[99:100]
	buffer_store_dword v81, off, s[20:23], 0 offset:48 ; 4-byte Folded Spill
	s_nop 0
	buffer_store_dword v82, off, s[20:23], 0 offset:52 ; 4-byte Folded Spill
	buffer_store_dword v83, off, s[20:23], 0 offset:56 ; 4-byte Folded Spill
	;; [unrolled: 1-line block ×3, first 2 shown]
	ds_read2_b64 v[99:102], v125 offset0:38 offset1:39
	s_waitcnt lgkmcnt(0)
	v_mul_f64 v[103:104], v[101:102], v[89:90]
	v_fma_f64 v[103:104], v[99:100], v[97:98], -v[103:104]
	v_mul_f64 v[99:100], v[99:100], v[89:90]
	v_add_f64 v[77:78], v[77:78], -v[103:104]
	v_fma_f64 v[99:100], v[101:102], v[97:98], v[99:100]
	v_add_f64 v[79:80], v[79:80], -v[99:100]
	ds_read2_b64 v[99:102], v125 offset0:40 offset1:41
	s_waitcnt lgkmcnt(0)
	v_mul_f64 v[103:104], v[101:102], v[89:90]
	v_fma_f64 v[103:104], v[99:100], v[97:98], -v[103:104]
	v_mul_f64 v[99:100], v[99:100], v[89:90]
	v_add_f64 v[93:94], v[93:94], -v[103:104]
	v_fma_f64 v[99:100], v[101:102], v[97:98], v[99:100]
	v_add_f64 v[95:96], v[95:96], -v[99:100]
	ds_read2_b64 v[99:102], v125 offset0:42 offset1:43
	buffer_load_dword v85, off, s[20:23], 0 offset:32 ; 4-byte Folded Reload
	buffer_load_dword v86, off, s[20:23], 0 offset:36 ; 4-byte Folded Reload
	;; [unrolled: 1-line block ×4, first 2 shown]
	s_waitcnt lgkmcnt(0)
	v_mul_f64 v[103:104], v[101:102], v[89:90]
	v_fma_f64 v[103:104], v[99:100], v[97:98], -v[103:104]
	v_mul_f64 v[99:100], v[99:100], v[89:90]
	v_fma_f64 v[99:100], v[101:102], v[97:98], v[99:100]
	s_waitcnt vmcnt(2)
	v_add_f64 v[85:86], v[85:86], -v[103:104]
	s_waitcnt vmcnt(0)
	v_add_f64 v[87:88], v[87:88], -v[99:100]
	buffer_store_dword v85, off, s[20:23], 0 offset:32 ; 4-byte Folded Spill
	s_nop 0
	buffer_store_dword v86, off, s[20:23], 0 offset:36 ; 4-byte Folded Spill
	buffer_store_dword v87, off, s[20:23], 0 offset:40 ; 4-byte Folded Spill
	;; [unrolled: 1-line block ×3, first 2 shown]
	ds_read2_b64 v[99:102], v125 offset0:44 offset1:45
	buffer_load_dword v73, off, s[20:23], 0 offset:16 ; 4-byte Folded Reload
	buffer_load_dword v74, off, s[20:23], 0 offset:20 ; 4-byte Folded Reload
	;; [unrolled: 1-line block ×4, first 2 shown]
	v_mov_b32_e32 v87, v97
	v_mov_b32_e32 v88, v98
	s_waitcnt lgkmcnt(0)
	v_mul_f64 v[103:104], v[101:102], v[89:90]
	v_fma_f64 v[103:104], v[99:100], v[97:98], -v[103:104]
	v_mul_f64 v[99:100], v[99:100], v[89:90]
	v_fma_f64 v[99:100], v[101:102], v[97:98], v[99:100]
	s_waitcnt vmcnt(2)
	v_add_f64 v[73:74], v[73:74], -v[103:104]
	s_waitcnt vmcnt(0)
	v_add_f64 v[75:76], v[75:76], -v[99:100]
	buffer_store_dword v73, off, s[20:23], 0 offset:16 ; 4-byte Folded Spill
	s_nop 0
	buffer_store_dword v74, off, s[20:23], 0 offset:20 ; 4-byte Folded Spill
	buffer_store_dword v75, off, s[20:23], 0 offset:24 ; 4-byte Folded Spill
	;; [unrolled: 1-line block ×3, first 2 shown]
	ds_read2_b64 v[99:102], v125 offset0:46 offset1:47
	buffer_load_dword v69, off, s[20:23], 0 ; 4-byte Folded Reload
	buffer_load_dword v70, off, s[20:23], 0 offset:4 ; 4-byte Folded Reload
	buffer_load_dword v71, off, s[20:23], 0 offset:8 ; 4-byte Folded Reload
	;; [unrolled: 1-line block ×3, first 2 shown]
	s_waitcnt lgkmcnt(0)
	v_mul_f64 v[103:104], v[101:102], v[89:90]
	v_fma_f64 v[103:104], v[99:100], v[97:98], -v[103:104]
	v_mul_f64 v[99:100], v[99:100], v[89:90]
	v_fma_f64 v[99:100], v[101:102], v[97:98], v[99:100]
	s_waitcnt vmcnt(2)
	v_add_f64 v[69:70], v[69:70], -v[103:104]
	s_waitcnt vmcnt(0)
	v_add_f64 v[71:72], v[71:72], -v[99:100]
	buffer_store_dword v69, off, s[20:23], 0 ; 4-byte Folded Spill
	s_nop 0
	buffer_store_dword v70, off, s[20:23], 0 offset:4 ; 4-byte Folded Spill
	buffer_store_dword v71, off, s[20:23], 0 offset:8 ; 4-byte Folded Spill
	;; [unrolled: 1-line block ×3, first 2 shown]
	ds_read2_b64 v[99:102], v125 offset0:48 offset1:49
	s_waitcnt lgkmcnt(0)
	v_mul_f64 v[103:104], v[101:102], v[89:90]
	v_fma_f64 v[103:104], v[99:100], v[97:98], -v[103:104]
	v_mul_f64 v[99:100], v[99:100], v[89:90]
	v_add_f64 v[65:66], v[65:66], -v[103:104]
	v_fma_f64 v[99:100], v[101:102], v[97:98], v[99:100]
	v_add_f64 v[67:68], v[67:68], -v[99:100]
	ds_read2_b64 v[99:102], v125 offset0:50 offset1:51
	s_waitcnt lgkmcnt(0)
	v_mul_f64 v[103:104], v[101:102], v[89:90]
	v_fma_f64 v[103:104], v[99:100], v[97:98], -v[103:104]
	v_mul_f64 v[99:100], v[99:100], v[89:90]
	v_add_f64 v[61:62], v[61:62], -v[103:104]
	v_fma_f64 v[99:100], v[101:102], v[97:98], v[99:100]
	v_add_f64 v[63:64], v[63:64], -v[99:100]
	;; [unrolled: 8-line block ×17, first 2 shown]
	ds_read2_b64 v[99:102], v125 offset0:82 offset1:83
	s_waitcnt lgkmcnt(0)
	v_mul_f64 v[103:104], v[101:102], v[89:90]
	v_fma_f64 v[103:104], v[99:100], v[97:98], -v[103:104]
	v_mul_f64 v[99:100], v[99:100], v[89:90]
	buffer_store_dword v87, off, s[20:23], 0 offset:192 ; 4-byte Folded Spill
	s_nop 0
	buffer_store_dword v88, off, s[20:23], 0 offset:196 ; 4-byte Folded Spill
	buffer_store_dword v89, off, s[20:23], 0 offset:200 ; 4-byte Folded Spill
	buffer_store_dword v90, off, s[20:23], 0 offset:204 ; 4-byte Folded Spill
	v_add_f64 v[121:122], v[121:122], -v[103:104]
	v_fma_f64 v[99:100], v[101:102], v[97:98], v[99:100]
	v_add_f64 v[123:124], v[123:124], -v[99:100]
.LBB83_73:
	s_or_b64 exec, exec, s[2:3]
	v_cmp_eq_u32_e32 vcc, 8, v0
	s_waitcnt vmcnt(0)
	s_barrier
	s_and_saveexec_b64 s[4:5], vcc
	s_cbranch_execz .LBB83_80
; %bb.74:
	buffer_load_dword v81, off, s[20:23], 0 offset:176 ; 4-byte Folded Reload
	buffer_load_dword v82, off, s[20:23], 0 offset:180 ; 4-byte Folded Reload
	;; [unrolled: 1-line block ×4, first 2 shown]
	s_waitcnt vmcnt(0)
	ds_write2_b64 v127, v[81:82], v[83:84] offset1:1
	buffer_load_dword v81, off, s[20:23], 0 offset:160 ; 4-byte Folded Reload
	buffer_load_dword v82, off, s[20:23], 0 offset:164 ; 4-byte Folded Reload
	buffer_load_dword v83, off, s[20:23], 0 offset:168 ; 4-byte Folded Reload
	buffer_load_dword v84, off, s[20:23], 0 offset:172 ; 4-byte Folded Reload
	s_waitcnt vmcnt(0)
	ds_write2_b64 v125, v[81:82], v[83:84] offset0:18 offset1:19
	buffer_load_dword v81, off, s[20:23], 0 offset:144 ; 4-byte Folded Reload
	buffer_load_dword v82, off, s[20:23], 0 offset:148 ; 4-byte Folded Reload
	buffer_load_dword v83, off, s[20:23], 0 offset:152 ; 4-byte Folded Reload
	buffer_load_dword v84, off, s[20:23], 0 offset:156 ; 4-byte Folded Reload
	s_waitcnt vmcnt(0)
	ds_write2_b64 v125, v[81:82], v[83:84] offset0:20 offset1:21
	;; [unrolled: 6-line block ×7, first 2 shown]
	ds_write2_b64 v125, v[117:118], v[119:120] offset0:32 offset1:33
	ds_write2_b64 v125, v[113:114], v[115:116] offset0:34 offset1:35
	buffer_load_dword v81, off, s[20:23], 0 offset:48 ; 4-byte Folded Reload
	buffer_load_dword v82, off, s[20:23], 0 offset:52 ; 4-byte Folded Reload
	;; [unrolled: 1-line block ×4, first 2 shown]
	s_waitcnt vmcnt(0)
	ds_write2_b64 v125, v[81:82], v[83:84] offset0:36 offset1:37
	ds_write2_b64 v125, v[77:78], v[79:80] offset0:38 offset1:39
	ds_write2_b64 v125, v[93:94], v[95:96] offset0:40 offset1:41
	buffer_load_dword v85, off, s[20:23], 0 offset:32 ; 4-byte Folded Reload
	buffer_load_dword v86, off, s[20:23], 0 offset:36 ; 4-byte Folded Reload
	;; [unrolled: 1-line block ×4, first 2 shown]
	s_waitcnt vmcnt(0)
	ds_write2_b64 v125, v[85:86], v[87:88] offset0:42 offset1:43
	buffer_load_dword v73, off, s[20:23], 0 offset:16 ; 4-byte Folded Reload
	buffer_load_dword v74, off, s[20:23], 0 offset:20 ; 4-byte Folded Reload
	;; [unrolled: 1-line block ×4, first 2 shown]
	s_waitcnt vmcnt(0)
	ds_write2_b64 v125, v[73:74], v[75:76] offset0:44 offset1:45
	buffer_load_dword v69, off, s[20:23], 0 ; 4-byte Folded Reload
	buffer_load_dword v70, off, s[20:23], 0 offset:4 ; 4-byte Folded Reload
	buffer_load_dword v71, off, s[20:23], 0 offset:8 ; 4-byte Folded Reload
	;; [unrolled: 1-line block ×3, first 2 shown]
	s_waitcnt vmcnt(0)
	ds_write2_b64 v125, v[69:70], v[71:72] offset0:46 offset1:47
	ds_write2_b64 v125, v[65:66], v[67:68] offset0:48 offset1:49
	;; [unrolled: 1-line block ×19, first 2 shown]
	ds_read2_b64 v[97:100], v127 offset1:1
	s_waitcnt lgkmcnt(0)
	v_cmp_neq_f64_e32 vcc, 0, v[97:98]
	v_cmp_neq_f64_e64 s[2:3], 0, v[99:100]
	s_or_b64 s[2:3], vcc, s[2:3]
	s_and_b64 exec, exec, s[2:3]
	s_cbranch_execz .LBB83_80
; %bb.75:
	v_cmp_ngt_f64_e64 s[2:3], |v[97:98]|, |v[99:100]|
                                        ; implicit-def: $vgpr101_vgpr102
	s_and_saveexec_b64 s[6:7], s[2:3]
	s_xor_b64 s[2:3], exec, s[6:7]
                                        ; implicit-def: $vgpr103_vgpr104
	s_cbranch_execz .LBB83_77
; %bb.76:
	v_div_scale_f64 v[101:102], s[6:7], v[99:100], v[99:100], v[97:98]
	v_rcp_f64_e32 v[103:104], v[101:102]
	v_fma_f64 v[105:106], -v[101:102], v[103:104], 1.0
	v_fma_f64 v[103:104], v[103:104], v[105:106], v[103:104]
	v_div_scale_f64 v[105:106], vcc, v[97:98], v[99:100], v[97:98]
	v_fma_f64 v[107:108], -v[101:102], v[103:104], 1.0
	v_fma_f64 v[103:104], v[103:104], v[107:108], v[103:104]
	v_mul_f64 v[107:108], v[105:106], v[103:104]
	v_fma_f64 v[101:102], -v[101:102], v[107:108], v[105:106]
	v_div_fmas_f64 v[101:102], v[101:102], v[103:104], v[107:108]
	v_div_fixup_f64 v[101:102], v[101:102], v[99:100], v[97:98]
	v_fma_f64 v[97:98], v[97:98], v[101:102], v[99:100]
	v_div_scale_f64 v[99:100], s[6:7], v[97:98], v[97:98], 1.0
	v_div_scale_f64 v[107:108], vcc, 1.0, v[97:98], 1.0
	v_rcp_f64_e32 v[103:104], v[99:100]
	v_fma_f64 v[105:106], -v[99:100], v[103:104], 1.0
	v_fma_f64 v[103:104], v[103:104], v[105:106], v[103:104]
	v_fma_f64 v[105:106], -v[99:100], v[103:104], 1.0
	v_fma_f64 v[103:104], v[103:104], v[105:106], v[103:104]
	v_mul_f64 v[105:106], v[107:108], v[103:104]
	v_fma_f64 v[99:100], -v[99:100], v[105:106], v[107:108]
	v_div_fmas_f64 v[99:100], v[99:100], v[103:104], v[105:106]
	v_div_fixup_f64 v[103:104], v[99:100], v[97:98], 1.0
                                        ; implicit-def: $vgpr97_vgpr98
	v_mul_f64 v[101:102], v[101:102], v[103:104]
	v_xor_b32_e32 v104, 0x80000000, v104
.LBB83_77:
	s_andn2_saveexec_b64 s[2:3], s[2:3]
	s_cbranch_execz .LBB83_79
; %bb.78:
	v_div_scale_f64 v[101:102], s[6:7], v[97:98], v[97:98], v[99:100]
	v_rcp_f64_e32 v[103:104], v[101:102]
	v_fma_f64 v[105:106], -v[101:102], v[103:104], 1.0
	v_fma_f64 v[103:104], v[103:104], v[105:106], v[103:104]
	v_div_scale_f64 v[105:106], vcc, v[99:100], v[97:98], v[99:100]
	v_fma_f64 v[107:108], -v[101:102], v[103:104], 1.0
	v_fma_f64 v[103:104], v[103:104], v[107:108], v[103:104]
	v_mul_f64 v[107:108], v[105:106], v[103:104]
	v_fma_f64 v[101:102], -v[101:102], v[107:108], v[105:106]
	v_div_fmas_f64 v[101:102], v[101:102], v[103:104], v[107:108]
	v_div_fixup_f64 v[103:104], v[101:102], v[97:98], v[99:100]
	v_fma_f64 v[97:98], v[99:100], v[103:104], v[97:98]
	v_div_scale_f64 v[99:100], s[6:7], v[97:98], v[97:98], 1.0
	v_div_scale_f64 v[107:108], vcc, 1.0, v[97:98], 1.0
	v_rcp_f64_e32 v[101:102], v[99:100]
	v_fma_f64 v[105:106], -v[99:100], v[101:102], 1.0
	v_fma_f64 v[101:102], v[101:102], v[105:106], v[101:102]
	v_fma_f64 v[105:106], -v[99:100], v[101:102], 1.0
	v_fma_f64 v[101:102], v[101:102], v[105:106], v[101:102]
	v_mul_f64 v[105:106], v[107:108], v[101:102]
	v_fma_f64 v[99:100], -v[99:100], v[105:106], v[107:108]
	v_div_fmas_f64 v[99:100], v[99:100], v[101:102], v[105:106]
	v_div_fixup_f64 v[101:102], v[99:100], v[97:98], 1.0
	v_mul_f64 v[103:104], v[103:104], -v[101:102]
.LBB83_79:
	s_or_b64 exec, exec, s[2:3]
	ds_write2_b64 v127, v[101:102], v[103:104] offset1:1
.LBB83_80:
	s_or_b64 exec, exec, s[4:5]
	s_waitcnt lgkmcnt(0)
	s_barrier
	ds_read2_b64 v[81:84], v127 offset1:1
	v_cmp_lt_u32_e32 vcc, 8, v0
	s_waitcnt lgkmcnt(0)
	buffer_store_dword v81, off, s[20:23], 0 offset:808 ; 4-byte Folded Spill
	s_nop 0
	buffer_store_dword v82, off, s[20:23], 0 offset:812 ; 4-byte Folded Spill
	buffer_store_dword v83, off, s[20:23], 0 offset:816 ; 4-byte Folded Spill
	;; [unrolled: 1-line block ×3, first 2 shown]
	s_and_saveexec_b64 s[2:3], vcc
	s_cbranch_execz .LBB83_82
; %bb.81:
	buffer_load_dword v87, off, s[20:23], 0 offset:176 ; 4-byte Folded Reload
	buffer_load_dword v88, off, s[20:23], 0 offset:180 ; 4-byte Folded Reload
	;; [unrolled: 1-line block ×8, first 2 shown]
	s_waitcnt vmcnt(2)
	v_mul_f64 v[99:100], v[81:82], v[89:90]
	s_waitcnt vmcnt(0)
	v_mul_f64 v[97:98], v[83:84], v[89:90]
	v_fma_f64 v[89:90], v[83:84], v[87:88], v[99:100]
	ds_read2_b64 v[99:102], v125 offset0:18 offset1:19
	v_fma_f64 v[97:98], v[81:82], v[87:88], -v[97:98]
	buffer_load_dword v81, off, s[20:23], 0 offset:160 ; 4-byte Folded Reload
	buffer_load_dword v82, off, s[20:23], 0 offset:164 ; 4-byte Folded Reload
	buffer_load_dword v83, off, s[20:23], 0 offset:168 ; 4-byte Folded Reload
	buffer_load_dword v84, off, s[20:23], 0 offset:172 ; 4-byte Folded Reload
	s_waitcnt lgkmcnt(0)
	v_mul_f64 v[103:104], v[101:102], v[89:90]
	v_fma_f64 v[103:104], v[99:100], v[97:98], -v[103:104]
	v_mul_f64 v[99:100], v[99:100], v[89:90]
	v_fma_f64 v[99:100], v[101:102], v[97:98], v[99:100]
	s_waitcnt vmcnt(2)
	v_add_f64 v[81:82], v[81:82], -v[103:104]
	s_waitcnt vmcnt(0)
	v_add_f64 v[83:84], v[83:84], -v[99:100]
	buffer_store_dword v81, off, s[20:23], 0 offset:160 ; 4-byte Folded Spill
	s_nop 0
	buffer_store_dword v82, off, s[20:23], 0 offset:164 ; 4-byte Folded Spill
	buffer_store_dword v83, off, s[20:23], 0 offset:168 ; 4-byte Folded Spill
	buffer_store_dword v84, off, s[20:23], 0 offset:172 ; 4-byte Folded Spill
	ds_read2_b64 v[99:102], v125 offset0:20 offset1:21
	buffer_load_dword v81, off, s[20:23], 0 offset:144 ; 4-byte Folded Reload
	buffer_load_dword v82, off, s[20:23], 0 offset:148 ; 4-byte Folded Reload
	buffer_load_dword v83, off, s[20:23], 0 offset:152 ; 4-byte Folded Reload
	buffer_load_dword v84, off, s[20:23], 0 offset:156 ; 4-byte Folded Reload
	s_waitcnt lgkmcnt(0)
	v_mul_f64 v[103:104], v[101:102], v[89:90]
	v_fma_f64 v[103:104], v[99:100], v[97:98], -v[103:104]
	v_mul_f64 v[99:100], v[99:100], v[89:90]
	v_fma_f64 v[99:100], v[101:102], v[97:98], v[99:100]
	s_waitcnt vmcnt(2)
	v_add_f64 v[81:82], v[81:82], -v[103:104]
	s_waitcnt vmcnt(0)
	v_add_f64 v[83:84], v[83:84], -v[99:100]
	buffer_store_dword v81, off, s[20:23], 0 offset:144 ; 4-byte Folded Spill
	s_nop 0
	buffer_store_dword v82, off, s[20:23], 0 offset:148 ; 4-byte Folded Spill
	buffer_store_dword v83, off, s[20:23], 0 offset:152 ; 4-byte Folded Spill
	buffer_store_dword v84, off, s[20:23], 0 offset:156 ; 4-byte Folded Spill
	ds_read2_b64 v[99:102], v125 offset0:22 offset1:23
	buffer_load_dword v81, off, s[20:23], 0 offset:128 ; 4-byte Folded Reload
	buffer_load_dword v82, off, s[20:23], 0 offset:132 ; 4-byte Folded Reload
	buffer_load_dword v83, off, s[20:23], 0 offset:136 ; 4-byte Folded Reload
	buffer_load_dword v84, off, s[20:23], 0 offset:140 ; 4-byte Folded Reload
	s_waitcnt lgkmcnt(0)
	v_mul_f64 v[103:104], v[101:102], v[89:90]
	v_fma_f64 v[103:104], v[99:100], v[97:98], -v[103:104]
	v_mul_f64 v[99:100], v[99:100], v[89:90]
	v_fma_f64 v[99:100], v[101:102], v[97:98], v[99:100]
	s_waitcnt vmcnt(2)
	v_add_f64 v[81:82], v[81:82], -v[103:104]
	s_waitcnt vmcnt(0)
	v_add_f64 v[83:84], v[83:84], -v[99:100]
	buffer_store_dword v81, off, s[20:23], 0 offset:128 ; 4-byte Folded Spill
	s_nop 0
	buffer_store_dword v82, off, s[20:23], 0 offset:132 ; 4-byte Folded Spill
	buffer_store_dword v83, off, s[20:23], 0 offset:136 ; 4-byte Folded Spill
	buffer_store_dword v84, off, s[20:23], 0 offset:140 ; 4-byte Folded Spill
	ds_read2_b64 v[99:102], v125 offset0:24 offset1:25
	buffer_load_dword v81, off, s[20:23], 0 offset:112 ; 4-byte Folded Reload
	buffer_load_dword v82, off, s[20:23], 0 offset:116 ; 4-byte Folded Reload
	buffer_load_dword v83, off, s[20:23], 0 offset:120 ; 4-byte Folded Reload
	buffer_load_dword v84, off, s[20:23], 0 offset:124 ; 4-byte Folded Reload
	s_waitcnt lgkmcnt(0)
	v_mul_f64 v[103:104], v[101:102], v[89:90]
	v_fma_f64 v[103:104], v[99:100], v[97:98], -v[103:104]
	v_mul_f64 v[99:100], v[99:100], v[89:90]
	v_fma_f64 v[99:100], v[101:102], v[97:98], v[99:100]
	s_waitcnt vmcnt(2)
	v_add_f64 v[81:82], v[81:82], -v[103:104]
	s_waitcnt vmcnt(0)
	v_add_f64 v[83:84], v[83:84], -v[99:100]
	buffer_store_dword v81, off, s[20:23], 0 offset:112 ; 4-byte Folded Spill
	s_nop 0
	buffer_store_dword v82, off, s[20:23], 0 offset:116 ; 4-byte Folded Spill
	buffer_store_dword v83, off, s[20:23], 0 offset:120 ; 4-byte Folded Spill
	buffer_store_dword v84, off, s[20:23], 0 offset:124 ; 4-byte Folded Spill
	ds_read2_b64 v[99:102], v125 offset0:26 offset1:27
	buffer_load_dword v81, off, s[20:23], 0 offset:96 ; 4-byte Folded Reload
	buffer_load_dword v82, off, s[20:23], 0 offset:100 ; 4-byte Folded Reload
	buffer_load_dword v83, off, s[20:23], 0 offset:104 ; 4-byte Folded Reload
	buffer_load_dword v84, off, s[20:23], 0 offset:108 ; 4-byte Folded Reload
	s_waitcnt lgkmcnt(0)
	v_mul_f64 v[103:104], v[101:102], v[89:90]
	v_fma_f64 v[103:104], v[99:100], v[97:98], -v[103:104]
	v_mul_f64 v[99:100], v[99:100], v[89:90]
	v_fma_f64 v[99:100], v[101:102], v[97:98], v[99:100]
	s_waitcnt vmcnt(2)
	v_add_f64 v[81:82], v[81:82], -v[103:104]
	s_waitcnt vmcnt(0)
	v_add_f64 v[83:84], v[83:84], -v[99:100]
	buffer_store_dword v81, off, s[20:23], 0 offset:96 ; 4-byte Folded Spill
	s_nop 0
	buffer_store_dword v82, off, s[20:23], 0 offset:100 ; 4-byte Folded Spill
	buffer_store_dword v83, off, s[20:23], 0 offset:104 ; 4-byte Folded Spill
	buffer_store_dword v84, off, s[20:23], 0 offset:108 ; 4-byte Folded Spill
	ds_read2_b64 v[99:102], v125 offset0:28 offset1:29
	buffer_load_dword v81, off, s[20:23], 0 offset:80 ; 4-byte Folded Reload
	buffer_load_dword v82, off, s[20:23], 0 offset:84 ; 4-byte Folded Reload
	buffer_load_dword v83, off, s[20:23], 0 offset:88 ; 4-byte Folded Reload
	buffer_load_dword v84, off, s[20:23], 0 offset:92 ; 4-byte Folded Reload
	s_waitcnt lgkmcnt(0)
	v_mul_f64 v[103:104], v[101:102], v[89:90]
	v_fma_f64 v[103:104], v[99:100], v[97:98], -v[103:104]
	v_mul_f64 v[99:100], v[99:100], v[89:90]
	v_fma_f64 v[99:100], v[101:102], v[97:98], v[99:100]
	s_waitcnt vmcnt(2)
	v_add_f64 v[81:82], v[81:82], -v[103:104]
	s_waitcnt vmcnt(0)
	v_add_f64 v[83:84], v[83:84], -v[99:100]
	buffer_store_dword v81, off, s[20:23], 0 offset:80 ; 4-byte Folded Spill
	s_nop 0
	buffer_store_dword v82, off, s[20:23], 0 offset:84 ; 4-byte Folded Spill
	buffer_store_dword v83, off, s[20:23], 0 offset:88 ; 4-byte Folded Spill
	buffer_store_dword v84, off, s[20:23], 0 offset:92 ; 4-byte Folded Spill
	ds_read2_b64 v[99:102], v125 offset0:30 offset1:31
	buffer_load_dword v81, off, s[20:23], 0 offset:64 ; 4-byte Folded Reload
	buffer_load_dword v82, off, s[20:23], 0 offset:68 ; 4-byte Folded Reload
	buffer_load_dword v83, off, s[20:23], 0 offset:72 ; 4-byte Folded Reload
	buffer_load_dword v84, off, s[20:23], 0 offset:76 ; 4-byte Folded Reload
	s_waitcnt lgkmcnt(0)
	v_mul_f64 v[103:104], v[101:102], v[89:90]
	v_fma_f64 v[103:104], v[99:100], v[97:98], -v[103:104]
	v_mul_f64 v[99:100], v[99:100], v[89:90]
	v_fma_f64 v[99:100], v[101:102], v[97:98], v[99:100]
	s_waitcnt vmcnt(2)
	v_add_f64 v[81:82], v[81:82], -v[103:104]
	s_waitcnt vmcnt(0)
	v_add_f64 v[83:84], v[83:84], -v[99:100]
	buffer_store_dword v81, off, s[20:23], 0 offset:64 ; 4-byte Folded Spill
	s_nop 0
	buffer_store_dword v82, off, s[20:23], 0 offset:68 ; 4-byte Folded Spill
	buffer_store_dword v83, off, s[20:23], 0 offset:72 ; 4-byte Folded Spill
	buffer_store_dword v84, off, s[20:23], 0 offset:76 ; 4-byte Folded Spill
	ds_read2_b64 v[99:102], v125 offset0:32 offset1:33
	s_waitcnt lgkmcnt(0)
	v_mul_f64 v[103:104], v[101:102], v[89:90]
	v_fma_f64 v[103:104], v[99:100], v[97:98], -v[103:104]
	v_mul_f64 v[99:100], v[99:100], v[89:90]
	v_add_f64 v[117:118], v[117:118], -v[103:104]
	v_fma_f64 v[99:100], v[101:102], v[97:98], v[99:100]
	v_add_f64 v[119:120], v[119:120], -v[99:100]
	ds_read2_b64 v[99:102], v125 offset0:34 offset1:35
	s_waitcnt lgkmcnt(0)
	v_mul_f64 v[103:104], v[101:102], v[89:90]
	v_fma_f64 v[103:104], v[99:100], v[97:98], -v[103:104]
	v_mul_f64 v[99:100], v[99:100], v[89:90]
	v_add_f64 v[113:114], v[113:114], -v[103:104]
	v_fma_f64 v[99:100], v[101:102], v[97:98], v[99:100]
	v_add_f64 v[115:116], v[115:116], -v[99:100]
	ds_read2_b64 v[99:102], v125 offset0:36 offset1:37
	buffer_load_dword v81, off, s[20:23], 0 offset:48 ; 4-byte Folded Reload
	buffer_load_dword v82, off, s[20:23], 0 offset:52 ; 4-byte Folded Reload
	;; [unrolled: 1-line block ×4, first 2 shown]
	s_waitcnt lgkmcnt(0)
	v_mul_f64 v[103:104], v[101:102], v[89:90]
	v_fma_f64 v[103:104], v[99:100], v[97:98], -v[103:104]
	v_mul_f64 v[99:100], v[99:100], v[89:90]
	v_fma_f64 v[99:100], v[101:102], v[97:98], v[99:100]
	s_waitcnt vmcnt(2)
	v_add_f64 v[81:82], v[81:82], -v[103:104]
	s_waitcnt vmcnt(0)
	v_add_f64 v[83:84], v[83:84], -v[99:100]
	buffer_store_dword v81, off, s[20:23], 0 offset:48 ; 4-byte Folded Spill
	s_nop 0
	buffer_store_dword v82, off, s[20:23], 0 offset:52 ; 4-byte Folded Spill
	buffer_store_dword v83, off, s[20:23], 0 offset:56 ; 4-byte Folded Spill
	;; [unrolled: 1-line block ×3, first 2 shown]
	ds_read2_b64 v[99:102], v125 offset0:38 offset1:39
	s_waitcnt lgkmcnt(0)
	v_mul_f64 v[103:104], v[101:102], v[89:90]
	v_fma_f64 v[103:104], v[99:100], v[97:98], -v[103:104]
	v_mul_f64 v[99:100], v[99:100], v[89:90]
	v_add_f64 v[77:78], v[77:78], -v[103:104]
	v_fma_f64 v[99:100], v[101:102], v[97:98], v[99:100]
	v_add_f64 v[79:80], v[79:80], -v[99:100]
	ds_read2_b64 v[99:102], v125 offset0:40 offset1:41
	s_waitcnt lgkmcnt(0)
	v_mul_f64 v[103:104], v[101:102], v[89:90]
	v_fma_f64 v[103:104], v[99:100], v[97:98], -v[103:104]
	v_mul_f64 v[99:100], v[99:100], v[89:90]
	v_add_f64 v[93:94], v[93:94], -v[103:104]
	v_fma_f64 v[99:100], v[101:102], v[97:98], v[99:100]
	v_add_f64 v[95:96], v[95:96], -v[99:100]
	ds_read2_b64 v[99:102], v125 offset0:42 offset1:43
	buffer_load_dword v85, off, s[20:23], 0 offset:32 ; 4-byte Folded Reload
	buffer_load_dword v86, off, s[20:23], 0 offset:36 ; 4-byte Folded Reload
	buffer_load_dword v87, off, s[20:23], 0 offset:40 ; 4-byte Folded Reload
	buffer_load_dword v88, off, s[20:23], 0 offset:44 ; 4-byte Folded Reload
	s_waitcnt lgkmcnt(0)
	v_mul_f64 v[103:104], v[101:102], v[89:90]
	v_fma_f64 v[103:104], v[99:100], v[97:98], -v[103:104]
	v_mul_f64 v[99:100], v[99:100], v[89:90]
	v_fma_f64 v[99:100], v[101:102], v[97:98], v[99:100]
	s_waitcnt vmcnt(2)
	v_add_f64 v[85:86], v[85:86], -v[103:104]
	s_waitcnt vmcnt(0)
	v_add_f64 v[87:88], v[87:88], -v[99:100]
	buffer_store_dword v85, off, s[20:23], 0 offset:32 ; 4-byte Folded Spill
	s_nop 0
	buffer_store_dword v86, off, s[20:23], 0 offset:36 ; 4-byte Folded Spill
	buffer_store_dword v87, off, s[20:23], 0 offset:40 ; 4-byte Folded Spill
	;; [unrolled: 1-line block ×3, first 2 shown]
	ds_read2_b64 v[99:102], v125 offset0:44 offset1:45
	buffer_load_dword v73, off, s[20:23], 0 offset:16 ; 4-byte Folded Reload
	buffer_load_dword v74, off, s[20:23], 0 offset:20 ; 4-byte Folded Reload
	;; [unrolled: 1-line block ×4, first 2 shown]
	v_mov_b32_e32 v87, v97
	v_mov_b32_e32 v88, v98
	s_waitcnt lgkmcnt(0)
	v_mul_f64 v[103:104], v[101:102], v[89:90]
	v_fma_f64 v[103:104], v[99:100], v[97:98], -v[103:104]
	v_mul_f64 v[99:100], v[99:100], v[89:90]
	v_fma_f64 v[99:100], v[101:102], v[97:98], v[99:100]
	s_waitcnt vmcnt(2)
	v_add_f64 v[73:74], v[73:74], -v[103:104]
	s_waitcnt vmcnt(0)
	v_add_f64 v[75:76], v[75:76], -v[99:100]
	buffer_store_dword v73, off, s[20:23], 0 offset:16 ; 4-byte Folded Spill
	s_nop 0
	buffer_store_dword v74, off, s[20:23], 0 offset:20 ; 4-byte Folded Spill
	buffer_store_dword v75, off, s[20:23], 0 offset:24 ; 4-byte Folded Spill
	;; [unrolled: 1-line block ×3, first 2 shown]
	ds_read2_b64 v[99:102], v125 offset0:46 offset1:47
	buffer_load_dword v69, off, s[20:23], 0 ; 4-byte Folded Reload
	buffer_load_dword v70, off, s[20:23], 0 offset:4 ; 4-byte Folded Reload
	buffer_load_dword v71, off, s[20:23], 0 offset:8 ; 4-byte Folded Reload
	;; [unrolled: 1-line block ×3, first 2 shown]
	s_waitcnt lgkmcnt(0)
	v_mul_f64 v[103:104], v[101:102], v[89:90]
	v_fma_f64 v[103:104], v[99:100], v[97:98], -v[103:104]
	v_mul_f64 v[99:100], v[99:100], v[89:90]
	v_fma_f64 v[99:100], v[101:102], v[97:98], v[99:100]
	s_waitcnt vmcnt(2)
	v_add_f64 v[69:70], v[69:70], -v[103:104]
	s_waitcnt vmcnt(0)
	v_add_f64 v[71:72], v[71:72], -v[99:100]
	buffer_store_dword v69, off, s[20:23], 0 ; 4-byte Folded Spill
	s_nop 0
	buffer_store_dword v70, off, s[20:23], 0 offset:4 ; 4-byte Folded Spill
	buffer_store_dword v71, off, s[20:23], 0 offset:8 ; 4-byte Folded Spill
	;; [unrolled: 1-line block ×3, first 2 shown]
	ds_read2_b64 v[99:102], v125 offset0:48 offset1:49
	s_waitcnt lgkmcnt(0)
	v_mul_f64 v[103:104], v[101:102], v[89:90]
	v_fma_f64 v[103:104], v[99:100], v[97:98], -v[103:104]
	v_mul_f64 v[99:100], v[99:100], v[89:90]
	v_add_f64 v[65:66], v[65:66], -v[103:104]
	v_fma_f64 v[99:100], v[101:102], v[97:98], v[99:100]
	v_add_f64 v[67:68], v[67:68], -v[99:100]
	ds_read2_b64 v[99:102], v125 offset0:50 offset1:51
	s_waitcnt lgkmcnt(0)
	v_mul_f64 v[103:104], v[101:102], v[89:90]
	v_fma_f64 v[103:104], v[99:100], v[97:98], -v[103:104]
	v_mul_f64 v[99:100], v[99:100], v[89:90]
	v_add_f64 v[61:62], v[61:62], -v[103:104]
	v_fma_f64 v[99:100], v[101:102], v[97:98], v[99:100]
	v_add_f64 v[63:64], v[63:64], -v[99:100]
	;; [unrolled: 8-line block ×17, first 2 shown]
	ds_read2_b64 v[99:102], v125 offset0:82 offset1:83
	s_waitcnt lgkmcnt(0)
	v_mul_f64 v[103:104], v[101:102], v[89:90]
	v_fma_f64 v[103:104], v[99:100], v[97:98], -v[103:104]
	v_mul_f64 v[99:100], v[99:100], v[89:90]
	buffer_store_dword v87, off, s[20:23], 0 offset:176 ; 4-byte Folded Spill
	s_nop 0
	buffer_store_dword v88, off, s[20:23], 0 offset:180 ; 4-byte Folded Spill
	buffer_store_dword v89, off, s[20:23], 0 offset:184 ; 4-byte Folded Spill
	;; [unrolled: 1-line block ×3, first 2 shown]
	v_add_f64 v[121:122], v[121:122], -v[103:104]
	v_fma_f64 v[99:100], v[101:102], v[97:98], v[99:100]
	v_add_f64 v[123:124], v[123:124], -v[99:100]
.LBB83_82:
	s_or_b64 exec, exec, s[2:3]
	v_cmp_eq_u32_e32 vcc, 9, v0
	s_waitcnt vmcnt(0)
	s_barrier
	s_and_saveexec_b64 s[4:5], vcc
	s_cbranch_execz .LBB83_89
; %bb.83:
	buffer_load_dword v81, off, s[20:23], 0 offset:160 ; 4-byte Folded Reload
	buffer_load_dword v82, off, s[20:23], 0 offset:164 ; 4-byte Folded Reload
	;; [unrolled: 1-line block ×4, first 2 shown]
	s_waitcnt vmcnt(0)
	ds_write2_b64 v127, v[81:82], v[83:84] offset1:1
	buffer_load_dword v81, off, s[20:23], 0 offset:144 ; 4-byte Folded Reload
	buffer_load_dword v82, off, s[20:23], 0 offset:148 ; 4-byte Folded Reload
	buffer_load_dword v83, off, s[20:23], 0 offset:152 ; 4-byte Folded Reload
	buffer_load_dword v84, off, s[20:23], 0 offset:156 ; 4-byte Folded Reload
	s_waitcnt vmcnt(0)
	ds_write2_b64 v125, v[81:82], v[83:84] offset0:20 offset1:21
	buffer_load_dword v81, off, s[20:23], 0 offset:128 ; 4-byte Folded Reload
	buffer_load_dword v82, off, s[20:23], 0 offset:132 ; 4-byte Folded Reload
	buffer_load_dword v83, off, s[20:23], 0 offset:136 ; 4-byte Folded Reload
	buffer_load_dword v84, off, s[20:23], 0 offset:140 ; 4-byte Folded Reload
	s_waitcnt vmcnt(0)
	ds_write2_b64 v125, v[81:82], v[83:84] offset0:22 offset1:23
	;; [unrolled: 6-line block ×6, first 2 shown]
	ds_write2_b64 v125, v[117:118], v[119:120] offset0:32 offset1:33
	ds_write2_b64 v125, v[113:114], v[115:116] offset0:34 offset1:35
	buffer_load_dword v81, off, s[20:23], 0 offset:48 ; 4-byte Folded Reload
	buffer_load_dword v82, off, s[20:23], 0 offset:52 ; 4-byte Folded Reload
	;; [unrolled: 1-line block ×4, first 2 shown]
	s_waitcnt vmcnt(0)
	ds_write2_b64 v125, v[81:82], v[83:84] offset0:36 offset1:37
	ds_write2_b64 v125, v[77:78], v[79:80] offset0:38 offset1:39
	;; [unrolled: 1-line block ×3, first 2 shown]
	buffer_load_dword v85, off, s[20:23], 0 offset:32 ; 4-byte Folded Reload
	buffer_load_dword v86, off, s[20:23], 0 offset:36 ; 4-byte Folded Reload
	;; [unrolled: 1-line block ×4, first 2 shown]
	s_waitcnt vmcnt(0)
	ds_write2_b64 v125, v[85:86], v[87:88] offset0:42 offset1:43
	buffer_load_dword v73, off, s[20:23], 0 offset:16 ; 4-byte Folded Reload
	buffer_load_dword v74, off, s[20:23], 0 offset:20 ; 4-byte Folded Reload
	;; [unrolled: 1-line block ×4, first 2 shown]
	s_waitcnt vmcnt(0)
	ds_write2_b64 v125, v[73:74], v[75:76] offset0:44 offset1:45
	buffer_load_dword v69, off, s[20:23], 0 ; 4-byte Folded Reload
	buffer_load_dword v70, off, s[20:23], 0 offset:4 ; 4-byte Folded Reload
	buffer_load_dword v71, off, s[20:23], 0 offset:8 ; 4-byte Folded Reload
	;; [unrolled: 1-line block ×3, first 2 shown]
	s_waitcnt vmcnt(0)
	ds_write2_b64 v125, v[69:70], v[71:72] offset0:46 offset1:47
	ds_write2_b64 v125, v[65:66], v[67:68] offset0:48 offset1:49
	ds_write2_b64 v125, v[61:62], v[63:64] offset0:50 offset1:51
	ds_write2_b64 v125, v[57:58], v[59:60] offset0:52 offset1:53
	ds_write2_b64 v125, v[53:54], v[55:56] offset0:54 offset1:55
	ds_write2_b64 v125, v[49:50], v[51:52] offset0:56 offset1:57
	ds_write2_b64 v125, v[45:46], v[47:48] offset0:58 offset1:59
	ds_write2_b64 v125, v[41:42], v[43:44] offset0:60 offset1:61
	ds_write2_b64 v125, v[37:38], v[39:40] offset0:62 offset1:63
	ds_write2_b64 v125, v[33:34], v[35:36] offset0:64 offset1:65
	ds_write2_b64 v125, v[29:30], v[31:32] offset0:66 offset1:67
	ds_write2_b64 v125, v[25:26], v[27:28] offset0:68 offset1:69
	ds_write2_b64 v125, v[21:22], v[23:24] offset0:70 offset1:71
	ds_write2_b64 v125, v[17:18], v[19:20] offset0:72 offset1:73
	ds_write2_b64 v125, v[13:14], v[15:16] offset0:74 offset1:75
	ds_write2_b64 v125, v[9:10], v[11:12] offset0:76 offset1:77
	ds_write2_b64 v125, v[5:6], v[7:8] offset0:78 offset1:79
	ds_write2_b64 v125, v[1:2], v[3:4] offset0:80 offset1:81
	ds_write2_b64 v125, v[121:122], v[123:124] offset0:82 offset1:83
	ds_read2_b64 v[97:100], v127 offset1:1
	s_waitcnt lgkmcnt(0)
	v_cmp_neq_f64_e32 vcc, 0, v[97:98]
	v_cmp_neq_f64_e64 s[2:3], 0, v[99:100]
	s_or_b64 s[2:3], vcc, s[2:3]
	s_and_b64 exec, exec, s[2:3]
	s_cbranch_execz .LBB83_89
; %bb.84:
	v_cmp_ngt_f64_e64 s[2:3], |v[97:98]|, |v[99:100]|
                                        ; implicit-def: $vgpr101_vgpr102
	s_and_saveexec_b64 s[6:7], s[2:3]
	s_xor_b64 s[2:3], exec, s[6:7]
                                        ; implicit-def: $vgpr103_vgpr104
	s_cbranch_execz .LBB83_86
; %bb.85:
	v_div_scale_f64 v[101:102], s[6:7], v[99:100], v[99:100], v[97:98]
	v_rcp_f64_e32 v[103:104], v[101:102]
	v_fma_f64 v[105:106], -v[101:102], v[103:104], 1.0
	v_fma_f64 v[103:104], v[103:104], v[105:106], v[103:104]
	v_div_scale_f64 v[105:106], vcc, v[97:98], v[99:100], v[97:98]
	v_fma_f64 v[107:108], -v[101:102], v[103:104], 1.0
	v_fma_f64 v[103:104], v[103:104], v[107:108], v[103:104]
	v_mul_f64 v[107:108], v[105:106], v[103:104]
	v_fma_f64 v[101:102], -v[101:102], v[107:108], v[105:106]
	v_div_fmas_f64 v[101:102], v[101:102], v[103:104], v[107:108]
	v_div_fixup_f64 v[101:102], v[101:102], v[99:100], v[97:98]
	v_fma_f64 v[97:98], v[97:98], v[101:102], v[99:100]
	v_div_scale_f64 v[99:100], s[6:7], v[97:98], v[97:98], 1.0
	v_div_scale_f64 v[107:108], vcc, 1.0, v[97:98], 1.0
	v_rcp_f64_e32 v[103:104], v[99:100]
	v_fma_f64 v[105:106], -v[99:100], v[103:104], 1.0
	v_fma_f64 v[103:104], v[103:104], v[105:106], v[103:104]
	v_fma_f64 v[105:106], -v[99:100], v[103:104], 1.0
	v_fma_f64 v[103:104], v[103:104], v[105:106], v[103:104]
	v_mul_f64 v[105:106], v[107:108], v[103:104]
	v_fma_f64 v[99:100], -v[99:100], v[105:106], v[107:108]
	v_div_fmas_f64 v[99:100], v[99:100], v[103:104], v[105:106]
	v_div_fixup_f64 v[103:104], v[99:100], v[97:98], 1.0
                                        ; implicit-def: $vgpr97_vgpr98
	v_mul_f64 v[101:102], v[101:102], v[103:104]
	v_xor_b32_e32 v104, 0x80000000, v104
.LBB83_86:
	s_andn2_saveexec_b64 s[2:3], s[2:3]
	s_cbranch_execz .LBB83_88
; %bb.87:
	v_div_scale_f64 v[101:102], s[6:7], v[97:98], v[97:98], v[99:100]
	v_rcp_f64_e32 v[103:104], v[101:102]
	v_fma_f64 v[105:106], -v[101:102], v[103:104], 1.0
	v_fma_f64 v[103:104], v[103:104], v[105:106], v[103:104]
	v_div_scale_f64 v[105:106], vcc, v[99:100], v[97:98], v[99:100]
	v_fma_f64 v[107:108], -v[101:102], v[103:104], 1.0
	v_fma_f64 v[103:104], v[103:104], v[107:108], v[103:104]
	v_mul_f64 v[107:108], v[105:106], v[103:104]
	v_fma_f64 v[101:102], -v[101:102], v[107:108], v[105:106]
	v_div_fmas_f64 v[101:102], v[101:102], v[103:104], v[107:108]
	v_div_fixup_f64 v[103:104], v[101:102], v[97:98], v[99:100]
	v_fma_f64 v[97:98], v[99:100], v[103:104], v[97:98]
	v_div_scale_f64 v[99:100], s[6:7], v[97:98], v[97:98], 1.0
	v_div_scale_f64 v[107:108], vcc, 1.0, v[97:98], 1.0
	v_rcp_f64_e32 v[101:102], v[99:100]
	v_fma_f64 v[105:106], -v[99:100], v[101:102], 1.0
	v_fma_f64 v[101:102], v[101:102], v[105:106], v[101:102]
	v_fma_f64 v[105:106], -v[99:100], v[101:102], 1.0
	v_fma_f64 v[101:102], v[101:102], v[105:106], v[101:102]
	v_mul_f64 v[105:106], v[107:108], v[101:102]
	v_fma_f64 v[99:100], -v[99:100], v[105:106], v[107:108]
	v_div_fmas_f64 v[99:100], v[99:100], v[101:102], v[105:106]
	v_div_fixup_f64 v[101:102], v[99:100], v[97:98], 1.0
	v_mul_f64 v[103:104], v[103:104], -v[101:102]
.LBB83_88:
	s_or_b64 exec, exec, s[2:3]
	ds_write2_b64 v127, v[101:102], v[103:104] offset1:1
.LBB83_89:
	s_or_b64 exec, exec, s[4:5]
	s_waitcnt lgkmcnt(0)
	s_barrier
	ds_read2_b64 v[81:84], v127 offset1:1
	v_cmp_lt_u32_e32 vcc, 9, v0
	s_waitcnt lgkmcnt(0)
	buffer_store_dword v81, off, s[20:23], 0 offset:824 ; 4-byte Folded Spill
	s_nop 0
	buffer_store_dword v82, off, s[20:23], 0 offset:828 ; 4-byte Folded Spill
	buffer_store_dword v83, off, s[20:23], 0 offset:832 ; 4-byte Folded Spill
	;; [unrolled: 1-line block ×3, first 2 shown]
	s_and_saveexec_b64 s[2:3], vcc
	s_cbranch_execz .LBB83_91
; %bb.90:
	buffer_load_dword v87, off, s[20:23], 0 offset:160 ; 4-byte Folded Reload
	buffer_load_dword v88, off, s[20:23], 0 offset:164 ; 4-byte Folded Reload
	;; [unrolled: 1-line block ×8, first 2 shown]
	s_waitcnt vmcnt(2)
	v_mul_f64 v[99:100], v[81:82], v[89:90]
	s_waitcnt vmcnt(0)
	v_mul_f64 v[97:98], v[83:84], v[89:90]
	v_fma_f64 v[89:90], v[83:84], v[87:88], v[99:100]
	ds_read2_b64 v[99:102], v125 offset0:20 offset1:21
	v_fma_f64 v[97:98], v[81:82], v[87:88], -v[97:98]
	buffer_load_dword v81, off, s[20:23], 0 offset:144 ; 4-byte Folded Reload
	buffer_load_dword v82, off, s[20:23], 0 offset:148 ; 4-byte Folded Reload
	buffer_load_dword v83, off, s[20:23], 0 offset:152 ; 4-byte Folded Reload
	buffer_load_dword v84, off, s[20:23], 0 offset:156 ; 4-byte Folded Reload
	s_waitcnt lgkmcnt(0)
	v_mul_f64 v[103:104], v[101:102], v[89:90]
	v_fma_f64 v[103:104], v[99:100], v[97:98], -v[103:104]
	v_mul_f64 v[99:100], v[99:100], v[89:90]
	v_fma_f64 v[99:100], v[101:102], v[97:98], v[99:100]
	s_waitcnt vmcnt(2)
	v_add_f64 v[81:82], v[81:82], -v[103:104]
	s_waitcnt vmcnt(0)
	v_add_f64 v[83:84], v[83:84], -v[99:100]
	buffer_store_dword v81, off, s[20:23], 0 offset:144 ; 4-byte Folded Spill
	s_nop 0
	buffer_store_dword v82, off, s[20:23], 0 offset:148 ; 4-byte Folded Spill
	buffer_store_dword v83, off, s[20:23], 0 offset:152 ; 4-byte Folded Spill
	buffer_store_dword v84, off, s[20:23], 0 offset:156 ; 4-byte Folded Spill
	ds_read2_b64 v[99:102], v125 offset0:22 offset1:23
	buffer_load_dword v81, off, s[20:23], 0 offset:128 ; 4-byte Folded Reload
	buffer_load_dword v82, off, s[20:23], 0 offset:132 ; 4-byte Folded Reload
	buffer_load_dword v83, off, s[20:23], 0 offset:136 ; 4-byte Folded Reload
	buffer_load_dword v84, off, s[20:23], 0 offset:140 ; 4-byte Folded Reload
	s_waitcnt lgkmcnt(0)
	v_mul_f64 v[103:104], v[101:102], v[89:90]
	v_fma_f64 v[103:104], v[99:100], v[97:98], -v[103:104]
	v_mul_f64 v[99:100], v[99:100], v[89:90]
	v_fma_f64 v[99:100], v[101:102], v[97:98], v[99:100]
	s_waitcnt vmcnt(2)
	v_add_f64 v[81:82], v[81:82], -v[103:104]
	s_waitcnt vmcnt(0)
	v_add_f64 v[83:84], v[83:84], -v[99:100]
	buffer_store_dword v81, off, s[20:23], 0 offset:128 ; 4-byte Folded Spill
	s_nop 0
	buffer_store_dword v82, off, s[20:23], 0 offset:132 ; 4-byte Folded Spill
	buffer_store_dword v83, off, s[20:23], 0 offset:136 ; 4-byte Folded Spill
	buffer_store_dword v84, off, s[20:23], 0 offset:140 ; 4-byte Folded Spill
	ds_read2_b64 v[99:102], v125 offset0:24 offset1:25
	;; [unrolled: 19-line block ×6, first 2 shown]
	s_waitcnt lgkmcnt(0)
	v_mul_f64 v[103:104], v[101:102], v[89:90]
	v_fma_f64 v[103:104], v[99:100], v[97:98], -v[103:104]
	v_mul_f64 v[99:100], v[99:100], v[89:90]
	v_add_f64 v[117:118], v[117:118], -v[103:104]
	v_fma_f64 v[99:100], v[101:102], v[97:98], v[99:100]
	v_add_f64 v[119:120], v[119:120], -v[99:100]
	ds_read2_b64 v[99:102], v125 offset0:34 offset1:35
	s_waitcnt lgkmcnt(0)
	v_mul_f64 v[103:104], v[101:102], v[89:90]
	v_fma_f64 v[103:104], v[99:100], v[97:98], -v[103:104]
	v_mul_f64 v[99:100], v[99:100], v[89:90]
	v_add_f64 v[113:114], v[113:114], -v[103:104]
	v_fma_f64 v[99:100], v[101:102], v[97:98], v[99:100]
	v_add_f64 v[115:116], v[115:116], -v[99:100]
	ds_read2_b64 v[99:102], v125 offset0:36 offset1:37
	buffer_load_dword v81, off, s[20:23], 0 offset:48 ; 4-byte Folded Reload
	buffer_load_dword v82, off, s[20:23], 0 offset:52 ; 4-byte Folded Reload
	;; [unrolled: 1-line block ×4, first 2 shown]
	s_waitcnt lgkmcnt(0)
	v_mul_f64 v[103:104], v[101:102], v[89:90]
	v_fma_f64 v[103:104], v[99:100], v[97:98], -v[103:104]
	v_mul_f64 v[99:100], v[99:100], v[89:90]
	v_fma_f64 v[99:100], v[101:102], v[97:98], v[99:100]
	s_waitcnt vmcnt(2)
	v_add_f64 v[81:82], v[81:82], -v[103:104]
	s_waitcnt vmcnt(0)
	v_add_f64 v[83:84], v[83:84], -v[99:100]
	buffer_store_dword v81, off, s[20:23], 0 offset:48 ; 4-byte Folded Spill
	s_nop 0
	buffer_store_dword v82, off, s[20:23], 0 offset:52 ; 4-byte Folded Spill
	buffer_store_dword v83, off, s[20:23], 0 offset:56 ; 4-byte Folded Spill
	;; [unrolled: 1-line block ×3, first 2 shown]
	ds_read2_b64 v[99:102], v125 offset0:38 offset1:39
	s_waitcnt lgkmcnt(0)
	v_mul_f64 v[103:104], v[101:102], v[89:90]
	v_fma_f64 v[103:104], v[99:100], v[97:98], -v[103:104]
	v_mul_f64 v[99:100], v[99:100], v[89:90]
	v_add_f64 v[77:78], v[77:78], -v[103:104]
	v_fma_f64 v[99:100], v[101:102], v[97:98], v[99:100]
	v_add_f64 v[79:80], v[79:80], -v[99:100]
	ds_read2_b64 v[99:102], v125 offset0:40 offset1:41
	s_waitcnt lgkmcnt(0)
	v_mul_f64 v[103:104], v[101:102], v[89:90]
	v_fma_f64 v[103:104], v[99:100], v[97:98], -v[103:104]
	v_mul_f64 v[99:100], v[99:100], v[89:90]
	v_add_f64 v[93:94], v[93:94], -v[103:104]
	v_fma_f64 v[99:100], v[101:102], v[97:98], v[99:100]
	v_add_f64 v[95:96], v[95:96], -v[99:100]
	ds_read2_b64 v[99:102], v125 offset0:42 offset1:43
	buffer_load_dword v85, off, s[20:23], 0 offset:32 ; 4-byte Folded Reload
	buffer_load_dword v86, off, s[20:23], 0 offset:36 ; 4-byte Folded Reload
	;; [unrolled: 1-line block ×4, first 2 shown]
	s_waitcnt lgkmcnt(0)
	v_mul_f64 v[103:104], v[101:102], v[89:90]
	v_fma_f64 v[103:104], v[99:100], v[97:98], -v[103:104]
	v_mul_f64 v[99:100], v[99:100], v[89:90]
	v_fma_f64 v[99:100], v[101:102], v[97:98], v[99:100]
	s_waitcnt vmcnt(2)
	v_add_f64 v[85:86], v[85:86], -v[103:104]
	s_waitcnt vmcnt(0)
	v_add_f64 v[87:88], v[87:88], -v[99:100]
	buffer_store_dword v85, off, s[20:23], 0 offset:32 ; 4-byte Folded Spill
	s_nop 0
	buffer_store_dword v86, off, s[20:23], 0 offset:36 ; 4-byte Folded Spill
	buffer_store_dword v87, off, s[20:23], 0 offset:40 ; 4-byte Folded Spill
	;; [unrolled: 1-line block ×3, first 2 shown]
	ds_read2_b64 v[99:102], v125 offset0:44 offset1:45
	buffer_load_dword v73, off, s[20:23], 0 offset:16 ; 4-byte Folded Reload
	buffer_load_dword v74, off, s[20:23], 0 offset:20 ; 4-byte Folded Reload
	;; [unrolled: 1-line block ×4, first 2 shown]
	v_mov_b32_e32 v87, v97
	v_mov_b32_e32 v88, v98
	s_waitcnt lgkmcnt(0)
	v_mul_f64 v[103:104], v[101:102], v[89:90]
	v_fma_f64 v[103:104], v[99:100], v[97:98], -v[103:104]
	v_mul_f64 v[99:100], v[99:100], v[89:90]
	v_fma_f64 v[99:100], v[101:102], v[97:98], v[99:100]
	s_waitcnt vmcnt(2)
	v_add_f64 v[73:74], v[73:74], -v[103:104]
	s_waitcnt vmcnt(0)
	v_add_f64 v[75:76], v[75:76], -v[99:100]
	buffer_store_dword v73, off, s[20:23], 0 offset:16 ; 4-byte Folded Spill
	s_nop 0
	buffer_store_dword v74, off, s[20:23], 0 offset:20 ; 4-byte Folded Spill
	buffer_store_dword v75, off, s[20:23], 0 offset:24 ; 4-byte Folded Spill
	;; [unrolled: 1-line block ×3, first 2 shown]
	ds_read2_b64 v[99:102], v125 offset0:46 offset1:47
	buffer_load_dword v69, off, s[20:23], 0 ; 4-byte Folded Reload
	buffer_load_dword v70, off, s[20:23], 0 offset:4 ; 4-byte Folded Reload
	buffer_load_dword v71, off, s[20:23], 0 offset:8 ; 4-byte Folded Reload
	;; [unrolled: 1-line block ×3, first 2 shown]
	s_waitcnt lgkmcnt(0)
	v_mul_f64 v[103:104], v[101:102], v[89:90]
	v_fma_f64 v[103:104], v[99:100], v[97:98], -v[103:104]
	v_mul_f64 v[99:100], v[99:100], v[89:90]
	v_fma_f64 v[99:100], v[101:102], v[97:98], v[99:100]
	s_waitcnt vmcnt(2)
	v_add_f64 v[69:70], v[69:70], -v[103:104]
	s_waitcnt vmcnt(0)
	v_add_f64 v[71:72], v[71:72], -v[99:100]
	buffer_store_dword v69, off, s[20:23], 0 ; 4-byte Folded Spill
	s_nop 0
	buffer_store_dword v70, off, s[20:23], 0 offset:4 ; 4-byte Folded Spill
	buffer_store_dword v71, off, s[20:23], 0 offset:8 ; 4-byte Folded Spill
	;; [unrolled: 1-line block ×3, first 2 shown]
	ds_read2_b64 v[99:102], v125 offset0:48 offset1:49
	s_waitcnt lgkmcnt(0)
	v_mul_f64 v[103:104], v[101:102], v[89:90]
	v_fma_f64 v[103:104], v[99:100], v[97:98], -v[103:104]
	v_mul_f64 v[99:100], v[99:100], v[89:90]
	v_add_f64 v[65:66], v[65:66], -v[103:104]
	v_fma_f64 v[99:100], v[101:102], v[97:98], v[99:100]
	v_add_f64 v[67:68], v[67:68], -v[99:100]
	ds_read2_b64 v[99:102], v125 offset0:50 offset1:51
	s_waitcnt lgkmcnt(0)
	v_mul_f64 v[103:104], v[101:102], v[89:90]
	v_fma_f64 v[103:104], v[99:100], v[97:98], -v[103:104]
	v_mul_f64 v[99:100], v[99:100], v[89:90]
	v_add_f64 v[61:62], v[61:62], -v[103:104]
	v_fma_f64 v[99:100], v[101:102], v[97:98], v[99:100]
	v_add_f64 v[63:64], v[63:64], -v[99:100]
	;; [unrolled: 8-line block ×17, first 2 shown]
	ds_read2_b64 v[99:102], v125 offset0:82 offset1:83
	s_waitcnt lgkmcnt(0)
	v_mul_f64 v[103:104], v[101:102], v[89:90]
	v_fma_f64 v[103:104], v[99:100], v[97:98], -v[103:104]
	v_mul_f64 v[99:100], v[99:100], v[89:90]
	buffer_store_dword v87, off, s[20:23], 0 offset:160 ; 4-byte Folded Spill
	s_nop 0
	buffer_store_dword v88, off, s[20:23], 0 offset:164 ; 4-byte Folded Spill
	buffer_store_dword v89, off, s[20:23], 0 offset:168 ; 4-byte Folded Spill
	;; [unrolled: 1-line block ×3, first 2 shown]
	v_add_f64 v[121:122], v[121:122], -v[103:104]
	v_fma_f64 v[99:100], v[101:102], v[97:98], v[99:100]
	v_add_f64 v[123:124], v[123:124], -v[99:100]
.LBB83_91:
	s_or_b64 exec, exec, s[2:3]
	v_cmp_eq_u32_e32 vcc, 10, v0
	s_waitcnt vmcnt(0)
	s_barrier
	s_and_saveexec_b64 s[4:5], vcc
	s_cbranch_execz .LBB83_98
; %bb.92:
	buffer_load_dword v81, off, s[20:23], 0 offset:144 ; 4-byte Folded Reload
	buffer_load_dword v82, off, s[20:23], 0 offset:148 ; 4-byte Folded Reload
	;; [unrolled: 1-line block ×4, first 2 shown]
	s_waitcnt vmcnt(0)
	ds_write2_b64 v127, v[81:82], v[83:84] offset1:1
	buffer_load_dword v81, off, s[20:23], 0 offset:128 ; 4-byte Folded Reload
	buffer_load_dword v82, off, s[20:23], 0 offset:132 ; 4-byte Folded Reload
	buffer_load_dword v83, off, s[20:23], 0 offset:136 ; 4-byte Folded Reload
	buffer_load_dword v84, off, s[20:23], 0 offset:140 ; 4-byte Folded Reload
	s_waitcnt vmcnt(0)
	ds_write2_b64 v125, v[81:82], v[83:84] offset0:22 offset1:23
	buffer_load_dword v81, off, s[20:23], 0 offset:112 ; 4-byte Folded Reload
	buffer_load_dword v82, off, s[20:23], 0 offset:116 ; 4-byte Folded Reload
	buffer_load_dword v83, off, s[20:23], 0 offset:120 ; 4-byte Folded Reload
	buffer_load_dword v84, off, s[20:23], 0 offset:124 ; 4-byte Folded Reload
	s_waitcnt vmcnt(0)
	ds_write2_b64 v125, v[81:82], v[83:84] offset0:24 offset1:25
	;; [unrolled: 6-line block ×5, first 2 shown]
	ds_write2_b64 v125, v[117:118], v[119:120] offset0:32 offset1:33
	ds_write2_b64 v125, v[113:114], v[115:116] offset0:34 offset1:35
	buffer_load_dword v81, off, s[20:23], 0 offset:48 ; 4-byte Folded Reload
	buffer_load_dword v82, off, s[20:23], 0 offset:52 ; 4-byte Folded Reload
	buffer_load_dword v83, off, s[20:23], 0 offset:56 ; 4-byte Folded Reload
	buffer_load_dword v84, off, s[20:23], 0 offset:60 ; 4-byte Folded Reload
	s_waitcnt vmcnt(0)
	ds_write2_b64 v125, v[81:82], v[83:84] offset0:36 offset1:37
	ds_write2_b64 v125, v[77:78], v[79:80] offset0:38 offset1:39
	;; [unrolled: 1-line block ×3, first 2 shown]
	buffer_load_dword v85, off, s[20:23], 0 offset:32 ; 4-byte Folded Reload
	buffer_load_dword v86, off, s[20:23], 0 offset:36 ; 4-byte Folded Reload
	;; [unrolled: 1-line block ×4, first 2 shown]
	s_waitcnt vmcnt(0)
	ds_write2_b64 v125, v[85:86], v[87:88] offset0:42 offset1:43
	buffer_load_dword v73, off, s[20:23], 0 offset:16 ; 4-byte Folded Reload
	buffer_load_dword v74, off, s[20:23], 0 offset:20 ; 4-byte Folded Reload
	;; [unrolled: 1-line block ×4, first 2 shown]
	s_waitcnt vmcnt(0)
	ds_write2_b64 v125, v[73:74], v[75:76] offset0:44 offset1:45
	buffer_load_dword v69, off, s[20:23], 0 ; 4-byte Folded Reload
	buffer_load_dword v70, off, s[20:23], 0 offset:4 ; 4-byte Folded Reload
	buffer_load_dword v71, off, s[20:23], 0 offset:8 ; 4-byte Folded Reload
	;; [unrolled: 1-line block ×3, first 2 shown]
	s_waitcnt vmcnt(0)
	ds_write2_b64 v125, v[69:70], v[71:72] offset0:46 offset1:47
	ds_write2_b64 v125, v[65:66], v[67:68] offset0:48 offset1:49
	;; [unrolled: 1-line block ×19, first 2 shown]
	ds_read2_b64 v[97:100], v127 offset1:1
	s_waitcnt lgkmcnt(0)
	v_cmp_neq_f64_e32 vcc, 0, v[97:98]
	v_cmp_neq_f64_e64 s[2:3], 0, v[99:100]
	s_or_b64 s[2:3], vcc, s[2:3]
	s_and_b64 exec, exec, s[2:3]
	s_cbranch_execz .LBB83_98
; %bb.93:
	v_cmp_ngt_f64_e64 s[2:3], |v[97:98]|, |v[99:100]|
                                        ; implicit-def: $vgpr101_vgpr102
	s_and_saveexec_b64 s[6:7], s[2:3]
	s_xor_b64 s[2:3], exec, s[6:7]
                                        ; implicit-def: $vgpr103_vgpr104
	s_cbranch_execz .LBB83_95
; %bb.94:
	v_div_scale_f64 v[101:102], s[6:7], v[99:100], v[99:100], v[97:98]
	v_rcp_f64_e32 v[103:104], v[101:102]
	v_fma_f64 v[105:106], -v[101:102], v[103:104], 1.0
	v_fma_f64 v[103:104], v[103:104], v[105:106], v[103:104]
	v_div_scale_f64 v[105:106], vcc, v[97:98], v[99:100], v[97:98]
	v_fma_f64 v[107:108], -v[101:102], v[103:104], 1.0
	v_fma_f64 v[103:104], v[103:104], v[107:108], v[103:104]
	v_mul_f64 v[107:108], v[105:106], v[103:104]
	v_fma_f64 v[101:102], -v[101:102], v[107:108], v[105:106]
	v_div_fmas_f64 v[101:102], v[101:102], v[103:104], v[107:108]
	v_div_fixup_f64 v[101:102], v[101:102], v[99:100], v[97:98]
	v_fma_f64 v[97:98], v[97:98], v[101:102], v[99:100]
	v_div_scale_f64 v[99:100], s[6:7], v[97:98], v[97:98], 1.0
	v_div_scale_f64 v[107:108], vcc, 1.0, v[97:98], 1.0
	v_rcp_f64_e32 v[103:104], v[99:100]
	v_fma_f64 v[105:106], -v[99:100], v[103:104], 1.0
	v_fma_f64 v[103:104], v[103:104], v[105:106], v[103:104]
	v_fma_f64 v[105:106], -v[99:100], v[103:104], 1.0
	v_fma_f64 v[103:104], v[103:104], v[105:106], v[103:104]
	v_mul_f64 v[105:106], v[107:108], v[103:104]
	v_fma_f64 v[99:100], -v[99:100], v[105:106], v[107:108]
	v_div_fmas_f64 v[99:100], v[99:100], v[103:104], v[105:106]
	v_div_fixup_f64 v[103:104], v[99:100], v[97:98], 1.0
                                        ; implicit-def: $vgpr97_vgpr98
	v_mul_f64 v[101:102], v[101:102], v[103:104]
	v_xor_b32_e32 v104, 0x80000000, v104
.LBB83_95:
	s_andn2_saveexec_b64 s[2:3], s[2:3]
	s_cbranch_execz .LBB83_97
; %bb.96:
	v_div_scale_f64 v[101:102], s[6:7], v[97:98], v[97:98], v[99:100]
	v_rcp_f64_e32 v[103:104], v[101:102]
	v_fma_f64 v[105:106], -v[101:102], v[103:104], 1.0
	v_fma_f64 v[103:104], v[103:104], v[105:106], v[103:104]
	v_div_scale_f64 v[105:106], vcc, v[99:100], v[97:98], v[99:100]
	v_fma_f64 v[107:108], -v[101:102], v[103:104], 1.0
	v_fma_f64 v[103:104], v[103:104], v[107:108], v[103:104]
	v_mul_f64 v[107:108], v[105:106], v[103:104]
	v_fma_f64 v[101:102], -v[101:102], v[107:108], v[105:106]
	v_div_fmas_f64 v[101:102], v[101:102], v[103:104], v[107:108]
	v_div_fixup_f64 v[103:104], v[101:102], v[97:98], v[99:100]
	v_fma_f64 v[97:98], v[99:100], v[103:104], v[97:98]
	v_div_scale_f64 v[99:100], s[6:7], v[97:98], v[97:98], 1.0
	v_div_scale_f64 v[107:108], vcc, 1.0, v[97:98], 1.0
	v_rcp_f64_e32 v[101:102], v[99:100]
	v_fma_f64 v[105:106], -v[99:100], v[101:102], 1.0
	v_fma_f64 v[101:102], v[101:102], v[105:106], v[101:102]
	v_fma_f64 v[105:106], -v[99:100], v[101:102], 1.0
	v_fma_f64 v[101:102], v[101:102], v[105:106], v[101:102]
	v_mul_f64 v[105:106], v[107:108], v[101:102]
	v_fma_f64 v[99:100], -v[99:100], v[105:106], v[107:108]
	v_div_fmas_f64 v[99:100], v[99:100], v[101:102], v[105:106]
	v_div_fixup_f64 v[101:102], v[99:100], v[97:98], 1.0
	v_mul_f64 v[103:104], v[103:104], -v[101:102]
.LBB83_97:
	s_or_b64 exec, exec, s[2:3]
	ds_write2_b64 v127, v[101:102], v[103:104] offset1:1
.LBB83_98:
	s_or_b64 exec, exec, s[4:5]
	s_waitcnt lgkmcnt(0)
	s_barrier
	ds_read2_b64 v[81:84], v127 offset1:1
	v_cmp_lt_u32_e32 vcc, 10, v0
	s_waitcnt lgkmcnt(0)
	buffer_store_dword v81, off, s[20:23], 0 offset:840 ; 4-byte Folded Spill
	s_nop 0
	buffer_store_dword v82, off, s[20:23], 0 offset:844 ; 4-byte Folded Spill
	buffer_store_dword v83, off, s[20:23], 0 offset:848 ; 4-byte Folded Spill
	;; [unrolled: 1-line block ×3, first 2 shown]
	s_and_saveexec_b64 s[2:3], vcc
	s_cbranch_execz .LBB83_100
; %bb.99:
	buffer_load_dword v87, off, s[20:23], 0 offset:144 ; 4-byte Folded Reload
	buffer_load_dword v88, off, s[20:23], 0 offset:148 ; 4-byte Folded Reload
	;; [unrolled: 1-line block ×8, first 2 shown]
	s_waitcnt vmcnt(2)
	v_mul_f64 v[99:100], v[81:82], v[89:90]
	s_waitcnt vmcnt(0)
	v_mul_f64 v[97:98], v[83:84], v[89:90]
	v_fma_f64 v[89:90], v[83:84], v[87:88], v[99:100]
	ds_read2_b64 v[99:102], v125 offset0:22 offset1:23
	v_fma_f64 v[97:98], v[81:82], v[87:88], -v[97:98]
	buffer_load_dword v81, off, s[20:23], 0 offset:128 ; 4-byte Folded Reload
	buffer_load_dword v82, off, s[20:23], 0 offset:132 ; 4-byte Folded Reload
	buffer_load_dword v83, off, s[20:23], 0 offset:136 ; 4-byte Folded Reload
	buffer_load_dword v84, off, s[20:23], 0 offset:140 ; 4-byte Folded Reload
	s_waitcnt lgkmcnt(0)
	v_mul_f64 v[103:104], v[101:102], v[89:90]
	v_fma_f64 v[103:104], v[99:100], v[97:98], -v[103:104]
	v_mul_f64 v[99:100], v[99:100], v[89:90]
	v_fma_f64 v[99:100], v[101:102], v[97:98], v[99:100]
	s_waitcnt vmcnt(2)
	v_add_f64 v[81:82], v[81:82], -v[103:104]
	s_waitcnt vmcnt(0)
	v_add_f64 v[83:84], v[83:84], -v[99:100]
	buffer_store_dword v81, off, s[20:23], 0 offset:128 ; 4-byte Folded Spill
	s_nop 0
	buffer_store_dword v82, off, s[20:23], 0 offset:132 ; 4-byte Folded Spill
	buffer_store_dword v83, off, s[20:23], 0 offset:136 ; 4-byte Folded Spill
	buffer_store_dword v84, off, s[20:23], 0 offset:140 ; 4-byte Folded Spill
	ds_read2_b64 v[99:102], v125 offset0:24 offset1:25
	buffer_load_dword v81, off, s[20:23], 0 offset:112 ; 4-byte Folded Reload
	buffer_load_dword v82, off, s[20:23], 0 offset:116 ; 4-byte Folded Reload
	buffer_load_dword v83, off, s[20:23], 0 offset:120 ; 4-byte Folded Reload
	buffer_load_dword v84, off, s[20:23], 0 offset:124 ; 4-byte Folded Reload
	s_waitcnt lgkmcnt(0)
	v_mul_f64 v[103:104], v[101:102], v[89:90]
	v_fma_f64 v[103:104], v[99:100], v[97:98], -v[103:104]
	v_mul_f64 v[99:100], v[99:100], v[89:90]
	v_fma_f64 v[99:100], v[101:102], v[97:98], v[99:100]
	s_waitcnt vmcnt(2)
	v_add_f64 v[81:82], v[81:82], -v[103:104]
	s_waitcnt vmcnt(0)
	v_add_f64 v[83:84], v[83:84], -v[99:100]
	buffer_store_dword v81, off, s[20:23], 0 offset:112 ; 4-byte Folded Spill
	s_nop 0
	buffer_store_dword v82, off, s[20:23], 0 offset:116 ; 4-byte Folded Spill
	buffer_store_dword v83, off, s[20:23], 0 offset:120 ; 4-byte Folded Spill
	buffer_store_dword v84, off, s[20:23], 0 offset:124 ; 4-byte Folded Spill
	ds_read2_b64 v[99:102], v125 offset0:26 offset1:27
	;; [unrolled: 19-line block ×5, first 2 shown]
	s_waitcnt lgkmcnt(0)
	v_mul_f64 v[103:104], v[101:102], v[89:90]
	v_fma_f64 v[103:104], v[99:100], v[97:98], -v[103:104]
	v_mul_f64 v[99:100], v[99:100], v[89:90]
	v_add_f64 v[117:118], v[117:118], -v[103:104]
	v_fma_f64 v[99:100], v[101:102], v[97:98], v[99:100]
	v_add_f64 v[119:120], v[119:120], -v[99:100]
	ds_read2_b64 v[99:102], v125 offset0:34 offset1:35
	s_waitcnt lgkmcnt(0)
	v_mul_f64 v[103:104], v[101:102], v[89:90]
	v_fma_f64 v[103:104], v[99:100], v[97:98], -v[103:104]
	v_mul_f64 v[99:100], v[99:100], v[89:90]
	v_add_f64 v[113:114], v[113:114], -v[103:104]
	v_fma_f64 v[99:100], v[101:102], v[97:98], v[99:100]
	v_add_f64 v[115:116], v[115:116], -v[99:100]
	ds_read2_b64 v[99:102], v125 offset0:36 offset1:37
	buffer_load_dword v81, off, s[20:23], 0 offset:48 ; 4-byte Folded Reload
	buffer_load_dword v82, off, s[20:23], 0 offset:52 ; 4-byte Folded Reload
	;; [unrolled: 1-line block ×4, first 2 shown]
	s_waitcnt lgkmcnt(0)
	v_mul_f64 v[103:104], v[101:102], v[89:90]
	v_fma_f64 v[103:104], v[99:100], v[97:98], -v[103:104]
	v_mul_f64 v[99:100], v[99:100], v[89:90]
	v_fma_f64 v[99:100], v[101:102], v[97:98], v[99:100]
	s_waitcnt vmcnt(2)
	v_add_f64 v[81:82], v[81:82], -v[103:104]
	s_waitcnt vmcnt(0)
	v_add_f64 v[83:84], v[83:84], -v[99:100]
	buffer_store_dword v81, off, s[20:23], 0 offset:48 ; 4-byte Folded Spill
	s_nop 0
	buffer_store_dword v82, off, s[20:23], 0 offset:52 ; 4-byte Folded Spill
	buffer_store_dword v83, off, s[20:23], 0 offset:56 ; 4-byte Folded Spill
	;; [unrolled: 1-line block ×3, first 2 shown]
	ds_read2_b64 v[99:102], v125 offset0:38 offset1:39
	s_waitcnt lgkmcnt(0)
	v_mul_f64 v[103:104], v[101:102], v[89:90]
	v_fma_f64 v[103:104], v[99:100], v[97:98], -v[103:104]
	v_mul_f64 v[99:100], v[99:100], v[89:90]
	v_add_f64 v[77:78], v[77:78], -v[103:104]
	v_fma_f64 v[99:100], v[101:102], v[97:98], v[99:100]
	v_add_f64 v[79:80], v[79:80], -v[99:100]
	ds_read2_b64 v[99:102], v125 offset0:40 offset1:41
	s_waitcnt lgkmcnt(0)
	v_mul_f64 v[103:104], v[101:102], v[89:90]
	v_fma_f64 v[103:104], v[99:100], v[97:98], -v[103:104]
	v_mul_f64 v[99:100], v[99:100], v[89:90]
	v_add_f64 v[93:94], v[93:94], -v[103:104]
	v_fma_f64 v[99:100], v[101:102], v[97:98], v[99:100]
	v_add_f64 v[95:96], v[95:96], -v[99:100]
	ds_read2_b64 v[99:102], v125 offset0:42 offset1:43
	buffer_load_dword v85, off, s[20:23], 0 offset:32 ; 4-byte Folded Reload
	buffer_load_dword v86, off, s[20:23], 0 offset:36 ; 4-byte Folded Reload
	;; [unrolled: 1-line block ×4, first 2 shown]
	s_waitcnt lgkmcnt(0)
	v_mul_f64 v[103:104], v[101:102], v[89:90]
	v_fma_f64 v[103:104], v[99:100], v[97:98], -v[103:104]
	v_mul_f64 v[99:100], v[99:100], v[89:90]
	v_fma_f64 v[99:100], v[101:102], v[97:98], v[99:100]
	s_waitcnt vmcnt(2)
	v_add_f64 v[85:86], v[85:86], -v[103:104]
	s_waitcnt vmcnt(0)
	v_add_f64 v[87:88], v[87:88], -v[99:100]
	buffer_store_dword v85, off, s[20:23], 0 offset:32 ; 4-byte Folded Spill
	s_nop 0
	buffer_store_dword v86, off, s[20:23], 0 offset:36 ; 4-byte Folded Spill
	buffer_store_dword v87, off, s[20:23], 0 offset:40 ; 4-byte Folded Spill
	;; [unrolled: 1-line block ×3, first 2 shown]
	ds_read2_b64 v[99:102], v125 offset0:44 offset1:45
	buffer_load_dword v73, off, s[20:23], 0 offset:16 ; 4-byte Folded Reload
	buffer_load_dword v74, off, s[20:23], 0 offset:20 ; 4-byte Folded Reload
	buffer_load_dword v75, off, s[20:23], 0 offset:24 ; 4-byte Folded Reload
	buffer_load_dword v76, off, s[20:23], 0 offset:28 ; 4-byte Folded Reload
	v_mov_b32_e32 v87, v97
	v_mov_b32_e32 v88, v98
	s_waitcnt lgkmcnt(0)
	v_mul_f64 v[103:104], v[101:102], v[89:90]
	v_fma_f64 v[103:104], v[99:100], v[97:98], -v[103:104]
	v_mul_f64 v[99:100], v[99:100], v[89:90]
	v_fma_f64 v[99:100], v[101:102], v[97:98], v[99:100]
	s_waitcnt vmcnt(2)
	v_add_f64 v[73:74], v[73:74], -v[103:104]
	s_waitcnt vmcnt(0)
	v_add_f64 v[75:76], v[75:76], -v[99:100]
	buffer_store_dword v73, off, s[20:23], 0 offset:16 ; 4-byte Folded Spill
	s_nop 0
	buffer_store_dword v74, off, s[20:23], 0 offset:20 ; 4-byte Folded Spill
	buffer_store_dword v75, off, s[20:23], 0 offset:24 ; 4-byte Folded Spill
	;; [unrolled: 1-line block ×3, first 2 shown]
	ds_read2_b64 v[99:102], v125 offset0:46 offset1:47
	buffer_load_dword v69, off, s[20:23], 0 ; 4-byte Folded Reload
	buffer_load_dword v70, off, s[20:23], 0 offset:4 ; 4-byte Folded Reload
	buffer_load_dword v71, off, s[20:23], 0 offset:8 ; 4-byte Folded Reload
	;; [unrolled: 1-line block ×3, first 2 shown]
	s_waitcnt lgkmcnt(0)
	v_mul_f64 v[103:104], v[101:102], v[89:90]
	v_fma_f64 v[103:104], v[99:100], v[97:98], -v[103:104]
	v_mul_f64 v[99:100], v[99:100], v[89:90]
	v_fma_f64 v[99:100], v[101:102], v[97:98], v[99:100]
	s_waitcnt vmcnt(2)
	v_add_f64 v[69:70], v[69:70], -v[103:104]
	s_waitcnt vmcnt(0)
	v_add_f64 v[71:72], v[71:72], -v[99:100]
	buffer_store_dword v69, off, s[20:23], 0 ; 4-byte Folded Spill
	s_nop 0
	buffer_store_dword v70, off, s[20:23], 0 offset:4 ; 4-byte Folded Spill
	buffer_store_dword v71, off, s[20:23], 0 offset:8 ; 4-byte Folded Spill
	;; [unrolled: 1-line block ×3, first 2 shown]
	ds_read2_b64 v[99:102], v125 offset0:48 offset1:49
	s_waitcnt lgkmcnt(0)
	v_mul_f64 v[103:104], v[101:102], v[89:90]
	v_fma_f64 v[103:104], v[99:100], v[97:98], -v[103:104]
	v_mul_f64 v[99:100], v[99:100], v[89:90]
	v_add_f64 v[65:66], v[65:66], -v[103:104]
	v_fma_f64 v[99:100], v[101:102], v[97:98], v[99:100]
	v_add_f64 v[67:68], v[67:68], -v[99:100]
	ds_read2_b64 v[99:102], v125 offset0:50 offset1:51
	s_waitcnt lgkmcnt(0)
	v_mul_f64 v[103:104], v[101:102], v[89:90]
	v_fma_f64 v[103:104], v[99:100], v[97:98], -v[103:104]
	v_mul_f64 v[99:100], v[99:100], v[89:90]
	v_add_f64 v[61:62], v[61:62], -v[103:104]
	v_fma_f64 v[99:100], v[101:102], v[97:98], v[99:100]
	v_add_f64 v[63:64], v[63:64], -v[99:100]
	;; [unrolled: 8-line block ×17, first 2 shown]
	ds_read2_b64 v[99:102], v125 offset0:82 offset1:83
	s_waitcnt lgkmcnt(0)
	v_mul_f64 v[103:104], v[101:102], v[89:90]
	v_fma_f64 v[103:104], v[99:100], v[97:98], -v[103:104]
	v_mul_f64 v[99:100], v[99:100], v[89:90]
	buffer_store_dword v87, off, s[20:23], 0 offset:144 ; 4-byte Folded Spill
	s_nop 0
	buffer_store_dword v88, off, s[20:23], 0 offset:148 ; 4-byte Folded Spill
	buffer_store_dword v89, off, s[20:23], 0 offset:152 ; 4-byte Folded Spill
	;; [unrolled: 1-line block ×3, first 2 shown]
	v_add_f64 v[121:122], v[121:122], -v[103:104]
	v_fma_f64 v[99:100], v[101:102], v[97:98], v[99:100]
	v_add_f64 v[123:124], v[123:124], -v[99:100]
.LBB83_100:
	s_or_b64 exec, exec, s[2:3]
	v_cmp_eq_u32_e32 vcc, 11, v0
	s_waitcnt vmcnt(0)
	s_barrier
	s_and_saveexec_b64 s[4:5], vcc
	s_cbranch_execz .LBB83_107
; %bb.101:
	buffer_load_dword v81, off, s[20:23], 0 offset:128 ; 4-byte Folded Reload
	buffer_load_dword v82, off, s[20:23], 0 offset:132 ; 4-byte Folded Reload
	;; [unrolled: 1-line block ×4, first 2 shown]
	s_waitcnt vmcnt(0)
	ds_write2_b64 v127, v[81:82], v[83:84] offset1:1
	buffer_load_dword v81, off, s[20:23], 0 offset:112 ; 4-byte Folded Reload
	buffer_load_dword v82, off, s[20:23], 0 offset:116 ; 4-byte Folded Reload
	buffer_load_dword v83, off, s[20:23], 0 offset:120 ; 4-byte Folded Reload
	buffer_load_dword v84, off, s[20:23], 0 offset:124 ; 4-byte Folded Reload
	s_waitcnt vmcnt(0)
	ds_write2_b64 v125, v[81:82], v[83:84] offset0:24 offset1:25
	buffer_load_dword v81, off, s[20:23], 0 offset:96 ; 4-byte Folded Reload
	buffer_load_dword v82, off, s[20:23], 0 offset:100 ; 4-byte Folded Reload
	buffer_load_dword v83, off, s[20:23], 0 offset:104 ; 4-byte Folded Reload
	buffer_load_dword v84, off, s[20:23], 0 offset:108 ; 4-byte Folded Reload
	s_waitcnt vmcnt(0)
	ds_write2_b64 v125, v[81:82], v[83:84] offset0:26 offset1:27
	;; [unrolled: 6-line block ×4, first 2 shown]
	ds_write2_b64 v125, v[117:118], v[119:120] offset0:32 offset1:33
	ds_write2_b64 v125, v[113:114], v[115:116] offset0:34 offset1:35
	buffer_load_dword v81, off, s[20:23], 0 offset:48 ; 4-byte Folded Reload
	buffer_load_dword v82, off, s[20:23], 0 offset:52 ; 4-byte Folded Reload
	;; [unrolled: 1-line block ×4, first 2 shown]
	s_waitcnt vmcnt(0)
	ds_write2_b64 v125, v[81:82], v[83:84] offset0:36 offset1:37
	ds_write2_b64 v125, v[77:78], v[79:80] offset0:38 offset1:39
	;; [unrolled: 1-line block ×3, first 2 shown]
	buffer_load_dword v85, off, s[20:23], 0 offset:32 ; 4-byte Folded Reload
	buffer_load_dword v86, off, s[20:23], 0 offset:36 ; 4-byte Folded Reload
	;; [unrolled: 1-line block ×4, first 2 shown]
	s_waitcnt vmcnt(0)
	ds_write2_b64 v125, v[85:86], v[87:88] offset0:42 offset1:43
	buffer_load_dword v73, off, s[20:23], 0 offset:16 ; 4-byte Folded Reload
	buffer_load_dword v74, off, s[20:23], 0 offset:20 ; 4-byte Folded Reload
	;; [unrolled: 1-line block ×4, first 2 shown]
	s_waitcnt vmcnt(0)
	ds_write2_b64 v125, v[73:74], v[75:76] offset0:44 offset1:45
	buffer_load_dword v69, off, s[20:23], 0 ; 4-byte Folded Reload
	buffer_load_dword v70, off, s[20:23], 0 offset:4 ; 4-byte Folded Reload
	buffer_load_dword v71, off, s[20:23], 0 offset:8 ; 4-byte Folded Reload
	buffer_load_dword v72, off, s[20:23], 0 offset:12 ; 4-byte Folded Reload
	s_waitcnt vmcnt(0)
	ds_write2_b64 v125, v[69:70], v[71:72] offset0:46 offset1:47
	ds_write2_b64 v125, v[65:66], v[67:68] offset0:48 offset1:49
	;; [unrolled: 1-line block ×19, first 2 shown]
	ds_read2_b64 v[97:100], v127 offset1:1
	s_waitcnt lgkmcnt(0)
	v_cmp_neq_f64_e32 vcc, 0, v[97:98]
	v_cmp_neq_f64_e64 s[2:3], 0, v[99:100]
	s_or_b64 s[2:3], vcc, s[2:3]
	s_and_b64 exec, exec, s[2:3]
	s_cbranch_execz .LBB83_107
; %bb.102:
	v_cmp_ngt_f64_e64 s[2:3], |v[97:98]|, |v[99:100]|
                                        ; implicit-def: $vgpr101_vgpr102
	s_and_saveexec_b64 s[6:7], s[2:3]
	s_xor_b64 s[2:3], exec, s[6:7]
                                        ; implicit-def: $vgpr103_vgpr104
	s_cbranch_execz .LBB83_104
; %bb.103:
	v_div_scale_f64 v[101:102], s[6:7], v[99:100], v[99:100], v[97:98]
	v_rcp_f64_e32 v[103:104], v[101:102]
	v_fma_f64 v[105:106], -v[101:102], v[103:104], 1.0
	v_fma_f64 v[103:104], v[103:104], v[105:106], v[103:104]
	v_div_scale_f64 v[105:106], vcc, v[97:98], v[99:100], v[97:98]
	v_fma_f64 v[107:108], -v[101:102], v[103:104], 1.0
	v_fma_f64 v[103:104], v[103:104], v[107:108], v[103:104]
	v_mul_f64 v[107:108], v[105:106], v[103:104]
	v_fma_f64 v[101:102], -v[101:102], v[107:108], v[105:106]
	v_div_fmas_f64 v[101:102], v[101:102], v[103:104], v[107:108]
	v_div_fixup_f64 v[101:102], v[101:102], v[99:100], v[97:98]
	v_fma_f64 v[97:98], v[97:98], v[101:102], v[99:100]
	v_div_scale_f64 v[99:100], s[6:7], v[97:98], v[97:98], 1.0
	v_div_scale_f64 v[107:108], vcc, 1.0, v[97:98], 1.0
	v_rcp_f64_e32 v[103:104], v[99:100]
	v_fma_f64 v[105:106], -v[99:100], v[103:104], 1.0
	v_fma_f64 v[103:104], v[103:104], v[105:106], v[103:104]
	v_fma_f64 v[105:106], -v[99:100], v[103:104], 1.0
	v_fma_f64 v[103:104], v[103:104], v[105:106], v[103:104]
	v_mul_f64 v[105:106], v[107:108], v[103:104]
	v_fma_f64 v[99:100], -v[99:100], v[105:106], v[107:108]
	v_div_fmas_f64 v[99:100], v[99:100], v[103:104], v[105:106]
	v_div_fixup_f64 v[103:104], v[99:100], v[97:98], 1.0
                                        ; implicit-def: $vgpr97_vgpr98
	v_mul_f64 v[101:102], v[101:102], v[103:104]
	v_xor_b32_e32 v104, 0x80000000, v104
.LBB83_104:
	s_andn2_saveexec_b64 s[2:3], s[2:3]
	s_cbranch_execz .LBB83_106
; %bb.105:
	v_div_scale_f64 v[101:102], s[6:7], v[97:98], v[97:98], v[99:100]
	v_rcp_f64_e32 v[103:104], v[101:102]
	v_fma_f64 v[105:106], -v[101:102], v[103:104], 1.0
	v_fma_f64 v[103:104], v[103:104], v[105:106], v[103:104]
	v_div_scale_f64 v[105:106], vcc, v[99:100], v[97:98], v[99:100]
	v_fma_f64 v[107:108], -v[101:102], v[103:104], 1.0
	v_fma_f64 v[103:104], v[103:104], v[107:108], v[103:104]
	v_mul_f64 v[107:108], v[105:106], v[103:104]
	v_fma_f64 v[101:102], -v[101:102], v[107:108], v[105:106]
	v_div_fmas_f64 v[101:102], v[101:102], v[103:104], v[107:108]
	v_div_fixup_f64 v[103:104], v[101:102], v[97:98], v[99:100]
	v_fma_f64 v[97:98], v[99:100], v[103:104], v[97:98]
	v_div_scale_f64 v[99:100], s[6:7], v[97:98], v[97:98], 1.0
	v_div_scale_f64 v[107:108], vcc, 1.0, v[97:98], 1.0
	v_rcp_f64_e32 v[101:102], v[99:100]
	v_fma_f64 v[105:106], -v[99:100], v[101:102], 1.0
	v_fma_f64 v[101:102], v[101:102], v[105:106], v[101:102]
	v_fma_f64 v[105:106], -v[99:100], v[101:102], 1.0
	v_fma_f64 v[101:102], v[101:102], v[105:106], v[101:102]
	v_mul_f64 v[105:106], v[107:108], v[101:102]
	v_fma_f64 v[99:100], -v[99:100], v[105:106], v[107:108]
	v_div_fmas_f64 v[99:100], v[99:100], v[101:102], v[105:106]
	v_div_fixup_f64 v[101:102], v[99:100], v[97:98], 1.0
	v_mul_f64 v[103:104], v[103:104], -v[101:102]
.LBB83_106:
	s_or_b64 exec, exec, s[2:3]
	ds_write2_b64 v127, v[101:102], v[103:104] offset1:1
.LBB83_107:
	s_or_b64 exec, exec, s[4:5]
	s_waitcnt lgkmcnt(0)
	s_barrier
	ds_read2_b64 v[81:84], v127 offset1:1
	v_cmp_lt_u32_e32 vcc, 11, v0
	s_waitcnt lgkmcnt(0)
	buffer_store_dword v81, off, s[20:23], 0 offset:856 ; 4-byte Folded Spill
	s_nop 0
	buffer_store_dword v82, off, s[20:23], 0 offset:860 ; 4-byte Folded Spill
	buffer_store_dword v83, off, s[20:23], 0 offset:864 ; 4-byte Folded Spill
	;; [unrolled: 1-line block ×3, first 2 shown]
	s_and_saveexec_b64 s[2:3], vcc
	s_cbranch_execz .LBB83_109
; %bb.108:
	buffer_load_dword v87, off, s[20:23], 0 offset:128 ; 4-byte Folded Reload
	buffer_load_dword v88, off, s[20:23], 0 offset:132 ; 4-byte Folded Reload
	;; [unrolled: 1-line block ×8, first 2 shown]
	s_waitcnt vmcnt(2)
	v_mul_f64 v[99:100], v[81:82], v[89:90]
	s_waitcnt vmcnt(0)
	v_mul_f64 v[97:98], v[83:84], v[89:90]
	v_fma_f64 v[89:90], v[83:84], v[87:88], v[99:100]
	ds_read2_b64 v[99:102], v125 offset0:24 offset1:25
	v_fma_f64 v[97:98], v[81:82], v[87:88], -v[97:98]
	buffer_load_dword v81, off, s[20:23], 0 offset:112 ; 4-byte Folded Reload
	buffer_load_dword v82, off, s[20:23], 0 offset:116 ; 4-byte Folded Reload
	buffer_load_dword v83, off, s[20:23], 0 offset:120 ; 4-byte Folded Reload
	buffer_load_dword v84, off, s[20:23], 0 offset:124 ; 4-byte Folded Reload
	s_waitcnt lgkmcnt(0)
	v_mul_f64 v[103:104], v[101:102], v[89:90]
	v_fma_f64 v[103:104], v[99:100], v[97:98], -v[103:104]
	v_mul_f64 v[99:100], v[99:100], v[89:90]
	v_fma_f64 v[99:100], v[101:102], v[97:98], v[99:100]
	s_waitcnt vmcnt(2)
	v_add_f64 v[81:82], v[81:82], -v[103:104]
	s_waitcnt vmcnt(0)
	v_add_f64 v[83:84], v[83:84], -v[99:100]
	buffer_store_dword v81, off, s[20:23], 0 offset:112 ; 4-byte Folded Spill
	s_nop 0
	buffer_store_dword v82, off, s[20:23], 0 offset:116 ; 4-byte Folded Spill
	buffer_store_dword v83, off, s[20:23], 0 offset:120 ; 4-byte Folded Spill
	buffer_store_dword v84, off, s[20:23], 0 offset:124 ; 4-byte Folded Spill
	ds_read2_b64 v[99:102], v125 offset0:26 offset1:27
	buffer_load_dword v81, off, s[20:23], 0 offset:96 ; 4-byte Folded Reload
	buffer_load_dword v82, off, s[20:23], 0 offset:100 ; 4-byte Folded Reload
	buffer_load_dword v83, off, s[20:23], 0 offset:104 ; 4-byte Folded Reload
	buffer_load_dword v84, off, s[20:23], 0 offset:108 ; 4-byte Folded Reload
	s_waitcnt lgkmcnt(0)
	v_mul_f64 v[103:104], v[101:102], v[89:90]
	v_fma_f64 v[103:104], v[99:100], v[97:98], -v[103:104]
	v_mul_f64 v[99:100], v[99:100], v[89:90]
	v_fma_f64 v[99:100], v[101:102], v[97:98], v[99:100]
	s_waitcnt vmcnt(2)
	v_add_f64 v[81:82], v[81:82], -v[103:104]
	s_waitcnt vmcnt(0)
	v_add_f64 v[83:84], v[83:84], -v[99:100]
	buffer_store_dword v81, off, s[20:23], 0 offset:96 ; 4-byte Folded Spill
	s_nop 0
	buffer_store_dword v82, off, s[20:23], 0 offset:100 ; 4-byte Folded Spill
	buffer_store_dword v83, off, s[20:23], 0 offset:104 ; 4-byte Folded Spill
	buffer_store_dword v84, off, s[20:23], 0 offset:108 ; 4-byte Folded Spill
	ds_read2_b64 v[99:102], v125 offset0:28 offset1:29
	;; [unrolled: 19-line block ×4, first 2 shown]
	s_waitcnt lgkmcnt(0)
	v_mul_f64 v[103:104], v[101:102], v[89:90]
	v_fma_f64 v[103:104], v[99:100], v[97:98], -v[103:104]
	v_mul_f64 v[99:100], v[99:100], v[89:90]
	v_add_f64 v[117:118], v[117:118], -v[103:104]
	v_fma_f64 v[99:100], v[101:102], v[97:98], v[99:100]
	v_add_f64 v[119:120], v[119:120], -v[99:100]
	ds_read2_b64 v[99:102], v125 offset0:34 offset1:35
	s_waitcnt lgkmcnt(0)
	v_mul_f64 v[103:104], v[101:102], v[89:90]
	v_fma_f64 v[103:104], v[99:100], v[97:98], -v[103:104]
	v_mul_f64 v[99:100], v[99:100], v[89:90]
	v_add_f64 v[113:114], v[113:114], -v[103:104]
	v_fma_f64 v[99:100], v[101:102], v[97:98], v[99:100]
	v_add_f64 v[115:116], v[115:116], -v[99:100]
	ds_read2_b64 v[99:102], v125 offset0:36 offset1:37
	buffer_load_dword v81, off, s[20:23], 0 offset:48 ; 4-byte Folded Reload
	buffer_load_dword v82, off, s[20:23], 0 offset:52 ; 4-byte Folded Reload
	buffer_load_dword v83, off, s[20:23], 0 offset:56 ; 4-byte Folded Reload
	buffer_load_dword v84, off, s[20:23], 0 offset:60 ; 4-byte Folded Reload
	s_waitcnt lgkmcnt(0)
	v_mul_f64 v[103:104], v[101:102], v[89:90]
	v_fma_f64 v[103:104], v[99:100], v[97:98], -v[103:104]
	v_mul_f64 v[99:100], v[99:100], v[89:90]
	v_fma_f64 v[99:100], v[101:102], v[97:98], v[99:100]
	s_waitcnt vmcnt(2)
	v_add_f64 v[81:82], v[81:82], -v[103:104]
	s_waitcnt vmcnt(0)
	v_add_f64 v[83:84], v[83:84], -v[99:100]
	buffer_store_dword v81, off, s[20:23], 0 offset:48 ; 4-byte Folded Spill
	s_nop 0
	buffer_store_dword v82, off, s[20:23], 0 offset:52 ; 4-byte Folded Spill
	buffer_store_dword v83, off, s[20:23], 0 offset:56 ; 4-byte Folded Spill
	;; [unrolled: 1-line block ×3, first 2 shown]
	ds_read2_b64 v[99:102], v125 offset0:38 offset1:39
	s_waitcnt lgkmcnt(0)
	v_mul_f64 v[103:104], v[101:102], v[89:90]
	v_fma_f64 v[103:104], v[99:100], v[97:98], -v[103:104]
	v_mul_f64 v[99:100], v[99:100], v[89:90]
	v_add_f64 v[77:78], v[77:78], -v[103:104]
	v_fma_f64 v[99:100], v[101:102], v[97:98], v[99:100]
	v_add_f64 v[79:80], v[79:80], -v[99:100]
	ds_read2_b64 v[99:102], v125 offset0:40 offset1:41
	s_waitcnt lgkmcnt(0)
	v_mul_f64 v[103:104], v[101:102], v[89:90]
	v_fma_f64 v[103:104], v[99:100], v[97:98], -v[103:104]
	v_mul_f64 v[99:100], v[99:100], v[89:90]
	v_add_f64 v[93:94], v[93:94], -v[103:104]
	v_fma_f64 v[99:100], v[101:102], v[97:98], v[99:100]
	v_add_f64 v[95:96], v[95:96], -v[99:100]
	ds_read2_b64 v[99:102], v125 offset0:42 offset1:43
	buffer_load_dword v85, off, s[20:23], 0 offset:32 ; 4-byte Folded Reload
	buffer_load_dword v86, off, s[20:23], 0 offset:36 ; 4-byte Folded Reload
	;; [unrolled: 1-line block ×4, first 2 shown]
	s_waitcnt lgkmcnt(0)
	v_mul_f64 v[103:104], v[101:102], v[89:90]
	v_fma_f64 v[103:104], v[99:100], v[97:98], -v[103:104]
	v_mul_f64 v[99:100], v[99:100], v[89:90]
	v_fma_f64 v[99:100], v[101:102], v[97:98], v[99:100]
	s_waitcnt vmcnt(2)
	v_add_f64 v[85:86], v[85:86], -v[103:104]
	s_waitcnt vmcnt(0)
	v_add_f64 v[87:88], v[87:88], -v[99:100]
	buffer_store_dword v85, off, s[20:23], 0 offset:32 ; 4-byte Folded Spill
	s_nop 0
	buffer_store_dword v86, off, s[20:23], 0 offset:36 ; 4-byte Folded Spill
	buffer_store_dword v87, off, s[20:23], 0 offset:40 ; 4-byte Folded Spill
	;; [unrolled: 1-line block ×3, first 2 shown]
	ds_read2_b64 v[99:102], v125 offset0:44 offset1:45
	buffer_load_dword v73, off, s[20:23], 0 offset:16 ; 4-byte Folded Reload
	buffer_load_dword v74, off, s[20:23], 0 offset:20 ; 4-byte Folded Reload
	;; [unrolled: 1-line block ×4, first 2 shown]
	v_mov_b32_e32 v87, v97
	v_mov_b32_e32 v88, v98
	s_waitcnt lgkmcnt(0)
	v_mul_f64 v[103:104], v[101:102], v[89:90]
	v_fma_f64 v[103:104], v[99:100], v[97:98], -v[103:104]
	v_mul_f64 v[99:100], v[99:100], v[89:90]
	v_fma_f64 v[99:100], v[101:102], v[97:98], v[99:100]
	s_waitcnt vmcnt(2)
	v_add_f64 v[73:74], v[73:74], -v[103:104]
	s_waitcnt vmcnt(0)
	v_add_f64 v[75:76], v[75:76], -v[99:100]
	buffer_store_dword v73, off, s[20:23], 0 offset:16 ; 4-byte Folded Spill
	s_nop 0
	buffer_store_dword v74, off, s[20:23], 0 offset:20 ; 4-byte Folded Spill
	buffer_store_dword v75, off, s[20:23], 0 offset:24 ; 4-byte Folded Spill
	;; [unrolled: 1-line block ×3, first 2 shown]
	ds_read2_b64 v[99:102], v125 offset0:46 offset1:47
	buffer_load_dword v69, off, s[20:23], 0 ; 4-byte Folded Reload
	buffer_load_dword v70, off, s[20:23], 0 offset:4 ; 4-byte Folded Reload
	buffer_load_dword v71, off, s[20:23], 0 offset:8 ; 4-byte Folded Reload
	;; [unrolled: 1-line block ×3, first 2 shown]
	s_waitcnt lgkmcnt(0)
	v_mul_f64 v[103:104], v[101:102], v[89:90]
	v_fma_f64 v[103:104], v[99:100], v[97:98], -v[103:104]
	v_mul_f64 v[99:100], v[99:100], v[89:90]
	v_fma_f64 v[99:100], v[101:102], v[97:98], v[99:100]
	s_waitcnt vmcnt(2)
	v_add_f64 v[69:70], v[69:70], -v[103:104]
	s_waitcnt vmcnt(0)
	v_add_f64 v[71:72], v[71:72], -v[99:100]
	buffer_store_dword v69, off, s[20:23], 0 ; 4-byte Folded Spill
	s_nop 0
	buffer_store_dword v70, off, s[20:23], 0 offset:4 ; 4-byte Folded Spill
	buffer_store_dword v71, off, s[20:23], 0 offset:8 ; 4-byte Folded Spill
	;; [unrolled: 1-line block ×3, first 2 shown]
	ds_read2_b64 v[99:102], v125 offset0:48 offset1:49
	s_waitcnt lgkmcnt(0)
	v_mul_f64 v[103:104], v[101:102], v[89:90]
	v_fma_f64 v[103:104], v[99:100], v[97:98], -v[103:104]
	v_mul_f64 v[99:100], v[99:100], v[89:90]
	v_add_f64 v[65:66], v[65:66], -v[103:104]
	v_fma_f64 v[99:100], v[101:102], v[97:98], v[99:100]
	v_add_f64 v[67:68], v[67:68], -v[99:100]
	ds_read2_b64 v[99:102], v125 offset0:50 offset1:51
	s_waitcnt lgkmcnt(0)
	v_mul_f64 v[103:104], v[101:102], v[89:90]
	v_fma_f64 v[103:104], v[99:100], v[97:98], -v[103:104]
	v_mul_f64 v[99:100], v[99:100], v[89:90]
	v_add_f64 v[61:62], v[61:62], -v[103:104]
	v_fma_f64 v[99:100], v[101:102], v[97:98], v[99:100]
	v_add_f64 v[63:64], v[63:64], -v[99:100]
	;; [unrolled: 8-line block ×17, first 2 shown]
	ds_read2_b64 v[99:102], v125 offset0:82 offset1:83
	s_waitcnt lgkmcnt(0)
	v_mul_f64 v[103:104], v[101:102], v[89:90]
	v_fma_f64 v[103:104], v[99:100], v[97:98], -v[103:104]
	v_mul_f64 v[99:100], v[99:100], v[89:90]
	buffer_store_dword v87, off, s[20:23], 0 offset:128 ; 4-byte Folded Spill
	s_nop 0
	buffer_store_dword v88, off, s[20:23], 0 offset:132 ; 4-byte Folded Spill
	buffer_store_dword v89, off, s[20:23], 0 offset:136 ; 4-byte Folded Spill
	;; [unrolled: 1-line block ×3, first 2 shown]
	v_add_f64 v[121:122], v[121:122], -v[103:104]
	v_fma_f64 v[99:100], v[101:102], v[97:98], v[99:100]
	v_add_f64 v[123:124], v[123:124], -v[99:100]
.LBB83_109:
	s_or_b64 exec, exec, s[2:3]
	v_cmp_eq_u32_e32 vcc, 12, v0
	s_waitcnt vmcnt(0)
	s_barrier
	s_and_saveexec_b64 s[4:5], vcc
	s_cbranch_execz .LBB83_116
; %bb.110:
	buffer_load_dword v81, off, s[20:23], 0 offset:112 ; 4-byte Folded Reload
	buffer_load_dword v82, off, s[20:23], 0 offset:116 ; 4-byte Folded Reload
	;; [unrolled: 1-line block ×4, first 2 shown]
	s_waitcnt vmcnt(0)
	ds_write2_b64 v127, v[81:82], v[83:84] offset1:1
	buffer_load_dword v81, off, s[20:23], 0 offset:96 ; 4-byte Folded Reload
	buffer_load_dword v82, off, s[20:23], 0 offset:100 ; 4-byte Folded Reload
	buffer_load_dword v83, off, s[20:23], 0 offset:104 ; 4-byte Folded Reload
	buffer_load_dword v84, off, s[20:23], 0 offset:108 ; 4-byte Folded Reload
	s_waitcnt vmcnt(0)
	ds_write2_b64 v125, v[81:82], v[83:84] offset0:26 offset1:27
	buffer_load_dword v81, off, s[20:23], 0 offset:80 ; 4-byte Folded Reload
	buffer_load_dword v82, off, s[20:23], 0 offset:84 ; 4-byte Folded Reload
	buffer_load_dword v83, off, s[20:23], 0 offset:88 ; 4-byte Folded Reload
	buffer_load_dword v84, off, s[20:23], 0 offset:92 ; 4-byte Folded Reload
	s_waitcnt vmcnt(0)
	ds_write2_b64 v125, v[81:82], v[83:84] offset0:28 offset1:29
	;; [unrolled: 6-line block ×3, first 2 shown]
	ds_write2_b64 v125, v[117:118], v[119:120] offset0:32 offset1:33
	ds_write2_b64 v125, v[113:114], v[115:116] offset0:34 offset1:35
	buffer_load_dword v81, off, s[20:23], 0 offset:48 ; 4-byte Folded Reload
	buffer_load_dword v82, off, s[20:23], 0 offset:52 ; 4-byte Folded Reload
	;; [unrolled: 1-line block ×4, first 2 shown]
	s_waitcnt vmcnt(0)
	ds_write2_b64 v125, v[81:82], v[83:84] offset0:36 offset1:37
	ds_write2_b64 v125, v[77:78], v[79:80] offset0:38 offset1:39
	;; [unrolled: 1-line block ×3, first 2 shown]
	buffer_load_dword v85, off, s[20:23], 0 offset:32 ; 4-byte Folded Reload
	buffer_load_dword v86, off, s[20:23], 0 offset:36 ; 4-byte Folded Reload
	;; [unrolled: 1-line block ×4, first 2 shown]
	s_waitcnt vmcnt(0)
	ds_write2_b64 v125, v[85:86], v[87:88] offset0:42 offset1:43
	buffer_load_dword v73, off, s[20:23], 0 offset:16 ; 4-byte Folded Reload
	buffer_load_dword v74, off, s[20:23], 0 offset:20 ; 4-byte Folded Reload
	;; [unrolled: 1-line block ×4, first 2 shown]
	s_waitcnt vmcnt(0)
	ds_write2_b64 v125, v[73:74], v[75:76] offset0:44 offset1:45
	buffer_load_dword v69, off, s[20:23], 0 ; 4-byte Folded Reload
	buffer_load_dword v70, off, s[20:23], 0 offset:4 ; 4-byte Folded Reload
	buffer_load_dword v71, off, s[20:23], 0 offset:8 ; 4-byte Folded Reload
	;; [unrolled: 1-line block ×3, first 2 shown]
	s_waitcnt vmcnt(0)
	ds_write2_b64 v125, v[69:70], v[71:72] offset0:46 offset1:47
	ds_write2_b64 v125, v[65:66], v[67:68] offset0:48 offset1:49
	;; [unrolled: 1-line block ×19, first 2 shown]
	ds_read2_b64 v[97:100], v127 offset1:1
	s_waitcnt lgkmcnt(0)
	v_cmp_neq_f64_e32 vcc, 0, v[97:98]
	v_cmp_neq_f64_e64 s[2:3], 0, v[99:100]
	s_or_b64 s[2:3], vcc, s[2:3]
	s_and_b64 exec, exec, s[2:3]
	s_cbranch_execz .LBB83_116
; %bb.111:
	v_cmp_ngt_f64_e64 s[2:3], |v[97:98]|, |v[99:100]|
                                        ; implicit-def: $vgpr101_vgpr102
	s_and_saveexec_b64 s[6:7], s[2:3]
	s_xor_b64 s[2:3], exec, s[6:7]
                                        ; implicit-def: $vgpr103_vgpr104
	s_cbranch_execz .LBB83_113
; %bb.112:
	v_div_scale_f64 v[101:102], s[6:7], v[99:100], v[99:100], v[97:98]
	v_rcp_f64_e32 v[103:104], v[101:102]
	v_fma_f64 v[105:106], -v[101:102], v[103:104], 1.0
	v_fma_f64 v[103:104], v[103:104], v[105:106], v[103:104]
	v_div_scale_f64 v[105:106], vcc, v[97:98], v[99:100], v[97:98]
	v_fma_f64 v[107:108], -v[101:102], v[103:104], 1.0
	v_fma_f64 v[103:104], v[103:104], v[107:108], v[103:104]
	v_mul_f64 v[107:108], v[105:106], v[103:104]
	v_fma_f64 v[101:102], -v[101:102], v[107:108], v[105:106]
	v_div_fmas_f64 v[101:102], v[101:102], v[103:104], v[107:108]
	v_div_fixup_f64 v[101:102], v[101:102], v[99:100], v[97:98]
	v_fma_f64 v[97:98], v[97:98], v[101:102], v[99:100]
	v_div_scale_f64 v[99:100], s[6:7], v[97:98], v[97:98], 1.0
	v_div_scale_f64 v[107:108], vcc, 1.0, v[97:98], 1.0
	v_rcp_f64_e32 v[103:104], v[99:100]
	v_fma_f64 v[105:106], -v[99:100], v[103:104], 1.0
	v_fma_f64 v[103:104], v[103:104], v[105:106], v[103:104]
	v_fma_f64 v[105:106], -v[99:100], v[103:104], 1.0
	v_fma_f64 v[103:104], v[103:104], v[105:106], v[103:104]
	v_mul_f64 v[105:106], v[107:108], v[103:104]
	v_fma_f64 v[99:100], -v[99:100], v[105:106], v[107:108]
	v_div_fmas_f64 v[99:100], v[99:100], v[103:104], v[105:106]
	v_div_fixup_f64 v[103:104], v[99:100], v[97:98], 1.0
                                        ; implicit-def: $vgpr97_vgpr98
	v_mul_f64 v[101:102], v[101:102], v[103:104]
	v_xor_b32_e32 v104, 0x80000000, v104
.LBB83_113:
	s_andn2_saveexec_b64 s[2:3], s[2:3]
	s_cbranch_execz .LBB83_115
; %bb.114:
	v_div_scale_f64 v[101:102], s[6:7], v[97:98], v[97:98], v[99:100]
	v_rcp_f64_e32 v[103:104], v[101:102]
	v_fma_f64 v[105:106], -v[101:102], v[103:104], 1.0
	v_fma_f64 v[103:104], v[103:104], v[105:106], v[103:104]
	v_div_scale_f64 v[105:106], vcc, v[99:100], v[97:98], v[99:100]
	v_fma_f64 v[107:108], -v[101:102], v[103:104], 1.0
	v_fma_f64 v[103:104], v[103:104], v[107:108], v[103:104]
	v_mul_f64 v[107:108], v[105:106], v[103:104]
	v_fma_f64 v[101:102], -v[101:102], v[107:108], v[105:106]
	v_div_fmas_f64 v[101:102], v[101:102], v[103:104], v[107:108]
	v_div_fixup_f64 v[103:104], v[101:102], v[97:98], v[99:100]
	v_fma_f64 v[97:98], v[99:100], v[103:104], v[97:98]
	v_div_scale_f64 v[99:100], s[6:7], v[97:98], v[97:98], 1.0
	v_div_scale_f64 v[107:108], vcc, 1.0, v[97:98], 1.0
	v_rcp_f64_e32 v[101:102], v[99:100]
	v_fma_f64 v[105:106], -v[99:100], v[101:102], 1.0
	v_fma_f64 v[101:102], v[101:102], v[105:106], v[101:102]
	v_fma_f64 v[105:106], -v[99:100], v[101:102], 1.0
	v_fma_f64 v[101:102], v[101:102], v[105:106], v[101:102]
	v_mul_f64 v[105:106], v[107:108], v[101:102]
	v_fma_f64 v[99:100], -v[99:100], v[105:106], v[107:108]
	v_div_fmas_f64 v[99:100], v[99:100], v[101:102], v[105:106]
	v_div_fixup_f64 v[101:102], v[99:100], v[97:98], 1.0
	v_mul_f64 v[103:104], v[103:104], -v[101:102]
.LBB83_115:
	s_or_b64 exec, exec, s[2:3]
	ds_write2_b64 v127, v[101:102], v[103:104] offset1:1
.LBB83_116:
	s_or_b64 exec, exec, s[4:5]
	s_waitcnt lgkmcnt(0)
	s_barrier
	ds_read2_b64 v[81:84], v127 offset1:1
	v_cmp_lt_u32_e32 vcc, 12, v0
	s_waitcnt lgkmcnt(0)
	buffer_store_dword v81, off, s[20:23], 0 offset:872 ; 4-byte Folded Spill
	s_nop 0
	buffer_store_dword v82, off, s[20:23], 0 offset:876 ; 4-byte Folded Spill
	buffer_store_dword v83, off, s[20:23], 0 offset:880 ; 4-byte Folded Spill
	;; [unrolled: 1-line block ×3, first 2 shown]
	s_and_saveexec_b64 s[2:3], vcc
	s_cbranch_execz .LBB83_118
; %bb.117:
	buffer_load_dword v87, off, s[20:23], 0 offset:112 ; 4-byte Folded Reload
	buffer_load_dword v88, off, s[20:23], 0 offset:116 ; 4-byte Folded Reload
	;; [unrolled: 1-line block ×8, first 2 shown]
	s_waitcnt vmcnt(2)
	v_mul_f64 v[99:100], v[81:82], v[89:90]
	s_waitcnt vmcnt(0)
	v_mul_f64 v[97:98], v[83:84], v[89:90]
	v_fma_f64 v[89:90], v[83:84], v[87:88], v[99:100]
	ds_read2_b64 v[99:102], v125 offset0:26 offset1:27
	v_fma_f64 v[97:98], v[81:82], v[87:88], -v[97:98]
	buffer_load_dword v81, off, s[20:23], 0 offset:96 ; 4-byte Folded Reload
	buffer_load_dword v82, off, s[20:23], 0 offset:100 ; 4-byte Folded Reload
	buffer_load_dword v83, off, s[20:23], 0 offset:104 ; 4-byte Folded Reload
	buffer_load_dword v84, off, s[20:23], 0 offset:108 ; 4-byte Folded Reload
	s_waitcnt lgkmcnt(0)
	v_mul_f64 v[103:104], v[101:102], v[89:90]
	v_fma_f64 v[103:104], v[99:100], v[97:98], -v[103:104]
	v_mul_f64 v[99:100], v[99:100], v[89:90]
	v_fma_f64 v[99:100], v[101:102], v[97:98], v[99:100]
	s_waitcnt vmcnt(2)
	v_add_f64 v[81:82], v[81:82], -v[103:104]
	s_waitcnt vmcnt(0)
	v_add_f64 v[83:84], v[83:84], -v[99:100]
	buffer_store_dword v81, off, s[20:23], 0 offset:96 ; 4-byte Folded Spill
	s_nop 0
	buffer_store_dword v82, off, s[20:23], 0 offset:100 ; 4-byte Folded Spill
	buffer_store_dword v83, off, s[20:23], 0 offset:104 ; 4-byte Folded Spill
	buffer_store_dword v84, off, s[20:23], 0 offset:108 ; 4-byte Folded Spill
	ds_read2_b64 v[99:102], v125 offset0:28 offset1:29
	buffer_load_dword v81, off, s[20:23], 0 offset:80 ; 4-byte Folded Reload
	buffer_load_dword v82, off, s[20:23], 0 offset:84 ; 4-byte Folded Reload
	buffer_load_dword v83, off, s[20:23], 0 offset:88 ; 4-byte Folded Reload
	buffer_load_dword v84, off, s[20:23], 0 offset:92 ; 4-byte Folded Reload
	s_waitcnt lgkmcnt(0)
	v_mul_f64 v[103:104], v[101:102], v[89:90]
	v_fma_f64 v[103:104], v[99:100], v[97:98], -v[103:104]
	v_mul_f64 v[99:100], v[99:100], v[89:90]
	v_fma_f64 v[99:100], v[101:102], v[97:98], v[99:100]
	s_waitcnt vmcnt(2)
	v_add_f64 v[81:82], v[81:82], -v[103:104]
	s_waitcnt vmcnt(0)
	v_add_f64 v[83:84], v[83:84], -v[99:100]
	buffer_store_dword v81, off, s[20:23], 0 offset:80 ; 4-byte Folded Spill
	s_nop 0
	buffer_store_dword v82, off, s[20:23], 0 offset:84 ; 4-byte Folded Spill
	buffer_store_dword v83, off, s[20:23], 0 offset:88 ; 4-byte Folded Spill
	buffer_store_dword v84, off, s[20:23], 0 offset:92 ; 4-byte Folded Spill
	ds_read2_b64 v[99:102], v125 offset0:30 offset1:31
	;; [unrolled: 19-line block ×3, first 2 shown]
	s_waitcnt lgkmcnt(0)
	v_mul_f64 v[103:104], v[101:102], v[89:90]
	v_fma_f64 v[103:104], v[99:100], v[97:98], -v[103:104]
	v_mul_f64 v[99:100], v[99:100], v[89:90]
	v_add_f64 v[117:118], v[117:118], -v[103:104]
	v_fma_f64 v[99:100], v[101:102], v[97:98], v[99:100]
	v_add_f64 v[119:120], v[119:120], -v[99:100]
	ds_read2_b64 v[99:102], v125 offset0:34 offset1:35
	s_waitcnt lgkmcnt(0)
	v_mul_f64 v[103:104], v[101:102], v[89:90]
	v_fma_f64 v[103:104], v[99:100], v[97:98], -v[103:104]
	v_mul_f64 v[99:100], v[99:100], v[89:90]
	v_add_f64 v[113:114], v[113:114], -v[103:104]
	v_fma_f64 v[99:100], v[101:102], v[97:98], v[99:100]
	v_add_f64 v[115:116], v[115:116], -v[99:100]
	ds_read2_b64 v[99:102], v125 offset0:36 offset1:37
	buffer_load_dword v81, off, s[20:23], 0 offset:48 ; 4-byte Folded Reload
	buffer_load_dword v82, off, s[20:23], 0 offset:52 ; 4-byte Folded Reload
	;; [unrolled: 1-line block ×4, first 2 shown]
	s_waitcnt lgkmcnt(0)
	v_mul_f64 v[103:104], v[101:102], v[89:90]
	v_fma_f64 v[103:104], v[99:100], v[97:98], -v[103:104]
	v_mul_f64 v[99:100], v[99:100], v[89:90]
	v_fma_f64 v[99:100], v[101:102], v[97:98], v[99:100]
	s_waitcnt vmcnt(2)
	v_add_f64 v[81:82], v[81:82], -v[103:104]
	s_waitcnt vmcnt(0)
	v_add_f64 v[83:84], v[83:84], -v[99:100]
	buffer_store_dword v81, off, s[20:23], 0 offset:48 ; 4-byte Folded Spill
	s_nop 0
	buffer_store_dword v82, off, s[20:23], 0 offset:52 ; 4-byte Folded Spill
	buffer_store_dword v83, off, s[20:23], 0 offset:56 ; 4-byte Folded Spill
	buffer_store_dword v84, off, s[20:23], 0 offset:60 ; 4-byte Folded Spill
	ds_read2_b64 v[99:102], v125 offset0:38 offset1:39
	s_waitcnt lgkmcnt(0)
	v_mul_f64 v[103:104], v[101:102], v[89:90]
	v_fma_f64 v[103:104], v[99:100], v[97:98], -v[103:104]
	v_mul_f64 v[99:100], v[99:100], v[89:90]
	v_add_f64 v[77:78], v[77:78], -v[103:104]
	v_fma_f64 v[99:100], v[101:102], v[97:98], v[99:100]
	v_add_f64 v[79:80], v[79:80], -v[99:100]
	ds_read2_b64 v[99:102], v125 offset0:40 offset1:41
	s_waitcnt lgkmcnt(0)
	v_mul_f64 v[103:104], v[101:102], v[89:90]
	v_fma_f64 v[103:104], v[99:100], v[97:98], -v[103:104]
	v_mul_f64 v[99:100], v[99:100], v[89:90]
	v_add_f64 v[93:94], v[93:94], -v[103:104]
	v_fma_f64 v[99:100], v[101:102], v[97:98], v[99:100]
	v_add_f64 v[95:96], v[95:96], -v[99:100]
	ds_read2_b64 v[99:102], v125 offset0:42 offset1:43
	buffer_load_dword v85, off, s[20:23], 0 offset:32 ; 4-byte Folded Reload
	buffer_load_dword v86, off, s[20:23], 0 offset:36 ; 4-byte Folded Reload
	;; [unrolled: 1-line block ×4, first 2 shown]
	s_waitcnt lgkmcnt(0)
	v_mul_f64 v[103:104], v[101:102], v[89:90]
	v_fma_f64 v[103:104], v[99:100], v[97:98], -v[103:104]
	v_mul_f64 v[99:100], v[99:100], v[89:90]
	v_fma_f64 v[99:100], v[101:102], v[97:98], v[99:100]
	s_waitcnt vmcnt(2)
	v_add_f64 v[85:86], v[85:86], -v[103:104]
	s_waitcnt vmcnt(0)
	v_add_f64 v[87:88], v[87:88], -v[99:100]
	buffer_store_dword v85, off, s[20:23], 0 offset:32 ; 4-byte Folded Spill
	s_nop 0
	buffer_store_dword v86, off, s[20:23], 0 offset:36 ; 4-byte Folded Spill
	buffer_store_dword v87, off, s[20:23], 0 offset:40 ; 4-byte Folded Spill
	;; [unrolled: 1-line block ×3, first 2 shown]
	ds_read2_b64 v[99:102], v125 offset0:44 offset1:45
	buffer_load_dword v73, off, s[20:23], 0 offset:16 ; 4-byte Folded Reload
	buffer_load_dword v74, off, s[20:23], 0 offset:20 ; 4-byte Folded Reload
	buffer_load_dword v75, off, s[20:23], 0 offset:24 ; 4-byte Folded Reload
	buffer_load_dword v76, off, s[20:23], 0 offset:28 ; 4-byte Folded Reload
	v_mov_b32_e32 v87, v97
	v_mov_b32_e32 v88, v98
	s_waitcnt lgkmcnt(0)
	v_mul_f64 v[103:104], v[101:102], v[89:90]
	v_fma_f64 v[103:104], v[99:100], v[97:98], -v[103:104]
	v_mul_f64 v[99:100], v[99:100], v[89:90]
	v_fma_f64 v[99:100], v[101:102], v[97:98], v[99:100]
	s_waitcnt vmcnt(2)
	v_add_f64 v[73:74], v[73:74], -v[103:104]
	s_waitcnt vmcnt(0)
	v_add_f64 v[75:76], v[75:76], -v[99:100]
	buffer_store_dword v73, off, s[20:23], 0 offset:16 ; 4-byte Folded Spill
	s_nop 0
	buffer_store_dword v74, off, s[20:23], 0 offset:20 ; 4-byte Folded Spill
	buffer_store_dword v75, off, s[20:23], 0 offset:24 ; 4-byte Folded Spill
	;; [unrolled: 1-line block ×3, first 2 shown]
	ds_read2_b64 v[99:102], v125 offset0:46 offset1:47
	buffer_load_dword v69, off, s[20:23], 0 ; 4-byte Folded Reload
	buffer_load_dword v70, off, s[20:23], 0 offset:4 ; 4-byte Folded Reload
	buffer_load_dword v71, off, s[20:23], 0 offset:8 ; 4-byte Folded Reload
	;; [unrolled: 1-line block ×3, first 2 shown]
	s_waitcnt lgkmcnt(0)
	v_mul_f64 v[103:104], v[101:102], v[89:90]
	v_fma_f64 v[103:104], v[99:100], v[97:98], -v[103:104]
	v_mul_f64 v[99:100], v[99:100], v[89:90]
	v_fma_f64 v[99:100], v[101:102], v[97:98], v[99:100]
	s_waitcnt vmcnt(2)
	v_add_f64 v[69:70], v[69:70], -v[103:104]
	s_waitcnt vmcnt(0)
	v_add_f64 v[71:72], v[71:72], -v[99:100]
	buffer_store_dword v69, off, s[20:23], 0 ; 4-byte Folded Spill
	s_nop 0
	buffer_store_dword v70, off, s[20:23], 0 offset:4 ; 4-byte Folded Spill
	buffer_store_dword v71, off, s[20:23], 0 offset:8 ; 4-byte Folded Spill
	;; [unrolled: 1-line block ×3, first 2 shown]
	ds_read2_b64 v[99:102], v125 offset0:48 offset1:49
	s_waitcnt lgkmcnt(0)
	v_mul_f64 v[103:104], v[101:102], v[89:90]
	v_fma_f64 v[103:104], v[99:100], v[97:98], -v[103:104]
	v_mul_f64 v[99:100], v[99:100], v[89:90]
	v_add_f64 v[65:66], v[65:66], -v[103:104]
	v_fma_f64 v[99:100], v[101:102], v[97:98], v[99:100]
	v_add_f64 v[67:68], v[67:68], -v[99:100]
	ds_read2_b64 v[99:102], v125 offset0:50 offset1:51
	s_waitcnt lgkmcnt(0)
	v_mul_f64 v[103:104], v[101:102], v[89:90]
	v_fma_f64 v[103:104], v[99:100], v[97:98], -v[103:104]
	v_mul_f64 v[99:100], v[99:100], v[89:90]
	v_add_f64 v[61:62], v[61:62], -v[103:104]
	v_fma_f64 v[99:100], v[101:102], v[97:98], v[99:100]
	v_add_f64 v[63:64], v[63:64], -v[99:100]
	;; [unrolled: 8-line block ×17, first 2 shown]
	ds_read2_b64 v[99:102], v125 offset0:82 offset1:83
	s_waitcnt lgkmcnt(0)
	v_mul_f64 v[103:104], v[101:102], v[89:90]
	v_fma_f64 v[103:104], v[99:100], v[97:98], -v[103:104]
	v_mul_f64 v[99:100], v[99:100], v[89:90]
	buffer_store_dword v87, off, s[20:23], 0 offset:112 ; 4-byte Folded Spill
	s_nop 0
	buffer_store_dword v88, off, s[20:23], 0 offset:116 ; 4-byte Folded Spill
	buffer_store_dword v89, off, s[20:23], 0 offset:120 ; 4-byte Folded Spill
	;; [unrolled: 1-line block ×3, first 2 shown]
	v_add_f64 v[121:122], v[121:122], -v[103:104]
	v_fma_f64 v[99:100], v[101:102], v[97:98], v[99:100]
	v_add_f64 v[123:124], v[123:124], -v[99:100]
.LBB83_118:
	s_or_b64 exec, exec, s[2:3]
	v_cmp_eq_u32_e32 vcc, 13, v0
	s_waitcnt vmcnt(0)
	s_barrier
	s_and_saveexec_b64 s[4:5], vcc
	s_cbranch_execz .LBB83_125
; %bb.119:
	buffer_load_dword v81, off, s[20:23], 0 offset:96 ; 4-byte Folded Reload
	buffer_load_dword v82, off, s[20:23], 0 offset:100 ; 4-byte Folded Reload
	buffer_load_dword v83, off, s[20:23], 0 offset:104 ; 4-byte Folded Reload
	buffer_load_dword v84, off, s[20:23], 0 offset:108 ; 4-byte Folded Reload
	s_waitcnt vmcnt(0)
	ds_write2_b64 v127, v[81:82], v[83:84] offset1:1
	buffer_load_dword v81, off, s[20:23], 0 offset:80 ; 4-byte Folded Reload
	buffer_load_dword v82, off, s[20:23], 0 offset:84 ; 4-byte Folded Reload
	;; [unrolled: 1-line block ×4, first 2 shown]
	s_waitcnt vmcnt(0)
	ds_write2_b64 v125, v[81:82], v[83:84] offset0:28 offset1:29
	buffer_load_dword v81, off, s[20:23], 0 offset:64 ; 4-byte Folded Reload
	buffer_load_dword v82, off, s[20:23], 0 offset:68 ; 4-byte Folded Reload
	buffer_load_dword v83, off, s[20:23], 0 offset:72 ; 4-byte Folded Reload
	buffer_load_dword v84, off, s[20:23], 0 offset:76 ; 4-byte Folded Reload
	s_waitcnt vmcnt(0)
	ds_write2_b64 v125, v[81:82], v[83:84] offset0:30 offset1:31
	ds_write2_b64 v125, v[117:118], v[119:120] offset0:32 offset1:33
	ds_write2_b64 v125, v[113:114], v[115:116] offset0:34 offset1:35
	buffer_load_dword v81, off, s[20:23], 0 offset:48 ; 4-byte Folded Reload
	buffer_load_dword v82, off, s[20:23], 0 offset:52 ; 4-byte Folded Reload
	;; [unrolled: 1-line block ×4, first 2 shown]
	s_waitcnt vmcnt(0)
	ds_write2_b64 v125, v[81:82], v[83:84] offset0:36 offset1:37
	ds_write2_b64 v125, v[77:78], v[79:80] offset0:38 offset1:39
	;; [unrolled: 1-line block ×3, first 2 shown]
	buffer_load_dword v85, off, s[20:23], 0 offset:32 ; 4-byte Folded Reload
	buffer_load_dword v86, off, s[20:23], 0 offset:36 ; 4-byte Folded Reload
	;; [unrolled: 1-line block ×4, first 2 shown]
	s_waitcnt vmcnt(0)
	ds_write2_b64 v125, v[85:86], v[87:88] offset0:42 offset1:43
	buffer_load_dword v73, off, s[20:23], 0 offset:16 ; 4-byte Folded Reload
	buffer_load_dword v74, off, s[20:23], 0 offset:20 ; 4-byte Folded Reload
	;; [unrolled: 1-line block ×4, first 2 shown]
	s_waitcnt vmcnt(0)
	ds_write2_b64 v125, v[73:74], v[75:76] offset0:44 offset1:45
	buffer_load_dword v69, off, s[20:23], 0 ; 4-byte Folded Reload
	buffer_load_dword v70, off, s[20:23], 0 offset:4 ; 4-byte Folded Reload
	buffer_load_dword v71, off, s[20:23], 0 offset:8 ; 4-byte Folded Reload
	buffer_load_dword v72, off, s[20:23], 0 offset:12 ; 4-byte Folded Reload
	s_waitcnt vmcnt(0)
	ds_write2_b64 v125, v[69:70], v[71:72] offset0:46 offset1:47
	ds_write2_b64 v125, v[65:66], v[67:68] offset0:48 offset1:49
	;; [unrolled: 1-line block ×19, first 2 shown]
	ds_read2_b64 v[97:100], v127 offset1:1
	s_waitcnt lgkmcnt(0)
	v_cmp_neq_f64_e32 vcc, 0, v[97:98]
	v_cmp_neq_f64_e64 s[2:3], 0, v[99:100]
	s_or_b64 s[2:3], vcc, s[2:3]
	s_and_b64 exec, exec, s[2:3]
	s_cbranch_execz .LBB83_125
; %bb.120:
	v_cmp_ngt_f64_e64 s[2:3], |v[97:98]|, |v[99:100]|
                                        ; implicit-def: $vgpr101_vgpr102
	s_and_saveexec_b64 s[6:7], s[2:3]
	s_xor_b64 s[2:3], exec, s[6:7]
                                        ; implicit-def: $vgpr103_vgpr104
	s_cbranch_execz .LBB83_122
; %bb.121:
	v_div_scale_f64 v[101:102], s[6:7], v[99:100], v[99:100], v[97:98]
	v_rcp_f64_e32 v[103:104], v[101:102]
	v_fma_f64 v[105:106], -v[101:102], v[103:104], 1.0
	v_fma_f64 v[103:104], v[103:104], v[105:106], v[103:104]
	v_div_scale_f64 v[105:106], vcc, v[97:98], v[99:100], v[97:98]
	v_fma_f64 v[107:108], -v[101:102], v[103:104], 1.0
	v_fma_f64 v[103:104], v[103:104], v[107:108], v[103:104]
	v_mul_f64 v[107:108], v[105:106], v[103:104]
	v_fma_f64 v[101:102], -v[101:102], v[107:108], v[105:106]
	v_div_fmas_f64 v[101:102], v[101:102], v[103:104], v[107:108]
	v_div_fixup_f64 v[101:102], v[101:102], v[99:100], v[97:98]
	v_fma_f64 v[97:98], v[97:98], v[101:102], v[99:100]
	v_div_scale_f64 v[99:100], s[6:7], v[97:98], v[97:98], 1.0
	v_div_scale_f64 v[107:108], vcc, 1.0, v[97:98], 1.0
	v_rcp_f64_e32 v[103:104], v[99:100]
	v_fma_f64 v[105:106], -v[99:100], v[103:104], 1.0
	v_fma_f64 v[103:104], v[103:104], v[105:106], v[103:104]
	v_fma_f64 v[105:106], -v[99:100], v[103:104], 1.0
	v_fma_f64 v[103:104], v[103:104], v[105:106], v[103:104]
	v_mul_f64 v[105:106], v[107:108], v[103:104]
	v_fma_f64 v[99:100], -v[99:100], v[105:106], v[107:108]
	v_div_fmas_f64 v[99:100], v[99:100], v[103:104], v[105:106]
	v_div_fixup_f64 v[103:104], v[99:100], v[97:98], 1.0
                                        ; implicit-def: $vgpr97_vgpr98
	v_mul_f64 v[101:102], v[101:102], v[103:104]
	v_xor_b32_e32 v104, 0x80000000, v104
.LBB83_122:
	s_andn2_saveexec_b64 s[2:3], s[2:3]
	s_cbranch_execz .LBB83_124
; %bb.123:
	v_div_scale_f64 v[101:102], s[6:7], v[97:98], v[97:98], v[99:100]
	v_rcp_f64_e32 v[103:104], v[101:102]
	v_fma_f64 v[105:106], -v[101:102], v[103:104], 1.0
	v_fma_f64 v[103:104], v[103:104], v[105:106], v[103:104]
	v_div_scale_f64 v[105:106], vcc, v[99:100], v[97:98], v[99:100]
	v_fma_f64 v[107:108], -v[101:102], v[103:104], 1.0
	v_fma_f64 v[103:104], v[103:104], v[107:108], v[103:104]
	v_mul_f64 v[107:108], v[105:106], v[103:104]
	v_fma_f64 v[101:102], -v[101:102], v[107:108], v[105:106]
	v_div_fmas_f64 v[101:102], v[101:102], v[103:104], v[107:108]
	v_div_fixup_f64 v[103:104], v[101:102], v[97:98], v[99:100]
	v_fma_f64 v[97:98], v[99:100], v[103:104], v[97:98]
	v_div_scale_f64 v[99:100], s[6:7], v[97:98], v[97:98], 1.0
	v_div_scale_f64 v[107:108], vcc, 1.0, v[97:98], 1.0
	v_rcp_f64_e32 v[101:102], v[99:100]
	v_fma_f64 v[105:106], -v[99:100], v[101:102], 1.0
	v_fma_f64 v[101:102], v[101:102], v[105:106], v[101:102]
	v_fma_f64 v[105:106], -v[99:100], v[101:102], 1.0
	v_fma_f64 v[101:102], v[101:102], v[105:106], v[101:102]
	v_mul_f64 v[105:106], v[107:108], v[101:102]
	v_fma_f64 v[99:100], -v[99:100], v[105:106], v[107:108]
	v_div_fmas_f64 v[99:100], v[99:100], v[101:102], v[105:106]
	v_div_fixup_f64 v[101:102], v[99:100], v[97:98], 1.0
	v_mul_f64 v[103:104], v[103:104], -v[101:102]
.LBB83_124:
	s_or_b64 exec, exec, s[2:3]
	ds_write2_b64 v127, v[101:102], v[103:104] offset1:1
.LBB83_125:
	s_or_b64 exec, exec, s[4:5]
	s_waitcnt lgkmcnt(0)
	s_barrier
	ds_read2_b64 v[81:84], v127 offset1:1
	v_cmp_lt_u32_e32 vcc, 13, v0
	s_waitcnt lgkmcnt(0)
	buffer_store_dword v81, off, s[20:23], 0 offset:888 ; 4-byte Folded Spill
	s_nop 0
	buffer_store_dword v82, off, s[20:23], 0 offset:892 ; 4-byte Folded Spill
	buffer_store_dword v83, off, s[20:23], 0 offset:896 ; 4-byte Folded Spill
	;; [unrolled: 1-line block ×3, first 2 shown]
	s_and_saveexec_b64 s[2:3], vcc
	s_cbranch_execz .LBB83_127
; %bb.126:
	buffer_load_dword v87, off, s[20:23], 0 offset:96 ; 4-byte Folded Reload
	buffer_load_dword v88, off, s[20:23], 0 offset:100 ; 4-byte Folded Reload
	;; [unrolled: 1-line block ×8, first 2 shown]
	s_waitcnt vmcnt(2)
	v_mul_f64 v[99:100], v[81:82], v[89:90]
	s_waitcnt vmcnt(0)
	v_mul_f64 v[97:98], v[83:84], v[89:90]
	v_fma_f64 v[89:90], v[83:84], v[87:88], v[99:100]
	ds_read2_b64 v[99:102], v125 offset0:28 offset1:29
	v_fma_f64 v[97:98], v[81:82], v[87:88], -v[97:98]
	buffer_load_dword v81, off, s[20:23], 0 offset:80 ; 4-byte Folded Reload
	buffer_load_dword v82, off, s[20:23], 0 offset:84 ; 4-byte Folded Reload
	;; [unrolled: 1-line block ×4, first 2 shown]
	s_waitcnt lgkmcnt(0)
	v_mul_f64 v[103:104], v[101:102], v[89:90]
	v_fma_f64 v[103:104], v[99:100], v[97:98], -v[103:104]
	v_mul_f64 v[99:100], v[99:100], v[89:90]
	v_fma_f64 v[99:100], v[101:102], v[97:98], v[99:100]
	s_waitcnt vmcnt(2)
	v_add_f64 v[81:82], v[81:82], -v[103:104]
	s_waitcnt vmcnt(0)
	v_add_f64 v[83:84], v[83:84], -v[99:100]
	buffer_store_dword v81, off, s[20:23], 0 offset:80 ; 4-byte Folded Spill
	s_nop 0
	buffer_store_dword v82, off, s[20:23], 0 offset:84 ; 4-byte Folded Spill
	buffer_store_dword v83, off, s[20:23], 0 offset:88 ; 4-byte Folded Spill
	;; [unrolled: 1-line block ×3, first 2 shown]
	ds_read2_b64 v[99:102], v125 offset0:30 offset1:31
	buffer_load_dword v81, off, s[20:23], 0 offset:64 ; 4-byte Folded Reload
	buffer_load_dword v82, off, s[20:23], 0 offset:68 ; 4-byte Folded Reload
	;; [unrolled: 1-line block ×4, first 2 shown]
	s_waitcnt lgkmcnt(0)
	v_mul_f64 v[103:104], v[101:102], v[89:90]
	v_fma_f64 v[103:104], v[99:100], v[97:98], -v[103:104]
	v_mul_f64 v[99:100], v[99:100], v[89:90]
	v_fma_f64 v[99:100], v[101:102], v[97:98], v[99:100]
	s_waitcnt vmcnt(2)
	v_add_f64 v[81:82], v[81:82], -v[103:104]
	s_waitcnt vmcnt(0)
	v_add_f64 v[83:84], v[83:84], -v[99:100]
	buffer_store_dword v81, off, s[20:23], 0 offset:64 ; 4-byte Folded Spill
	s_nop 0
	buffer_store_dword v82, off, s[20:23], 0 offset:68 ; 4-byte Folded Spill
	buffer_store_dword v83, off, s[20:23], 0 offset:72 ; 4-byte Folded Spill
	;; [unrolled: 1-line block ×3, first 2 shown]
	ds_read2_b64 v[99:102], v125 offset0:32 offset1:33
	s_waitcnt lgkmcnt(0)
	v_mul_f64 v[103:104], v[101:102], v[89:90]
	v_fma_f64 v[103:104], v[99:100], v[97:98], -v[103:104]
	v_mul_f64 v[99:100], v[99:100], v[89:90]
	v_add_f64 v[117:118], v[117:118], -v[103:104]
	v_fma_f64 v[99:100], v[101:102], v[97:98], v[99:100]
	v_add_f64 v[119:120], v[119:120], -v[99:100]
	ds_read2_b64 v[99:102], v125 offset0:34 offset1:35
	s_waitcnt lgkmcnt(0)
	v_mul_f64 v[103:104], v[101:102], v[89:90]
	v_fma_f64 v[103:104], v[99:100], v[97:98], -v[103:104]
	v_mul_f64 v[99:100], v[99:100], v[89:90]
	v_add_f64 v[113:114], v[113:114], -v[103:104]
	v_fma_f64 v[99:100], v[101:102], v[97:98], v[99:100]
	v_add_f64 v[115:116], v[115:116], -v[99:100]
	ds_read2_b64 v[99:102], v125 offset0:36 offset1:37
	buffer_load_dword v81, off, s[20:23], 0 offset:48 ; 4-byte Folded Reload
	buffer_load_dword v82, off, s[20:23], 0 offset:52 ; 4-byte Folded Reload
	;; [unrolled: 1-line block ×4, first 2 shown]
	s_waitcnt lgkmcnt(0)
	v_mul_f64 v[103:104], v[101:102], v[89:90]
	v_fma_f64 v[103:104], v[99:100], v[97:98], -v[103:104]
	v_mul_f64 v[99:100], v[99:100], v[89:90]
	v_fma_f64 v[99:100], v[101:102], v[97:98], v[99:100]
	s_waitcnt vmcnt(2)
	v_add_f64 v[81:82], v[81:82], -v[103:104]
	s_waitcnt vmcnt(0)
	v_add_f64 v[83:84], v[83:84], -v[99:100]
	buffer_store_dword v81, off, s[20:23], 0 offset:48 ; 4-byte Folded Spill
	s_nop 0
	buffer_store_dword v82, off, s[20:23], 0 offset:52 ; 4-byte Folded Spill
	buffer_store_dword v83, off, s[20:23], 0 offset:56 ; 4-byte Folded Spill
	;; [unrolled: 1-line block ×3, first 2 shown]
	ds_read2_b64 v[99:102], v125 offset0:38 offset1:39
	s_waitcnt lgkmcnt(0)
	v_mul_f64 v[103:104], v[101:102], v[89:90]
	v_fma_f64 v[103:104], v[99:100], v[97:98], -v[103:104]
	v_mul_f64 v[99:100], v[99:100], v[89:90]
	v_add_f64 v[77:78], v[77:78], -v[103:104]
	v_fma_f64 v[99:100], v[101:102], v[97:98], v[99:100]
	v_add_f64 v[79:80], v[79:80], -v[99:100]
	ds_read2_b64 v[99:102], v125 offset0:40 offset1:41
	s_waitcnt lgkmcnt(0)
	v_mul_f64 v[103:104], v[101:102], v[89:90]
	v_fma_f64 v[103:104], v[99:100], v[97:98], -v[103:104]
	v_mul_f64 v[99:100], v[99:100], v[89:90]
	v_add_f64 v[93:94], v[93:94], -v[103:104]
	v_fma_f64 v[99:100], v[101:102], v[97:98], v[99:100]
	v_add_f64 v[95:96], v[95:96], -v[99:100]
	ds_read2_b64 v[99:102], v125 offset0:42 offset1:43
	buffer_load_dword v85, off, s[20:23], 0 offset:32 ; 4-byte Folded Reload
	buffer_load_dword v86, off, s[20:23], 0 offset:36 ; 4-byte Folded Reload
	;; [unrolled: 1-line block ×4, first 2 shown]
	s_waitcnt lgkmcnt(0)
	v_mul_f64 v[103:104], v[101:102], v[89:90]
	v_fma_f64 v[103:104], v[99:100], v[97:98], -v[103:104]
	v_mul_f64 v[99:100], v[99:100], v[89:90]
	v_fma_f64 v[99:100], v[101:102], v[97:98], v[99:100]
	s_waitcnt vmcnt(2)
	v_add_f64 v[85:86], v[85:86], -v[103:104]
	s_waitcnt vmcnt(0)
	v_add_f64 v[87:88], v[87:88], -v[99:100]
	buffer_store_dword v85, off, s[20:23], 0 offset:32 ; 4-byte Folded Spill
	s_nop 0
	buffer_store_dword v86, off, s[20:23], 0 offset:36 ; 4-byte Folded Spill
	buffer_store_dword v87, off, s[20:23], 0 offset:40 ; 4-byte Folded Spill
	;; [unrolled: 1-line block ×3, first 2 shown]
	ds_read2_b64 v[99:102], v125 offset0:44 offset1:45
	buffer_load_dword v73, off, s[20:23], 0 offset:16 ; 4-byte Folded Reload
	buffer_load_dword v74, off, s[20:23], 0 offset:20 ; 4-byte Folded Reload
	;; [unrolled: 1-line block ×4, first 2 shown]
	v_mov_b32_e32 v87, v97
	v_mov_b32_e32 v88, v98
	s_waitcnt lgkmcnt(0)
	v_mul_f64 v[103:104], v[101:102], v[89:90]
	v_fma_f64 v[103:104], v[99:100], v[97:98], -v[103:104]
	v_mul_f64 v[99:100], v[99:100], v[89:90]
	v_fma_f64 v[99:100], v[101:102], v[97:98], v[99:100]
	s_waitcnt vmcnt(2)
	v_add_f64 v[73:74], v[73:74], -v[103:104]
	s_waitcnt vmcnt(0)
	v_add_f64 v[75:76], v[75:76], -v[99:100]
	buffer_store_dword v73, off, s[20:23], 0 offset:16 ; 4-byte Folded Spill
	s_nop 0
	buffer_store_dword v74, off, s[20:23], 0 offset:20 ; 4-byte Folded Spill
	buffer_store_dword v75, off, s[20:23], 0 offset:24 ; 4-byte Folded Spill
	;; [unrolled: 1-line block ×3, first 2 shown]
	ds_read2_b64 v[99:102], v125 offset0:46 offset1:47
	buffer_load_dword v69, off, s[20:23], 0 ; 4-byte Folded Reload
	buffer_load_dword v70, off, s[20:23], 0 offset:4 ; 4-byte Folded Reload
	buffer_load_dword v71, off, s[20:23], 0 offset:8 ; 4-byte Folded Reload
	;; [unrolled: 1-line block ×3, first 2 shown]
	s_waitcnt lgkmcnt(0)
	v_mul_f64 v[103:104], v[101:102], v[89:90]
	v_fma_f64 v[103:104], v[99:100], v[97:98], -v[103:104]
	v_mul_f64 v[99:100], v[99:100], v[89:90]
	v_fma_f64 v[99:100], v[101:102], v[97:98], v[99:100]
	s_waitcnt vmcnt(2)
	v_add_f64 v[69:70], v[69:70], -v[103:104]
	s_waitcnt vmcnt(0)
	v_add_f64 v[71:72], v[71:72], -v[99:100]
	buffer_store_dword v69, off, s[20:23], 0 ; 4-byte Folded Spill
	s_nop 0
	buffer_store_dword v70, off, s[20:23], 0 offset:4 ; 4-byte Folded Spill
	buffer_store_dword v71, off, s[20:23], 0 offset:8 ; 4-byte Folded Spill
	;; [unrolled: 1-line block ×3, first 2 shown]
	ds_read2_b64 v[99:102], v125 offset0:48 offset1:49
	s_waitcnt lgkmcnt(0)
	v_mul_f64 v[103:104], v[101:102], v[89:90]
	v_fma_f64 v[103:104], v[99:100], v[97:98], -v[103:104]
	v_mul_f64 v[99:100], v[99:100], v[89:90]
	v_add_f64 v[65:66], v[65:66], -v[103:104]
	v_fma_f64 v[99:100], v[101:102], v[97:98], v[99:100]
	v_add_f64 v[67:68], v[67:68], -v[99:100]
	ds_read2_b64 v[99:102], v125 offset0:50 offset1:51
	s_waitcnt lgkmcnt(0)
	v_mul_f64 v[103:104], v[101:102], v[89:90]
	v_fma_f64 v[103:104], v[99:100], v[97:98], -v[103:104]
	v_mul_f64 v[99:100], v[99:100], v[89:90]
	v_add_f64 v[61:62], v[61:62], -v[103:104]
	v_fma_f64 v[99:100], v[101:102], v[97:98], v[99:100]
	v_add_f64 v[63:64], v[63:64], -v[99:100]
	;; [unrolled: 8-line block ×17, first 2 shown]
	ds_read2_b64 v[99:102], v125 offset0:82 offset1:83
	s_waitcnt lgkmcnt(0)
	v_mul_f64 v[103:104], v[101:102], v[89:90]
	v_fma_f64 v[103:104], v[99:100], v[97:98], -v[103:104]
	v_mul_f64 v[99:100], v[99:100], v[89:90]
	buffer_store_dword v87, off, s[20:23], 0 offset:96 ; 4-byte Folded Spill
	s_nop 0
	buffer_store_dword v88, off, s[20:23], 0 offset:100 ; 4-byte Folded Spill
	buffer_store_dword v89, off, s[20:23], 0 offset:104 ; 4-byte Folded Spill
	;; [unrolled: 1-line block ×3, first 2 shown]
	v_add_f64 v[121:122], v[121:122], -v[103:104]
	v_fma_f64 v[99:100], v[101:102], v[97:98], v[99:100]
	v_add_f64 v[123:124], v[123:124], -v[99:100]
.LBB83_127:
	s_or_b64 exec, exec, s[2:3]
	v_cmp_eq_u32_e32 vcc, 14, v0
	s_waitcnt vmcnt(0)
	s_barrier
	s_and_saveexec_b64 s[4:5], vcc
	s_cbranch_execz .LBB83_134
; %bb.128:
	buffer_load_dword v81, off, s[20:23], 0 offset:80 ; 4-byte Folded Reload
	buffer_load_dword v82, off, s[20:23], 0 offset:84 ; 4-byte Folded Reload
	;; [unrolled: 1-line block ×4, first 2 shown]
	s_waitcnt vmcnt(0)
	ds_write2_b64 v127, v[81:82], v[83:84] offset1:1
	buffer_load_dword v81, off, s[20:23], 0 offset:64 ; 4-byte Folded Reload
	buffer_load_dword v82, off, s[20:23], 0 offset:68 ; 4-byte Folded Reload
	;; [unrolled: 1-line block ×4, first 2 shown]
	s_waitcnt vmcnt(0)
	ds_write2_b64 v125, v[81:82], v[83:84] offset0:30 offset1:31
	ds_write2_b64 v125, v[117:118], v[119:120] offset0:32 offset1:33
	;; [unrolled: 1-line block ×3, first 2 shown]
	buffer_load_dword v81, off, s[20:23], 0 offset:48 ; 4-byte Folded Reload
	buffer_load_dword v82, off, s[20:23], 0 offset:52 ; 4-byte Folded Reload
	buffer_load_dword v83, off, s[20:23], 0 offset:56 ; 4-byte Folded Reload
	buffer_load_dword v84, off, s[20:23], 0 offset:60 ; 4-byte Folded Reload
	s_waitcnt vmcnt(0)
	ds_write2_b64 v125, v[81:82], v[83:84] offset0:36 offset1:37
	ds_write2_b64 v125, v[77:78], v[79:80] offset0:38 offset1:39
	;; [unrolled: 1-line block ×3, first 2 shown]
	buffer_load_dword v85, off, s[20:23], 0 offset:32 ; 4-byte Folded Reload
	buffer_load_dword v86, off, s[20:23], 0 offset:36 ; 4-byte Folded Reload
	;; [unrolled: 1-line block ×4, first 2 shown]
	s_waitcnt vmcnt(0)
	ds_write2_b64 v125, v[85:86], v[87:88] offset0:42 offset1:43
	buffer_load_dword v73, off, s[20:23], 0 offset:16 ; 4-byte Folded Reload
	buffer_load_dword v74, off, s[20:23], 0 offset:20 ; 4-byte Folded Reload
	buffer_load_dword v75, off, s[20:23], 0 offset:24 ; 4-byte Folded Reload
	buffer_load_dword v76, off, s[20:23], 0 offset:28 ; 4-byte Folded Reload
	s_waitcnt vmcnt(0)
	ds_write2_b64 v125, v[73:74], v[75:76] offset0:44 offset1:45
	buffer_load_dword v69, off, s[20:23], 0 ; 4-byte Folded Reload
	buffer_load_dword v70, off, s[20:23], 0 offset:4 ; 4-byte Folded Reload
	buffer_load_dword v71, off, s[20:23], 0 offset:8 ; 4-byte Folded Reload
	buffer_load_dword v72, off, s[20:23], 0 offset:12 ; 4-byte Folded Reload
	s_waitcnt vmcnt(0)
	ds_write2_b64 v125, v[69:70], v[71:72] offset0:46 offset1:47
	ds_write2_b64 v125, v[65:66], v[67:68] offset0:48 offset1:49
	;; [unrolled: 1-line block ×19, first 2 shown]
	ds_read2_b64 v[97:100], v127 offset1:1
	s_waitcnt lgkmcnt(0)
	v_cmp_neq_f64_e32 vcc, 0, v[97:98]
	v_cmp_neq_f64_e64 s[2:3], 0, v[99:100]
	s_or_b64 s[2:3], vcc, s[2:3]
	s_and_b64 exec, exec, s[2:3]
	s_cbranch_execz .LBB83_134
; %bb.129:
	v_cmp_ngt_f64_e64 s[2:3], |v[97:98]|, |v[99:100]|
                                        ; implicit-def: $vgpr101_vgpr102
	s_and_saveexec_b64 s[6:7], s[2:3]
	s_xor_b64 s[2:3], exec, s[6:7]
                                        ; implicit-def: $vgpr103_vgpr104
	s_cbranch_execz .LBB83_131
; %bb.130:
	v_div_scale_f64 v[101:102], s[6:7], v[99:100], v[99:100], v[97:98]
	v_rcp_f64_e32 v[103:104], v[101:102]
	v_fma_f64 v[105:106], -v[101:102], v[103:104], 1.0
	v_fma_f64 v[103:104], v[103:104], v[105:106], v[103:104]
	v_div_scale_f64 v[105:106], vcc, v[97:98], v[99:100], v[97:98]
	v_fma_f64 v[107:108], -v[101:102], v[103:104], 1.0
	v_fma_f64 v[103:104], v[103:104], v[107:108], v[103:104]
	v_mul_f64 v[107:108], v[105:106], v[103:104]
	v_fma_f64 v[101:102], -v[101:102], v[107:108], v[105:106]
	v_div_fmas_f64 v[101:102], v[101:102], v[103:104], v[107:108]
	v_div_fixup_f64 v[101:102], v[101:102], v[99:100], v[97:98]
	v_fma_f64 v[97:98], v[97:98], v[101:102], v[99:100]
	v_div_scale_f64 v[99:100], s[6:7], v[97:98], v[97:98], 1.0
	v_div_scale_f64 v[107:108], vcc, 1.0, v[97:98], 1.0
	v_rcp_f64_e32 v[103:104], v[99:100]
	v_fma_f64 v[105:106], -v[99:100], v[103:104], 1.0
	v_fma_f64 v[103:104], v[103:104], v[105:106], v[103:104]
	v_fma_f64 v[105:106], -v[99:100], v[103:104], 1.0
	v_fma_f64 v[103:104], v[103:104], v[105:106], v[103:104]
	v_mul_f64 v[105:106], v[107:108], v[103:104]
	v_fma_f64 v[99:100], -v[99:100], v[105:106], v[107:108]
	v_div_fmas_f64 v[99:100], v[99:100], v[103:104], v[105:106]
	v_div_fixup_f64 v[103:104], v[99:100], v[97:98], 1.0
                                        ; implicit-def: $vgpr97_vgpr98
	v_mul_f64 v[101:102], v[101:102], v[103:104]
	v_xor_b32_e32 v104, 0x80000000, v104
.LBB83_131:
	s_andn2_saveexec_b64 s[2:3], s[2:3]
	s_cbranch_execz .LBB83_133
; %bb.132:
	v_div_scale_f64 v[101:102], s[6:7], v[97:98], v[97:98], v[99:100]
	v_rcp_f64_e32 v[103:104], v[101:102]
	v_fma_f64 v[105:106], -v[101:102], v[103:104], 1.0
	v_fma_f64 v[103:104], v[103:104], v[105:106], v[103:104]
	v_div_scale_f64 v[105:106], vcc, v[99:100], v[97:98], v[99:100]
	v_fma_f64 v[107:108], -v[101:102], v[103:104], 1.0
	v_fma_f64 v[103:104], v[103:104], v[107:108], v[103:104]
	v_mul_f64 v[107:108], v[105:106], v[103:104]
	v_fma_f64 v[101:102], -v[101:102], v[107:108], v[105:106]
	v_div_fmas_f64 v[101:102], v[101:102], v[103:104], v[107:108]
	v_div_fixup_f64 v[103:104], v[101:102], v[97:98], v[99:100]
	v_fma_f64 v[97:98], v[99:100], v[103:104], v[97:98]
	v_div_scale_f64 v[99:100], s[6:7], v[97:98], v[97:98], 1.0
	v_div_scale_f64 v[107:108], vcc, 1.0, v[97:98], 1.0
	v_rcp_f64_e32 v[101:102], v[99:100]
	v_fma_f64 v[105:106], -v[99:100], v[101:102], 1.0
	v_fma_f64 v[101:102], v[101:102], v[105:106], v[101:102]
	v_fma_f64 v[105:106], -v[99:100], v[101:102], 1.0
	v_fma_f64 v[101:102], v[101:102], v[105:106], v[101:102]
	v_mul_f64 v[105:106], v[107:108], v[101:102]
	v_fma_f64 v[99:100], -v[99:100], v[105:106], v[107:108]
	v_div_fmas_f64 v[99:100], v[99:100], v[101:102], v[105:106]
	v_div_fixup_f64 v[101:102], v[99:100], v[97:98], 1.0
	v_mul_f64 v[103:104], v[103:104], -v[101:102]
.LBB83_133:
	s_or_b64 exec, exec, s[2:3]
	ds_write2_b64 v127, v[101:102], v[103:104] offset1:1
.LBB83_134:
	s_or_b64 exec, exec, s[4:5]
	s_waitcnt lgkmcnt(0)
	s_barrier
	ds_read2_b64 v[81:84], v127 offset1:1
	v_cmp_lt_u32_e32 vcc, 14, v0
	s_waitcnt lgkmcnt(0)
	buffer_store_dword v81, off, s[20:23], 0 offset:904 ; 4-byte Folded Spill
	s_nop 0
	buffer_store_dword v82, off, s[20:23], 0 offset:908 ; 4-byte Folded Spill
	buffer_store_dword v83, off, s[20:23], 0 offset:912 ; 4-byte Folded Spill
	;; [unrolled: 1-line block ×3, first 2 shown]
	s_and_saveexec_b64 s[2:3], vcc
	s_cbranch_execz .LBB83_136
; %bb.135:
	buffer_load_dword v87, off, s[20:23], 0 offset:80 ; 4-byte Folded Reload
	buffer_load_dword v88, off, s[20:23], 0 offset:84 ; 4-byte Folded Reload
	;; [unrolled: 1-line block ×8, first 2 shown]
	s_waitcnt vmcnt(2)
	v_mul_f64 v[99:100], v[81:82], v[89:90]
	s_waitcnt vmcnt(0)
	v_mul_f64 v[97:98], v[83:84], v[89:90]
	v_fma_f64 v[89:90], v[83:84], v[87:88], v[99:100]
	ds_read2_b64 v[99:102], v125 offset0:30 offset1:31
	v_fma_f64 v[97:98], v[81:82], v[87:88], -v[97:98]
	buffer_load_dword v81, off, s[20:23], 0 offset:64 ; 4-byte Folded Reload
	buffer_load_dword v82, off, s[20:23], 0 offset:68 ; 4-byte Folded Reload
	;; [unrolled: 1-line block ×4, first 2 shown]
	s_waitcnt lgkmcnt(0)
	v_mul_f64 v[103:104], v[101:102], v[89:90]
	v_fma_f64 v[103:104], v[99:100], v[97:98], -v[103:104]
	v_mul_f64 v[99:100], v[99:100], v[89:90]
	v_fma_f64 v[99:100], v[101:102], v[97:98], v[99:100]
	s_waitcnt vmcnt(2)
	v_add_f64 v[81:82], v[81:82], -v[103:104]
	s_waitcnt vmcnt(0)
	v_add_f64 v[83:84], v[83:84], -v[99:100]
	buffer_store_dword v81, off, s[20:23], 0 offset:64 ; 4-byte Folded Spill
	s_nop 0
	buffer_store_dword v82, off, s[20:23], 0 offset:68 ; 4-byte Folded Spill
	buffer_store_dword v83, off, s[20:23], 0 offset:72 ; 4-byte Folded Spill
	buffer_store_dword v84, off, s[20:23], 0 offset:76 ; 4-byte Folded Spill
	ds_read2_b64 v[99:102], v125 offset0:32 offset1:33
	s_waitcnt lgkmcnt(0)
	v_mul_f64 v[103:104], v[101:102], v[89:90]
	v_fma_f64 v[103:104], v[99:100], v[97:98], -v[103:104]
	v_mul_f64 v[99:100], v[99:100], v[89:90]
	v_add_f64 v[117:118], v[117:118], -v[103:104]
	v_fma_f64 v[99:100], v[101:102], v[97:98], v[99:100]
	v_add_f64 v[119:120], v[119:120], -v[99:100]
	ds_read2_b64 v[99:102], v125 offset0:34 offset1:35
	s_waitcnt lgkmcnt(0)
	v_mul_f64 v[103:104], v[101:102], v[89:90]
	v_fma_f64 v[103:104], v[99:100], v[97:98], -v[103:104]
	v_mul_f64 v[99:100], v[99:100], v[89:90]
	v_add_f64 v[113:114], v[113:114], -v[103:104]
	v_fma_f64 v[99:100], v[101:102], v[97:98], v[99:100]
	v_add_f64 v[115:116], v[115:116], -v[99:100]
	ds_read2_b64 v[99:102], v125 offset0:36 offset1:37
	buffer_load_dword v81, off, s[20:23], 0 offset:48 ; 4-byte Folded Reload
	buffer_load_dword v82, off, s[20:23], 0 offset:52 ; 4-byte Folded Reload
	;; [unrolled: 1-line block ×4, first 2 shown]
	s_waitcnt lgkmcnt(0)
	v_mul_f64 v[103:104], v[101:102], v[89:90]
	v_fma_f64 v[103:104], v[99:100], v[97:98], -v[103:104]
	v_mul_f64 v[99:100], v[99:100], v[89:90]
	v_fma_f64 v[99:100], v[101:102], v[97:98], v[99:100]
	s_waitcnt vmcnt(2)
	v_add_f64 v[81:82], v[81:82], -v[103:104]
	s_waitcnt vmcnt(0)
	v_add_f64 v[83:84], v[83:84], -v[99:100]
	buffer_store_dword v81, off, s[20:23], 0 offset:48 ; 4-byte Folded Spill
	s_nop 0
	buffer_store_dword v82, off, s[20:23], 0 offset:52 ; 4-byte Folded Spill
	buffer_store_dword v83, off, s[20:23], 0 offset:56 ; 4-byte Folded Spill
	buffer_store_dword v84, off, s[20:23], 0 offset:60 ; 4-byte Folded Spill
	ds_read2_b64 v[99:102], v125 offset0:38 offset1:39
	s_waitcnt lgkmcnt(0)
	v_mul_f64 v[103:104], v[101:102], v[89:90]
	v_fma_f64 v[103:104], v[99:100], v[97:98], -v[103:104]
	v_mul_f64 v[99:100], v[99:100], v[89:90]
	v_add_f64 v[77:78], v[77:78], -v[103:104]
	v_fma_f64 v[99:100], v[101:102], v[97:98], v[99:100]
	v_add_f64 v[79:80], v[79:80], -v[99:100]
	ds_read2_b64 v[99:102], v125 offset0:40 offset1:41
	s_waitcnt lgkmcnt(0)
	v_mul_f64 v[103:104], v[101:102], v[89:90]
	v_fma_f64 v[103:104], v[99:100], v[97:98], -v[103:104]
	v_mul_f64 v[99:100], v[99:100], v[89:90]
	v_add_f64 v[93:94], v[93:94], -v[103:104]
	v_fma_f64 v[99:100], v[101:102], v[97:98], v[99:100]
	v_add_f64 v[95:96], v[95:96], -v[99:100]
	ds_read2_b64 v[99:102], v125 offset0:42 offset1:43
	buffer_load_dword v85, off, s[20:23], 0 offset:32 ; 4-byte Folded Reload
	buffer_load_dword v86, off, s[20:23], 0 offset:36 ; 4-byte Folded Reload
	;; [unrolled: 1-line block ×4, first 2 shown]
	s_waitcnt lgkmcnt(0)
	v_mul_f64 v[103:104], v[101:102], v[89:90]
	v_fma_f64 v[103:104], v[99:100], v[97:98], -v[103:104]
	v_mul_f64 v[99:100], v[99:100], v[89:90]
	v_fma_f64 v[99:100], v[101:102], v[97:98], v[99:100]
	s_waitcnt vmcnt(2)
	v_add_f64 v[85:86], v[85:86], -v[103:104]
	s_waitcnt vmcnt(0)
	v_add_f64 v[87:88], v[87:88], -v[99:100]
	buffer_store_dword v85, off, s[20:23], 0 offset:32 ; 4-byte Folded Spill
	s_nop 0
	buffer_store_dword v86, off, s[20:23], 0 offset:36 ; 4-byte Folded Spill
	buffer_store_dword v87, off, s[20:23], 0 offset:40 ; 4-byte Folded Spill
	;; [unrolled: 1-line block ×3, first 2 shown]
	ds_read2_b64 v[99:102], v125 offset0:44 offset1:45
	buffer_load_dword v73, off, s[20:23], 0 offset:16 ; 4-byte Folded Reload
	buffer_load_dword v74, off, s[20:23], 0 offset:20 ; 4-byte Folded Reload
	;; [unrolled: 1-line block ×4, first 2 shown]
	v_mov_b32_e32 v87, v97
	v_mov_b32_e32 v88, v98
	s_waitcnt lgkmcnt(0)
	v_mul_f64 v[103:104], v[101:102], v[89:90]
	v_fma_f64 v[103:104], v[99:100], v[97:98], -v[103:104]
	v_mul_f64 v[99:100], v[99:100], v[89:90]
	v_fma_f64 v[99:100], v[101:102], v[97:98], v[99:100]
	s_waitcnt vmcnt(2)
	v_add_f64 v[73:74], v[73:74], -v[103:104]
	s_waitcnt vmcnt(0)
	v_add_f64 v[75:76], v[75:76], -v[99:100]
	buffer_store_dword v73, off, s[20:23], 0 offset:16 ; 4-byte Folded Spill
	s_nop 0
	buffer_store_dword v74, off, s[20:23], 0 offset:20 ; 4-byte Folded Spill
	buffer_store_dword v75, off, s[20:23], 0 offset:24 ; 4-byte Folded Spill
	;; [unrolled: 1-line block ×3, first 2 shown]
	ds_read2_b64 v[99:102], v125 offset0:46 offset1:47
	buffer_load_dword v69, off, s[20:23], 0 ; 4-byte Folded Reload
	buffer_load_dword v70, off, s[20:23], 0 offset:4 ; 4-byte Folded Reload
	buffer_load_dword v71, off, s[20:23], 0 offset:8 ; 4-byte Folded Reload
	;; [unrolled: 1-line block ×3, first 2 shown]
	s_waitcnt lgkmcnt(0)
	v_mul_f64 v[103:104], v[101:102], v[89:90]
	v_fma_f64 v[103:104], v[99:100], v[97:98], -v[103:104]
	v_mul_f64 v[99:100], v[99:100], v[89:90]
	v_fma_f64 v[99:100], v[101:102], v[97:98], v[99:100]
	s_waitcnt vmcnt(2)
	v_add_f64 v[69:70], v[69:70], -v[103:104]
	s_waitcnt vmcnt(0)
	v_add_f64 v[71:72], v[71:72], -v[99:100]
	buffer_store_dword v69, off, s[20:23], 0 ; 4-byte Folded Spill
	s_nop 0
	buffer_store_dword v70, off, s[20:23], 0 offset:4 ; 4-byte Folded Spill
	buffer_store_dword v71, off, s[20:23], 0 offset:8 ; 4-byte Folded Spill
	;; [unrolled: 1-line block ×3, first 2 shown]
	ds_read2_b64 v[99:102], v125 offset0:48 offset1:49
	s_waitcnt lgkmcnt(0)
	v_mul_f64 v[103:104], v[101:102], v[89:90]
	v_fma_f64 v[103:104], v[99:100], v[97:98], -v[103:104]
	v_mul_f64 v[99:100], v[99:100], v[89:90]
	v_add_f64 v[65:66], v[65:66], -v[103:104]
	v_fma_f64 v[99:100], v[101:102], v[97:98], v[99:100]
	v_add_f64 v[67:68], v[67:68], -v[99:100]
	ds_read2_b64 v[99:102], v125 offset0:50 offset1:51
	s_waitcnt lgkmcnt(0)
	v_mul_f64 v[103:104], v[101:102], v[89:90]
	v_fma_f64 v[103:104], v[99:100], v[97:98], -v[103:104]
	v_mul_f64 v[99:100], v[99:100], v[89:90]
	v_add_f64 v[61:62], v[61:62], -v[103:104]
	v_fma_f64 v[99:100], v[101:102], v[97:98], v[99:100]
	v_add_f64 v[63:64], v[63:64], -v[99:100]
	ds_read2_b64 v[99:102], v125 offset0:52 offset1:53
	s_waitcnt lgkmcnt(0)
	v_mul_f64 v[103:104], v[101:102], v[89:90]
	v_fma_f64 v[103:104], v[99:100], v[97:98], -v[103:104]
	v_mul_f64 v[99:100], v[99:100], v[89:90]
	v_add_f64 v[57:58], v[57:58], -v[103:104]
	v_fma_f64 v[99:100], v[101:102], v[97:98], v[99:100]
	v_add_f64 v[59:60], v[59:60], -v[99:100]
	ds_read2_b64 v[99:102], v125 offset0:54 offset1:55
	s_waitcnt lgkmcnt(0)
	v_mul_f64 v[103:104], v[101:102], v[89:90]
	v_fma_f64 v[103:104], v[99:100], v[97:98], -v[103:104]
	v_mul_f64 v[99:100], v[99:100], v[89:90]
	v_add_f64 v[53:54], v[53:54], -v[103:104]
	v_fma_f64 v[99:100], v[101:102], v[97:98], v[99:100]
	v_add_f64 v[55:56], v[55:56], -v[99:100]
	ds_read2_b64 v[99:102], v125 offset0:56 offset1:57
	s_waitcnt lgkmcnt(0)
	v_mul_f64 v[103:104], v[101:102], v[89:90]
	v_fma_f64 v[103:104], v[99:100], v[97:98], -v[103:104]
	v_mul_f64 v[99:100], v[99:100], v[89:90]
	v_add_f64 v[49:50], v[49:50], -v[103:104]
	v_fma_f64 v[99:100], v[101:102], v[97:98], v[99:100]
	v_add_f64 v[51:52], v[51:52], -v[99:100]
	ds_read2_b64 v[99:102], v125 offset0:58 offset1:59
	s_waitcnt lgkmcnt(0)
	v_mul_f64 v[103:104], v[101:102], v[89:90]
	v_fma_f64 v[103:104], v[99:100], v[97:98], -v[103:104]
	v_mul_f64 v[99:100], v[99:100], v[89:90]
	v_add_f64 v[45:46], v[45:46], -v[103:104]
	v_fma_f64 v[99:100], v[101:102], v[97:98], v[99:100]
	v_add_f64 v[47:48], v[47:48], -v[99:100]
	ds_read2_b64 v[99:102], v125 offset0:60 offset1:61
	s_waitcnt lgkmcnt(0)
	v_mul_f64 v[103:104], v[101:102], v[89:90]
	v_fma_f64 v[103:104], v[99:100], v[97:98], -v[103:104]
	v_mul_f64 v[99:100], v[99:100], v[89:90]
	v_add_f64 v[41:42], v[41:42], -v[103:104]
	v_fma_f64 v[99:100], v[101:102], v[97:98], v[99:100]
	v_add_f64 v[43:44], v[43:44], -v[99:100]
	ds_read2_b64 v[99:102], v125 offset0:62 offset1:63
	s_waitcnt lgkmcnt(0)
	v_mul_f64 v[103:104], v[101:102], v[89:90]
	v_fma_f64 v[103:104], v[99:100], v[97:98], -v[103:104]
	v_mul_f64 v[99:100], v[99:100], v[89:90]
	v_add_f64 v[37:38], v[37:38], -v[103:104]
	v_fma_f64 v[99:100], v[101:102], v[97:98], v[99:100]
	v_add_f64 v[39:40], v[39:40], -v[99:100]
	ds_read2_b64 v[99:102], v125 offset0:64 offset1:65
	s_waitcnt lgkmcnt(0)
	v_mul_f64 v[103:104], v[101:102], v[89:90]
	v_fma_f64 v[103:104], v[99:100], v[97:98], -v[103:104]
	v_mul_f64 v[99:100], v[99:100], v[89:90]
	v_add_f64 v[33:34], v[33:34], -v[103:104]
	v_fma_f64 v[99:100], v[101:102], v[97:98], v[99:100]
	v_add_f64 v[35:36], v[35:36], -v[99:100]
	ds_read2_b64 v[99:102], v125 offset0:66 offset1:67
	s_waitcnt lgkmcnt(0)
	v_mul_f64 v[103:104], v[101:102], v[89:90]
	v_fma_f64 v[103:104], v[99:100], v[97:98], -v[103:104]
	v_mul_f64 v[99:100], v[99:100], v[89:90]
	v_add_f64 v[29:30], v[29:30], -v[103:104]
	v_fma_f64 v[99:100], v[101:102], v[97:98], v[99:100]
	v_add_f64 v[31:32], v[31:32], -v[99:100]
	ds_read2_b64 v[99:102], v125 offset0:68 offset1:69
	s_waitcnt lgkmcnt(0)
	v_mul_f64 v[103:104], v[101:102], v[89:90]
	v_fma_f64 v[103:104], v[99:100], v[97:98], -v[103:104]
	v_mul_f64 v[99:100], v[99:100], v[89:90]
	v_add_f64 v[25:26], v[25:26], -v[103:104]
	v_fma_f64 v[99:100], v[101:102], v[97:98], v[99:100]
	v_add_f64 v[27:28], v[27:28], -v[99:100]
	ds_read2_b64 v[99:102], v125 offset0:70 offset1:71
	s_waitcnt lgkmcnt(0)
	v_mul_f64 v[103:104], v[101:102], v[89:90]
	v_fma_f64 v[103:104], v[99:100], v[97:98], -v[103:104]
	v_mul_f64 v[99:100], v[99:100], v[89:90]
	v_add_f64 v[21:22], v[21:22], -v[103:104]
	v_fma_f64 v[99:100], v[101:102], v[97:98], v[99:100]
	v_add_f64 v[23:24], v[23:24], -v[99:100]
	ds_read2_b64 v[99:102], v125 offset0:72 offset1:73
	s_waitcnt lgkmcnt(0)
	v_mul_f64 v[103:104], v[101:102], v[89:90]
	v_fma_f64 v[103:104], v[99:100], v[97:98], -v[103:104]
	v_mul_f64 v[99:100], v[99:100], v[89:90]
	v_add_f64 v[17:18], v[17:18], -v[103:104]
	v_fma_f64 v[99:100], v[101:102], v[97:98], v[99:100]
	v_add_f64 v[19:20], v[19:20], -v[99:100]
	ds_read2_b64 v[99:102], v125 offset0:74 offset1:75
	s_waitcnt lgkmcnt(0)
	v_mul_f64 v[103:104], v[101:102], v[89:90]
	v_fma_f64 v[103:104], v[99:100], v[97:98], -v[103:104]
	v_mul_f64 v[99:100], v[99:100], v[89:90]
	v_add_f64 v[13:14], v[13:14], -v[103:104]
	v_fma_f64 v[99:100], v[101:102], v[97:98], v[99:100]
	v_add_f64 v[15:16], v[15:16], -v[99:100]
	ds_read2_b64 v[99:102], v125 offset0:76 offset1:77
	s_waitcnt lgkmcnt(0)
	v_mul_f64 v[103:104], v[101:102], v[89:90]
	v_fma_f64 v[103:104], v[99:100], v[97:98], -v[103:104]
	v_mul_f64 v[99:100], v[99:100], v[89:90]
	v_add_f64 v[9:10], v[9:10], -v[103:104]
	v_fma_f64 v[99:100], v[101:102], v[97:98], v[99:100]
	v_add_f64 v[11:12], v[11:12], -v[99:100]
	ds_read2_b64 v[99:102], v125 offset0:78 offset1:79
	s_waitcnt lgkmcnt(0)
	v_mul_f64 v[103:104], v[101:102], v[89:90]
	v_fma_f64 v[103:104], v[99:100], v[97:98], -v[103:104]
	v_mul_f64 v[99:100], v[99:100], v[89:90]
	v_add_f64 v[5:6], v[5:6], -v[103:104]
	v_fma_f64 v[99:100], v[101:102], v[97:98], v[99:100]
	v_add_f64 v[7:8], v[7:8], -v[99:100]
	ds_read2_b64 v[99:102], v125 offset0:80 offset1:81
	s_waitcnt lgkmcnt(0)
	v_mul_f64 v[103:104], v[101:102], v[89:90]
	v_fma_f64 v[103:104], v[99:100], v[97:98], -v[103:104]
	v_mul_f64 v[99:100], v[99:100], v[89:90]
	v_add_f64 v[1:2], v[1:2], -v[103:104]
	v_fma_f64 v[99:100], v[101:102], v[97:98], v[99:100]
	v_add_f64 v[3:4], v[3:4], -v[99:100]
	ds_read2_b64 v[99:102], v125 offset0:82 offset1:83
	s_waitcnt lgkmcnt(0)
	v_mul_f64 v[103:104], v[101:102], v[89:90]
	v_fma_f64 v[103:104], v[99:100], v[97:98], -v[103:104]
	v_mul_f64 v[99:100], v[99:100], v[89:90]
	buffer_store_dword v87, off, s[20:23], 0 offset:80 ; 4-byte Folded Spill
	s_nop 0
	buffer_store_dword v88, off, s[20:23], 0 offset:84 ; 4-byte Folded Spill
	buffer_store_dword v89, off, s[20:23], 0 offset:88 ; 4-byte Folded Spill
	;; [unrolled: 1-line block ×3, first 2 shown]
	v_add_f64 v[121:122], v[121:122], -v[103:104]
	v_fma_f64 v[99:100], v[101:102], v[97:98], v[99:100]
	v_add_f64 v[123:124], v[123:124], -v[99:100]
.LBB83_136:
	s_or_b64 exec, exec, s[2:3]
	v_cmp_eq_u32_e32 vcc, 15, v0
	s_waitcnt vmcnt(0)
	s_barrier
	s_and_saveexec_b64 s[4:5], vcc
	s_cbranch_execz .LBB83_143
; %bb.137:
	buffer_load_dword v81, off, s[20:23], 0 offset:64 ; 4-byte Folded Reload
	buffer_load_dword v82, off, s[20:23], 0 offset:68 ; 4-byte Folded Reload
	;; [unrolled: 1-line block ×4, first 2 shown]
	s_waitcnt vmcnt(0)
	ds_write2_b64 v127, v[81:82], v[83:84] offset1:1
	ds_write2_b64 v125, v[117:118], v[119:120] offset0:32 offset1:33
	ds_write2_b64 v125, v[113:114], v[115:116] offset0:34 offset1:35
	buffer_load_dword v81, off, s[20:23], 0 offset:48 ; 4-byte Folded Reload
	buffer_load_dword v82, off, s[20:23], 0 offset:52 ; 4-byte Folded Reload
	;; [unrolled: 1-line block ×4, first 2 shown]
	s_waitcnt vmcnt(0)
	ds_write2_b64 v125, v[81:82], v[83:84] offset0:36 offset1:37
	ds_write2_b64 v125, v[77:78], v[79:80] offset0:38 offset1:39
	;; [unrolled: 1-line block ×3, first 2 shown]
	buffer_load_dword v85, off, s[20:23], 0 offset:32 ; 4-byte Folded Reload
	buffer_load_dword v86, off, s[20:23], 0 offset:36 ; 4-byte Folded Reload
	;; [unrolled: 1-line block ×4, first 2 shown]
	s_waitcnt vmcnt(0)
	ds_write2_b64 v125, v[85:86], v[87:88] offset0:42 offset1:43
	buffer_load_dword v73, off, s[20:23], 0 offset:16 ; 4-byte Folded Reload
	buffer_load_dword v74, off, s[20:23], 0 offset:20 ; 4-byte Folded Reload
	buffer_load_dword v75, off, s[20:23], 0 offset:24 ; 4-byte Folded Reload
	buffer_load_dword v76, off, s[20:23], 0 offset:28 ; 4-byte Folded Reload
	s_waitcnt vmcnt(0)
	ds_write2_b64 v125, v[73:74], v[75:76] offset0:44 offset1:45
	buffer_load_dword v69, off, s[20:23], 0 ; 4-byte Folded Reload
	buffer_load_dword v70, off, s[20:23], 0 offset:4 ; 4-byte Folded Reload
	buffer_load_dword v71, off, s[20:23], 0 offset:8 ; 4-byte Folded Reload
	;; [unrolled: 1-line block ×3, first 2 shown]
	s_waitcnt vmcnt(0)
	ds_write2_b64 v125, v[69:70], v[71:72] offset0:46 offset1:47
	ds_write2_b64 v125, v[65:66], v[67:68] offset0:48 offset1:49
	;; [unrolled: 1-line block ×19, first 2 shown]
	ds_read2_b64 v[97:100], v127 offset1:1
	s_waitcnt lgkmcnt(0)
	v_cmp_neq_f64_e32 vcc, 0, v[97:98]
	v_cmp_neq_f64_e64 s[2:3], 0, v[99:100]
	s_or_b64 s[2:3], vcc, s[2:3]
	s_and_b64 exec, exec, s[2:3]
	s_cbranch_execz .LBB83_143
; %bb.138:
	v_cmp_ngt_f64_e64 s[2:3], |v[97:98]|, |v[99:100]|
                                        ; implicit-def: $vgpr101_vgpr102
	s_and_saveexec_b64 s[6:7], s[2:3]
	s_xor_b64 s[2:3], exec, s[6:7]
                                        ; implicit-def: $vgpr103_vgpr104
	s_cbranch_execz .LBB83_140
; %bb.139:
	v_div_scale_f64 v[101:102], s[6:7], v[99:100], v[99:100], v[97:98]
	v_rcp_f64_e32 v[103:104], v[101:102]
	v_fma_f64 v[105:106], -v[101:102], v[103:104], 1.0
	v_fma_f64 v[103:104], v[103:104], v[105:106], v[103:104]
	v_div_scale_f64 v[105:106], vcc, v[97:98], v[99:100], v[97:98]
	v_fma_f64 v[107:108], -v[101:102], v[103:104], 1.0
	v_fma_f64 v[103:104], v[103:104], v[107:108], v[103:104]
	v_mul_f64 v[107:108], v[105:106], v[103:104]
	v_fma_f64 v[101:102], -v[101:102], v[107:108], v[105:106]
	v_div_fmas_f64 v[101:102], v[101:102], v[103:104], v[107:108]
	v_div_fixup_f64 v[101:102], v[101:102], v[99:100], v[97:98]
	v_fma_f64 v[97:98], v[97:98], v[101:102], v[99:100]
	v_div_scale_f64 v[99:100], s[6:7], v[97:98], v[97:98], 1.0
	v_div_scale_f64 v[107:108], vcc, 1.0, v[97:98], 1.0
	v_rcp_f64_e32 v[103:104], v[99:100]
	v_fma_f64 v[105:106], -v[99:100], v[103:104], 1.0
	v_fma_f64 v[103:104], v[103:104], v[105:106], v[103:104]
	v_fma_f64 v[105:106], -v[99:100], v[103:104], 1.0
	v_fma_f64 v[103:104], v[103:104], v[105:106], v[103:104]
	v_mul_f64 v[105:106], v[107:108], v[103:104]
	v_fma_f64 v[99:100], -v[99:100], v[105:106], v[107:108]
	v_div_fmas_f64 v[99:100], v[99:100], v[103:104], v[105:106]
	v_div_fixup_f64 v[103:104], v[99:100], v[97:98], 1.0
                                        ; implicit-def: $vgpr97_vgpr98
	v_mul_f64 v[101:102], v[101:102], v[103:104]
	v_xor_b32_e32 v104, 0x80000000, v104
.LBB83_140:
	s_andn2_saveexec_b64 s[2:3], s[2:3]
	s_cbranch_execz .LBB83_142
; %bb.141:
	v_div_scale_f64 v[101:102], s[6:7], v[97:98], v[97:98], v[99:100]
	v_rcp_f64_e32 v[103:104], v[101:102]
	v_fma_f64 v[105:106], -v[101:102], v[103:104], 1.0
	v_fma_f64 v[103:104], v[103:104], v[105:106], v[103:104]
	v_div_scale_f64 v[105:106], vcc, v[99:100], v[97:98], v[99:100]
	v_fma_f64 v[107:108], -v[101:102], v[103:104], 1.0
	v_fma_f64 v[103:104], v[103:104], v[107:108], v[103:104]
	v_mul_f64 v[107:108], v[105:106], v[103:104]
	v_fma_f64 v[101:102], -v[101:102], v[107:108], v[105:106]
	v_div_fmas_f64 v[101:102], v[101:102], v[103:104], v[107:108]
	v_div_fixup_f64 v[103:104], v[101:102], v[97:98], v[99:100]
	v_fma_f64 v[97:98], v[99:100], v[103:104], v[97:98]
	v_div_scale_f64 v[99:100], s[6:7], v[97:98], v[97:98], 1.0
	v_div_scale_f64 v[107:108], vcc, 1.0, v[97:98], 1.0
	v_rcp_f64_e32 v[101:102], v[99:100]
	v_fma_f64 v[105:106], -v[99:100], v[101:102], 1.0
	v_fma_f64 v[101:102], v[101:102], v[105:106], v[101:102]
	v_fma_f64 v[105:106], -v[99:100], v[101:102], 1.0
	v_fma_f64 v[101:102], v[101:102], v[105:106], v[101:102]
	v_mul_f64 v[105:106], v[107:108], v[101:102]
	v_fma_f64 v[99:100], -v[99:100], v[105:106], v[107:108]
	v_div_fmas_f64 v[99:100], v[99:100], v[101:102], v[105:106]
	v_div_fixup_f64 v[101:102], v[99:100], v[97:98], 1.0
	v_mul_f64 v[103:104], v[103:104], -v[101:102]
.LBB83_142:
	s_or_b64 exec, exec, s[2:3]
	ds_write2_b64 v127, v[101:102], v[103:104] offset1:1
.LBB83_143:
	s_or_b64 exec, exec, s[4:5]
	s_waitcnt lgkmcnt(0)
	s_barrier
	ds_read2_b64 v[81:84], v127 offset1:1
	v_cmp_lt_u32_e32 vcc, 15, v0
	s_waitcnt lgkmcnt(0)
	buffer_store_dword v81, off, s[20:23], 0 offset:920 ; 4-byte Folded Spill
	s_nop 0
	buffer_store_dword v82, off, s[20:23], 0 offset:924 ; 4-byte Folded Spill
	buffer_store_dword v83, off, s[20:23], 0 offset:928 ; 4-byte Folded Spill
	;; [unrolled: 1-line block ×3, first 2 shown]
	s_and_saveexec_b64 s[2:3], vcc
	s_cbranch_execz .LBB83_145
; %bb.144:
	buffer_load_dword v87, off, s[20:23], 0 offset:64 ; 4-byte Folded Reload
	buffer_load_dword v88, off, s[20:23], 0 offset:68 ; 4-byte Folded Reload
	;; [unrolled: 1-line block ×8, first 2 shown]
	s_waitcnt vmcnt(2)
	v_mul_f64 v[99:100], v[81:82], v[89:90]
	s_waitcnt vmcnt(0)
	v_mul_f64 v[97:98], v[83:84], v[89:90]
	v_fma_f64 v[89:90], v[83:84], v[87:88], v[99:100]
	ds_read2_b64 v[99:102], v125 offset0:32 offset1:33
	v_fma_f64 v[97:98], v[81:82], v[87:88], -v[97:98]
	s_waitcnt lgkmcnt(0)
	v_mul_f64 v[103:104], v[101:102], v[89:90]
	v_fma_f64 v[103:104], v[99:100], v[97:98], -v[103:104]
	v_mul_f64 v[99:100], v[99:100], v[89:90]
	v_add_f64 v[117:118], v[117:118], -v[103:104]
	v_fma_f64 v[99:100], v[101:102], v[97:98], v[99:100]
	v_add_f64 v[119:120], v[119:120], -v[99:100]
	ds_read2_b64 v[99:102], v125 offset0:34 offset1:35
	s_waitcnt lgkmcnt(0)
	v_mul_f64 v[103:104], v[101:102], v[89:90]
	v_fma_f64 v[103:104], v[99:100], v[97:98], -v[103:104]
	v_mul_f64 v[99:100], v[99:100], v[89:90]
	v_add_f64 v[113:114], v[113:114], -v[103:104]
	v_fma_f64 v[99:100], v[101:102], v[97:98], v[99:100]
	v_add_f64 v[115:116], v[115:116], -v[99:100]
	ds_read2_b64 v[99:102], v125 offset0:36 offset1:37
	buffer_load_dword v81, off, s[20:23], 0 offset:48 ; 4-byte Folded Reload
	buffer_load_dword v82, off, s[20:23], 0 offset:52 ; 4-byte Folded Reload
	;; [unrolled: 1-line block ×4, first 2 shown]
	s_waitcnt lgkmcnt(0)
	v_mul_f64 v[103:104], v[101:102], v[89:90]
	v_fma_f64 v[103:104], v[99:100], v[97:98], -v[103:104]
	v_mul_f64 v[99:100], v[99:100], v[89:90]
	v_fma_f64 v[99:100], v[101:102], v[97:98], v[99:100]
	s_waitcnt vmcnt(2)
	v_add_f64 v[81:82], v[81:82], -v[103:104]
	s_waitcnt vmcnt(0)
	v_add_f64 v[83:84], v[83:84], -v[99:100]
	buffer_store_dword v81, off, s[20:23], 0 offset:48 ; 4-byte Folded Spill
	s_nop 0
	buffer_store_dword v82, off, s[20:23], 0 offset:52 ; 4-byte Folded Spill
	buffer_store_dword v83, off, s[20:23], 0 offset:56 ; 4-byte Folded Spill
	;; [unrolled: 1-line block ×3, first 2 shown]
	ds_read2_b64 v[99:102], v125 offset0:38 offset1:39
	s_waitcnt lgkmcnt(0)
	v_mul_f64 v[103:104], v[101:102], v[89:90]
	v_fma_f64 v[103:104], v[99:100], v[97:98], -v[103:104]
	v_mul_f64 v[99:100], v[99:100], v[89:90]
	v_add_f64 v[77:78], v[77:78], -v[103:104]
	v_fma_f64 v[99:100], v[101:102], v[97:98], v[99:100]
	v_add_f64 v[79:80], v[79:80], -v[99:100]
	ds_read2_b64 v[99:102], v125 offset0:40 offset1:41
	s_waitcnt lgkmcnt(0)
	v_mul_f64 v[103:104], v[101:102], v[89:90]
	v_fma_f64 v[103:104], v[99:100], v[97:98], -v[103:104]
	v_mul_f64 v[99:100], v[99:100], v[89:90]
	v_add_f64 v[93:94], v[93:94], -v[103:104]
	v_fma_f64 v[99:100], v[101:102], v[97:98], v[99:100]
	v_add_f64 v[95:96], v[95:96], -v[99:100]
	ds_read2_b64 v[99:102], v125 offset0:42 offset1:43
	buffer_load_dword v85, off, s[20:23], 0 offset:32 ; 4-byte Folded Reload
	buffer_load_dword v86, off, s[20:23], 0 offset:36 ; 4-byte Folded Reload
	;; [unrolled: 1-line block ×4, first 2 shown]
	s_waitcnt lgkmcnt(0)
	v_mul_f64 v[103:104], v[101:102], v[89:90]
	v_fma_f64 v[103:104], v[99:100], v[97:98], -v[103:104]
	v_mul_f64 v[99:100], v[99:100], v[89:90]
	v_fma_f64 v[99:100], v[101:102], v[97:98], v[99:100]
	s_waitcnt vmcnt(2)
	v_add_f64 v[85:86], v[85:86], -v[103:104]
	s_waitcnt vmcnt(0)
	v_add_f64 v[87:88], v[87:88], -v[99:100]
	buffer_store_dword v85, off, s[20:23], 0 offset:32 ; 4-byte Folded Spill
	s_nop 0
	buffer_store_dword v86, off, s[20:23], 0 offset:36 ; 4-byte Folded Spill
	buffer_store_dword v87, off, s[20:23], 0 offset:40 ; 4-byte Folded Spill
	;; [unrolled: 1-line block ×3, first 2 shown]
	ds_read2_b64 v[99:102], v125 offset0:44 offset1:45
	buffer_load_dword v73, off, s[20:23], 0 offset:16 ; 4-byte Folded Reload
	buffer_load_dword v74, off, s[20:23], 0 offset:20 ; 4-byte Folded Reload
	;; [unrolled: 1-line block ×4, first 2 shown]
	v_mov_b32_e32 v87, v97
	v_mov_b32_e32 v88, v98
	s_waitcnt lgkmcnt(0)
	v_mul_f64 v[103:104], v[101:102], v[89:90]
	v_fma_f64 v[103:104], v[99:100], v[97:98], -v[103:104]
	v_mul_f64 v[99:100], v[99:100], v[89:90]
	v_fma_f64 v[99:100], v[101:102], v[97:98], v[99:100]
	s_waitcnt vmcnt(2)
	v_add_f64 v[73:74], v[73:74], -v[103:104]
	s_waitcnt vmcnt(0)
	v_add_f64 v[75:76], v[75:76], -v[99:100]
	buffer_store_dword v73, off, s[20:23], 0 offset:16 ; 4-byte Folded Spill
	s_nop 0
	buffer_store_dword v74, off, s[20:23], 0 offset:20 ; 4-byte Folded Spill
	buffer_store_dword v75, off, s[20:23], 0 offset:24 ; 4-byte Folded Spill
	;; [unrolled: 1-line block ×3, first 2 shown]
	ds_read2_b64 v[99:102], v125 offset0:46 offset1:47
	buffer_load_dword v69, off, s[20:23], 0 ; 4-byte Folded Reload
	buffer_load_dword v70, off, s[20:23], 0 offset:4 ; 4-byte Folded Reload
	buffer_load_dword v71, off, s[20:23], 0 offset:8 ; 4-byte Folded Reload
	;; [unrolled: 1-line block ×3, first 2 shown]
	s_waitcnt lgkmcnt(0)
	v_mul_f64 v[103:104], v[101:102], v[89:90]
	v_fma_f64 v[103:104], v[99:100], v[97:98], -v[103:104]
	v_mul_f64 v[99:100], v[99:100], v[89:90]
	v_fma_f64 v[99:100], v[101:102], v[97:98], v[99:100]
	s_waitcnt vmcnt(2)
	v_add_f64 v[69:70], v[69:70], -v[103:104]
	s_waitcnt vmcnt(0)
	v_add_f64 v[71:72], v[71:72], -v[99:100]
	buffer_store_dword v69, off, s[20:23], 0 ; 4-byte Folded Spill
	s_nop 0
	buffer_store_dword v70, off, s[20:23], 0 offset:4 ; 4-byte Folded Spill
	buffer_store_dword v71, off, s[20:23], 0 offset:8 ; 4-byte Folded Spill
	;; [unrolled: 1-line block ×3, first 2 shown]
	ds_read2_b64 v[99:102], v125 offset0:48 offset1:49
	s_waitcnt lgkmcnt(0)
	v_mul_f64 v[103:104], v[101:102], v[89:90]
	v_fma_f64 v[103:104], v[99:100], v[97:98], -v[103:104]
	v_mul_f64 v[99:100], v[99:100], v[89:90]
	v_add_f64 v[65:66], v[65:66], -v[103:104]
	v_fma_f64 v[99:100], v[101:102], v[97:98], v[99:100]
	v_add_f64 v[67:68], v[67:68], -v[99:100]
	ds_read2_b64 v[99:102], v125 offset0:50 offset1:51
	s_waitcnt lgkmcnt(0)
	v_mul_f64 v[103:104], v[101:102], v[89:90]
	v_fma_f64 v[103:104], v[99:100], v[97:98], -v[103:104]
	v_mul_f64 v[99:100], v[99:100], v[89:90]
	v_add_f64 v[61:62], v[61:62], -v[103:104]
	v_fma_f64 v[99:100], v[101:102], v[97:98], v[99:100]
	v_add_f64 v[63:64], v[63:64], -v[99:100]
	;; [unrolled: 8-line block ×17, first 2 shown]
	ds_read2_b64 v[99:102], v125 offset0:82 offset1:83
	s_waitcnt lgkmcnt(0)
	v_mul_f64 v[103:104], v[101:102], v[89:90]
	v_fma_f64 v[103:104], v[99:100], v[97:98], -v[103:104]
	v_mul_f64 v[99:100], v[99:100], v[89:90]
	buffer_store_dword v87, off, s[20:23], 0 offset:64 ; 4-byte Folded Spill
	s_nop 0
	buffer_store_dword v88, off, s[20:23], 0 offset:68 ; 4-byte Folded Spill
	buffer_store_dword v89, off, s[20:23], 0 offset:72 ; 4-byte Folded Spill
	;; [unrolled: 1-line block ×3, first 2 shown]
	v_add_f64 v[121:122], v[121:122], -v[103:104]
	v_fma_f64 v[99:100], v[101:102], v[97:98], v[99:100]
	v_add_f64 v[123:124], v[123:124], -v[99:100]
.LBB83_145:
	s_or_b64 exec, exec, s[2:3]
	v_cmp_eq_u32_e32 vcc, 16, v0
	s_waitcnt vmcnt(0)
	s_barrier
	s_and_saveexec_b64 s[4:5], vcc
	s_cbranch_execz .LBB83_152
; %bb.146:
	ds_write2_b64 v127, v[117:118], v[119:120] offset1:1
	ds_write2_b64 v125, v[113:114], v[115:116] offset0:34 offset1:35
	buffer_load_dword v81, off, s[20:23], 0 offset:48 ; 4-byte Folded Reload
	buffer_load_dword v82, off, s[20:23], 0 offset:52 ; 4-byte Folded Reload
	;; [unrolled: 1-line block ×4, first 2 shown]
	s_waitcnt vmcnt(0)
	ds_write2_b64 v125, v[81:82], v[83:84] offset0:36 offset1:37
	ds_write2_b64 v125, v[77:78], v[79:80] offset0:38 offset1:39
	;; [unrolled: 1-line block ×3, first 2 shown]
	buffer_load_dword v85, off, s[20:23], 0 offset:32 ; 4-byte Folded Reload
	buffer_load_dword v86, off, s[20:23], 0 offset:36 ; 4-byte Folded Reload
	;; [unrolled: 1-line block ×4, first 2 shown]
	s_waitcnt vmcnt(0)
	ds_write2_b64 v125, v[85:86], v[87:88] offset0:42 offset1:43
	buffer_load_dword v73, off, s[20:23], 0 offset:16 ; 4-byte Folded Reload
	buffer_load_dword v74, off, s[20:23], 0 offset:20 ; 4-byte Folded Reload
	;; [unrolled: 1-line block ×4, first 2 shown]
	s_waitcnt vmcnt(0)
	ds_write2_b64 v125, v[73:74], v[75:76] offset0:44 offset1:45
	buffer_load_dword v69, off, s[20:23], 0 ; 4-byte Folded Reload
	buffer_load_dword v70, off, s[20:23], 0 offset:4 ; 4-byte Folded Reload
	buffer_load_dword v71, off, s[20:23], 0 offset:8 ; 4-byte Folded Reload
	;; [unrolled: 1-line block ×3, first 2 shown]
	s_waitcnt vmcnt(0)
	ds_write2_b64 v125, v[69:70], v[71:72] offset0:46 offset1:47
	ds_write2_b64 v125, v[65:66], v[67:68] offset0:48 offset1:49
	;; [unrolled: 1-line block ×19, first 2 shown]
	ds_read2_b64 v[97:100], v127 offset1:1
	s_waitcnt lgkmcnt(0)
	v_cmp_neq_f64_e32 vcc, 0, v[97:98]
	v_cmp_neq_f64_e64 s[2:3], 0, v[99:100]
	s_or_b64 s[2:3], vcc, s[2:3]
	s_and_b64 exec, exec, s[2:3]
	s_cbranch_execz .LBB83_152
; %bb.147:
	v_cmp_ngt_f64_e64 s[2:3], |v[97:98]|, |v[99:100]|
                                        ; implicit-def: $vgpr101_vgpr102
	s_and_saveexec_b64 s[6:7], s[2:3]
	s_xor_b64 s[2:3], exec, s[6:7]
                                        ; implicit-def: $vgpr103_vgpr104
	s_cbranch_execz .LBB83_149
; %bb.148:
	v_div_scale_f64 v[101:102], s[6:7], v[99:100], v[99:100], v[97:98]
	v_rcp_f64_e32 v[103:104], v[101:102]
	v_fma_f64 v[105:106], -v[101:102], v[103:104], 1.0
	v_fma_f64 v[103:104], v[103:104], v[105:106], v[103:104]
	v_div_scale_f64 v[105:106], vcc, v[97:98], v[99:100], v[97:98]
	v_fma_f64 v[107:108], -v[101:102], v[103:104], 1.0
	v_fma_f64 v[103:104], v[103:104], v[107:108], v[103:104]
	v_mul_f64 v[107:108], v[105:106], v[103:104]
	v_fma_f64 v[101:102], -v[101:102], v[107:108], v[105:106]
	v_div_fmas_f64 v[101:102], v[101:102], v[103:104], v[107:108]
	v_div_fixup_f64 v[101:102], v[101:102], v[99:100], v[97:98]
	v_fma_f64 v[97:98], v[97:98], v[101:102], v[99:100]
	v_div_scale_f64 v[99:100], s[6:7], v[97:98], v[97:98], 1.0
	v_div_scale_f64 v[107:108], vcc, 1.0, v[97:98], 1.0
	v_rcp_f64_e32 v[103:104], v[99:100]
	v_fma_f64 v[105:106], -v[99:100], v[103:104], 1.0
	v_fma_f64 v[103:104], v[103:104], v[105:106], v[103:104]
	v_fma_f64 v[105:106], -v[99:100], v[103:104], 1.0
	v_fma_f64 v[103:104], v[103:104], v[105:106], v[103:104]
	v_mul_f64 v[105:106], v[107:108], v[103:104]
	v_fma_f64 v[99:100], -v[99:100], v[105:106], v[107:108]
	v_div_fmas_f64 v[99:100], v[99:100], v[103:104], v[105:106]
	v_div_fixup_f64 v[103:104], v[99:100], v[97:98], 1.0
                                        ; implicit-def: $vgpr97_vgpr98
	v_mul_f64 v[101:102], v[101:102], v[103:104]
	v_xor_b32_e32 v104, 0x80000000, v104
.LBB83_149:
	s_andn2_saveexec_b64 s[2:3], s[2:3]
	s_cbranch_execz .LBB83_151
; %bb.150:
	v_div_scale_f64 v[101:102], s[6:7], v[97:98], v[97:98], v[99:100]
	v_rcp_f64_e32 v[103:104], v[101:102]
	v_fma_f64 v[105:106], -v[101:102], v[103:104], 1.0
	v_fma_f64 v[103:104], v[103:104], v[105:106], v[103:104]
	v_div_scale_f64 v[105:106], vcc, v[99:100], v[97:98], v[99:100]
	v_fma_f64 v[107:108], -v[101:102], v[103:104], 1.0
	v_fma_f64 v[103:104], v[103:104], v[107:108], v[103:104]
	v_mul_f64 v[107:108], v[105:106], v[103:104]
	v_fma_f64 v[101:102], -v[101:102], v[107:108], v[105:106]
	v_div_fmas_f64 v[101:102], v[101:102], v[103:104], v[107:108]
	v_div_fixup_f64 v[103:104], v[101:102], v[97:98], v[99:100]
	v_fma_f64 v[97:98], v[99:100], v[103:104], v[97:98]
	v_div_scale_f64 v[99:100], s[6:7], v[97:98], v[97:98], 1.0
	v_div_scale_f64 v[107:108], vcc, 1.0, v[97:98], 1.0
	v_rcp_f64_e32 v[101:102], v[99:100]
	v_fma_f64 v[105:106], -v[99:100], v[101:102], 1.0
	v_fma_f64 v[101:102], v[101:102], v[105:106], v[101:102]
	v_fma_f64 v[105:106], -v[99:100], v[101:102], 1.0
	v_fma_f64 v[101:102], v[101:102], v[105:106], v[101:102]
	v_mul_f64 v[105:106], v[107:108], v[101:102]
	v_fma_f64 v[99:100], -v[99:100], v[105:106], v[107:108]
	v_div_fmas_f64 v[99:100], v[99:100], v[101:102], v[105:106]
	v_div_fixup_f64 v[101:102], v[99:100], v[97:98], 1.0
	v_mul_f64 v[103:104], v[103:104], -v[101:102]
.LBB83_151:
	s_or_b64 exec, exec, s[2:3]
	ds_write2_b64 v127, v[101:102], v[103:104] offset1:1
.LBB83_152:
	s_or_b64 exec, exec, s[4:5]
	s_waitcnt lgkmcnt(0)
	s_barrier
	ds_read2_b64 v[81:84], v127 offset1:1
	v_cmp_lt_u32_e32 vcc, 16, v0
	s_waitcnt lgkmcnt(0)
	buffer_store_dword v81, off, s[20:23], 0 offset:936 ; 4-byte Folded Spill
	s_nop 0
	buffer_store_dword v82, off, s[20:23], 0 offset:940 ; 4-byte Folded Spill
	buffer_store_dword v83, off, s[20:23], 0 offset:944 ; 4-byte Folded Spill
	;; [unrolled: 1-line block ×3, first 2 shown]
	s_and_saveexec_b64 s[2:3], vcc
	s_cbranch_execz .LBB83_154
; %bb.153:
	buffer_load_dword v81, off, s[20:23], 0 offset:936 ; 4-byte Folded Reload
	buffer_load_dword v82, off, s[20:23], 0 offset:940 ; 4-byte Folded Reload
	buffer_load_dword v83, off, s[20:23], 0 offset:944 ; 4-byte Folded Reload
	buffer_load_dword v84, off, s[20:23], 0 offset:948 ; 4-byte Folded Reload
	s_waitcnt vmcnt(2)
	v_mul_f64 v[99:100], v[81:82], v[119:120]
	s_waitcnt vmcnt(0)
	v_mul_f64 v[97:98], v[83:84], v[119:120]
	v_fma_f64 v[119:120], v[83:84], v[117:118], v[99:100]
	ds_read2_b64 v[99:102], v125 offset0:34 offset1:35
	v_fma_f64 v[97:98], v[81:82], v[117:118], -v[97:98]
	s_waitcnt lgkmcnt(0)
	v_mul_f64 v[103:104], v[101:102], v[119:120]
	v_mov_b32_e32 v118, v98
	v_mov_b32_e32 v117, v97
	v_fma_f64 v[103:104], v[99:100], v[97:98], -v[103:104]
	v_mul_f64 v[99:100], v[99:100], v[119:120]
	v_add_f64 v[113:114], v[113:114], -v[103:104]
	v_fma_f64 v[99:100], v[101:102], v[97:98], v[99:100]
	v_add_f64 v[115:116], v[115:116], -v[99:100]
	ds_read2_b64 v[99:102], v125 offset0:36 offset1:37
	buffer_load_dword v81, off, s[20:23], 0 offset:48 ; 4-byte Folded Reload
	buffer_load_dword v82, off, s[20:23], 0 offset:52 ; 4-byte Folded Reload
	;; [unrolled: 1-line block ×4, first 2 shown]
	s_waitcnt lgkmcnt(0)
	v_mul_f64 v[103:104], v[101:102], v[119:120]
	v_fma_f64 v[103:104], v[99:100], v[97:98], -v[103:104]
	v_mul_f64 v[99:100], v[99:100], v[119:120]
	v_fma_f64 v[99:100], v[101:102], v[97:98], v[99:100]
	s_waitcnt vmcnt(2)
	v_add_f64 v[81:82], v[81:82], -v[103:104]
	s_waitcnt vmcnt(0)
	v_add_f64 v[83:84], v[83:84], -v[99:100]
	buffer_store_dword v81, off, s[20:23], 0 offset:48 ; 4-byte Folded Spill
	s_nop 0
	buffer_store_dword v82, off, s[20:23], 0 offset:52 ; 4-byte Folded Spill
	buffer_store_dword v83, off, s[20:23], 0 offset:56 ; 4-byte Folded Spill
	;; [unrolled: 1-line block ×3, first 2 shown]
	ds_read2_b64 v[99:102], v125 offset0:38 offset1:39
	s_waitcnt lgkmcnt(0)
	v_mul_f64 v[103:104], v[101:102], v[119:120]
	v_fma_f64 v[103:104], v[99:100], v[97:98], -v[103:104]
	v_mul_f64 v[99:100], v[99:100], v[119:120]
	v_add_f64 v[77:78], v[77:78], -v[103:104]
	v_fma_f64 v[99:100], v[101:102], v[97:98], v[99:100]
	v_add_f64 v[79:80], v[79:80], -v[99:100]
	ds_read2_b64 v[99:102], v125 offset0:40 offset1:41
	s_waitcnt lgkmcnt(0)
	v_mul_f64 v[103:104], v[101:102], v[119:120]
	v_fma_f64 v[103:104], v[99:100], v[97:98], -v[103:104]
	v_mul_f64 v[99:100], v[99:100], v[119:120]
	v_add_f64 v[93:94], v[93:94], -v[103:104]
	v_fma_f64 v[99:100], v[101:102], v[97:98], v[99:100]
	v_add_f64 v[95:96], v[95:96], -v[99:100]
	ds_read2_b64 v[99:102], v125 offset0:42 offset1:43
	buffer_load_dword v85, off, s[20:23], 0 offset:32 ; 4-byte Folded Reload
	buffer_load_dword v86, off, s[20:23], 0 offset:36 ; 4-byte Folded Reload
	;; [unrolled: 1-line block ×4, first 2 shown]
	s_waitcnt lgkmcnt(0)
	v_mul_f64 v[103:104], v[101:102], v[119:120]
	v_fma_f64 v[103:104], v[99:100], v[97:98], -v[103:104]
	v_mul_f64 v[99:100], v[99:100], v[119:120]
	v_fma_f64 v[99:100], v[101:102], v[97:98], v[99:100]
	s_waitcnt vmcnt(2)
	v_add_f64 v[85:86], v[85:86], -v[103:104]
	s_waitcnt vmcnt(0)
	v_add_f64 v[87:88], v[87:88], -v[99:100]
	buffer_store_dword v85, off, s[20:23], 0 offset:32 ; 4-byte Folded Spill
	s_nop 0
	buffer_store_dword v86, off, s[20:23], 0 offset:36 ; 4-byte Folded Spill
	buffer_store_dword v87, off, s[20:23], 0 offset:40 ; 4-byte Folded Spill
	;; [unrolled: 1-line block ×3, first 2 shown]
	ds_read2_b64 v[99:102], v125 offset0:44 offset1:45
	buffer_load_dword v73, off, s[20:23], 0 offset:16 ; 4-byte Folded Reload
	buffer_load_dword v74, off, s[20:23], 0 offset:20 ; 4-byte Folded Reload
	;; [unrolled: 1-line block ×4, first 2 shown]
	s_waitcnt lgkmcnt(0)
	v_mul_f64 v[103:104], v[101:102], v[119:120]
	v_fma_f64 v[103:104], v[99:100], v[97:98], -v[103:104]
	v_mul_f64 v[99:100], v[99:100], v[119:120]
	v_fma_f64 v[99:100], v[101:102], v[97:98], v[99:100]
	s_waitcnt vmcnt(2)
	v_add_f64 v[73:74], v[73:74], -v[103:104]
	s_waitcnt vmcnt(0)
	v_add_f64 v[75:76], v[75:76], -v[99:100]
	buffer_store_dword v73, off, s[20:23], 0 offset:16 ; 4-byte Folded Spill
	s_nop 0
	buffer_store_dword v74, off, s[20:23], 0 offset:20 ; 4-byte Folded Spill
	buffer_store_dword v75, off, s[20:23], 0 offset:24 ; 4-byte Folded Spill
	;; [unrolled: 1-line block ×3, first 2 shown]
	ds_read2_b64 v[99:102], v125 offset0:46 offset1:47
	buffer_load_dword v69, off, s[20:23], 0 ; 4-byte Folded Reload
	buffer_load_dword v70, off, s[20:23], 0 offset:4 ; 4-byte Folded Reload
	buffer_load_dword v71, off, s[20:23], 0 offset:8 ; 4-byte Folded Reload
	;; [unrolled: 1-line block ×3, first 2 shown]
	s_waitcnt lgkmcnt(0)
	v_mul_f64 v[103:104], v[101:102], v[119:120]
	v_fma_f64 v[103:104], v[99:100], v[97:98], -v[103:104]
	v_mul_f64 v[99:100], v[99:100], v[119:120]
	v_fma_f64 v[99:100], v[101:102], v[97:98], v[99:100]
	s_waitcnt vmcnt(2)
	v_add_f64 v[69:70], v[69:70], -v[103:104]
	s_waitcnt vmcnt(0)
	v_add_f64 v[71:72], v[71:72], -v[99:100]
	buffer_store_dword v69, off, s[20:23], 0 ; 4-byte Folded Spill
	s_nop 0
	buffer_store_dword v70, off, s[20:23], 0 offset:4 ; 4-byte Folded Spill
	buffer_store_dword v71, off, s[20:23], 0 offset:8 ; 4-byte Folded Spill
	;; [unrolled: 1-line block ×3, first 2 shown]
	ds_read2_b64 v[99:102], v125 offset0:48 offset1:49
	s_waitcnt lgkmcnt(0)
	v_mul_f64 v[103:104], v[101:102], v[119:120]
	v_fma_f64 v[103:104], v[99:100], v[97:98], -v[103:104]
	v_mul_f64 v[99:100], v[99:100], v[119:120]
	v_add_f64 v[65:66], v[65:66], -v[103:104]
	v_fma_f64 v[99:100], v[101:102], v[97:98], v[99:100]
	v_add_f64 v[67:68], v[67:68], -v[99:100]
	ds_read2_b64 v[99:102], v125 offset0:50 offset1:51
	s_waitcnt lgkmcnt(0)
	v_mul_f64 v[103:104], v[101:102], v[119:120]
	v_fma_f64 v[103:104], v[99:100], v[97:98], -v[103:104]
	v_mul_f64 v[99:100], v[99:100], v[119:120]
	v_add_f64 v[61:62], v[61:62], -v[103:104]
	v_fma_f64 v[99:100], v[101:102], v[97:98], v[99:100]
	v_add_f64 v[63:64], v[63:64], -v[99:100]
	;; [unrolled: 8-line block ×18, first 2 shown]
.LBB83_154:
	s_or_b64 exec, exec, s[2:3]
	v_cmp_eq_u32_e32 vcc, 17, v0
	s_waitcnt vmcnt(0)
	s_barrier
	s_and_saveexec_b64 s[4:5], vcc
	s_cbranch_execz .LBB83_161
; %bb.155:
	ds_write2_b64 v127, v[113:114], v[115:116] offset1:1
	buffer_load_dword v81, off, s[20:23], 0 offset:48 ; 4-byte Folded Reload
	buffer_load_dword v82, off, s[20:23], 0 offset:52 ; 4-byte Folded Reload
	buffer_load_dword v83, off, s[20:23], 0 offset:56 ; 4-byte Folded Reload
	buffer_load_dword v84, off, s[20:23], 0 offset:60 ; 4-byte Folded Reload
	s_waitcnt vmcnt(0)
	ds_write2_b64 v125, v[81:82], v[83:84] offset0:36 offset1:37
	ds_write2_b64 v125, v[77:78], v[79:80] offset0:38 offset1:39
	;; [unrolled: 1-line block ×3, first 2 shown]
	buffer_load_dword v85, off, s[20:23], 0 offset:32 ; 4-byte Folded Reload
	buffer_load_dword v86, off, s[20:23], 0 offset:36 ; 4-byte Folded Reload
	;; [unrolled: 1-line block ×4, first 2 shown]
	s_waitcnt vmcnt(0)
	ds_write2_b64 v125, v[85:86], v[87:88] offset0:42 offset1:43
	buffer_load_dword v73, off, s[20:23], 0 offset:16 ; 4-byte Folded Reload
	buffer_load_dword v74, off, s[20:23], 0 offset:20 ; 4-byte Folded Reload
	;; [unrolled: 1-line block ×4, first 2 shown]
	s_waitcnt vmcnt(0)
	ds_write2_b64 v125, v[73:74], v[75:76] offset0:44 offset1:45
	buffer_load_dword v69, off, s[20:23], 0 ; 4-byte Folded Reload
	buffer_load_dword v70, off, s[20:23], 0 offset:4 ; 4-byte Folded Reload
	buffer_load_dword v71, off, s[20:23], 0 offset:8 ; 4-byte Folded Reload
	;; [unrolled: 1-line block ×3, first 2 shown]
	s_waitcnt vmcnt(0)
	ds_write2_b64 v125, v[69:70], v[71:72] offset0:46 offset1:47
	ds_write2_b64 v125, v[65:66], v[67:68] offset0:48 offset1:49
	;; [unrolled: 1-line block ×19, first 2 shown]
	ds_read2_b64 v[97:100], v127 offset1:1
	s_waitcnt lgkmcnt(0)
	v_cmp_neq_f64_e32 vcc, 0, v[97:98]
	v_cmp_neq_f64_e64 s[2:3], 0, v[99:100]
	s_or_b64 s[2:3], vcc, s[2:3]
	s_and_b64 exec, exec, s[2:3]
	s_cbranch_execz .LBB83_161
; %bb.156:
	v_cmp_ngt_f64_e64 s[2:3], |v[97:98]|, |v[99:100]|
                                        ; implicit-def: $vgpr101_vgpr102
	s_and_saveexec_b64 s[6:7], s[2:3]
	s_xor_b64 s[2:3], exec, s[6:7]
                                        ; implicit-def: $vgpr103_vgpr104
	s_cbranch_execz .LBB83_158
; %bb.157:
	v_div_scale_f64 v[101:102], s[6:7], v[99:100], v[99:100], v[97:98]
	v_rcp_f64_e32 v[103:104], v[101:102]
	v_fma_f64 v[105:106], -v[101:102], v[103:104], 1.0
	v_fma_f64 v[103:104], v[103:104], v[105:106], v[103:104]
	v_div_scale_f64 v[105:106], vcc, v[97:98], v[99:100], v[97:98]
	v_fma_f64 v[107:108], -v[101:102], v[103:104], 1.0
	v_fma_f64 v[103:104], v[103:104], v[107:108], v[103:104]
	v_mul_f64 v[107:108], v[105:106], v[103:104]
	v_fma_f64 v[101:102], -v[101:102], v[107:108], v[105:106]
	v_div_fmas_f64 v[101:102], v[101:102], v[103:104], v[107:108]
	v_div_fixup_f64 v[101:102], v[101:102], v[99:100], v[97:98]
	v_fma_f64 v[97:98], v[97:98], v[101:102], v[99:100]
	v_div_scale_f64 v[99:100], s[6:7], v[97:98], v[97:98], 1.0
	v_div_scale_f64 v[107:108], vcc, 1.0, v[97:98], 1.0
	v_rcp_f64_e32 v[103:104], v[99:100]
	v_fma_f64 v[105:106], -v[99:100], v[103:104], 1.0
	v_fma_f64 v[103:104], v[103:104], v[105:106], v[103:104]
	v_fma_f64 v[105:106], -v[99:100], v[103:104], 1.0
	v_fma_f64 v[103:104], v[103:104], v[105:106], v[103:104]
	v_mul_f64 v[105:106], v[107:108], v[103:104]
	v_fma_f64 v[99:100], -v[99:100], v[105:106], v[107:108]
	v_div_fmas_f64 v[99:100], v[99:100], v[103:104], v[105:106]
	v_div_fixup_f64 v[103:104], v[99:100], v[97:98], 1.0
                                        ; implicit-def: $vgpr97_vgpr98
	v_mul_f64 v[101:102], v[101:102], v[103:104]
	v_xor_b32_e32 v104, 0x80000000, v104
.LBB83_158:
	s_andn2_saveexec_b64 s[2:3], s[2:3]
	s_cbranch_execz .LBB83_160
; %bb.159:
	v_div_scale_f64 v[101:102], s[6:7], v[97:98], v[97:98], v[99:100]
	v_rcp_f64_e32 v[103:104], v[101:102]
	v_fma_f64 v[105:106], -v[101:102], v[103:104], 1.0
	v_fma_f64 v[103:104], v[103:104], v[105:106], v[103:104]
	v_div_scale_f64 v[105:106], vcc, v[99:100], v[97:98], v[99:100]
	v_fma_f64 v[107:108], -v[101:102], v[103:104], 1.0
	v_fma_f64 v[103:104], v[103:104], v[107:108], v[103:104]
	v_mul_f64 v[107:108], v[105:106], v[103:104]
	v_fma_f64 v[101:102], -v[101:102], v[107:108], v[105:106]
	v_div_fmas_f64 v[101:102], v[101:102], v[103:104], v[107:108]
	v_div_fixup_f64 v[103:104], v[101:102], v[97:98], v[99:100]
	v_fma_f64 v[97:98], v[99:100], v[103:104], v[97:98]
	v_div_scale_f64 v[99:100], s[6:7], v[97:98], v[97:98], 1.0
	v_div_scale_f64 v[107:108], vcc, 1.0, v[97:98], 1.0
	v_rcp_f64_e32 v[101:102], v[99:100]
	v_fma_f64 v[105:106], -v[99:100], v[101:102], 1.0
	v_fma_f64 v[101:102], v[101:102], v[105:106], v[101:102]
	v_fma_f64 v[105:106], -v[99:100], v[101:102], 1.0
	v_fma_f64 v[101:102], v[101:102], v[105:106], v[101:102]
	v_mul_f64 v[105:106], v[107:108], v[101:102]
	v_fma_f64 v[99:100], -v[99:100], v[105:106], v[107:108]
	v_div_fmas_f64 v[99:100], v[99:100], v[101:102], v[105:106]
	v_div_fixup_f64 v[101:102], v[99:100], v[97:98], 1.0
	v_mul_f64 v[103:104], v[103:104], -v[101:102]
.LBB83_160:
	s_or_b64 exec, exec, s[2:3]
	ds_write2_b64 v127, v[101:102], v[103:104] offset1:1
.LBB83_161:
	s_or_b64 exec, exec, s[4:5]
	s_waitcnt lgkmcnt(0)
	s_barrier
	ds_read2_b64 v[81:84], v127 offset1:1
	v_cmp_lt_u32_e32 vcc, 17, v0
	s_waitcnt lgkmcnt(0)
	buffer_store_dword v81, off, s[20:23], 0 offset:952 ; 4-byte Folded Spill
	s_nop 0
	buffer_store_dword v82, off, s[20:23], 0 offset:956 ; 4-byte Folded Spill
	buffer_store_dword v83, off, s[20:23], 0 offset:960 ; 4-byte Folded Spill
	;; [unrolled: 1-line block ×3, first 2 shown]
	s_and_saveexec_b64 s[2:3], vcc
	s_cbranch_execz .LBB83_163
; %bb.162:
	buffer_load_dword v81, off, s[20:23], 0 offset:952 ; 4-byte Folded Reload
	buffer_load_dword v82, off, s[20:23], 0 offset:956 ; 4-byte Folded Reload
	;; [unrolled: 1-line block ×4, first 2 shown]
	v_mov_b32_e32 v106, v96
	v_mov_b32_e32 v105, v95
	;; [unrolled: 1-line block ×4, first 2 shown]
	ds_read2_b64 v[99:102], v125 offset0:36 offset1:37
	s_waitcnt vmcnt(2)
	v_mul_f64 v[95:96], v[81:82], v[115:116]
	s_waitcnt vmcnt(0)
	v_mul_f64 v[97:98], v[83:84], v[115:116]
	v_fma_f64 v[115:116], v[83:84], v[113:114], v[95:96]
	v_fma_f64 v[97:98], v[81:82], v[113:114], -v[97:98]
	buffer_load_dword v81, off, s[20:23], 0 offset:48 ; 4-byte Folded Reload
	buffer_load_dword v82, off, s[20:23], 0 offset:52 ; 4-byte Folded Reload
	;; [unrolled: 1-line block ×4, first 2 shown]
	s_waitcnt lgkmcnt(0)
	v_mul_f64 v[93:94], v[101:102], v[115:116]
	v_mov_b32_e32 v114, v98
	v_mov_b32_e32 v113, v97
	v_fma_f64 v[93:94], v[99:100], v[97:98], -v[93:94]
	v_mul_f64 v[99:100], v[99:100], v[115:116]
	v_fma_f64 v[99:100], v[101:102], v[97:98], v[99:100]
	s_waitcnt vmcnt(2)
	v_add_f64 v[81:82], v[81:82], -v[93:94]
	s_waitcnt vmcnt(0)
	v_add_f64 v[83:84], v[83:84], -v[99:100]
	buffer_store_dword v81, off, s[20:23], 0 offset:48 ; 4-byte Folded Spill
	s_nop 0
	buffer_store_dword v82, off, s[20:23], 0 offset:52 ; 4-byte Folded Spill
	buffer_store_dword v83, off, s[20:23], 0 offset:56 ; 4-byte Folded Spill
	;; [unrolled: 1-line block ×3, first 2 shown]
	ds_read2_b64 v[99:102], v125 offset0:38 offset1:39
	s_waitcnt lgkmcnt(0)
	v_mul_f64 v[93:94], v[101:102], v[115:116]
	v_fma_f64 v[93:94], v[99:100], v[97:98], -v[93:94]
	v_mul_f64 v[99:100], v[99:100], v[115:116]
	v_add_f64 v[77:78], v[77:78], -v[93:94]
	v_fma_f64 v[99:100], v[101:102], v[97:98], v[99:100]
	v_add_f64 v[79:80], v[79:80], -v[99:100]
	ds_read2_b64 v[99:102], v125 offset0:40 offset1:41
	s_waitcnt lgkmcnt(0)
	v_mul_f64 v[93:94], v[101:102], v[115:116]
	v_fma_f64 v[93:94], v[99:100], v[97:98], -v[93:94]
	v_mul_f64 v[99:100], v[99:100], v[115:116]
	v_add_f64 v[103:104], v[103:104], -v[93:94]
	v_fma_f64 v[99:100], v[101:102], v[97:98], v[99:100]
	v_add_f64 v[105:106], v[105:106], -v[99:100]
	ds_read2_b64 v[99:102], v125 offset0:42 offset1:43
	buffer_load_dword v85, off, s[20:23], 0 offset:32 ; 4-byte Folded Reload
	buffer_load_dword v86, off, s[20:23], 0 offset:36 ; 4-byte Folded Reload
	;; [unrolled: 1-line block ×4, first 2 shown]
	s_waitcnt lgkmcnt(0)
	v_mul_f64 v[93:94], v[101:102], v[115:116]
	v_fma_f64 v[93:94], v[99:100], v[97:98], -v[93:94]
	v_mul_f64 v[99:100], v[99:100], v[115:116]
	v_fma_f64 v[99:100], v[101:102], v[97:98], v[99:100]
	s_waitcnt vmcnt(2)
	v_add_f64 v[85:86], v[85:86], -v[93:94]
	s_waitcnt vmcnt(0)
	v_add_f64 v[87:88], v[87:88], -v[99:100]
	buffer_store_dword v85, off, s[20:23], 0 offset:32 ; 4-byte Folded Spill
	s_nop 0
	buffer_store_dword v86, off, s[20:23], 0 offset:36 ; 4-byte Folded Spill
	buffer_store_dword v87, off, s[20:23], 0 offset:40 ; 4-byte Folded Spill
	;; [unrolled: 1-line block ×3, first 2 shown]
	ds_read2_b64 v[99:102], v125 offset0:44 offset1:45
	buffer_load_dword v73, off, s[20:23], 0 offset:16 ; 4-byte Folded Reload
	buffer_load_dword v74, off, s[20:23], 0 offset:20 ; 4-byte Folded Reload
	;; [unrolled: 1-line block ×4, first 2 shown]
	s_waitcnt lgkmcnt(0)
	v_mul_f64 v[93:94], v[101:102], v[115:116]
	v_fma_f64 v[93:94], v[99:100], v[97:98], -v[93:94]
	v_mul_f64 v[99:100], v[99:100], v[115:116]
	v_fma_f64 v[99:100], v[101:102], v[97:98], v[99:100]
	s_waitcnt vmcnt(2)
	v_add_f64 v[73:74], v[73:74], -v[93:94]
	s_waitcnt vmcnt(0)
	v_add_f64 v[75:76], v[75:76], -v[99:100]
	buffer_store_dword v73, off, s[20:23], 0 offset:16 ; 4-byte Folded Spill
	s_nop 0
	buffer_store_dword v74, off, s[20:23], 0 offset:20 ; 4-byte Folded Spill
	buffer_store_dword v75, off, s[20:23], 0 offset:24 ; 4-byte Folded Spill
	;; [unrolled: 1-line block ×3, first 2 shown]
	ds_read2_b64 v[99:102], v125 offset0:46 offset1:47
	buffer_load_dword v69, off, s[20:23], 0 ; 4-byte Folded Reload
	buffer_load_dword v70, off, s[20:23], 0 offset:4 ; 4-byte Folded Reload
	buffer_load_dword v71, off, s[20:23], 0 offset:8 ; 4-byte Folded Reload
	;; [unrolled: 1-line block ×3, first 2 shown]
	s_waitcnt lgkmcnt(0)
	v_mul_f64 v[93:94], v[101:102], v[115:116]
	v_fma_f64 v[93:94], v[99:100], v[97:98], -v[93:94]
	v_mul_f64 v[99:100], v[99:100], v[115:116]
	v_fma_f64 v[99:100], v[101:102], v[97:98], v[99:100]
	s_waitcnt vmcnt(2)
	v_add_f64 v[69:70], v[69:70], -v[93:94]
	s_waitcnt vmcnt(0)
	v_add_f64 v[71:72], v[71:72], -v[99:100]
	buffer_store_dword v69, off, s[20:23], 0 ; 4-byte Folded Spill
	s_nop 0
	buffer_store_dword v70, off, s[20:23], 0 offset:4 ; 4-byte Folded Spill
	buffer_store_dword v71, off, s[20:23], 0 offset:8 ; 4-byte Folded Spill
	;; [unrolled: 1-line block ×3, first 2 shown]
	ds_read2_b64 v[99:102], v125 offset0:48 offset1:49
	s_waitcnt lgkmcnt(0)
	v_mul_f64 v[93:94], v[101:102], v[115:116]
	v_fma_f64 v[93:94], v[99:100], v[97:98], -v[93:94]
	v_mul_f64 v[99:100], v[99:100], v[115:116]
	v_add_f64 v[65:66], v[65:66], -v[93:94]
	v_fma_f64 v[99:100], v[101:102], v[97:98], v[99:100]
	v_add_f64 v[67:68], v[67:68], -v[99:100]
	ds_read2_b64 v[99:102], v125 offset0:50 offset1:51
	s_waitcnt lgkmcnt(0)
	v_mul_f64 v[93:94], v[101:102], v[115:116]
	v_fma_f64 v[93:94], v[99:100], v[97:98], -v[93:94]
	v_mul_f64 v[99:100], v[99:100], v[115:116]
	v_add_f64 v[61:62], v[61:62], -v[93:94]
	v_fma_f64 v[99:100], v[101:102], v[97:98], v[99:100]
	v_add_f64 v[63:64], v[63:64], -v[99:100]
	ds_read2_b64 v[99:102], v125 offset0:52 offset1:53
	s_waitcnt lgkmcnt(0)
	v_mul_f64 v[93:94], v[101:102], v[115:116]
	v_fma_f64 v[93:94], v[99:100], v[97:98], -v[93:94]
	v_mul_f64 v[99:100], v[99:100], v[115:116]
	v_add_f64 v[57:58], v[57:58], -v[93:94]
	v_fma_f64 v[99:100], v[101:102], v[97:98], v[99:100]
	v_add_f64 v[59:60], v[59:60], -v[99:100]
	ds_read2_b64 v[99:102], v125 offset0:54 offset1:55
	s_waitcnt lgkmcnt(0)
	v_mul_f64 v[93:94], v[101:102], v[115:116]
	v_fma_f64 v[93:94], v[99:100], v[97:98], -v[93:94]
	v_mul_f64 v[99:100], v[99:100], v[115:116]
	v_add_f64 v[53:54], v[53:54], -v[93:94]
	v_fma_f64 v[99:100], v[101:102], v[97:98], v[99:100]
	v_add_f64 v[55:56], v[55:56], -v[99:100]
	ds_read2_b64 v[99:102], v125 offset0:56 offset1:57
	s_waitcnt lgkmcnt(0)
	v_mul_f64 v[93:94], v[101:102], v[115:116]
	v_fma_f64 v[93:94], v[99:100], v[97:98], -v[93:94]
	v_mul_f64 v[99:100], v[99:100], v[115:116]
	v_add_f64 v[49:50], v[49:50], -v[93:94]
	v_fma_f64 v[99:100], v[101:102], v[97:98], v[99:100]
	v_add_f64 v[51:52], v[51:52], -v[99:100]
	ds_read2_b64 v[99:102], v125 offset0:58 offset1:59
	s_waitcnt lgkmcnt(0)
	v_mul_f64 v[93:94], v[101:102], v[115:116]
	v_fma_f64 v[93:94], v[99:100], v[97:98], -v[93:94]
	v_mul_f64 v[99:100], v[99:100], v[115:116]
	v_add_f64 v[45:46], v[45:46], -v[93:94]
	v_fma_f64 v[99:100], v[101:102], v[97:98], v[99:100]
	v_add_f64 v[47:48], v[47:48], -v[99:100]
	ds_read2_b64 v[99:102], v125 offset0:60 offset1:61
	s_waitcnt lgkmcnt(0)
	v_mul_f64 v[93:94], v[101:102], v[115:116]
	v_fma_f64 v[93:94], v[99:100], v[97:98], -v[93:94]
	v_mul_f64 v[99:100], v[99:100], v[115:116]
	v_add_f64 v[41:42], v[41:42], -v[93:94]
	v_fma_f64 v[99:100], v[101:102], v[97:98], v[99:100]
	v_add_f64 v[43:44], v[43:44], -v[99:100]
	ds_read2_b64 v[99:102], v125 offset0:62 offset1:63
	s_waitcnt lgkmcnt(0)
	v_mul_f64 v[93:94], v[101:102], v[115:116]
	v_fma_f64 v[93:94], v[99:100], v[97:98], -v[93:94]
	v_mul_f64 v[99:100], v[99:100], v[115:116]
	v_add_f64 v[37:38], v[37:38], -v[93:94]
	v_fma_f64 v[99:100], v[101:102], v[97:98], v[99:100]
	v_add_f64 v[39:40], v[39:40], -v[99:100]
	ds_read2_b64 v[99:102], v125 offset0:64 offset1:65
	s_waitcnt lgkmcnt(0)
	v_mul_f64 v[93:94], v[101:102], v[115:116]
	v_fma_f64 v[93:94], v[99:100], v[97:98], -v[93:94]
	v_mul_f64 v[99:100], v[99:100], v[115:116]
	v_add_f64 v[33:34], v[33:34], -v[93:94]
	v_fma_f64 v[99:100], v[101:102], v[97:98], v[99:100]
	v_add_f64 v[35:36], v[35:36], -v[99:100]
	ds_read2_b64 v[99:102], v125 offset0:66 offset1:67
	s_waitcnt lgkmcnt(0)
	v_mul_f64 v[93:94], v[101:102], v[115:116]
	v_fma_f64 v[93:94], v[99:100], v[97:98], -v[93:94]
	v_mul_f64 v[99:100], v[99:100], v[115:116]
	v_add_f64 v[29:30], v[29:30], -v[93:94]
	v_fma_f64 v[99:100], v[101:102], v[97:98], v[99:100]
	v_add_f64 v[31:32], v[31:32], -v[99:100]
	ds_read2_b64 v[99:102], v125 offset0:68 offset1:69
	s_waitcnt lgkmcnt(0)
	v_mul_f64 v[93:94], v[101:102], v[115:116]
	v_fma_f64 v[93:94], v[99:100], v[97:98], -v[93:94]
	v_mul_f64 v[99:100], v[99:100], v[115:116]
	v_add_f64 v[25:26], v[25:26], -v[93:94]
	v_fma_f64 v[99:100], v[101:102], v[97:98], v[99:100]
	v_add_f64 v[27:28], v[27:28], -v[99:100]
	ds_read2_b64 v[99:102], v125 offset0:70 offset1:71
	s_waitcnt lgkmcnt(0)
	v_mul_f64 v[93:94], v[101:102], v[115:116]
	v_fma_f64 v[93:94], v[99:100], v[97:98], -v[93:94]
	v_mul_f64 v[99:100], v[99:100], v[115:116]
	v_add_f64 v[21:22], v[21:22], -v[93:94]
	v_fma_f64 v[99:100], v[101:102], v[97:98], v[99:100]
	v_add_f64 v[23:24], v[23:24], -v[99:100]
	ds_read2_b64 v[99:102], v125 offset0:72 offset1:73
	s_waitcnt lgkmcnt(0)
	v_mul_f64 v[93:94], v[101:102], v[115:116]
	v_fma_f64 v[93:94], v[99:100], v[97:98], -v[93:94]
	v_mul_f64 v[99:100], v[99:100], v[115:116]
	v_add_f64 v[17:18], v[17:18], -v[93:94]
	v_fma_f64 v[99:100], v[101:102], v[97:98], v[99:100]
	v_add_f64 v[19:20], v[19:20], -v[99:100]
	ds_read2_b64 v[99:102], v125 offset0:74 offset1:75
	s_waitcnt lgkmcnt(0)
	v_mul_f64 v[93:94], v[101:102], v[115:116]
	v_fma_f64 v[93:94], v[99:100], v[97:98], -v[93:94]
	v_mul_f64 v[99:100], v[99:100], v[115:116]
	v_add_f64 v[13:14], v[13:14], -v[93:94]
	v_fma_f64 v[99:100], v[101:102], v[97:98], v[99:100]
	v_add_f64 v[15:16], v[15:16], -v[99:100]
	ds_read2_b64 v[99:102], v125 offset0:76 offset1:77
	s_waitcnt lgkmcnt(0)
	v_mul_f64 v[93:94], v[101:102], v[115:116]
	v_fma_f64 v[93:94], v[99:100], v[97:98], -v[93:94]
	v_mul_f64 v[99:100], v[99:100], v[115:116]
	v_add_f64 v[9:10], v[9:10], -v[93:94]
	v_fma_f64 v[99:100], v[101:102], v[97:98], v[99:100]
	v_add_f64 v[11:12], v[11:12], -v[99:100]
	ds_read2_b64 v[99:102], v125 offset0:78 offset1:79
	s_waitcnt lgkmcnt(0)
	v_mul_f64 v[93:94], v[101:102], v[115:116]
	v_fma_f64 v[93:94], v[99:100], v[97:98], -v[93:94]
	v_mul_f64 v[99:100], v[99:100], v[115:116]
	v_add_f64 v[5:6], v[5:6], -v[93:94]
	v_fma_f64 v[99:100], v[101:102], v[97:98], v[99:100]
	v_add_f64 v[7:8], v[7:8], -v[99:100]
	ds_read2_b64 v[99:102], v125 offset0:80 offset1:81
	s_waitcnt lgkmcnt(0)
	v_mul_f64 v[93:94], v[101:102], v[115:116]
	v_fma_f64 v[93:94], v[99:100], v[97:98], -v[93:94]
	v_mul_f64 v[99:100], v[99:100], v[115:116]
	v_add_f64 v[1:2], v[1:2], -v[93:94]
	v_fma_f64 v[99:100], v[101:102], v[97:98], v[99:100]
	v_add_f64 v[3:4], v[3:4], -v[99:100]
	ds_read2_b64 v[99:102], v125 offset0:82 offset1:83
	s_waitcnt lgkmcnt(0)
	v_mul_f64 v[93:94], v[101:102], v[115:116]
	v_fma_f64 v[93:94], v[99:100], v[97:98], -v[93:94]
	v_mul_f64 v[99:100], v[99:100], v[115:116]
	v_add_f64 v[121:122], v[121:122], -v[93:94]
	v_fma_f64 v[99:100], v[101:102], v[97:98], v[99:100]
	v_mov_b32_e32 v93, v103
	v_mov_b32_e32 v94, v104
	;; [unrolled: 1-line block ×4, first 2 shown]
	v_add_f64 v[123:124], v[123:124], -v[99:100]
.LBB83_163:
	s_or_b64 exec, exec, s[2:3]
	v_cmp_eq_u32_e32 vcc, 18, v0
	s_waitcnt vmcnt(0)
	s_barrier
	s_and_saveexec_b64 s[4:5], vcc
	s_cbranch_execz .LBB83_170
; %bb.164:
	buffer_load_dword v81, off, s[20:23], 0 offset:48 ; 4-byte Folded Reload
	buffer_load_dword v82, off, s[20:23], 0 offset:52 ; 4-byte Folded Reload
	;; [unrolled: 1-line block ×4, first 2 shown]
	s_waitcnt vmcnt(0)
	ds_write2_b64 v127, v[81:82], v[83:84] offset1:1
	ds_write2_b64 v125, v[77:78], v[79:80] offset0:38 offset1:39
	ds_write2_b64 v125, v[93:94], v[95:96] offset0:40 offset1:41
	buffer_load_dword v85, off, s[20:23], 0 offset:32 ; 4-byte Folded Reload
	buffer_load_dword v86, off, s[20:23], 0 offset:36 ; 4-byte Folded Reload
	;; [unrolled: 1-line block ×4, first 2 shown]
	s_waitcnt vmcnt(0)
	ds_write2_b64 v125, v[85:86], v[87:88] offset0:42 offset1:43
	buffer_load_dword v73, off, s[20:23], 0 offset:16 ; 4-byte Folded Reload
	buffer_load_dword v74, off, s[20:23], 0 offset:20 ; 4-byte Folded Reload
	;; [unrolled: 1-line block ×4, first 2 shown]
	s_waitcnt vmcnt(0)
	ds_write2_b64 v125, v[73:74], v[75:76] offset0:44 offset1:45
	buffer_load_dword v69, off, s[20:23], 0 ; 4-byte Folded Reload
	buffer_load_dword v70, off, s[20:23], 0 offset:4 ; 4-byte Folded Reload
	buffer_load_dword v71, off, s[20:23], 0 offset:8 ; 4-byte Folded Reload
	;; [unrolled: 1-line block ×3, first 2 shown]
	s_waitcnt vmcnt(0)
	ds_write2_b64 v125, v[69:70], v[71:72] offset0:46 offset1:47
	ds_write2_b64 v125, v[65:66], v[67:68] offset0:48 offset1:49
	;; [unrolled: 1-line block ×19, first 2 shown]
	ds_read2_b64 v[97:100], v127 offset1:1
	s_waitcnt lgkmcnt(0)
	v_cmp_neq_f64_e32 vcc, 0, v[97:98]
	v_cmp_neq_f64_e64 s[2:3], 0, v[99:100]
	s_or_b64 s[2:3], vcc, s[2:3]
	s_and_b64 exec, exec, s[2:3]
	s_cbranch_execz .LBB83_170
; %bb.165:
	v_cmp_ngt_f64_e64 s[2:3], |v[97:98]|, |v[99:100]|
                                        ; implicit-def: $vgpr101_vgpr102
	s_and_saveexec_b64 s[6:7], s[2:3]
	s_xor_b64 s[2:3], exec, s[6:7]
                                        ; implicit-def: $vgpr103_vgpr104
	s_cbranch_execz .LBB83_167
; %bb.166:
	v_div_scale_f64 v[101:102], s[6:7], v[99:100], v[99:100], v[97:98]
	v_rcp_f64_e32 v[103:104], v[101:102]
	v_fma_f64 v[105:106], -v[101:102], v[103:104], 1.0
	v_fma_f64 v[103:104], v[103:104], v[105:106], v[103:104]
	v_div_scale_f64 v[105:106], vcc, v[97:98], v[99:100], v[97:98]
	v_fma_f64 v[107:108], -v[101:102], v[103:104], 1.0
	v_fma_f64 v[103:104], v[103:104], v[107:108], v[103:104]
	v_mul_f64 v[107:108], v[105:106], v[103:104]
	v_fma_f64 v[101:102], -v[101:102], v[107:108], v[105:106]
	v_div_fmas_f64 v[101:102], v[101:102], v[103:104], v[107:108]
	v_div_fixup_f64 v[101:102], v[101:102], v[99:100], v[97:98]
	v_fma_f64 v[97:98], v[97:98], v[101:102], v[99:100]
	v_div_scale_f64 v[99:100], s[6:7], v[97:98], v[97:98], 1.0
	v_div_scale_f64 v[107:108], vcc, 1.0, v[97:98], 1.0
	v_rcp_f64_e32 v[103:104], v[99:100]
	v_fma_f64 v[105:106], -v[99:100], v[103:104], 1.0
	v_fma_f64 v[103:104], v[103:104], v[105:106], v[103:104]
	v_fma_f64 v[105:106], -v[99:100], v[103:104], 1.0
	v_fma_f64 v[103:104], v[103:104], v[105:106], v[103:104]
	v_mul_f64 v[105:106], v[107:108], v[103:104]
	v_fma_f64 v[99:100], -v[99:100], v[105:106], v[107:108]
	v_div_fmas_f64 v[99:100], v[99:100], v[103:104], v[105:106]
	v_div_fixup_f64 v[103:104], v[99:100], v[97:98], 1.0
                                        ; implicit-def: $vgpr97_vgpr98
	v_mul_f64 v[101:102], v[101:102], v[103:104]
	v_xor_b32_e32 v104, 0x80000000, v104
.LBB83_167:
	s_andn2_saveexec_b64 s[2:3], s[2:3]
	s_cbranch_execz .LBB83_169
; %bb.168:
	v_div_scale_f64 v[101:102], s[6:7], v[97:98], v[97:98], v[99:100]
	v_rcp_f64_e32 v[103:104], v[101:102]
	v_fma_f64 v[105:106], -v[101:102], v[103:104], 1.0
	v_fma_f64 v[103:104], v[103:104], v[105:106], v[103:104]
	v_div_scale_f64 v[105:106], vcc, v[99:100], v[97:98], v[99:100]
	v_fma_f64 v[107:108], -v[101:102], v[103:104], 1.0
	v_fma_f64 v[103:104], v[103:104], v[107:108], v[103:104]
	v_mul_f64 v[107:108], v[105:106], v[103:104]
	v_fma_f64 v[101:102], -v[101:102], v[107:108], v[105:106]
	v_div_fmas_f64 v[101:102], v[101:102], v[103:104], v[107:108]
	v_div_fixup_f64 v[103:104], v[101:102], v[97:98], v[99:100]
	v_fma_f64 v[97:98], v[99:100], v[103:104], v[97:98]
	v_div_scale_f64 v[99:100], s[6:7], v[97:98], v[97:98], 1.0
	v_div_scale_f64 v[107:108], vcc, 1.0, v[97:98], 1.0
	v_rcp_f64_e32 v[101:102], v[99:100]
	v_fma_f64 v[105:106], -v[99:100], v[101:102], 1.0
	v_fma_f64 v[101:102], v[101:102], v[105:106], v[101:102]
	v_fma_f64 v[105:106], -v[99:100], v[101:102], 1.0
	v_fma_f64 v[101:102], v[101:102], v[105:106], v[101:102]
	v_mul_f64 v[105:106], v[107:108], v[101:102]
	v_fma_f64 v[99:100], -v[99:100], v[105:106], v[107:108]
	v_div_fmas_f64 v[99:100], v[99:100], v[101:102], v[105:106]
	v_div_fixup_f64 v[101:102], v[99:100], v[97:98], 1.0
	v_mul_f64 v[103:104], v[103:104], -v[101:102]
.LBB83_169:
	s_or_b64 exec, exec, s[2:3]
	ds_write2_b64 v127, v[101:102], v[103:104] offset1:1
.LBB83_170:
	s_or_b64 exec, exec, s[4:5]
	s_waitcnt lgkmcnt(0)
	s_barrier
	ds_read2_b64 v[81:84], v127 offset1:1
	v_cmp_lt_u32_e32 vcc, 18, v0
	s_waitcnt lgkmcnt(0)
	buffer_store_dword v81, off, s[20:23], 0 offset:968 ; 4-byte Folded Spill
	s_nop 0
	buffer_store_dword v82, off, s[20:23], 0 offset:972 ; 4-byte Folded Spill
	buffer_store_dword v83, off, s[20:23], 0 offset:976 ; 4-byte Folded Spill
	;; [unrolled: 1-line block ×3, first 2 shown]
	s_and_saveexec_b64 s[2:3], vcc
	s_cbranch_execz .LBB83_172
; %bb.171:
	buffer_load_dword v81, off, s[20:23], 0 offset:48 ; 4-byte Folded Reload
	buffer_load_dword v82, off, s[20:23], 0 offset:52 ; 4-byte Folded Reload
	;; [unrolled: 1-line block ×8, first 2 shown]
	v_mov_b32_e32 v89, v91
	v_mov_b32_e32 v90, v92
	ds_read2_b64 v[99:102], v125 offset0:38 offset1:39
	s_waitcnt vmcnt(2)
	v_mul_f64 v[91:92], v[85:86], v[83:84]
	s_waitcnt vmcnt(0)
	v_mul_f64 v[97:98], v[87:88], v[83:84]
	v_fma_f64 v[83:84], v[87:88], v[81:82], v[91:92]
	v_mov_b32_e32 v92, v90
	v_fma_f64 v[97:98], v[85:86], v[81:82], -v[97:98]
	v_mov_b32_e32 v91, v89
	s_waitcnt lgkmcnt(0)
	v_mul_f64 v[89:90], v[101:102], v[83:84]
	v_mov_b32_e32 v81, v97
	v_mov_b32_e32 v82, v98
	v_fma_f64 v[89:90], v[99:100], v[97:98], -v[89:90]
	v_mul_f64 v[99:100], v[99:100], v[83:84]
	v_add_f64 v[77:78], v[77:78], -v[89:90]
	v_fma_f64 v[99:100], v[101:102], v[97:98], v[99:100]
	v_add_f64 v[79:80], v[79:80], -v[99:100]
	ds_read2_b64 v[99:102], v125 offset0:40 offset1:41
	s_waitcnt lgkmcnt(0)
	v_mul_f64 v[89:90], v[101:102], v[83:84]
	v_fma_f64 v[89:90], v[99:100], v[97:98], -v[89:90]
	v_mul_f64 v[99:100], v[99:100], v[83:84]
	v_add_f64 v[93:94], v[93:94], -v[89:90]
	v_fma_f64 v[99:100], v[101:102], v[97:98], v[99:100]
	v_add_f64 v[95:96], v[95:96], -v[99:100]
	ds_read2_b64 v[99:102], v125 offset0:42 offset1:43
	buffer_load_dword v85, off, s[20:23], 0 offset:32 ; 4-byte Folded Reload
	buffer_load_dword v86, off, s[20:23], 0 offset:36 ; 4-byte Folded Reload
	buffer_load_dword v87, off, s[20:23], 0 offset:40 ; 4-byte Folded Reload
	buffer_load_dword v88, off, s[20:23], 0 offset:44 ; 4-byte Folded Reload
	s_waitcnt lgkmcnt(0)
	v_mul_f64 v[89:90], v[101:102], v[83:84]
	v_fma_f64 v[89:90], v[99:100], v[97:98], -v[89:90]
	v_mul_f64 v[99:100], v[99:100], v[83:84]
	v_fma_f64 v[99:100], v[101:102], v[97:98], v[99:100]
	s_waitcnt vmcnt(2)
	v_add_f64 v[85:86], v[85:86], -v[89:90]
	s_waitcnt vmcnt(0)
	v_add_f64 v[87:88], v[87:88], -v[99:100]
	buffer_store_dword v85, off, s[20:23], 0 offset:32 ; 4-byte Folded Spill
	s_nop 0
	buffer_store_dword v86, off, s[20:23], 0 offset:36 ; 4-byte Folded Spill
	buffer_store_dword v87, off, s[20:23], 0 offset:40 ; 4-byte Folded Spill
	;; [unrolled: 1-line block ×3, first 2 shown]
	ds_read2_b64 v[99:102], v125 offset0:44 offset1:45
	buffer_load_dword v73, off, s[20:23], 0 offset:16 ; 4-byte Folded Reload
	buffer_load_dword v74, off, s[20:23], 0 offset:20 ; 4-byte Folded Reload
	;; [unrolled: 1-line block ×4, first 2 shown]
	s_waitcnt lgkmcnt(0)
	v_mul_f64 v[89:90], v[101:102], v[83:84]
	v_fma_f64 v[89:90], v[99:100], v[97:98], -v[89:90]
	v_mul_f64 v[99:100], v[99:100], v[83:84]
	v_fma_f64 v[99:100], v[101:102], v[97:98], v[99:100]
	s_waitcnt vmcnt(2)
	v_add_f64 v[73:74], v[73:74], -v[89:90]
	s_waitcnt vmcnt(0)
	v_add_f64 v[75:76], v[75:76], -v[99:100]
	buffer_store_dword v73, off, s[20:23], 0 offset:16 ; 4-byte Folded Spill
	s_nop 0
	buffer_store_dword v74, off, s[20:23], 0 offset:20 ; 4-byte Folded Spill
	buffer_store_dword v75, off, s[20:23], 0 offset:24 ; 4-byte Folded Spill
	;; [unrolled: 1-line block ×3, first 2 shown]
	ds_read2_b64 v[99:102], v125 offset0:46 offset1:47
	buffer_load_dword v69, off, s[20:23], 0 ; 4-byte Folded Reload
	buffer_load_dword v70, off, s[20:23], 0 offset:4 ; 4-byte Folded Reload
	buffer_load_dword v71, off, s[20:23], 0 offset:8 ; 4-byte Folded Reload
	;; [unrolled: 1-line block ×3, first 2 shown]
	s_waitcnt lgkmcnt(0)
	v_mul_f64 v[89:90], v[101:102], v[83:84]
	v_fma_f64 v[89:90], v[99:100], v[97:98], -v[89:90]
	v_mul_f64 v[99:100], v[99:100], v[83:84]
	v_fma_f64 v[99:100], v[101:102], v[97:98], v[99:100]
	s_waitcnt vmcnt(2)
	v_add_f64 v[69:70], v[69:70], -v[89:90]
	s_waitcnt vmcnt(0)
	v_add_f64 v[71:72], v[71:72], -v[99:100]
	buffer_store_dword v69, off, s[20:23], 0 ; 4-byte Folded Spill
	s_nop 0
	buffer_store_dword v70, off, s[20:23], 0 offset:4 ; 4-byte Folded Spill
	buffer_store_dword v71, off, s[20:23], 0 offset:8 ; 4-byte Folded Spill
	buffer_store_dword v72, off, s[20:23], 0 offset:12 ; 4-byte Folded Spill
	ds_read2_b64 v[99:102], v125 offset0:48 offset1:49
	s_waitcnt lgkmcnt(0)
	v_mul_f64 v[89:90], v[101:102], v[83:84]
	v_fma_f64 v[89:90], v[99:100], v[97:98], -v[89:90]
	v_mul_f64 v[99:100], v[99:100], v[83:84]
	v_add_f64 v[65:66], v[65:66], -v[89:90]
	v_fma_f64 v[99:100], v[101:102], v[97:98], v[99:100]
	v_add_f64 v[67:68], v[67:68], -v[99:100]
	ds_read2_b64 v[99:102], v125 offset0:50 offset1:51
	s_waitcnt lgkmcnt(0)
	v_mul_f64 v[89:90], v[101:102], v[83:84]
	v_fma_f64 v[89:90], v[99:100], v[97:98], -v[89:90]
	v_mul_f64 v[99:100], v[99:100], v[83:84]
	v_add_f64 v[61:62], v[61:62], -v[89:90]
	v_fma_f64 v[99:100], v[101:102], v[97:98], v[99:100]
	v_add_f64 v[63:64], v[63:64], -v[99:100]
	;; [unrolled: 8-line block ×17, first 2 shown]
	ds_read2_b64 v[99:102], v125 offset0:82 offset1:83
	s_waitcnt lgkmcnt(0)
	v_mul_f64 v[89:90], v[101:102], v[83:84]
	v_fma_f64 v[89:90], v[99:100], v[97:98], -v[89:90]
	v_mul_f64 v[99:100], v[99:100], v[83:84]
	buffer_store_dword v81, off, s[20:23], 0 offset:48 ; 4-byte Folded Spill
	s_nop 0
	buffer_store_dword v82, off, s[20:23], 0 offset:52 ; 4-byte Folded Spill
	buffer_store_dword v83, off, s[20:23], 0 offset:56 ; 4-byte Folded Spill
	;; [unrolled: 1-line block ×3, first 2 shown]
	v_add_f64 v[121:122], v[121:122], -v[89:90]
	v_fma_f64 v[99:100], v[101:102], v[97:98], v[99:100]
	v_add_f64 v[123:124], v[123:124], -v[99:100]
.LBB83_172:
	s_or_b64 exec, exec, s[2:3]
	v_cmp_eq_u32_e32 vcc, 19, v0
	s_waitcnt vmcnt(0)
	s_barrier
	s_and_saveexec_b64 s[4:5], vcc
	s_cbranch_execz .LBB83_179
; %bb.173:
	ds_write2_b64 v127, v[77:78], v[79:80] offset1:1
	ds_write2_b64 v125, v[93:94], v[95:96] offset0:40 offset1:41
	buffer_load_dword v85, off, s[20:23], 0 offset:32 ; 4-byte Folded Reload
	buffer_load_dword v86, off, s[20:23], 0 offset:36 ; 4-byte Folded Reload
	;; [unrolled: 1-line block ×4, first 2 shown]
	s_waitcnt vmcnt(0)
	ds_write2_b64 v125, v[85:86], v[87:88] offset0:42 offset1:43
	buffer_load_dword v73, off, s[20:23], 0 offset:16 ; 4-byte Folded Reload
	buffer_load_dword v74, off, s[20:23], 0 offset:20 ; 4-byte Folded Reload
	;; [unrolled: 1-line block ×4, first 2 shown]
	s_waitcnt vmcnt(0)
	ds_write2_b64 v125, v[73:74], v[75:76] offset0:44 offset1:45
	buffer_load_dword v69, off, s[20:23], 0 ; 4-byte Folded Reload
	buffer_load_dword v70, off, s[20:23], 0 offset:4 ; 4-byte Folded Reload
	buffer_load_dword v71, off, s[20:23], 0 offset:8 ; 4-byte Folded Reload
	;; [unrolled: 1-line block ×3, first 2 shown]
	s_waitcnt vmcnt(0)
	ds_write2_b64 v125, v[69:70], v[71:72] offset0:46 offset1:47
	ds_write2_b64 v125, v[65:66], v[67:68] offset0:48 offset1:49
	ds_write2_b64 v125, v[61:62], v[63:64] offset0:50 offset1:51
	ds_write2_b64 v125, v[57:58], v[59:60] offset0:52 offset1:53
	ds_write2_b64 v125, v[53:54], v[55:56] offset0:54 offset1:55
	ds_write2_b64 v125, v[49:50], v[51:52] offset0:56 offset1:57
	ds_write2_b64 v125, v[45:46], v[47:48] offset0:58 offset1:59
	ds_write2_b64 v125, v[41:42], v[43:44] offset0:60 offset1:61
	ds_write2_b64 v125, v[37:38], v[39:40] offset0:62 offset1:63
	ds_write2_b64 v125, v[33:34], v[35:36] offset0:64 offset1:65
	ds_write2_b64 v125, v[29:30], v[31:32] offset0:66 offset1:67
	ds_write2_b64 v125, v[25:26], v[27:28] offset0:68 offset1:69
	ds_write2_b64 v125, v[21:22], v[23:24] offset0:70 offset1:71
	ds_write2_b64 v125, v[17:18], v[19:20] offset0:72 offset1:73
	ds_write2_b64 v125, v[13:14], v[15:16] offset0:74 offset1:75
	ds_write2_b64 v125, v[9:10], v[11:12] offset0:76 offset1:77
	ds_write2_b64 v125, v[5:6], v[7:8] offset0:78 offset1:79
	ds_write2_b64 v125, v[1:2], v[3:4] offset0:80 offset1:81
	ds_write2_b64 v125, v[121:122], v[123:124] offset0:82 offset1:83
	ds_read2_b64 v[97:100], v127 offset1:1
	s_waitcnt lgkmcnt(0)
	v_cmp_neq_f64_e32 vcc, 0, v[97:98]
	v_cmp_neq_f64_e64 s[2:3], 0, v[99:100]
	s_or_b64 s[2:3], vcc, s[2:3]
	s_and_b64 exec, exec, s[2:3]
	s_cbranch_execz .LBB83_179
; %bb.174:
	v_cmp_ngt_f64_e64 s[2:3], |v[97:98]|, |v[99:100]|
                                        ; implicit-def: $vgpr101_vgpr102
	s_and_saveexec_b64 s[6:7], s[2:3]
	s_xor_b64 s[2:3], exec, s[6:7]
                                        ; implicit-def: $vgpr103_vgpr104
	s_cbranch_execz .LBB83_176
; %bb.175:
	v_div_scale_f64 v[101:102], s[6:7], v[99:100], v[99:100], v[97:98]
	v_rcp_f64_e32 v[103:104], v[101:102]
	v_fma_f64 v[105:106], -v[101:102], v[103:104], 1.0
	v_fma_f64 v[103:104], v[103:104], v[105:106], v[103:104]
	v_div_scale_f64 v[105:106], vcc, v[97:98], v[99:100], v[97:98]
	v_fma_f64 v[107:108], -v[101:102], v[103:104], 1.0
	v_fma_f64 v[103:104], v[103:104], v[107:108], v[103:104]
	v_mul_f64 v[107:108], v[105:106], v[103:104]
	v_fma_f64 v[101:102], -v[101:102], v[107:108], v[105:106]
	v_div_fmas_f64 v[101:102], v[101:102], v[103:104], v[107:108]
	v_div_fixup_f64 v[101:102], v[101:102], v[99:100], v[97:98]
	v_fma_f64 v[97:98], v[97:98], v[101:102], v[99:100]
	v_div_scale_f64 v[99:100], s[6:7], v[97:98], v[97:98], 1.0
	v_div_scale_f64 v[107:108], vcc, 1.0, v[97:98], 1.0
	v_rcp_f64_e32 v[103:104], v[99:100]
	v_fma_f64 v[105:106], -v[99:100], v[103:104], 1.0
	v_fma_f64 v[103:104], v[103:104], v[105:106], v[103:104]
	v_fma_f64 v[105:106], -v[99:100], v[103:104], 1.0
	v_fma_f64 v[103:104], v[103:104], v[105:106], v[103:104]
	v_mul_f64 v[105:106], v[107:108], v[103:104]
	v_fma_f64 v[99:100], -v[99:100], v[105:106], v[107:108]
	v_div_fmas_f64 v[99:100], v[99:100], v[103:104], v[105:106]
	v_div_fixup_f64 v[103:104], v[99:100], v[97:98], 1.0
                                        ; implicit-def: $vgpr97_vgpr98
	v_mul_f64 v[101:102], v[101:102], v[103:104]
	v_xor_b32_e32 v104, 0x80000000, v104
.LBB83_176:
	s_andn2_saveexec_b64 s[2:3], s[2:3]
	s_cbranch_execz .LBB83_178
; %bb.177:
	v_div_scale_f64 v[101:102], s[6:7], v[97:98], v[97:98], v[99:100]
	v_rcp_f64_e32 v[103:104], v[101:102]
	v_fma_f64 v[105:106], -v[101:102], v[103:104], 1.0
	v_fma_f64 v[103:104], v[103:104], v[105:106], v[103:104]
	v_div_scale_f64 v[105:106], vcc, v[99:100], v[97:98], v[99:100]
	v_fma_f64 v[107:108], -v[101:102], v[103:104], 1.0
	v_fma_f64 v[103:104], v[103:104], v[107:108], v[103:104]
	v_mul_f64 v[107:108], v[105:106], v[103:104]
	v_fma_f64 v[101:102], -v[101:102], v[107:108], v[105:106]
	v_div_fmas_f64 v[101:102], v[101:102], v[103:104], v[107:108]
	v_div_fixup_f64 v[103:104], v[101:102], v[97:98], v[99:100]
	v_fma_f64 v[97:98], v[99:100], v[103:104], v[97:98]
	v_div_scale_f64 v[99:100], s[6:7], v[97:98], v[97:98], 1.0
	v_div_scale_f64 v[107:108], vcc, 1.0, v[97:98], 1.0
	v_rcp_f64_e32 v[101:102], v[99:100]
	v_fma_f64 v[105:106], -v[99:100], v[101:102], 1.0
	v_fma_f64 v[101:102], v[101:102], v[105:106], v[101:102]
	v_fma_f64 v[105:106], -v[99:100], v[101:102], 1.0
	v_fma_f64 v[101:102], v[101:102], v[105:106], v[101:102]
	v_mul_f64 v[105:106], v[107:108], v[101:102]
	v_fma_f64 v[99:100], -v[99:100], v[105:106], v[107:108]
	v_div_fmas_f64 v[99:100], v[99:100], v[101:102], v[105:106]
	v_div_fixup_f64 v[101:102], v[99:100], v[97:98], 1.0
	v_mul_f64 v[103:104], v[103:104], -v[101:102]
.LBB83_178:
	s_or_b64 exec, exec, s[2:3]
	ds_write2_b64 v127, v[101:102], v[103:104] offset1:1
.LBB83_179:
	s_or_b64 exec, exec, s[4:5]
	s_waitcnt lgkmcnt(0)
	s_barrier
	ds_read2_b64 v[81:84], v127 offset1:1
	v_cmp_lt_u32_e32 vcc, 19, v0
	s_and_saveexec_b64 s[2:3], vcc
	s_cbranch_execz .LBB83_181
; %bb.180:
	s_waitcnt lgkmcnt(0)
	v_mul_f64 v[87:88], v[81:82], v[79:80]
	v_mul_f64 v[97:98], v[83:84], v[79:80]
	ds_read2_b64 v[99:102], v125 offset0:40 offset1:41
	v_fma_f64 v[79:80], v[83:84], v[77:78], v[87:88]
	v_fma_f64 v[97:98], v[81:82], v[77:78], -v[97:98]
	s_waitcnt lgkmcnt(0)
	v_mul_f64 v[85:86], v[101:102], v[79:80]
	v_mov_b32_e32 v77, v97
	v_mov_b32_e32 v78, v98
	v_fma_f64 v[85:86], v[99:100], v[97:98], -v[85:86]
	v_mul_f64 v[99:100], v[99:100], v[79:80]
	v_add_f64 v[93:94], v[93:94], -v[85:86]
	v_fma_f64 v[99:100], v[101:102], v[97:98], v[99:100]
	v_add_f64 v[95:96], v[95:96], -v[99:100]
	ds_read2_b64 v[99:102], v125 offset0:42 offset1:43
	buffer_load_dword v87, off, s[20:23], 0 offset:32 ; 4-byte Folded Reload
	buffer_load_dword v88, off, s[20:23], 0 offset:36 ; 4-byte Folded Reload
	buffer_load_dword v89, off, s[20:23], 0 offset:40 ; 4-byte Folded Reload
	buffer_load_dword v90, off, s[20:23], 0 offset:44 ; 4-byte Folded Reload
	s_waitcnt lgkmcnt(0)
	v_mul_f64 v[85:86], v[101:102], v[79:80]
	v_fma_f64 v[85:86], v[99:100], v[97:98], -v[85:86]
	v_mul_f64 v[99:100], v[99:100], v[79:80]
	v_fma_f64 v[99:100], v[101:102], v[97:98], v[99:100]
	s_waitcnt vmcnt(2)
	v_add_f64 v[87:88], v[87:88], -v[85:86]
	s_waitcnt vmcnt(0)
	v_add_f64 v[89:90], v[89:90], -v[99:100]
	buffer_store_dword v87, off, s[20:23], 0 offset:32 ; 4-byte Folded Spill
	s_nop 0
	buffer_store_dword v88, off, s[20:23], 0 offset:36 ; 4-byte Folded Spill
	buffer_store_dword v89, off, s[20:23], 0 offset:40 ; 4-byte Folded Spill
	buffer_store_dword v90, off, s[20:23], 0 offset:44 ; 4-byte Folded Spill
	ds_read2_b64 v[99:102], v125 offset0:44 offset1:45
	buffer_load_dword v73, off, s[20:23], 0 offset:16 ; 4-byte Folded Reload
	buffer_load_dword v74, off, s[20:23], 0 offset:20 ; 4-byte Folded Reload
	;; [unrolled: 1-line block ×4, first 2 shown]
	s_waitcnt lgkmcnt(0)
	v_mul_f64 v[85:86], v[101:102], v[79:80]
	v_fma_f64 v[85:86], v[99:100], v[97:98], -v[85:86]
	v_mul_f64 v[99:100], v[99:100], v[79:80]
	v_fma_f64 v[99:100], v[101:102], v[97:98], v[99:100]
	s_waitcnt vmcnt(2)
	v_add_f64 v[73:74], v[73:74], -v[85:86]
	s_waitcnt vmcnt(0)
	v_add_f64 v[75:76], v[75:76], -v[99:100]
	buffer_store_dword v73, off, s[20:23], 0 offset:16 ; 4-byte Folded Spill
	s_nop 0
	buffer_store_dword v74, off, s[20:23], 0 offset:20 ; 4-byte Folded Spill
	buffer_store_dword v75, off, s[20:23], 0 offset:24 ; 4-byte Folded Spill
	buffer_store_dword v76, off, s[20:23], 0 offset:28 ; 4-byte Folded Spill
	ds_read2_b64 v[99:102], v125 offset0:46 offset1:47
	buffer_load_dword v69, off, s[20:23], 0 ; 4-byte Folded Reload
	buffer_load_dword v70, off, s[20:23], 0 offset:4 ; 4-byte Folded Reload
	buffer_load_dword v71, off, s[20:23], 0 offset:8 ; 4-byte Folded Reload
	;; [unrolled: 1-line block ×3, first 2 shown]
	s_waitcnt lgkmcnt(0)
	v_mul_f64 v[85:86], v[101:102], v[79:80]
	v_fma_f64 v[85:86], v[99:100], v[97:98], -v[85:86]
	v_mul_f64 v[99:100], v[99:100], v[79:80]
	v_fma_f64 v[99:100], v[101:102], v[97:98], v[99:100]
	s_waitcnt vmcnt(2)
	v_add_f64 v[69:70], v[69:70], -v[85:86]
	s_waitcnt vmcnt(0)
	v_add_f64 v[71:72], v[71:72], -v[99:100]
	buffer_store_dword v69, off, s[20:23], 0 ; 4-byte Folded Spill
	s_nop 0
	buffer_store_dword v70, off, s[20:23], 0 offset:4 ; 4-byte Folded Spill
	buffer_store_dword v71, off, s[20:23], 0 offset:8 ; 4-byte Folded Spill
	buffer_store_dword v72, off, s[20:23], 0 offset:12 ; 4-byte Folded Spill
	ds_read2_b64 v[99:102], v125 offset0:48 offset1:49
	s_waitcnt lgkmcnt(0)
	v_mul_f64 v[85:86], v[101:102], v[79:80]
	v_fma_f64 v[85:86], v[99:100], v[97:98], -v[85:86]
	v_mul_f64 v[99:100], v[99:100], v[79:80]
	v_add_f64 v[65:66], v[65:66], -v[85:86]
	v_fma_f64 v[99:100], v[101:102], v[97:98], v[99:100]
	v_add_f64 v[67:68], v[67:68], -v[99:100]
	ds_read2_b64 v[99:102], v125 offset0:50 offset1:51
	s_waitcnt lgkmcnt(0)
	v_mul_f64 v[85:86], v[101:102], v[79:80]
	v_fma_f64 v[85:86], v[99:100], v[97:98], -v[85:86]
	v_mul_f64 v[99:100], v[99:100], v[79:80]
	v_add_f64 v[61:62], v[61:62], -v[85:86]
	v_fma_f64 v[99:100], v[101:102], v[97:98], v[99:100]
	v_add_f64 v[63:64], v[63:64], -v[99:100]
	ds_read2_b64 v[99:102], v125 offset0:52 offset1:53
	s_waitcnt lgkmcnt(0)
	v_mul_f64 v[85:86], v[101:102], v[79:80]
	v_fma_f64 v[85:86], v[99:100], v[97:98], -v[85:86]
	v_mul_f64 v[99:100], v[99:100], v[79:80]
	v_add_f64 v[57:58], v[57:58], -v[85:86]
	v_fma_f64 v[99:100], v[101:102], v[97:98], v[99:100]
	v_add_f64 v[59:60], v[59:60], -v[99:100]
	ds_read2_b64 v[99:102], v125 offset0:54 offset1:55
	s_waitcnt lgkmcnt(0)
	v_mul_f64 v[85:86], v[101:102], v[79:80]
	v_fma_f64 v[85:86], v[99:100], v[97:98], -v[85:86]
	v_mul_f64 v[99:100], v[99:100], v[79:80]
	v_add_f64 v[53:54], v[53:54], -v[85:86]
	v_fma_f64 v[99:100], v[101:102], v[97:98], v[99:100]
	v_add_f64 v[55:56], v[55:56], -v[99:100]
	ds_read2_b64 v[99:102], v125 offset0:56 offset1:57
	s_waitcnt lgkmcnt(0)
	v_mul_f64 v[85:86], v[101:102], v[79:80]
	v_fma_f64 v[85:86], v[99:100], v[97:98], -v[85:86]
	v_mul_f64 v[99:100], v[99:100], v[79:80]
	v_add_f64 v[49:50], v[49:50], -v[85:86]
	v_fma_f64 v[99:100], v[101:102], v[97:98], v[99:100]
	v_add_f64 v[51:52], v[51:52], -v[99:100]
	ds_read2_b64 v[99:102], v125 offset0:58 offset1:59
	s_waitcnt lgkmcnt(0)
	v_mul_f64 v[85:86], v[101:102], v[79:80]
	v_fma_f64 v[85:86], v[99:100], v[97:98], -v[85:86]
	v_mul_f64 v[99:100], v[99:100], v[79:80]
	v_add_f64 v[45:46], v[45:46], -v[85:86]
	v_fma_f64 v[99:100], v[101:102], v[97:98], v[99:100]
	v_add_f64 v[47:48], v[47:48], -v[99:100]
	ds_read2_b64 v[99:102], v125 offset0:60 offset1:61
	s_waitcnt lgkmcnt(0)
	v_mul_f64 v[85:86], v[101:102], v[79:80]
	v_fma_f64 v[85:86], v[99:100], v[97:98], -v[85:86]
	v_mul_f64 v[99:100], v[99:100], v[79:80]
	v_add_f64 v[41:42], v[41:42], -v[85:86]
	v_fma_f64 v[99:100], v[101:102], v[97:98], v[99:100]
	v_add_f64 v[43:44], v[43:44], -v[99:100]
	ds_read2_b64 v[99:102], v125 offset0:62 offset1:63
	s_waitcnt lgkmcnt(0)
	v_mul_f64 v[85:86], v[101:102], v[79:80]
	v_fma_f64 v[85:86], v[99:100], v[97:98], -v[85:86]
	v_mul_f64 v[99:100], v[99:100], v[79:80]
	v_add_f64 v[37:38], v[37:38], -v[85:86]
	v_fma_f64 v[99:100], v[101:102], v[97:98], v[99:100]
	v_add_f64 v[39:40], v[39:40], -v[99:100]
	ds_read2_b64 v[99:102], v125 offset0:64 offset1:65
	s_waitcnt lgkmcnt(0)
	v_mul_f64 v[85:86], v[101:102], v[79:80]
	v_fma_f64 v[85:86], v[99:100], v[97:98], -v[85:86]
	v_mul_f64 v[99:100], v[99:100], v[79:80]
	v_add_f64 v[33:34], v[33:34], -v[85:86]
	v_fma_f64 v[99:100], v[101:102], v[97:98], v[99:100]
	v_add_f64 v[35:36], v[35:36], -v[99:100]
	ds_read2_b64 v[99:102], v125 offset0:66 offset1:67
	s_waitcnt lgkmcnt(0)
	v_mul_f64 v[85:86], v[101:102], v[79:80]
	v_fma_f64 v[85:86], v[99:100], v[97:98], -v[85:86]
	v_mul_f64 v[99:100], v[99:100], v[79:80]
	v_add_f64 v[29:30], v[29:30], -v[85:86]
	v_fma_f64 v[99:100], v[101:102], v[97:98], v[99:100]
	v_add_f64 v[31:32], v[31:32], -v[99:100]
	ds_read2_b64 v[99:102], v125 offset0:68 offset1:69
	s_waitcnt lgkmcnt(0)
	v_mul_f64 v[85:86], v[101:102], v[79:80]
	v_fma_f64 v[85:86], v[99:100], v[97:98], -v[85:86]
	v_mul_f64 v[99:100], v[99:100], v[79:80]
	v_add_f64 v[25:26], v[25:26], -v[85:86]
	v_fma_f64 v[99:100], v[101:102], v[97:98], v[99:100]
	v_add_f64 v[27:28], v[27:28], -v[99:100]
	ds_read2_b64 v[99:102], v125 offset0:70 offset1:71
	s_waitcnt lgkmcnt(0)
	v_mul_f64 v[85:86], v[101:102], v[79:80]
	v_fma_f64 v[85:86], v[99:100], v[97:98], -v[85:86]
	v_mul_f64 v[99:100], v[99:100], v[79:80]
	v_add_f64 v[21:22], v[21:22], -v[85:86]
	v_fma_f64 v[99:100], v[101:102], v[97:98], v[99:100]
	v_add_f64 v[23:24], v[23:24], -v[99:100]
	ds_read2_b64 v[99:102], v125 offset0:72 offset1:73
	s_waitcnt lgkmcnt(0)
	v_mul_f64 v[85:86], v[101:102], v[79:80]
	v_fma_f64 v[85:86], v[99:100], v[97:98], -v[85:86]
	v_mul_f64 v[99:100], v[99:100], v[79:80]
	v_add_f64 v[17:18], v[17:18], -v[85:86]
	v_fma_f64 v[99:100], v[101:102], v[97:98], v[99:100]
	v_add_f64 v[19:20], v[19:20], -v[99:100]
	ds_read2_b64 v[99:102], v125 offset0:74 offset1:75
	s_waitcnt lgkmcnt(0)
	v_mul_f64 v[85:86], v[101:102], v[79:80]
	v_fma_f64 v[85:86], v[99:100], v[97:98], -v[85:86]
	v_mul_f64 v[99:100], v[99:100], v[79:80]
	v_add_f64 v[13:14], v[13:14], -v[85:86]
	v_fma_f64 v[99:100], v[101:102], v[97:98], v[99:100]
	v_add_f64 v[15:16], v[15:16], -v[99:100]
	ds_read2_b64 v[99:102], v125 offset0:76 offset1:77
	s_waitcnt lgkmcnt(0)
	v_mul_f64 v[85:86], v[101:102], v[79:80]
	v_fma_f64 v[85:86], v[99:100], v[97:98], -v[85:86]
	v_mul_f64 v[99:100], v[99:100], v[79:80]
	v_add_f64 v[9:10], v[9:10], -v[85:86]
	v_fma_f64 v[99:100], v[101:102], v[97:98], v[99:100]
	v_add_f64 v[11:12], v[11:12], -v[99:100]
	ds_read2_b64 v[99:102], v125 offset0:78 offset1:79
	s_waitcnt lgkmcnt(0)
	v_mul_f64 v[85:86], v[101:102], v[79:80]
	v_fma_f64 v[85:86], v[99:100], v[97:98], -v[85:86]
	v_mul_f64 v[99:100], v[99:100], v[79:80]
	v_add_f64 v[5:6], v[5:6], -v[85:86]
	v_fma_f64 v[99:100], v[101:102], v[97:98], v[99:100]
	v_add_f64 v[7:8], v[7:8], -v[99:100]
	ds_read2_b64 v[99:102], v125 offset0:80 offset1:81
	s_waitcnt lgkmcnt(0)
	v_mul_f64 v[85:86], v[101:102], v[79:80]
	v_fma_f64 v[85:86], v[99:100], v[97:98], -v[85:86]
	v_mul_f64 v[99:100], v[99:100], v[79:80]
	v_add_f64 v[1:2], v[1:2], -v[85:86]
	v_fma_f64 v[99:100], v[101:102], v[97:98], v[99:100]
	v_add_f64 v[3:4], v[3:4], -v[99:100]
	ds_read2_b64 v[99:102], v125 offset0:82 offset1:83
	s_waitcnt lgkmcnt(0)
	v_mul_f64 v[85:86], v[101:102], v[79:80]
	v_fma_f64 v[85:86], v[99:100], v[97:98], -v[85:86]
	v_mul_f64 v[99:100], v[99:100], v[79:80]
	v_add_f64 v[121:122], v[121:122], -v[85:86]
	v_fma_f64 v[99:100], v[101:102], v[97:98], v[99:100]
	v_add_f64 v[123:124], v[123:124], -v[99:100]
.LBB83_181:
	s_or_b64 exec, exec, s[2:3]
	v_cmp_eq_u32_e32 vcc, 20, v0
	s_waitcnt vmcnt(0) lgkmcnt(0)
	s_barrier
	s_and_saveexec_b64 s[4:5], vcc
	s_cbranch_execz .LBB83_188
; %bb.182:
	ds_write2_b64 v127, v[93:94], v[95:96] offset1:1
	buffer_load_dword v85, off, s[20:23], 0 offset:32 ; 4-byte Folded Reload
	buffer_load_dword v86, off, s[20:23], 0 offset:36 ; 4-byte Folded Reload
	;; [unrolled: 1-line block ×4, first 2 shown]
	s_waitcnt vmcnt(0)
	ds_write2_b64 v125, v[85:86], v[87:88] offset0:42 offset1:43
	buffer_load_dword v73, off, s[20:23], 0 offset:16 ; 4-byte Folded Reload
	buffer_load_dword v74, off, s[20:23], 0 offset:20 ; 4-byte Folded Reload
	;; [unrolled: 1-line block ×4, first 2 shown]
	s_waitcnt vmcnt(0)
	ds_write2_b64 v125, v[73:74], v[75:76] offset0:44 offset1:45
	buffer_load_dword v69, off, s[20:23], 0 ; 4-byte Folded Reload
	buffer_load_dword v70, off, s[20:23], 0 offset:4 ; 4-byte Folded Reload
	buffer_load_dword v71, off, s[20:23], 0 offset:8 ; 4-byte Folded Reload
	;; [unrolled: 1-line block ×3, first 2 shown]
	s_waitcnt vmcnt(0)
	ds_write2_b64 v125, v[69:70], v[71:72] offset0:46 offset1:47
	ds_write2_b64 v125, v[65:66], v[67:68] offset0:48 offset1:49
	;; [unrolled: 1-line block ×19, first 2 shown]
	ds_read2_b64 v[97:100], v127 offset1:1
	s_waitcnt lgkmcnt(0)
	v_cmp_neq_f64_e32 vcc, 0, v[97:98]
	v_cmp_neq_f64_e64 s[2:3], 0, v[99:100]
	s_or_b64 s[2:3], vcc, s[2:3]
	s_and_b64 exec, exec, s[2:3]
	s_cbranch_execz .LBB83_188
; %bb.183:
	v_cmp_ngt_f64_e64 s[2:3], |v[97:98]|, |v[99:100]|
                                        ; implicit-def: $vgpr101_vgpr102
	s_and_saveexec_b64 s[6:7], s[2:3]
	s_xor_b64 s[2:3], exec, s[6:7]
                                        ; implicit-def: $vgpr103_vgpr104
	s_cbranch_execz .LBB83_185
; %bb.184:
	v_div_scale_f64 v[101:102], s[6:7], v[99:100], v[99:100], v[97:98]
	v_rcp_f64_e32 v[103:104], v[101:102]
	v_fma_f64 v[105:106], -v[101:102], v[103:104], 1.0
	v_fma_f64 v[103:104], v[103:104], v[105:106], v[103:104]
	v_div_scale_f64 v[105:106], vcc, v[97:98], v[99:100], v[97:98]
	v_fma_f64 v[107:108], -v[101:102], v[103:104], 1.0
	v_fma_f64 v[103:104], v[103:104], v[107:108], v[103:104]
	v_mul_f64 v[107:108], v[105:106], v[103:104]
	v_fma_f64 v[101:102], -v[101:102], v[107:108], v[105:106]
	v_div_fmas_f64 v[101:102], v[101:102], v[103:104], v[107:108]
	v_div_fixup_f64 v[101:102], v[101:102], v[99:100], v[97:98]
	v_fma_f64 v[97:98], v[97:98], v[101:102], v[99:100]
	v_div_scale_f64 v[99:100], s[6:7], v[97:98], v[97:98], 1.0
	v_div_scale_f64 v[107:108], vcc, 1.0, v[97:98], 1.0
	v_rcp_f64_e32 v[103:104], v[99:100]
	v_fma_f64 v[105:106], -v[99:100], v[103:104], 1.0
	v_fma_f64 v[103:104], v[103:104], v[105:106], v[103:104]
	v_fma_f64 v[105:106], -v[99:100], v[103:104], 1.0
	v_fma_f64 v[103:104], v[103:104], v[105:106], v[103:104]
	v_mul_f64 v[105:106], v[107:108], v[103:104]
	v_fma_f64 v[99:100], -v[99:100], v[105:106], v[107:108]
	v_div_fmas_f64 v[99:100], v[99:100], v[103:104], v[105:106]
	v_div_fixup_f64 v[103:104], v[99:100], v[97:98], 1.0
                                        ; implicit-def: $vgpr97_vgpr98
	v_mul_f64 v[101:102], v[101:102], v[103:104]
	v_xor_b32_e32 v104, 0x80000000, v104
.LBB83_185:
	s_andn2_saveexec_b64 s[2:3], s[2:3]
	s_cbranch_execz .LBB83_187
; %bb.186:
	v_div_scale_f64 v[101:102], s[6:7], v[97:98], v[97:98], v[99:100]
	v_rcp_f64_e32 v[103:104], v[101:102]
	v_fma_f64 v[105:106], -v[101:102], v[103:104], 1.0
	v_fma_f64 v[103:104], v[103:104], v[105:106], v[103:104]
	v_div_scale_f64 v[105:106], vcc, v[99:100], v[97:98], v[99:100]
	v_fma_f64 v[107:108], -v[101:102], v[103:104], 1.0
	v_fma_f64 v[103:104], v[103:104], v[107:108], v[103:104]
	v_mul_f64 v[107:108], v[105:106], v[103:104]
	v_fma_f64 v[101:102], -v[101:102], v[107:108], v[105:106]
	v_div_fmas_f64 v[101:102], v[101:102], v[103:104], v[107:108]
	v_div_fixup_f64 v[103:104], v[101:102], v[97:98], v[99:100]
	v_fma_f64 v[97:98], v[99:100], v[103:104], v[97:98]
	v_div_scale_f64 v[99:100], s[6:7], v[97:98], v[97:98], 1.0
	v_div_scale_f64 v[107:108], vcc, 1.0, v[97:98], 1.0
	v_rcp_f64_e32 v[101:102], v[99:100]
	v_fma_f64 v[105:106], -v[99:100], v[101:102], 1.0
	v_fma_f64 v[101:102], v[101:102], v[105:106], v[101:102]
	v_fma_f64 v[105:106], -v[99:100], v[101:102], 1.0
	v_fma_f64 v[101:102], v[101:102], v[105:106], v[101:102]
	v_mul_f64 v[105:106], v[107:108], v[101:102]
	v_fma_f64 v[99:100], -v[99:100], v[105:106], v[107:108]
	v_div_fmas_f64 v[99:100], v[99:100], v[101:102], v[105:106]
	v_div_fixup_f64 v[101:102], v[99:100], v[97:98], 1.0
	v_mul_f64 v[103:104], v[103:104], -v[101:102]
.LBB83_187:
	s_or_b64 exec, exec, s[2:3]
	ds_write2_b64 v127, v[101:102], v[103:104] offset1:1
.LBB83_188:
	s_or_b64 exec, exec, s[4:5]
	s_waitcnt lgkmcnt(0)
	s_barrier
	ds_read2_b64 v[109:112], v127 offset1:1
	v_cmp_lt_u32_e32 vcc, 20, v0
	s_and_saveexec_b64 s[2:3], vcc
	s_cbranch_execz .LBB83_190
; %bb.189:
	v_mov_b32_e32 v90, v84
	v_mov_b32_e32 v89, v83
	;; [unrolled: 1-line block ×4, first 2 shown]
	s_waitcnt lgkmcnt(0)
	v_mul_f64 v[83:84], v[109:110], v[95:96]
	v_mul_f64 v[97:98], v[111:112], v[95:96]
	ds_read2_b64 v[99:102], v125 offset0:42 offset1:43
	v_fma_f64 v[95:96], v[111:112], v[93:94], v[83:84]
	buffer_load_dword v83, off, s[20:23], 0 offset:32 ; 4-byte Folded Reload
	buffer_load_dword v84, off, s[20:23], 0 offset:36 ; 4-byte Folded Reload
	;; [unrolled: 1-line block ×4, first 2 shown]
	v_fma_f64 v[97:98], v[109:110], v[93:94], -v[97:98]
	s_waitcnt lgkmcnt(0)
	v_mul_f64 v[81:82], v[101:102], v[95:96]
	v_mov_b32_e32 v93, v97
	v_mov_b32_e32 v94, v98
	v_fma_f64 v[81:82], v[99:100], v[97:98], -v[81:82]
	v_mul_f64 v[99:100], v[99:100], v[95:96]
	v_fma_f64 v[99:100], v[101:102], v[97:98], v[99:100]
	s_waitcnt vmcnt(2)
	v_add_f64 v[83:84], v[83:84], -v[81:82]
	s_waitcnt vmcnt(0)
	v_add_f64 v[85:86], v[85:86], -v[99:100]
	buffer_store_dword v83, off, s[20:23], 0 offset:32 ; 4-byte Folded Spill
	s_nop 0
	buffer_store_dword v84, off, s[20:23], 0 offset:36 ; 4-byte Folded Spill
	buffer_store_dword v85, off, s[20:23], 0 offset:40 ; 4-byte Folded Spill
	;; [unrolled: 1-line block ×3, first 2 shown]
	ds_read2_b64 v[99:102], v125 offset0:44 offset1:45
	buffer_load_dword v73, off, s[20:23], 0 offset:16 ; 4-byte Folded Reload
	buffer_load_dword v74, off, s[20:23], 0 offset:20 ; 4-byte Folded Reload
	;; [unrolled: 1-line block ×4, first 2 shown]
	s_waitcnt lgkmcnt(0)
	v_mul_f64 v[81:82], v[101:102], v[95:96]
	v_fma_f64 v[81:82], v[99:100], v[97:98], -v[81:82]
	v_mul_f64 v[99:100], v[99:100], v[95:96]
	v_fma_f64 v[99:100], v[101:102], v[97:98], v[99:100]
	s_waitcnt vmcnt(2)
	v_add_f64 v[73:74], v[73:74], -v[81:82]
	s_waitcnt vmcnt(0)
	v_add_f64 v[75:76], v[75:76], -v[99:100]
	buffer_store_dword v73, off, s[20:23], 0 offset:16 ; 4-byte Folded Spill
	s_nop 0
	buffer_store_dword v74, off, s[20:23], 0 offset:20 ; 4-byte Folded Spill
	buffer_store_dword v75, off, s[20:23], 0 offset:24 ; 4-byte Folded Spill
	;; [unrolled: 1-line block ×3, first 2 shown]
	ds_read2_b64 v[99:102], v125 offset0:46 offset1:47
	buffer_load_dword v69, off, s[20:23], 0 ; 4-byte Folded Reload
	buffer_load_dword v70, off, s[20:23], 0 offset:4 ; 4-byte Folded Reload
	buffer_load_dword v71, off, s[20:23], 0 offset:8 ; 4-byte Folded Reload
	;; [unrolled: 1-line block ×3, first 2 shown]
	s_waitcnt lgkmcnt(0)
	v_mul_f64 v[81:82], v[101:102], v[95:96]
	v_fma_f64 v[81:82], v[99:100], v[97:98], -v[81:82]
	v_mul_f64 v[99:100], v[99:100], v[95:96]
	v_fma_f64 v[99:100], v[101:102], v[97:98], v[99:100]
	s_waitcnt vmcnt(2)
	v_add_f64 v[69:70], v[69:70], -v[81:82]
	s_waitcnt vmcnt(0)
	v_add_f64 v[71:72], v[71:72], -v[99:100]
	buffer_store_dword v69, off, s[20:23], 0 ; 4-byte Folded Spill
	s_nop 0
	buffer_store_dword v70, off, s[20:23], 0 offset:4 ; 4-byte Folded Spill
	buffer_store_dword v71, off, s[20:23], 0 offset:8 ; 4-byte Folded Spill
	;; [unrolled: 1-line block ×3, first 2 shown]
	ds_read2_b64 v[99:102], v125 offset0:48 offset1:49
	s_waitcnt lgkmcnt(0)
	v_mul_f64 v[81:82], v[101:102], v[95:96]
	v_fma_f64 v[81:82], v[99:100], v[97:98], -v[81:82]
	v_mul_f64 v[99:100], v[99:100], v[95:96]
	v_add_f64 v[65:66], v[65:66], -v[81:82]
	v_fma_f64 v[99:100], v[101:102], v[97:98], v[99:100]
	v_add_f64 v[67:68], v[67:68], -v[99:100]
	ds_read2_b64 v[99:102], v125 offset0:50 offset1:51
	s_waitcnt lgkmcnt(0)
	v_mul_f64 v[81:82], v[101:102], v[95:96]
	v_fma_f64 v[81:82], v[99:100], v[97:98], -v[81:82]
	v_mul_f64 v[99:100], v[99:100], v[95:96]
	v_add_f64 v[61:62], v[61:62], -v[81:82]
	v_fma_f64 v[99:100], v[101:102], v[97:98], v[99:100]
	v_add_f64 v[63:64], v[63:64], -v[99:100]
	;; [unrolled: 8-line block ×17, first 2 shown]
	ds_read2_b64 v[99:102], v125 offset0:82 offset1:83
	s_waitcnt lgkmcnt(0)
	v_mul_f64 v[81:82], v[101:102], v[95:96]
	v_fma_f64 v[81:82], v[99:100], v[97:98], -v[81:82]
	v_mul_f64 v[99:100], v[99:100], v[95:96]
	v_add_f64 v[121:122], v[121:122], -v[81:82]
	v_fma_f64 v[99:100], v[101:102], v[97:98], v[99:100]
	v_mov_b32_e32 v81, v87
	v_mov_b32_e32 v82, v88
	;; [unrolled: 1-line block ×4, first 2 shown]
	v_add_f64 v[123:124], v[123:124], -v[99:100]
.LBB83_190:
	s_or_b64 exec, exec, s[2:3]
	v_cmp_eq_u32_e32 vcc, 21, v0
	s_waitcnt vmcnt(0) lgkmcnt(0)
	s_barrier
	s_and_saveexec_b64 s[4:5], vcc
	s_cbranch_execz .LBB83_197
; %bb.191:
	buffer_load_dword v85, off, s[20:23], 0 offset:32 ; 4-byte Folded Reload
	buffer_load_dword v86, off, s[20:23], 0 offset:36 ; 4-byte Folded Reload
	;; [unrolled: 1-line block ×4, first 2 shown]
	s_waitcnt vmcnt(0)
	ds_write2_b64 v127, v[85:86], v[87:88] offset1:1
	buffer_load_dword v73, off, s[20:23], 0 offset:16 ; 4-byte Folded Reload
	buffer_load_dword v74, off, s[20:23], 0 offset:20 ; 4-byte Folded Reload
	;; [unrolled: 1-line block ×4, first 2 shown]
	s_waitcnt vmcnt(0)
	ds_write2_b64 v125, v[73:74], v[75:76] offset0:44 offset1:45
	buffer_load_dword v69, off, s[20:23], 0 ; 4-byte Folded Reload
	buffer_load_dword v70, off, s[20:23], 0 offset:4 ; 4-byte Folded Reload
	buffer_load_dword v71, off, s[20:23], 0 offset:8 ; 4-byte Folded Reload
	;; [unrolled: 1-line block ×3, first 2 shown]
	s_waitcnt vmcnt(0)
	ds_write2_b64 v125, v[69:70], v[71:72] offset0:46 offset1:47
	ds_write2_b64 v125, v[65:66], v[67:68] offset0:48 offset1:49
	;; [unrolled: 1-line block ×19, first 2 shown]
	ds_read2_b64 v[97:100], v127 offset1:1
	s_waitcnt lgkmcnt(0)
	v_cmp_neq_f64_e32 vcc, 0, v[97:98]
	v_cmp_neq_f64_e64 s[2:3], 0, v[99:100]
	s_or_b64 s[2:3], vcc, s[2:3]
	s_and_b64 exec, exec, s[2:3]
	s_cbranch_execz .LBB83_197
; %bb.192:
	v_cmp_ngt_f64_e64 s[2:3], |v[97:98]|, |v[99:100]|
                                        ; implicit-def: $vgpr101_vgpr102
	s_and_saveexec_b64 s[6:7], s[2:3]
	s_xor_b64 s[2:3], exec, s[6:7]
                                        ; implicit-def: $vgpr103_vgpr104
	s_cbranch_execz .LBB83_194
; %bb.193:
	v_div_scale_f64 v[101:102], s[6:7], v[99:100], v[99:100], v[97:98]
	v_rcp_f64_e32 v[103:104], v[101:102]
	v_fma_f64 v[105:106], -v[101:102], v[103:104], 1.0
	v_fma_f64 v[103:104], v[103:104], v[105:106], v[103:104]
	v_div_scale_f64 v[105:106], vcc, v[97:98], v[99:100], v[97:98]
	v_fma_f64 v[107:108], -v[101:102], v[103:104], 1.0
	v_fma_f64 v[103:104], v[103:104], v[107:108], v[103:104]
	v_mul_f64 v[107:108], v[105:106], v[103:104]
	v_fma_f64 v[101:102], -v[101:102], v[107:108], v[105:106]
	v_div_fmas_f64 v[101:102], v[101:102], v[103:104], v[107:108]
	v_div_fixup_f64 v[101:102], v[101:102], v[99:100], v[97:98]
	v_fma_f64 v[97:98], v[97:98], v[101:102], v[99:100]
	v_div_scale_f64 v[99:100], s[6:7], v[97:98], v[97:98], 1.0
	v_div_scale_f64 v[107:108], vcc, 1.0, v[97:98], 1.0
	v_rcp_f64_e32 v[103:104], v[99:100]
	v_fma_f64 v[105:106], -v[99:100], v[103:104], 1.0
	v_fma_f64 v[103:104], v[103:104], v[105:106], v[103:104]
	v_fma_f64 v[105:106], -v[99:100], v[103:104], 1.0
	v_fma_f64 v[103:104], v[103:104], v[105:106], v[103:104]
	v_mul_f64 v[105:106], v[107:108], v[103:104]
	v_fma_f64 v[99:100], -v[99:100], v[105:106], v[107:108]
	v_div_fmas_f64 v[99:100], v[99:100], v[103:104], v[105:106]
	v_div_fixup_f64 v[103:104], v[99:100], v[97:98], 1.0
                                        ; implicit-def: $vgpr97_vgpr98
	v_mul_f64 v[101:102], v[101:102], v[103:104]
	v_xor_b32_e32 v104, 0x80000000, v104
.LBB83_194:
	s_andn2_saveexec_b64 s[2:3], s[2:3]
	s_cbranch_execz .LBB83_196
; %bb.195:
	v_div_scale_f64 v[101:102], s[6:7], v[97:98], v[97:98], v[99:100]
	v_rcp_f64_e32 v[103:104], v[101:102]
	v_fma_f64 v[105:106], -v[101:102], v[103:104], 1.0
	v_fma_f64 v[103:104], v[103:104], v[105:106], v[103:104]
	v_div_scale_f64 v[105:106], vcc, v[99:100], v[97:98], v[99:100]
	v_fma_f64 v[107:108], -v[101:102], v[103:104], 1.0
	v_fma_f64 v[103:104], v[103:104], v[107:108], v[103:104]
	v_mul_f64 v[107:108], v[105:106], v[103:104]
	v_fma_f64 v[101:102], -v[101:102], v[107:108], v[105:106]
	v_div_fmas_f64 v[101:102], v[101:102], v[103:104], v[107:108]
	v_div_fixup_f64 v[103:104], v[101:102], v[97:98], v[99:100]
	v_fma_f64 v[97:98], v[99:100], v[103:104], v[97:98]
	v_div_scale_f64 v[99:100], s[6:7], v[97:98], v[97:98], 1.0
	v_div_scale_f64 v[107:108], vcc, 1.0, v[97:98], 1.0
	v_rcp_f64_e32 v[101:102], v[99:100]
	v_fma_f64 v[105:106], -v[99:100], v[101:102], 1.0
	v_fma_f64 v[101:102], v[101:102], v[105:106], v[101:102]
	v_fma_f64 v[105:106], -v[99:100], v[101:102], 1.0
	v_fma_f64 v[101:102], v[101:102], v[105:106], v[101:102]
	v_mul_f64 v[105:106], v[107:108], v[101:102]
	v_fma_f64 v[99:100], -v[99:100], v[105:106], v[107:108]
	v_div_fmas_f64 v[99:100], v[99:100], v[101:102], v[105:106]
	v_div_fixup_f64 v[101:102], v[99:100], v[97:98], 1.0
	v_mul_f64 v[103:104], v[103:104], -v[101:102]
.LBB83_196:
	s_or_b64 exec, exec, s[2:3]
	ds_write2_b64 v127, v[101:102], v[103:104] offset1:1
.LBB83_197:
	s_or_b64 exec, exec, s[4:5]
	s_waitcnt lgkmcnt(0)
	s_barrier
	ds_read2_b64 v[69:72], v127 offset1:1
	v_cmp_lt_u32_e32 vcc, 21, v0
	s_waitcnt lgkmcnt(0)
	buffer_store_dword v69, off, s[20:23], 0 offset:984 ; 4-byte Folded Spill
	s_nop 0
	buffer_store_dword v70, off, s[20:23], 0 offset:988 ; 4-byte Folded Spill
	buffer_store_dword v71, off, s[20:23], 0 offset:992 ; 4-byte Folded Spill
	;; [unrolled: 1-line block ×3, first 2 shown]
	s_mov_b64 s[2:3], exec
	s_and_b64 s[4:5], s[2:3], vcc
	buffer_store_dword v77, off, s[20:23], 0 offset:320 ; 4-byte Folded Spill
	s_nop 0
	buffer_store_dword v78, off, s[20:23], 0 offset:324 ; 4-byte Folded Spill
	buffer_store_dword v79, off, s[20:23], 0 offset:328 ; 4-byte Folded Spill
	;; [unrolled: 1-line block ×3, first 2 shown]
	s_mov_b64 exec, s[4:5]
	s_cbranch_execz .LBB83_199
; %bb.198:
	buffer_load_dword v85, off, s[20:23], 0 offset:32 ; 4-byte Folded Reload
	buffer_load_dword v86, off, s[20:23], 0 offset:36 ; 4-byte Folded Reload
	;; [unrolled: 1-line block ×8, first 2 shown]
	ds_read2_b64 v[99:102], v125 offset0:44 offset1:45
	buffer_load_dword v73, off, s[20:23], 0 offset:16 ; 4-byte Folded Reload
	buffer_load_dword v74, off, s[20:23], 0 offset:20 ; 4-byte Folded Reload
	;; [unrolled: 1-line block ×4, first 2 shown]
	s_waitcnt vmcnt(6)
	v_mul_f64 v[79:80], v[69:70], v[87:88]
	s_waitcnt vmcnt(4)
	v_mul_f64 v[97:98], v[71:72], v[87:88]
	v_fma_f64 v[87:88], v[71:72], v[85:86], v[79:80]
	v_fma_f64 v[97:98], v[69:70], v[85:86], -v[97:98]
	s_waitcnt lgkmcnt(0)
	v_mul_f64 v[77:78], v[101:102], v[87:88]
	v_mov_b32_e32 v85, v97
	v_mov_b32_e32 v86, v98
	v_fma_f64 v[77:78], v[99:100], v[97:98], -v[77:78]
	v_mul_f64 v[99:100], v[99:100], v[87:88]
	s_waitcnt vmcnt(2)
	v_add_f64 v[73:74], v[73:74], -v[77:78]
	v_fma_f64 v[99:100], v[101:102], v[97:98], v[99:100]
	s_waitcnt vmcnt(0)
	v_add_f64 v[75:76], v[75:76], -v[99:100]
	buffer_store_dword v73, off, s[20:23], 0 offset:16 ; 4-byte Folded Spill
	s_nop 0
	buffer_store_dword v74, off, s[20:23], 0 offset:20 ; 4-byte Folded Spill
	buffer_store_dword v75, off, s[20:23], 0 offset:24 ; 4-byte Folded Spill
	;; [unrolled: 1-line block ×3, first 2 shown]
	ds_read2_b64 v[99:102], v125 offset0:46 offset1:47
	buffer_load_dword v69, off, s[20:23], 0 ; 4-byte Folded Reload
	buffer_load_dword v70, off, s[20:23], 0 offset:4 ; 4-byte Folded Reload
	buffer_load_dword v71, off, s[20:23], 0 offset:8 ; 4-byte Folded Reload
	;; [unrolled: 1-line block ×3, first 2 shown]
	s_waitcnt lgkmcnt(0)
	v_mul_f64 v[77:78], v[101:102], v[87:88]
	v_fma_f64 v[77:78], v[99:100], v[97:98], -v[77:78]
	v_mul_f64 v[99:100], v[99:100], v[87:88]
	v_fma_f64 v[99:100], v[101:102], v[97:98], v[99:100]
	s_waitcnt vmcnt(2)
	v_add_f64 v[69:70], v[69:70], -v[77:78]
	s_waitcnt vmcnt(0)
	v_add_f64 v[71:72], v[71:72], -v[99:100]
	buffer_store_dword v69, off, s[20:23], 0 ; 4-byte Folded Spill
	s_nop 0
	buffer_store_dword v70, off, s[20:23], 0 offset:4 ; 4-byte Folded Spill
	buffer_store_dword v71, off, s[20:23], 0 offset:8 ; 4-byte Folded Spill
	;; [unrolled: 1-line block ×3, first 2 shown]
	ds_read2_b64 v[99:102], v125 offset0:48 offset1:49
	s_waitcnt lgkmcnt(0)
	v_mul_f64 v[77:78], v[101:102], v[87:88]
	v_fma_f64 v[77:78], v[99:100], v[97:98], -v[77:78]
	v_mul_f64 v[99:100], v[99:100], v[87:88]
	v_add_f64 v[65:66], v[65:66], -v[77:78]
	v_fma_f64 v[99:100], v[101:102], v[97:98], v[99:100]
	v_add_f64 v[67:68], v[67:68], -v[99:100]
	ds_read2_b64 v[99:102], v125 offset0:50 offset1:51
	s_waitcnt lgkmcnt(0)
	v_mul_f64 v[77:78], v[101:102], v[87:88]
	v_fma_f64 v[77:78], v[99:100], v[97:98], -v[77:78]
	v_mul_f64 v[99:100], v[99:100], v[87:88]
	v_add_f64 v[61:62], v[61:62], -v[77:78]
	v_fma_f64 v[99:100], v[101:102], v[97:98], v[99:100]
	v_add_f64 v[63:64], v[63:64], -v[99:100]
	;; [unrolled: 8-line block ×17, first 2 shown]
	ds_read2_b64 v[99:102], v125 offset0:82 offset1:83
	s_waitcnt lgkmcnt(0)
	v_mul_f64 v[77:78], v[101:102], v[87:88]
	v_fma_f64 v[77:78], v[99:100], v[97:98], -v[77:78]
	v_mul_f64 v[99:100], v[99:100], v[87:88]
	v_add_f64 v[121:122], v[121:122], -v[77:78]
	buffer_load_dword v77, off, s[20:23], 0 offset:320 ; 4-byte Folded Reload
	buffer_load_dword v78, off, s[20:23], 0 offset:324 ; 4-byte Folded Reload
	;; [unrolled: 1-line block ×4, first 2 shown]
	v_fma_f64 v[99:100], v[101:102], v[97:98], v[99:100]
	buffer_store_dword v85, off, s[20:23], 0 offset:32 ; 4-byte Folded Spill
	s_nop 0
	buffer_store_dword v86, off, s[20:23], 0 offset:36 ; 4-byte Folded Spill
	buffer_store_dword v87, off, s[20:23], 0 offset:40 ; 4-byte Folded Spill
	;; [unrolled: 1-line block ×3, first 2 shown]
	v_add_f64 v[123:124], v[123:124], -v[99:100]
.LBB83_199:
	s_or_b64 exec, exec, s[2:3]
	v_cmp_eq_u32_e32 vcc, 22, v0
	s_waitcnt vmcnt(0)
	s_barrier
	s_and_saveexec_b64 s[4:5], vcc
	s_cbranch_execz .LBB83_206
; %bb.200:
	buffer_load_dword v73, off, s[20:23], 0 offset:16 ; 4-byte Folded Reload
	buffer_load_dword v74, off, s[20:23], 0 offset:20 ; 4-byte Folded Reload
	;; [unrolled: 1-line block ×4, first 2 shown]
	s_waitcnt vmcnt(0)
	ds_write2_b64 v127, v[73:74], v[75:76] offset1:1
	buffer_load_dword v69, off, s[20:23], 0 ; 4-byte Folded Reload
	buffer_load_dword v70, off, s[20:23], 0 offset:4 ; 4-byte Folded Reload
	buffer_load_dword v71, off, s[20:23], 0 offset:8 ; 4-byte Folded Reload
	;; [unrolled: 1-line block ×3, first 2 shown]
	s_waitcnt vmcnt(0)
	ds_write2_b64 v125, v[69:70], v[71:72] offset0:46 offset1:47
	ds_write2_b64 v125, v[65:66], v[67:68] offset0:48 offset1:49
	;; [unrolled: 1-line block ×19, first 2 shown]
	ds_read2_b64 v[97:100], v127 offset1:1
	s_waitcnt lgkmcnt(0)
	v_cmp_neq_f64_e32 vcc, 0, v[97:98]
	v_cmp_neq_f64_e64 s[2:3], 0, v[99:100]
	s_or_b64 s[2:3], vcc, s[2:3]
	s_and_b64 exec, exec, s[2:3]
	s_cbranch_execz .LBB83_206
; %bb.201:
	v_cmp_ngt_f64_e64 s[2:3], |v[97:98]|, |v[99:100]|
                                        ; implicit-def: $vgpr101_vgpr102
	s_and_saveexec_b64 s[6:7], s[2:3]
	s_xor_b64 s[2:3], exec, s[6:7]
                                        ; implicit-def: $vgpr103_vgpr104
	s_cbranch_execz .LBB83_203
; %bb.202:
	v_div_scale_f64 v[101:102], s[6:7], v[99:100], v[99:100], v[97:98]
	v_rcp_f64_e32 v[103:104], v[101:102]
	v_fma_f64 v[105:106], -v[101:102], v[103:104], 1.0
	v_fma_f64 v[103:104], v[103:104], v[105:106], v[103:104]
	v_div_scale_f64 v[105:106], vcc, v[97:98], v[99:100], v[97:98]
	v_fma_f64 v[107:108], -v[101:102], v[103:104], 1.0
	v_fma_f64 v[103:104], v[103:104], v[107:108], v[103:104]
	v_mul_f64 v[107:108], v[105:106], v[103:104]
	v_fma_f64 v[101:102], -v[101:102], v[107:108], v[105:106]
	v_div_fmas_f64 v[101:102], v[101:102], v[103:104], v[107:108]
	v_div_fixup_f64 v[101:102], v[101:102], v[99:100], v[97:98]
	v_fma_f64 v[97:98], v[97:98], v[101:102], v[99:100]
	v_div_scale_f64 v[99:100], s[6:7], v[97:98], v[97:98], 1.0
	v_div_scale_f64 v[107:108], vcc, 1.0, v[97:98], 1.0
	v_rcp_f64_e32 v[103:104], v[99:100]
	v_fma_f64 v[105:106], -v[99:100], v[103:104], 1.0
	v_fma_f64 v[103:104], v[103:104], v[105:106], v[103:104]
	v_fma_f64 v[105:106], -v[99:100], v[103:104], 1.0
	v_fma_f64 v[103:104], v[103:104], v[105:106], v[103:104]
	v_mul_f64 v[105:106], v[107:108], v[103:104]
	v_fma_f64 v[99:100], -v[99:100], v[105:106], v[107:108]
	v_div_fmas_f64 v[99:100], v[99:100], v[103:104], v[105:106]
	v_div_fixup_f64 v[103:104], v[99:100], v[97:98], 1.0
                                        ; implicit-def: $vgpr97_vgpr98
	v_mul_f64 v[101:102], v[101:102], v[103:104]
	v_xor_b32_e32 v104, 0x80000000, v104
.LBB83_203:
	s_andn2_saveexec_b64 s[2:3], s[2:3]
	s_cbranch_execz .LBB83_205
; %bb.204:
	v_div_scale_f64 v[101:102], s[6:7], v[97:98], v[97:98], v[99:100]
	v_rcp_f64_e32 v[103:104], v[101:102]
	v_fma_f64 v[105:106], -v[101:102], v[103:104], 1.0
	v_fma_f64 v[103:104], v[103:104], v[105:106], v[103:104]
	v_div_scale_f64 v[105:106], vcc, v[99:100], v[97:98], v[99:100]
	v_fma_f64 v[107:108], -v[101:102], v[103:104], 1.0
	v_fma_f64 v[103:104], v[103:104], v[107:108], v[103:104]
	v_mul_f64 v[107:108], v[105:106], v[103:104]
	v_fma_f64 v[101:102], -v[101:102], v[107:108], v[105:106]
	v_div_fmas_f64 v[101:102], v[101:102], v[103:104], v[107:108]
	v_div_fixup_f64 v[103:104], v[101:102], v[97:98], v[99:100]
	v_fma_f64 v[97:98], v[99:100], v[103:104], v[97:98]
	v_div_scale_f64 v[99:100], s[6:7], v[97:98], v[97:98], 1.0
	v_div_scale_f64 v[107:108], vcc, 1.0, v[97:98], 1.0
	v_rcp_f64_e32 v[101:102], v[99:100]
	v_fma_f64 v[105:106], -v[99:100], v[101:102], 1.0
	v_fma_f64 v[101:102], v[101:102], v[105:106], v[101:102]
	v_fma_f64 v[105:106], -v[99:100], v[101:102], 1.0
	v_fma_f64 v[101:102], v[101:102], v[105:106], v[101:102]
	v_mul_f64 v[105:106], v[107:108], v[101:102]
	v_fma_f64 v[99:100], -v[99:100], v[105:106], v[107:108]
	v_div_fmas_f64 v[99:100], v[99:100], v[101:102], v[105:106]
	v_div_fixup_f64 v[101:102], v[99:100], v[97:98], 1.0
	v_mul_f64 v[103:104], v[103:104], -v[101:102]
.LBB83_205:
	s_or_b64 exec, exec, s[2:3]
	ds_write2_b64 v127, v[101:102], v[103:104] offset1:1
.LBB83_206:
	s_or_b64 exec, exec, s[4:5]
	s_waitcnt lgkmcnt(0)
	s_barrier
	ds_read2_b64 v[85:88], v127 offset1:1
	v_cmp_lt_u32_e32 vcc, 22, v0
	s_and_saveexec_b64 s[2:3], vcc
	s_cbranch_execz .LBB83_208
; %bb.207:
	buffer_load_dword v73, off, s[20:23], 0 offset:16 ; 4-byte Folded Reload
	buffer_load_dword v74, off, s[20:23], 0 offset:20 ; 4-byte Folded Reload
	;; [unrolled: 1-line block ×4, first 2 shown]
	ds_read2_b64 v[99:102], v125 offset0:46 offset1:47
	buffer_load_dword v69, off, s[20:23], 0 ; 4-byte Folded Reload
	buffer_load_dword v70, off, s[20:23], 0 offset:4 ; 4-byte Folded Reload
	buffer_load_dword v71, off, s[20:23], 0 offset:8 ; 4-byte Folded Reload
	;; [unrolled: 1-line block ×3, first 2 shown]
	s_waitcnt vmcnt(4) lgkmcnt(1)
	v_mul_f64 v[97:98], v[87:88], v[75:76]
	v_mul_f64 v[75:76], v[85:86], v[75:76]
	v_fma_f64 v[97:98], v[85:86], v[73:74], -v[97:98]
	v_fma_f64 v[75:76], v[87:88], v[73:74], v[75:76]
	s_waitcnt lgkmcnt(0)
	v_mul_f64 v[73:74], v[101:102], v[75:76]
	v_fma_f64 v[73:74], v[99:100], v[97:98], -v[73:74]
	v_mul_f64 v[99:100], v[99:100], v[75:76]
	s_waitcnt vmcnt(2)
	v_add_f64 v[69:70], v[69:70], -v[73:74]
	v_fma_f64 v[99:100], v[101:102], v[97:98], v[99:100]
	s_waitcnt vmcnt(0)
	v_add_f64 v[71:72], v[71:72], -v[99:100]
	buffer_store_dword v69, off, s[20:23], 0 ; 4-byte Folded Spill
	s_nop 0
	buffer_store_dword v70, off, s[20:23], 0 offset:4 ; 4-byte Folded Spill
	buffer_store_dword v71, off, s[20:23], 0 offset:8 ; 4-byte Folded Spill
	;; [unrolled: 1-line block ×3, first 2 shown]
	ds_read2_b64 v[99:102], v125 offset0:48 offset1:49
	s_waitcnt lgkmcnt(0)
	v_mul_f64 v[73:74], v[101:102], v[75:76]
	v_fma_f64 v[73:74], v[99:100], v[97:98], -v[73:74]
	v_mul_f64 v[99:100], v[99:100], v[75:76]
	v_add_f64 v[65:66], v[65:66], -v[73:74]
	v_fma_f64 v[99:100], v[101:102], v[97:98], v[99:100]
	v_add_f64 v[67:68], v[67:68], -v[99:100]
	ds_read2_b64 v[99:102], v125 offset0:50 offset1:51
	s_waitcnt lgkmcnt(0)
	v_mul_f64 v[73:74], v[101:102], v[75:76]
	v_fma_f64 v[73:74], v[99:100], v[97:98], -v[73:74]
	v_mul_f64 v[99:100], v[99:100], v[75:76]
	v_add_f64 v[61:62], v[61:62], -v[73:74]
	v_fma_f64 v[99:100], v[101:102], v[97:98], v[99:100]
	v_add_f64 v[63:64], v[63:64], -v[99:100]
	;; [unrolled: 8-line block ×17, first 2 shown]
	ds_read2_b64 v[99:102], v125 offset0:82 offset1:83
	s_waitcnt lgkmcnt(0)
	v_mul_f64 v[73:74], v[101:102], v[75:76]
	v_fma_f64 v[73:74], v[99:100], v[97:98], -v[73:74]
	v_mul_f64 v[99:100], v[99:100], v[75:76]
	v_add_f64 v[121:122], v[121:122], -v[73:74]
	v_fma_f64 v[99:100], v[101:102], v[97:98], v[99:100]
	v_mov_b32_e32 v73, v97
	v_mov_b32_e32 v74, v98
	buffer_store_dword v73, off, s[20:23], 0 offset:16 ; 4-byte Folded Spill
	s_nop 0
	buffer_store_dword v74, off, s[20:23], 0 offset:20 ; 4-byte Folded Spill
	buffer_store_dword v75, off, s[20:23], 0 offset:24 ; 4-byte Folded Spill
	;; [unrolled: 1-line block ×3, first 2 shown]
	v_add_f64 v[123:124], v[123:124], -v[99:100]
.LBB83_208:
	s_or_b64 exec, exec, s[2:3]
	v_cmp_eq_u32_e32 vcc, 23, v0
	s_waitcnt vmcnt(0) lgkmcnt(0)
	s_barrier
	s_and_saveexec_b64 s[4:5], vcc
	s_cbranch_execz .LBB83_215
; %bb.209:
	buffer_load_dword v69, off, s[20:23], 0 ; 4-byte Folded Reload
	buffer_load_dword v70, off, s[20:23], 0 offset:4 ; 4-byte Folded Reload
	buffer_load_dword v71, off, s[20:23], 0 offset:8 ; 4-byte Folded Reload
	;; [unrolled: 1-line block ×3, first 2 shown]
	s_waitcnt vmcnt(0)
	ds_write2_b64 v127, v[69:70], v[71:72] offset1:1
	ds_write2_b64 v125, v[65:66], v[67:68] offset0:48 offset1:49
	ds_write2_b64 v125, v[61:62], v[63:64] offset0:50 offset1:51
	;; [unrolled: 1-line block ×18, first 2 shown]
	ds_read2_b64 v[97:100], v127 offset1:1
	s_waitcnt lgkmcnt(0)
	v_cmp_neq_f64_e32 vcc, 0, v[97:98]
	v_cmp_neq_f64_e64 s[2:3], 0, v[99:100]
	s_or_b64 s[2:3], vcc, s[2:3]
	s_and_b64 exec, exec, s[2:3]
	s_cbranch_execz .LBB83_215
; %bb.210:
	v_cmp_ngt_f64_e64 s[2:3], |v[97:98]|, |v[99:100]|
                                        ; implicit-def: $vgpr101_vgpr102
	s_and_saveexec_b64 s[6:7], s[2:3]
	s_xor_b64 s[2:3], exec, s[6:7]
                                        ; implicit-def: $vgpr103_vgpr104
	s_cbranch_execz .LBB83_212
; %bb.211:
	v_div_scale_f64 v[101:102], s[6:7], v[99:100], v[99:100], v[97:98]
	v_rcp_f64_e32 v[103:104], v[101:102]
	v_fma_f64 v[105:106], -v[101:102], v[103:104], 1.0
	v_fma_f64 v[103:104], v[103:104], v[105:106], v[103:104]
	v_div_scale_f64 v[105:106], vcc, v[97:98], v[99:100], v[97:98]
	v_fma_f64 v[107:108], -v[101:102], v[103:104], 1.0
	v_fma_f64 v[103:104], v[103:104], v[107:108], v[103:104]
	v_mul_f64 v[107:108], v[105:106], v[103:104]
	v_fma_f64 v[101:102], -v[101:102], v[107:108], v[105:106]
	v_div_fmas_f64 v[101:102], v[101:102], v[103:104], v[107:108]
	v_div_fixup_f64 v[101:102], v[101:102], v[99:100], v[97:98]
	v_fma_f64 v[97:98], v[97:98], v[101:102], v[99:100]
	v_div_scale_f64 v[99:100], s[6:7], v[97:98], v[97:98], 1.0
	v_div_scale_f64 v[107:108], vcc, 1.0, v[97:98], 1.0
	v_rcp_f64_e32 v[103:104], v[99:100]
	v_fma_f64 v[105:106], -v[99:100], v[103:104], 1.0
	v_fma_f64 v[103:104], v[103:104], v[105:106], v[103:104]
	v_fma_f64 v[105:106], -v[99:100], v[103:104], 1.0
	v_fma_f64 v[103:104], v[103:104], v[105:106], v[103:104]
	v_mul_f64 v[105:106], v[107:108], v[103:104]
	v_fma_f64 v[99:100], -v[99:100], v[105:106], v[107:108]
	v_div_fmas_f64 v[99:100], v[99:100], v[103:104], v[105:106]
	v_div_fixup_f64 v[103:104], v[99:100], v[97:98], 1.0
                                        ; implicit-def: $vgpr97_vgpr98
	v_mul_f64 v[101:102], v[101:102], v[103:104]
	v_xor_b32_e32 v104, 0x80000000, v104
.LBB83_212:
	s_andn2_saveexec_b64 s[2:3], s[2:3]
	s_cbranch_execz .LBB83_214
; %bb.213:
	v_div_scale_f64 v[101:102], s[6:7], v[97:98], v[97:98], v[99:100]
	v_rcp_f64_e32 v[103:104], v[101:102]
	v_fma_f64 v[105:106], -v[101:102], v[103:104], 1.0
	v_fma_f64 v[103:104], v[103:104], v[105:106], v[103:104]
	v_div_scale_f64 v[105:106], vcc, v[99:100], v[97:98], v[99:100]
	v_fma_f64 v[107:108], -v[101:102], v[103:104], 1.0
	v_fma_f64 v[103:104], v[103:104], v[107:108], v[103:104]
	v_mul_f64 v[107:108], v[105:106], v[103:104]
	v_fma_f64 v[101:102], -v[101:102], v[107:108], v[105:106]
	v_div_fmas_f64 v[101:102], v[101:102], v[103:104], v[107:108]
	v_div_fixup_f64 v[103:104], v[101:102], v[97:98], v[99:100]
	v_fma_f64 v[97:98], v[99:100], v[103:104], v[97:98]
	v_div_scale_f64 v[99:100], s[6:7], v[97:98], v[97:98], 1.0
	v_div_scale_f64 v[107:108], vcc, 1.0, v[97:98], 1.0
	v_rcp_f64_e32 v[101:102], v[99:100]
	v_fma_f64 v[105:106], -v[99:100], v[101:102], 1.0
	v_fma_f64 v[101:102], v[101:102], v[105:106], v[101:102]
	v_fma_f64 v[105:106], -v[99:100], v[101:102], 1.0
	v_fma_f64 v[101:102], v[101:102], v[105:106], v[101:102]
	v_mul_f64 v[105:106], v[107:108], v[101:102]
	v_fma_f64 v[99:100], -v[99:100], v[105:106], v[107:108]
	v_div_fmas_f64 v[99:100], v[99:100], v[101:102], v[105:106]
	v_div_fixup_f64 v[101:102], v[99:100], v[97:98], 1.0
	v_mul_f64 v[103:104], v[103:104], -v[101:102]
.LBB83_214:
	s_or_b64 exec, exec, s[2:3]
	ds_write2_b64 v127, v[101:102], v[103:104] offset1:1
.LBB83_215:
	s_or_b64 exec, exec, s[4:5]
	s_waitcnt lgkmcnt(0)
	s_barrier
	ds_read2_b64 v[73:76], v127 offset1:1
	v_cmp_lt_u32_e32 vcc, 23, v0
	s_and_saveexec_b64 s[2:3], vcc
	s_cbranch_execz .LBB83_217
; %bb.216:
	buffer_load_dword v69, off, s[20:23], 0 ; 4-byte Folded Reload
	buffer_load_dword v70, off, s[20:23], 0 offset:4 ; 4-byte Folded Reload
	buffer_load_dword v71, off, s[20:23], 0 offset:8 ; 4-byte Folded Reload
	;; [unrolled: 1-line block ×3, first 2 shown]
	ds_read2_b64 v[99:102], v125 offset0:48 offset1:49
	s_waitcnt vmcnt(0) lgkmcnt(1)
	v_mul_f64 v[97:98], v[75:76], v[71:72]
	v_mul_f64 v[71:72], v[73:74], v[71:72]
	v_fma_f64 v[97:98], v[73:74], v[69:70], -v[97:98]
	v_fma_f64 v[71:72], v[75:76], v[69:70], v[71:72]
	s_waitcnt lgkmcnt(0)
	v_mul_f64 v[69:70], v[101:102], v[71:72]
	v_fma_f64 v[69:70], v[99:100], v[97:98], -v[69:70]
	v_mul_f64 v[99:100], v[99:100], v[71:72]
	v_add_f64 v[65:66], v[65:66], -v[69:70]
	v_fma_f64 v[99:100], v[101:102], v[97:98], v[99:100]
	v_add_f64 v[67:68], v[67:68], -v[99:100]
	ds_read2_b64 v[99:102], v125 offset0:50 offset1:51
	s_waitcnt lgkmcnt(0)
	v_mul_f64 v[69:70], v[101:102], v[71:72]
	v_fma_f64 v[69:70], v[99:100], v[97:98], -v[69:70]
	v_mul_f64 v[99:100], v[99:100], v[71:72]
	v_add_f64 v[61:62], v[61:62], -v[69:70]
	v_fma_f64 v[99:100], v[101:102], v[97:98], v[99:100]
	v_add_f64 v[63:64], v[63:64], -v[99:100]
	ds_read2_b64 v[99:102], v125 offset0:52 offset1:53
	;; [unrolled: 8-line block ×17, first 2 shown]
	s_waitcnt lgkmcnt(0)
	v_mul_f64 v[69:70], v[101:102], v[71:72]
	v_fma_f64 v[69:70], v[99:100], v[97:98], -v[69:70]
	v_mul_f64 v[99:100], v[99:100], v[71:72]
	v_add_f64 v[121:122], v[121:122], -v[69:70]
	v_fma_f64 v[99:100], v[101:102], v[97:98], v[99:100]
	v_mov_b32_e32 v69, v97
	v_mov_b32_e32 v70, v98
	buffer_store_dword v69, off, s[20:23], 0 ; 4-byte Folded Spill
	s_nop 0
	buffer_store_dword v70, off, s[20:23], 0 offset:4 ; 4-byte Folded Spill
	buffer_store_dword v71, off, s[20:23], 0 offset:8 ; 4-byte Folded Spill
	buffer_store_dword v72, off, s[20:23], 0 offset:12 ; 4-byte Folded Spill
	v_add_f64 v[123:124], v[123:124], -v[99:100]
.LBB83_217:
	s_or_b64 exec, exec, s[2:3]
	v_cmp_eq_u32_e32 vcc, 24, v0
	s_waitcnt vmcnt(0) lgkmcnt(0)
	s_barrier
	s_and_saveexec_b64 s[4:5], vcc
	s_cbranch_execz .LBB83_224
; %bb.218:
	ds_write2_b64 v127, v[65:66], v[67:68] offset1:1
	ds_write2_b64 v125, v[61:62], v[63:64] offset0:50 offset1:51
	ds_write2_b64 v125, v[57:58], v[59:60] offset0:52 offset1:53
	;; [unrolled: 1-line block ×17, first 2 shown]
	ds_read2_b64 v[97:100], v127 offset1:1
	s_waitcnt lgkmcnt(0)
	v_cmp_neq_f64_e32 vcc, 0, v[97:98]
	v_cmp_neq_f64_e64 s[2:3], 0, v[99:100]
	s_or_b64 s[2:3], vcc, s[2:3]
	s_and_b64 exec, exec, s[2:3]
	s_cbranch_execz .LBB83_224
; %bb.219:
	v_cmp_ngt_f64_e64 s[2:3], |v[97:98]|, |v[99:100]|
                                        ; implicit-def: $vgpr101_vgpr102
	s_and_saveexec_b64 s[6:7], s[2:3]
	s_xor_b64 s[2:3], exec, s[6:7]
                                        ; implicit-def: $vgpr103_vgpr104
	s_cbranch_execz .LBB83_221
; %bb.220:
	v_div_scale_f64 v[101:102], s[6:7], v[99:100], v[99:100], v[97:98]
	v_rcp_f64_e32 v[103:104], v[101:102]
	v_fma_f64 v[105:106], -v[101:102], v[103:104], 1.0
	v_fma_f64 v[103:104], v[103:104], v[105:106], v[103:104]
	v_div_scale_f64 v[105:106], vcc, v[97:98], v[99:100], v[97:98]
	v_fma_f64 v[107:108], -v[101:102], v[103:104], 1.0
	v_fma_f64 v[103:104], v[103:104], v[107:108], v[103:104]
	v_mul_f64 v[107:108], v[105:106], v[103:104]
	v_fma_f64 v[101:102], -v[101:102], v[107:108], v[105:106]
	v_div_fmas_f64 v[101:102], v[101:102], v[103:104], v[107:108]
	v_div_fixup_f64 v[101:102], v[101:102], v[99:100], v[97:98]
	v_fma_f64 v[97:98], v[97:98], v[101:102], v[99:100]
	v_div_scale_f64 v[99:100], s[6:7], v[97:98], v[97:98], 1.0
	v_div_scale_f64 v[107:108], vcc, 1.0, v[97:98], 1.0
	v_rcp_f64_e32 v[103:104], v[99:100]
	v_fma_f64 v[105:106], -v[99:100], v[103:104], 1.0
	v_fma_f64 v[103:104], v[103:104], v[105:106], v[103:104]
	v_fma_f64 v[105:106], -v[99:100], v[103:104], 1.0
	v_fma_f64 v[103:104], v[103:104], v[105:106], v[103:104]
	v_mul_f64 v[105:106], v[107:108], v[103:104]
	v_fma_f64 v[99:100], -v[99:100], v[105:106], v[107:108]
	v_div_fmas_f64 v[99:100], v[99:100], v[103:104], v[105:106]
	v_div_fixup_f64 v[103:104], v[99:100], v[97:98], 1.0
                                        ; implicit-def: $vgpr97_vgpr98
	v_mul_f64 v[101:102], v[101:102], v[103:104]
	v_xor_b32_e32 v104, 0x80000000, v104
.LBB83_221:
	s_andn2_saveexec_b64 s[2:3], s[2:3]
	s_cbranch_execz .LBB83_223
; %bb.222:
	v_div_scale_f64 v[101:102], s[6:7], v[97:98], v[97:98], v[99:100]
	v_rcp_f64_e32 v[103:104], v[101:102]
	v_fma_f64 v[105:106], -v[101:102], v[103:104], 1.0
	v_fma_f64 v[103:104], v[103:104], v[105:106], v[103:104]
	v_div_scale_f64 v[105:106], vcc, v[99:100], v[97:98], v[99:100]
	v_fma_f64 v[107:108], -v[101:102], v[103:104], 1.0
	v_fma_f64 v[103:104], v[103:104], v[107:108], v[103:104]
	v_mul_f64 v[107:108], v[105:106], v[103:104]
	v_fma_f64 v[101:102], -v[101:102], v[107:108], v[105:106]
	v_div_fmas_f64 v[101:102], v[101:102], v[103:104], v[107:108]
	v_div_fixup_f64 v[103:104], v[101:102], v[97:98], v[99:100]
	v_fma_f64 v[97:98], v[99:100], v[103:104], v[97:98]
	v_div_scale_f64 v[99:100], s[6:7], v[97:98], v[97:98], 1.0
	v_div_scale_f64 v[107:108], vcc, 1.0, v[97:98], 1.0
	v_rcp_f64_e32 v[101:102], v[99:100]
	v_fma_f64 v[105:106], -v[99:100], v[101:102], 1.0
	v_fma_f64 v[101:102], v[101:102], v[105:106], v[101:102]
	v_fma_f64 v[105:106], -v[99:100], v[101:102], 1.0
	v_fma_f64 v[101:102], v[101:102], v[105:106], v[101:102]
	v_mul_f64 v[105:106], v[107:108], v[101:102]
	v_fma_f64 v[99:100], -v[99:100], v[105:106], v[107:108]
	v_div_fmas_f64 v[99:100], v[99:100], v[101:102], v[105:106]
	v_div_fixup_f64 v[101:102], v[99:100], v[97:98], 1.0
	v_mul_f64 v[103:104], v[103:104], -v[101:102]
.LBB83_223:
	s_or_b64 exec, exec, s[2:3]
	ds_write2_b64 v127, v[101:102], v[103:104] offset1:1
.LBB83_224:
	s_or_b64 exec, exec, s[4:5]
	s_waitcnt lgkmcnt(0)
	s_barrier
	ds_read2_b64 v[69:72], v127 offset1:1
	v_cmp_lt_u32_e32 vcc, 24, v0
	s_and_saveexec_b64 s[2:3], vcc
	s_cbranch_execz .LBB83_226
; %bb.225:
	s_waitcnt lgkmcnt(0)
	v_mul_f64 v[97:98], v[71:72], v[67:68]
	v_mul_f64 v[67:68], v[69:70], v[67:68]
	ds_read2_b64 v[99:102], v125 offset0:50 offset1:51
	v_fma_f64 v[97:98], v[69:70], v[65:66], -v[97:98]
	v_fma_f64 v[67:68], v[71:72], v[65:66], v[67:68]
	s_waitcnt lgkmcnt(0)
	v_mul_f64 v[65:66], v[101:102], v[67:68]
	v_fma_f64 v[65:66], v[99:100], v[97:98], -v[65:66]
	v_mul_f64 v[99:100], v[99:100], v[67:68]
	v_add_f64 v[61:62], v[61:62], -v[65:66]
	v_fma_f64 v[99:100], v[101:102], v[97:98], v[99:100]
	v_add_f64 v[63:64], v[63:64], -v[99:100]
	ds_read2_b64 v[99:102], v125 offset0:52 offset1:53
	s_waitcnt lgkmcnt(0)
	v_mul_f64 v[65:66], v[101:102], v[67:68]
	v_fma_f64 v[65:66], v[99:100], v[97:98], -v[65:66]
	v_mul_f64 v[99:100], v[99:100], v[67:68]
	v_add_f64 v[57:58], v[57:58], -v[65:66]
	v_fma_f64 v[99:100], v[101:102], v[97:98], v[99:100]
	v_add_f64 v[59:60], v[59:60], -v[99:100]
	ds_read2_b64 v[99:102], v125 offset0:54 offset1:55
	;; [unrolled: 8-line block ×16, first 2 shown]
	s_waitcnt lgkmcnt(0)
	v_mul_f64 v[65:66], v[101:102], v[67:68]
	v_fma_f64 v[65:66], v[99:100], v[97:98], -v[65:66]
	v_mul_f64 v[99:100], v[99:100], v[67:68]
	v_add_f64 v[121:122], v[121:122], -v[65:66]
	v_fma_f64 v[99:100], v[101:102], v[97:98], v[99:100]
	v_mov_b32_e32 v65, v97
	v_mov_b32_e32 v66, v98
	v_add_f64 v[123:124], v[123:124], -v[99:100]
.LBB83_226:
	s_or_b64 exec, exec, s[2:3]
	v_cmp_eq_u32_e32 vcc, 25, v0
	s_waitcnt lgkmcnt(0)
	s_barrier
	s_and_saveexec_b64 s[4:5], vcc
	s_cbranch_execz .LBB83_233
; %bb.227:
	ds_write2_b64 v127, v[61:62], v[63:64] offset1:1
	ds_write2_b64 v125, v[57:58], v[59:60] offset0:52 offset1:53
	ds_write2_b64 v125, v[53:54], v[55:56] offset0:54 offset1:55
	;; [unrolled: 1-line block ×16, first 2 shown]
	ds_read2_b64 v[97:100], v127 offset1:1
	s_waitcnt lgkmcnt(0)
	v_cmp_neq_f64_e32 vcc, 0, v[97:98]
	v_cmp_neq_f64_e64 s[2:3], 0, v[99:100]
	s_or_b64 s[2:3], vcc, s[2:3]
	s_and_b64 exec, exec, s[2:3]
	s_cbranch_execz .LBB83_233
; %bb.228:
	v_cmp_ngt_f64_e64 s[2:3], |v[97:98]|, |v[99:100]|
                                        ; implicit-def: $vgpr101_vgpr102
	s_and_saveexec_b64 s[6:7], s[2:3]
	s_xor_b64 s[2:3], exec, s[6:7]
                                        ; implicit-def: $vgpr103_vgpr104
	s_cbranch_execz .LBB83_230
; %bb.229:
	v_div_scale_f64 v[101:102], s[6:7], v[99:100], v[99:100], v[97:98]
	v_rcp_f64_e32 v[103:104], v[101:102]
	v_fma_f64 v[105:106], -v[101:102], v[103:104], 1.0
	v_fma_f64 v[103:104], v[103:104], v[105:106], v[103:104]
	v_div_scale_f64 v[105:106], vcc, v[97:98], v[99:100], v[97:98]
	v_fma_f64 v[107:108], -v[101:102], v[103:104], 1.0
	v_fma_f64 v[103:104], v[103:104], v[107:108], v[103:104]
	v_mul_f64 v[107:108], v[105:106], v[103:104]
	v_fma_f64 v[101:102], -v[101:102], v[107:108], v[105:106]
	v_div_fmas_f64 v[101:102], v[101:102], v[103:104], v[107:108]
	v_div_fixup_f64 v[101:102], v[101:102], v[99:100], v[97:98]
	v_fma_f64 v[97:98], v[97:98], v[101:102], v[99:100]
	v_div_scale_f64 v[99:100], s[6:7], v[97:98], v[97:98], 1.0
	v_div_scale_f64 v[107:108], vcc, 1.0, v[97:98], 1.0
	v_rcp_f64_e32 v[103:104], v[99:100]
	v_fma_f64 v[105:106], -v[99:100], v[103:104], 1.0
	v_fma_f64 v[103:104], v[103:104], v[105:106], v[103:104]
	v_fma_f64 v[105:106], -v[99:100], v[103:104], 1.0
	v_fma_f64 v[103:104], v[103:104], v[105:106], v[103:104]
	v_mul_f64 v[105:106], v[107:108], v[103:104]
	v_fma_f64 v[99:100], -v[99:100], v[105:106], v[107:108]
	v_div_fmas_f64 v[99:100], v[99:100], v[103:104], v[105:106]
	v_div_fixup_f64 v[103:104], v[99:100], v[97:98], 1.0
                                        ; implicit-def: $vgpr97_vgpr98
	v_mul_f64 v[101:102], v[101:102], v[103:104]
	v_xor_b32_e32 v104, 0x80000000, v104
.LBB83_230:
	s_andn2_saveexec_b64 s[2:3], s[2:3]
	s_cbranch_execz .LBB83_232
; %bb.231:
	v_div_scale_f64 v[101:102], s[6:7], v[97:98], v[97:98], v[99:100]
	v_rcp_f64_e32 v[103:104], v[101:102]
	v_fma_f64 v[105:106], -v[101:102], v[103:104], 1.0
	v_fma_f64 v[103:104], v[103:104], v[105:106], v[103:104]
	v_div_scale_f64 v[105:106], vcc, v[99:100], v[97:98], v[99:100]
	v_fma_f64 v[107:108], -v[101:102], v[103:104], 1.0
	v_fma_f64 v[103:104], v[103:104], v[107:108], v[103:104]
	v_mul_f64 v[107:108], v[105:106], v[103:104]
	v_fma_f64 v[101:102], -v[101:102], v[107:108], v[105:106]
	v_div_fmas_f64 v[101:102], v[101:102], v[103:104], v[107:108]
	v_div_fixup_f64 v[103:104], v[101:102], v[97:98], v[99:100]
	v_fma_f64 v[97:98], v[99:100], v[103:104], v[97:98]
	v_div_scale_f64 v[99:100], s[6:7], v[97:98], v[97:98], 1.0
	v_div_scale_f64 v[107:108], vcc, 1.0, v[97:98], 1.0
	v_rcp_f64_e32 v[101:102], v[99:100]
	v_fma_f64 v[105:106], -v[99:100], v[101:102], 1.0
	v_fma_f64 v[101:102], v[101:102], v[105:106], v[101:102]
	v_fma_f64 v[105:106], -v[99:100], v[101:102], 1.0
	v_fma_f64 v[101:102], v[101:102], v[105:106], v[101:102]
	v_mul_f64 v[105:106], v[107:108], v[101:102]
	v_fma_f64 v[99:100], -v[99:100], v[105:106], v[107:108]
	v_div_fmas_f64 v[99:100], v[99:100], v[101:102], v[105:106]
	v_div_fixup_f64 v[101:102], v[99:100], v[97:98], 1.0
	v_mul_f64 v[103:104], v[103:104], -v[101:102]
.LBB83_232:
	s_or_b64 exec, exec, s[2:3]
	ds_write2_b64 v127, v[101:102], v[103:104] offset1:1
.LBB83_233:
	s_or_b64 exec, exec, s[4:5]
	s_waitcnt lgkmcnt(0)
	s_barrier
	ds_read2_b64 v[97:100], v127 offset1:1
	v_cmp_lt_u32_e32 vcc, 25, v0
	s_waitcnt lgkmcnt(0)
	buffer_store_dword v97, off, s[20:23], 0 offset:1000 ; 4-byte Folded Spill
	s_nop 0
	buffer_store_dword v98, off, s[20:23], 0 offset:1004 ; 4-byte Folded Spill
	buffer_store_dword v99, off, s[20:23], 0 offset:1008 ; 4-byte Folded Spill
	;; [unrolled: 1-line block ×3, first 2 shown]
	s_and_saveexec_b64 s[2:3], vcc
	s_cbranch_execz .LBB83_235
; %bb.234:
	buffer_load_dword v99, off, s[20:23], 0 offset:1000 ; 4-byte Folded Reload
	buffer_load_dword v100, off, s[20:23], 0 offset:1004 ; 4-byte Folded Reload
	;; [unrolled: 1-line block ×4, first 2 shown]
	s_waitcnt vmcnt(2)
	v_mul_f64 v[97:98], v[99:100], v[63:64]
	s_waitcnt vmcnt(0)
	v_mul_f64 v[63:64], v[101:102], v[63:64]
	v_fma_f64 v[97:98], v[101:102], v[61:62], v[97:98]
	v_fma_f64 v[61:62], v[99:100], v[61:62], -v[63:64]
	ds_read2_b64 v[99:102], v125 offset0:52 offset1:53
	s_waitcnt lgkmcnt(0)
	v_mul_f64 v[63:64], v[101:102], v[97:98]
	v_fma_f64 v[63:64], v[99:100], v[61:62], -v[63:64]
	v_mul_f64 v[99:100], v[99:100], v[97:98]
	v_add_f64 v[57:58], v[57:58], -v[63:64]
	v_fma_f64 v[99:100], v[101:102], v[61:62], v[99:100]
	v_add_f64 v[59:60], v[59:60], -v[99:100]
	ds_read2_b64 v[99:102], v125 offset0:54 offset1:55
	s_waitcnt lgkmcnt(0)
	v_mul_f64 v[63:64], v[101:102], v[97:98]
	v_fma_f64 v[63:64], v[99:100], v[61:62], -v[63:64]
	v_mul_f64 v[99:100], v[99:100], v[97:98]
	v_add_f64 v[53:54], v[53:54], -v[63:64]
	v_fma_f64 v[99:100], v[101:102], v[61:62], v[99:100]
	v_add_f64 v[55:56], v[55:56], -v[99:100]
	ds_read2_b64 v[99:102], v125 offset0:56 offset1:57
	s_waitcnt lgkmcnt(0)
	v_mul_f64 v[63:64], v[101:102], v[97:98]
	v_fma_f64 v[63:64], v[99:100], v[61:62], -v[63:64]
	v_mul_f64 v[99:100], v[99:100], v[97:98]
	v_add_f64 v[49:50], v[49:50], -v[63:64]
	v_fma_f64 v[99:100], v[101:102], v[61:62], v[99:100]
	v_add_f64 v[51:52], v[51:52], -v[99:100]
	ds_read2_b64 v[99:102], v125 offset0:58 offset1:59
	s_waitcnt lgkmcnt(0)
	v_mul_f64 v[63:64], v[101:102], v[97:98]
	v_fma_f64 v[63:64], v[99:100], v[61:62], -v[63:64]
	v_mul_f64 v[99:100], v[99:100], v[97:98]
	v_add_f64 v[45:46], v[45:46], -v[63:64]
	v_fma_f64 v[99:100], v[101:102], v[61:62], v[99:100]
	v_add_f64 v[47:48], v[47:48], -v[99:100]
	ds_read2_b64 v[99:102], v125 offset0:60 offset1:61
	s_waitcnt lgkmcnt(0)
	v_mul_f64 v[63:64], v[101:102], v[97:98]
	v_fma_f64 v[63:64], v[99:100], v[61:62], -v[63:64]
	v_mul_f64 v[99:100], v[99:100], v[97:98]
	v_add_f64 v[41:42], v[41:42], -v[63:64]
	v_fma_f64 v[99:100], v[101:102], v[61:62], v[99:100]
	v_add_f64 v[43:44], v[43:44], -v[99:100]
	ds_read2_b64 v[99:102], v125 offset0:62 offset1:63
	s_waitcnt lgkmcnt(0)
	v_mul_f64 v[63:64], v[101:102], v[97:98]
	v_fma_f64 v[63:64], v[99:100], v[61:62], -v[63:64]
	v_mul_f64 v[99:100], v[99:100], v[97:98]
	v_add_f64 v[37:38], v[37:38], -v[63:64]
	v_fma_f64 v[99:100], v[101:102], v[61:62], v[99:100]
	v_add_f64 v[39:40], v[39:40], -v[99:100]
	ds_read2_b64 v[99:102], v125 offset0:64 offset1:65
	s_waitcnt lgkmcnt(0)
	v_mul_f64 v[63:64], v[101:102], v[97:98]
	v_fma_f64 v[63:64], v[99:100], v[61:62], -v[63:64]
	v_mul_f64 v[99:100], v[99:100], v[97:98]
	v_add_f64 v[33:34], v[33:34], -v[63:64]
	v_fma_f64 v[99:100], v[101:102], v[61:62], v[99:100]
	v_add_f64 v[35:36], v[35:36], -v[99:100]
	ds_read2_b64 v[99:102], v125 offset0:66 offset1:67
	s_waitcnt lgkmcnt(0)
	v_mul_f64 v[63:64], v[101:102], v[97:98]
	v_fma_f64 v[63:64], v[99:100], v[61:62], -v[63:64]
	v_mul_f64 v[99:100], v[99:100], v[97:98]
	v_add_f64 v[29:30], v[29:30], -v[63:64]
	v_fma_f64 v[99:100], v[101:102], v[61:62], v[99:100]
	v_add_f64 v[31:32], v[31:32], -v[99:100]
	ds_read2_b64 v[99:102], v125 offset0:68 offset1:69
	s_waitcnt lgkmcnt(0)
	v_mul_f64 v[63:64], v[101:102], v[97:98]
	v_fma_f64 v[63:64], v[99:100], v[61:62], -v[63:64]
	v_mul_f64 v[99:100], v[99:100], v[97:98]
	v_add_f64 v[25:26], v[25:26], -v[63:64]
	v_fma_f64 v[99:100], v[101:102], v[61:62], v[99:100]
	v_add_f64 v[27:28], v[27:28], -v[99:100]
	ds_read2_b64 v[99:102], v125 offset0:70 offset1:71
	s_waitcnt lgkmcnt(0)
	v_mul_f64 v[63:64], v[101:102], v[97:98]
	v_fma_f64 v[63:64], v[99:100], v[61:62], -v[63:64]
	v_mul_f64 v[99:100], v[99:100], v[97:98]
	v_add_f64 v[21:22], v[21:22], -v[63:64]
	v_fma_f64 v[99:100], v[101:102], v[61:62], v[99:100]
	v_add_f64 v[23:24], v[23:24], -v[99:100]
	ds_read2_b64 v[99:102], v125 offset0:72 offset1:73
	s_waitcnt lgkmcnt(0)
	v_mul_f64 v[63:64], v[101:102], v[97:98]
	v_fma_f64 v[63:64], v[99:100], v[61:62], -v[63:64]
	v_mul_f64 v[99:100], v[99:100], v[97:98]
	v_add_f64 v[17:18], v[17:18], -v[63:64]
	v_fma_f64 v[99:100], v[101:102], v[61:62], v[99:100]
	v_add_f64 v[19:20], v[19:20], -v[99:100]
	ds_read2_b64 v[99:102], v125 offset0:74 offset1:75
	s_waitcnt lgkmcnt(0)
	v_mul_f64 v[63:64], v[101:102], v[97:98]
	v_fma_f64 v[63:64], v[99:100], v[61:62], -v[63:64]
	v_mul_f64 v[99:100], v[99:100], v[97:98]
	v_add_f64 v[13:14], v[13:14], -v[63:64]
	v_fma_f64 v[99:100], v[101:102], v[61:62], v[99:100]
	v_add_f64 v[15:16], v[15:16], -v[99:100]
	ds_read2_b64 v[99:102], v125 offset0:76 offset1:77
	s_waitcnt lgkmcnt(0)
	v_mul_f64 v[63:64], v[101:102], v[97:98]
	v_fma_f64 v[63:64], v[99:100], v[61:62], -v[63:64]
	v_mul_f64 v[99:100], v[99:100], v[97:98]
	v_add_f64 v[9:10], v[9:10], -v[63:64]
	v_fma_f64 v[99:100], v[101:102], v[61:62], v[99:100]
	v_add_f64 v[11:12], v[11:12], -v[99:100]
	ds_read2_b64 v[99:102], v125 offset0:78 offset1:79
	s_waitcnt lgkmcnt(0)
	v_mul_f64 v[63:64], v[101:102], v[97:98]
	v_fma_f64 v[63:64], v[99:100], v[61:62], -v[63:64]
	v_mul_f64 v[99:100], v[99:100], v[97:98]
	v_add_f64 v[5:6], v[5:6], -v[63:64]
	v_fma_f64 v[99:100], v[101:102], v[61:62], v[99:100]
	v_add_f64 v[7:8], v[7:8], -v[99:100]
	ds_read2_b64 v[99:102], v125 offset0:80 offset1:81
	s_waitcnt lgkmcnt(0)
	v_mul_f64 v[63:64], v[101:102], v[97:98]
	v_fma_f64 v[63:64], v[99:100], v[61:62], -v[63:64]
	v_mul_f64 v[99:100], v[99:100], v[97:98]
	v_add_f64 v[1:2], v[1:2], -v[63:64]
	v_fma_f64 v[99:100], v[101:102], v[61:62], v[99:100]
	v_add_f64 v[3:4], v[3:4], -v[99:100]
	ds_read2_b64 v[99:102], v125 offset0:82 offset1:83
	s_waitcnt lgkmcnt(0)
	v_mul_f64 v[63:64], v[101:102], v[97:98]
	v_fma_f64 v[63:64], v[99:100], v[61:62], -v[63:64]
	v_mul_f64 v[99:100], v[99:100], v[97:98]
	v_add_f64 v[121:122], v[121:122], -v[63:64]
	v_fma_f64 v[99:100], v[101:102], v[61:62], v[99:100]
	v_mov_b32_e32 v63, v97
	v_mov_b32_e32 v64, v98
	v_add_f64 v[123:124], v[123:124], -v[99:100]
.LBB83_235:
	s_or_b64 exec, exec, s[2:3]
	v_cmp_eq_u32_e32 vcc, 26, v0
	s_waitcnt vmcnt(0)
	s_barrier
	s_and_saveexec_b64 s[4:5], vcc
	s_cbranch_execz .LBB83_242
; %bb.236:
	ds_write2_b64 v127, v[57:58], v[59:60] offset1:1
	ds_write2_b64 v125, v[53:54], v[55:56] offset0:54 offset1:55
	ds_write2_b64 v125, v[49:50], v[51:52] offset0:56 offset1:57
	;; [unrolled: 1-line block ×15, first 2 shown]
	ds_read2_b64 v[97:100], v127 offset1:1
	s_waitcnt lgkmcnt(0)
	v_cmp_neq_f64_e32 vcc, 0, v[97:98]
	v_cmp_neq_f64_e64 s[2:3], 0, v[99:100]
	s_or_b64 s[2:3], vcc, s[2:3]
	s_and_b64 exec, exec, s[2:3]
	s_cbranch_execz .LBB83_242
; %bb.237:
	v_cmp_ngt_f64_e64 s[2:3], |v[97:98]|, |v[99:100]|
                                        ; implicit-def: $vgpr101_vgpr102
	s_and_saveexec_b64 s[6:7], s[2:3]
	s_xor_b64 s[2:3], exec, s[6:7]
                                        ; implicit-def: $vgpr103_vgpr104
	s_cbranch_execz .LBB83_239
; %bb.238:
	v_div_scale_f64 v[101:102], s[6:7], v[99:100], v[99:100], v[97:98]
	v_rcp_f64_e32 v[103:104], v[101:102]
	v_fma_f64 v[105:106], -v[101:102], v[103:104], 1.0
	v_fma_f64 v[103:104], v[103:104], v[105:106], v[103:104]
	v_div_scale_f64 v[105:106], vcc, v[97:98], v[99:100], v[97:98]
	v_fma_f64 v[107:108], -v[101:102], v[103:104], 1.0
	v_fma_f64 v[103:104], v[103:104], v[107:108], v[103:104]
	v_mul_f64 v[107:108], v[105:106], v[103:104]
	v_fma_f64 v[101:102], -v[101:102], v[107:108], v[105:106]
	v_div_fmas_f64 v[101:102], v[101:102], v[103:104], v[107:108]
	v_div_fixup_f64 v[101:102], v[101:102], v[99:100], v[97:98]
	v_fma_f64 v[97:98], v[97:98], v[101:102], v[99:100]
	v_div_scale_f64 v[99:100], s[6:7], v[97:98], v[97:98], 1.0
	v_div_scale_f64 v[107:108], vcc, 1.0, v[97:98], 1.0
	v_rcp_f64_e32 v[103:104], v[99:100]
	v_fma_f64 v[105:106], -v[99:100], v[103:104], 1.0
	v_fma_f64 v[103:104], v[103:104], v[105:106], v[103:104]
	v_fma_f64 v[105:106], -v[99:100], v[103:104], 1.0
	v_fma_f64 v[103:104], v[103:104], v[105:106], v[103:104]
	v_mul_f64 v[105:106], v[107:108], v[103:104]
	v_fma_f64 v[99:100], -v[99:100], v[105:106], v[107:108]
	v_div_fmas_f64 v[99:100], v[99:100], v[103:104], v[105:106]
	v_div_fixup_f64 v[103:104], v[99:100], v[97:98], 1.0
                                        ; implicit-def: $vgpr97_vgpr98
	v_mul_f64 v[101:102], v[101:102], v[103:104]
	v_xor_b32_e32 v104, 0x80000000, v104
.LBB83_239:
	s_andn2_saveexec_b64 s[2:3], s[2:3]
	s_cbranch_execz .LBB83_241
; %bb.240:
	v_div_scale_f64 v[101:102], s[6:7], v[97:98], v[97:98], v[99:100]
	v_rcp_f64_e32 v[103:104], v[101:102]
	v_fma_f64 v[105:106], -v[101:102], v[103:104], 1.0
	v_fma_f64 v[103:104], v[103:104], v[105:106], v[103:104]
	v_div_scale_f64 v[105:106], vcc, v[99:100], v[97:98], v[99:100]
	v_fma_f64 v[107:108], -v[101:102], v[103:104], 1.0
	v_fma_f64 v[103:104], v[103:104], v[107:108], v[103:104]
	v_mul_f64 v[107:108], v[105:106], v[103:104]
	v_fma_f64 v[101:102], -v[101:102], v[107:108], v[105:106]
	v_div_fmas_f64 v[101:102], v[101:102], v[103:104], v[107:108]
	v_div_fixup_f64 v[103:104], v[101:102], v[97:98], v[99:100]
	v_fma_f64 v[97:98], v[99:100], v[103:104], v[97:98]
	v_div_scale_f64 v[99:100], s[6:7], v[97:98], v[97:98], 1.0
	v_div_scale_f64 v[107:108], vcc, 1.0, v[97:98], 1.0
	v_rcp_f64_e32 v[101:102], v[99:100]
	v_fma_f64 v[105:106], -v[99:100], v[101:102], 1.0
	v_fma_f64 v[101:102], v[101:102], v[105:106], v[101:102]
	v_fma_f64 v[105:106], -v[99:100], v[101:102], 1.0
	v_fma_f64 v[101:102], v[101:102], v[105:106], v[101:102]
	v_mul_f64 v[105:106], v[107:108], v[101:102]
	v_fma_f64 v[99:100], -v[99:100], v[105:106], v[107:108]
	v_div_fmas_f64 v[99:100], v[99:100], v[101:102], v[105:106]
	v_div_fixup_f64 v[101:102], v[99:100], v[97:98], 1.0
	v_mul_f64 v[103:104], v[103:104], -v[101:102]
.LBB83_241:
	s_or_b64 exec, exec, s[2:3]
	ds_write2_b64 v127, v[101:102], v[103:104] offset1:1
.LBB83_242:
	s_or_b64 exec, exec, s[4:5]
	s_waitcnt lgkmcnt(0)
	s_barrier
	ds_read2_b64 v[97:100], v127 offset1:1
	v_cmp_lt_u32_e32 vcc, 26, v0
	s_waitcnt lgkmcnt(0)
	buffer_store_dword v97, off, s[20:23], 0 offset:1016 ; 4-byte Folded Spill
	s_nop 0
	buffer_store_dword v98, off, s[20:23], 0 offset:1020 ; 4-byte Folded Spill
	buffer_store_dword v99, off, s[20:23], 0 offset:1024 ; 4-byte Folded Spill
	;; [unrolled: 1-line block ×3, first 2 shown]
	s_and_saveexec_b64 s[2:3], vcc
	s_cbranch_execz .LBB83_244
; %bb.243:
	buffer_load_dword v99, off, s[20:23], 0 offset:1016 ; 4-byte Folded Reload
	buffer_load_dword v100, off, s[20:23], 0 offset:1020 ; 4-byte Folded Reload
	;; [unrolled: 1-line block ×4, first 2 shown]
	s_waitcnt vmcnt(2)
	v_mul_f64 v[97:98], v[99:100], v[59:60]
	s_waitcnt vmcnt(0)
	v_mul_f64 v[59:60], v[101:102], v[59:60]
	v_fma_f64 v[97:98], v[101:102], v[57:58], v[97:98]
	v_fma_f64 v[57:58], v[99:100], v[57:58], -v[59:60]
	ds_read2_b64 v[99:102], v125 offset0:54 offset1:55
	s_waitcnt lgkmcnt(0)
	v_mul_f64 v[59:60], v[101:102], v[97:98]
	v_fma_f64 v[59:60], v[99:100], v[57:58], -v[59:60]
	v_mul_f64 v[99:100], v[99:100], v[97:98]
	v_add_f64 v[53:54], v[53:54], -v[59:60]
	v_fma_f64 v[99:100], v[101:102], v[57:58], v[99:100]
	v_add_f64 v[55:56], v[55:56], -v[99:100]
	ds_read2_b64 v[99:102], v125 offset0:56 offset1:57
	s_waitcnt lgkmcnt(0)
	v_mul_f64 v[59:60], v[101:102], v[97:98]
	v_fma_f64 v[59:60], v[99:100], v[57:58], -v[59:60]
	v_mul_f64 v[99:100], v[99:100], v[97:98]
	v_add_f64 v[49:50], v[49:50], -v[59:60]
	v_fma_f64 v[99:100], v[101:102], v[57:58], v[99:100]
	v_add_f64 v[51:52], v[51:52], -v[99:100]
	;; [unrolled: 8-line block ×14, first 2 shown]
	ds_read2_b64 v[99:102], v125 offset0:82 offset1:83
	s_waitcnt lgkmcnt(0)
	v_mul_f64 v[59:60], v[101:102], v[97:98]
	v_fma_f64 v[59:60], v[99:100], v[57:58], -v[59:60]
	v_mul_f64 v[99:100], v[99:100], v[97:98]
	v_add_f64 v[121:122], v[121:122], -v[59:60]
	v_fma_f64 v[99:100], v[101:102], v[57:58], v[99:100]
	v_mov_b32_e32 v59, v97
	v_mov_b32_e32 v60, v98
	v_add_f64 v[123:124], v[123:124], -v[99:100]
.LBB83_244:
	s_or_b64 exec, exec, s[2:3]
	v_cmp_eq_u32_e32 vcc, 27, v0
	s_waitcnt vmcnt(0)
	s_barrier
	s_and_saveexec_b64 s[4:5], vcc
	s_cbranch_execz .LBB83_251
; %bb.245:
	ds_write2_b64 v127, v[53:54], v[55:56] offset1:1
	ds_write2_b64 v125, v[49:50], v[51:52] offset0:56 offset1:57
	ds_write2_b64 v125, v[45:46], v[47:48] offset0:58 offset1:59
	ds_write2_b64 v125, v[41:42], v[43:44] offset0:60 offset1:61
	ds_write2_b64 v125, v[37:38], v[39:40] offset0:62 offset1:63
	ds_write2_b64 v125, v[33:34], v[35:36] offset0:64 offset1:65
	ds_write2_b64 v125, v[29:30], v[31:32] offset0:66 offset1:67
	ds_write2_b64 v125, v[25:26], v[27:28] offset0:68 offset1:69
	ds_write2_b64 v125, v[21:22], v[23:24] offset0:70 offset1:71
	ds_write2_b64 v125, v[17:18], v[19:20] offset0:72 offset1:73
	ds_write2_b64 v125, v[13:14], v[15:16] offset0:74 offset1:75
	ds_write2_b64 v125, v[9:10], v[11:12] offset0:76 offset1:77
	ds_write2_b64 v125, v[5:6], v[7:8] offset0:78 offset1:79
	ds_write2_b64 v125, v[1:2], v[3:4] offset0:80 offset1:81
	ds_write2_b64 v125, v[121:122], v[123:124] offset0:82 offset1:83
	ds_read2_b64 v[97:100], v127 offset1:1
	s_waitcnt lgkmcnt(0)
	v_cmp_neq_f64_e32 vcc, 0, v[97:98]
	v_cmp_neq_f64_e64 s[2:3], 0, v[99:100]
	s_or_b64 s[2:3], vcc, s[2:3]
	s_and_b64 exec, exec, s[2:3]
	s_cbranch_execz .LBB83_251
; %bb.246:
	v_cmp_ngt_f64_e64 s[2:3], |v[97:98]|, |v[99:100]|
                                        ; implicit-def: $vgpr101_vgpr102
	s_and_saveexec_b64 s[6:7], s[2:3]
	s_xor_b64 s[2:3], exec, s[6:7]
                                        ; implicit-def: $vgpr103_vgpr104
	s_cbranch_execz .LBB83_248
; %bb.247:
	v_div_scale_f64 v[101:102], s[6:7], v[99:100], v[99:100], v[97:98]
	v_rcp_f64_e32 v[103:104], v[101:102]
	v_fma_f64 v[105:106], -v[101:102], v[103:104], 1.0
	v_fma_f64 v[103:104], v[103:104], v[105:106], v[103:104]
	v_div_scale_f64 v[105:106], vcc, v[97:98], v[99:100], v[97:98]
	v_fma_f64 v[107:108], -v[101:102], v[103:104], 1.0
	v_fma_f64 v[103:104], v[103:104], v[107:108], v[103:104]
	v_mul_f64 v[107:108], v[105:106], v[103:104]
	v_fma_f64 v[101:102], -v[101:102], v[107:108], v[105:106]
	v_div_fmas_f64 v[101:102], v[101:102], v[103:104], v[107:108]
	v_div_fixup_f64 v[101:102], v[101:102], v[99:100], v[97:98]
	v_fma_f64 v[97:98], v[97:98], v[101:102], v[99:100]
	v_div_scale_f64 v[99:100], s[6:7], v[97:98], v[97:98], 1.0
	v_div_scale_f64 v[107:108], vcc, 1.0, v[97:98], 1.0
	v_rcp_f64_e32 v[103:104], v[99:100]
	v_fma_f64 v[105:106], -v[99:100], v[103:104], 1.0
	v_fma_f64 v[103:104], v[103:104], v[105:106], v[103:104]
	v_fma_f64 v[105:106], -v[99:100], v[103:104], 1.0
	v_fma_f64 v[103:104], v[103:104], v[105:106], v[103:104]
	v_mul_f64 v[105:106], v[107:108], v[103:104]
	v_fma_f64 v[99:100], -v[99:100], v[105:106], v[107:108]
	v_div_fmas_f64 v[99:100], v[99:100], v[103:104], v[105:106]
	v_div_fixup_f64 v[103:104], v[99:100], v[97:98], 1.0
                                        ; implicit-def: $vgpr97_vgpr98
	v_mul_f64 v[101:102], v[101:102], v[103:104]
	v_xor_b32_e32 v104, 0x80000000, v104
.LBB83_248:
	s_andn2_saveexec_b64 s[2:3], s[2:3]
	s_cbranch_execz .LBB83_250
; %bb.249:
	v_div_scale_f64 v[101:102], s[6:7], v[97:98], v[97:98], v[99:100]
	v_rcp_f64_e32 v[103:104], v[101:102]
	v_fma_f64 v[105:106], -v[101:102], v[103:104], 1.0
	v_fma_f64 v[103:104], v[103:104], v[105:106], v[103:104]
	v_div_scale_f64 v[105:106], vcc, v[99:100], v[97:98], v[99:100]
	v_fma_f64 v[107:108], -v[101:102], v[103:104], 1.0
	v_fma_f64 v[103:104], v[103:104], v[107:108], v[103:104]
	v_mul_f64 v[107:108], v[105:106], v[103:104]
	v_fma_f64 v[101:102], -v[101:102], v[107:108], v[105:106]
	v_div_fmas_f64 v[101:102], v[101:102], v[103:104], v[107:108]
	v_div_fixup_f64 v[103:104], v[101:102], v[97:98], v[99:100]
	v_fma_f64 v[97:98], v[99:100], v[103:104], v[97:98]
	v_div_scale_f64 v[99:100], s[6:7], v[97:98], v[97:98], 1.0
	v_div_scale_f64 v[107:108], vcc, 1.0, v[97:98], 1.0
	v_rcp_f64_e32 v[101:102], v[99:100]
	v_fma_f64 v[105:106], -v[99:100], v[101:102], 1.0
	v_fma_f64 v[101:102], v[101:102], v[105:106], v[101:102]
	v_fma_f64 v[105:106], -v[99:100], v[101:102], 1.0
	v_fma_f64 v[101:102], v[101:102], v[105:106], v[101:102]
	v_mul_f64 v[105:106], v[107:108], v[101:102]
	v_fma_f64 v[99:100], -v[99:100], v[105:106], v[107:108]
	v_div_fmas_f64 v[99:100], v[99:100], v[101:102], v[105:106]
	v_div_fixup_f64 v[101:102], v[99:100], v[97:98], 1.0
	v_mul_f64 v[103:104], v[103:104], -v[101:102]
.LBB83_250:
	s_or_b64 exec, exec, s[2:3]
	ds_write2_b64 v127, v[101:102], v[103:104] offset1:1
.LBB83_251:
	s_or_b64 exec, exec, s[4:5]
	s_waitcnt lgkmcnt(0)
	s_barrier
	ds_read2_b64 v[97:100], v127 offset1:1
	v_cmp_lt_u32_e32 vcc, 27, v0
	s_waitcnt lgkmcnt(0)
	buffer_store_dword v97, off, s[20:23], 0 offset:1032 ; 4-byte Folded Spill
	s_nop 0
	buffer_store_dword v98, off, s[20:23], 0 offset:1036 ; 4-byte Folded Spill
	buffer_store_dword v99, off, s[20:23], 0 offset:1040 ; 4-byte Folded Spill
	buffer_store_dword v100, off, s[20:23], 0 offset:1044 ; 4-byte Folded Spill
	s_and_saveexec_b64 s[2:3], vcc
	s_cbranch_execz .LBB83_253
; %bb.252:
	buffer_load_dword v99, off, s[20:23], 0 offset:1032 ; 4-byte Folded Reload
	buffer_load_dword v100, off, s[20:23], 0 offset:1036 ; 4-byte Folded Reload
	;; [unrolled: 1-line block ×4, first 2 shown]
	s_waitcnt vmcnt(2)
	v_mul_f64 v[97:98], v[99:100], v[55:56]
	s_waitcnt vmcnt(0)
	v_mul_f64 v[55:56], v[101:102], v[55:56]
	v_fma_f64 v[97:98], v[101:102], v[53:54], v[97:98]
	v_fma_f64 v[53:54], v[99:100], v[53:54], -v[55:56]
	ds_read2_b64 v[99:102], v125 offset0:56 offset1:57
	s_waitcnt lgkmcnt(0)
	v_mul_f64 v[55:56], v[101:102], v[97:98]
	v_fma_f64 v[55:56], v[99:100], v[53:54], -v[55:56]
	v_mul_f64 v[99:100], v[99:100], v[97:98]
	v_add_f64 v[49:50], v[49:50], -v[55:56]
	v_fma_f64 v[99:100], v[101:102], v[53:54], v[99:100]
	v_add_f64 v[51:52], v[51:52], -v[99:100]
	ds_read2_b64 v[99:102], v125 offset0:58 offset1:59
	s_waitcnt lgkmcnt(0)
	v_mul_f64 v[55:56], v[101:102], v[97:98]
	v_fma_f64 v[55:56], v[99:100], v[53:54], -v[55:56]
	v_mul_f64 v[99:100], v[99:100], v[97:98]
	v_add_f64 v[45:46], v[45:46], -v[55:56]
	v_fma_f64 v[99:100], v[101:102], v[53:54], v[99:100]
	v_add_f64 v[47:48], v[47:48], -v[99:100]
	;; [unrolled: 8-line block ×13, first 2 shown]
	ds_read2_b64 v[99:102], v125 offset0:82 offset1:83
	s_waitcnt lgkmcnt(0)
	v_mul_f64 v[55:56], v[101:102], v[97:98]
	v_fma_f64 v[55:56], v[99:100], v[53:54], -v[55:56]
	v_mul_f64 v[99:100], v[99:100], v[97:98]
	v_add_f64 v[121:122], v[121:122], -v[55:56]
	v_fma_f64 v[99:100], v[101:102], v[53:54], v[99:100]
	v_mov_b32_e32 v55, v97
	v_mov_b32_e32 v56, v98
	v_add_f64 v[123:124], v[123:124], -v[99:100]
.LBB83_253:
	s_or_b64 exec, exec, s[2:3]
	v_cmp_eq_u32_e32 vcc, 28, v0
	s_waitcnt vmcnt(0)
	s_barrier
	s_and_saveexec_b64 s[4:5], vcc
	s_cbranch_execz .LBB83_260
; %bb.254:
	ds_write2_b64 v127, v[49:50], v[51:52] offset1:1
	ds_write2_b64 v125, v[45:46], v[47:48] offset0:58 offset1:59
	ds_write2_b64 v125, v[41:42], v[43:44] offset0:60 offset1:61
	;; [unrolled: 1-line block ×13, first 2 shown]
	ds_read2_b64 v[97:100], v127 offset1:1
	s_waitcnt lgkmcnt(0)
	v_cmp_neq_f64_e32 vcc, 0, v[97:98]
	v_cmp_neq_f64_e64 s[2:3], 0, v[99:100]
	s_or_b64 s[2:3], vcc, s[2:3]
	s_and_b64 exec, exec, s[2:3]
	s_cbranch_execz .LBB83_260
; %bb.255:
	v_cmp_ngt_f64_e64 s[2:3], |v[97:98]|, |v[99:100]|
                                        ; implicit-def: $vgpr101_vgpr102
	s_and_saveexec_b64 s[6:7], s[2:3]
	s_xor_b64 s[2:3], exec, s[6:7]
                                        ; implicit-def: $vgpr103_vgpr104
	s_cbranch_execz .LBB83_257
; %bb.256:
	v_div_scale_f64 v[101:102], s[6:7], v[99:100], v[99:100], v[97:98]
	v_rcp_f64_e32 v[103:104], v[101:102]
	v_fma_f64 v[105:106], -v[101:102], v[103:104], 1.0
	v_fma_f64 v[103:104], v[103:104], v[105:106], v[103:104]
	v_div_scale_f64 v[105:106], vcc, v[97:98], v[99:100], v[97:98]
	v_fma_f64 v[107:108], -v[101:102], v[103:104], 1.0
	v_fma_f64 v[103:104], v[103:104], v[107:108], v[103:104]
	v_mul_f64 v[107:108], v[105:106], v[103:104]
	v_fma_f64 v[101:102], -v[101:102], v[107:108], v[105:106]
	v_div_fmas_f64 v[101:102], v[101:102], v[103:104], v[107:108]
	v_div_fixup_f64 v[101:102], v[101:102], v[99:100], v[97:98]
	v_fma_f64 v[97:98], v[97:98], v[101:102], v[99:100]
	v_div_scale_f64 v[99:100], s[6:7], v[97:98], v[97:98], 1.0
	v_div_scale_f64 v[107:108], vcc, 1.0, v[97:98], 1.0
	v_rcp_f64_e32 v[103:104], v[99:100]
	v_fma_f64 v[105:106], -v[99:100], v[103:104], 1.0
	v_fma_f64 v[103:104], v[103:104], v[105:106], v[103:104]
	v_fma_f64 v[105:106], -v[99:100], v[103:104], 1.0
	v_fma_f64 v[103:104], v[103:104], v[105:106], v[103:104]
	v_mul_f64 v[105:106], v[107:108], v[103:104]
	v_fma_f64 v[99:100], -v[99:100], v[105:106], v[107:108]
	v_div_fmas_f64 v[99:100], v[99:100], v[103:104], v[105:106]
	v_div_fixup_f64 v[103:104], v[99:100], v[97:98], 1.0
                                        ; implicit-def: $vgpr97_vgpr98
	v_mul_f64 v[101:102], v[101:102], v[103:104]
	v_xor_b32_e32 v104, 0x80000000, v104
.LBB83_257:
	s_andn2_saveexec_b64 s[2:3], s[2:3]
	s_cbranch_execz .LBB83_259
; %bb.258:
	v_div_scale_f64 v[101:102], s[6:7], v[97:98], v[97:98], v[99:100]
	v_rcp_f64_e32 v[103:104], v[101:102]
	v_fma_f64 v[105:106], -v[101:102], v[103:104], 1.0
	v_fma_f64 v[103:104], v[103:104], v[105:106], v[103:104]
	v_div_scale_f64 v[105:106], vcc, v[99:100], v[97:98], v[99:100]
	v_fma_f64 v[107:108], -v[101:102], v[103:104], 1.0
	v_fma_f64 v[103:104], v[103:104], v[107:108], v[103:104]
	v_mul_f64 v[107:108], v[105:106], v[103:104]
	v_fma_f64 v[101:102], -v[101:102], v[107:108], v[105:106]
	v_div_fmas_f64 v[101:102], v[101:102], v[103:104], v[107:108]
	v_div_fixup_f64 v[103:104], v[101:102], v[97:98], v[99:100]
	v_fma_f64 v[97:98], v[99:100], v[103:104], v[97:98]
	v_div_scale_f64 v[99:100], s[6:7], v[97:98], v[97:98], 1.0
	v_div_scale_f64 v[107:108], vcc, 1.0, v[97:98], 1.0
	v_rcp_f64_e32 v[101:102], v[99:100]
	v_fma_f64 v[105:106], -v[99:100], v[101:102], 1.0
	v_fma_f64 v[101:102], v[101:102], v[105:106], v[101:102]
	v_fma_f64 v[105:106], -v[99:100], v[101:102], 1.0
	v_fma_f64 v[101:102], v[101:102], v[105:106], v[101:102]
	v_mul_f64 v[105:106], v[107:108], v[101:102]
	v_fma_f64 v[99:100], -v[99:100], v[105:106], v[107:108]
	v_div_fmas_f64 v[99:100], v[99:100], v[101:102], v[105:106]
	v_div_fixup_f64 v[101:102], v[99:100], v[97:98], 1.0
	v_mul_f64 v[103:104], v[103:104], -v[101:102]
.LBB83_259:
	s_or_b64 exec, exec, s[2:3]
	ds_write2_b64 v127, v[101:102], v[103:104] offset1:1
.LBB83_260:
	s_or_b64 exec, exec, s[4:5]
	s_waitcnt lgkmcnt(0)
	s_barrier
	ds_read2_b64 v[97:100], v127 offset1:1
	v_cmp_lt_u32_e32 vcc, 28, v0
	s_waitcnt lgkmcnt(0)
	buffer_store_dword v97, off, s[20:23], 0 offset:1048 ; 4-byte Folded Spill
	s_nop 0
	buffer_store_dword v98, off, s[20:23], 0 offset:1052 ; 4-byte Folded Spill
	buffer_store_dword v99, off, s[20:23], 0 offset:1056 ; 4-byte Folded Spill
	;; [unrolled: 1-line block ×3, first 2 shown]
	s_and_saveexec_b64 s[2:3], vcc
	s_cbranch_execz .LBB83_262
; %bb.261:
	buffer_load_dword v99, off, s[20:23], 0 offset:1048 ; 4-byte Folded Reload
	buffer_load_dword v100, off, s[20:23], 0 offset:1052 ; 4-byte Folded Reload
	;; [unrolled: 1-line block ×4, first 2 shown]
	s_waitcnt vmcnt(2)
	v_mul_f64 v[97:98], v[99:100], v[51:52]
	s_waitcnt vmcnt(0)
	v_mul_f64 v[51:52], v[101:102], v[51:52]
	v_fma_f64 v[97:98], v[101:102], v[49:50], v[97:98]
	v_fma_f64 v[49:50], v[99:100], v[49:50], -v[51:52]
	ds_read2_b64 v[99:102], v125 offset0:58 offset1:59
	s_waitcnt lgkmcnt(0)
	v_mul_f64 v[51:52], v[101:102], v[97:98]
	v_fma_f64 v[51:52], v[99:100], v[49:50], -v[51:52]
	v_mul_f64 v[99:100], v[99:100], v[97:98]
	v_add_f64 v[45:46], v[45:46], -v[51:52]
	v_fma_f64 v[99:100], v[101:102], v[49:50], v[99:100]
	v_add_f64 v[47:48], v[47:48], -v[99:100]
	ds_read2_b64 v[99:102], v125 offset0:60 offset1:61
	s_waitcnt lgkmcnt(0)
	v_mul_f64 v[51:52], v[101:102], v[97:98]
	v_fma_f64 v[51:52], v[99:100], v[49:50], -v[51:52]
	v_mul_f64 v[99:100], v[99:100], v[97:98]
	v_add_f64 v[41:42], v[41:42], -v[51:52]
	v_fma_f64 v[99:100], v[101:102], v[49:50], v[99:100]
	v_add_f64 v[43:44], v[43:44], -v[99:100]
	;; [unrolled: 8-line block ×12, first 2 shown]
	ds_read2_b64 v[99:102], v125 offset0:82 offset1:83
	s_waitcnt lgkmcnt(0)
	v_mul_f64 v[51:52], v[101:102], v[97:98]
	v_fma_f64 v[51:52], v[99:100], v[49:50], -v[51:52]
	v_mul_f64 v[99:100], v[99:100], v[97:98]
	v_add_f64 v[121:122], v[121:122], -v[51:52]
	v_fma_f64 v[99:100], v[101:102], v[49:50], v[99:100]
	v_mov_b32_e32 v51, v97
	v_mov_b32_e32 v52, v98
	v_add_f64 v[123:124], v[123:124], -v[99:100]
.LBB83_262:
	s_or_b64 exec, exec, s[2:3]
	v_cmp_eq_u32_e32 vcc, 29, v0
	s_waitcnt vmcnt(0)
	s_barrier
	s_and_saveexec_b64 s[4:5], vcc
	s_cbranch_execz .LBB83_269
; %bb.263:
	ds_write2_b64 v127, v[45:46], v[47:48] offset1:1
	ds_write2_b64 v125, v[41:42], v[43:44] offset0:60 offset1:61
	ds_write2_b64 v125, v[37:38], v[39:40] offset0:62 offset1:63
	ds_write2_b64 v125, v[33:34], v[35:36] offset0:64 offset1:65
	ds_write2_b64 v125, v[29:30], v[31:32] offset0:66 offset1:67
	ds_write2_b64 v125, v[25:26], v[27:28] offset0:68 offset1:69
	ds_write2_b64 v125, v[21:22], v[23:24] offset0:70 offset1:71
	ds_write2_b64 v125, v[17:18], v[19:20] offset0:72 offset1:73
	ds_write2_b64 v125, v[13:14], v[15:16] offset0:74 offset1:75
	ds_write2_b64 v125, v[9:10], v[11:12] offset0:76 offset1:77
	ds_write2_b64 v125, v[5:6], v[7:8] offset0:78 offset1:79
	ds_write2_b64 v125, v[1:2], v[3:4] offset0:80 offset1:81
	ds_write2_b64 v125, v[121:122], v[123:124] offset0:82 offset1:83
	ds_read2_b64 v[97:100], v127 offset1:1
	s_waitcnt lgkmcnt(0)
	v_cmp_neq_f64_e32 vcc, 0, v[97:98]
	v_cmp_neq_f64_e64 s[2:3], 0, v[99:100]
	s_or_b64 s[2:3], vcc, s[2:3]
	s_and_b64 exec, exec, s[2:3]
	s_cbranch_execz .LBB83_269
; %bb.264:
	v_cmp_ngt_f64_e64 s[2:3], |v[97:98]|, |v[99:100]|
                                        ; implicit-def: $vgpr101_vgpr102
	s_and_saveexec_b64 s[6:7], s[2:3]
	s_xor_b64 s[2:3], exec, s[6:7]
                                        ; implicit-def: $vgpr103_vgpr104
	s_cbranch_execz .LBB83_266
; %bb.265:
	v_div_scale_f64 v[101:102], s[6:7], v[99:100], v[99:100], v[97:98]
	v_rcp_f64_e32 v[103:104], v[101:102]
	v_fma_f64 v[105:106], -v[101:102], v[103:104], 1.0
	v_fma_f64 v[103:104], v[103:104], v[105:106], v[103:104]
	v_div_scale_f64 v[105:106], vcc, v[97:98], v[99:100], v[97:98]
	v_fma_f64 v[107:108], -v[101:102], v[103:104], 1.0
	v_fma_f64 v[103:104], v[103:104], v[107:108], v[103:104]
	v_mul_f64 v[107:108], v[105:106], v[103:104]
	v_fma_f64 v[101:102], -v[101:102], v[107:108], v[105:106]
	v_div_fmas_f64 v[101:102], v[101:102], v[103:104], v[107:108]
	v_div_fixup_f64 v[101:102], v[101:102], v[99:100], v[97:98]
	v_fma_f64 v[97:98], v[97:98], v[101:102], v[99:100]
	v_div_scale_f64 v[99:100], s[6:7], v[97:98], v[97:98], 1.0
	v_div_scale_f64 v[107:108], vcc, 1.0, v[97:98], 1.0
	v_rcp_f64_e32 v[103:104], v[99:100]
	v_fma_f64 v[105:106], -v[99:100], v[103:104], 1.0
	v_fma_f64 v[103:104], v[103:104], v[105:106], v[103:104]
	v_fma_f64 v[105:106], -v[99:100], v[103:104], 1.0
	v_fma_f64 v[103:104], v[103:104], v[105:106], v[103:104]
	v_mul_f64 v[105:106], v[107:108], v[103:104]
	v_fma_f64 v[99:100], -v[99:100], v[105:106], v[107:108]
	v_div_fmas_f64 v[99:100], v[99:100], v[103:104], v[105:106]
	v_div_fixup_f64 v[103:104], v[99:100], v[97:98], 1.0
                                        ; implicit-def: $vgpr97_vgpr98
	v_mul_f64 v[101:102], v[101:102], v[103:104]
	v_xor_b32_e32 v104, 0x80000000, v104
.LBB83_266:
	s_andn2_saveexec_b64 s[2:3], s[2:3]
	s_cbranch_execz .LBB83_268
; %bb.267:
	v_div_scale_f64 v[101:102], s[6:7], v[97:98], v[97:98], v[99:100]
	v_rcp_f64_e32 v[103:104], v[101:102]
	v_fma_f64 v[105:106], -v[101:102], v[103:104], 1.0
	v_fma_f64 v[103:104], v[103:104], v[105:106], v[103:104]
	v_div_scale_f64 v[105:106], vcc, v[99:100], v[97:98], v[99:100]
	v_fma_f64 v[107:108], -v[101:102], v[103:104], 1.0
	v_fma_f64 v[103:104], v[103:104], v[107:108], v[103:104]
	v_mul_f64 v[107:108], v[105:106], v[103:104]
	v_fma_f64 v[101:102], -v[101:102], v[107:108], v[105:106]
	v_div_fmas_f64 v[101:102], v[101:102], v[103:104], v[107:108]
	v_div_fixup_f64 v[103:104], v[101:102], v[97:98], v[99:100]
	v_fma_f64 v[97:98], v[99:100], v[103:104], v[97:98]
	v_div_scale_f64 v[99:100], s[6:7], v[97:98], v[97:98], 1.0
	v_div_scale_f64 v[107:108], vcc, 1.0, v[97:98], 1.0
	v_rcp_f64_e32 v[101:102], v[99:100]
	v_fma_f64 v[105:106], -v[99:100], v[101:102], 1.0
	v_fma_f64 v[101:102], v[101:102], v[105:106], v[101:102]
	v_fma_f64 v[105:106], -v[99:100], v[101:102], 1.0
	v_fma_f64 v[101:102], v[101:102], v[105:106], v[101:102]
	v_mul_f64 v[105:106], v[107:108], v[101:102]
	v_fma_f64 v[99:100], -v[99:100], v[105:106], v[107:108]
	v_div_fmas_f64 v[99:100], v[99:100], v[101:102], v[105:106]
	v_div_fixup_f64 v[101:102], v[99:100], v[97:98], 1.0
	v_mul_f64 v[103:104], v[103:104], -v[101:102]
.LBB83_268:
	s_or_b64 exec, exec, s[2:3]
	ds_write2_b64 v127, v[101:102], v[103:104] offset1:1
.LBB83_269:
	s_or_b64 exec, exec, s[4:5]
	s_waitcnt lgkmcnt(0)
	s_barrier
	ds_read2_b64 v[97:100], v127 offset1:1
	v_cmp_lt_u32_e32 vcc, 29, v0
	s_waitcnt lgkmcnt(0)
	buffer_store_dword v97, off, s[20:23], 0 offset:1064 ; 4-byte Folded Spill
	s_nop 0
	buffer_store_dword v98, off, s[20:23], 0 offset:1068 ; 4-byte Folded Spill
	buffer_store_dword v99, off, s[20:23], 0 offset:1072 ; 4-byte Folded Spill
	;; [unrolled: 1-line block ×3, first 2 shown]
	s_and_saveexec_b64 s[2:3], vcc
	s_cbranch_execz .LBB83_271
; %bb.270:
	buffer_load_dword v99, off, s[20:23], 0 offset:1064 ; 4-byte Folded Reload
	buffer_load_dword v100, off, s[20:23], 0 offset:1068 ; 4-byte Folded Reload
	;; [unrolled: 1-line block ×4, first 2 shown]
	s_waitcnt vmcnt(2)
	v_mul_f64 v[97:98], v[99:100], v[47:48]
	s_waitcnt vmcnt(0)
	v_mul_f64 v[47:48], v[101:102], v[47:48]
	v_fma_f64 v[97:98], v[101:102], v[45:46], v[97:98]
	v_fma_f64 v[45:46], v[99:100], v[45:46], -v[47:48]
	ds_read2_b64 v[99:102], v125 offset0:60 offset1:61
	s_waitcnt lgkmcnt(0)
	v_mul_f64 v[47:48], v[101:102], v[97:98]
	v_fma_f64 v[47:48], v[99:100], v[45:46], -v[47:48]
	v_mul_f64 v[99:100], v[99:100], v[97:98]
	v_add_f64 v[41:42], v[41:42], -v[47:48]
	v_fma_f64 v[99:100], v[101:102], v[45:46], v[99:100]
	v_add_f64 v[43:44], v[43:44], -v[99:100]
	ds_read2_b64 v[99:102], v125 offset0:62 offset1:63
	s_waitcnt lgkmcnt(0)
	v_mul_f64 v[47:48], v[101:102], v[97:98]
	v_fma_f64 v[47:48], v[99:100], v[45:46], -v[47:48]
	v_mul_f64 v[99:100], v[99:100], v[97:98]
	v_add_f64 v[37:38], v[37:38], -v[47:48]
	v_fma_f64 v[99:100], v[101:102], v[45:46], v[99:100]
	v_add_f64 v[39:40], v[39:40], -v[99:100]
	;; [unrolled: 8-line block ×11, first 2 shown]
	ds_read2_b64 v[99:102], v125 offset0:82 offset1:83
	s_waitcnt lgkmcnt(0)
	v_mul_f64 v[47:48], v[101:102], v[97:98]
	v_fma_f64 v[47:48], v[99:100], v[45:46], -v[47:48]
	v_mul_f64 v[99:100], v[99:100], v[97:98]
	v_add_f64 v[121:122], v[121:122], -v[47:48]
	v_fma_f64 v[99:100], v[101:102], v[45:46], v[99:100]
	v_mov_b32_e32 v47, v97
	v_mov_b32_e32 v48, v98
	v_add_f64 v[123:124], v[123:124], -v[99:100]
.LBB83_271:
	s_or_b64 exec, exec, s[2:3]
	v_cmp_eq_u32_e32 vcc, 30, v0
	s_waitcnt vmcnt(0)
	s_barrier
	s_and_saveexec_b64 s[4:5], vcc
	s_cbranch_execz .LBB83_278
; %bb.272:
	ds_write2_b64 v127, v[41:42], v[43:44] offset1:1
	ds_write2_b64 v125, v[37:38], v[39:40] offset0:62 offset1:63
	ds_write2_b64 v125, v[33:34], v[35:36] offset0:64 offset1:65
	;; [unrolled: 1-line block ×11, first 2 shown]
	ds_read2_b64 v[97:100], v127 offset1:1
	s_waitcnt lgkmcnt(0)
	v_cmp_neq_f64_e32 vcc, 0, v[97:98]
	v_cmp_neq_f64_e64 s[2:3], 0, v[99:100]
	s_or_b64 s[2:3], vcc, s[2:3]
	s_and_b64 exec, exec, s[2:3]
	s_cbranch_execz .LBB83_278
; %bb.273:
	v_cmp_ngt_f64_e64 s[2:3], |v[97:98]|, |v[99:100]|
                                        ; implicit-def: $vgpr101_vgpr102
	s_and_saveexec_b64 s[6:7], s[2:3]
	s_xor_b64 s[2:3], exec, s[6:7]
                                        ; implicit-def: $vgpr103_vgpr104
	s_cbranch_execz .LBB83_275
; %bb.274:
	v_div_scale_f64 v[101:102], s[6:7], v[99:100], v[99:100], v[97:98]
	v_rcp_f64_e32 v[103:104], v[101:102]
	v_fma_f64 v[105:106], -v[101:102], v[103:104], 1.0
	v_fma_f64 v[103:104], v[103:104], v[105:106], v[103:104]
	v_div_scale_f64 v[105:106], vcc, v[97:98], v[99:100], v[97:98]
	v_fma_f64 v[107:108], -v[101:102], v[103:104], 1.0
	v_fma_f64 v[103:104], v[103:104], v[107:108], v[103:104]
	v_mul_f64 v[107:108], v[105:106], v[103:104]
	v_fma_f64 v[101:102], -v[101:102], v[107:108], v[105:106]
	v_div_fmas_f64 v[101:102], v[101:102], v[103:104], v[107:108]
	v_div_fixup_f64 v[101:102], v[101:102], v[99:100], v[97:98]
	v_fma_f64 v[97:98], v[97:98], v[101:102], v[99:100]
	v_div_scale_f64 v[99:100], s[6:7], v[97:98], v[97:98], 1.0
	v_div_scale_f64 v[107:108], vcc, 1.0, v[97:98], 1.0
	v_rcp_f64_e32 v[103:104], v[99:100]
	v_fma_f64 v[105:106], -v[99:100], v[103:104], 1.0
	v_fma_f64 v[103:104], v[103:104], v[105:106], v[103:104]
	v_fma_f64 v[105:106], -v[99:100], v[103:104], 1.0
	v_fma_f64 v[103:104], v[103:104], v[105:106], v[103:104]
	v_mul_f64 v[105:106], v[107:108], v[103:104]
	v_fma_f64 v[99:100], -v[99:100], v[105:106], v[107:108]
	v_div_fmas_f64 v[99:100], v[99:100], v[103:104], v[105:106]
	v_div_fixup_f64 v[103:104], v[99:100], v[97:98], 1.0
                                        ; implicit-def: $vgpr97_vgpr98
	v_mul_f64 v[101:102], v[101:102], v[103:104]
	v_xor_b32_e32 v104, 0x80000000, v104
.LBB83_275:
	s_andn2_saveexec_b64 s[2:3], s[2:3]
	s_cbranch_execz .LBB83_277
; %bb.276:
	v_div_scale_f64 v[101:102], s[6:7], v[97:98], v[97:98], v[99:100]
	v_rcp_f64_e32 v[103:104], v[101:102]
	v_fma_f64 v[105:106], -v[101:102], v[103:104], 1.0
	v_fma_f64 v[103:104], v[103:104], v[105:106], v[103:104]
	v_div_scale_f64 v[105:106], vcc, v[99:100], v[97:98], v[99:100]
	v_fma_f64 v[107:108], -v[101:102], v[103:104], 1.0
	v_fma_f64 v[103:104], v[103:104], v[107:108], v[103:104]
	v_mul_f64 v[107:108], v[105:106], v[103:104]
	v_fma_f64 v[101:102], -v[101:102], v[107:108], v[105:106]
	v_div_fmas_f64 v[101:102], v[101:102], v[103:104], v[107:108]
	v_div_fixup_f64 v[103:104], v[101:102], v[97:98], v[99:100]
	v_fma_f64 v[97:98], v[99:100], v[103:104], v[97:98]
	v_div_scale_f64 v[99:100], s[6:7], v[97:98], v[97:98], 1.0
	v_div_scale_f64 v[107:108], vcc, 1.0, v[97:98], 1.0
	v_rcp_f64_e32 v[101:102], v[99:100]
	v_fma_f64 v[105:106], -v[99:100], v[101:102], 1.0
	v_fma_f64 v[101:102], v[101:102], v[105:106], v[101:102]
	v_fma_f64 v[105:106], -v[99:100], v[101:102], 1.0
	v_fma_f64 v[101:102], v[101:102], v[105:106], v[101:102]
	v_mul_f64 v[105:106], v[107:108], v[101:102]
	v_fma_f64 v[99:100], -v[99:100], v[105:106], v[107:108]
	v_div_fmas_f64 v[99:100], v[99:100], v[101:102], v[105:106]
	v_div_fixup_f64 v[101:102], v[99:100], v[97:98], 1.0
	v_mul_f64 v[103:104], v[103:104], -v[101:102]
.LBB83_277:
	s_or_b64 exec, exec, s[2:3]
	ds_write2_b64 v127, v[101:102], v[103:104] offset1:1
.LBB83_278:
	s_or_b64 exec, exec, s[4:5]
	s_waitcnt lgkmcnt(0)
	s_barrier
	ds_read2_b64 v[97:100], v127 offset1:1
	v_cmp_lt_u32_e32 vcc, 30, v0
	s_waitcnt lgkmcnt(0)
	buffer_store_dword v97, off, s[20:23], 0 offset:1080 ; 4-byte Folded Spill
	s_nop 0
	buffer_store_dword v98, off, s[20:23], 0 offset:1084 ; 4-byte Folded Spill
	buffer_store_dword v99, off, s[20:23], 0 offset:1088 ; 4-byte Folded Spill
	;; [unrolled: 1-line block ×3, first 2 shown]
	s_and_saveexec_b64 s[2:3], vcc
	s_cbranch_execz .LBB83_280
; %bb.279:
	buffer_load_dword v99, off, s[20:23], 0 offset:1080 ; 4-byte Folded Reload
	buffer_load_dword v100, off, s[20:23], 0 offset:1084 ; 4-byte Folded Reload
	;; [unrolled: 1-line block ×4, first 2 shown]
	s_waitcnt vmcnt(2)
	v_mul_f64 v[97:98], v[99:100], v[43:44]
	s_waitcnt vmcnt(0)
	v_mul_f64 v[43:44], v[101:102], v[43:44]
	v_fma_f64 v[97:98], v[101:102], v[41:42], v[97:98]
	v_fma_f64 v[41:42], v[99:100], v[41:42], -v[43:44]
	ds_read2_b64 v[99:102], v125 offset0:62 offset1:63
	s_waitcnt lgkmcnt(0)
	v_mul_f64 v[43:44], v[101:102], v[97:98]
	v_fma_f64 v[43:44], v[99:100], v[41:42], -v[43:44]
	v_mul_f64 v[99:100], v[99:100], v[97:98]
	v_add_f64 v[37:38], v[37:38], -v[43:44]
	v_fma_f64 v[99:100], v[101:102], v[41:42], v[99:100]
	v_add_f64 v[39:40], v[39:40], -v[99:100]
	ds_read2_b64 v[99:102], v125 offset0:64 offset1:65
	s_waitcnt lgkmcnt(0)
	v_mul_f64 v[43:44], v[101:102], v[97:98]
	v_fma_f64 v[43:44], v[99:100], v[41:42], -v[43:44]
	v_mul_f64 v[99:100], v[99:100], v[97:98]
	v_add_f64 v[33:34], v[33:34], -v[43:44]
	v_fma_f64 v[99:100], v[101:102], v[41:42], v[99:100]
	v_add_f64 v[35:36], v[35:36], -v[99:100]
	;; [unrolled: 8-line block ×10, first 2 shown]
	ds_read2_b64 v[99:102], v125 offset0:82 offset1:83
	s_waitcnt lgkmcnt(0)
	v_mul_f64 v[43:44], v[101:102], v[97:98]
	v_fma_f64 v[43:44], v[99:100], v[41:42], -v[43:44]
	v_mul_f64 v[99:100], v[99:100], v[97:98]
	v_add_f64 v[121:122], v[121:122], -v[43:44]
	v_fma_f64 v[99:100], v[101:102], v[41:42], v[99:100]
	v_mov_b32_e32 v43, v97
	v_mov_b32_e32 v44, v98
	v_add_f64 v[123:124], v[123:124], -v[99:100]
.LBB83_280:
	s_or_b64 exec, exec, s[2:3]
	v_cmp_eq_u32_e32 vcc, 31, v0
	s_waitcnt vmcnt(0)
	s_barrier
	s_and_saveexec_b64 s[4:5], vcc
	s_cbranch_execz .LBB83_287
; %bb.281:
	ds_write2_b64 v127, v[37:38], v[39:40] offset1:1
	ds_write2_b64 v125, v[33:34], v[35:36] offset0:64 offset1:65
	ds_write2_b64 v125, v[29:30], v[31:32] offset0:66 offset1:67
	;; [unrolled: 1-line block ×10, first 2 shown]
	ds_read2_b64 v[97:100], v127 offset1:1
	s_waitcnt lgkmcnt(0)
	v_cmp_neq_f64_e32 vcc, 0, v[97:98]
	v_cmp_neq_f64_e64 s[2:3], 0, v[99:100]
	s_or_b64 s[2:3], vcc, s[2:3]
	s_and_b64 exec, exec, s[2:3]
	s_cbranch_execz .LBB83_287
; %bb.282:
	v_cmp_ngt_f64_e64 s[2:3], |v[97:98]|, |v[99:100]|
                                        ; implicit-def: $vgpr101_vgpr102
	s_and_saveexec_b64 s[6:7], s[2:3]
	s_xor_b64 s[2:3], exec, s[6:7]
                                        ; implicit-def: $vgpr103_vgpr104
	s_cbranch_execz .LBB83_284
; %bb.283:
	v_div_scale_f64 v[101:102], s[6:7], v[99:100], v[99:100], v[97:98]
	v_rcp_f64_e32 v[103:104], v[101:102]
	v_fma_f64 v[105:106], -v[101:102], v[103:104], 1.0
	v_fma_f64 v[103:104], v[103:104], v[105:106], v[103:104]
	v_div_scale_f64 v[105:106], vcc, v[97:98], v[99:100], v[97:98]
	v_fma_f64 v[107:108], -v[101:102], v[103:104], 1.0
	v_fma_f64 v[103:104], v[103:104], v[107:108], v[103:104]
	v_mul_f64 v[107:108], v[105:106], v[103:104]
	v_fma_f64 v[101:102], -v[101:102], v[107:108], v[105:106]
	v_div_fmas_f64 v[101:102], v[101:102], v[103:104], v[107:108]
	v_div_fixup_f64 v[101:102], v[101:102], v[99:100], v[97:98]
	v_fma_f64 v[97:98], v[97:98], v[101:102], v[99:100]
	v_div_scale_f64 v[99:100], s[6:7], v[97:98], v[97:98], 1.0
	v_div_scale_f64 v[107:108], vcc, 1.0, v[97:98], 1.0
	v_rcp_f64_e32 v[103:104], v[99:100]
	v_fma_f64 v[105:106], -v[99:100], v[103:104], 1.0
	v_fma_f64 v[103:104], v[103:104], v[105:106], v[103:104]
	v_fma_f64 v[105:106], -v[99:100], v[103:104], 1.0
	v_fma_f64 v[103:104], v[103:104], v[105:106], v[103:104]
	v_mul_f64 v[105:106], v[107:108], v[103:104]
	v_fma_f64 v[99:100], -v[99:100], v[105:106], v[107:108]
	v_div_fmas_f64 v[99:100], v[99:100], v[103:104], v[105:106]
	v_div_fixup_f64 v[103:104], v[99:100], v[97:98], 1.0
                                        ; implicit-def: $vgpr97_vgpr98
	v_mul_f64 v[101:102], v[101:102], v[103:104]
	v_xor_b32_e32 v104, 0x80000000, v104
.LBB83_284:
	s_andn2_saveexec_b64 s[2:3], s[2:3]
	s_cbranch_execz .LBB83_286
; %bb.285:
	v_div_scale_f64 v[101:102], s[6:7], v[97:98], v[97:98], v[99:100]
	v_rcp_f64_e32 v[103:104], v[101:102]
	v_fma_f64 v[105:106], -v[101:102], v[103:104], 1.0
	v_fma_f64 v[103:104], v[103:104], v[105:106], v[103:104]
	v_div_scale_f64 v[105:106], vcc, v[99:100], v[97:98], v[99:100]
	v_fma_f64 v[107:108], -v[101:102], v[103:104], 1.0
	v_fma_f64 v[103:104], v[103:104], v[107:108], v[103:104]
	v_mul_f64 v[107:108], v[105:106], v[103:104]
	v_fma_f64 v[101:102], -v[101:102], v[107:108], v[105:106]
	v_div_fmas_f64 v[101:102], v[101:102], v[103:104], v[107:108]
	v_div_fixup_f64 v[103:104], v[101:102], v[97:98], v[99:100]
	v_fma_f64 v[97:98], v[99:100], v[103:104], v[97:98]
	v_div_scale_f64 v[99:100], s[6:7], v[97:98], v[97:98], 1.0
	v_div_scale_f64 v[107:108], vcc, 1.0, v[97:98], 1.0
	v_rcp_f64_e32 v[101:102], v[99:100]
	v_fma_f64 v[105:106], -v[99:100], v[101:102], 1.0
	v_fma_f64 v[101:102], v[101:102], v[105:106], v[101:102]
	v_fma_f64 v[105:106], -v[99:100], v[101:102], 1.0
	v_fma_f64 v[101:102], v[101:102], v[105:106], v[101:102]
	v_mul_f64 v[105:106], v[107:108], v[101:102]
	v_fma_f64 v[99:100], -v[99:100], v[105:106], v[107:108]
	v_div_fmas_f64 v[99:100], v[99:100], v[101:102], v[105:106]
	v_div_fixup_f64 v[101:102], v[99:100], v[97:98], 1.0
	v_mul_f64 v[103:104], v[103:104], -v[101:102]
.LBB83_286:
	s_or_b64 exec, exec, s[2:3]
	ds_write2_b64 v127, v[101:102], v[103:104] offset1:1
.LBB83_287:
	s_or_b64 exec, exec, s[4:5]
	s_waitcnt lgkmcnt(0)
	s_barrier
	ds_read2_b64 v[97:100], v127 offset1:1
	v_cmp_lt_u32_e32 vcc, 31, v0
	s_waitcnt lgkmcnt(0)
	buffer_store_dword v97, off, s[20:23], 0 offset:1096 ; 4-byte Folded Spill
	s_nop 0
	buffer_store_dword v98, off, s[20:23], 0 offset:1100 ; 4-byte Folded Spill
	buffer_store_dword v99, off, s[20:23], 0 offset:1104 ; 4-byte Folded Spill
	;; [unrolled: 1-line block ×3, first 2 shown]
	s_and_saveexec_b64 s[2:3], vcc
	s_cbranch_execz .LBB83_289
; %bb.288:
	buffer_load_dword v99, off, s[20:23], 0 offset:1096 ; 4-byte Folded Reload
	buffer_load_dword v100, off, s[20:23], 0 offset:1100 ; 4-byte Folded Reload
	;; [unrolled: 1-line block ×4, first 2 shown]
	s_waitcnt vmcnt(2)
	v_mul_f64 v[97:98], v[99:100], v[39:40]
	s_waitcnt vmcnt(0)
	v_mul_f64 v[39:40], v[101:102], v[39:40]
	v_fma_f64 v[97:98], v[101:102], v[37:38], v[97:98]
	v_fma_f64 v[37:38], v[99:100], v[37:38], -v[39:40]
	ds_read2_b64 v[99:102], v125 offset0:64 offset1:65
	s_waitcnt lgkmcnt(0)
	v_mul_f64 v[39:40], v[101:102], v[97:98]
	v_fma_f64 v[39:40], v[99:100], v[37:38], -v[39:40]
	v_mul_f64 v[99:100], v[99:100], v[97:98]
	v_add_f64 v[33:34], v[33:34], -v[39:40]
	v_fma_f64 v[99:100], v[101:102], v[37:38], v[99:100]
	v_add_f64 v[35:36], v[35:36], -v[99:100]
	ds_read2_b64 v[99:102], v125 offset0:66 offset1:67
	s_waitcnt lgkmcnt(0)
	v_mul_f64 v[39:40], v[101:102], v[97:98]
	v_fma_f64 v[39:40], v[99:100], v[37:38], -v[39:40]
	v_mul_f64 v[99:100], v[99:100], v[97:98]
	v_add_f64 v[29:30], v[29:30], -v[39:40]
	v_fma_f64 v[99:100], v[101:102], v[37:38], v[99:100]
	v_add_f64 v[31:32], v[31:32], -v[99:100]
	;; [unrolled: 8-line block ×9, first 2 shown]
	ds_read2_b64 v[99:102], v125 offset0:82 offset1:83
	s_waitcnt lgkmcnt(0)
	v_mul_f64 v[39:40], v[101:102], v[97:98]
	v_fma_f64 v[39:40], v[99:100], v[37:38], -v[39:40]
	v_mul_f64 v[99:100], v[99:100], v[97:98]
	v_add_f64 v[121:122], v[121:122], -v[39:40]
	v_fma_f64 v[99:100], v[101:102], v[37:38], v[99:100]
	v_mov_b32_e32 v39, v97
	v_mov_b32_e32 v40, v98
	v_add_f64 v[123:124], v[123:124], -v[99:100]
.LBB83_289:
	s_or_b64 exec, exec, s[2:3]
	v_cmp_eq_u32_e32 vcc, 32, v0
	s_waitcnt vmcnt(0)
	s_barrier
	s_and_saveexec_b64 s[4:5], vcc
	s_cbranch_execz .LBB83_296
; %bb.290:
	ds_write2_b64 v127, v[33:34], v[35:36] offset1:1
	ds_write2_b64 v125, v[29:30], v[31:32] offset0:66 offset1:67
	ds_write2_b64 v125, v[25:26], v[27:28] offset0:68 offset1:69
	;; [unrolled: 1-line block ×9, first 2 shown]
	ds_read2_b64 v[97:100], v127 offset1:1
	s_waitcnt lgkmcnt(0)
	v_cmp_neq_f64_e32 vcc, 0, v[97:98]
	v_cmp_neq_f64_e64 s[2:3], 0, v[99:100]
	s_or_b64 s[2:3], vcc, s[2:3]
	s_and_b64 exec, exec, s[2:3]
	s_cbranch_execz .LBB83_296
; %bb.291:
	v_cmp_ngt_f64_e64 s[2:3], |v[97:98]|, |v[99:100]|
                                        ; implicit-def: $vgpr101_vgpr102
	s_and_saveexec_b64 s[6:7], s[2:3]
	s_xor_b64 s[2:3], exec, s[6:7]
                                        ; implicit-def: $vgpr103_vgpr104
	s_cbranch_execz .LBB83_293
; %bb.292:
	v_div_scale_f64 v[101:102], s[6:7], v[99:100], v[99:100], v[97:98]
	v_rcp_f64_e32 v[103:104], v[101:102]
	v_fma_f64 v[105:106], -v[101:102], v[103:104], 1.0
	v_fma_f64 v[103:104], v[103:104], v[105:106], v[103:104]
	v_div_scale_f64 v[105:106], vcc, v[97:98], v[99:100], v[97:98]
	v_fma_f64 v[107:108], -v[101:102], v[103:104], 1.0
	v_fma_f64 v[103:104], v[103:104], v[107:108], v[103:104]
	v_mul_f64 v[107:108], v[105:106], v[103:104]
	v_fma_f64 v[101:102], -v[101:102], v[107:108], v[105:106]
	v_div_fmas_f64 v[101:102], v[101:102], v[103:104], v[107:108]
	v_div_fixup_f64 v[101:102], v[101:102], v[99:100], v[97:98]
	v_fma_f64 v[97:98], v[97:98], v[101:102], v[99:100]
	v_div_scale_f64 v[99:100], s[6:7], v[97:98], v[97:98], 1.0
	v_div_scale_f64 v[107:108], vcc, 1.0, v[97:98], 1.0
	v_rcp_f64_e32 v[103:104], v[99:100]
	v_fma_f64 v[105:106], -v[99:100], v[103:104], 1.0
	v_fma_f64 v[103:104], v[103:104], v[105:106], v[103:104]
	v_fma_f64 v[105:106], -v[99:100], v[103:104], 1.0
	v_fma_f64 v[103:104], v[103:104], v[105:106], v[103:104]
	v_mul_f64 v[105:106], v[107:108], v[103:104]
	v_fma_f64 v[99:100], -v[99:100], v[105:106], v[107:108]
	v_div_fmas_f64 v[99:100], v[99:100], v[103:104], v[105:106]
	v_div_fixup_f64 v[103:104], v[99:100], v[97:98], 1.0
                                        ; implicit-def: $vgpr97_vgpr98
	v_mul_f64 v[101:102], v[101:102], v[103:104]
	v_xor_b32_e32 v104, 0x80000000, v104
.LBB83_293:
	s_andn2_saveexec_b64 s[2:3], s[2:3]
	s_cbranch_execz .LBB83_295
; %bb.294:
	v_div_scale_f64 v[101:102], s[6:7], v[97:98], v[97:98], v[99:100]
	v_rcp_f64_e32 v[103:104], v[101:102]
	v_fma_f64 v[105:106], -v[101:102], v[103:104], 1.0
	v_fma_f64 v[103:104], v[103:104], v[105:106], v[103:104]
	v_div_scale_f64 v[105:106], vcc, v[99:100], v[97:98], v[99:100]
	v_fma_f64 v[107:108], -v[101:102], v[103:104], 1.0
	v_fma_f64 v[103:104], v[103:104], v[107:108], v[103:104]
	v_mul_f64 v[107:108], v[105:106], v[103:104]
	v_fma_f64 v[101:102], -v[101:102], v[107:108], v[105:106]
	v_div_fmas_f64 v[101:102], v[101:102], v[103:104], v[107:108]
	v_div_fixup_f64 v[103:104], v[101:102], v[97:98], v[99:100]
	v_fma_f64 v[97:98], v[99:100], v[103:104], v[97:98]
	v_div_scale_f64 v[99:100], s[6:7], v[97:98], v[97:98], 1.0
	v_div_scale_f64 v[107:108], vcc, 1.0, v[97:98], 1.0
	v_rcp_f64_e32 v[101:102], v[99:100]
	v_fma_f64 v[105:106], -v[99:100], v[101:102], 1.0
	v_fma_f64 v[101:102], v[101:102], v[105:106], v[101:102]
	v_fma_f64 v[105:106], -v[99:100], v[101:102], 1.0
	v_fma_f64 v[101:102], v[101:102], v[105:106], v[101:102]
	v_mul_f64 v[105:106], v[107:108], v[101:102]
	v_fma_f64 v[99:100], -v[99:100], v[105:106], v[107:108]
	v_div_fmas_f64 v[99:100], v[99:100], v[101:102], v[105:106]
	v_div_fixup_f64 v[101:102], v[99:100], v[97:98], 1.0
	v_mul_f64 v[103:104], v[103:104], -v[101:102]
.LBB83_295:
	s_or_b64 exec, exec, s[2:3]
	ds_write2_b64 v127, v[101:102], v[103:104] offset1:1
.LBB83_296:
	s_or_b64 exec, exec, s[4:5]
	s_waitcnt lgkmcnt(0)
	s_barrier
	ds_read2_b64 v[97:100], v127 offset1:1
	v_cmp_lt_u32_e32 vcc, 32, v0
	s_waitcnt lgkmcnt(0)
	buffer_store_dword v97, off, s[20:23], 0 offset:1112 ; 4-byte Folded Spill
	s_nop 0
	buffer_store_dword v98, off, s[20:23], 0 offset:1116 ; 4-byte Folded Spill
	buffer_store_dword v99, off, s[20:23], 0 offset:1120 ; 4-byte Folded Spill
	;; [unrolled: 1-line block ×3, first 2 shown]
	s_and_saveexec_b64 s[2:3], vcc
	s_cbranch_execz .LBB83_298
; %bb.297:
	buffer_load_dword v99, off, s[20:23], 0 offset:1112 ; 4-byte Folded Reload
	buffer_load_dword v100, off, s[20:23], 0 offset:1116 ; 4-byte Folded Reload
	;; [unrolled: 1-line block ×4, first 2 shown]
	s_waitcnt vmcnt(2)
	v_mul_f64 v[97:98], v[99:100], v[35:36]
	s_waitcnt vmcnt(0)
	v_mul_f64 v[35:36], v[101:102], v[35:36]
	v_fma_f64 v[97:98], v[101:102], v[33:34], v[97:98]
	v_fma_f64 v[33:34], v[99:100], v[33:34], -v[35:36]
	ds_read2_b64 v[99:102], v125 offset0:66 offset1:67
	s_waitcnt lgkmcnt(0)
	v_mul_f64 v[35:36], v[101:102], v[97:98]
	v_fma_f64 v[35:36], v[99:100], v[33:34], -v[35:36]
	v_mul_f64 v[99:100], v[99:100], v[97:98]
	v_add_f64 v[29:30], v[29:30], -v[35:36]
	v_fma_f64 v[99:100], v[101:102], v[33:34], v[99:100]
	v_add_f64 v[31:32], v[31:32], -v[99:100]
	ds_read2_b64 v[99:102], v125 offset0:68 offset1:69
	s_waitcnt lgkmcnt(0)
	v_mul_f64 v[35:36], v[101:102], v[97:98]
	v_fma_f64 v[35:36], v[99:100], v[33:34], -v[35:36]
	v_mul_f64 v[99:100], v[99:100], v[97:98]
	v_add_f64 v[25:26], v[25:26], -v[35:36]
	v_fma_f64 v[99:100], v[101:102], v[33:34], v[99:100]
	v_add_f64 v[27:28], v[27:28], -v[99:100]
	;; [unrolled: 8-line block ×8, first 2 shown]
	ds_read2_b64 v[99:102], v125 offset0:82 offset1:83
	s_waitcnt lgkmcnt(0)
	v_mul_f64 v[35:36], v[101:102], v[97:98]
	v_fma_f64 v[35:36], v[99:100], v[33:34], -v[35:36]
	v_mul_f64 v[99:100], v[99:100], v[97:98]
	v_add_f64 v[121:122], v[121:122], -v[35:36]
	v_fma_f64 v[99:100], v[101:102], v[33:34], v[99:100]
	v_mov_b32_e32 v35, v97
	v_mov_b32_e32 v36, v98
	v_add_f64 v[123:124], v[123:124], -v[99:100]
.LBB83_298:
	s_or_b64 exec, exec, s[2:3]
	v_cmp_eq_u32_e32 vcc, 33, v0
	s_waitcnt vmcnt(0)
	s_barrier
	s_and_saveexec_b64 s[4:5], vcc
	s_cbranch_execz .LBB83_305
; %bb.299:
	ds_write2_b64 v127, v[29:30], v[31:32] offset1:1
	ds_write2_b64 v125, v[25:26], v[27:28] offset0:68 offset1:69
	ds_write2_b64 v125, v[21:22], v[23:24] offset0:70 offset1:71
	;; [unrolled: 1-line block ×8, first 2 shown]
	ds_read2_b64 v[97:100], v127 offset1:1
	s_waitcnt lgkmcnt(0)
	v_cmp_neq_f64_e32 vcc, 0, v[97:98]
	v_cmp_neq_f64_e64 s[2:3], 0, v[99:100]
	s_or_b64 s[2:3], vcc, s[2:3]
	s_and_b64 exec, exec, s[2:3]
	s_cbranch_execz .LBB83_305
; %bb.300:
	v_cmp_ngt_f64_e64 s[2:3], |v[97:98]|, |v[99:100]|
                                        ; implicit-def: $vgpr101_vgpr102
	s_and_saveexec_b64 s[6:7], s[2:3]
	s_xor_b64 s[2:3], exec, s[6:7]
                                        ; implicit-def: $vgpr103_vgpr104
	s_cbranch_execz .LBB83_302
; %bb.301:
	v_div_scale_f64 v[101:102], s[6:7], v[99:100], v[99:100], v[97:98]
	v_rcp_f64_e32 v[103:104], v[101:102]
	v_fma_f64 v[105:106], -v[101:102], v[103:104], 1.0
	v_fma_f64 v[103:104], v[103:104], v[105:106], v[103:104]
	v_div_scale_f64 v[105:106], vcc, v[97:98], v[99:100], v[97:98]
	v_fma_f64 v[107:108], -v[101:102], v[103:104], 1.0
	v_fma_f64 v[103:104], v[103:104], v[107:108], v[103:104]
	v_mul_f64 v[107:108], v[105:106], v[103:104]
	v_fma_f64 v[101:102], -v[101:102], v[107:108], v[105:106]
	v_div_fmas_f64 v[101:102], v[101:102], v[103:104], v[107:108]
	v_div_fixup_f64 v[101:102], v[101:102], v[99:100], v[97:98]
	v_fma_f64 v[97:98], v[97:98], v[101:102], v[99:100]
	v_div_scale_f64 v[99:100], s[6:7], v[97:98], v[97:98], 1.0
	v_div_scale_f64 v[107:108], vcc, 1.0, v[97:98], 1.0
	v_rcp_f64_e32 v[103:104], v[99:100]
	v_fma_f64 v[105:106], -v[99:100], v[103:104], 1.0
	v_fma_f64 v[103:104], v[103:104], v[105:106], v[103:104]
	v_fma_f64 v[105:106], -v[99:100], v[103:104], 1.0
	v_fma_f64 v[103:104], v[103:104], v[105:106], v[103:104]
	v_mul_f64 v[105:106], v[107:108], v[103:104]
	v_fma_f64 v[99:100], -v[99:100], v[105:106], v[107:108]
	v_div_fmas_f64 v[99:100], v[99:100], v[103:104], v[105:106]
	v_div_fixup_f64 v[103:104], v[99:100], v[97:98], 1.0
                                        ; implicit-def: $vgpr97_vgpr98
	v_mul_f64 v[101:102], v[101:102], v[103:104]
	v_xor_b32_e32 v104, 0x80000000, v104
.LBB83_302:
	s_andn2_saveexec_b64 s[2:3], s[2:3]
	s_cbranch_execz .LBB83_304
; %bb.303:
	v_div_scale_f64 v[101:102], s[6:7], v[97:98], v[97:98], v[99:100]
	v_rcp_f64_e32 v[103:104], v[101:102]
	v_fma_f64 v[105:106], -v[101:102], v[103:104], 1.0
	v_fma_f64 v[103:104], v[103:104], v[105:106], v[103:104]
	v_div_scale_f64 v[105:106], vcc, v[99:100], v[97:98], v[99:100]
	v_fma_f64 v[107:108], -v[101:102], v[103:104], 1.0
	v_fma_f64 v[103:104], v[103:104], v[107:108], v[103:104]
	v_mul_f64 v[107:108], v[105:106], v[103:104]
	v_fma_f64 v[101:102], -v[101:102], v[107:108], v[105:106]
	v_div_fmas_f64 v[101:102], v[101:102], v[103:104], v[107:108]
	v_div_fixup_f64 v[103:104], v[101:102], v[97:98], v[99:100]
	v_fma_f64 v[97:98], v[99:100], v[103:104], v[97:98]
	v_div_scale_f64 v[99:100], s[6:7], v[97:98], v[97:98], 1.0
	v_div_scale_f64 v[107:108], vcc, 1.0, v[97:98], 1.0
	v_rcp_f64_e32 v[101:102], v[99:100]
	v_fma_f64 v[105:106], -v[99:100], v[101:102], 1.0
	v_fma_f64 v[101:102], v[101:102], v[105:106], v[101:102]
	v_fma_f64 v[105:106], -v[99:100], v[101:102], 1.0
	v_fma_f64 v[101:102], v[101:102], v[105:106], v[101:102]
	v_mul_f64 v[105:106], v[107:108], v[101:102]
	v_fma_f64 v[99:100], -v[99:100], v[105:106], v[107:108]
	v_div_fmas_f64 v[99:100], v[99:100], v[101:102], v[105:106]
	v_div_fixup_f64 v[101:102], v[99:100], v[97:98], 1.0
	v_mul_f64 v[103:104], v[103:104], -v[101:102]
.LBB83_304:
	s_or_b64 exec, exec, s[2:3]
	ds_write2_b64 v127, v[101:102], v[103:104] offset1:1
.LBB83_305:
	s_or_b64 exec, exec, s[4:5]
	s_waitcnt lgkmcnt(0)
	s_barrier
	ds_read2_b64 v[97:100], v127 offset1:1
	v_cmp_lt_u32_e32 vcc, 33, v0
	s_waitcnt lgkmcnt(0)
	buffer_store_dword v97, off, s[20:23], 0 offset:1128 ; 4-byte Folded Spill
	s_nop 0
	buffer_store_dword v98, off, s[20:23], 0 offset:1132 ; 4-byte Folded Spill
	buffer_store_dword v99, off, s[20:23], 0 offset:1136 ; 4-byte Folded Spill
	;; [unrolled: 1-line block ×3, first 2 shown]
	s_and_saveexec_b64 s[2:3], vcc
	s_cbranch_execz .LBB83_307
; %bb.306:
	buffer_load_dword v99, off, s[20:23], 0 offset:1128 ; 4-byte Folded Reload
	buffer_load_dword v100, off, s[20:23], 0 offset:1132 ; 4-byte Folded Reload
	;; [unrolled: 1-line block ×4, first 2 shown]
	s_waitcnt vmcnt(2)
	v_mul_f64 v[97:98], v[99:100], v[31:32]
	s_waitcnt vmcnt(0)
	v_mul_f64 v[31:32], v[101:102], v[31:32]
	v_fma_f64 v[97:98], v[101:102], v[29:30], v[97:98]
	v_fma_f64 v[29:30], v[99:100], v[29:30], -v[31:32]
	ds_read2_b64 v[99:102], v125 offset0:68 offset1:69
	s_waitcnt lgkmcnt(0)
	v_mul_f64 v[31:32], v[101:102], v[97:98]
	v_fma_f64 v[31:32], v[99:100], v[29:30], -v[31:32]
	v_mul_f64 v[99:100], v[99:100], v[97:98]
	v_add_f64 v[25:26], v[25:26], -v[31:32]
	v_fma_f64 v[99:100], v[101:102], v[29:30], v[99:100]
	v_add_f64 v[27:28], v[27:28], -v[99:100]
	ds_read2_b64 v[99:102], v125 offset0:70 offset1:71
	s_waitcnt lgkmcnt(0)
	v_mul_f64 v[31:32], v[101:102], v[97:98]
	v_fma_f64 v[31:32], v[99:100], v[29:30], -v[31:32]
	v_mul_f64 v[99:100], v[99:100], v[97:98]
	v_add_f64 v[21:22], v[21:22], -v[31:32]
	v_fma_f64 v[99:100], v[101:102], v[29:30], v[99:100]
	v_add_f64 v[23:24], v[23:24], -v[99:100]
	;; [unrolled: 8-line block ×7, first 2 shown]
	ds_read2_b64 v[99:102], v125 offset0:82 offset1:83
	s_waitcnt lgkmcnt(0)
	v_mul_f64 v[31:32], v[101:102], v[97:98]
	v_fma_f64 v[31:32], v[99:100], v[29:30], -v[31:32]
	v_mul_f64 v[99:100], v[99:100], v[97:98]
	v_add_f64 v[121:122], v[121:122], -v[31:32]
	v_fma_f64 v[99:100], v[101:102], v[29:30], v[99:100]
	v_mov_b32_e32 v31, v97
	v_mov_b32_e32 v32, v98
	v_add_f64 v[123:124], v[123:124], -v[99:100]
.LBB83_307:
	s_or_b64 exec, exec, s[2:3]
	v_cmp_eq_u32_e32 vcc, 34, v0
	s_waitcnt vmcnt(0)
	s_barrier
	s_and_saveexec_b64 s[4:5], vcc
	s_cbranch_execz .LBB83_314
; %bb.308:
	ds_write2_b64 v127, v[25:26], v[27:28] offset1:1
	ds_write2_b64 v125, v[21:22], v[23:24] offset0:70 offset1:71
	ds_write2_b64 v125, v[17:18], v[19:20] offset0:72 offset1:73
	;; [unrolled: 1-line block ×7, first 2 shown]
	ds_read2_b64 v[97:100], v127 offset1:1
	s_waitcnt lgkmcnt(0)
	v_cmp_neq_f64_e32 vcc, 0, v[97:98]
	v_cmp_neq_f64_e64 s[2:3], 0, v[99:100]
	s_or_b64 s[2:3], vcc, s[2:3]
	s_and_b64 exec, exec, s[2:3]
	s_cbranch_execz .LBB83_314
; %bb.309:
	v_cmp_ngt_f64_e64 s[2:3], |v[97:98]|, |v[99:100]|
                                        ; implicit-def: $vgpr101_vgpr102
	s_and_saveexec_b64 s[6:7], s[2:3]
	s_xor_b64 s[2:3], exec, s[6:7]
                                        ; implicit-def: $vgpr103_vgpr104
	s_cbranch_execz .LBB83_311
; %bb.310:
	v_div_scale_f64 v[101:102], s[6:7], v[99:100], v[99:100], v[97:98]
	v_rcp_f64_e32 v[103:104], v[101:102]
	v_fma_f64 v[105:106], -v[101:102], v[103:104], 1.0
	v_fma_f64 v[103:104], v[103:104], v[105:106], v[103:104]
	v_div_scale_f64 v[105:106], vcc, v[97:98], v[99:100], v[97:98]
	v_fma_f64 v[107:108], -v[101:102], v[103:104], 1.0
	v_fma_f64 v[103:104], v[103:104], v[107:108], v[103:104]
	v_mul_f64 v[107:108], v[105:106], v[103:104]
	v_fma_f64 v[101:102], -v[101:102], v[107:108], v[105:106]
	v_div_fmas_f64 v[101:102], v[101:102], v[103:104], v[107:108]
	v_div_fixup_f64 v[101:102], v[101:102], v[99:100], v[97:98]
	v_fma_f64 v[97:98], v[97:98], v[101:102], v[99:100]
	v_div_scale_f64 v[99:100], s[6:7], v[97:98], v[97:98], 1.0
	v_div_scale_f64 v[107:108], vcc, 1.0, v[97:98], 1.0
	v_rcp_f64_e32 v[103:104], v[99:100]
	v_fma_f64 v[105:106], -v[99:100], v[103:104], 1.0
	v_fma_f64 v[103:104], v[103:104], v[105:106], v[103:104]
	v_fma_f64 v[105:106], -v[99:100], v[103:104], 1.0
	v_fma_f64 v[103:104], v[103:104], v[105:106], v[103:104]
	v_mul_f64 v[105:106], v[107:108], v[103:104]
	v_fma_f64 v[99:100], -v[99:100], v[105:106], v[107:108]
	v_div_fmas_f64 v[99:100], v[99:100], v[103:104], v[105:106]
	v_div_fixup_f64 v[103:104], v[99:100], v[97:98], 1.0
                                        ; implicit-def: $vgpr97_vgpr98
	v_mul_f64 v[101:102], v[101:102], v[103:104]
	v_xor_b32_e32 v104, 0x80000000, v104
.LBB83_311:
	s_andn2_saveexec_b64 s[2:3], s[2:3]
	s_cbranch_execz .LBB83_313
; %bb.312:
	v_div_scale_f64 v[101:102], s[6:7], v[97:98], v[97:98], v[99:100]
	v_rcp_f64_e32 v[103:104], v[101:102]
	v_fma_f64 v[105:106], -v[101:102], v[103:104], 1.0
	v_fma_f64 v[103:104], v[103:104], v[105:106], v[103:104]
	v_div_scale_f64 v[105:106], vcc, v[99:100], v[97:98], v[99:100]
	v_fma_f64 v[107:108], -v[101:102], v[103:104], 1.0
	v_fma_f64 v[103:104], v[103:104], v[107:108], v[103:104]
	v_mul_f64 v[107:108], v[105:106], v[103:104]
	v_fma_f64 v[101:102], -v[101:102], v[107:108], v[105:106]
	v_div_fmas_f64 v[101:102], v[101:102], v[103:104], v[107:108]
	v_div_fixup_f64 v[103:104], v[101:102], v[97:98], v[99:100]
	v_fma_f64 v[97:98], v[99:100], v[103:104], v[97:98]
	v_div_scale_f64 v[99:100], s[6:7], v[97:98], v[97:98], 1.0
	v_div_scale_f64 v[107:108], vcc, 1.0, v[97:98], 1.0
	v_rcp_f64_e32 v[101:102], v[99:100]
	v_fma_f64 v[105:106], -v[99:100], v[101:102], 1.0
	v_fma_f64 v[101:102], v[101:102], v[105:106], v[101:102]
	v_fma_f64 v[105:106], -v[99:100], v[101:102], 1.0
	v_fma_f64 v[101:102], v[101:102], v[105:106], v[101:102]
	v_mul_f64 v[105:106], v[107:108], v[101:102]
	v_fma_f64 v[99:100], -v[99:100], v[105:106], v[107:108]
	v_div_fmas_f64 v[99:100], v[99:100], v[101:102], v[105:106]
	v_div_fixup_f64 v[101:102], v[99:100], v[97:98], 1.0
	v_mul_f64 v[103:104], v[103:104], -v[101:102]
.LBB83_313:
	s_or_b64 exec, exec, s[2:3]
	ds_write2_b64 v127, v[101:102], v[103:104] offset1:1
.LBB83_314:
	s_or_b64 exec, exec, s[4:5]
	s_waitcnt lgkmcnt(0)
	s_barrier
	ds_read2_b64 v[97:100], v127 offset1:1
	v_cmp_lt_u32_e32 vcc, 34, v0
	s_waitcnt lgkmcnt(0)
	buffer_store_dword v97, off, s[20:23], 0 offset:1144 ; 4-byte Folded Spill
	s_nop 0
	buffer_store_dword v98, off, s[20:23], 0 offset:1148 ; 4-byte Folded Spill
	buffer_store_dword v99, off, s[20:23], 0 offset:1152 ; 4-byte Folded Spill
	buffer_store_dword v100, off, s[20:23], 0 offset:1156 ; 4-byte Folded Spill
	s_and_saveexec_b64 s[2:3], vcc
	s_cbranch_execz .LBB83_316
; %bb.315:
	buffer_load_dword v99, off, s[20:23], 0 offset:1144 ; 4-byte Folded Reload
	buffer_load_dword v100, off, s[20:23], 0 offset:1148 ; 4-byte Folded Reload
	;; [unrolled: 1-line block ×4, first 2 shown]
	s_waitcnt vmcnt(2)
	v_mul_f64 v[97:98], v[99:100], v[27:28]
	s_waitcnt vmcnt(0)
	v_mul_f64 v[27:28], v[101:102], v[27:28]
	v_fma_f64 v[97:98], v[101:102], v[25:26], v[97:98]
	v_fma_f64 v[25:26], v[99:100], v[25:26], -v[27:28]
	ds_read2_b64 v[99:102], v125 offset0:70 offset1:71
	s_waitcnt lgkmcnt(0)
	v_mul_f64 v[27:28], v[101:102], v[97:98]
	v_fma_f64 v[27:28], v[99:100], v[25:26], -v[27:28]
	v_mul_f64 v[99:100], v[99:100], v[97:98]
	v_add_f64 v[21:22], v[21:22], -v[27:28]
	v_fma_f64 v[99:100], v[101:102], v[25:26], v[99:100]
	v_add_f64 v[23:24], v[23:24], -v[99:100]
	ds_read2_b64 v[99:102], v125 offset0:72 offset1:73
	s_waitcnt lgkmcnt(0)
	v_mul_f64 v[27:28], v[101:102], v[97:98]
	v_fma_f64 v[27:28], v[99:100], v[25:26], -v[27:28]
	v_mul_f64 v[99:100], v[99:100], v[97:98]
	v_add_f64 v[17:18], v[17:18], -v[27:28]
	v_fma_f64 v[99:100], v[101:102], v[25:26], v[99:100]
	v_add_f64 v[19:20], v[19:20], -v[99:100]
	;; [unrolled: 8-line block ×6, first 2 shown]
	ds_read2_b64 v[99:102], v125 offset0:82 offset1:83
	s_waitcnt lgkmcnt(0)
	v_mul_f64 v[27:28], v[101:102], v[97:98]
	v_fma_f64 v[27:28], v[99:100], v[25:26], -v[27:28]
	v_mul_f64 v[99:100], v[99:100], v[97:98]
	v_add_f64 v[121:122], v[121:122], -v[27:28]
	v_fma_f64 v[99:100], v[101:102], v[25:26], v[99:100]
	v_mov_b32_e32 v27, v97
	v_mov_b32_e32 v28, v98
	v_add_f64 v[123:124], v[123:124], -v[99:100]
.LBB83_316:
	s_or_b64 exec, exec, s[2:3]
	v_cmp_eq_u32_e32 vcc, 35, v0
	s_waitcnt vmcnt(0)
	s_barrier
	s_and_saveexec_b64 s[4:5], vcc
	s_cbranch_execz .LBB83_323
; %bb.317:
	ds_write2_b64 v127, v[21:22], v[23:24] offset1:1
	ds_write2_b64 v125, v[17:18], v[19:20] offset0:72 offset1:73
	ds_write2_b64 v125, v[13:14], v[15:16] offset0:74 offset1:75
	;; [unrolled: 1-line block ×6, first 2 shown]
	ds_read2_b64 v[97:100], v127 offset1:1
	s_waitcnt lgkmcnt(0)
	v_cmp_neq_f64_e32 vcc, 0, v[97:98]
	v_cmp_neq_f64_e64 s[2:3], 0, v[99:100]
	s_or_b64 s[2:3], vcc, s[2:3]
	s_and_b64 exec, exec, s[2:3]
	s_cbranch_execz .LBB83_323
; %bb.318:
	v_cmp_ngt_f64_e64 s[2:3], |v[97:98]|, |v[99:100]|
                                        ; implicit-def: $vgpr101_vgpr102
	s_and_saveexec_b64 s[6:7], s[2:3]
	s_xor_b64 s[2:3], exec, s[6:7]
                                        ; implicit-def: $vgpr103_vgpr104
	s_cbranch_execz .LBB83_320
; %bb.319:
	v_div_scale_f64 v[101:102], s[6:7], v[99:100], v[99:100], v[97:98]
	v_rcp_f64_e32 v[103:104], v[101:102]
	v_fma_f64 v[105:106], -v[101:102], v[103:104], 1.0
	v_fma_f64 v[103:104], v[103:104], v[105:106], v[103:104]
	v_div_scale_f64 v[105:106], vcc, v[97:98], v[99:100], v[97:98]
	v_fma_f64 v[107:108], -v[101:102], v[103:104], 1.0
	v_fma_f64 v[103:104], v[103:104], v[107:108], v[103:104]
	v_mul_f64 v[107:108], v[105:106], v[103:104]
	v_fma_f64 v[101:102], -v[101:102], v[107:108], v[105:106]
	v_div_fmas_f64 v[101:102], v[101:102], v[103:104], v[107:108]
	v_div_fixup_f64 v[101:102], v[101:102], v[99:100], v[97:98]
	v_fma_f64 v[97:98], v[97:98], v[101:102], v[99:100]
	v_div_scale_f64 v[99:100], s[6:7], v[97:98], v[97:98], 1.0
	v_div_scale_f64 v[107:108], vcc, 1.0, v[97:98], 1.0
	v_rcp_f64_e32 v[103:104], v[99:100]
	v_fma_f64 v[105:106], -v[99:100], v[103:104], 1.0
	v_fma_f64 v[103:104], v[103:104], v[105:106], v[103:104]
	v_fma_f64 v[105:106], -v[99:100], v[103:104], 1.0
	v_fma_f64 v[103:104], v[103:104], v[105:106], v[103:104]
	v_mul_f64 v[105:106], v[107:108], v[103:104]
	v_fma_f64 v[99:100], -v[99:100], v[105:106], v[107:108]
	v_div_fmas_f64 v[99:100], v[99:100], v[103:104], v[105:106]
	v_div_fixup_f64 v[103:104], v[99:100], v[97:98], 1.0
                                        ; implicit-def: $vgpr97_vgpr98
	v_mul_f64 v[101:102], v[101:102], v[103:104]
	v_xor_b32_e32 v104, 0x80000000, v104
.LBB83_320:
	s_andn2_saveexec_b64 s[2:3], s[2:3]
	s_cbranch_execz .LBB83_322
; %bb.321:
	v_div_scale_f64 v[101:102], s[6:7], v[97:98], v[97:98], v[99:100]
	v_rcp_f64_e32 v[103:104], v[101:102]
	v_fma_f64 v[105:106], -v[101:102], v[103:104], 1.0
	v_fma_f64 v[103:104], v[103:104], v[105:106], v[103:104]
	v_div_scale_f64 v[105:106], vcc, v[99:100], v[97:98], v[99:100]
	v_fma_f64 v[107:108], -v[101:102], v[103:104], 1.0
	v_fma_f64 v[103:104], v[103:104], v[107:108], v[103:104]
	v_mul_f64 v[107:108], v[105:106], v[103:104]
	v_fma_f64 v[101:102], -v[101:102], v[107:108], v[105:106]
	v_div_fmas_f64 v[101:102], v[101:102], v[103:104], v[107:108]
	v_div_fixup_f64 v[103:104], v[101:102], v[97:98], v[99:100]
	v_fma_f64 v[97:98], v[99:100], v[103:104], v[97:98]
	v_div_scale_f64 v[99:100], s[6:7], v[97:98], v[97:98], 1.0
	v_div_scale_f64 v[107:108], vcc, 1.0, v[97:98], 1.0
	v_rcp_f64_e32 v[101:102], v[99:100]
	v_fma_f64 v[105:106], -v[99:100], v[101:102], 1.0
	v_fma_f64 v[101:102], v[101:102], v[105:106], v[101:102]
	v_fma_f64 v[105:106], -v[99:100], v[101:102], 1.0
	v_fma_f64 v[101:102], v[101:102], v[105:106], v[101:102]
	v_mul_f64 v[105:106], v[107:108], v[101:102]
	v_fma_f64 v[99:100], -v[99:100], v[105:106], v[107:108]
	v_div_fmas_f64 v[99:100], v[99:100], v[101:102], v[105:106]
	v_div_fixup_f64 v[101:102], v[99:100], v[97:98], 1.0
	v_mul_f64 v[103:104], v[103:104], -v[101:102]
.LBB83_322:
	s_or_b64 exec, exec, s[2:3]
	ds_write2_b64 v127, v[101:102], v[103:104] offset1:1
.LBB83_323:
	s_or_b64 exec, exec, s[4:5]
	s_waitcnt lgkmcnt(0)
	s_barrier
	ds_read2_b64 v[97:100], v127 offset1:1
	v_cmp_lt_u32_e32 vcc, 35, v0
	s_waitcnt lgkmcnt(0)
	buffer_store_dword v97, off, s[20:23], 0 offset:1160 ; 4-byte Folded Spill
	s_nop 0
	buffer_store_dword v98, off, s[20:23], 0 offset:1164 ; 4-byte Folded Spill
	buffer_store_dword v99, off, s[20:23], 0 offset:1168 ; 4-byte Folded Spill
	;; [unrolled: 1-line block ×3, first 2 shown]
	s_and_saveexec_b64 s[2:3], vcc
	s_cbranch_execz .LBB83_325
; %bb.324:
	buffer_load_dword v99, off, s[20:23], 0 offset:1160 ; 4-byte Folded Reload
	buffer_load_dword v100, off, s[20:23], 0 offset:1164 ; 4-byte Folded Reload
	;; [unrolled: 1-line block ×4, first 2 shown]
	s_waitcnt vmcnt(2)
	v_mul_f64 v[97:98], v[99:100], v[23:24]
	s_waitcnt vmcnt(0)
	v_mul_f64 v[23:24], v[101:102], v[23:24]
	v_fma_f64 v[97:98], v[101:102], v[21:22], v[97:98]
	v_fma_f64 v[21:22], v[99:100], v[21:22], -v[23:24]
	ds_read2_b64 v[99:102], v125 offset0:72 offset1:73
	s_waitcnt lgkmcnt(0)
	v_mul_f64 v[23:24], v[101:102], v[97:98]
	v_fma_f64 v[23:24], v[99:100], v[21:22], -v[23:24]
	v_mul_f64 v[99:100], v[99:100], v[97:98]
	v_add_f64 v[17:18], v[17:18], -v[23:24]
	v_fma_f64 v[99:100], v[101:102], v[21:22], v[99:100]
	v_add_f64 v[19:20], v[19:20], -v[99:100]
	ds_read2_b64 v[99:102], v125 offset0:74 offset1:75
	s_waitcnt lgkmcnt(0)
	v_mul_f64 v[23:24], v[101:102], v[97:98]
	v_fma_f64 v[23:24], v[99:100], v[21:22], -v[23:24]
	v_mul_f64 v[99:100], v[99:100], v[97:98]
	v_add_f64 v[13:14], v[13:14], -v[23:24]
	v_fma_f64 v[99:100], v[101:102], v[21:22], v[99:100]
	v_add_f64 v[15:16], v[15:16], -v[99:100]
	;; [unrolled: 8-line block ×5, first 2 shown]
	ds_read2_b64 v[99:102], v125 offset0:82 offset1:83
	s_waitcnt lgkmcnt(0)
	v_mul_f64 v[23:24], v[101:102], v[97:98]
	v_fma_f64 v[23:24], v[99:100], v[21:22], -v[23:24]
	v_mul_f64 v[99:100], v[99:100], v[97:98]
	v_add_f64 v[121:122], v[121:122], -v[23:24]
	v_fma_f64 v[99:100], v[101:102], v[21:22], v[99:100]
	v_mov_b32_e32 v23, v97
	v_mov_b32_e32 v24, v98
	v_add_f64 v[123:124], v[123:124], -v[99:100]
.LBB83_325:
	s_or_b64 exec, exec, s[2:3]
	v_cmp_eq_u32_e32 vcc, 36, v0
	s_waitcnt vmcnt(0)
	s_barrier
	s_and_saveexec_b64 s[4:5], vcc
	s_cbranch_execz .LBB83_332
; %bb.326:
	ds_write2_b64 v127, v[17:18], v[19:20] offset1:1
	ds_write2_b64 v125, v[13:14], v[15:16] offset0:74 offset1:75
	ds_write2_b64 v125, v[9:10], v[11:12] offset0:76 offset1:77
	;; [unrolled: 1-line block ×5, first 2 shown]
	ds_read2_b64 v[97:100], v127 offset1:1
	s_waitcnt lgkmcnt(0)
	v_cmp_neq_f64_e32 vcc, 0, v[97:98]
	v_cmp_neq_f64_e64 s[2:3], 0, v[99:100]
	s_or_b64 s[2:3], vcc, s[2:3]
	s_and_b64 exec, exec, s[2:3]
	s_cbranch_execz .LBB83_332
; %bb.327:
	v_cmp_ngt_f64_e64 s[2:3], |v[97:98]|, |v[99:100]|
                                        ; implicit-def: $vgpr101_vgpr102
	s_and_saveexec_b64 s[6:7], s[2:3]
	s_xor_b64 s[2:3], exec, s[6:7]
                                        ; implicit-def: $vgpr103_vgpr104
	s_cbranch_execz .LBB83_329
; %bb.328:
	v_div_scale_f64 v[101:102], s[6:7], v[99:100], v[99:100], v[97:98]
	v_rcp_f64_e32 v[103:104], v[101:102]
	v_fma_f64 v[105:106], -v[101:102], v[103:104], 1.0
	v_fma_f64 v[103:104], v[103:104], v[105:106], v[103:104]
	v_div_scale_f64 v[105:106], vcc, v[97:98], v[99:100], v[97:98]
	v_fma_f64 v[107:108], -v[101:102], v[103:104], 1.0
	v_fma_f64 v[103:104], v[103:104], v[107:108], v[103:104]
	v_mul_f64 v[107:108], v[105:106], v[103:104]
	v_fma_f64 v[101:102], -v[101:102], v[107:108], v[105:106]
	v_div_fmas_f64 v[101:102], v[101:102], v[103:104], v[107:108]
	v_div_fixup_f64 v[101:102], v[101:102], v[99:100], v[97:98]
	v_fma_f64 v[97:98], v[97:98], v[101:102], v[99:100]
	v_div_scale_f64 v[99:100], s[6:7], v[97:98], v[97:98], 1.0
	v_div_scale_f64 v[107:108], vcc, 1.0, v[97:98], 1.0
	v_rcp_f64_e32 v[103:104], v[99:100]
	v_fma_f64 v[105:106], -v[99:100], v[103:104], 1.0
	v_fma_f64 v[103:104], v[103:104], v[105:106], v[103:104]
	v_fma_f64 v[105:106], -v[99:100], v[103:104], 1.0
	v_fma_f64 v[103:104], v[103:104], v[105:106], v[103:104]
	v_mul_f64 v[105:106], v[107:108], v[103:104]
	v_fma_f64 v[99:100], -v[99:100], v[105:106], v[107:108]
	v_div_fmas_f64 v[99:100], v[99:100], v[103:104], v[105:106]
	v_div_fixup_f64 v[103:104], v[99:100], v[97:98], 1.0
                                        ; implicit-def: $vgpr97_vgpr98
	v_mul_f64 v[101:102], v[101:102], v[103:104]
	v_xor_b32_e32 v104, 0x80000000, v104
.LBB83_329:
	s_andn2_saveexec_b64 s[2:3], s[2:3]
	s_cbranch_execz .LBB83_331
; %bb.330:
	v_div_scale_f64 v[101:102], s[6:7], v[97:98], v[97:98], v[99:100]
	v_rcp_f64_e32 v[103:104], v[101:102]
	v_fma_f64 v[105:106], -v[101:102], v[103:104], 1.0
	v_fma_f64 v[103:104], v[103:104], v[105:106], v[103:104]
	v_div_scale_f64 v[105:106], vcc, v[99:100], v[97:98], v[99:100]
	v_fma_f64 v[107:108], -v[101:102], v[103:104], 1.0
	v_fma_f64 v[103:104], v[103:104], v[107:108], v[103:104]
	v_mul_f64 v[107:108], v[105:106], v[103:104]
	v_fma_f64 v[101:102], -v[101:102], v[107:108], v[105:106]
	v_div_fmas_f64 v[101:102], v[101:102], v[103:104], v[107:108]
	v_div_fixup_f64 v[103:104], v[101:102], v[97:98], v[99:100]
	v_fma_f64 v[97:98], v[99:100], v[103:104], v[97:98]
	v_div_scale_f64 v[99:100], s[6:7], v[97:98], v[97:98], 1.0
	v_div_scale_f64 v[107:108], vcc, 1.0, v[97:98], 1.0
	v_rcp_f64_e32 v[101:102], v[99:100]
	v_fma_f64 v[105:106], -v[99:100], v[101:102], 1.0
	v_fma_f64 v[101:102], v[101:102], v[105:106], v[101:102]
	v_fma_f64 v[105:106], -v[99:100], v[101:102], 1.0
	v_fma_f64 v[101:102], v[101:102], v[105:106], v[101:102]
	v_mul_f64 v[105:106], v[107:108], v[101:102]
	v_fma_f64 v[99:100], -v[99:100], v[105:106], v[107:108]
	v_div_fmas_f64 v[99:100], v[99:100], v[101:102], v[105:106]
	v_div_fixup_f64 v[101:102], v[99:100], v[97:98], 1.0
	v_mul_f64 v[103:104], v[103:104], -v[101:102]
.LBB83_331:
	s_or_b64 exec, exec, s[2:3]
	ds_write2_b64 v127, v[101:102], v[103:104] offset1:1
.LBB83_332:
	s_or_b64 exec, exec, s[4:5]
	s_waitcnt lgkmcnt(0)
	s_barrier
	ds_read2_b64 v[97:100], v127 offset1:1
	v_cmp_lt_u32_e32 vcc, 36, v0
	s_waitcnt lgkmcnt(0)
	buffer_store_dword v97, off, s[20:23], 0 offset:1176 ; 4-byte Folded Spill
	s_nop 0
	buffer_store_dword v98, off, s[20:23], 0 offset:1180 ; 4-byte Folded Spill
	buffer_store_dword v99, off, s[20:23], 0 offset:1184 ; 4-byte Folded Spill
	;; [unrolled: 1-line block ×3, first 2 shown]
	s_and_saveexec_b64 s[2:3], vcc
	s_cbranch_execz .LBB83_334
; %bb.333:
	buffer_load_dword v103, off, s[20:23], 0 offset:1176 ; 4-byte Folded Reload
	buffer_load_dword v104, off, s[20:23], 0 offset:1180 ; 4-byte Folded Reload
	;; [unrolled: 1-line block ×4, first 2 shown]
	s_waitcnt vmcnt(2)
	v_mul_f64 v[97:98], v[103:104], v[19:20]
	s_waitcnt vmcnt(0)
	v_mul_f64 v[19:20], v[105:106], v[19:20]
	v_fma_f64 v[101:102], v[105:106], v[17:18], v[97:98]
	ds_read2_b64 v[97:100], v125 offset0:74 offset1:75
	v_fma_f64 v[17:18], v[103:104], v[17:18], -v[19:20]
	s_waitcnt lgkmcnt(0)
	v_mul_f64 v[19:20], v[99:100], v[101:102]
	v_fma_f64 v[19:20], v[97:98], v[17:18], -v[19:20]
	v_mul_f64 v[97:98], v[97:98], v[101:102]
	v_add_f64 v[13:14], v[13:14], -v[19:20]
	v_fma_f64 v[97:98], v[99:100], v[17:18], v[97:98]
	v_add_f64 v[15:16], v[15:16], -v[97:98]
	ds_read2_b64 v[97:100], v125 offset0:76 offset1:77
	s_waitcnt lgkmcnt(0)
	v_mul_f64 v[19:20], v[99:100], v[101:102]
	v_fma_f64 v[19:20], v[97:98], v[17:18], -v[19:20]
	v_mul_f64 v[97:98], v[97:98], v[101:102]
	v_add_f64 v[9:10], v[9:10], -v[19:20]
	v_fma_f64 v[97:98], v[99:100], v[17:18], v[97:98]
	v_add_f64 v[11:12], v[11:12], -v[97:98]
	ds_read2_b64 v[97:100], v125 offset0:78 offset1:79
	;; [unrolled: 8-line block ×4, first 2 shown]
	s_waitcnt lgkmcnt(0)
	v_mul_f64 v[19:20], v[99:100], v[101:102]
	v_fma_f64 v[19:20], v[97:98], v[17:18], -v[19:20]
	v_mul_f64 v[97:98], v[97:98], v[101:102]
	v_add_f64 v[121:122], v[121:122], -v[19:20]
	v_fma_f64 v[97:98], v[99:100], v[17:18], v[97:98]
	v_mov_b32_e32 v19, v101
	v_mov_b32_e32 v20, v102
	v_add_f64 v[123:124], v[123:124], -v[97:98]
.LBB83_334:
	s_or_b64 exec, exec, s[2:3]
	v_cmp_eq_u32_e32 vcc, 37, v0
	s_waitcnt vmcnt(0)
	s_barrier
	s_and_saveexec_b64 s[4:5], vcc
	s_cbranch_execz .LBB83_341
; %bb.335:
	ds_write2_b64 v127, v[13:14], v[15:16] offset1:1
	ds_write2_b64 v125, v[9:10], v[11:12] offset0:76 offset1:77
	ds_write2_b64 v125, v[5:6], v[7:8] offset0:78 offset1:79
	;; [unrolled: 1-line block ×4, first 2 shown]
	ds_read2_b64 v[97:100], v127 offset1:1
	s_waitcnt lgkmcnt(0)
	v_cmp_neq_f64_e32 vcc, 0, v[97:98]
	v_cmp_neq_f64_e64 s[2:3], 0, v[99:100]
	s_or_b64 s[2:3], vcc, s[2:3]
	s_and_b64 exec, exec, s[2:3]
	s_cbranch_execz .LBB83_341
; %bb.336:
	v_cmp_ngt_f64_e64 s[2:3], |v[97:98]|, |v[99:100]|
                                        ; implicit-def: $vgpr101_vgpr102
	s_and_saveexec_b64 s[6:7], s[2:3]
	s_xor_b64 s[2:3], exec, s[6:7]
                                        ; implicit-def: $vgpr103_vgpr104
	s_cbranch_execz .LBB83_338
; %bb.337:
	v_div_scale_f64 v[101:102], s[6:7], v[99:100], v[99:100], v[97:98]
	v_rcp_f64_e32 v[103:104], v[101:102]
	v_fma_f64 v[105:106], -v[101:102], v[103:104], 1.0
	v_fma_f64 v[103:104], v[103:104], v[105:106], v[103:104]
	v_div_scale_f64 v[105:106], vcc, v[97:98], v[99:100], v[97:98]
	v_fma_f64 v[107:108], -v[101:102], v[103:104], 1.0
	v_fma_f64 v[103:104], v[103:104], v[107:108], v[103:104]
	v_mul_f64 v[107:108], v[105:106], v[103:104]
	v_fma_f64 v[101:102], -v[101:102], v[107:108], v[105:106]
	v_div_fmas_f64 v[101:102], v[101:102], v[103:104], v[107:108]
	v_div_fixup_f64 v[101:102], v[101:102], v[99:100], v[97:98]
	v_fma_f64 v[97:98], v[97:98], v[101:102], v[99:100]
	v_div_scale_f64 v[99:100], s[6:7], v[97:98], v[97:98], 1.0
	v_div_scale_f64 v[107:108], vcc, 1.0, v[97:98], 1.0
	v_rcp_f64_e32 v[103:104], v[99:100]
	v_fma_f64 v[105:106], -v[99:100], v[103:104], 1.0
	v_fma_f64 v[103:104], v[103:104], v[105:106], v[103:104]
	v_fma_f64 v[105:106], -v[99:100], v[103:104], 1.0
	v_fma_f64 v[103:104], v[103:104], v[105:106], v[103:104]
	v_mul_f64 v[105:106], v[107:108], v[103:104]
	v_fma_f64 v[99:100], -v[99:100], v[105:106], v[107:108]
	v_div_fmas_f64 v[99:100], v[99:100], v[103:104], v[105:106]
	v_div_fixup_f64 v[103:104], v[99:100], v[97:98], 1.0
                                        ; implicit-def: $vgpr97_vgpr98
	v_mul_f64 v[101:102], v[101:102], v[103:104]
	v_xor_b32_e32 v104, 0x80000000, v104
.LBB83_338:
	s_andn2_saveexec_b64 s[2:3], s[2:3]
	s_cbranch_execz .LBB83_340
; %bb.339:
	v_div_scale_f64 v[101:102], s[6:7], v[97:98], v[97:98], v[99:100]
	v_rcp_f64_e32 v[103:104], v[101:102]
	v_fma_f64 v[105:106], -v[101:102], v[103:104], 1.0
	v_fma_f64 v[103:104], v[103:104], v[105:106], v[103:104]
	v_div_scale_f64 v[105:106], vcc, v[99:100], v[97:98], v[99:100]
	v_fma_f64 v[107:108], -v[101:102], v[103:104], 1.0
	v_fma_f64 v[103:104], v[103:104], v[107:108], v[103:104]
	v_mul_f64 v[107:108], v[105:106], v[103:104]
	v_fma_f64 v[101:102], -v[101:102], v[107:108], v[105:106]
	v_div_fmas_f64 v[101:102], v[101:102], v[103:104], v[107:108]
	v_div_fixup_f64 v[103:104], v[101:102], v[97:98], v[99:100]
	v_fma_f64 v[97:98], v[99:100], v[103:104], v[97:98]
	v_div_scale_f64 v[99:100], s[6:7], v[97:98], v[97:98], 1.0
	v_div_scale_f64 v[107:108], vcc, 1.0, v[97:98], 1.0
	v_rcp_f64_e32 v[101:102], v[99:100]
	v_fma_f64 v[105:106], -v[99:100], v[101:102], 1.0
	v_fma_f64 v[101:102], v[101:102], v[105:106], v[101:102]
	v_fma_f64 v[105:106], -v[99:100], v[101:102], 1.0
	v_fma_f64 v[101:102], v[101:102], v[105:106], v[101:102]
	v_mul_f64 v[105:106], v[107:108], v[101:102]
	v_fma_f64 v[99:100], -v[99:100], v[105:106], v[107:108]
	v_div_fmas_f64 v[99:100], v[99:100], v[101:102], v[105:106]
	v_div_fixup_f64 v[101:102], v[99:100], v[97:98], 1.0
	v_mul_f64 v[103:104], v[103:104], -v[101:102]
.LBB83_340:
	s_or_b64 exec, exec, s[2:3]
	ds_write2_b64 v127, v[101:102], v[103:104] offset1:1
.LBB83_341:
	s_or_b64 exec, exec, s[4:5]
	s_waitcnt lgkmcnt(0)
	s_barrier
	ds_read2_b64 v[97:100], v127 offset1:1
	v_cmp_lt_u32_e32 vcc, 37, v0
	s_waitcnt lgkmcnt(0)
	buffer_store_dword v97, off, s[20:23], 0 offset:1192 ; 4-byte Folded Spill
	s_nop 0
	buffer_store_dword v98, off, s[20:23], 0 offset:1196 ; 4-byte Folded Spill
	buffer_store_dword v99, off, s[20:23], 0 offset:1200 ; 4-byte Folded Spill
	;; [unrolled: 1-line block ×3, first 2 shown]
	s_and_saveexec_b64 s[2:3], vcc
	s_cbranch_execz .LBB83_343
; %bb.342:
	buffer_load_dword v103, off, s[20:23], 0 offset:1192 ; 4-byte Folded Reload
	buffer_load_dword v104, off, s[20:23], 0 offset:1196 ; 4-byte Folded Reload
	;; [unrolled: 1-line block ×4, first 2 shown]
	s_waitcnt vmcnt(2)
	v_mul_f64 v[97:98], v[103:104], v[15:16]
	s_waitcnt vmcnt(0)
	v_mul_f64 v[15:16], v[105:106], v[15:16]
	v_fma_f64 v[101:102], v[105:106], v[13:14], v[97:98]
	ds_read2_b64 v[97:100], v125 offset0:76 offset1:77
	v_fma_f64 v[13:14], v[103:104], v[13:14], -v[15:16]
	s_waitcnt lgkmcnt(0)
	v_mul_f64 v[15:16], v[99:100], v[101:102]
	v_fma_f64 v[15:16], v[97:98], v[13:14], -v[15:16]
	v_mul_f64 v[97:98], v[97:98], v[101:102]
	v_add_f64 v[9:10], v[9:10], -v[15:16]
	v_fma_f64 v[97:98], v[99:100], v[13:14], v[97:98]
	v_add_f64 v[11:12], v[11:12], -v[97:98]
	ds_read2_b64 v[97:100], v125 offset0:78 offset1:79
	s_waitcnt lgkmcnt(0)
	v_mul_f64 v[15:16], v[99:100], v[101:102]
	v_fma_f64 v[15:16], v[97:98], v[13:14], -v[15:16]
	v_mul_f64 v[97:98], v[97:98], v[101:102]
	v_add_f64 v[5:6], v[5:6], -v[15:16]
	v_fma_f64 v[97:98], v[99:100], v[13:14], v[97:98]
	v_add_f64 v[7:8], v[7:8], -v[97:98]
	ds_read2_b64 v[97:100], v125 offset0:80 offset1:81
	;; [unrolled: 8-line block ×3, first 2 shown]
	s_waitcnt lgkmcnt(0)
	v_mul_f64 v[15:16], v[99:100], v[101:102]
	v_fma_f64 v[15:16], v[97:98], v[13:14], -v[15:16]
	v_mul_f64 v[97:98], v[97:98], v[101:102]
	v_add_f64 v[121:122], v[121:122], -v[15:16]
	v_fma_f64 v[97:98], v[99:100], v[13:14], v[97:98]
	v_mov_b32_e32 v15, v101
	v_mov_b32_e32 v16, v102
	v_add_f64 v[123:124], v[123:124], -v[97:98]
.LBB83_343:
	s_or_b64 exec, exec, s[2:3]
	v_cmp_eq_u32_e32 vcc, 38, v0
	s_waitcnt vmcnt(0)
	s_barrier
	s_and_saveexec_b64 s[4:5], vcc
	s_cbranch_execz .LBB83_350
; %bb.344:
	ds_write2_b64 v127, v[9:10], v[11:12] offset1:1
	ds_write2_b64 v125, v[5:6], v[7:8] offset0:78 offset1:79
	ds_write2_b64 v125, v[1:2], v[3:4] offset0:80 offset1:81
	;; [unrolled: 1-line block ×3, first 2 shown]
	ds_read2_b64 v[97:100], v127 offset1:1
	s_waitcnt lgkmcnt(0)
	v_cmp_neq_f64_e32 vcc, 0, v[97:98]
	v_cmp_neq_f64_e64 s[2:3], 0, v[99:100]
	s_or_b64 s[2:3], vcc, s[2:3]
	s_and_b64 exec, exec, s[2:3]
	s_cbranch_execz .LBB83_350
; %bb.345:
	v_cmp_ngt_f64_e64 s[2:3], |v[97:98]|, |v[99:100]|
                                        ; implicit-def: $vgpr101_vgpr102
	s_and_saveexec_b64 s[6:7], s[2:3]
	s_xor_b64 s[2:3], exec, s[6:7]
                                        ; implicit-def: $vgpr103_vgpr104
	s_cbranch_execz .LBB83_347
; %bb.346:
	v_div_scale_f64 v[101:102], s[6:7], v[99:100], v[99:100], v[97:98]
	v_rcp_f64_e32 v[103:104], v[101:102]
	v_fma_f64 v[105:106], -v[101:102], v[103:104], 1.0
	v_fma_f64 v[103:104], v[103:104], v[105:106], v[103:104]
	v_div_scale_f64 v[105:106], vcc, v[97:98], v[99:100], v[97:98]
	v_fma_f64 v[107:108], -v[101:102], v[103:104], 1.0
	v_fma_f64 v[103:104], v[103:104], v[107:108], v[103:104]
	v_mul_f64 v[107:108], v[105:106], v[103:104]
	v_fma_f64 v[101:102], -v[101:102], v[107:108], v[105:106]
	v_div_fmas_f64 v[101:102], v[101:102], v[103:104], v[107:108]
	v_div_fixup_f64 v[101:102], v[101:102], v[99:100], v[97:98]
	v_fma_f64 v[97:98], v[97:98], v[101:102], v[99:100]
	v_div_scale_f64 v[99:100], s[6:7], v[97:98], v[97:98], 1.0
	v_div_scale_f64 v[107:108], vcc, 1.0, v[97:98], 1.0
	v_rcp_f64_e32 v[103:104], v[99:100]
	v_fma_f64 v[105:106], -v[99:100], v[103:104], 1.0
	v_fma_f64 v[103:104], v[103:104], v[105:106], v[103:104]
	v_fma_f64 v[105:106], -v[99:100], v[103:104], 1.0
	v_fma_f64 v[103:104], v[103:104], v[105:106], v[103:104]
	v_mul_f64 v[105:106], v[107:108], v[103:104]
	v_fma_f64 v[99:100], -v[99:100], v[105:106], v[107:108]
	v_div_fmas_f64 v[99:100], v[99:100], v[103:104], v[105:106]
	v_div_fixup_f64 v[103:104], v[99:100], v[97:98], 1.0
                                        ; implicit-def: $vgpr97_vgpr98
	v_mul_f64 v[101:102], v[101:102], v[103:104]
	v_xor_b32_e32 v104, 0x80000000, v104
.LBB83_347:
	s_andn2_saveexec_b64 s[2:3], s[2:3]
	s_cbranch_execz .LBB83_349
; %bb.348:
	v_div_scale_f64 v[101:102], s[6:7], v[97:98], v[97:98], v[99:100]
	v_rcp_f64_e32 v[103:104], v[101:102]
	v_fma_f64 v[105:106], -v[101:102], v[103:104], 1.0
	v_fma_f64 v[103:104], v[103:104], v[105:106], v[103:104]
	v_div_scale_f64 v[105:106], vcc, v[99:100], v[97:98], v[99:100]
	v_fma_f64 v[107:108], -v[101:102], v[103:104], 1.0
	v_fma_f64 v[103:104], v[103:104], v[107:108], v[103:104]
	v_mul_f64 v[107:108], v[105:106], v[103:104]
	v_fma_f64 v[101:102], -v[101:102], v[107:108], v[105:106]
	v_div_fmas_f64 v[101:102], v[101:102], v[103:104], v[107:108]
	v_div_fixup_f64 v[103:104], v[101:102], v[97:98], v[99:100]
	v_fma_f64 v[97:98], v[99:100], v[103:104], v[97:98]
	v_div_scale_f64 v[99:100], s[6:7], v[97:98], v[97:98], 1.0
	v_div_scale_f64 v[107:108], vcc, 1.0, v[97:98], 1.0
	v_rcp_f64_e32 v[101:102], v[99:100]
	v_fma_f64 v[105:106], -v[99:100], v[101:102], 1.0
	v_fma_f64 v[101:102], v[101:102], v[105:106], v[101:102]
	v_fma_f64 v[105:106], -v[99:100], v[101:102], 1.0
	v_fma_f64 v[101:102], v[101:102], v[105:106], v[101:102]
	v_mul_f64 v[105:106], v[107:108], v[101:102]
	v_fma_f64 v[99:100], -v[99:100], v[105:106], v[107:108]
	v_div_fmas_f64 v[99:100], v[99:100], v[101:102], v[105:106]
	v_div_fixup_f64 v[101:102], v[99:100], v[97:98], 1.0
	v_mul_f64 v[103:104], v[103:104], -v[101:102]
.LBB83_349:
	s_or_b64 exec, exec, s[2:3]
	ds_write2_b64 v127, v[101:102], v[103:104] offset1:1
.LBB83_350:
	s_or_b64 exec, exec, s[4:5]
	s_waitcnt lgkmcnt(0)
	s_barrier
	ds_read2_b64 v[97:100], v127 offset1:1
	v_cmp_lt_u32_e32 vcc, 38, v0
	s_waitcnt lgkmcnt(0)
	buffer_store_dword v97, off, s[20:23], 0 offset:1208 ; 4-byte Folded Spill
	s_nop 0
	buffer_store_dword v98, off, s[20:23], 0 offset:1212 ; 4-byte Folded Spill
	buffer_store_dword v99, off, s[20:23], 0 offset:1216 ; 4-byte Folded Spill
	;; [unrolled: 1-line block ×3, first 2 shown]
	s_and_saveexec_b64 s[2:3], vcc
	s_cbranch_execz .LBB83_352
; %bb.351:
	buffer_load_dword v103, off, s[20:23], 0 offset:1208 ; 4-byte Folded Reload
	buffer_load_dword v104, off, s[20:23], 0 offset:1212 ; 4-byte Folded Reload
	;; [unrolled: 1-line block ×4, first 2 shown]
	s_waitcnt vmcnt(2)
	v_mul_f64 v[97:98], v[103:104], v[11:12]
	s_waitcnt vmcnt(0)
	v_mul_f64 v[11:12], v[105:106], v[11:12]
	v_fma_f64 v[101:102], v[105:106], v[9:10], v[97:98]
	ds_read2_b64 v[97:100], v125 offset0:78 offset1:79
	v_fma_f64 v[9:10], v[103:104], v[9:10], -v[11:12]
	s_waitcnt lgkmcnt(0)
	v_mul_f64 v[11:12], v[99:100], v[101:102]
	v_fma_f64 v[11:12], v[97:98], v[9:10], -v[11:12]
	v_mul_f64 v[97:98], v[97:98], v[101:102]
	v_add_f64 v[5:6], v[5:6], -v[11:12]
	v_fma_f64 v[97:98], v[99:100], v[9:10], v[97:98]
	v_add_f64 v[7:8], v[7:8], -v[97:98]
	ds_read2_b64 v[97:100], v125 offset0:80 offset1:81
	s_waitcnt lgkmcnt(0)
	v_mul_f64 v[11:12], v[99:100], v[101:102]
	v_fma_f64 v[11:12], v[97:98], v[9:10], -v[11:12]
	v_mul_f64 v[97:98], v[97:98], v[101:102]
	v_add_f64 v[1:2], v[1:2], -v[11:12]
	v_fma_f64 v[97:98], v[99:100], v[9:10], v[97:98]
	v_add_f64 v[3:4], v[3:4], -v[97:98]
	ds_read2_b64 v[97:100], v125 offset0:82 offset1:83
	s_waitcnt lgkmcnt(0)
	v_mul_f64 v[11:12], v[99:100], v[101:102]
	v_fma_f64 v[11:12], v[97:98], v[9:10], -v[11:12]
	v_mul_f64 v[97:98], v[97:98], v[101:102]
	v_add_f64 v[121:122], v[121:122], -v[11:12]
	v_fma_f64 v[97:98], v[99:100], v[9:10], v[97:98]
	v_mov_b32_e32 v11, v101
	v_mov_b32_e32 v12, v102
	v_add_f64 v[123:124], v[123:124], -v[97:98]
.LBB83_352:
	s_or_b64 exec, exec, s[2:3]
	v_cmp_eq_u32_e32 vcc, 39, v0
	s_waitcnt vmcnt(0)
	s_barrier
	s_and_saveexec_b64 s[4:5], vcc
	s_cbranch_execz .LBB83_359
; %bb.353:
	ds_write2_b64 v127, v[5:6], v[7:8] offset1:1
	ds_write2_b64 v125, v[1:2], v[3:4] offset0:80 offset1:81
	ds_write2_b64 v125, v[121:122], v[123:124] offset0:82 offset1:83
	ds_read2_b64 v[97:100], v127 offset1:1
	s_waitcnt lgkmcnt(0)
	v_cmp_neq_f64_e32 vcc, 0, v[97:98]
	v_cmp_neq_f64_e64 s[2:3], 0, v[99:100]
	s_or_b64 s[2:3], vcc, s[2:3]
	s_and_b64 exec, exec, s[2:3]
	s_cbranch_execz .LBB83_359
; %bb.354:
	v_cmp_ngt_f64_e64 s[2:3], |v[97:98]|, |v[99:100]|
                                        ; implicit-def: $vgpr101_vgpr102
	s_and_saveexec_b64 s[6:7], s[2:3]
	s_xor_b64 s[2:3], exec, s[6:7]
                                        ; implicit-def: $vgpr103_vgpr104
	s_cbranch_execz .LBB83_356
; %bb.355:
	v_div_scale_f64 v[101:102], s[6:7], v[99:100], v[99:100], v[97:98]
	v_rcp_f64_e32 v[103:104], v[101:102]
	v_fma_f64 v[105:106], -v[101:102], v[103:104], 1.0
	v_fma_f64 v[103:104], v[103:104], v[105:106], v[103:104]
	v_div_scale_f64 v[105:106], vcc, v[97:98], v[99:100], v[97:98]
	v_fma_f64 v[107:108], -v[101:102], v[103:104], 1.0
	v_fma_f64 v[103:104], v[103:104], v[107:108], v[103:104]
	v_mul_f64 v[107:108], v[105:106], v[103:104]
	v_fma_f64 v[101:102], -v[101:102], v[107:108], v[105:106]
	v_div_fmas_f64 v[101:102], v[101:102], v[103:104], v[107:108]
	v_div_fixup_f64 v[101:102], v[101:102], v[99:100], v[97:98]
	v_fma_f64 v[97:98], v[97:98], v[101:102], v[99:100]
	v_div_scale_f64 v[99:100], s[6:7], v[97:98], v[97:98], 1.0
	v_div_scale_f64 v[107:108], vcc, 1.0, v[97:98], 1.0
	v_rcp_f64_e32 v[103:104], v[99:100]
	v_fma_f64 v[105:106], -v[99:100], v[103:104], 1.0
	v_fma_f64 v[103:104], v[103:104], v[105:106], v[103:104]
	v_fma_f64 v[105:106], -v[99:100], v[103:104], 1.0
	v_fma_f64 v[103:104], v[103:104], v[105:106], v[103:104]
	v_mul_f64 v[105:106], v[107:108], v[103:104]
	v_fma_f64 v[99:100], -v[99:100], v[105:106], v[107:108]
	v_div_fmas_f64 v[99:100], v[99:100], v[103:104], v[105:106]
	v_div_fixup_f64 v[103:104], v[99:100], v[97:98], 1.0
                                        ; implicit-def: $vgpr97_vgpr98
	v_mul_f64 v[101:102], v[101:102], v[103:104]
	v_xor_b32_e32 v104, 0x80000000, v104
.LBB83_356:
	s_andn2_saveexec_b64 s[2:3], s[2:3]
	s_cbranch_execz .LBB83_358
; %bb.357:
	v_div_scale_f64 v[101:102], s[6:7], v[97:98], v[97:98], v[99:100]
	v_rcp_f64_e32 v[103:104], v[101:102]
	v_fma_f64 v[105:106], -v[101:102], v[103:104], 1.0
	v_fma_f64 v[103:104], v[103:104], v[105:106], v[103:104]
	v_div_scale_f64 v[105:106], vcc, v[99:100], v[97:98], v[99:100]
	v_fma_f64 v[107:108], -v[101:102], v[103:104], 1.0
	v_fma_f64 v[103:104], v[103:104], v[107:108], v[103:104]
	v_mul_f64 v[107:108], v[105:106], v[103:104]
	v_fma_f64 v[101:102], -v[101:102], v[107:108], v[105:106]
	v_div_fmas_f64 v[101:102], v[101:102], v[103:104], v[107:108]
	v_div_fixup_f64 v[103:104], v[101:102], v[97:98], v[99:100]
	v_fma_f64 v[97:98], v[99:100], v[103:104], v[97:98]
	v_div_scale_f64 v[99:100], s[6:7], v[97:98], v[97:98], 1.0
	v_div_scale_f64 v[107:108], vcc, 1.0, v[97:98], 1.0
	v_rcp_f64_e32 v[101:102], v[99:100]
	v_fma_f64 v[105:106], -v[99:100], v[101:102], 1.0
	v_fma_f64 v[101:102], v[101:102], v[105:106], v[101:102]
	v_fma_f64 v[105:106], -v[99:100], v[101:102], 1.0
	v_fma_f64 v[101:102], v[101:102], v[105:106], v[101:102]
	v_mul_f64 v[105:106], v[107:108], v[101:102]
	v_fma_f64 v[99:100], -v[99:100], v[105:106], v[107:108]
	v_div_fmas_f64 v[99:100], v[99:100], v[101:102], v[105:106]
	v_div_fixup_f64 v[101:102], v[99:100], v[97:98], 1.0
	v_mul_f64 v[103:104], v[103:104], -v[101:102]
.LBB83_358:
	s_or_b64 exec, exec, s[2:3]
	ds_write2_b64 v127, v[101:102], v[103:104] offset1:1
.LBB83_359:
	s_or_b64 exec, exec, s[4:5]
	s_waitcnt lgkmcnt(0)
	s_barrier
	ds_read2_b64 v[101:104], v127 offset1:1
	v_cmp_lt_u32_e32 vcc, 39, v0
	s_and_saveexec_b64 s[2:3], vcc
	s_cbranch_execz .LBB83_361
; %bb.360:
	s_waitcnt lgkmcnt(0)
	v_mul_f64 v[97:98], v[101:102], v[7:8]
	v_mul_f64 v[7:8], v[103:104], v[7:8]
	v_fma_f64 v[105:106], v[103:104], v[5:6], v[97:98]
	ds_read2_b64 v[97:100], v125 offset0:80 offset1:81
	v_fma_f64 v[5:6], v[101:102], v[5:6], -v[7:8]
	s_waitcnt lgkmcnt(0)
	v_mul_f64 v[7:8], v[99:100], v[105:106]
	v_fma_f64 v[7:8], v[97:98], v[5:6], -v[7:8]
	v_mul_f64 v[97:98], v[97:98], v[105:106]
	v_add_f64 v[1:2], v[1:2], -v[7:8]
	v_fma_f64 v[97:98], v[99:100], v[5:6], v[97:98]
	v_add_f64 v[3:4], v[3:4], -v[97:98]
	ds_read2_b64 v[97:100], v125 offset0:82 offset1:83
	s_waitcnt lgkmcnt(0)
	v_mul_f64 v[7:8], v[99:100], v[105:106]
	v_fma_f64 v[7:8], v[97:98], v[5:6], -v[7:8]
	v_mul_f64 v[97:98], v[97:98], v[105:106]
	v_add_f64 v[121:122], v[121:122], -v[7:8]
	v_fma_f64 v[97:98], v[99:100], v[5:6], v[97:98]
	v_mov_b32_e32 v7, v105
	v_mov_b32_e32 v8, v106
	v_add_f64 v[123:124], v[123:124], -v[97:98]
.LBB83_361:
	s_or_b64 exec, exec, s[2:3]
	v_cmp_eq_u32_e32 vcc, 40, v0
	s_waitcnt lgkmcnt(0)
	s_barrier
	s_and_saveexec_b64 s[4:5], vcc
	s_cbranch_execz .LBB83_368
; %bb.362:
	ds_write2_b64 v127, v[1:2], v[3:4] offset1:1
	ds_write2_b64 v125, v[121:122], v[123:124] offset0:82 offset1:83
	ds_read2_b64 v[97:100], v127 offset1:1
	s_waitcnt lgkmcnt(0)
	v_cmp_neq_f64_e32 vcc, 0, v[97:98]
	v_cmp_neq_f64_e64 s[2:3], 0, v[99:100]
	s_or_b64 s[2:3], vcc, s[2:3]
	s_and_b64 exec, exec, s[2:3]
	s_cbranch_execz .LBB83_368
; %bb.363:
	v_cmp_ngt_f64_e64 s[2:3], |v[97:98]|, |v[99:100]|
                                        ; implicit-def: $vgpr105_vgpr106
	s_and_saveexec_b64 s[6:7], s[2:3]
	s_xor_b64 s[2:3], exec, s[6:7]
                                        ; implicit-def: $vgpr107_vgpr108
	s_cbranch_execz .LBB83_365
; %bb.364:
	v_div_scale_f64 v[105:106], s[6:7], v[99:100], v[99:100], v[97:98]
	v_mov_b32_e32 v77, v93
	v_mov_b32_e32 v78, v94
	;; [unrolled: 1-line block ×4, first 2 shown]
	v_div_scale_f64 v[95:96], vcc, v[97:98], v[99:100], v[97:98]
	v_rcp_f64_e32 v[107:108], v[105:106]
	v_fma_f64 v[93:94], -v[105:106], v[107:108], 1.0
	v_fma_f64 v[93:94], v[107:108], v[93:94], v[107:108]
	v_fma_f64 v[107:108], -v[105:106], v[93:94], 1.0
	v_fma_f64 v[93:94], v[93:94], v[107:108], v[93:94]
	v_mul_f64 v[107:108], v[95:96], v[93:94]
	v_fma_f64 v[95:96], -v[105:106], v[107:108], v[95:96]
	v_div_fmas_f64 v[93:94], v[95:96], v[93:94], v[107:108]
	v_div_fixup_f64 v[93:94], v[93:94], v[99:100], v[97:98]
	v_fma_f64 v[95:96], v[97:98], v[93:94], v[99:100]
	v_div_scale_f64 v[97:98], s[6:7], v[95:96], v[95:96], 1.0
	v_div_scale_f64 v[107:108], vcc, 1.0, v[95:96], 1.0
	v_rcp_f64_e32 v[99:100], v[97:98]
	v_fma_f64 v[105:106], -v[97:98], v[99:100], 1.0
	v_fma_f64 v[99:100], v[99:100], v[105:106], v[99:100]
	v_fma_f64 v[105:106], -v[97:98], v[99:100], 1.0
	v_fma_f64 v[99:100], v[99:100], v[105:106], v[99:100]
	v_mul_f64 v[105:106], v[107:108], v[99:100]
	v_fma_f64 v[97:98], -v[97:98], v[105:106], v[107:108]
	v_div_fmas_f64 v[97:98], v[97:98], v[99:100], v[105:106]
	v_div_fixup_f64 v[107:108], v[97:98], v[95:96], 1.0
                                        ; implicit-def: $vgpr97_vgpr98
	v_mul_f64 v[105:106], v[93:94], v[107:108]
	v_mov_b32_e32 v96, v80
	v_mov_b32_e32 v95, v79
	;; [unrolled: 1-line block ×4, first 2 shown]
	buffer_load_dword v77, off, s[20:23], 0 offset:320 ; 4-byte Folded Reload
	buffer_load_dword v78, off, s[20:23], 0 offset:324 ; 4-byte Folded Reload
	;; [unrolled: 1-line block ×4, first 2 shown]
	v_xor_b32_e32 v108, 0x80000000, v108
.LBB83_365:
	s_andn2_saveexec_b64 s[2:3], s[2:3]
	s_cbranch_execz .LBB83_367
; %bb.366:
	s_waitcnt vmcnt(0)
	v_mov_b32_e32 v77, v117
	v_mov_b32_e32 v78, v118
	;; [unrolled: 1-line block ×8, first 2 shown]
	v_div_scale_f64 v[93:94], s[6:7], v[97:98], v[97:98], v[99:100]
	v_rcp_f64_e32 v[95:96], v[93:94]
	v_fma_f64 v[105:106], -v[93:94], v[95:96], 1.0
	v_fma_f64 v[95:96], v[95:96], v[105:106], v[95:96]
	v_div_scale_f64 v[105:106], vcc, v[99:100], v[97:98], v[99:100]
	v_fma_f64 v[107:108], -v[93:94], v[95:96], 1.0
	v_fma_f64 v[95:96], v[95:96], v[107:108], v[95:96]
	v_mul_f64 v[107:108], v[105:106], v[95:96]
	v_fma_f64 v[93:94], -v[93:94], v[107:108], v[105:106]
	v_div_fmas_f64 v[93:94], v[93:94], v[95:96], v[107:108]
	v_div_fixup_f64 v[93:94], v[93:94], v[97:98], v[99:100]
	v_fma_f64 v[95:96], v[99:100], v[93:94], v[97:98]
	v_div_scale_f64 v[97:98], s[6:7], v[95:96], v[95:96], 1.0
	v_div_scale_f64 v[107:108], vcc, 1.0, v[95:96], 1.0
	v_rcp_f64_e32 v[99:100], v[97:98]
	v_fma_f64 v[105:106], -v[97:98], v[99:100], 1.0
	v_fma_f64 v[99:100], v[99:100], v[105:106], v[99:100]
	v_fma_f64 v[105:106], -v[97:98], v[99:100], 1.0
	v_fma_f64 v[99:100], v[99:100], v[105:106], v[99:100]
	v_mul_f64 v[105:106], v[107:108], v[99:100]
	v_fma_f64 v[97:98], -v[97:98], v[105:106], v[107:108]
	v_div_fmas_f64 v[97:98], v[97:98], v[99:100], v[105:106]
	v_div_fixup_f64 v[105:106], v[97:98], v[95:96], 1.0
	v_mul_f64 v[107:108], v[93:94], -v[105:106]
	v_mov_b32_e32 v93, v117
	v_mov_b32_e32 v94, v118
	v_mov_b32_e32 v95, v119
	v_mov_b32_e32 v96, v120
	v_mov_b32_e32 v120, v80
	v_mov_b32_e32 v119, v79
	v_mov_b32_e32 v118, v78
	v_mov_b32_e32 v117, v77
	buffer_load_dword v77, off, s[20:23], 0 offset:320 ; 4-byte Folded Reload
	buffer_load_dword v78, off, s[20:23], 0 offset:324 ; 4-byte Folded Reload
	;; [unrolled: 1-line block ×4, first 2 shown]
.LBB83_367:
	s_or_b64 exec, exec, s[2:3]
	ds_write2_b64 v127, v[105:106], v[107:108] offset1:1
.LBB83_368:
	s_or_b64 exec, exec, s[4:5]
	s_waitcnt vmcnt(0) lgkmcnt(0)
	s_barrier
	ds_read2_b64 v[97:100], v127 offset1:1
	v_cmp_lt_u32_e32 vcc, 40, v0
	s_and_saveexec_b64 s[2:3], vcc
	s_cbranch_execz .LBB83_370
; %bb.369:
	v_mov_b32_e32 v77, v117
	v_mov_b32_e32 v78, v118
	;; [unrolled: 1-line block ×8, first 2 shown]
	s_waitcnt lgkmcnt(0)
	v_mul_f64 v[93:94], v[97:98], v[3:4]
	v_mul_f64 v[3:4], v[99:100], v[3:4]
	ds_read2_b64 v[105:108], v125 offset0:82 offset1:83
	v_fma_f64 v[93:94], v[99:100], v[1:2], v[93:94]
	v_fma_f64 v[1:2], v[97:98], v[1:2], -v[3:4]
	s_waitcnt lgkmcnt(0)
	v_mul_f64 v[3:4], v[107:108], v[93:94]
	v_mul_f64 v[95:96], v[105:106], v[93:94]
	v_fma_f64 v[3:4], v[105:106], v[1:2], -v[3:4]
	v_fma_f64 v[95:96], v[107:108], v[1:2], v[95:96]
	v_add_f64 v[121:122], v[121:122], -v[3:4]
	v_mov_b32_e32 v3, v93
	v_add_f64 v[123:124], v[123:124], -v[95:96]
	v_mov_b32_e32 v4, v94
	v_mov_b32_e32 v93, v117
	;; [unrolled: 1-line block ×9, first 2 shown]
	buffer_load_dword v77, off, s[20:23], 0 offset:320 ; 4-byte Folded Reload
	buffer_load_dword v78, off, s[20:23], 0 offset:324 ; 4-byte Folded Reload
	;; [unrolled: 1-line block ×4, first 2 shown]
.LBB83_370:
	s_or_b64 exec, exec, s[2:3]
	v_cmp_eq_u32_e32 vcc, 41, v0
	s_waitcnt vmcnt(0) lgkmcnt(0)
	s_barrier
	s_and_saveexec_b64 s[4:5], vcc
	s_cbranch_execz .LBB83_377
; %bb.371:
	v_cmp_neq_f64_e32 vcc, 0, v[121:122]
	v_cmp_neq_f64_e64 s[2:3], 0, v[123:124]
	ds_write2_b64 v127, v[121:122], v[123:124] offset1:1
	s_or_b64 s[2:3], vcc, s[2:3]
	s_and_b64 exec, exec, s[2:3]
	s_cbranch_execz .LBB83_377
; %bb.372:
	v_cmp_ngt_f64_e64 s[2:3], |v[121:122]|, |v[123:124]|
                                        ; implicit-def: $vgpr105_vgpr106
	s_and_saveexec_b64 s[6:7], s[2:3]
	s_xor_b64 s[2:3], exec, s[6:7]
                                        ; implicit-def: $vgpr107_vgpr108
	s_cbranch_execz .LBB83_374
; %bb.373:
	v_mov_b32_e32 v77, v93
	v_mov_b32_e32 v78, v94
	;; [unrolled: 1-line block ×4, first 2 shown]
	v_div_scale_f64 v[93:94], s[6:7], v[123:124], v[123:124], v[121:122]
	buffer_store_dword v97, off, s[20:23], 0 offset:1232 ; 4-byte Folded Spill
	s_nop 0
	buffer_store_dword v98, off, s[20:23], 0 offset:1236 ; 4-byte Folded Spill
	buffer_store_dword v99, off, s[20:23], 0 offset:1240 ; 4-byte Folded Spill
	;; [unrolled: 1-line block ×3, first 2 shown]
	v_mov_b32_e32 v97, v101
	v_mov_b32_e32 v98, v102
	;; [unrolled: 1-line block ×8, first 2 shown]
	v_rcp_f64_e32 v[95:96], v[93:94]
	v_fma_f64 v[105:106], -v[93:94], v[95:96], 1.0
	v_fma_f64 v[95:96], v[95:96], v[105:106], v[95:96]
	v_div_scale_f64 v[105:106], vcc, v[121:122], v[123:124], v[121:122]
	v_fma_f64 v[107:108], -v[93:94], v[95:96], 1.0
	v_fma_f64 v[95:96], v[95:96], v[107:108], v[95:96]
	v_mul_f64 v[107:108], v[105:106], v[95:96]
	v_fma_f64 v[93:94], -v[93:94], v[107:108], v[105:106]
	v_div_fmas_f64 v[93:94], v[93:94], v[95:96], v[107:108]
	v_div_fixup_f64 v[93:94], v[93:94], v[123:124], v[121:122]
	v_fma_f64 v[95:96], v[121:122], v[93:94], v[123:124]
	v_mov_b32_e32 v124, v72
	v_mov_b32_e32 v123, v71
	;; [unrolled: 1-line block ×7, first 2 shown]
	v_div_scale_f64 v[105:106], s[6:7], v[95:96], v[95:96], 1.0
	v_mov_b32_e32 v72, v76
	v_mov_b32_e32 v73, v109
	;; [unrolled: 1-line block ×14, first 2 shown]
	v_rcp_f64_e32 v[107:108], v[105:106]
	v_mov_b32_e32 v6, v10
	v_mov_b32_e32 v7, v11
	;; [unrolled: 1-line block ×15, first 2 shown]
	v_fma_f64 v[125:126], -v[105:106], v[107:108], 1.0
	v_mov_b32_e32 v21, v25
	v_mov_b32_e32 v22, v26
	;; [unrolled: 1-line block ×7, first 2 shown]
	v_fma_f64 v[107:108], v[107:108], v[125:126], v[107:108]
	v_mov_b32_e32 v28, v32
	v_mov_b32_e32 v29, v33
	;; [unrolled: 1-line block ×22, first 2 shown]
	v_fma_f64 v[125:126], -v[105:106], v[107:108], 1.0
	v_div_scale_f64 v[89:90], vcc, 1.0, v[95:96], 1.0
	v_mov_b32_e32 v115, v43
	v_mov_b32_e32 v114, v42
	;; [unrolled: 1-line block ×33, first 2 shown]
	v_fma_f64 v[91:92], v[107:108], v[125:126], v[107:108]
	v_mul_f64 v[107:108], v[89:90], v[91:92]
	v_fma_f64 v[89:90], -v[105:106], v[107:108], v[89:90]
	v_div_fmas_f64 v[89:90], v[89:90], v[91:92], v[107:108]
	v_mov_b32_e32 v92, v86
	v_mov_b32_e32 v91, v85
	;; [unrolled: 1-line block ×71, first 2 shown]
	v_div_fixup_f64 v[107:108], v[89:90], v[95:96], 1.0
	v_mov_b32_e32 v15, v11
	v_mov_b32_e32 v14, v10
	;; [unrolled: 1-line block ×32, first 2 shown]
	v_mul_f64 v[105:106], v[93:94], v[107:108]
	v_mov_b32_e32 v96, v80
	v_mov_b32_e32 v103, v99
	;; [unrolled: 1-line block ×4, first 2 shown]
	buffer_load_dword v97, off, s[20:23], 0 offset:1232 ; 4-byte Folded Reload
	buffer_load_dword v98, off, s[20:23], 0 offset:1236 ; 4-byte Folded Reload
	;; [unrolled: 1-line block ×4, first 2 shown]
	v_mov_b32_e32 v95, v79
	v_mov_b32_e32 v94, v78
	v_mov_b32_e32 v93, v77
	buffer_load_dword v77, off, s[20:23], 0 offset:320 ; 4-byte Folded Reload
	buffer_load_dword v78, off, s[20:23], 0 offset:324 ; 4-byte Folded Reload
	buffer_load_dword v79, off, s[20:23], 0 offset:328 ; 4-byte Folded Reload
	buffer_load_dword v80, off, s[20:23], 0 offset:332 ; 4-byte Folded Reload
	v_xor_b32_e32 v108, 0x80000000, v108
.LBB83_374:
	s_andn2_saveexec_b64 s[2:3], s[2:3]
	s_cbranch_execz .LBB83_376
; %bb.375:
	v_div_scale_f64 v[89:90], s[6:7], v[121:122], v[121:122], v[123:124]
	v_mov_b32_e32 v126, v92
	v_mov_b32_e32 v125, v91
	s_waitcnt vmcnt(0)
	v_mov_b32_e32 v77, v93
	v_mov_b32_e32 v78, v94
	;; [unrolled: 1-line block ×4, first 2 shown]
	v_rcp_f64_e32 v[91:92], v[89:90]
	v_fma_f64 v[93:94], -v[89:90], v[91:92], 1.0
	v_fma_f64 v[91:92], v[91:92], v[93:94], v[91:92]
	v_div_scale_f64 v[93:94], vcc, v[123:124], v[121:122], v[123:124]
	v_fma_f64 v[95:96], -v[89:90], v[91:92], 1.0
	v_fma_f64 v[91:92], v[91:92], v[95:96], v[91:92]
	v_mul_f64 v[95:96], v[93:94], v[91:92]
	v_fma_f64 v[89:90], -v[89:90], v[95:96], v[93:94]
	v_div_fmas_f64 v[89:90], v[89:90], v[91:92], v[95:96]
	v_div_fixup_f64 v[89:90], v[89:90], v[121:122], v[123:124]
	v_fma_f64 v[91:92], v[123:124], v[89:90], v[121:122]
	v_div_scale_f64 v[93:94], s[6:7], v[91:92], v[91:92], 1.0
	v_div_scale_f64 v[107:108], vcc, 1.0, v[91:92], 1.0
	v_rcp_f64_e32 v[95:96], v[93:94]
	v_fma_f64 v[105:106], -v[93:94], v[95:96], 1.0
	v_fma_f64 v[95:96], v[95:96], v[105:106], v[95:96]
	v_fma_f64 v[105:106], -v[93:94], v[95:96], 1.0
	v_fma_f64 v[95:96], v[95:96], v[105:106], v[95:96]
	v_mul_f64 v[105:106], v[107:108], v[95:96]
	v_fma_f64 v[93:94], -v[93:94], v[105:106], v[107:108]
	v_div_fmas_f64 v[93:94], v[93:94], v[95:96], v[105:106]
	v_div_fixup_f64 v[105:106], v[93:94], v[91:92], 1.0
	v_mov_b32_e32 v96, v80
	v_mov_b32_e32 v95, v79
	;; [unrolled: 1-line block ×4, first 2 shown]
	buffer_load_dword v77, off, s[20:23], 0 offset:320 ; 4-byte Folded Reload
	buffer_load_dword v78, off, s[20:23], 0 offset:324 ; 4-byte Folded Reload
	;; [unrolled: 1-line block ×4, first 2 shown]
	v_mov_b32_e32 v91, v125
	v_mov_b32_e32 v92, v126
	v_mul_f64 v[107:108], v[89:90], -v[105:106]
.LBB83_376:
	s_or_b64 exec, exec, s[2:3]
	ds_write2_b64 v127, v[105:106], v[107:108] offset1:1
.LBB83_377:
	s_or_b64 exec, exec, s[4:5]
	buffer_store_dword v37, off, s[20:23], 0 offset:648 ; 4-byte Folded Spill
	s_nop 0
	buffer_store_dword v38, off, s[20:23], 0 offset:652 ; 4-byte Folded Spill
	buffer_store_dword v39, off, s[20:23], 0 offset:656 ; 4-byte Folded Spill
	;; [unrolled: 1-line block ×3, first 2 shown]
	s_waitcnt vmcnt(0) lgkmcnt(0)
	s_barrier
	ds_read2_b64 v[105:108], v127 offset1:1
	s_waitcnt lgkmcnt(0)
	s_barrier
	s_and_saveexec_b64 s[2:3], s[0:1]
	s_cbranch_execz .LBB83_380
; %bb.378:
	buffer_load_dword v37, off, s[20:23], 0 offset:680 ; 4-byte Folded Reload
	buffer_load_dword v38, off, s[20:23], 0 offset:684 ; 4-byte Folded Reload
	;; [unrolled: 1-line block ×4, first 2 shown]
	s_waitcnt vmcnt(2)
	v_cmp_eq_f64_e32 vcc, 0, v[37:38]
	s_waitcnt vmcnt(0)
	v_cmp_eq_f64_e64 s[0:1], 0, v[39:40]
	buffer_load_dword v37, off, s[20:23], 0 offset:696 ; 4-byte Folded Reload
	buffer_load_dword v38, off, s[20:23], 0 offset:700 ; 4-byte Folded Reload
	;; [unrolled: 1-line block ×4, first 2 shown]
	s_and_b64 s[4:5], vcc, s[0:1]
	v_cndmask_b32_e64 v89, 0, 1, s[4:5]
	s_waitcnt vmcnt(2)
	v_cmp_neq_f64_e32 vcc, 0, v[37:38]
	s_waitcnt vmcnt(0)
	v_cmp_neq_f64_e64 s[0:1], 0, v[39:40]
	buffer_load_dword v37, off, s[20:23], 0 offset:712 ; 4-byte Folded Reload
	buffer_load_dword v38, off, s[20:23], 0 offset:716 ; 4-byte Folded Reload
	buffer_load_dword v39, off, s[20:23], 0 offset:720 ; 4-byte Folded Reload
	buffer_load_dword v40, off, s[20:23], 0 offset:724 ; 4-byte Folded Reload
	s_or_b64 s[0:1], vcc, s[0:1]
	s_or_b64 vcc, s[0:1], s[4:5]
	v_cndmask_b32_e32 v89, 2, v89, vcc
	s_waitcnt vmcnt(2)
	v_cmp_eq_f64_e32 vcc, 0, v[37:38]
	s_waitcnt vmcnt(0)
	v_cmp_eq_f64_e64 s[0:1], 0, v[39:40]
	buffer_load_dword v37, off, s[20:23], 0 offset:728 ; 4-byte Folded Reload
	buffer_load_dword v38, off, s[20:23], 0 offset:732 ; 4-byte Folded Reload
	buffer_load_dword v39, off, s[20:23], 0 offset:736 ; 4-byte Folded Reload
	buffer_load_dword v40, off, s[20:23], 0 offset:740 ; 4-byte Folded Reload
	s_and_b64 s[0:1], vcc, s[0:1]
	v_cmp_eq_u32_e32 vcc, 0, v89
	s_and_b64 s[0:1], s[0:1], vcc
	v_cndmask_b32_e64 v89, v89, 3, s[0:1]
	s_waitcnt vmcnt(2)
	v_cmp_eq_f64_e32 vcc, 0, v[37:38]
	s_waitcnt vmcnt(0)
	v_cmp_eq_f64_e64 s[0:1], 0, v[39:40]
	buffer_load_dword v37, off, s[20:23], 0 offset:744 ; 4-byte Folded Reload
	buffer_load_dword v38, off, s[20:23], 0 offset:748 ; 4-byte Folded Reload
	buffer_load_dword v39, off, s[20:23], 0 offset:752 ; 4-byte Folded Reload
	buffer_load_dword v40, off, s[20:23], 0 offset:756 ; 4-byte Folded Reload
	s_and_b64 s[0:1], vcc, s[0:1]
	v_cmp_eq_u32_e32 vcc, 0, v89
	s_and_b64 s[0:1], s[0:1], vcc
	v_cndmask_b32_e64 v89, v89, 4, s[0:1]
	;; [unrolled: 12-line block ×17, first 2 shown]
	v_cmp_eq_f64_e32 vcc, 0, v[81:82]
	v_cmp_eq_f64_e64 s[0:1], 0, v[83:84]
	s_and_b64 s[0:1], vcc, s[0:1]
	v_cmp_eq_u32_e32 vcc, 0, v89
	s_and_b64 s[0:1], s[0:1], vcc
	v_cndmask_b32_e64 v89, v89, 20, s[0:1]
	v_cmp_eq_f64_e32 vcc, 0, v[109:110]
	v_cmp_eq_f64_e64 s[0:1], 0, v[111:112]
	s_and_b64 s[0:1], vcc, s[0:1]
	v_cmp_eq_u32_e32 vcc, 0, v89
	s_and_b64 s[0:1], s[0:1], vcc
	v_cndmask_b32_e64 v89, v89, 21, s[0:1]
	s_waitcnt vmcnt(2)
	v_cmp_eq_f64_e32 vcc, 0, v[37:38]
	s_waitcnt vmcnt(0)
	v_cmp_eq_f64_e64 s[0:1], 0, v[39:40]
	buffer_load_dword v37, off, s[20:23], 0 offset:1000 ; 4-byte Folded Reload
	buffer_load_dword v38, off, s[20:23], 0 offset:1004 ; 4-byte Folded Reload
	;; [unrolled: 1-line block ×4, first 2 shown]
	s_and_b64 s[0:1], vcc, s[0:1]
	v_cmp_eq_u32_e32 vcc, 0, v89
	s_and_b64 s[0:1], s[0:1], vcc
	v_cndmask_b32_e64 v89, v89, 22, s[0:1]
	v_cmp_eq_f64_e32 vcc, 0, v[85:86]
	v_cmp_eq_f64_e64 s[0:1], 0, v[87:88]
	s_and_b64 s[0:1], vcc, s[0:1]
	v_cmp_eq_u32_e32 vcc, 0, v89
	s_and_b64 s[0:1], s[0:1], vcc
	v_cndmask_b32_e64 v89, v89, 23, s[0:1]
	v_cmp_eq_f64_e32 vcc, 0, v[73:74]
	v_cmp_eq_f64_e64 s[0:1], 0, v[75:76]
	;; [unrolled: 6-line block ×3, first 2 shown]
	s_and_b64 s[0:1], vcc, s[0:1]
	v_cmp_eq_u32_e32 vcc, 0, v89
	s_and_b64 s[0:1], s[0:1], vcc
	v_cndmask_b32_e64 v89, v89, 25, s[0:1]
	s_waitcnt vmcnt(2)
	v_cmp_eq_f64_e32 vcc, 0, v[37:38]
	s_waitcnt vmcnt(0)
	v_cmp_eq_f64_e64 s[0:1], 0, v[39:40]
	buffer_load_dword v37, off, s[20:23], 0 offset:1016 ; 4-byte Folded Reload
	buffer_load_dword v38, off, s[20:23], 0 offset:1020 ; 4-byte Folded Reload
	buffer_load_dword v39, off, s[20:23], 0 offset:1024 ; 4-byte Folded Reload
	buffer_load_dword v40, off, s[20:23], 0 offset:1028 ; 4-byte Folded Reload
	s_and_b64 s[0:1], vcc, s[0:1]
	v_cmp_eq_u32_e32 vcc, 0, v89
	s_and_b64 s[0:1], s[0:1], vcc
	v_cndmask_b32_e64 v89, v89, 26, s[0:1]
	s_waitcnt vmcnt(2)
	v_cmp_eq_f64_e32 vcc, 0, v[37:38]
	s_waitcnt vmcnt(0)
	v_cmp_eq_f64_e64 s[0:1], 0, v[39:40]
	buffer_load_dword v37, off, s[20:23], 0 offset:1032 ; 4-byte Folded Reload
	buffer_load_dword v38, off, s[20:23], 0 offset:1036 ; 4-byte Folded Reload
	buffer_load_dword v39, off, s[20:23], 0 offset:1040 ; 4-byte Folded Reload
	buffer_load_dword v40, off, s[20:23], 0 offset:1044 ; 4-byte Folded Reload
	;; [unrolled: 12-line block ×13, first 2 shown]
	s_and_b64 s[0:1], vcc, s[0:1]
	v_cmp_eq_u32_e32 vcc, 0, v89
	s_and_b64 s[0:1], s[0:1], vcc
	v_cndmask_b32_e64 v89, v89, 38, s[0:1]
	s_waitcnt vmcnt(2)
	v_cmp_eq_f64_e32 vcc, 0, v[37:38]
	buffer_load_dword v37, off, s[20:23], 0 offset:1224 ; 4-byte Folded Reload
	buffer_load_dword v38, off, s[20:23], 0 offset:1228 ; 4-byte Folded Reload
	s_waitcnt vmcnt(2)
	v_cmp_eq_f64_e64 s[0:1], 0, v[39:40]
	s_and_b64 s[0:1], vcc, s[0:1]
	v_cmp_eq_u32_e32 vcc, 0, v89
	s_and_b64 s[0:1], s[0:1], vcc
	v_cndmask_b32_e64 v89, v89, 39, s[0:1]
	v_cmp_eq_f64_e32 vcc, 0, v[101:102]
	v_cmp_eq_f64_e64 s[0:1], 0, v[103:104]
	s_and_b64 s[0:1], vcc, s[0:1]
	v_cmp_eq_u32_e32 vcc, 0, v89
	s_and_b64 s[0:1], s[0:1], vcc
	v_cndmask_b32_e64 v89, v89, 40, s[0:1]
	v_cmp_eq_f64_e32 vcc, 0, v[97:98]
	;; [unrolled: 6-line block ×3, first 2 shown]
	v_cmp_eq_f64_e64 s[0:1], 0, v[107:108]
	s_and_b64 s[0:1], vcc, s[0:1]
	v_cmp_eq_u32_e32 vcc, 0, v89
	s_and_b64 s[0:1], s[0:1], vcc
	v_cndmask_b32_e64 v99, v89, 42, s[0:1]
	v_cmp_ne_u32_e64 s[0:1], 0, v99
	s_waitcnt vmcnt(0)
	v_lshlrev_b64 v[89:90], 2, v[37:38]
	v_add_co_u32_e32 v97, vcc, s10, v89
	v_mov_b32_e32 v89, s11
	v_addc_co_u32_e32 v98, vcc, v89, v90, vcc
	global_load_dword v89, v[97:98], off
	s_waitcnt vmcnt(0)
	v_cmp_eq_u32_e32 vcc, 0, v89
	s_and_b64 s[0:1], vcc, s[0:1]
	s_and_b64 exec, exec, s[0:1]
	s_cbranch_execz .LBB83_380
; %bb.379:
	v_add_u32_e32 v89, s13, v99
	global_store_dword v[97:98], v89, off
.LBB83_380:
	s_or_b64 exec, exec, s[2:3]
	buffer_load_dword v37, off, s[20:23], 0 offset:664 ; 4-byte Folded Reload
	buffer_load_dword v38, off, s[20:23], 0 offset:668 ; 4-byte Folded Reload
	;; [unrolled: 1-line block ×6, first 2 shown]
	v_cmp_lt_u32_e32 vcc, 41, v0
	v_mul_f64 v[89:90], v[105:106], v[123:124]
	v_fma_f64 v[89:90], v[107:108], v[121:122], v[89:90]
	v_cndmask_b32_e32 v100, v124, v90, vcc
	v_cndmask_b32_e32 v99, v123, v89, vcc
	s_waitcnt vmcnt(0)
	global_store_dwordx4 v[37:38], v[81:84], off
	buffer_load_dword v37, off, s[20:23], 0 offset:672 ; 4-byte Folded Reload
	s_nop 0
	buffer_load_dword v38, off, s[20:23], 0 offset:676 ; 4-byte Folded Reload
	buffer_load_dword v81, off, s[20:23], 0 offset:288 ; 4-byte Folded Reload
	;; [unrolled: 1-line block ×5, first 2 shown]
	s_waitcnt vmcnt(0)
	global_store_dwordx4 v[37:38], v[81:84], off
	buffer_load_dword v37, off, s[20:23], 0 offset:272 ; 4-byte Folded Reload
	s_nop 0
	buffer_load_dword v38, off, s[20:23], 0 offset:276 ; 4-byte Folded Reload
	buffer_load_dword v39, off, s[20:23], 0 offset:280 ; 4-byte Folded Reload
	;; [unrolled: 1-line block ×3, first 2 shown]
	s_waitcnt vmcnt(0)
	global_store_dwordx4 v[91:92], v[37:40], off
	buffer_load_dword v87, off, s[20:23], 0 offset:336 ; 4-byte Folded Reload
	buffer_load_dword v88, off, s[20:23], 0 offset:340 ; 4-byte Folded Reload
	s_nop 0
	buffer_load_dword v37, off, s[20:23], 0 offset:256 ; 4-byte Folded Reload
	buffer_load_dword v38, off, s[20:23], 0 offset:260 ; 4-byte Folded Reload
	;; [unrolled: 1-line block ×4, first 2 shown]
	v_mul_f64 v[91:92], v[107:108], v[123:124]
	v_fma_f64 v[91:92], v[105:106], v[121:122], -v[91:92]
	v_cndmask_b32_e32 v98, v122, v92, vcc
	v_cndmask_b32_e32 v97, v121, v91, vcc
	s_waitcnt vmcnt(0)
	global_store_dwordx4 v[87:88], v[37:40], off
	buffer_load_dword v37, off, s[20:23], 0 offset:640 ; 4-byte Folded Reload
	s_nop 0
	buffer_load_dword v38, off, s[20:23], 0 offset:644 ; 4-byte Folded Reload
	buffer_load_dword v81, off, s[20:23], 0 offset:240 ; 4-byte Folded Reload
	;; [unrolled: 1-line block ×5, first 2 shown]
	s_waitcnt vmcnt(0)
	global_store_dwordx4 v[37:38], v[81:84], off
	buffer_load_dword v85, off, s[20:23], 0 offset:344 ; 4-byte Folded Reload
	buffer_load_dword v86, off, s[20:23], 0 offset:348 ; 4-byte Folded Reload
	s_nop 0
	buffer_load_dword v37, off, s[20:23], 0 offset:224 ; 4-byte Folded Reload
	buffer_load_dword v38, off, s[20:23], 0 offset:228 ; 4-byte Folded Reload
	buffer_load_dword v39, off, s[20:23], 0 offset:232 ; 4-byte Folded Reload
	buffer_load_dword v40, off, s[20:23], 0 offset:236 ; 4-byte Folded Reload
	s_waitcnt vmcnt(0)
	global_store_dwordx4 v[85:86], v[37:40], off
	buffer_load_dword v85, off, s[20:23], 0 offset:352 ; 4-byte Folded Reload
	s_nop 0
	buffer_load_dword v86, off, s[20:23], 0 offset:356 ; 4-byte Folded Reload
	buffer_load_dword v37, off, s[20:23], 0 offset:208 ; 4-byte Folded Reload
	buffer_load_dword v38, off, s[20:23], 0 offset:212 ; 4-byte Folded Reload
	buffer_load_dword v39, off, s[20:23], 0 offset:216 ; 4-byte Folded Reload
	buffer_load_dword v40, off, s[20:23], 0 offset:220 ; 4-byte Folded Reload
	s_waitcnt vmcnt(0)
	global_store_dwordx4 v[85:86], v[37:40], off
	buffer_load_dword v85, off, s[20:23], 0 offset:360 ; 4-byte Folded Reload
	s_nop 0
	buffer_load_dword v86, off, s[20:23], 0 offset:364 ; 4-byte Folded Reload
	;; [unrolled: 9-line block ×11, first 2 shown]
	s_waitcnt vmcnt(0)
	global_store_dwordx4 v[85:86], v[117:120], off
	buffer_load_dword v85, off, s[20:23], 0 offset:440 ; 4-byte Folded Reload
	s_nop 0
	buffer_load_dword v86, off, s[20:23], 0 offset:444 ; 4-byte Folded Reload
	s_waitcnt vmcnt(0)
	global_store_dwordx4 v[85:86], v[113:116], off
	buffer_load_dword v85, off, s[20:23], 0 offset:448 ; 4-byte Folded Reload
	s_nop 0
	buffer_load_dword v86, off, s[20:23], 0 offset:452 ; 4-byte Folded Reload
	buffer_load_dword v37, off, s[20:23], 0 offset:48 ; 4-byte Folded Reload
	;; [unrolled: 1-line block ×5, first 2 shown]
	s_waitcnt vmcnt(0)
	global_store_dwordx4 v[85:86], v[37:40], off
	buffer_load_dword v85, off, s[20:23], 0 offset:456 ; 4-byte Folded Reload
	s_nop 0
	buffer_load_dword v86, off, s[20:23], 0 offset:460 ; 4-byte Folded Reload
	s_waitcnt vmcnt(0)
	global_store_dwordx4 v[85:86], v[77:80], off
	buffer_load_dword v85, off, s[20:23], 0 offset:464 ; 4-byte Folded Reload
	s_nop 0
	buffer_load_dword v86, off, s[20:23], 0 offset:468 ; 4-byte Folded Reload
	s_waitcnt vmcnt(0)
	global_store_dwordx4 v[85:86], v[93:96], off
	buffer_load_dword v81, off, s[20:23], 0 offset:472 ; 4-byte Folded Reload
	buffer_load_dword v82, off, s[20:23], 0 offset:476 ; 4-byte Folded Reload
	;; [unrolled: 1-line block ×6, first 2 shown]
	s_waitcnt vmcnt(0)
	global_store_dwordx4 v[81:82], v[37:40], off
	buffer_load_dword v77, off, s[20:23], 0 offset:480 ; 4-byte Folded Reload
	buffer_load_dword v78, off, s[20:23], 0 offset:484 ; 4-byte Folded Reload
	s_nop 0
	buffer_load_dword v37, off, s[20:23], 0 offset:16 ; 4-byte Folded Reload
	buffer_load_dword v38, off, s[20:23], 0 offset:20 ; 4-byte Folded Reload
	;; [unrolled: 1-line block ×4, first 2 shown]
	s_waitcnt vmcnt(0)
	global_store_dwordx4 v[77:78], v[37:40], off
	buffer_load_dword v73, off, s[20:23], 0 offset:624 ; 4-byte Folded Reload
	buffer_load_dword v74, off, s[20:23], 0 offset:628 ; 4-byte Folded Reload
	s_nop 0
	buffer_load_dword v37, off, s[20:23], 0 ; 4-byte Folded Reload
	buffer_load_dword v38, off, s[20:23], 0 offset:4 ; 4-byte Folded Reload
	buffer_load_dword v39, off, s[20:23], 0 offset:8 ; 4-byte Folded Reload
	;; [unrolled: 1-line block ×3, first 2 shown]
	s_waitcnt vmcnt(0)
	global_store_dwordx4 v[73:74], v[37:40], off
	buffer_load_dword v69, off, s[20:23], 0 offset:616 ; 4-byte Folded Reload
	buffer_load_dword v70, off, s[20:23], 0 offset:620 ; 4-byte Folded Reload
	s_waitcnt vmcnt(0)
	global_store_dwordx4 v[69:70], v[65:68], off
	buffer_load_dword v65, off, s[20:23], 0 offset:632 ; 4-byte Folded Reload
	s_nop 0
	buffer_load_dword v66, off, s[20:23], 0 offset:636 ; 4-byte Folded Reload
	s_waitcnt vmcnt(0)
	global_store_dwordx4 v[65:66], v[61:64], off
	buffer_load_dword v61, off, s[20:23], 0 offset:488 ; 4-byte Folded Reload
	s_nop 0
	;; [unrolled: 5-line block ×7, first 2 shown]
	buffer_load_dword v42, off, s[20:23], 0 offset:532 ; 4-byte Folded Reload
	buffer_load_dword v37, off, s[20:23], 0 offset:648 ; 4-byte Folded Reload
	;; [unrolled: 1-line block ×5, first 2 shown]
	s_waitcnt vmcnt(0)
	global_store_dwordx4 v[41:42], v[37:40], off
	buffer_load_dword v37, off, s[20:23], 0 offset:536 ; 4-byte Folded Reload
	s_nop 0
	buffer_load_dword v38, off, s[20:23], 0 offset:540 ; 4-byte Folded Reload
	s_waitcnt vmcnt(0)
	global_store_dwordx4 v[37:38], v[33:36], off
	buffer_load_dword v33, off, s[20:23], 0 offset:544 ; 4-byte Folded Reload
	s_nop 0
	buffer_load_dword v34, off, s[20:23], 0 offset:548 ; 4-byte Folded Reload
	;; [unrolled: 5-line block ×10, first 2 shown]
	s_waitcnt vmcnt(0)
	global_store_dwordx4 v[0:1], v[97:100], off
.LBB83_381:
	s_endpgm
	.section	.rodata,"a",@progbits
	.p2align	6, 0x0
	.amdhsa_kernel _ZN9rocsolver6v33100L23getf2_npvt_small_kernelILi42E19rocblas_complex_numIdEiiPS3_EEvT1_T3_lS5_lPT2_S5_S5_
		.amdhsa_group_segment_fixed_size 0
		.amdhsa_private_segment_fixed_size 1252
		.amdhsa_kernarg_size 312
		.amdhsa_user_sgpr_count 6
		.amdhsa_user_sgpr_private_segment_buffer 1
		.amdhsa_user_sgpr_dispatch_ptr 0
		.amdhsa_user_sgpr_queue_ptr 0
		.amdhsa_user_sgpr_kernarg_segment_ptr 1
		.amdhsa_user_sgpr_dispatch_id 0
		.amdhsa_user_sgpr_flat_scratch_init 0
		.amdhsa_user_sgpr_private_segment_size 0
		.amdhsa_uses_dynamic_stack 0
		.amdhsa_system_sgpr_private_segment_wavefront_offset 1
		.amdhsa_system_sgpr_workgroup_id_x 1
		.amdhsa_system_sgpr_workgroup_id_y 1
		.amdhsa_system_sgpr_workgroup_id_z 0
		.amdhsa_system_sgpr_workgroup_info 0
		.amdhsa_system_vgpr_workitem_id 1
		.amdhsa_next_free_vgpr 128
		.amdhsa_next_free_sgpr 24
		.amdhsa_reserve_vcc 1
		.amdhsa_reserve_flat_scratch 0
		.amdhsa_float_round_mode_32 0
		.amdhsa_float_round_mode_16_64 0
		.amdhsa_float_denorm_mode_32 3
		.amdhsa_float_denorm_mode_16_64 3
		.amdhsa_dx10_clamp 1
		.amdhsa_ieee_mode 1
		.amdhsa_fp16_overflow 0
		.amdhsa_exception_fp_ieee_invalid_op 0
		.amdhsa_exception_fp_denorm_src 0
		.amdhsa_exception_fp_ieee_div_zero 0
		.amdhsa_exception_fp_ieee_overflow 0
		.amdhsa_exception_fp_ieee_underflow 0
		.amdhsa_exception_fp_ieee_inexact 0
		.amdhsa_exception_int_div_zero 0
	.end_amdhsa_kernel
	.section	.text._ZN9rocsolver6v33100L23getf2_npvt_small_kernelILi42E19rocblas_complex_numIdEiiPS3_EEvT1_T3_lS5_lPT2_S5_S5_,"axG",@progbits,_ZN9rocsolver6v33100L23getf2_npvt_small_kernelILi42E19rocblas_complex_numIdEiiPS3_EEvT1_T3_lS5_lPT2_S5_S5_,comdat
.Lfunc_end83:
	.size	_ZN9rocsolver6v33100L23getf2_npvt_small_kernelILi42E19rocblas_complex_numIdEiiPS3_EEvT1_T3_lS5_lPT2_S5_S5_, .Lfunc_end83-_ZN9rocsolver6v33100L23getf2_npvt_small_kernelILi42E19rocblas_complex_numIdEiiPS3_EEvT1_T3_lS5_lPT2_S5_S5_
                                        ; -- End function
	.set _ZN9rocsolver6v33100L23getf2_npvt_small_kernelILi42E19rocblas_complex_numIdEiiPS3_EEvT1_T3_lS5_lPT2_S5_S5_.num_vgpr, 128
	.set _ZN9rocsolver6v33100L23getf2_npvt_small_kernelILi42E19rocblas_complex_numIdEiiPS3_EEvT1_T3_lS5_lPT2_S5_S5_.num_agpr, 0
	.set _ZN9rocsolver6v33100L23getf2_npvt_small_kernelILi42E19rocblas_complex_numIdEiiPS3_EEvT1_T3_lS5_lPT2_S5_S5_.numbered_sgpr, 24
	.set _ZN9rocsolver6v33100L23getf2_npvt_small_kernelILi42E19rocblas_complex_numIdEiiPS3_EEvT1_T3_lS5_lPT2_S5_S5_.num_named_barrier, 0
	.set _ZN9rocsolver6v33100L23getf2_npvt_small_kernelILi42E19rocblas_complex_numIdEiiPS3_EEvT1_T3_lS5_lPT2_S5_S5_.private_seg_size, 1252
	.set _ZN9rocsolver6v33100L23getf2_npvt_small_kernelILi42E19rocblas_complex_numIdEiiPS3_EEvT1_T3_lS5_lPT2_S5_S5_.uses_vcc, 1
	.set _ZN9rocsolver6v33100L23getf2_npvt_small_kernelILi42E19rocblas_complex_numIdEiiPS3_EEvT1_T3_lS5_lPT2_S5_S5_.uses_flat_scratch, 0
	.set _ZN9rocsolver6v33100L23getf2_npvt_small_kernelILi42E19rocblas_complex_numIdEiiPS3_EEvT1_T3_lS5_lPT2_S5_S5_.has_dyn_sized_stack, 0
	.set _ZN9rocsolver6v33100L23getf2_npvt_small_kernelILi42E19rocblas_complex_numIdEiiPS3_EEvT1_T3_lS5_lPT2_S5_S5_.has_recursion, 0
	.set _ZN9rocsolver6v33100L23getf2_npvt_small_kernelILi42E19rocblas_complex_numIdEiiPS3_EEvT1_T3_lS5_lPT2_S5_S5_.has_indirect_call, 0
	.section	.AMDGPU.csdata,"",@progbits
; Kernel info:
; codeLenInByte = 119148
; TotalNumSgprs: 28
; NumVgprs: 128
; ScratchSize: 1252
; MemoryBound: 1
; FloatMode: 240
; IeeeMode: 1
; LDSByteSize: 0 bytes/workgroup (compile time only)
; SGPRBlocks: 3
; VGPRBlocks: 31
; NumSGPRsForWavesPerEU: 28
; NumVGPRsForWavesPerEU: 128
; Occupancy: 2
; WaveLimiterHint : 0
; COMPUTE_PGM_RSRC2:SCRATCH_EN: 1
; COMPUTE_PGM_RSRC2:USER_SGPR: 6
; COMPUTE_PGM_RSRC2:TRAP_HANDLER: 0
; COMPUTE_PGM_RSRC2:TGID_X_EN: 1
; COMPUTE_PGM_RSRC2:TGID_Y_EN: 1
; COMPUTE_PGM_RSRC2:TGID_Z_EN: 0
; COMPUTE_PGM_RSRC2:TIDIG_COMP_CNT: 1
	.section	.text._ZN9rocsolver6v33100L18getf2_small_kernelILi43E19rocblas_complex_numIdEiiPS3_EEvT1_T3_lS5_lPS5_llPT2_S5_S5_S7_l,"axG",@progbits,_ZN9rocsolver6v33100L18getf2_small_kernelILi43E19rocblas_complex_numIdEiiPS3_EEvT1_T3_lS5_lPS5_llPT2_S5_S5_S7_l,comdat
	.globl	_ZN9rocsolver6v33100L18getf2_small_kernelILi43E19rocblas_complex_numIdEiiPS3_EEvT1_T3_lS5_lPS5_llPT2_S5_S5_S7_l ; -- Begin function _ZN9rocsolver6v33100L18getf2_small_kernelILi43E19rocblas_complex_numIdEiiPS3_EEvT1_T3_lS5_lPS5_llPT2_S5_S5_S7_l
	.p2align	8
	.type	_ZN9rocsolver6v33100L18getf2_small_kernelILi43E19rocblas_complex_numIdEiiPS3_EEvT1_T3_lS5_lPS5_llPT2_S5_S5_S7_l,@function
_ZN9rocsolver6v33100L18getf2_small_kernelILi43E19rocblas_complex_numIdEiiPS3_EEvT1_T3_lS5_lPS5_llPT2_S5_S5_S7_l: ; @_ZN9rocsolver6v33100L18getf2_small_kernelILi43E19rocblas_complex_numIdEiiPS3_EEvT1_T3_lS5_lPS5_llPT2_S5_S5_S7_l
; %bb.0:
	s_mov_b64 s[26:27], s[2:3]
	s_mov_b64 s[24:25], s[0:1]
	s_load_dword s0, s[4:5], 0x6c
	s_load_dwordx2 s[16:17], s[4:5], 0x48
	s_add_u32 s24, s24, s8
	s_addc_u32 s25, s25, 0
	s_waitcnt lgkmcnt(0)
	s_lshr_b32 s0, s0, 16
	s_mul_i32 s7, s7, s0
	v_add_u32_e32 v6, s7, v1
	v_cmp_gt_i32_e32 vcc, s16, v6
	s_and_saveexec_b64 s[0:1], vcc
	s_cbranch_execz .LBB84_904
; %bb.1:
	s_load_dwordx4 s[0:3], s[4:5], 0x50
	v_mov_b32_e32 v2, 0
	v_ashrrev_i32_e32 v7, 31, v6
	v_mov_b32_e32 v3, 0
	buffer_store_dword v2, off, s[24:27], 0 offset:272 ; 4-byte Folded Spill
	s_nop 0
	buffer_store_dword v3, off, s[24:27], 0 offset:276 ; 4-byte Folded Spill
	s_waitcnt lgkmcnt(0)
	s_cmp_eq_u64 s[0:1], 0
	s_cselect_b64 s[6:7], -1, 0
	s_and_b64 vcc, exec, s[6:7]
	s_cbranch_vccnz .LBB84_3
; %bb.2:
	v_mul_lo_u32 v4, s3, v6
	v_mul_lo_u32 v5, s2, v7
	v_mad_u64_u32 v[2:3], s[2:3], s2, v6, 0
	v_add3_u32 v3, v3, v5, v4
	v_lshlrev_b64 v[2:3], 2, v[2:3]
	v_mov_b32_e32 v4, s1
	v_add_co_u32_e32 v2, vcc, s0, v2
	v_addc_co_u32_e32 v3, vcc, v4, v3, vcc
	buffer_store_dword v2, off, s[24:27], 0 offset:272 ; 4-byte Folded Spill
	s_nop 0
	buffer_store_dword v3, off, s[24:27], 0 offset:276 ; 4-byte Folded Spill
.LBB84_3:
	s_load_dwordx8 s[8:15], s[4:5], 0x20
	s_load_dwordx4 s[20:23], s[4:5], 0x8
	s_load_dword s2, s[4:5], 0x18
	v_mov_b32_e32 v90, v7
	v_mov_b32_e32 v89, v6
	s_waitcnt lgkmcnt(0)
	v_mul_lo_u32 v4, s9, v6
	v_mul_lo_u32 v5, s8, v7
	v_mad_u64_u32 v[2:3], s[0:1], s8, v6, 0
	v_mov_b32_e32 v6, s21
	s_lshl_b64 s[0:1], s[22:23], 4
	v_add3_u32 v3, v3, v5, v4
	v_lshlrev_b64 v[2:3], 4, v[2:3]
	v_mov_b32_e32 v4, s1
	v_add_co_u32_e32 v2, vcc, s20, v2
	v_addc_co_u32_e32 v3, vcc, v6, v3, vcc
	v_add_co_u32_e32 v127, vcc, s0, v2
	s_add_i32 s16, s2, s2
	v_addc_co_u32_e32 v93, vcc, v3, v4, vcc
	v_add_u32_e32 v4, s16, v0
	v_ashrrev_i32_e32 v5, 31, v4
	v_lshlrev_b64 v[2:3], 4, v[4:5]
	v_add_u32_e32 v6, s2, v4
	v_ashrrev_i32_e32 v7, 31, v6
	v_add_co_u32_e32 v2, vcc, v127, v2
	v_lshlrev_b64 v[4:5], 4, v[6:7]
	v_add_u32_e32 v8, s2, v6
	v_addc_co_u32_e32 v3, vcc, v93, v3, vcc
	v_ashrrev_i32_e32 v9, 31, v8
	v_add_co_u32_e32 v4, vcc, v127, v4
	v_lshlrev_b64 v[6:7], 4, v[8:9]
	v_add_u32_e32 v10, s2, v8
	v_addc_co_u32_e32 v5, vcc, v93, v5, vcc
	;; [unrolled: 5-line block ×26, first 2 shown]
	v_ashrrev_i32_e32 v57, 31, v56
	v_add_co_u32_e32 v54, vcc, v127, v54
	v_lshlrev_b64 v[57:58], 4, v[56:57]
	v_addc_co_u32_e32 v55, vcc, v93, v55, vcc
	v_add_u32_e32 v56, s2, v56
	v_add_co_u32_e32 v117, vcc, v127, v57
	v_ashrrev_i32_e32 v57, 31, v56
	v_addc_co_u32_e32 v118, vcc, v93, v58, vcc
	v_lshlrev_b64 v[57:58], 4, v[56:57]
	v_add_u32_e32 v56, s2, v56
	v_add_co_u32_e32 v119, vcc, v127, v57
	v_ashrrev_i32_e32 v57, 31, v56
	v_addc_co_u32_e32 v120, vcc, v93, v58, vcc
	v_lshlrev_b64 v[57:58], 4, v[56:57]
	;; [unrolled: 5-line block ×11, first 2 shown]
	v_add_u32_e32 v56, s2, v56
	s_ashr_i32 s3, s2, 31
	v_add_co_u32_e32 v101, vcc, v127, v57
	v_ashrrev_i32_e32 v57, 31, v56
	s_lshl_b64 s[8:9], s[2:3], 4
	s_load_dword s3, s[4:5], 0x0
	v_addc_co_u32_e32 v102, vcc, v93, v58, vcc
	v_lshlrev_b64 v[57:58], 4, v[56:57]
	v_add_u32_e32 v56, s2, v56
	v_add_co_u32_e32 v103, vcc, v127, v57
	v_ashrrev_i32_e32 v57, 31, v56
	v_lshlrev_b64 v[56:57], 4, v[56:57]
	v_addc_co_u32_e32 v104, vcc, v93, v58, vcc
	s_waitcnt lgkmcnt(0)
	s_max_i32 s0, s3, 43
	v_add_co_u32_e32 v97, vcc, v127, v56
	v_mul_lo_u32 v95, s0, v1
	v_addc_co_u32_e32 v98, vcc, v93, v57, vcc
	v_lshlrev_b32_e32 v60, 4, v0
	v_add_co_u32_e32 v58, vcc, v127, v60
	v_addc_co_u32_e32 v59, vcc, 0, v93, vcc
	v_mov_b32_e32 v57, s9
	v_add_co_u32_e32 v56, vcc, s8, v58
	v_lshl_add_u32 v94, v95, 4, 0
	v_addc_co_u32_e32 v57, vcc, v59, v57, vcc
	v_add_u32_e32 v1, v94, v60
	global_load_dwordx4 v[58:61], v[58:59], off
	s_nop 0
	global_load_dwordx4 v[62:65], v[56:57], off
	s_waitcnt vmcnt(0)
	buffer_store_dword v62, off, s[24:27], 0 offset:280 ; 4-byte Folded Spill
	s_nop 0
	buffer_store_dword v63, off, s[24:27], 0 offset:284 ; 4-byte Folded Spill
	buffer_store_dword v64, off, s[24:27], 0 offset:288 ; 4-byte Folded Spill
	;; [unrolled: 1-line block ×4, first 2 shown]
	s_nop 0
	buffer_store_dword v59, off, s[24:27], 0 offset:316 ; 4-byte Folded Spill
	buffer_store_dword v60, off, s[24:27], 0 offset:320 ; 4-byte Folded Spill
	;; [unrolled: 1-line block ×3, first 2 shown]
	s_load_dwordx2 s[4:5], s[4:5], 0x40
	s_cmp_lt_i32 s3, 2
	ds_write2_b64 v1, v[58:59], v[60:61] offset1:1
	global_load_dwordx4 v[56:59], v[2:3], off
	s_waitcnt vmcnt(0)
	buffer_store_dword v56, off, s[24:27], 0 offset:256 ; 4-byte Folded Spill
	s_nop 0
	buffer_store_dword v57, off, s[24:27], 0 offset:260 ; 4-byte Folded Spill
	buffer_store_dword v58, off, s[24:27], 0 offset:264 ; 4-byte Folded Spill
	buffer_store_dword v59, off, s[24:27], 0 offset:268 ; 4-byte Folded Spill
	global_load_dwordx4 v[1:4], v[4:5], off
	s_waitcnt vmcnt(0)
	buffer_store_dword v1, off, s[24:27], 0 offset:240 ; 4-byte Folded Spill
	s_nop 0
	buffer_store_dword v2, off, s[24:27], 0 offset:244 ; 4-byte Folded Spill
	buffer_store_dword v3, off, s[24:27], 0 offset:248 ; 4-byte Folded Spill
	buffer_store_dword v4, off, s[24:27], 0 offset:252 ; 4-byte Folded Spill
	;; [unrolled: 7-line block ×16, first 2 shown]
	global_load_dwordx4 v[85:88], v[34:35], off
	global_load_dwordx4 v[111:114], v[36:37], off
	s_nop 0
	global_load_dwordx4 v[1:4], v[38:39], off
	s_waitcnt vmcnt(0)
	buffer_store_dword v1, off, s[24:27], 0 ; 4-byte Folded Spill
	s_nop 0
	buffer_store_dword v2, off, s[24:27], 0 offset:4 ; 4-byte Folded Spill
	buffer_store_dword v3, off, s[24:27], 0 offset:8 ; 4-byte Folded Spill
	;; [unrolled: 1-line block ×3, first 2 shown]
	global_load_dwordx4 v[81:84], v[40:41], off
	global_load_dwordx4 v[77:80], v[42:43], off
	;; [unrolled: 1-line block ×7, first 2 shown]
	s_nop 0
	global_load_dwordx4 v[53:56], v[54:55], off
	s_nop 0
	global_load_dwordx4 v[49:52], v[117:118], off
	global_load_dwordx4 v[45:48], v[119:120], off
	;; [unrolled: 1-line block ×14, first 2 shown]
	s_waitcnt vmcnt(0) lgkmcnt(0)
	s_barrier
	ds_read2_b64 v[117:120], v94 offset1:1
	v_lshlrev_b32_e32 v99, 4, v95
	v_mov_b32_e32 v97, 0
	s_cbranch_scc1 .LBB84_6
; %bb.4:
	v_add3_u32 v95, v99, 0, 16
	s_mov_b32 s0, 1
	v_mov_b32_e32 v97, 0
.LBB84_5:                               ; =>This Inner Loop Header: Depth=1
	s_waitcnt lgkmcnt(0)
	v_cmp_gt_f64_e32 vcc, 0, v[117:118]
	v_xor_b32_e32 v96, 0x80000000, v118
	ds_read2_b64 v[100:103], v95 offset1:1
	v_mov_b32_e32 v104, v117
	v_mov_b32_e32 v106, v119
	v_add_u32_e32 v95, 16, v95
	s_waitcnt lgkmcnt(0)
	v_mov_b32_e32 v108, v102
	v_cndmask_b32_e32 v105, v118, v96, vcc
	v_cmp_gt_f64_e32 vcc, 0, v[119:120]
	v_xor_b32_e32 v96, 0x80000000, v120
	v_cndmask_b32_e32 v107, v120, v96, vcc
	v_cmp_gt_f64_e32 vcc, 0, v[100:101]
	v_xor_b32_e32 v96, 0x80000000, v101
	v_add_f64 v[104:105], v[104:105], v[106:107]
	v_mov_b32_e32 v106, v100
	v_cndmask_b32_e32 v107, v101, v96, vcc
	v_cmp_gt_f64_e32 vcc, 0, v[102:103]
	v_xor_b32_e32 v96, 0x80000000, v103
	v_cndmask_b32_e32 v109, v103, v96, vcc
	v_add_f64 v[106:107], v[106:107], v[108:109]
	v_mov_b32_e32 v96, s0
	s_add_i32 s0, s0, 1
	s_cmp_eq_u32 s3, s0
	v_cmp_lt_f64_e32 vcc, v[104:105], v[106:107]
	v_cndmask_b32_e32 v118, v118, v101, vcc
	v_cndmask_b32_e32 v117, v117, v100, vcc
	;; [unrolled: 1-line block ×5, first 2 shown]
	s_cbranch_scc0 .LBB84_5
.LBB84_6:
	s_waitcnt lgkmcnt(0)
	v_cmp_neq_f64_e32 vcc, 0, v[117:118]
	v_cmp_neq_f64_e64 s[0:1], 0, v[119:120]
	v_mov_b32_e32 v116, v90
	v_mov_b32_e32 v115, v89
	;; [unrolled: 1-line block ×7, first 2 shown]
	s_or_b64 s[18:19], vcc, s[0:1]
	v_mov_b32_e32 v100, 1
	s_and_saveexec_b64 s[0:1], s[18:19]
	s_cbranch_execz .LBB84_12
; %bb.7:
	v_cmp_ngt_f64_e64 s[18:19], |v[117:118]|, |v[119:120]|
	s_and_saveexec_b64 s[20:21], s[18:19]
	s_xor_b64 s[18:19], exec, s[20:21]
	s_cbranch_execz .LBB84_9
; %bb.8:
	v_div_scale_f64 v[95:96], s[20:21], v[119:120], v[119:120], v[117:118]
	v_rcp_f64_e32 v[100:101], v[95:96]
	v_fma_f64 v[102:103], -v[95:96], v[100:101], 1.0
	v_fma_f64 v[100:101], v[100:101], v[102:103], v[100:101]
	v_div_scale_f64 v[102:103], vcc, v[117:118], v[119:120], v[117:118]
	v_fma_f64 v[104:105], -v[95:96], v[100:101], 1.0
	v_fma_f64 v[100:101], v[100:101], v[104:105], v[100:101]
	v_mul_f64 v[104:105], v[102:103], v[100:101]
	v_fma_f64 v[95:96], -v[95:96], v[104:105], v[102:103]
	v_div_fmas_f64 v[95:96], v[95:96], v[100:101], v[104:105]
	v_div_fixup_f64 v[95:96], v[95:96], v[119:120], v[117:118]
	v_fma_f64 v[100:101], v[117:118], v[95:96], v[119:120]
	v_div_scale_f64 v[102:103], s[20:21], v[100:101], v[100:101], 1.0
	v_div_scale_f64 v[108:109], vcc, 1.0, v[100:101], 1.0
	v_rcp_f64_e32 v[104:105], v[102:103]
	v_fma_f64 v[106:107], -v[102:103], v[104:105], 1.0
	v_fma_f64 v[104:105], v[104:105], v[106:107], v[104:105]
	v_fma_f64 v[106:107], -v[102:103], v[104:105], 1.0
	v_fma_f64 v[104:105], v[104:105], v[106:107], v[104:105]
	v_mul_f64 v[106:107], v[108:109], v[104:105]
	v_fma_f64 v[102:103], -v[102:103], v[106:107], v[108:109]
	v_div_fmas_f64 v[102:103], v[102:103], v[104:105], v[106:107]
	v_div_fixup_f64 v[119:120], v[102:103], v[100:101], 1.0
	v_mul_f64 v[117:118], v[95:96], v[119:120]
	v_xor_b32_e32 v120, 0x80000000, v120
.LBB84_9:
	s_andn2_saveexec_b64 s[18:19], s[18:19]
	s_cbranch_execz .LBB84_11
; %bb.10:
	v_div_scale_f64 v[95:96], s[20:21], v[117:118], v[117:118], v[119:120]
	v_rcp_f64_e32 v[100:101], v[95:96]
	v_fma_f64 v[102:103], -v[95:96], v[100:101], 1.0
	v_fma_f64 v[100:101], v[100:101], v[102:103], v[100:101]
	v_div_scale_f64 v[102:103], vcc, v[119:120], v[117:118], v[119:120]
	v_fma_f64 v[104:105], -v[95:96], v[100:101], 1.0
	v_fma_f64 v[100:101], v[100:101], v[104:105], v[100:101]
	v_mul_f64 v[104:105], v[102:103], v[100:101]
	v_fma_f64 v[95:96], -v[95:96], v[104:105], v[102:103]
	v_div_fmas_f64 v[95:96], v[95:96], v[100:101], v[104:105]
	v_div_fixup_f64 v[95:96], v[95:96], v[117:118], v[119:120]
	v_fma_f64 v[100:101], v[119:120], v[95:96], v[117:118]
	v_div_scale_f64 v[102:103], s[20:21], v[100:101], v[100:101], 1.0
	v_div_scale_f64 v[108:109], vcc, 1.0, v[100:101], 1.0
	v_rcp_f64_e32 v[104:105], v[102:103]
	v_fma_f64 v[106:107], -v[102:103], v[104:105], 1.0
	v_fma_f64 v[104:105], v[104:105], v[106:107], v[104:105]
	v_fma_f64 v[106:107], -v[102:103], v[104:105], 1.0
	v_fma_f64 v[104:105], v[104:105], v[106:107], v[104:105]
	v_mul_f64 v[106:107], v[108:109], v[104:105]
	v_fma_f64 v[102:103], -v[102:103], v[106:107], v[108:109]
	v_div_fmas_f64 v[102:103], v[102:103], v[104:105], v[106:107]
	v_div_fixup_f64 v[117:118], v[102:103], v[100:101], 1.0
	v_mul_f64 v[119:120], v[95:96], -v[117:118]
.LBB84_11:
	s_or_b64 exec, exec, s[18:19]
	v_mov_b32_e32 v100, 0
	v_mov_b32_e32 v95, 2
.LBB84_12:
	s_or_b64 exec, exec, s[0:1]
	v_cmp_ne_u32_e32 vcc, v0, v97
	s_and_saveexec_b64 s[0:1], vcc
	s_xor_b64 s[0:1], exec, s[0:1]
	s_cbranch_execz .LBB84_18
; %bb.13:
	v_cmp_eq_u32_e32 vcc, 0, v0
	s_and_saveexec_b64 s[18:19], vcc
	s_cbranch_execz .LBB84_17
; %bb.14:
	v_cmp_ne_u32_e32 vcc, 0, v97
	s_xor_b64 s[20:21], s[6:7], -1
	s_and_b64 s[22:23], s[20:21], vcc
	s_and_saveexec_b64 s[20:21], s[22:23]
	s_cbranch_execz .LBB84_16
; %bb.15:
	buffer_load_dword v89, off, s[24:27], 0 offset:272 ; 4-byte Folded Reload
	buffer_load_dword v90, off, s[24:27], 0 offset:276 ; 4-byte Folded Reload
	v_ashrrev_i32_e32 v98, 31, v97
	v_lshlrev_b64 v[101:102], 2, v[97:98]
	s_waitcnt vmcnt(1)
	v_add_co_u32_e32 v101, vcc, v89, v101
	s_waitcnt vmcnt(0)
	v_addc_co_u32_e32 v102, vcc, v90, v102, vcc
	global_load_dword v0, v[101:102], off
	global_load_dword v96, v[89:90], off
	s_waitcnt vmcnt(1)
	global_store_dword v[89:90], v0, off
	v_mov_b32_e32 v92, v88
	v_mov_b32_e32 v91, v87
	;; [unrolled: 1-line block ×4, first 2 shown]
	s_waitcnt vmcnt(1)
	global_store_dword v[101:102], v96, off
.LBB84_16:
	s_or_b64 exec, exec, s[20:21]
	v_mov_b32_e32 v0, v97
.LBB84_17:
	s_or_b64 exec, exec, s[18:19]
.LBB84_18:
	s_or_saveexec_b64 s[0:1], s[0:1]
	v_mov_b32_e32 v96, v0
	s_xor_b64 exec, exec, s[0:1]
	s_cbranch_execz .LBB84_20
; %bb.19:
	buffer_load_dword v85, off, s[24:27], 0 offset:280 ; 4-byte Folded Reload
	buffer_load_dword v86, off, s[24:27], 0 offset:284 ; 4-byte Folded Reload
	buffer_load_dword v87, off, s[24:27], 0 offset:288 ; 4-byte Folded Reload
	buffer_load_dword v88, off, s[24:27], 0 offset:292 ; 4-byte Folded Reload
	v_mov_b32_e32 v96, 0
	s_waitcnt vmcnt(0)
	ds_write2_b64 v94, v[85:86], v[87:88] offset0:2 offset1:3
	buffer_load_dword v85, off, s[24:27], 0 offset:256 ; 4-byte Folded Reload
	buffer_load_dword v86, off, s[24:27], 0 offset:260 ; 4-byte Folded Reload
	buffer_load_dword v87, off, s[24:27], 0 offset:264 ; 4-byte Folded Reload
	buffer_load_dword v88, off, s[24:27], 0 offset:268 ; 4-byte Folded Reload
	s_waitcnt vmcnt(0)
	ds_write2_b64 v94, v[85:86], v[87:88] offset0:4 offset1:5
	buffer_load_dword v85, off, s[24:27], 0 offset:240 ; 4-byte Folded Reload
	buffer_load_dword v86, off, s[24:27], 0 offset:244 ; 4-byte Folded Reload
	buffer_load_dword v87, off, s[24:27], 0 offset:248 ; 4-byte Folded Reload
	buffer_load_dword v88, off, s[24:27], 0 offset:252 ; 4-byte Folded Reload
	;; [unrolled: 6-line block ×16, first 2 shown]
	s_waitcnt vmcnt(0)
	ds_write2_b64 v94, v[85:86], v[87:88] offset0:34 offset1:35
	ds_write2_b64 v94, v[89:90], v[91:92] offset0:36 offset1:37
	;; [unrolled: 1-line block ×3, first 2 shown]
	buffer_load_dword v85, off, s[24:27], 0 ; 4-byte Folded Reload
	buffer_load_dword v86, off, s[24:27], 0 offset:4 ; 4-byte Folded Reload
	buffer_load_dword v87, off, s[24:27], 0 offset:8 ; 4-byte Folded Reload
	;; [unrolled: 1-line block ×3, first 2 shown]
	s_waitcnt vmcnt(0)
	ds_write2_b64 v94, v[85:86], v[87:88] offset0:40 offset1:41
	ds_write2_b64 v94, v[81:82], v[83:84] offset0:42 offset1:43
	;; [unrolled: 1-line block ×23, first 2 shown]
.LBB84_20:
	s_or_b64 exec, exec, s[0:1]
	v_cmp_lt_i32_e32 vcc, 0, v96
	s_waitcnt vmcnt(0) lgkmcnt(0)
	s_barrier
	s_and_saveexec_b64 s[0:1], vcc
	s_cbranch_execz .LBB84_22
; %bb.21:
	buffer_load_dword v103, off, s[24:27], 0 offset:312 ; 4-byte Folded Reload
	buffer_load_dword v104, off, s[24:27], 0 offset:316 ; 4-byte Folded Reload
	;; [unrolled: 1-line block ×4, first 2 shown]
	s_waitcnt vmcnt(0)
	v_mul_f64 v[97:98], v[119:120], v[105:106]
	v_fma_f64 v[125:126], v[117:118], v[103:104], -v[97:98]
	v_mul_f64 v[97:98], v[117:118], v[105:106]
	v_fma_f64 v[105:106], v[119:120], v[103:104], v[97:98]
	ds_read2_b64 v[101:104], v94 offset0:2 offset1:3
	buffer_load_dword v85, off, s[24:27], 0 offset:280 ; 4-byte Folded Reload
	buffer_load_dword v86, off, s[24:27], 0 offset:284 ; 4-byte Folded Reload
	buffer_load_dword v87, off, s[24:27], 0 offset:288 ; 4-byte Folded Reload
	buffer_load_dword v88, off, s[24:27], 0 offset:292 ; 4-byte Folded Reload
	s_waitcnt lgkmcnt(0)
	v_mul_f64 v[97:98], v[103:104], v[105:106]
	v_fma_f64 v[97:98], v[101:102], v[125:126], -v[97:98]
	v_mul_f64 v[101:102], v[101:102], v[105:106]
	v_fma_f64 v[101:102], v[103:104], v[125:126], v[101:102]
	s_waitcnt vmcnt(2)
	v_add_f64 v[85:86], v[85:86], -v[97:98]
	s_waitcnt vmcnt(0)
	v_add_f64 v[87:88], v[87:88], -v[101:102]
	buffer_store_dword v85, off, s[24:27], 0 offset:280 ; 4-byte Folded Spill
	s_nop 0
	buffer_store_dword v86, off, s[24:27], 0 offset:284 ; 4-byte Folded Spill
	buffer_store_dword v87, off, s[24:27], 0 offset:288 ; 4-byte Folded Spill
	buffer_store_dword v88, off, s[24:27], 0 offset:292 ; 4-byte Folded Spill
	ds_read2_b64 v[101:104], v94 offset0:4 offset1:5
	buffer_load_dword v85, off, s[24:27], 0 offset:256 ; 4-byte Folded Reload
	buffer_load_dword v86, off, s[24:27], 0 offset:260 ; 4-byte Folded Reload
	buffer_load_dword v87, off, s[24:27], 0 offset:264 ; 4-byte Folded Reload
	buffer_load_dword v88, off, s[24:27], 0 offset:268 ; 4-byte Folded Reload
	s_waitcnt lgkmcnt(0)
	v_mul_f64 v[97:98], v[103:104], v[105:106]
	v_fma_f64 v[97:98], v[101:102], v[125:126], -v[97:98]
	v_mul_f64 v[101:102], v[101:102], v[105:106]
	v_fma_f64 v[101:102], v[103:104], v[125:126], v[101:102]
	s_waitcnt vmcnt(2)
	v_add_f64 v[85:86], v[85:86], -v[97:98]
	s_waitcnt vmcnt(0)
	v_add_f64 v[87:88], v[87:88], -v[101:102]
	buffer_store_dword v85, off, s[24:27], 0 offset:256 ; 4-byte Folded Spill
	s_nop 0
	buffer_store_dword v86, off, s[24:27], 0 offset:260 ; 4-byte Folded Spill
	buffer_store_dword v87, off, s[24:27], 0 offset:264 ; 4-byte Folded Spill
	buffer_store_dword v88, off, s[24:27], 0 offset:268 ; 4-byte Folded Spill
	;; [unrolled: 19-line block ×17, first 2 shown]
	ds_read2_b64 v[101:104], v94 offset0:36 offset1:37
	s_waitcnt lgkmcnt(0)
	v_mul_f64 v[97:98], v[103:104], v[105:106]
	v_fma_f64 v[97:98], v[101:102], v[125:126], -v[97:98]
	v_mul_f64 v[101:102], v[101:102], v[105:106]
	v_add_f64 v[89:90], v[89:90], -v[97:98]
	v_fma_f64 v[101:102], v[103:104], v[125:126], v[101:102]
	v_add_f64 v[91:92], v[91:92], -v[101:102]
	ds_read2_b64 v[101:104], v94 offset0:38 offset1:39
	s_waitcnt lgkmcnt(0)
	v_mul_f64 v[97:98], v[103:104], v[105:106]
	v_fma_f64 v[97:98], v[101:102], v[125:126], -v[97:98]
	v_mul_f64 v[101:102], v[101:102], v[105:106]
	v_add_f64 v[111:112], v[111:112], -v[97:98]
	v_fma_f64 v[101:102], v[103:104], v[125:126], v[101:102]
	v_add_f64 v[113:114], v[113:114], -v[101:102]
	ds_read2_b64 v[101:104], v94 offset0:40 offset1:41
	buffer_load_dword v85, off, s[24:27], 0 ; 4-byte Folded Reload
	buffer_load_dword v86, off, s[24:27], 0 offset:4 ; 4-byte Folded Reload
	buffer_load_dword v87, off, s[24:27], 0 offset:8 ; 4-byte Folded Reload
	;; [unrolled: 1-line block ×3, first 2 shown]
	s_waitcnt lgkmcnt(0)
	v_mul_f64 v[97:98], v[103:104], v[105:106]
	v_fma_f64 v[97:98], v[101:102], v[125:126], -v[97:98]
	v_mul_f64 v[101:102], v[101:102], v[105:106]
	v_fma_f64 v[101:102], v[103:104], v[125:126], v[101:102]
	s_waitcnt vmcnt(2)
	v_add_f64 v[85:86], v[85:86], -v[97:98]
	s_waitcnt vmcnt(0)
	v_add_f64 v[87:88], v[87:88], -v[101:102]
	buffer_store_dword v85, off, s[24:27], 0 ; 4-byte Folded Spill
	s_nop 0
	buffer_store_dword v86, off, s[24:27], 0 offset:4 ; 4-byte Folded Spill
	buffer_store_dword v87, off, s[24:27], 0 offset:8 ; 4-byte Folded Spill
	;; [unrolled: 1-line block ×3, first 2 shown]
	ds_read2_b64 v[101:104], v94 offset0:42 offset1:43
	s_waitcnt lgkmcnt(0)
	v_mul_f64 v[97:98], v[103:104], v[105:106]
	v_fma_f64 v[97:98], v[101:102], v[125:126], -v[97:98]
	v_mul_f64 v[101:102], v[101:102], v[105:106]
	v_add_f64 v[81:82], v[81:82], -v[97:98]
	v_fma_f64 v[101:102], v[103:104], v[125:126], v[101:102]
	v_add_f64 v[83:84], v[83:84], -v[101:102]
	ds_read2_b64 v[101:104], v94 offset0:44 offset1:45
	s_waitcnt lgkmcnt(0)
	v_mul_f64 v[97:98], v[103:104], v[105:106]
	v_fma_f64 v[97:98], v[101:102], v[125:126], -v[97:98]
	v_mul_f64 v[101:102], v[101:102], v[105:106]
	v_add_f64 v[77:78], v[77:78], -v[97:98]
	v_fma_f64 v[101:102], v[103:104], v[125:126], v[101:102]
	v_add_f64 v[79:80], v[79:80], -v[101:102]
	;; [unrolled: 8-line block ×21, first 2 shown]
	ds_read2_b64 v[101:104], v94 offset0:84 offset1:85
	s_waitcnt lgkmcnt(0)
	v_mul_f64 v[97:98], v[103:104], v[105:106]
	v_fma_f64 v[97:98], v[101:102], v[125:126], -v[97:98]
	v_mul_f64 v[101:102], v[101:102], v[105:106]
	v_add_f64 v[121:122], v[121:122], -v[97:98]
	v_fma_f64 v[101:102], v[103:104], v[125:126], v[101:102]
	v_mov_b32_e32 v103, v125
	v_mov_b32_e32 v104, v126
	buffer_store_dword v103, off, s[24:27], 0 offset:312 ; 4-byte Folded Spill
	s_nop 0
	buffer_store_dword v104, off, s[24:27], 0 offset:316 ; 4-byte Folded Spill
	buffer_store_dword v105, off, s[24:27], 0 offset:320 ; 4-byte Folded Spill
	;; [unrolled: 1-line block ×3, first 2 shown]
	v_add_f64 v[123:124], v[123:124], -v[101:102]
.LBB84_22:
	s_or_b64 exec, exec, s[0:1]
	s_waitcnt vmcnt(0)
	s_barrier
	buffer_load_dword v85, off, s[24:27], 0 offset:280 ; 4-byte Folded Reload
	buffer_load_dword v86, off, s[24:27], 0 offset:284 ; 4-byte Folded Reload
	;; [unrolled: 1-line block ×4, first 2 shown]
	v_lshl_add_u32 v97, v96, 4, v94
	s_cmp_lt_i32 s3, 3
	s_waitcnt vmcnt(0)
	ds_write2_b64 v97, v[85:86], v[87:88] offset1:1
	s_waitcnt lgkmcnt(0)
	s_barrier
	ds_read2_b64 v[117:120], v94 offset0:2 offset1:3
	v_mov_b32_e32 v97, 1
	s_cbranch_scc1 .LBB84_25
; %bb.23:
	v_add3_u32 v98, v99, 0, 32
	s_mov_b32 s0, 2
	v_mov_b32_e32 v97, 1
.LBB84_24:                              ; =>This Inner Loop Header: Depth=1
	s_waitcnt lgkmcnt(0)
	v_cmp_gt_f64_e32 vcc, 0, v[117:118]
	v_xor_b32_e32 v105, 0x80000000, v118
	ds_read2_b64 v[101:104], v98 offset1:1
	v_xor_b32_e32 v107, 0x80000000, v120
	v_add_u32_e32 v98, 16, v98
	s_waitcnt lgkmcnt(0)
	v_xor_b32_e32 v109, 0x80000000, v104
	v_cndmask_b32_e32 v106, v118, v105, vcc
	v_cmp_gt_f64_e32 vcc, 0, v[119:120]
	v_mov_b32_e32 v105, v117
	v_cndmask_b32_e32 v108, v120, v107, vcc
	v_cmp_gt_f64_e32 vcc, 0, v[101:102]
	v_mov_b32_e32 v107, v119
	v_add_f64 v[105:106], v[105:106], v[107:108]
	v_xor_b32_e32 v107, 0x80000000, v102
	v_cndmask_b32_e32 v108, v102, v107, vcc
	v_cmp_gt_f64_e32 vcc, 0, v[103:104]
	v_mov_b32_e32 v107, v101
	v_cndmask_b32_e32 v110, v104, v109, vcc
	v_mov_b32_e32 v109, v103
	v_add_f64 v[107:108], v[107:108], v[109:110]
	v_cmp_lt_f64_e32 vcc, v[105:106], v[107:108]
	v_cndmask_b32_e32 v117, v117, v101, vcc
	v_mov_b32_e32 v101, s0
	s_add_i32 s0, s0, 1
	v_cndmask_b32_e32 v118, v118, v102, vcc
	v_cndmask_b32_e32 v120, v120, v104, vcc
	;; [unrolled: 1-line block ×4, first 2 shown]
	s_cmp_lg_u32 s3, s0
	s_cbranch_scc1 .LBB84_24
.LBB84_25:
	s_waitcnt lgkmcnt(0)
	v_cmp_neq_f64_e32 vcc, 0, v[117:118]
	v_cmp_neq_f64_e64 s[0:1], 0, v[119:120]
	s_or_b64 s[18:19], vcc, s[0:1]
	s_and_saveexec_b64 s[0:1], s[18:19]
	s_cbranch_execz .LBB84_31
; %bb.26:
	v_cmp_ngt_f64_e64 s[18:19], |v[117:118]|, |v[119:120]|
	s_and_saveexec_b64 s[20:21], s[18:19]
	s_xor_b64 s[18:19], exec, s[20:21]
	s_cbranch_execz .LBB84_28
; %bb.27:
	v_div_scale_f64 v[101:102], s[20:21], v[119:120], v[119:120], v[117:118]
	v_rcp_f64_e32 v[103:104], v[101:102]
	v_fma_f64 v[105:106], -v[101:102], v[103:104], 1.0
	v_fma_f64 v[103:104], v[103:104], v[105:106], v[103:104]
	v_div_scale_f64 v[105:106], vcc, v[117:118], v[119:120], v[117:118]
	v_fma_f64 v[107:108], -v[101:102], v[103:104], 1.0
	v_fma_f64 v[103:104], v[103:104], v[107:108], v[103:104]
	v_mul_f64 v[107:108], v[105:106], v[103:104]
	v_fma_f64 v[101:102], -v[101:102], v[107:108], v[105:106]
	v_div_fmas_f64 v[101:102], v[101:102], v[103:104], v[107:108]
	v_div_fixup_f64 v[101:102], v[101:102], v[119:120], v[117:118]
	v_fma_f64 v[103:104], v[117:118], v[101:102], v[119:120]
	v_mov_b32_e32 v120, v114
	v_mov_b32_e32 v119, v113
	;; [unrolled: 1-line block ×4, first 2 shown]
	v_div_scale_f64 v[105:106], s[20:21], v[103:104], v[103:104], 1.0
	v_div_scale_f64 v[111:112], vcc, 1.0, v[103:104], 1.0
	v_rcp_f64_e32 v[107:108], v[105:106]
	v_fma_f64 v[109:110], -v[105:106], v[107:108], 1.0
	v_fma_f64 v[107:108], v[107:108], v[109:110], v[107:108]
	v_fma_f64 v[109:110], -v[105:106], v[107:108], 1.0
	v_fma_f64 v[107:108], v[107:108], v[109:110], v[107:108]
	v_mul_f64 v[109:110], v[111:112], v[107:108]
	v_fma_f64 v[105:106], -v[105:106], v[109:110], v[111:112]
	v_mov_b32_e32 v111, v117
	v_mov_b32_e32 v112, v118
	;; [unrolled: 1-line block ×4, first 2 shown]
	v_div_fmas_f64 v[105:106], v[105:106], v[107:108], v[109:110]
	v_div_fixup_f64 v[119:120], v[105:106], v[103:104], 1.0
	v_mul_f64 v[117:118], v[101:102], v[119:120]
	v_xor_b32_e32 v120, 0x80000000, v120
.LBB84_28:
	s_andn2_saveexec_b64 s[18:19], s[18:19]
	s_cbranch_execz .LBB84_30
; %bb.29:
	v_div_scale_f64 v[101:102], s[20:21], v[117:118], v[117:118], v[119:120]
	v_rcp_f64_e32 v[103:104], v[101:102]
	v_fma_f64 v[105:106], -v[101:102], v[103:104], 1.0
	v_fma_f64 v[103:104], v[103:104], v[105:106], v[103:104]
	v_div_scale_f64 v[105:106], vcc, v[119:120], v[117:118], v[119:120]
	v_fma_f64 v[107:108], -v[101:102], v[103:104], 1.0
	v_fma_f64 v[103:104], v[103:104], v[107:108], v[103:104]
	v_mul_f64 v[107:108], v[105:106], v[103:104]
	v_fma_f64 v[101:102], -v[101:102], v[107:108], v[105:106]
	v_div_fmas_f64 v[101:102], v[101:102], v[103:104], v[107:108]
	v_div_fixup_f64 v[101:102], v[101:102], v[117:118], v[119:120]
	v_fma_f64 v[103:104], v[119:120], v[101:102], v[117:118]
	v_mov_b32_e32 v120, v114
	v_mov_b32_e32 v119, v113
	;; [unrolled: 1-line block ×4, first 2 shown]
	v_div_scale_f64 v[105:106], s[20:21], v[103:104], v[103:104], 1.0
	v_div_scale_f64 v[111:112], vcc, 1.0, v[103:104], 1.0
	v_rcp_f64_e32 v[107:108], v[105:106]
	v_fma_f64 v[109:110], -v[105:106], v[107:108], 1.0
	v_fma_f64 v[107:108], v[107:108], v[109:110], v[107:108]
	v_fma_f64 v[109:110], -v[105:106], v[107:108], 1.0
	v_fma_f64 v[107:108], v[107:108], v[109:110], v[107:108]
	v_mul_f64 v[109:110], v[111:112], v[107:108]
	v_fma_f64 v[105:106], -v[105:106], v[109:110], v[111:112]
	v_mov_b32_e32 v111, v117
	v_mov_b32_e32 v112, v118
	;; [unrolled: 1-line block ×4, first 2 shown]
	v_div_fmas_f64 v[105:106], v[105:106], v[107:108], v[109:110]
	v_div_fixup_f64 v[117:118], v[105:106], v[103:104], 1.0
	v_mul_f64 v[119:120], v[101:102], -v[117:118]
.LBB84_30:
	s_or_b64 exec, exec, s[18:19]
	v_mov_b32_e32 v95, v100
.LBB84_31:
	s_or_b64 exec, exec, s[0:1]
	v_cmp_ne_u32_e32 vcc, v96, v97
	s_and_saveexec_b64 s[0:1], vcc
	s_xor_b64 s[0:1], exec, s[0:1]
	s_cbranch_execz .LBB84_37
; %bb.32:
	v_cmp_eq_u32_e32 vcc, 1, v96
	s_and_saveexec_b64 s[18:19], vcc
	s_cbranch_execz .LBB84_36
; %bb.33:
	v_cmp_ne_u32_e32 vcc, 1, v97
	s_xor_b64 s[20:21], s[6:7], -1
	s_and_b64 s[22:23], s[20:21], vcc
	s_and_saveexec_b64 s[20:21], s[22:23]
	s_cbranch_execz .LBB84_35
; %bb.34:
	v_mov_b32_e32 v85, v89
	v_mov_b32_e32 v86, v90
	;; [unrolled: 1-line block ×4, first 2 shown]
	buffer_load_dword v89, off, s[24:27], 0 offset:272 ; 4-byte Folded Reload
	buffer_load_dword v90, off, s[24:27], 0 offset:276 ; 4-byte Folded Reload
	v_ashrrev_i32_e32 v98, 31, v97
	v_lshlrev_b64 v[100:101], 2, v[97:98]
	s_waitcnt vmcnt(1)
	v_add_co_u32_e32 v100, vcc, v89, v100
	s_waitcnt vmcnt(0)
	v_addc_co_u32_e32 v101, vcc, v90, v101, vcc
	global_load_dword v0, v[100:101], off
	global_load_dword v96, v[89:90], off offset:4
	s_waitcnt vmcnt(1)
	global_store_dword v[89:90], v0, off offset:4
	v_mov_b32_e32 v92, v88
	v_mov_b32_e32 v91, v87
	;; [unrolled: 1-line block ×4, first 2 shown]
	s_waitcnt vmcnt(1)
	global_store_dword v[100:101], v96, off
.LBB84_35:
	s_or_b64 exec, exec, s[20:21]
	v_mov_b32_e32 v96, v97
	v_mov_b32_e32 v0, v97
.LBB84_36:
	s_or_b64 exec, exec, s[18:19]
.LBB84_37:
	s_andn2_saveexec_b64 s[0:1], s[0:1]
	s_cbranch_execz .LBB84_39
; %bb.38:
	buffer_load_dword v85, off, s[24:27], 0 offset:256 ; 4-byte Folded Reload
	buffer_load_dword v86, off, s[24:27], 0 offset:260 ; 4-byte Folded Reload
	buffer_load_dword v87, off, s[24:27], 0 offset:264 ; 4-byte Folded Reload
	buffer_load_dword v88, off, s[24:27], 0 offset:268 ; 4-byte Folded Reload
	v_mov_b32_e32 v96, 1
	s_waitcnt vmcnt(0)
	ds_write2_b64 v94, v[85:86], v[87:88] offset0:4 offset1:5
	buffer_load_dword v85, off, s[24:27], 0 offset:240 ; 4-byte Folded Reload
	buffer_load_dword v86, off, s[24:27], 0 offset:244 ; 4-byte Folded Reload
	buffer_load_dword v87, off, s[24:27], 0 offset:248 ; 4-byte Folded Reload
	buffer_load_dword v88, off, s[24:27], 0 offset:252 ; 4-byte Folded Reload
	s_waitcnt vmcnt(0)
	ds_write2_b64 v94, v[85:86], v[87:88] offset0:6 offset1:7
	buffer_load_dword v85, off, s[24:27], 0 offset:224 ; 4-byte Folded Reload
	buffer_load_dword v86, off, s[24:27], 0 offset:228 ; 4-byte Folded Reload
	buffer_load_dword v87, off, s[24:27], 0 offset:232 ; 4-byte Folded Reload
	buffer_load_dword v88, off, s[24:27], 0 offset:236 ; 4-byte Folded Reload
	;; [unrolled: 6-line block ×15, first 2 shown]
	s_waitcnt vmcnt(0)
	ds_write2_b64 v94, v[85:86], v[87:88] offset0:34 offset1:35
	ds_write2_b64 v94, v[89:90], v[91:92] offset0:36 offset1:37
	;; [unrolled: 1-line block ×3, first 2 shown]
	buffer_load_dword v85, off, s[24:27], 0 ; 4-byte Folded Reload
	buffer_load_dword v86, off, s[24:27], 0 offset:4 ; 4-byte Folded Reload
	buffer_load_dword v87, off, s[24:27], 0 offset:8 ; 4-byte Folded Reload
	;; [unrolled: 1-line block ×3, first 2 shown]
	s_waitcnt vmcnt(0)
	ds_write2_b64 v94, v[85:86], v[87:88] offset0:40 offset1:41
	ds_write2_b64 v94, v[81:82], v[83:84] offset0:42 offset1:43
	;; [unrolled: 1-line block ×23, first 2 shown]
.LBB84_39:
	s_or_b64 exec, exec, s[0:1]
	v_cmp_lt_i32_e32 vcc, 1, v96
	s_waitcnt vmcnt(0) lgkmcnt(0)
	s_barrier
	s_and_saveexec_b64 s[0:1], vcc
	s_cbranch_execz .LBB84_41
; %bb.40:
	buffer_load_dword v102, off, s[24:27], 0 offset:280 ; 4-byte Folded Reload
	buffer_load_dword v103, off, s[24:27], 0 offset:284 ; 4-byte Folded Reload
	;; [unrolled: 1-line block ×4, first 2 shown]
	s_waitcnt vmcnt(0)
	v_mul_f64 v[97:98], v[119:120], v[104:105]
	v_fma_f64 v[125:126], v[117:118], v[102:103], -v[97:98]
	v_mul_f64 v[97:98], v[117:118], v[104:105]
	v_fma_f64 v[104:105], v[119:120], v[102:103], v[97:98]
	ds_read2_b64 v[100:103], v94 offset0:4 offset1:5
	buffer_load_dword v85, off, s[24:27], 0 offset:256 ; 4-byte Folded Reload
	buffer_load_dword v86, off, s[24:27], 0 offset:260 ; 4-byte Folded Reload
	buffer_load_dword v87, off, s[24:27], 0 offset:264 ; 4-byte Folded Reload
	buffer_load_dword v88, off, s[24:27], 0 offset:268 ; 4-byte Folded Reload
	s_waitcnt lgkmcnt(0)
	v_mul_f64 v[97:98], v[102:103], v[104:105]
	v_fma_f64 v[97:98], v[100:101], v[125:126], -v[97:98]
	v_mul_f64 v[100:101], v[100:101], v[104:105]
	v_fma_f64 v[100:101], v[102:103], v[125:126], v[100:101]
	s_waitcnt vmcnt(2)
	v_add_f64 v[85:86], v[85:86], -v[97:98]
	s_waitcnt vmcnt(0)
	v_add_f64 v[87:88], v[87:88], -v[100:101]
	buffer_store_dword v85, off, s[24:27], 0 offset:256 ; 4-byte Folded Spill
	s_nop 0
	buffer_store_dword v86, off, s[24:27], 0 offset:260 ; 4-byte Folded Spill
	buffer_store_dword v87, off, s[24:27], 0 offset:264 ; 4-byte Folded Spill
	buffer_store_dword v88, off, s[24:27], 0 offset:268 ; 4-byte Folded Spill
	ds_read2_b64 v[100:103], v94 offset0:6 offset1:7
	buffer_load_dword v85, off, s[24:27], 0 offset:240 ; 4-byte Folded Reload
	buffer_load_dword v86, off, s[24:27], 0 offset:244 ; 4-byte Folded Reload
	buffer_load_dword v87, off, s[24:27], 0 offset:248 ; 4-byte Folded Reload
	buffer_load_dword v88, off, s[24:27], 0 offset:252 ; 4-byte Folded Reload
	s_waitcnt lgkmcnt(0)
	v_mul_f64 v[97:98], v[102:103], v[104:105]
	v_fma_f64 v[97:98], v[100:101], v[125:126], -v[97:98]
	v_mul_f64 v[100:101], v[100:101], v[104:105]
	v_fma_f64 v[100:101], v[102:103], v[125:126], v[100:101]
	s_waitcnt vmcnt(2)
	v_add_f64 v[85:86], v[85:86], -v[97:98]
	s_waitcnt vmcnt(0)
	v_add_f64 v[87:88], v[87:88], -v[100:101]
	buffer_store_dword v85, off, s[24:27], 0 offset:240 ; 4-byte Folded Spill
	s_nop 0
	buffer_store_dword v86, off, s[24:27], 0 offset:244 ; 4-byte Folded Spill
	buffer_store_dword v87, off, s[24:27], 0 offset:248 ; 4-byte Folded Spill
	buffer_store_dword v88, off, s[24:27], 0 offset:252 ; 4-byte Folded Spill
	;; [unrolled: 19-line block ×16, first 2 shown]
	ds_read2_b64 v[100:103], v94 offset0:36 offset1:37
	s_waitcnt lgkmcnt(0)
	v_mul_f64 v[97:98], v[102:103], v[104:105]
	v_fma_f64 v[97:98], v[100:101], v[125:126], -v[97:98]
	v_mul_f64 v[100:101], v[100:101], v[104:105]
	v_add_f64 v[89:90], v[89:90], -v[97:98]
	v_fma_f64 v[100:101], v[102:103], v[125:126], v[100:101]
	v_add_f64 v[91:92], v[91:92], -v[100:101]
	ds_read2_b64 v[100:103], v94 offset0:38 offset1:39
	s_waitcnt lgkmcnt(0)
	v_mul_f64 v[97:98], v[102:103], v[104:105]
	v_fma_f64 v[97:98], v[100:101], v[125:126], -v[97:98]
	v_mul_f64 v[100:101], v[100:101], v[104:105]
	v_add_f64 v[111:112], v[111:112], -v[97:98]
	v_fma_f64 v[100:101], v[102:103], v[125:126], v[100:101]
	v_add_f64 v[113:114], v[113:114], -v[100:101]
	ds_read2_b64 v[100:103], v94 offset0:40 offset1:41
	buffer_load_dword v85, off, s[24:27], 0 ; 4-byte Folded Reload
	buffer_load_dword v86, off, s[24:27], 0 offset:4 ; 4-byte Folded Reload
	buffer_load_dword v87, off, s[24:27], 0 offset:8 ; 4-byte Folded Reload
	;; [unrolled: 1-line block ×3, first 2 shown]
	s_waitcnt lgkmcnt(0)
	v_mul_f64 v[97:98], v[102:103], v[104:105]
	v_fma_f64 v[97:98], v[100:101], v[125:126], -v[97:98]
	v_mul_f64 v[100:101], v[100:101], v[104:105]
	v_fma_f64 v[100:101], v[102:103], v[125:126], v[100:101]
	s_waitcnt vmcnt(2)
	v_add_f64 v[85:86], v[85:86], -v[97:98]
	s_waitcnt vmcnt(0)
	v_add_f64 v[87:88], v[87:88], -v[100:101]
	buffer_store_dword v85, off, s[24:27], 0 ; 4-byte Folded Spill
	s_nop 0
	buffer_store_dword v86, off, s[24:27], 0 offset:4 ; 4-byte Folded Spill
	buffer_store_dword v87, off, s[24:27], 0 offset:8 ; 4-byte Folded Spill
	;; [unrolled: 1-line block ×3, first 2 shown]
	ds_read2_b64 v[100:103], v94 offset0:42 offset1:43
	s_waitcnt lgkmcnt(0)
	v_mul_f64 v[97:98], v[102:103], v[104:105]
	v_fma_f64 v[97:98], v[100:101], v[125:126], -v[97:98]
	v_mul_f64 v[100:101], v[100:101], v[104:105]
	v_add_f64 v[81:82], v[81:82], -v[97:98]
	v_fma_f64 v[100:101], v[102:103], v[125:126], v[100:101]
	v_add_f64 v[83:84], v[83:84], -v[100:101]
	ds_read2_b64 v[100:103], v94 offset0:44 offset1:45
	s_waitcnt lgkmcnt(0)
	v_mul_f64 v[97:98], v[102:103], v[104:105]
	v_fma_f64 v[97:98], v[100:101], v[125:126], -v[97:98]
	v_mul_f64 v[100:101], v[100:101], v[104:105]
	v_add_f64 v[77:78], v[77:78], -v[97:98]
	v_fma_f64 v[100:101], v[102:103], v[125:126], v[100:101]
	v_add_f64 v[79:80], v[79:80], -v[100:101]
	;; [unrolled: 8-line block ×21, first 2 shown]
	ds_read2_b64 v[100:103], v94 offset0:84 offset1:85
	s_waitcnt lgkmcnt(0)
	v_mul_f64 v[97:98], v[102:103], v[104:105]
	v_fma_f64 v[97:98], v[100:101], v[125:126], -v[97:98]
	v_mul_f64 v[100:101], v[100:101], v[104:105]
	v_add_f64 v[121:122], v[121:122], -v[97:98]
	v_fma_f64 v[100:101], v[102:103], v[125:126], v[100:101]
	v_mov_b32_e32 v102, v125
	v_mov_b32_e32 v103, v126
	buffer_store_dword v102, off, s[24:27], 0 offset:280 ; 4-byte Folded Spill
	s_nop 0
	buffer_store_dword v103, off, s[24:27], 0 offset:284 ; 4-byte Folded Spill
	buffer_store_dword v104, off, s[24:27], 0 offset:288 ; 4-byte Folded Spill
	;; [unrolled: 1-line block ×3, first 2 shown]
	v_add_f64 v[123:124], v[123:124], -v[100:101]
.LBB84_41:
	s_or_b64 exec, exec, s[0:1]
	s_waitcnt vmcnt(0)
	s_barrier
	buffer_load_dword v85, off, s[24:27], 0 offset:256 ; 4-byte Folded Reload
	buffer_load_dword v86, off, s[24:27], 0 offset:260 ; 4-byte Folded Reload
	;; [unrolled: 1-line block ×4, first 2 shown]
	v_lshl_add_u32 v97, v96, 4, v94
	s_cmp_lt_i32 s3, 4
	s_waitcnt vmcnt(0)
	ds_write2_b64 v97, v[85:86], v[87:88] offset1:1
	s_waitcnt lgkmcnt(0)
	s_barrier
	ds_read2_b64 v[117:120], v94 offset0:4 offset1:5
	v_mov_b32_e32 v97, 2
	s_cbranch_scc1 .LBB84_44
; %bb.42:
	v_add3_u32 v98, v99, 0, 48
	s_mov_b32 s0, 3
	v_mov_b32_e32 v97, 2
.LBB84_43:                              ; =>This Inner Loop Header: Depth=1
	s_waitcnt lgkmcnt(0)
	v_cmp_gt_f64_e32 vcc, 0, v[117:118]
	v_xor_b32_e32 v104, 0x80000000, v118
	ds_read2_b64 v[100:103], v98 offset1:1
	v_xor_b32_e32 v106, 0x80000000, v120
	v_add_u32_e32 v98, 16, v98
	s_waitcnt lgkmcnt(0)
	v_xor_b32_e32 v108, 0x80000000, v103
	v_cndmask_b32_e32 v105, v118, v104, vcc
	v_cmp_gt_f64_e32 vcc, 0, v[119:120]
	v_mov_b32_e32 v104, v117
	v_cndmask_b32_e32 v107, v120, v106, vcc
	v_cmp_gt_f64_e32 vcc, 0, v[100:101]
	v_mov_b32_e32 v106, v119
	v_add_f64 v[104:105], v[104:105], v[106:107]
	v_xor_b32_e32 v106, 0x80000000, v101
	v_cndmask_b32_e32 v107, v101, v106, vcc
	v_cmp_gt_f64_e32 vcc, 0, v[102:103]
	v_mov_b32_e32 v106, v100
	v_cndmask_b32_e32 v109, v103, v108, vcc
	v_mov_b32_e32 v108, v102
	v_add_f64 v[106:107], v[106:107], v[108:109]
	v_cmp_lt_f64_e32 vcc, v[104:105], v[106:107]
	v_cndmask_b32_e32 v117, v117, v100, vcc
	v_mov_b32_e32 v100, s0
	s_add_i32 s0, s0, 1
	v_cndmask_b32_e32 v118, v118, v101, vcc
	v_cndmask_b32_e32 v120, v120, v103, vcc
	;; [unrolled: 1-line block ×4, first 2 shown]
	s_cmp_lg_u32 s3, s0
	s_cbranch_scc1 .LBB84_43
.LBB84_44:
	s_waitcnt lgkmcnt(0)
	v_cmp_eq_f64_e32 vcc, 0, v[117:118]
	v_cmp_eq_f64_e64 s[0:1], 0, v[119:120]
	s_and_b64 s[0:1], vcc, s[0:1]
	s_and_saveexec_b64 s[18:19], s[0:1]
	s_xor_b64 s[0:1], exec, s[18:19]
; %bb.45:
	v_cmp_ne_u32_e32 vcc, 0, v95
	v_cndmask_b32_e32 v95, 3, v95, vcc
; %bb.46:
	s_andn2_saveexec_b64 s[0:1], s[0:1]
	s_cbranch_execz .LBB84_52
; %bb.47:
	v_cmp_ngt_f64_e64 s[18:19], |v[117:118]|, |v[119:120]|
	s_and_saveexec_b64 s[20:21], s[18:19]
	s_xor_b64 s[18:19], exec, s[20:21]
	s_cbranch_execz .LBB84_49
; %bb.48:
	v_div_scale_f64 v[100:101], s[20:21], v[119:120], v[119:120], v[117:118]
	v_rcp_f64_e32 v[102:103], v[100:101]
	v_fma_f64 v[104:105], -v[100:101], v[102:103], 1.0
	v_fma_f64 v[102:103], v[102:103], v[104:105], v[102:103]
	v_div_scale_f64 v[104:105], vcc, v[117:118], v[119:120], v[117:118]
	v_fma_f64 v[106:107], -v[100:101], v[102:103], 1.0
	v_fma_f64 v[102:103], v[102:103], v[106:107], v[102:103]
	v_mul_f64 v[106:107], v[104:105], v[102:103]
	v_fma_f64 v[100:101], -v[100:101], v[106:107], v[104:105]
	v_div_fmas_f64 v[100:101], v[100:101], v[102:103], v[106:107]
	v_div_fixup_f64 v[100:101], v[100:101], v[119:120], v[117:118]
	v_fma_f64 v[102:103], v[117:118], v[100:101], v[119:120]
	v_mov_b32_e32 v120, v114
	v_mov_b32_e32 v119, v113
	;; [unrolled: 1-line block ×4, first 2 shown]
	v_div_scale_f64 v[104:105], s[20:21], v[102:103], v[102:103], 1.0
	v_div_scale_f64 v[110:111], vcc, 1.0, v[102:103], 1.0
	v_rcp_f64_e32 v[106:107], v[104:105]
	v_fma_f64 v[108:109], -v[104:105], v[106:107], 1.0
	v_fma_f64 v[106:107], v[106:107], v[108:109], v[106:107]
	v_fma_f64 v[108:109], -v[104:105], v[106:107], 1.0
	v_fma_f64 v[106:107], v[106:107], v[108:109], v[106:107]
	v_mul_f64 v[108:109], v[110:111], v[106:107]
	v_fma_f64 v[104:105], -v[104:105], v[108:109], v[110:111]
	v_mov_b32_e32 v111, v117
	v_mov_b32_e32 v112, v118
	;; [unrolled: 1-line block ×4, first 2 shown]
	v_div_fmas_f64 v[104:105], v[104:105], v[106:107], v[108:109]
	v_div_fixup_f64 v[119:120], v[104:105], v[102:103], 1.0
	v_mul_f64 v[117:118], v[100:101], v[119:120]
	v_xor_b32_e32 v120, 0x80000000, v120
.LBB84_49:
	s_andn2_saveexec_b64 s[18:19], s[18:19]
	s_cbranch_execz .LBB84_51
; %bb.50:
	v_div_scale_f64 v[100:101], s[20:21], v[117:118], v[117:118], v[119:120]
	v_rcp_f64_e32 v[102:103], v[100:101]
	v_fma_f64 v[104:105], -v[100:101], v[102:103], 1.0
	v_fma_f64 v[102:103], v[102:103], v[104:105], v[102:103]
	v_div_scale_f64 v[104:105], vcc, v[119:120], v[117:118], v[119:120]
	v_fma_f64 v[106:107], -v[100:101], v[102:103], 1.0
	v_fma_f64 v[102:103], v[102:103], v[106:107], v[102:103]
	v_mul_f64 v[106:107], v[104:105], v[102:103]
	v_fma_f64 v[100:101], -v[100:101], v[106:107], v[104:105]
	v_div_fmas_f64 v[100:101], v[100:101], v[102:103], v[106:107]
	v_div_fixup_f64 v[100:101], v[100:101], v[117:118], v[119:120]
	v_fma_f64 v[102:103], v[119:120], v[100:101], v[117:118]
	v_mov_b32_e32 v120, v114
	v_mov_b32_e32 v119, v113
	;; [unrolled: 1-line block ×4, first 2 shown]
	v_div_scale_f64 v[104:105], s[20:21], v[102:103], v[102:103], 1.0
	v_div_scale_f64 v[110:111], vcc, 1.0, v[102:103], 1.0
	v_rcp_f64_e32 v[106:107], v[104:105]
	v_fma_f64 v[108:109], -v[104:105], v[106:107], 1.0
	v_fma_f64 v[106:107], v[106:107], v[108:109], v[106:107]
	v_fma_f64 v[108:109], -v[104:105], v[106:107], 1.0
	v_fma_f64 v[106:107], v[106:107], v[108:109], v[106:107]
	v_mul_f64 v[108:109], v[110:111], v[106:107]
	v_fma_f64 v[104:105], -v[104:105], v[108:109], v[110:111]
	v_mov_b32_e32 v111, v117
	v_mov_b32_e32 v112, v118
	;; [unrolled: 1-line block ×4, first 2 shown]
	v_div_fmas_f64 v[104:105], v[104:105], v[106:107], v[108:109]
	v_div_fixup_f64 v[117:118], v[104:105], v[102:103], 1.0
	v_mul_f64 v[119:120], v[100:101], -v[117:118]
.LBB84_51:
	s_or_b64 exec, exec, s[18:19]
.LBB84_52:
	s_or_b64 exec, exec, s[0:1]
	v_cmp_ne_u32_e32 vcc, v96, v97
	s_and_saveexec_b64 s[0:1], vcc
	s_xor_b64 s[0:1], exec, s[0:1]
	s_cbranch_execz .LBB84_58
; %bb.53:
	v_cmp_eq_u32_e32 vcc, 2, v96
	s_and_saveexec_b64 s[18:19], vcc
	s_cbranch_execz .LBB84_57
; %bb.54:
	v_cmp_ne_u32_e32 vcc, 2, v97
	s_xor_b64 s[20:21], s[6:7], -1
	s_and_b64 s[22:23], s[20:21], vcc
	s_and_saveexec_b64 s[20:21], s[22:23]
	s_cbranch_execz .LBB84_56
; %bb.55:
	v_mov_b32_e32 v85, v89
	v_mov_b32_e32 v86, v90
	;; [unrolled: 1-line block ×4, first 2 shown]
	buffer_load_dword v89, off, s[24:27], 0 offset:272 ; 4-byte Folded Reload
	buffer_load_dword v90, off, s[24:27], 0 offset:276 ; 4-byte Folded Reload
	v_ashrrev_i32_e32 v98, 31, v97
	v_lshlrev_b64 v[100:101], 2, v[97:98]
	s_waitcnt vmcnt(1)
	v_add_co_u32_e32 v100, vcc, v89, v100
	s_waitcnt vmcnt(0)
	v_addc_co_u32_e32 v101, vcc, v90, v101, vcc
	global_load_dword v0, v[100:101], off
	global_load_dword v96, v[89:90], off offset:8
	s_waitcnt vmcnt(1)
	global_store_dword v[89:90], v0, off offset:8
	v_mov_b32_e32 v92, v88
	v_mov_b32_e32 v91, v87
	;; [unrolled: 1-line block ×4, first 2 shown]
	s_waitcnt vmcnt(1)
	global_store_dword v[100:101], v96, off
.LBB84_56:
	s_or_b64 exec, exec, s[20:21]
	v_mov_b32_e32 v96, v97
	v_mov_b32_e32 v0, v97
.LBB84_57:
	s_or_b64 exec, exec, s[18:19]
.LBB84_58:
	s_andn2_saveexec_b64 s[0:1], s[0:1]
	s_cbranch_execz .LBB84_60
; %bb.59:
	buffer_load_dword v85, off, s[24:27], 0 offset:240 ; 4-byte Folded Reload
	buffer_load_dword v86, off, s[24:27], 0 offset:244 ; 4-byte Folded Reload
	;; [unrolled: 1-line block ×4, first 2 shown]
	v_mov_b32_e32 v96, 2
	s_waitcnt vmcnt(0)
	ds_write2_b64 v94, v[85:86], v[87:88] offset0:6 offset1:7
	buffer_load_dword v85, off, s[24:27], 0 offset:224 ; 4-byte Folded Reload
	buffer_load_dword v86, off, s[24:27], 0 offset:228 ; 4-byte Folded Reload
	buffer_load_dword v87, off, s[24:27], 0 offset:232 ; 4-byte Folded Reload
	buffer_load_dword v88, off, s[24:27], 0 offset:236 ; 4-byte Folded Reload
	s_waitcnt vmcnt(0)
	ds_write2_b64 v94, v[85:86], v[87:88] offset0:8 offset1:9
	buffer_load_dword v85, off, s[24:27], 0 offset:208 ; 4-byte Folded Reload
	buffer_load_dword v86, off, s[24:27], 0 offset:212 ; 4-byte Folded Reload
	buffer_load_dword v87, off, s[24:27], 0 offset:216 ; 4-byte Folded Reload
	buffer_load_dword v88, off, s[24:27], 0 offset:220 ; 4-byte Folded Reload
	;; [unrolled: 6-line block ×14, first 2 shown]
	s_waitcnt vmcnt(0)
	ds_write2_b64 v94, v[85:86], v[87:88] offset0:34 offset1:35
	ds_write2_b64 v94, v[89:90], v[91:92] offset0:36 offset1:37
	;; [unrolled: 1-line block ×3, first 2 shown]
	buffer_load_dword v85, off, s[24:27], 0 ; 4-byte Folded Reload
	buffer_load_dword v86, off, s[24:27], 0 offset:4 ; 4-byte Folded Reload
	buffer_load_dword v87, off, s[24:27], 0 offset:8 ; 4-byte Folded Reload
	buffer_load_dword v88, off, s[24:27], 0 offset:12 ; 4-byte Folded Reload
	s_waitcnt vmcnt(0)
	ds_write2_b64 v94, v[85:86], v[87:88] offset0:40 offset1:41
	ds_write2_b64 v94, v[81:82], v[83:84] offset0:42 offset1:43
	ds_write2_b64 v94, v[77:78], v[79:80] offset0:44 offset1:45
	ds_write2_b64 v94, v[73:74], v[75:76] offset0:46 offset1:47
	ds_write2_b64 v94, v[69:70], v[71:72] offset0:48 offset1:49
	ds_write2_b64 v94, v[65:66], v[67:68] offset0:50 offset1:51
	ds_write2_b64 v94, v[61:62], v[63:64] offset0:52 offset1:53
	ds_write2_b64 v94, v[57:58], v[59:60] offset0:54 offset1:55
	ds_write2_b64 v94, v[53:54], v[55:56] offset0:56 offset1:57
	ds_write2_b64 v94, v[49:50], v[51:52] offset0:58 offset1:59
	ds_write2_b64 v94, v[45:46], v[47:48] offset0:60 offset1:61
	ds_write2_b64 v94, v[41:42], v[43:44] offset0:62 offset1:63
	ds_write2_b64 v94, v[37:38], v[39:40] offset0:64 offset1:65
	ds_write2_b64 v94, v[33:34], v[35:36] offset0:66 offset1:67
	ds_write2_b64 v94, v[29:30], v[31:32] offset0:68 offset1:69
	ds_write2_b64 v94, v[25:26], v[27:28] offset0:70 offset1:71
	ds_write2_b64 v94, v[21:22], v[23:24] offset0:72 offset1:73
	ds_write2_b64 v94, v[17:18], v[19:20] offset0:74 offset1:75
	ds_write2_b64 v94, v[13:14], v[15:16] offset0:76 offset1:77
	ds_write2_b64 v94, v[9:10], v[11:12] offset0:78 offset1:79
	ds_write2_b64 v94, v[5:6], v[7:8] offset0:80 offset1:81
	ds_write2_b64 v94, v[1:2], v[3:4] offset0:82 offset1:83
	ds_write2_b64 v94, v[121:122], v[123:124] offset0:84 offset1:85
.LBB84_60:
	s_or_b64 exec, exec, s[0:1]
	v_cmp_lt_i32_e32 vcc, 2, v96
	s_waitcnt vmcnt(0) lgkmcnt(0)
	s_barrier
	s_and_saveexec_b64 s[0:1], vcc
	s_cbranch_execz .LBB84_62
; %bb.61:
	buffer_load_dword v102, off, s[24:27], 0 offset:256 ; 4-byte Folded Reload
	buffer_load_dword v103, off, s[24:27], 0 offset:260 ; 4-byte Folded Reload
	;; [unrolled: 1-line block ×4, first 2 shown]
	s_waitcnt vmcnt(0)
	v_mul_f64 v[97:98], v[119:120], v[104:105]
	v_fma_f64 v[125:126], v[117:118], v[102:103], -v[97:98]
	v_mul_f64 v[97:98], v[117:118], v[104:105]
	v_fma_f64 v[104:105], v[119:120], v[102:103], v[97:98]
	ds_read2_b64 v[100:103], v94 offset0:6 offset1:7
	buffer_load_dword v85, off, s[24:27], 0 offset:240 ; 4-byte Folded Reload
	buffer_load_dword v86, off, s[24:27], 0 offset:244 ; 4-byte Folded Reload
	buffer_load_dword v87, off, s[24:27], 0 offset:248 ; 4-byte Folded Reload
	buffer_load_dword v88, off, s[24:27], 0 offset:252 ; 4-byte Folded Reload
	s_waitcnt lgkmcnt(0)
	v_mul_f64 v[97:98], v[102:103], v[104:105]
	v_fma_f64 v[97:98], v[100:101], v[125:126], -v[97:98]
	v_mul_f64 v[100:101], v[100:101], v[104:105]
	v_fma_f64 v[100:101], v[102:103], v[125:126], v[100:101]
	s_waitcnt vmcnt(2)
	v_add_f64 v[85:86], v[85:86], -v[97:98]
	s_waitcnt vmcnt(0)
	v_add_f64 v[87:88], v[87:88], -v[100:101]
	buffer_store_dword v85, off, s[24:27], 0 offset:240 ; 4-byte Folded Spill
	s_nop 0
	buffer_store_dword v86, off, s[24:27], 0 offset:244 ; 4-byte Folded Spill
	buffer_store_dword v87, off, s[24:27], 0 offset:248 ; 4-byte Folded Spill
	buffer_store_dword v88, off, s[24:27], 0 offset:252 ; 4-byte Folded Spill
	ds_read2_b64 v[100:103], v94 offset0:8 offset1:9
	buffer_load_dword v85, off, s[24:27], 0 offset:224 ; 4-byte Folded Reload
	buffer_load_dword v86, off, s[24:27], 0 offset:228 ; 4-byte Folded Reload
	buffer_load_dword v87, off, s[24:27], 0 offset:232 ; 4-byte Folded Reload
	buffer_load_dword v88, off, s[24:27], 0 offset:236 ; 4-byte Folded Reload
	s_waitcnt lgkmcnt(0)
	v_mul_f64 v[97:98], v[102:103], v[104:105]
	v_fma_f64 v[97:98], v[100:101], v[125:126], -v[97:98]
	v_mul_f64 v[100:101], v[100:101], v[104:105]
	v_fma_f64 v[100:101], v[102:103], v[125:126], v[100:101]
	s_waitcnt vmcnt(2)
	v_add_f64 v[85:86], v[85:86], -v[97:98]
	s_waitcnt vmcnt(0)
	v_add_f64 v[87:88], v[87:88], -v[100:101]
	buffer_store_dword v85, off, s[24:27], 0 offset:224 ; 4-byte Folded Spill
	s_nop 0
	buffer_store_dword v86, off, s[24:27], 0 offset:228 ; 4-byte Folded Spill
	buffer_store_dword v87, off, s[24:27], 0 offset:232 ; 4-byte Folded Spill
	buffer_store_dword v88, off, s[24:27], 0 offset:236 ; 4-byte Folded Spill
	;; [unrolled: 19-line block ×15, first 2 shown]
	ds_read2_b64 v[100:103], v94 offset0:36 offset1:37
	s_waitcnt lgkmcnt(0)
	v_mul_f64 v[97:98], v[102:103], v[104:105]
	v_fma_f64 v[97:98], v[100:101], v[125:126], -v[97:98]
	v_mul_f64 v[100:101], v[100:101], v[104:105]
	v_add_f64 v[89:90], v[89:90], -v[97:98]
	v_fma_f64 v[100:101], v[102:103], v[125:126], v[100:101]
	v_add_f64 v[91:92], v[91:92], -v[100:101]
	ds_read2_b64 v[100:103], v94 offset0:38 offset1:39
	s_waitcnt lgkmcnt(0)
	v_mul_f64 v[97:98], v[102:103], v[104:105]
	v_fma_f64 v[97:98], v[100:101], v[125:126], -v[97:98]
	v_mul_f64 v[100:101], v[100:101], v[104:105]
	v_add_f64 v[111:112], v[111:112], -v[97:98]
	v_fma_f64 v[100:101], v[102:103], v[125:126], v[100:101]
	v_add_f64 v[113:114], v[113:114], -v[100:101]
	ds_read2_b64 v[100:103], v94 offset0:40 offset1:41
	buffer_load_dword v85, off, s[24:27], 0 ; 4-byte Folded Reload
	buffer_load_dword v86, off, s[24:27], 0 offset:4 ; 4-byte Folded Reload
	buffer_load_dword v87, off, s[24:27], 0 offset:8 ; 4-byte Folded Reload
	;; [unrolled: 1-line block ×3, first 2 shown]
	s_waitcnt lgkmcnt(0)
	v_mul_f64 v[97:98], v[102:103], v[104:105]
	v_fma_f64 v[97:98], v[100:101], v[125:126], -v[97:98]
	v_mul_f64 v[100:101], v[100:101], v[104:105]
	v_fma_f64 v[100:101], v[102:103], v[125:126], v[100:101]
	s_waitcnt vmcnt(2)
	v_add_f64 v[85:86], v[85:86], -v[97:98]
	s_waitcnt vmcnt(0)
	v_add_f64 v[87:88], v[87:88], -v[100:101]
	buffer_store_dword v85, off, s[24:27], 0 ; 4-byte Folded Spill
	s_nop 0
	buffer_store_dword v86, off, s[24:27], 0 offset:4 ; 4-byte Folded Spill
	buffer_store_dword v87, off, s[24:27], 0 offset:8 ; 4-byte Folded Spill
	;; [unrolled: 1-line block ×3, first 2 shown]
	ds_read2_b64 v[100:103], v94 offset0:42 offset1:43
	s_waitcnt lgkmcnt(0)
	v_mul_f64 v[97:98], v[102:103], v[104:105]
	v_fma_f64 v[97:98], v[100:101], v[125:126], -v[97:98]
	v_mul_f64 v[100:101], v[100:101], v[104:105]
	v_add_f64 v[81:82], v[81:82], -v[97:98]
	v_fma_f64 v[100:101], v[102:103], v[125:126], v[100:101]
	v_add_f64 v[83:84], v[83:84], -v[100:101]
	ds_read2_b64 v[100:103], v94 offset0:44 offset1:45
	s_waitcnt lgkmcnt(0)
	v_mul_f64 v[97:98], v[102:103], v[104:105]
	v_fma_f64 v[97:98], v[100:101], v[125:126], -v[97:98]
	v_mul_f64 v[100:101], v[100:101], v[104:105]
	v_add_f64 v[77:78], v[77:78], -v[97:98]
	v_fma_f64 v[100:101], v[102:103], v[125:126], v[100:101]
	v_add_f64 v[79:80], v[79:80], -v[100:101]
	;; [unrolled: 8-line block ×21, first 2 shown]
	ds_read2_b64 v[100:103], v94 offset0:84 offset1:85
	s_waitcnt lgkmcnt(0)
	v_mul_f64 v[97:98], v[102:103], v[104:105]
	v_fma_f64 v[97:98], v[100:101], v[125:126], -v[97:98]
	v_mul_f64 v[100:101], v[100:101], v[104:105]
	v_add_f64 v[121:122], v[121:122], -v[97:98]
	v_fma_f64 v[100:101], v[102:103], v[125:126], v[100:101]
	v_mov_b32_e32 v102, v125
	v_mov_b32_e32 v103, v126
	buffer_store_dword v102, off, s[24:27], 0 offset:256 ; 4-byte Folded Spill
	s_nop 0
	buffer_store_dword v103, off, s[24:27], 0 offset:260 ; 4-byte Folded Spill
	buffer_store_dword v104, off, s[24:27], 0 offset:264 ; 4-byte Folded Spill
	;; [unrolled: 1-line block ×3, first 2 shown]
	v_add_f64 v[123:124], v[123:124], -v[100:101]
.LBB84_62:
	s_or_b64 exec, exec, s[0:1]
	s_waitcnt vmcnt(0)
	s_barrier
	buffer_load_dword v85, off, s[24:27], 0 offset:240 ; 4-byte Folded Reload
	buffer_load_dword v86, off, s[24:27], 0 offset:244 ; 4-byte Folded Reload
	;; [unrolled: 1-line block ×4, first 2 shown]
	v_lshl_add_u32 v97, v96, 4, v94
	s_mov_b32 s0, 4
	s_cmp_lt_i32 s3, 5
	s_waitcnt vmcnt(0)
	ds_write2_b64 v97, v[85:86], v[87:88] offset1:1
	s_waitcnt lgkmcnt(0)
	s_barrier
	ds_read2_b64 v[117:120], v94 offset0:6 offset1:7
	v_mov_b32_e32 v97, 3
	s_cbranch_scc1 .LBB84_65
; %bb.63:
	v_add3_u32 v98, v99, 0, 64
	v_mov_b32_e32 v97, 3
.LBB84_64:                              ; =>This Inner Loop Header: Depth=1
	s_waitcnt lgkmcnt(0)
	v_cmp_gt_f64_e32 vcc, 0, v[117:118]
	v_xor_b32_e32 v103, 0x80000000, v118
	ds_read2_b64 v[99:102], v98 offset1:1
	v_xor_b32_e32 v105, 0x80000000, v120
	v_add_u32_e32 v98, 16, v98
	s_waitcnt lgkmcnt(0)
	v_xor_b32_e32 v107, 0x80000000, v102
	v_cndmask_b32_e32 v104, v118, v103, vcc
	v_cmp_gt_f64_e32 vcc, 0, v[119:120]
	v_mov_b32_e32 v103, v117
	v_cndmask_b32_e32 v106, v120, v105, vcc
	v_cmp_gt_f64_e32 vcc, 0, v[99:100]
	v_mov_b32_e32 v105, v119
	v_add_f64 v[103:104], v[103:104], v[105:106]
	v_xor_b32_e32 v105, 0x80000000, v100
	v_cndmask_b32_e32 v106, v100, v105, vcc
	v_cmp_gt_f64_e32 vcc, 0, v[101:102]
	v_mov_b32_e32 v105, v99
	v_cndmask_b32_e32 v108, v102, v107, vcc
	v_mov_b32_e32 v107, v101
	v_add_f64 v[105:106], v[105:106], v[107:108]
	v_cmp_lt_f64_e32 vcc, v[103:104], v[105:106]
	v_cndmask_b32_e32 v117, v117, v99, vcc
	v_mov_b32_e32 v99, s0
	s_add_i32 s0, s0, 1
	v_cndmask_b32_e32 v118, v118, v100, vcc
	v_cndmask_b32_e32 v120, v120, v102, vcc
	;; [unrolled: 1-line block ×4, first 2 shown]
	s_cmp_lg_u32 s3, s0
	s_cbranch_scc1 .LBB84_64
.LBB84_65:
	s_waitcnt lgkmcnt(0)
	v_cmp_eq_f64_e32 vcc, 0, v[117:118]
	v_cmp_eq_f64_e64 s[0:1], 0, v[119:120]
	s_and_b64 s[0:1], vcc, s[0:1]
	s_and_saveexec_b64 s[18:19], s[0:1]
	s_xor_b64 s[0:1], exec, s[18:19]
; %bb.66:
	v_cmp_ne_u32_e32 vcc, 0, v95
	v_cndmask_b32_e32 v95, 4, v95, vcc
; %bb.67:
	s_andn2_saveexec_b64 s[0:1], s[0:1]
	s_cbranch_execz .LBB84_73
; %bb.68:
	v_cmp_ngt_f64_e64 s[18:19], |v[117:118]|, |v[119:120]|
	s_and_saveexec_b64 s[20:21], s[18:19]
	s_xor_b64 s[18:19], exec, s[20:21]
	s_cbranch_execz .LBB84_70
; %bb.69:
	v_div_scale_f64 v[98:99], s[20:21], v[119:120], v[119:120], v[117:118]
	v_rcp_f64_e32 v[100:101], v[98:99]
	v_fma_f64 v[102:103], -v[98:99], v[100:101], 1.0
	v_fma_f64 v[100:101], v[100:101], v[102:103], v[100:101]
	v_div_scale_f64 v[102:103], vcc, v[117:118], v[119:120], v[117:118]
	v_fma_f64 v[104:105], -v[98:99], v[100:101], 1.0
	v_fma_f64 v[100:101], v[100:101], v[104:105], v[100:101]
	v_mul_f64 v[104:105], v[102:103], v[100:101]
	v_fma_f64 v[98:99], -v[98:99], v[104:105], v[102:103]
	v_div_fmas_f64 v[98:99], v[98:99], v[100:101], v[104:105]
	v_div_fixup_f64 v[98:99], v[98:99], v[119:120], v[117:118]
	v_fma_f64 v[100:101], v[117:118], v[98:99], v[119:120]
	v_div_scale_f64 v[102:103], s[20:21], v[100:101], v[100:101], 1.0
	v_div_scale_f64 v[108:109], vcc, 1.0, v[100:101], 1.0
	v_rcp_f64_e32 v[104:105], v[102:103]
	v_fma_f64 v[106:107], -v[102:103], v[104:105], 1.0
	v_fma_f64 v[104:105], v[104:105], v[106:107], v[104:105]
	v_fma_f64 v[106:107], -v[102:103], v[104:105], 1.0
	v_fma_f64 v[104:105], v[104:105], v[106:107], v[104:105]
	v_mul_f64 v[106:107], v[108:109], v[104:105]
	v_fma_f64 v[102:103], -v[102:103], v[106:107], v[108:109]
	v_div_fmas_f64 v[102:103], v[102:103], v[104:105], v[106:107]
	v_div_fixup_f64 v[119:120], v[102:103], v[100:101], 1.0
	v_mul_f64 v[117:118], v[98:99], v[119:120]
	v_xor_b32_e32 v120, 0x80000000, v120
.LBB84_70:
	s_andn2_saveexec_b64 s[18:19], s[18:19]
	s_cbranch_execz .LBB84_72
; %bb.71:
	v_div_scale_f64 v[98:99], s[20:21], v[117:118], v[117:118], v[119:120]
	v_rcp_f64_e32 v[100:101], v[98:99]
	v_fma_f64 v[102:103], -v[98:99], v[100:101], 1.0
	v_fma_f64 v[100:101], v[100:101], v[102:103], v[100:101]
	v_div_scale_f64 v[102:103], vcc, v[119:120], v[117:118], v[119:120]
	v_fma_f64 v[104:105], -v[98:99], v[100:101], 1.0
	v_fma_f64 v[100:101], v[100:101], v[104:105], v[100:101]
	v_mul_f64 v[104:105], v[102:103], v[100:101]
	v_fma_f64 v[98:99], -v[98:99], v[104:105], v[102:103]
	v_div_fmas_f64 v[98:99], v[98:99], v[100:101], v[104:105]
	v_div_fixup_f64 v[98:99], v[98:99], v[117:118], v[119:120]
	v_fma_f64 v[100:101], v[119:120], v[98:99], v[117:118]
	v_div_scale_f64 v[102:103], s[20:21], v[100:101], v[100:101], 1.0
	v_div_scale_f64 v[108:109], vcc, 1.0, v[100:101], 1.0
	v_rcp_f64_e32 v[104:105], v[102:103]
	v_fma_f64 v[106:107], -v[102:103], v[104:105], 1.0
	v_fma_f64 v[104:105], v[104:105], v[106:107], v[104:105]
	v_fma_f64 v[106:107], -v[102:103], v[104:105], 1.0
	v_fma_f64 v[104:105], v[104:105], v[106:107], v[104:105]
	v_mul_f64 v[106:107], v[108:109], v[104:105]
	v_fma_f64 v[102:103], -v[102:103], v[106:107], v[108:109]
	v_div_fmas_f64 v[102:103], v[102:103], v[104:105], v[106:107]
	v_div_fixup_f64 v[117:118], v[102:103], v[100:101], 1.0
	v_mul_f64 v[119:120], v[98:99], -v[117:118]
.LBB84_72:
	s_or_b64 exec, exec, s[18:19]
.LBB84_73:
	s_or_b64 exec, exec, s[0:1]
	v_cmp_ne_u32_e32 vcc, v96, v97
	s_and_saveexec_b64 s[0:1], vcc
	s_xor_b64 s[0:1], exec, s[0:1]
	s_cbranch_execz .LBB84_79
; %bb.74:
	v_cmp_eq_u32_e32 vcc, 3, v96
	s_and_saveexec_b64 s[18:19], vcc
	s_cbranch_execz .LBB84_78
; %bb.75:
	v_cmp_ne_u32_e32 vcc, 3, v97
	s_xor_b64 s[20:21], s[6:7], -1
	s_and_b64 s[22:23], s[20:21], vcc
	s_and_saveexec_b64 s[20:21], s[22:23]
	s_cbranch_execz .LBB84_77
; %bb.76:
	v_mov_b32_e32 v85, v89
	v_mov_b32_e32 v86, v90
	;; [unrolled: 1-line block ×4, first 2 shown]
	buffer_load_dword v89, off, s[24:27], 0 offset:272 ; 4-byte Folded Reload
	buffer_load_dword v90, off, s[24:27], 0 offset:276 ; 4-byte Folded Reload
	v_ashrrev_i32_e32 v98, 31, v97
	v_lshlrev_b64 v[98:99], 2, v[97:98]
	s_waitcnt vmcnt(1)
	v_add_co_u32_e32 v98, vcc, v89, v98
	s_waitcnt vmcnt(0)
	v_addc_co_u32_e32 v99, vcc, v90, v99, vcc
	global_load_dword v0, v[98:99], off
	global_load_dword v96, v[89:90], off offset:12
	s_waitcnt vmcnt(1)
	global_store_dword v[89:90], v0, off offset:12
	v_mov_b32_e32 v92, v88
	v_mov_b32_e32 v91, v87
	;; [unrolled: 1-line block ×4, first 2 shown]
	s_waitcnt vmcnt(1)
	global_store_dword v[98:99], v96, off
.LBB84_77:
	s_or_b64 exec, exec, s[20:21]
	v_mov_b32_e32 v96, v97
	v_mov_b32_e32 v0, v97
.LBB84_78:
	s_or_b64 exec, exec, s[18:19]
.LBB84_79:
	s_andn2_saveexec_b64 s[0:1], s[0:1]
	s_cbranch_execz .LBB84_81
; %bb.80:
	buffer_load_dword v85, off, s[24:27], 0 offset:224 ; 4-byte Folded Reload
	buffer_load_dword v86, off, s[24:27], 0 offset:228 ; 4-byte Folded Reload
	;; [unrolled: 1-line block ×4, first 2 shown]
	v_mov_b32_e32 v96, 3
	s_waitcnt vmcnt(0)
	ds_write2_b64 v94, v[85:86], v[87:88] offset0:8 offset1:9
	buffer_load_dword v85, off, s[24:27], 0 offset:208 ; 4-byte Folded Reload
	buffer_load_dword v86, off, s[24:27], 0 offset:212 ; 4-byte Folded Reload
	buffer_load_dword v87, off, s[24:27], 0 offset:216 ; 4-byte Folded Reload
	buffer_load_dword v88, off, s[24:27], 0 offset:220 ; 4-byte Folded Reload
	s_waitcnt vmcnt(0)
	ds_write2_b64 v94, v[85:86], v[87:88] offset0:10 offset1:11
	buffer_load_dword v85, off, s[24:27], 0 offset:192 ; 4-byte Folded Reload
	buffer_load_dword v86, off, s[24:27], 0 offset:196 ; 4-byte Folded Reload
	buffer_load_dword v87, off, s[24:27], 0 offset:200 ; 4-byte Folded Reload
	buffer_load_dword v88, off, s[24:27], 0 offset:204 ; 4-byte Folded Reload
	;; [unrolled: 6-line block ×13, first 2 shown]
	s_waitcnt vmcnt(0)
	ds_write2_b64 v94, v[85:86], v[87:88] offset0:34 offset1:35
	ds_write2_b64 v94, v[89:90], v[91:92] offset0:36 offset1:37
	;; [unrolled: 1-line block ×3, first 2 shown]
	buffer_load_dword v85, off, s[24:27], 0 ; 4-byte Folded Reload
	buffer_load_dword v86, off, s[24:27], 0 offset:4 ; 4-byte Folded Reload
	buffer_load_dword v87, off, s[24:27], 0 offset:8 ; 4-byte Folded Reload
	;; [unrolled: 1-line block ×3, first 2 shown]
	s_waitcnt vmcnt(0)
	ds_write2_b64 v94, v[85:86], v[87:88] offset0:40 offset1:41
	ds_write2_b64 v94, v[81:82], v[83:84] offset0:42 offset1:43
	ds_write2_b64 v94, v[77:78], v[79:80] offset0:44 offset1:45
	ds_write2_b64 v94, v[73:74], v[75:76] offset0:46 offset1:47
	ds_write2_b64 v94, v[69:70], v[71:72] offset0:48 offset1:49
	ds_write2_b64 v94, v[65:66], v[67:68] offset0:50 offset1:51
	ds_write2_b64 v94, v[61:62], v[63:64] offset0:52 offset1:53
	ds_write2_b64 v94, v[57:58], v[59:60] offset0:54 offset1:55
	ds_write2_b64 v94, v[53:54], v[55:56] offset0:56 offset1:57
	ds_write2_b64 v94, v[49:50], v[51:52] offset0:58 offset1:59
	ds_write2_b64 v94, v[45:46], v[47:48] offset0:60 offset1:61
	ds_write2_b64 v94, v[41:42], v[43:44] offset0:62 offset1:63
	ds_write2_b64 v94, v[37:38], v[39:40] offset0:64 offset1:65
	ds_write2_b64 v94, v[33:34], v[35:36] offset0:66 offset1:67
	ds_write2_b64 v94, v[29:30], v[31:32] offset0:68 offset1:69
	ds_write2_b64 v94, v[25:26], v[27:28] offset0:70 offset1:71
	ds_write2_b64 v94, v[21:22], v[23:24] offset0:72 offset1:73
	ds_write2_b64 v94, v[17:18], v[19:20] offset0:74 offset1:75
	ds_write2_b64 v94, v[13:14], v[15:16] offset0:76 offset1:77
	ds_write2_b64 v94, v[9:10], v[11:12] offset0:78 offset1:79
	ds_write2_b64 v94, v[5:6], v[7:8] offset0:80 offset1:81
	ds_write2_b64 v94, v[1:2], v[3:4] offset0:82 offset1:83
	ds_write2_b64 v94, v[121:122], v[123:124] offset0:84 offset1:85
.LBB84_81:
	s_or_b64 exec, exec, s[0:1]
	v_cmp_lt_i32_e32 vcc, 3, v96
	s_waitcnt vmcnt(0) lgkmcnt(0)
	s_barrier
	s_and_saveexec_b64 s[0:1], vcc
	s_cbranch_execz .LBB84_83
; %bb.82:
	buffer_load_dword v101, off, s[24:27], 0 offset:240 ; 4-byte Folded Reload
	buffer_load_dword v102, off, s[24:27], 0 offset:244 ; 4-byte Folded Reload
	;; [unrolled: 1-line block ×4, first 2 shown]
	s_waitcnt vmcnt(0)
	v_mul_f64 v[97:98], v[119:120], v[103:104]
	v_fma_f64 v[125:126], v[117:118], v[101:102], -v[97:98]
	v_mul_f64 v[97:98], v[117:118], v[103:104]
	v_fma_f64 v[103:104], v[119:120], v[101:102], v[97:98]
	ds_read2_b64 v[97:100], v94 offset0:8 offset1:9
	buffer_load_dword v85, off, s[24:27], 0 offset:224 ; 4-byte Folded Reload
	buffer_load_dword v86, off, s[24:27], 0 offset:228 ; 4-byte Folded Reload
	buffer_load_dword v87, off, s[24:27], 0 offset:232 ; 4-byte Folded Reload
	buffer_load_dword v88, off, s[24:27], 0 offset:236 ; 4-byte Folded Reload
	s_waitcnt lgkmcnt(0)
	v_mul_f64 v[101:102], v[99:100], v[103:104]
	v_fma_f64 v[101:102], v[97:98], v[125:126], -v[101:102]
	v_mul_f64 v[97:98], v[97:98], v[103:104]
	v_fma_f64 v[97:98], v[99:100], v[125:126], v[97:98]
	s_waitcnt vmcnt(2)
	v_add_f64 v[85:86], v[85:86], -v[101:102]
	s_waitcnt vmcnt(0)
	v_add_f64 v[87:88], v[87:88], -v[97:98]
	buffer_store_dword v85, off, s[24:27], 0 offset:224 ; 4-byte Folded Spill
	s_nop 0
	buffer_store_dword v86, off, s[24:27], 0 offset:228 ; 4-byte Folded Spill
	buffer_store_dword v87, off, s[24:27], 0 offset:232 ; 4-byte Folded Spill
	buffer_store_dword v88, off, s[24:27], 0 offset:236 ; 4-byte Folded Spill
	ds_read2_b64 v[97:100], v94 offset0:10 offset1:11
	buffer_load_dword v85, off, s[24:27], 0 offset:208 ; 4-byte Folded Reload
	buffer_load_dword v86, off, s[24:27], 0 offset:212 ; 4-byte Folded Reload
	buffer_load_dword v87, off, s[24:27], 0 offset:216 ; 4-byte Folded Reload
	buffer_load_dword v88, off, s[24:27], 0 offset:220 ; 4-byte Folded Reload
	s_waitcnt lgkmcnt(0)
	v_mul_f64 v[101:102], v[99:100], v[103:104]
	v_fma_f64 v[101:102], v[97:98], v[125:126], -v[101:102]
	v_mul_f64 v[97:98], v[97:98], v[103:104]
	v_fma_f64 v[97:98], v[99:100], v[125:126], v[97:98]
	s_waitcnt vmcnt(2)
	v_add_f64 v[85:86], v[85:86], -v[101:102]
	s_waitcnt vmcnt(0)
	v_add_f64 v[87:88], v[87:88], -v[97:98]
	buffer_store_dword v85, off, s[24:27], 0 offset:208 ; 4-byte Folded Spill
	s_nop 0
	buffer_store_dword v86, off, s[24:27], 0 offset:212 ; 4-byte Folded Spill
	buffer_store_dword v87, off, s[24:27], 0 offset:216 ; 4-byte Folded Spill
	buffer_store_dword v88, off, s[24:27], 0 offset:220 ; 4-byte Folded Spill
	;; [unrolled: 19-line block ×14, first 2 shown]
	ds_read2_b64 v[97:100], v94 offset0:36 offset1:37
	s_waitcnt lgkmcnt(0)
	v_mul_f64 v[101:102], v[99:100], v[103:104]
	v_fma_f64 v[101:102], v[97:98], v[125:126], -v[101:102]
	v_mul_f64 v[97:98], v[97:98], v[103:104]
	v_add_f64 v[89:90], v[89:90], -v[101:102]
	v_fma_f64 v[97:98], v[99:100], v[125:126], v[97:98]
	v_add_f64 v[91:92], v[91:92], -v[97:98]
	ds_read2_b64 v[97:100], v94 offset0:38 offset1:39
	s_waitcnt lgkmcnt(0)
	v_mul_f64 v[101:102], v[99:100], v[103:104]
	v_fma_f64 v[101:102], v[97:98], v[125:126], -v[101:102]
	v_mul_f64 v[97:98], v[97:98], v[103:104]
	v_add_f64 v[111:112], v[111:112], -v[101:102]
	v_fma_f64 v[97:98], v[99:100], v[125:126], v[97:98]
	v_add_f64 v[113:114], v[113:114], -v[97:98]
	ds_read2_b64 v[97:100], v94 offset0:40 offset1:41
	buffer_load_dword v85, off, s[24:27], 0 ; 4-byte Folded Reload
	buffer_load_dword v86, off, s[24:27], 0 offset:4 ; 4-byte Folded Reload
	buffer_load_dword v87, off, s[24:27], 0 offset:8 ; 4-byte Folded Reload
	;; [unrolled: 1-line block ×3, first 2 shown]
	s_waitcnt lgkmcnt(0)
	v_mul_f64 v[101:102], v[99:100], v[103:104]
	v_fma_f64 v[101:102], v[97:98], v[125:126], -v[101:102]
	v_mul_f64 v[97:98], v[97:98], v[103:104]
	v_fma_f64 v[97:98], v[99:100], v[125:126], v[97:98]
	s_waitcnt vmcnt(2)
	v_add_f64 v[85:86], v[85:86], -v[101:102]
	s_waitcnt vmcnt(0)
	v_add_f64 v[87:88], v[87:88], -v[97:98]
	buffer_store_dword v85, off, s[24:27], 0 ; 4-byte Folded Spill
	s_nop 0
	buffer_store_dword v86, off, s[24:27], 0 offset:4 ; 4-byte Folded Spill
	buffer_store_dword v87, off, s[24:27], 0 offset:8 ; 4-byte Folded Spill
	;; [unrolled: 1-line block ×3, first 2 shown]
	ds_read2_b64 v[97:100], v94 offset0:42 offset1:43
	s_waitcnt lgkmcnt(0)
	v_mul_f64 v[101:102], v[99:100], v[103:104]
	v_fma_f64 v[101:102], v[97:98], v[125:126], -v[101:102]
	v_mul_f64 v[97:98], v[97:98], v[103:104]
	v_add_f64 v[81:82], v[81:82], -v[101:102]
	v_fma_f64 v[97:98], v[99:100], v[125:126], v[97:98]
	v_add_f64 v[83:84], v[83:84], -v[97:98]
	ds_read2_b64 v[97:100], v94 offset0:44 offset1:45
	s_waitcnt lgkmcnt(0)
	v_mul_f64 v[101:102], v[99:100], v[103:104]
	v_fma_f64 v[101:102], v[97:98], v[125:126], -v[101:102]
	v_mul_f64 v[97:98], v[97:98], v[103:104]
	v_add_f64 v[77:78], v[77:78], -v[101:102]
	v_fma_f64 v[97:98], v[99:100], v[125:126], v[97:98]
	v_add_f64 v[79:80], v[79:80], -v[97:98]
	;; [unrolled: 8-line block ×21, first 2 shown]
	ds_read2_b64 v[97:100], v94 offset0:84 offset1:85
	s_waitcnt lgkmcnt(0)
	v_mul_f64 v[101:102], v[99:100], v[103:104]
	v_fma_f64 v[101:102], v[97:98], v[125:126], -v[101:102]
	v_mul_f64 v[97:98], v[97:98], v[103:104]
	v_add_f64 v[121:122], v[121:122], -v[101:102]
	v_fma_f64 v[97:98], v[99:100], v[125:126], v[97:98]
	v_mov_b32_e32 v101, v125
	v_mov_b32_e32 v102, v126
	buffer_store_dword v101, off, s[24:27], 0 offset:240 ; 4-byte Folded Spill
	s_nop 0
	buffer_store_dword v102, off, s[24:27], 0 offset:244 ; 4-byte Folded Spill
	buffer_store_dword v103, off, s[24:27], 0 offset:248 ; 4-byte Folded Spill
	;; [unrolled: 1-line block ×3, first 2 shown]
	v_add_f64 v[123:124], v[123:124], -v[97:98]
.LBB84_83:
	s_or_b64 exec, exec, s[0:1]
	s_waitcnt vmcnt(0)
	s_barrier
	buffer_load_dword v85, off, s[24:27], 0 offset:224 ; 4-byte Folded Reload
	buffer_load_dword v86, off, s[24:27], 0 offset:228 ; 4-byte Folded Reload
	;; [unrolled: 1-line block ×4, first 2 shown]
	v_lshl_add_u32 v97, v96, 4, v94
	s_cmp_lt_i32 s3, 6
	s_waitcnt vmcnt(0)
	ds_write2_b64 v97, v[85:86], v[87:88] offset1:1
	s_waitcnt lgkmcnt(0)
	s_barrier
	ds_read2_b64 v[117:120], v94 offset0:8 offset1:9
	v_mov_b32_e32 v97, 4
	s_cbranch_scc1 .LBB84_86
; %bb.84:
	v_mov_b32_e32 v97, 4
	v_add_u32_e32 v98, 0x50, v94
	s_mov_b32 s0, 5
.LBB84_85:                              ; =>This Inner Loop Header: Depth=1
	s_waitcnt lgkmcnt(0)
	v_cmp_gt_f64_e32 vcc, 0, v[117:118]
	v_xor_b32_e32 v103, 0x80000000, v118
	ds_read2_b64 v[99:102], v98 offset1:1
	v_xor_b32_e32 v105, 0x80000000, v120
	v_add_u32_e32 v98, 16, v98
	s_waitcnt lgkmcnt(0)
	v_xor_b32_e32 v107, 0x80000000, v102
	v_cndmask_b32_e32 v104, v118, v103, vcc
	v_cmp_gt_f64_e32 vcc, 0, v[119:120]
	v_mov_b32_e32 v103, v117
	v_cndmask_b32_e32 v106, v120, v105, vcc
	v_cmp_gt_f64_e32 vcc, 0, v[99:100]
	v_mov_b32_e32 v105, v119
	v_add_f64 v[103:104], v[103:104], v[105:106]
	v_xor_b32_e32 v105, 0x80000000, v100
	v_cndmask_b32_e32 v106, v100, v105, vcc
	v_cmp_gt_f64_e32 vcc, 0, v[101:102]
	v_mov_b32_e32 v105, v99
	v_cndmask_b32_e32 v108, v102, v107, vcc
	v_mov_b32_e32 v107, v101
	v_add_f64 v[105:106], v[105:106], v[107:108]
	v_cmp_lt_f64_e32 vcc, v[103:104], v[105:106]
	v_cndmask_b32_e32 v117, v117, v99, vcc
	v_mov_b32_e32 v99, s0
	s_add_i32 s0, s0, 1
	v_cndmask_b32_e32 v118, v118, v100, vcc
	v_cndmask_b32_e32 v120, v120, v102, vcc
	;; [unrolled: 1-line block ×4, first 2 shown]
	s_cmp_lg_u32 s3, s0
	s_cbranch_scc1 .LBB84_85
.LBB84_86:
	s_waitcnt lgkmcnt(0)
	v_cmp_eq_f64_e32 vcc, 0, v[117:118]
	v_cmp_eq_f64_e64 s[0:1], 0, v[119:120]
	s_and_b64 s[0:1], vcc, s[0:1]
	s_and_saveexec_b64 s[18:19], s[0:1]
	s_xor_b64 s[0:1], exec, s[18:19]
; %bb.87:
	v_cmp_ne_u32_e32 vcc, 0, v95
	v_cndmask_b32_e32 v95, 5, v95, vcc
; %bb.88:
	s_andn2_saveexec_b64 s[0:1], s[0:1]
	s_cbranch_execz .LBB84_94
; %bb.89:
	v_cmp_ngt_f64_e64 s[18:19], |v[117:118]|, |v[119:120]|
	s_and_saveexec_b64 s[20:21], s[18:19]
	s_xor_b64 s[18:19], exec, s[20:21]
	s_cbranch_execz .LBB84_91
; %bb.90:
	v_div_scale_f64 v[98:99], s[20:21], v[119:120], v[119:120], v[117:118]
	v_rcp_f64_e32 v[100:101], v[98:99]
	v_fma_f64 v[102:103], -v[98:99], v[100:101], 1.0
	v_fma_f64 v[100:101], v[100:101], v[102:103], v[100:101]
	v_div_scale_f64 v[102:103], vcc, v[117:118], v[119:120], v[117:118]
	v_fma_f64 v[104:105], -v[98:99], v[100:101], 1.0
	v_fma_f64 v[100:101], v[100:101], v[104:105], v[100:101]
	v_mul_f64 v[104:105], v[102:103], v[100:101]
	v_fma_f64 v[98:99], -v[98:99], v[104:105], v[102:103]
	v_div_fmas_f64 v[98:99], v[98:99], v[100:101], v[104:105]
	v_div_fixup_f64 v[98:99], v[98:99], v[119:120], v[117:118]
	v_fma_f64 v[100:101], v[117:118], v[98:99], v[119:120]
	v_div_scale_f64 v[102:103], s[20:21], v[100:101], v[100:101], 1.0
	v_div_scale_f64 v[108:109], vcc, 1.0, v[100:101], 1.0
	v_rcp_f64_e32 v[104:105], v[102:103]
	v_fma_f64 v[106:107], -v[102:103], v[104:105], 1.0
	v_fma_f64 v[104:105], v[104:105], v[106:107], v[104:105]
	v_fma_f64 v[106:107], -v[102:103], v[104:105], 1.0
	v_fma_f64 v[104:105], v[104:105], v[106:107], v[104:105]
	v_mul_f64 v[106:107], v[108:109], v[104:105]
	v_fma_f64 v[102:103], -v[102:103], v[106:107], v[108:109]
	v_div_fmas_f64 v[102:103], v[102:103], v[104:105], v[106:107]
	v_div_fixup_f64 v[119:120], v[102:103], v[100:101], 1.0
	v_mul_f64 v[117:118], v[98:99], v[119:120]
	v_xor_b32_e32 v120, 0x80000000, v120
.LBB84_91:
	s_andn2_saveexec_b64 s[18:19], s[18:19]
	s_cbranch_execz .LBB84_93
; %bb.92:
	v_div_scale_f64 v[98:99], s[20:21], v[117:118], v[117:118], v[119:120]
	v_rcp_f64_e32 v[100:101], v[98:99]
	v_fma_f64 v[102:103], -v[98:99], v[100:101], 1.0
	v_fma_f64 v[100:101], v[100:101], v[102:103], v[100:101]
	v_div_scale_f64 v[102:103], vcc, v[119:120], v[117:118], v[119:120]
	v_fma_f64 v[104:105], -v[98:99], v[100:101], 1.0
	v_fma_f64 v[100:101], v[100:101], v[104:105], v[100:101]
	v_mul_f64 v[104:105], v[102:103], v[100:101]
	v_fma_f64 v[98:99], -v[98:99], v[104:105], v[102:103]
	v_div_fmas_f64 v[98:99], v[98:99], v[100:101], v[104:105]
	v_div_fixup_f64 v[98:99], v[98:99], v[117:118], v[119:120]
	v_fma_f64 v[100:101], v[119:120], v[98:99], v[117:118]
	v_div_scale_f64 v[102:103], s[20:21], v[100:101], v[100:101], 1.0
	v_div_scale_f64 v[108:109], vcc, 1.0, v[100:101], 1.0
	v_rcp_f64_e32 v[104:105], v[102:103]
	v_fma_f64 v[106:107], -v[102:103], v[104:105], 1.0
	v_fma_f64 v[104:105], v[104:105], v[106:107], v[104:105]
	v_fma_f64 v[106:107], -v[102:103], v[104:105], 1.0
	v_fma_f64 v[104:105], v[104:105], v[106:107], v[104:105]
	v_mul_f64 v[106:107], v[108:109], v[104:105]
	v_fma_f64 v[102:103], -v[102:103], v[106:107], v[108:109]
	v_div_fmas_f64 v[102:103], v[102:103], v[104:105], v[106:107]
	v_div_fixup_f64 v[117:118], v[102:103], v[100:101], 1.0
	v_mul_f64 v[119:120], v[98:99], -v[117:118]
.LBB84_93:
	s_or_b64 exec, exec, s[18:19]
.LBB84_94:
	s_or_b64 exec, exec, s[0:1]
	v_cmp_ne_u32_e32 vcc, v96, v97
	s_and_saveexec_b64 s[0:1], vcc
	s_xor_b64 s[0:1], exec, s[0:1]
	s_cbranch_execz .LBB84_100
; %bb.95:
	v_cmp_eq_u32_e32 vcc, 4, v96
	s_and_saveexec_b64 s[18:19], vcc
	s_cbranch_execz .LBB84_99
; %bb.96:
	v_cmp_ne_u32_e32 vcc, 4, v97
	s_xor_b64 s[20:21], s[6:7], -1
	s_and_b64 s[22:23], s[20:21], vcc
	s_and_saveexec_b64 s[20:21], s[22:23]
	s_cbranch_execz .LBB84_98
; %bb.97:
	v_mov_b32_e32 v85, v89
	v_mov_b32_e32 v86, v90
	;; [unrolled: 1-line block ×4, first 2 shown]
	buffer_load_dword v89, off, s[24:27], 0 offset:272 ; 4-byte Folded Reload
	buffer_load_dword v90, off, s[24:27], 0 offset:276 ; 4-byte Folded Reload
	v_ashrrev_i32_e32 v98, 31, v97
	v_lshlrev_b64 v[98:99], 2, v[97:98]
	s_waitcnt vmcnt(1)
	v_add_co_u32_e32 v98, vcc, v89, v98
	s_waitcnt vmcnt(0)
	v_addc_co_u32_e32 v99, vcc, v90, v99, vcc
	global_load_dword v0, v[98:99], off
	global_load_dword v96, v[89:90], off offset:16
	s_waitcnt vmcnt(1)
	global_store_dword v[89:90], v0, off offset:16
	v_mov_b32_e32 v92, v88
	v_mov_b32_e32 v91, v87
	;; [unrolled: 1-line block ×4, first 2 shown]
	s_waitcnt vmcnt(1)
	global_store_dword v[98:99], v96, off
.LBB84_98:
	s_or_b64 exec, exec, s[20:21]
	v_mov_b32_e32 v96, v97
	v_mov_b32_e32 v0, v97
.LBB84_99:
	s_or_b64 exec, exec, s[18:19]
.LBB84_100:
	s_andn2_saveexec_b64 s[0:1], s[0:1]
	s_cbranch_execz .LBB84_102
; %bb.101:
	buffer_load_dword v85, off, s[24:27], 0 offset:208 ; 4-byte Folded Reload
	buffer_load_dword v86, off, s[24:27], 0 offset:212 ; 4-byte Folded Reload
	;; [unrolled: 1-line block ×4, first 2 shown]
	v_mov_b32_e32 v96, 4
	s_waitcnt vmcnt(0)
	ds_write2_b64 v94, v[85:86], v[87:88] offset0:10 offset1:11
	buffer_load_dword v85, off, s[24:27], 0 offset:192 ; 4-byte Folded Reload
	buffer_load_dword v86, off, s[24:27], 0 offset:196 ; 4-byte Folded Reload
	buffer_load_dword v87, off, s[24:27], 0 offset:200 ; 4-byte Folded Reload
	buffer_load_dword v88, off, s[24:27], 0 offset:204 ; 4-byte Folded Reload
	s_waitcnt vmcnt(0)
	ds_write2_b64 v94, v[85:86], v[87:88] offset0:12 offset1:13
	buffer_load_dword v85, off, s[24:27], 0 offset:176 ; 4-byte Folded Reload
	buffer_load_dword v86, off, s[24:27], 0 offset:180 ; 4-byte Folded Reload
	buffer_load_dword v87, off, s[24:27], 0 offset:184 ; 4-byte Folded Reload
	buffer_load_dword v88, off, s[24:27], 0 offset:188 ; 4-byte Folded Reload
	;; [unrolled: 6-line block ×12, first 2 shown]
	s_waitcnt vmcnt(0)
	ds_write2_b64 v94, v[85:86], v[87:88] offset0:34 offset1:35
	ds_write2_b64 v94, v[89:90], v[91:92] offset0:36 offset1:37
	;; [unrolled: 1-line block ×3, first 2 shown]
	buffer_load_dword v85, off, s[24:27], 0 ; 4-byte Folded Reload
	buffer_load_dword v86, off, s[24:27], 0 offset:4 ; 4-byte Folded Reload
	buffer_load_dword v87, off, s[24:27], 0 offset:8 ; 4-byte Folded Reload
	;; [unrolled: 1-line block ×3, first 2 shown]
	s_waitcnt vmcnt(0)
	ds_write2_b64 v94, v[85:86], v[87:88] offset0:40 offset1:41
	ds_write2_b64 v94, v[81:82], v[83:84] offset0:42 offset1:43
	;; [unrolled: 1-line block ×23, first 2 shown]
.LBB84_102:
	s_or_b64 exec, exec, s[0:1]
	v_cmp_lt_i32_e32 vcc, 4, v96
	s_waitcnt vmcnt(0) lgkmcnt(0)
	s_barrier
	s_and_saveexec_b64 s[0:1], vcc
	s_cbranch_execz .LBB84_104
; %bb.103:
	buffer_load_dword v101, off, s[24:27], 0 offset:224 ; 4-byte Folded Reload
	buffer_load_dword v102, off, s[24:27], 0 offset:228 ; 4-byte Folded Reload
	;; [unrolled: 1-line block ×4, first 2 shown]
	s_waitcnt vmcnt(0)
	v_mul_f64 v[97:98], v[119:120], v[103:104]
	v_fma_f64 v[125:126], v[117:118], v[101:102], -v[97:98]
	v_mul_f64 v[97:98], v[117:118], v[103:104]
	v_fma_f64 v[103:104], v[119:120], v[101:102], v[97:98]
	ds_read2_b64 v[97:100], v94 offset0:10 offset1:11
	buffer_load_dword v85, off, s[24:27], 0 offset:208 ; 4-byte Folded Reload
	buffer_load_dword v86, off, s[24:27], 0 offset:212 ; 4-byte Folded Reload
	buffer_load_dword v87, off, s[24:27], 0 offset:216 ; 4-byte Folded Reload
	buffer_load_dword v88, off, s[24:27], 0 offset:220 ; 4-byte Folded Reload
	s_waitcnt lgkmcnt(0)
	v_mul_f64 v[101:102], v[99:100], v[103:104]
	v_fma_f64 v[101:102], v[97:98], v[125:126], -v[101:102]
	v_mul_f64 v[97:98], v[97:98], v[103:104]
	v_fma_f64 v[97:98], v[99:100], v[125:126], v[97:98]
	s_waitcnt vmcnt(2)
	v_add_f64 v[85:86], v[85:86], -v[101:102]
	s_waitcnt vmcnt(0)
	v_add_f64 v[87:88], v[87:88], -v[97:98]
	buffer_store_dword v85, off, s[24:27], 0 offset:208 ; 4-byte Folded Spill
	s_nop 0
	buffer_store_dword v86, off, s[24:27], 0 offset:212 ; 4-byte Folded Spill
	buffer_store_dword v87, off, s[24:27], 0 offset:216 ; 4-byte Folded Spill
	buffer_store_dword v88, off, s[24:27], 0 offset:220 ; 4-byte Folded Spill
	ds_read2_b64 v[97:100], v94 offset0:12 offset1:13
	buffer_load_dword v85, off, s[24:27], 0 offset:192 ; 4-byte Folded Reload
	buffer_load_dword v86, off, s[24:27], 0 offset:196 ; 4-byte Folded Reload
	buffer_load_dword v87, off, s[24:27], 0 offset:200 ; 4-byte Folded Reload
	buffer_load_dword v88, off, s[24:27], 0 offset:204 ; 4-byte Folded Reload
	s_waitcnt lgkmcnt(0)
	v_mul_f64 v[101:102], v[99:100], v[103:104]
	v_fma_f64 v[101:102], v[97:98], v[125:126], -v[101:102]
	v_mul_f64 v[97:98], v[97:98], v[103:104]
	v_fma_f64 v[97:98], v[99:100], v[125:126], v[97:98]
	s_waitcnt vmcnt(2)
	v_add_f64 v[85:86], v[85:86], -v[101:102]
	s_waitcnt vmcnt(0)
	v_add_f64 v[87:88], v[87:88], -v[97:98]
	buffer_store_dword v85, off, s[24:27], 0 offset:192 ; 4-byte Folded Spill
	s_nop 0
	buffer_store_dword v86, off, s[24:27], 0 offset:196 ; 4-byte Folded Spill
	buffer_store_dword v87, off, s[24:27], 0 offset:200 ; 4-byte Folded Spill
	buffer_store_dword v88, off, s[24:27], 0 offset:204 ; 4-byte Folded Spill
	;; [unrolled: 19-line block ×13, first 2 shown]
	ds_read2_b64 v[97:100], v94 offset0:36 offset1:37
	s_waitcnt lgkmcnt(0)
	v_mul_f64 v[101:102], v[99:100], v[103:104]
	v_fma_f64 v[101:102], v[97:98], v[125:126], -v[101:102]
	v_mul_f64 v[97:98], v[97:98], v[103:104]
	v_add_f64 v[89:90], v[89:90], -v[101:102]
	v_fma_f64 v[97:98], v[99:100], v[125:126], v[97:98]
	v_add_f64 v[91:92], v[91:92], -v[97:98]
	ds_read2_b64 v[97:100], v94 offset0:38 offset1:39
	s_waitcnt lgkmcnt(0)
	v_mul_f64 v[101:102], v[99:100], v[103:104]
	v_fma_f64 v[101:102], v[97:98], v[125:126], -v[101:102]
	v_mul_f64 v[97:98], v[97:98], v[103:104]
	v_add_f64 v[111:112], v[111:112], -v[101:102]
	v_fma_f64 v[97:98], v[99:100], v[125:126], v[97:98]
	v_add_f64 v[113:114], v[113:114], -v[97:98]
	ds_read2_b64 v[97:100], v94 offset0:40 offset1:41
	buffer_load_dword v85, off, s[24:27], 0 ; 4-byte Folded Reload
	buffer_load_dword v86, off, s[24:27], 0 offset:4 ; 4-byte Folded Reload
	buffer_load_dword v87, off, s[24:27], 0 offset:8 ; 4-byte Folded Reload
	;; [unrolled: 1-line block ×3, first 2 shown]
	s_waitcnt lgkmcnt(0)
	v_mul_f64 v[101:102], v[99:100], v[103:104]
	v_fma_f64 v[101:102], v[97:98], v[125:126], -v[101:102]
	v_mul_f64 v[97:98], v[97:98], v[103:104]
	v_fma_f64 v[97:98], v[99:100], v[125:126], v[97:98]
	s_waitcnt vmcnt(2)
	v_add_f64 v[85:86], v[85:86], -v[101:102]
	s_waitcnt vmcnt(0)
	v_add_f64 v[87:88], v[87:88], -v[97:98]
	buffer_store_dword v85, off, s[24:27], 0 ; 4-byte Folded Spill
	s_nop 0
	buffer_store_dword v86, off, s[24:27], 0 offset:4 ; 4-byte Folded Spill
	buffer_store_dword v87, off, s[24:27], 0 offset:8 ; 4-byte Folded Spill
	;; [unrolled: 1-line block ×3, first 2 shown]
	ds_read2_b64 v[97:100], v94 offset0:42 offset1:43
	s_waitcnt lgkmcnt(0)
	v_mul_f64 v[101:102], v[99:100], v[103:104]
	v_fma_f64 v[101:102], v[97:98], v[125:126], -v[101:102]
	v_mul_f64 v[97:98], v[97:98], v[103:104]
	v_add_f64 v[81:82], v[81:82], -v[101:102]
	v_fma_f64 v[97:98], v[99:100], v[125:126], v[97:98]
	v_add_f64 v[83:84], v[83:84], -v[97:98]
	ds_read2_b64 v[97:100], v94 offset0:44 offset1:45
	s_waitcnt lgkmcnt(0)
	v_mul_f64 v[101:102], v[99:100], v[103:104]
	v_fma_f64 v[101:102], v[97:98], v[125:126], -v[101:102]
	v_mul_f64 v[97:98], v[97:98], v[103:104]
	v_add_f64 v[77:78], v[77:78], -v[101:102]
	v_fma_f64 v[97:98], v[99:100], v[125:126], v[97:98]
	v_add_f64 v[79:80], v[79:80], -v[97:98]
	;; [unrolled: 8-line block ×21, first 2 shown]
	ds_read2_b64 v[97:100], v94 offset0:84 offset1:85
	s_waitcnt lgkmcnt(0)
	v_mul_f64 v[101:102], v[99:100], v[103:104]
	v_fma_f64 v[101:102], v[97:98], v[125:126], -v[101:102]
	v_mul_f64 v[97:98], v[97:98], v[103:104]
	v_add_f64 v[121:122], v[121:122], -v[101:102]
	v_fma_f64 v[97:98], v[99:100], v[125:126], v[97:98]
	v_mov_b32_e32 v101, v125
	v_mov_b32_e32 v102, v126
	buffer_store_dword v101, off, s[24:27], 0 offset:224 ; 4-byte Folded Spill
	s_nop 0
	buffer_store_dword v102, off, s[24:27], 0 offset:228 ; 4-byte Folded Spill
	buffer_store_dword v103, off, s[24:27], 0 offset:232 ; 4-byte Folded Spill
	;; [unrolled: 1-line block ×3, first 2 shown]
	v_add_f64 v[123:124], v[123:124], -v[97:98]
.LBB84_104:
	s_or_b64 exec, exec, s[0:1]
	s_waitcnt vmcnt(0)
	s_barrier
	buffer_load_dword v85, off, s[24:27], 0 offset:208 ; 4-byte Folded Reload
	buffer_load_dword v86, off, s[24:27], 0 offset:212 ; 4-byte Folded Reload
	;; [unrolled: 1-line block ×4, first 2 shown]
	v_lshl_add_u32 v97, v96, 4, v94
	s_cmp_lt_i32 s3, 7
	s_waitcnt vmcnt(0)
	ds_write2_b64 v97, v[85:86], v[87:88] offset1:1
	s_waitcnt lgkmcnt(0)
	s_barrier
	ds_read2_b64 v[117:120], v94 offset0:10 offset1:11
	v_mov_b32_e32 v97, 5
	s_cbranch_scc1 .LBB84_107
; %bb.105:
	v_add_u32_e32 v98, 0x60, v94
	s_mov_b32 s0, 6
	v_mov_b32_e32 v97, 5
.LBB84_106:                             ; =>This Inner Loop Header: Depth=1
	s_waitcnt lgkmcnt(0)
	v_cmp_gt_f64_e32 vcc, 0, v[117:118]
	v_xor_b32_e32 v103, 0x80000000, v118
	ds_read2_b64 v[99:102], v98 offset1:1
	v_xor_b32_e32 v105, 0x80000000, v120
	v_add_u32_e32 v98, 16, v98
	s_waitcnt lgkmcnt(0)
	v_xor_b32_e32 v107, 0x80000000, v102
	v_cndmask_b32_e32 v104, v118, v103, vcc
	v_cmp_gt_f64_e32 vcc, 0, v[119:120]
	v_mov_b32_e32 v103, v117
	v_cndmask_b32_e32 v106, v120, v105, vcc
	v_cmp_gt_f64_e32 vcc, 0, v[99:100]
	v_mov_b32_e32 v105, v119
	v_add_f64 v[103:104], v[103:104], v[105:106]
	v_xor_b32_e32 v105, 0x80000000, v100
	v_cndmask_b32_e32 v106, v100, v105, vcc
	v_cmp_gt_f64_e32 vcc, 0, v[101:102]
	v_mov_b32_e32 v105, v99
	v_cndmask_b32_e32 v108, v102, v107, vcc
	v_mov_b32_e32 v107, v101
	v_add_f64 v[105:106], v[105:106], v[107:108]
	v_cmp_lt_f64_e32 vcc, v[103:104], v[105:106]
	v_cndmask_b32_e32 v117, v117, v99, vcc
	v_mov_b32_e32 v99, s0
	s_add_i32 s0, s0, 1
	v_cndmask_b32_e32 v118, v118, v100, vcc
	v_cndmask_b32_e32 v120, v120, v102, vcc
	;; [unrolled: 1-line block ×4, first 2 shown]
	s_cmp_lg_u32 s3, s0
	s_cbranch_scc1 .LBB84_106
.LBB84_107:
	s_waitcnt lgkmcnt(0)
	v_cmp_eq_f64_e32 vcc, 0, v[117:118]
	v_cmp_eq_f64_e64 s[0:1], 0, v[119:120]
	s_and_b64 s[0:1], vcc, s[0:1]
	s_and_saveexec_b64 s[18:19], s[0:1]
	s_xor_b64 s[0:1], exec, s[18:19]
; %bb.108:
	v_cmp_ne_u32_e32 vcc, 0, v95
	v_cndmask_b32_e32 v95, 6, v95, vcc
; %bb.109:
	s_andn2_saveexec_b64 s[0:1], s[0:1]
	s_cbranch_execz .LBB84_115
; %bb.110:
	v_cmp_ngt_f64_e64 s[18:19], |v[117:118]|, |v[119:120]|
	s_and_saveexec_b64 s[20:21], s[18:19]
	s_xor_b64 s[18:19], exec, s[20:21]
	s_cbranch_execz .LBB84_112
; %bb.111:
	v_div_scale_f64 v[98:99], s[20:21], v[119:120], v[119:120], v[117:118]
	v_rcp_f64_e32 v[100:101], v[98:99]
	v_fma_f64 v[102:103], -v[98:99], v[100:101], 1.0
	v_fma_f64 v[100:101], v[100:101], v[102:103], v[100:101]
	v_div_scale_f64 v[102:103], vcc, v[117:118], v[119:120], v[117:118]
	v_fma_f64 v[104:105], -v[98:99], v[100:101], 1.0
	v_fma_f64 v[100:101], v[100:101], v[104:105], v[100:101]
	v_mul_f64 v[104:105], v[102:103], v[100:101]
	v_fma_f64 v[98:99], -v[98:99], v[104:105], v[102:103]
	v_div_fmas_f64 v[98:99], v[98:99], v[100:101], v[104:105]
	v_div_fixup_f64 v[98:99], v[98:99], v[119:120], v[117:118]
	v_fma_f64 v[100:101], v[117:118], v[98:99], v[119:120]
	v_div_scale_f64 v[102:103], s[20:21], v[100:101], v[100:101], 1.0
	v_div_scale_f64 v[108:109], vcc, 1.0, v[100:101], 1.0
	v_rcp_f64_e32 v[104:105], v[102:103]
	v_fma_f64 v[106:107], -v[102:103], v[104:105], 1.0
	v_fma_f64 v[104:105], v[104:105], v[106:107], v[104:105]
	v_fma_f64 v[106:107], -v[102:103], v[104:105], 1.0
	v_fma_f64 v[104:105], v[104:105], v[106:107], v[104:105]
	v_mul_f64 v[106:107], v[108:109], v[104:105]
	v_fma_f64 v[102:103], -v[102:103], v[106:107], v[108:109]
	v_div_fmas_f64 v[102:103], v[102:103], v[104:105], v[106:107]
	v_div_fixup_f64 v[119:120], v[102:103], v[100:101], 1.0
	v_mul_f64 v[117:118], v[98:99], v[119:120]
	v_xor_b32_e32 v120, 0x80000000, v120
.LBB84_112:
	s_andn2_saveexec_b64 s[18:19], s[18:19]
	s_cbranch_execz .LBB84_114
; %bb.113:
	v_div_scale_f64 v[98:99], s[20:21], v[117:118], v[117:118], v[119:120]
	v_rcp_f64_e32 v[100:101], v[98:99]
	v_fma_f64 v[102:103], -v[98:99], v[100:101], 1.0
	v_fma_f64 v[100:101], v[100:101], v[102:103], v[100:101]
	v_div_scale_f64 v[102:103], vcc, v[119:120], v[117:118], v[119:120]
	v_fma_f64 v[104:105], -v[98:99], v[100:101], 1.0
	v_fma_f64 v[100:101], v[100:101], v[104:105], v[100:101]
	v_mul_f64 v[104:105], v[102:103], v[100:101]
	v_fma_f64 v[98:99], -v[98:99], v[104:105], v[102:103]
	v_div_fmas_f64 v[98:99], v[98:99], v[100:101], v[104:105]
	v_div_fixup_f64 v[98:99], v[98:99], v[117:118], v[119:120]
	v_fma_f64 v[100:101], v[119:120], v[98:99], v[117:118]
	v_div_scale_f64 v[102:103], s[20:21], v[100:101], v[100:101], 1.0
	v_div_scale_f64 v[108:109], vcc, 1.0, v[100:101], 1.0
	v_rcp_f64_e32 v[104:105], v[102:103]
	v_fma_f64 v[106:107], -v[102:103], v[104:105], 1.0
	v_fma_f64 v[104:105], v[104:105], v[106:107], v[104:105]
	v_fma_f64 v[106:107], -v[102:103], v[104:105], 1.0
	v_fma_f64 v[104:105], v[104:105], v[106:107], v[104:105]
	v_mul_f64 v[106:107], v[108:109], v[104:105]
	v_fma_f64 v[102:103], -v[102:103], v[106:107], v[108:109]
	v_div_fmas_f64 v[102:103], v[102:103], v[104:105], v[106:107]
	v_div_fixup_f64 v[117:118], v[102:103], v[100:101], 1.0
	v_mul_f64 v[119:120], v[98:99], -v[117:118]
.LBB84_114:
	s_or_b64 exec, exec, s[18:19]
.LBB84_115:
	s_or_b64 exec, exec, s[0:1]
	v_cmp_ne_u32_e32 vcc, v96, v97
	s_and_saveexec_b64 s[0:1], vcc
	s_xor_b64 s[0:1], exec, s[0:1]
	s_cbranch_execz .LBB84_121
; %bb.116:
	v_cmp_eq_u32_e32 vcc, 5, v96
	s_and_saveexec_b64 s[18:19], vcc
	s_cbranch_execz .LBB84_120
; %bb.117:
	v_cmp_ne_u32_e32 vcc, 5, v97
	s_xor_b64 s[20:21], s[6:7], -1
	s_and_b64 s[22:23], s[20:21], vcc
	s_and_saveexec_b64 s[20:21], s[22:23]
	s_cbranch_execz .LBB84_119
; %bb.118:
	v_mov_b32_e32 v85, v89
	v_mov_b32_e32 v86, v90
	;; [unrolled: 1-line block ×4, first 2 shown]
	buffer_load_dword v89, off, s[24:27], 0 offset:272 ; 4-byte Folded Reload
	buffer_load_dword v90, off, s[24:27], 0 offset:276 ; 4-byte Folded Reload
	v_ashrrev_i32_e32 v98, 31, v97
	v_lshlrev_b64 v[98:99], 2, v[97:98]
	s_waitcnt vmcnt(1)
	v_add_co_u32_e32 v98, vcc, v89, v98
	s_waitcnt vmcnt(0)
	v_addc_co_u32_e32 v99, vcc, v90, v99, vcc
	global_load_dword v0, v[98:99], off
	global_load_dword v96, v[89:90], off offset:20
	s_waitcnt vmcnt(1)
	global_store_dword v[89:90], v0, off offset:20
	v_mov_b32_e32 v92, v88
	v_mov_b32_e32 v91, v87
	;; [unrolled: 1-line block ×4, first 2 shown]
	s_waitcnt vmcnt(1)
	global_store_dword v[98:99], v96, off
.LBB84_119:
	s_or_b64 exec, exec, s[20:21]
	v_mov_b32_e32 v96, v97
	v_mov_b32_e32 v0, v97
.LBB84_120:
	s_or_b64 exec, exec, s[18:19]
.LBB84_121:
	s_andn2_saveexec_b64 s[0:1], s[0:1]
	s_cbranch_execz .LBB84_123
; %bb.122:
	buffer_load_dword v85, off, s[24:27], 0 offset:192 ; 4-byte Folded Reload
	buffer_load_dword v86, off, s[24:27], 0 offset:196 ; 4-byte Folded Reload
	;; [unrolled: 1-line block ×4, first 2 shown]
	v_mov_b32_e32 v96, 5
	s_waitcnt vmcnt(0)
	ds_write2_b64 v94, v[85:86], v[87:88] offset0:12 offset1:13
	buffer_load_dword v85, off, s[24:27], 0 offset:176 ; 4-byte Folded Reload
	buffer_load_dword v86, off, s[24:27], 0 offset:180 ; 4-byte Folded Reload
	buffer_load_dword v87, off, s[24:27], 0 offset:184 ; 4-byte Folded Reload
	buffer_load_dword v88, off, s[24:27], 0 offset:188 ; 4-byte Folded Reload
	s_waitcnt vmcnt(0)
	ds_write2_b64 v94, v[85:86], v[87:88] offset0:14 offset1:15
	buffer_load_dword v85, off, s[24:27], 0 offset:160 ; 4-byte Folded Reload
	buffer_load_dword v86, off, s[24:27], 0 offset:164 ; 4-byte Folded Reload
	buffer_load_dword v87, off, s[24:27], 0 offset:168 ; 4-byte Folded Reload
	buffer_load_dword v88, off, s[24:27], 0 offset:172 ; 4-byte Folded Reload
	;; [unrolled: 6-line block ×11, first 2 shown]
	s_waitcnt vmcnt(0)
	ds_write2_b64 v94, v[85:86], v[87:88] offset0:34 offset1:35
	ds_write2_b64 v94, v[89:90], v[91:92] offset0:36 offset1:37
	;; [unrolled: 1-line block ×3, first 2 shown]
	buffer_load_dword v85, off, s[24:27], 0 ; 4-byte Folded Reload
	buffer_load_dword v86, off, s[24:27], 0 offset:4 ; 4-byte Folded Reload
	buffer_load_dword v87, off, s[24:27], 0 offset:8 ; 4-byte Folded Reload
	;; [unrolled: 1-line block ×3, first 2 shown]
	s_waitcnt vmcnt(0)
	ds_write2_b64 v94, v[85:86], v[87:88] offset0:40 offset1:41
	ds_write2_b64 v94, v[81:82], v[83:84] offset0:42 offset1:43
	;; [unrolled: 1-line block ×23, first 2 shown]
.LBB84_123:
	s_or_b64 exec, exec, s[0:1]
	v_cmp_lt_i32_e32 vcc, 5, v96
	s_waitcnt vmcnt(0) lgkmcnt(0)
	s_barrier
	s_and_saveexec_b64 s[0:1], vcc
	s_cbranch_execz .LBB84_125
; %bb.124:
	buffer_load_dword v101, off, s[24:27], 0 offset:208 ; 4-byte Folded Reload
	buffer_load_dword v102, off, s[24:27], 0 offset:212 ; 4-byte Folded Reload
	;; [unrolled: 1-line block ×4, first 2 shown]
	s_waitcnt vmcnt(0)
	v_mul_f64 v[97:98], v[119:120], v[103:104]
	v_fma_f64 v[125:126], v[117:118], v[101:102], -v[97:98]
	v_mul_f64 v[97:98], v[117:118], v[103:104]
	v_fma_f64 v[103:104], v[119:120], v[101:102], v[97:98]
	ds_read2_b64 v[97:100], v94 offset0:12 offset1:13
	buffer_load_dword v85, off, s[24:27], 0 offset:192 ; 4-byte Folded Reload
	buffer_load_dword v86, off, s[24:27], 0 offset:196 ; 4-byte Folded Reload
	buffer_load_dword v87, off, s[24:27], 0 offset:200 ; 4-byte Folded Reload
	buffer_load_dword v88, off, s[24:27], 0 offset:204 ; 4-byte Folded Reload
	s_waitcnt lgkmcnt(0)
	v_mul_f64 v[101:102], v[99:100], v[103:104]
	v_fma_f64 v[101:102], v[97:98], v[125:126], -v[101:102]
	v_mul_f64 v[97:98], v[97:98], v[103:104]
	v_fma_f64 v[97:98], v[99:100], v[125:126], v[97:98]
	s_waitcnt vmcnt(2)
	v_add_f64 v[85:86], v[85:86], -v[101:102]
	s_waitcnt vmcnt(0)
	v_add_f64 v[87:88], v[87:88], -v[97:98]
	buffer_store_dword v85, off, s[24:27], 0 offset:192 ; 4-byte Folded Spill
	s_nop 0
	buffer_store_dword v86, off, s[24:27], 0 offset:196 ; 4-byte Folded Spill
	buffer_store_dword v87, off, s[24:27], 0 offset:200 ; 4-byte Folded Spill
	buffer_store_dword v88, off, s[24:27], 0 offset:204 ; 4-byte Folded Spill
	ds_read2_b64 v[97:100], v94 offset0:14 offset1:15
	buffer_load_dword v85, off, s[24:27], 0 offset:176 ; 4-byte Folded Reload
	buffer_load_dword v86, off, s[24:27], 0 offset:180 ; 4-byte Folded Reload
	buffer_load_dword v87, off, s[24:27], 0 offset:184 ; 4-byte Folded Reload
	buffer_load_dword v88, off, s[24:27], 0 offset:188 ; 4-byte Folded Reload
	s_waitcnt lgkmcnt(0)
	v_mul_f64 v[101:102], v[99:100], v[103:104]
	v_fma_f64 v[101:102], v[97:98], v[125:126], -v[101:102]
	v_mul_f64 v[97:98], v[97:98], v[103:104]
	v_fma_f64 v[97:98], v[99:100], v[125:126], v[97:98]
	s_waitcnt vmcnt(2)
	v_add_f64 v[85:86], v[85:86], -v[101:102]
	s_waitcnt vmcnt(0)
	v_add_f64 v[87:88], v[87:88], -v[97:98]
	buffer_store_dword v85, off, s[24:27], 0 offset:176 ; 4-byte Folded Spill
	s_nop 0
	buffer_store_dword v86, off, s[24:27], 0 offset:180 ; 4-byte Folded Spill
	buffer_store_dword v87, off, s[24:27], 0 offset:184 ; 4-byte Folded Spill
	buffer_store_dword v88, off, s[24:27], 0 offset:188 ; 4-byte Folded Spill
	;; [unrolled: 19-line block ×12, first 2 shown]
	ds_read2_b64 v[97:100], v94 offset0:36 offset1:37
	s_waitcnt lgkmcnt(0)
	v_mul_f64 v[101:102], v[99:100], v[103:104]
	v_fma_f64 v[101:102], v[97:98], v[125:126], -v[101:102]
	v_mul_f64 v[97:98], v[97:98], v[103:104]
	v_add_f64 v[89:90], v[89:90], -v[101:102]
	v_fma_f64 v[97:98], v[99:100], v[125:126], v[97:98]
	v_add_f64 v[91:92], v[91:92], -v[97:98]
	ds_read2_b64 v[97:100], v94 offset0:38 offset1:39
	s_waitcnt lgkmcnt(0)
	v_mul_f64 v[101:102], v[99:100], v[103:104]
	v_fma_f64 v[101:102], v[97:98], v[125:126], -v[101:102]
	v_mul_f64 v[97:98], v[97:98], v[103:104]
	v_add_f64 v[111:112], v[111:112], -v[101:102]
	v_fma_f64 v[97:98], v[99:100], v[125:126], v[97:98]
	v_add_f64 v[113:114], v[113:114], -v[97:98]
	ds_read2_b64 v[97:100], v94 offset0:40 offset1:41
	buffer_load_dword v85, off, s[24:27], 0 ; 4-byte Folded Reload
	buffer_load_dword v86, off, s[24:27], 0 offset:4 ; 4-byte Folded Reload
	buffer_load_dword v87, off, s[24:27], 0 offset:8 ; 4-byte Folded Reload
	buffer_load_dword v88, off, s[24:27], 0 offset:12 ; 4-byte Folded Reload
	s_waitcnt lgkmcnt(0)
	v_mul_f64 v[101:102], v[99:100], v[103:104]
	v_fma_f64 v[101:102], v[97:98], v[125:126], -v[101:102]
	v_mul_f64 v[97:98], v[97:98], v[103:104]
	v_fma_f64 v[97:98], v[99:100], v[125:126], v[97:98]
	s_waitcnt vmcnt(2)
	v_add_f64 v[85:86], v[85:86], -v[101:102]
	s_waitcnt vmcnt(0)
	v_add_f64 v[87:88], v[87:88], -v[97:98]
	buffer_store_dword v85, off, s[24:27], 0 ; 4-byte Folded Spill
	s_nop 0
	buffer_store_dword v86, off, s[24:27], 0 offset:4 ; 4-byte Folded Spill
	buffer_store_dword v87, off, s[24:27], 0 offset:8 ; 4-byte Folded Spill
	;; [unrolled: 1-line block ×3, first 2 shown]
	ds_read2_b64 v[97:100], v94 offset0:42 offset1:43
	s_waitcnt lgkmcnt(0)
	v_mul_f64 v[101:102], v[99:100], v[103:104]
	v_fma_f64 v[101:102], v[97:98], v[125:126], -v[101:102]
	v_mul_f64 v[97:98], v[97:98], v[103:104]
	v_add_f64 v[81:82], v[81:82], -v[101:102]
	v_fma_f64 v[97:98], v[99:100], v[125:126], v[97:98]
	v_add_f64 v[83:84], v[83:84], -v[97:98]
	ds_read2_b64 v[97:100], v94 offset0:44 offset1:45
	s_waitcnt lgkmcnt(0)
	v_mul_f64 v[101:102], v[99:100], v[103:104]
	v_fma_f64 v[101:102], v[97:98], v[125:126], -v[101:102]
	v_mul_f64 v[97:98], v[97:98], v[103:104]
	v_add_f64 v[77:78], v[77:78], -v[101:102]
	v_fma_f64 v[97:98], v[99:100], v[125:126], v[97:98]
	v_add_f64 v[79:80], v[79:80], -v[97:98]
	ds_read2_b64 v[97:100], v94 offset0:46 offset1:47
	s_waitcnt lgkmcnt(0)
	v_mul_f64 v[101:102], v[99:100], v[103:104]
	v_fma_f64 v[101:102], v[97:98], v[125:126], -v[101:102]
	v_mul_f64 v[97:98], v[97:98], v[103:104]
	v_add_f64 v[73:74], v[73:74], -v[101:102]
	v_fma_f64 v[97:98], v[99:100], v[125:126], v[97:98]
	v_add_f64 v[75:76], v[75:76], -v[97:98]
	ds_read2_b64 v[97:100], v94 offset0:48 offset1:49
	s_waitcnt lgkmcnt(0)
	v_mul_f64 v[101:102], v[99:100], v[103:104]
	v_fma_f64 v[101:102], v[97:98], v[125:126], -v[101:102]
	v_mul_f64 v[97:98], v[97:98], v[103:104]
	v_add_f64 v[69:70], v[69:70], -v[101:102]
	v_fma_f64 v[97:98], v[99:100], v[125:126], v[97:98]
	v_add_f64 v[71:72], v[71:72], -v[97:98]
	ds_read2_b64 v[97:100], v94 offset0:50 offset1:51
	s_waitcnt lgkmcnt(0)
	v_mul_f64 v[101:102], v[99:100], v[103:104]
	v_fma_f64 v[101:102], v[97:98], v[125:126], -v[101:102]
	v_mul_f64 v[97:98], v[97:98], v[103:104]
	v_add_f64 v[65:66], v[65:66], -v[101:102]
	v_fma_f64 v[97:98], v[99:100], v[125:126], v[97:98]
	v_add_f64 v[67:68], v[67:68], -v[97:98]
	ds_read2_b64 v[97:100], v94 offset0:52 offset1:53
	s_waitcnt lgkmcnt(0)
	v_mul_f64 v[101:102], v[99:100], v[103:104]
	v_fma_f64 v[101:102], v[97:98], v[125:126], -v[101:102]
	v_mul_f64 v[97:98], v[97:98], v[103:104]
	v_add_f64 v[61:62], v[61:62], -v[101:102]
	v_fma_f64 v[97:98], v[99:100], v[125:126], v[97:98]
	v_add_f64 v[63:64], v[63:64], -v[97:98]
	ds_read2_b64 v[97:100], v94 offset0:54 offset1:55
	s_waitcnt lgkmcnt(0)
	v_mul_f64 v[101:102], v[99:100], v[103:104]
	v_fma_f64 v[101:102], v[97:98], v[125:126], -v[101:102]
	v_mul_f64 v[97:98], v[97:98], v[103:104]
	v_add_f64 v[57:58], v[57:58], -v[101:102]
	v_fma_f64 v[97:98], v[99:100], v[125:126], v[97:98]
	v_add_f64 v[59:60], v[59:60], -v[97:98]
	ds_read2_b64 v[97:100], v94 offset0:56 offset1:57
	s_waitcnt lgkmcnt(0)
	v_mul_f64 v[101:102], v[99:100], v[103:104]
	v_fma_f64 v[101:102], v[97:98], v[125:126], -v[101:102]
	v_mul_f64 v[97:98], v[97:98], v[103:104]
	v_add_f64 v[53:54], v[53:54], -v[101:102]
	v_fma_f64 v[97:98], v[99:100], v[125:126], v[97:98]
	v_add_f64 v[55:56], v[55:56], -v[97:98]
	ds_read2_b64 v[97:100], v94 offset0:58 offset1:59
	s_waitcnt lgkmcnt(0)
	v_mul_f64 v[101:102], v[99:100], v[103:104]
	v_fma_f64 v[101:102], v[97:98], v[125:126], -v[101:102]
	v_mul_f64 v[97:98], v[97:98], v[103:104]
	v_add_f64 v[49:50], v[49:50], -v[101:102]
	v_fma_f64 v[97:98], v[99:100], v[125:126], v[97:98]
	v_add_f64 v[51:52], v[51:52], -v[97:98]
	ds_read2_b64 v[97:100], v94 offset0:60 offset1:61
	s_waitcnt lgkmcnt(0)
	v_mul_f64 v[101:102], v[99:100], v[103:104]
	v_fma_f64 v[101:102], v[97:98], v[125:126], -v[101:102]
	v_mul_f64 v[97:98], v[97:98], v[103:104]
	v_add_f64 v[45:46], v[45:46], -v[101:102]
	v_fma_f64 v[97:98], v[99:100], v[125:126], v[97:98]
	v_add_f64 v[47:48], v[47:48], -v[97:98]
	ds_read2_b64 v[97:100], v94 offset0:62 offset1:63
	s_waitcnt lgkmcnt(0)
	v_mul_f64 v[101:102], v[99:100], v[103:104]
	v_fma_f64 v[101:102], v[97:98], v[125:126], -v[101:102]
	v_mul_f64 v[97:98], v[97:98], v[103:104]
	v_add_f64 v[41:42], v[41:42], -v[101:102]
	v_fma_f64 v[97:98], v[99:100], v[125:126], v[97:98]
	v_add_f64 v[43:44], v[43:44], -v[97:98]
	ds_read2_b64 v[97:100], v94 offset0:64 offset1:65
	s_waitcnt lgkmcnt(0)
	v_mul_f64 v[101:102], v[99:100], v[103:104]
	v_fma_f64 v[101:102], v[97:98], v[125:126], -v[101:102]
	v_mul_f64 v[97:98], v[97:98], v[103:104]
	v_add_f64 v[37:38], v[37:38], -v[101:102]
	v_fma_f64 v[97:98], v[99:100], v[125:126], v[97:98]
	v_add_f64 v[39:40], v[39:40], -v[97:98]
	ds_read2_b64 v[97:100], v94 offset0:66 offset1:67
	s_waitcnt lgkmcnt(0)
	v_mul_f64 v[101:102], v[99:100], v[103:104]
	v_fma_f64 v[101:102], v[97:98], v[125:126], -v[101:102]
	v_mul_f64 v[97:98], v[97:98], v[103:104]
	v_add_f64 v[33:34], v[33:34], -v[101:102]
	v_fma_f64 v[97:98], v[99:100], v[125:126], v[97:98]
	v_add_f64 v[35:36], v[35:36], -v[97:98]
	ds_read2_b64 v[97:100], v94 offset0:68 offset1:69
	s_waitcnt lgkmcnt(0)
	v_mul_f64 v[101:102], v[99:100], v[103:104]
	v_fma_f64 v[101:102], v[97:98], v[125:126], -v[101:102]
	v_mul_f64 v[97:98], v[97:98], v[103:104]
	v_add_f64 v[29:30], v[29:30], -v[101:102]
	v_fma_f64 v[97:98], v[99:100], v[125:126], v[97:98]
	v_add_f64 v[31:32], v[31:32], -v[97:98]
	ds_read2_b64 v[97:100], v94 offset0:70 offset1:71
	s_waitcnt lgkmcnt(0)
	v_mul_f64 v[101:102], v[99:100], v[103:104]
	v_fma_f64 v[101:102], v[97:98], v[125:126], -v[101:102]
	v_mul_f64 v[97:98], v[97:98], v[103:104]
	v_add_f64 v[25:26], v[25:26], -v[101:102]
	v_fma_f64 v[97:98], v[99:100], v[125:126], v[97:98]
	v_add_f64 v[27:28], v[27:28], -v[97:98]
	ds_read2_b64 v[97:100], v94 offset0:72 offset1:73
	s_waitcnt lgkmcnt(0)
	v_mul_f64 v[101:102], v[99:100], v[103:104]
	v_fma_f64 v[101:102], v[97:98], v[125:126], -v[101:102]
	v_mul_f64 v[97:98], v[97:98], v[103:104]
	v_add_f64 v[21:22], v[21:22], -v[101:102]
	v_fma_f64 v[97:98], v[99:100], v[125:126], v[97:98]
	v_add_f64 v[23:24], v[23:24], -v[97:98]
	ds_read2_b64 v[97:100], v94 offset0:74 offset1:75
	s_waitcnt lgkmcnt(0)
	v_mul_f64 v[101:102], v[99:100], v[103:104]
	v_fma_f64 v[101:102], v[97:98], v[125:126], -v[101:102]
	v_mul_f64 v[97:98], v[97:98], v[103:104]
	v_add_f64 v[17:18], v[17:18], -v[101:102]
	v_fma_f64 v[97:98], v[99:100], v[125:126], v[97:98]
	v_add_f64 v[19:20], v[19:20], -v[97:98]
	ds_read2_b64 v[97:100], v94 offset0:76 offset1:77
	s_waitcnt lgkmcnt(0)
	v_mul_f64 v[101:102], v[99:100], v[103:104]
	v_fma_f64 v[101:102], v[97:98], v[125:126], -v[101:102]
	v_mul_f64 v[97:98], v[97:98], v[103:104]
	v_add_f64 v[13:14], v[13:14], -v[101:102]
	v_fma_f64 v[97:98], v[99:100], v[125:126], v[97:98]
	v_add_f64 v[15:16], v[15:16], -v[97:98]
	ds_read2_b64 v[97:100], v94 offset0:78 offset1:79
	s_waitcnt lgkmcnt(0)
	v_mul_f64 v[101:102], v[99:100], v[103:104]
	v_fma_f64 v[101:102], v[97:98], v[125:126], -v[101:102]
	v_mul_f64 v[97:98], v[97:98], v[103:104]
	v_add_f64 v[9:10], v[9:10], -v[101:102]
	v_fma_f64 v[97:98], v[99:100], v[125:126], v[97:98]
	v_add_f64 v[11:12], v[11:12], -v[97:98]
	ds_read2_b64 v[97:100], v94 offset0:80 offset1:81
	s_waitcnt lgkmcnt(0)
	v_mul_f64 v[101:102], v[99:100], v[103:104]
	v_fma_f64 v[101:102], v[97:98], v[125:126], -v[101:102]
	v_mul_f64 v[97:98], v[97:98], v[103:104]
	v_add_f64 v[5:6], v[5:6], -v[101:102]
	v_fma_f64 v[97:98], v[99:100], v[125:126], v[97:98]
	v_add_f64 v[7:8], v[7:8], -v[97:98]
	ds_read2_b64 v[97:100], v94 offset0:82 offset1:83
	s_waitcnt lgkmcnt(0)
	v_mul_f64 v[101:102], v[99:100], v[103:104]
	v_fma_f64 v[101:102], v[97:98], v[125:126], -v[101:102]
	v_mul_f64 v[97:98], v[97:98], v[103:104]
	v_add_f64 v[1:2], v[1:2], -v[101:102]
	v_fma_f64 v[97:98], v[99:100], v[125:126], v[97:98]
	v_add_f64 v[3:4], v[3:4], -v[97:98]
	ds_read2_b64 v[97:100], v94 offset0:84 offset1:85
	s_waitcnt lgkmcnt(0)
	v_mul_f64 v[101:102], v[99:100], v[103:104]
	v_fma_f64 v[101:102], v[97:98], v[125:126], -v[101:102]
	v_mul_f64 v[97:98], v[97:98], v[103:104]
	v_add_f64 v[121:122], v[121:122], -v[101:102]
	v_fma_f64 v[97:98], v[99:100], v[125:126], v[97:98]
	v_mov_b32_e32 v101, v125
	v_mov_b32_e32 v102, v126
	buffer_store_dword v101, off, s[24:27], 0 offset:208 ; 4-byte Folded Spill
	s_nop 0
	buffer_store_dword v102, off, s[24:27], 0 offset:212 ; 4-byte Folded Spill
	buffer_store_dword v103, off, s[24:27], 0 offset:216 ; 4-byte Folded Spill
	;; [unrolled: 1-line block ×3, first 2 shown]
	v_add_f64 v[123:124], v[123:124], -v[97:98]
.LBB84_125:
	s_or_b64 exec, exec, s[0:1]
	s_waitcnt vmcnt(0)
	s_barrier
	buffer_load_dword v85, off, s[24:27], 0 offset:192 ; 4-byte Folded Reload
	buffer_load_dword v86, off, s[24:27], 0 offset:196 ; 4-byte Folded Reload
	;; [unrolled: 1-line block ×4, first 2 shown]
	v_lshl_add_u32 v97, v96, 4, v94
	s_cmp_lt_i32 s3, 8
	s_waitcnt vmcnt(0)
	ds_write2_b64 v97, v[85:86], v[87:88] offset1:1
	s_waitcnt lgkmcnt(0)
	s_barrier
	ds_read2_b64 v[117:120], v94 offset0:12 offset1:13
	v_mov_b32_e32 v97, 6
	s_cbranch_scc1 .LBB84_128
; %bb.126:
	v_add_u32_e32 v98, 0x70, v94
	s_mov_b32 s0, 7
	v_mov_b32_e32 v97, 6
.LBB84_127:                             ; =>This Inner Loop Header: Depth=1
	s_waitcnt lgkmcnt(0)
	v_cmp_gt_f64_e32 vcc, 0, v[117:118]
	v_xor_b32_e32 v103, 0x80000000, v118
	ds_read2_b64 v[99:102], v98 offset1:1
	v_xor_b32_e32 v105, 0x80000000, v120
	v_add_u32_e32 v98, 16, v98
	s_waitcnt lgkmcnt(0)
	v_xor_b32_e32 v107, 0x80000000, v102
	v_cndmask_b32_e32 v104, v118, v103, vcc
	v_cmp_gt_f64_e32 vcc, 0, v[119:120]
	v_mov_b32_e32 v103, v117
	v_cndmask_b32_e32 v106, v120, v105, vcc
	v_cmp_gt_f64_e32 vcc, 0, v[99:100]
	v_mov_b32_e32 v105, v119
	v_add_f64 v[103:104], v[103:104], v[105:106]
	v_xor_b32_e32 v105, 0x80000000, v100
	v_cndmask_b32_e32 v106, v100, v105, vcc
	v_cmp_gt_f64_e32 vcc, 0, v[101:102]
	v_mov_b32_e32 v105, v99
	v_cndmask_b32_e32 v108, v102, v107, vcc
	v_mov_b32_e32 v107, v101
	v_add_f64 v[105:106], v[105:106], v[107:108]
	v_cmp_lt_f64_e32 vcc, v[103:104], v[105:106]
	v_cndmask_b32_e32 v117, v117, v99, vcc
	v_mov_b32_e32 v99, s0
	s_add_i32 s0, s0, 1
	v_cndmask_b32_e32 v118, v118, v100, vcc
	v_cndmask_b32_e32 v120, v120, v102, vcc
	;; [unrolled: 1-line block ×4, first 2 shown]
	s_cmp_lg_u32 s3, s0
	s_cbranch_scc1 .LBB84_127
.LBB84_128:
	s_waitcnt lgkmcnt(0)
	v_cmp_eq_f64_e32 vcc, 0, v[117:118]
	v_cmp_eq_f64_e64 s[0:1], 0, v[119:120]
	s_and_b64 s[0:1], vcc, s[0:1]
	s_and_saveexec_b64 s[18:19], s[0:1]
	s_xor_b64 s[0:1], exec, s[18:19]
; %bb.129:
	v_cmp_ne_u32_e32 vcc, 0, v95
	v_cndmask_b32_e32 v95, 7, v95, vcc
; %bb.130:
	s_andn2_saveexec_b64 s[0:1], s[0:1]
	s_cbranch_execz .LBB84_136
; %bb.131:
	v_cmp_ngt_f64_e64 s[18:19], |v[117:118]|, |v[119:120]|
	s_and_saveexec_b64 s[20:21], s[18:19]
	s_xor_b64 s[18:19], exec, s[20:21]
	s_cbranch_execz .LBB84_133
; %bb.132:
	v_div_scale_f64 v[98:99], s[20:21], v[119:120], v[119:120], v[117:118]
	v_rcp_f64_e32 v[100:101], v[98:99]
	v_fma_f64 v[102:103], -v[98:99], v[100:101], 1.0
	v_fma_f64 v[100:101], v[100:101], v[102:103], v[100:101]
	v_div_scale_f64 v[102:103], vcc, v[117:118], v[119:120], v[117:118]
	v_fma_f64 v[104:105], -v[98:99], v[100:101], 1.0
	v_fma_f64 v[100:101], v[100:101], v[104:105], v[100:101]
	v_mul_f64 v[104:105], v[102:103], v[100:101]
	v_fma_f64 v[98:99], -v[98:99], v[104:105], v[102:103]
	v_div_fmas_f64 v[98:99], v[98:99], v[100:101], v[104:105]
	v_div_fixup_f64 v[98:99], v[98:99], v[119:120], v[117:118]
	v_fma_f64 v[100:101], v[117:118], v[98:99], v[119:120]
	v_div_scale_f64 v[102:103], s[20:21], v[100:101], v[100:101], 1.0
	v_div_scale_f64 v[108:109], vcc, 1.0, v[100:101], 1.0
	v_rcp_f64_e32 v[104:105], v[102:103]
	v_fma_f64 v[106:107], -v[102:103], v[104:105], 1.0
	v_fma_f64 v[104:105], v[104:105], v[106:107], v[104:105]
	v_fma_f64 v[106:107], -v[102:103], v[104:105], 1.0
	v_fma_f64 v[104:105], v[104:105], v[106:107], v[104:105]
	v_mul_f64 v[106:107], v[108:109], v[104:105]
	v_fma_f64 v[102:103], -v[102:103], v[106:107], v[108:109]
	v_div_fmas_f64 v[102:103], v[102:103], v[104:105], v[106:107]
	v_div_fixup_f64 v[119:120], v[102:103], v[100:101], 1.0
	v_mul_f64 v[117:118], v[98:99], v[119:120]
	v_xor_b32_e32 v120, 0x80000000, v120
.LBB84_133:
	s_andn2_saveexec_b64 s[18:19], s[18:19]
	s_cbranch_execz .LBB84_135
; %bb.134:
	v_div_scale_f64 v[98:99], s[20:21], v[117:118], v[117:118], v[119:120]
	v_rcp_f64_e32 v[100:101], v[98:99]
	v_fma_f64 v[102:103], -v[98:99], v[100:101], 1.0
	v_fma_f64 v[100:101], v[100:101], v[102:103], v[100:101]
	v_div_scale_f64 v[102:103], vcc, v[119:120], v[117:118], v[119:120]
	v_fma_f64 v[104:105], -v[98:99], v[100:101], 1.0
	v_fma_f64 v[100:101], v[100:101], v[104:105], v[100:101]
	v_mul_f64 v[104:105], v[102:103], v[100:101]
	v_fma_f64 v[98:99], -v[98:99], v[104:105], v[102:103]
	v_div_fmas_f64 v[98:99], v[98:99], v[100:101], v[104:105]
	v_div_fixup_f64 v[98:99], v[98:99], v[117:118], v[119:120]
	v_fma_f64 v[100:101], v[119:120], v[98:99], v[117:118]
	v_div_scale_f64 v[102:103], s[20:21], v[100:101], v[100:101], 1.0
	v_div_scale_f64 v[108:109], vcc, 1.0, v[100:101], 1.0
	v_rcp_f64_e32 v[104:105], v[102:103]
	v_fma_f64 v[106:107], -v[102:103], v[104:105], 1.0
	v_fma_f64 v[104:105], v[104:105], v[106:107], v[104:105]
	v_fma_f64 v[106:107], -v[102:103], v[104:105], 1.0
	v_fma_f64 v[104:105], v[104:105], v[106:107], v[104:105]
	v_mul_f64 v[106:107], v[108:109], v[104:105]
	v_fma_f64 v[102:103], -v[102:103], v[106:107], v[108:109]
	v_div_fmas_f64 v[102:103], v[102:103], v[104:105], v[106:107]
	v_div_fixup_f64 v[117:118], v[102:103], v[100:101], 1.0
	v_mul_f64 v[119:120], v[98:99], -v[117:118]
.LBB84_135:
	s_or_b64 exec, exec, s[18:19]
.LBB84_136:
	s_or_b64 exec, exec, s[0:1]
	v_cmp_ne_u32_e32 vcc, v96, v97
	s_and_saveexec_b64 s[0:1], vcc
	s_xor_b64 s[0:1], exec, s[0:1]
	s_cbranch_execz .LBB84_142
; %bb.137:
	v_cmp_eq_u32_e32 vcc, 6, v96
	s_and_saveexec_b64 s[18:19], vcc
	s_cbranch_execz .LBB84_141
; %bb.138:
	v_cmp_ne_u32_e32 vcc, 6, v97
	s_xor_b64 s[20:21], s[6:7], -1
	s_and_b64 s[22:23], s[20:21], vcc
	s_and_saveexec_b64 s[20:21], s[22:23]
	s_cbranch_execz .LBB84_140
; %bb.139:
	v_mov_b32_e32 v85, v89
	v_mov_b32_e32 v86, v90
	;; [unrolled: 1-line block ×4, first 2 shown]
	buffer_load_dword v89, off, s[24:27], 0 offset:272 ; 4-byte Folded Reload
	buffer_load_dword v90, off, s[24:27], 0 offset:276 ; 4-byte Folded Reload
	v_ashrrev_i32_e32 v98, 31, v97
	v_lshlrev_b64 v[98:99], 2, v[97:98]
	s_waitcnt vmcnt(1)
	v_add_co_u32_e32 v98, vcc, v89, v98
	s_waitcnt vmcnt(0)
	v_addc_co_u32_e32 v99, vcc, v90, v99, vcc
	global_load_dword v0, v[98:99], off
	global_load_dword v96, v[89:90], off offset:24
	s_waitcnt vmcnt(1)
	global_store_dword v[89:90], v0, off offset:24
	v_mov_b32_e32 v92, v88
	v_mov_b32_e32 v91, v87
	;; [unrolled: 1-line block ×4, first 2 shown]
	s_waitcnt vmcnt(1)
	global_store_dword v[98:99], v96, off
.LBB84_140:
	s_or_b64 exec, exec, s[20:21]
	v_mov_b32_e32 v96, v97
	v_mov_b32_e32 v0, v97
.LBB84_141:
	s_or_b64 exec, exec, s[18:19]
.LBB84_142:
	s_andn2_saveexec_b64 s[0:1], s[0:1]
	s_cbranch_execz .LBB84_144
; %bb.143:
	buffer_load_dword v85, off, s[24:27], 0 offset:176 ; 4-byte Folded Reload
	buffer_load_dword v86, off, s[24:27], 0 offset:180 ; 4-byte Folded Reload
	;; [unrolled: 1-line block ×4, first 2 shown]
	v_mov_b32_e32 v96, 6
	s_waitcnt vmcnt(0)
	ds_write2_b64 v94, v[85:86], v[87:88] offset0:14 offset1:15
	buffer_load_dword v85, off, s[24:27], 0 offset:160 ; 4-byte Folded Reload
	buffer_load_dword v86, off, s[24:27], 0 offset:164 ; 4-byte Folded Reload
	buffer_load_dword v87, off, s[24:27], 0 offset:168 ; 4-byte Folded Reload
	buffer_load_dword v88, off, s[24:27], 0 offset:172 ; 4-byte Folded Reload
	s_waitcnt vmcnt(0)
	ds_write2_b64 v94, v[85:86], v[87:88] offset0:16 offset1:17
	buffer_load_dword v85, off, s[24:27], 0 offset:144 ; 4-byte Folded Reload
	buffer_load_dword v86, off, s[24:27], 0 offset:148 ; 4-byte Folded Reload
	buffer_load_dword v87, off, s[24:27], 0 offset:152 ; 4-byte Folded Reload
	buffer_load_dword v88, off, s[24:27], 0 offset:156 ; 4-byte Folded Reload
	;; [unrolled: 6-line block ×10, first 2 shown]
	s_waitcnt vmcnt(0)
	ds_write2_b64 v94, v[85:86], v[87:88] offset0:34 offset1:35
	ds_write2_b64 v94, v[89:90], v[91:92] offset0:36 offset1:37
	;; [unrolled: 1-line block ×3, first 2 shown]
	buffer_load_dword v85, off, s[24:27], 0 ; 4-byte Folded Reload
	buffer_load_dword v86, off, s[24:27], 0 offset:4 ; 4-byte Folded Reload
	buffer_load_dword v87, off, s[24:27], 0 offset:8 ; 4-byte Folded Reload
	;; [unrolled: 1-line block ×3, first 2 shown]
	s_waitcnt vmcnt(0)
	ds_write2_b64 v94, v[85:86], v[87:88] offset0:40 offset1:41
	ds_write2_b64 v94, v[81:82], v[83:84] offset0:42 offset1:43
	ds_write2_b64 v94, v[77:78], v[79:80] offset0:44 offset1:45
	ds_write2_b64 v94, v[73:74], v[75:76] offset0:46 offset1:47
	ds_write2_b64 v94, v[69:70], v[71:72] offset0:48 offset1:49
	ds_write2_b64 v94, v[65:66], v[67:68] offset0:50 offset1:51
	ds_write2_b64 v94, v[61:62], v[63:64] offset0:52 offset1:53
	ds_write2_b64 v94, v[57:58], v[59:60] offset0:54 offset1:55
	ds_write2_b64 v94, v[53:54], v[55:56] offset0:56 offset1:57
	ds_write2_b64 v94, v[49:50], v[51:52] offset0:58 offset1:59
	ds_write2_b64 v94, v[45:46], v[47:48] offset0:60 offset1:61
	ds_write2_b64 v94, v[41:42], v[43:44] offset0:62 offset1:63
	ds_write2_b64 v94, v[37:38], v[39:40] offset0:64 offset1:65
	ds_write2_b64 v94, v[33:34], v[35:36] offset0:66 offset1:67
	ds_write2_b64 v94, v[29:30], v[31:32] offset0:68 offset1:69
	ds_write2_b64 v94, v[25:26], v[27:28] offset0:70 offset1:71
	ds_write2_b64 v94, v[21:22], v[23:24] offset0:72 offset1:73
	ds_write2_b64 v94, v[17:18], v[19:20] offset0:74 offset1:75
	ds_write2_b64 v94, v[13:14], v[15:16] offset0:76 offset1:77
	ds_write2_b64 v94, v[9:10], v[11:12] offset0:78 offset1:79
	ds_write2_b64 v94, v[5:6], v[7:8] offset0:80 offset1:81
	ds_write2_b64 v94, v[1:2], v[3:4] offset0:82 offset1:83
	ds_write2_b64 v94, v[121:122], v[123:124] offset0:84 offset1:85
.LBB84_144:
	s_or_b64 exec, exec, s[0:1]
	v_cmp_lt_i32_e32 vcc, 6, v96
	s_waitcnt vmcnt(0) lgkmcnt(0)
	s_barrier
	s_and_saveexec_b64 s[0:1], vcc
	s_cbranch_execz .LBB84_146
; %bb.145:
	buffer_load_dword v101, off, s[24:27], 0 offset:192 ; 4-byte Folded Reload
	buffer_load_dword v102, off, s[24:27], 0 offset:196 ; 4-byte Folded Reload
	;; [unrolled: 1-line block ×4, first 2 shown]
	s_waitcnt vmcnt(0)
	v_mul_f64 v[97:98], v[119:120], v[103:104]
	v_fma_f64 v[125:126], v[117:118], v[101:102], -v[97:98]
	v_mul_f64 v[97:98], v[117:118], v[103:104]
	v_fma_f64 v[103:104], v[119:120], v[101:102], v[97:98]
	ds_read2_b64 v[97:100], v94 offset0:14 offset1:15
	buffer_load_dword v85, off, s[24:27], 0 offset:176 ; 4-byte Folded Reload
	buffer_load_dword v86, off, s[24:27], 0 offset:180 ; 4-byte Folded Reload
	buffer_load_dword v87, off, s[24:27], 0 offset:184 ; 4-byte Folded Reload
	buffer_load_dword v88, off, s[24:27], 0 offset:188 ; 4-byte Folded Reload
	s_waitcnt lgkmcnt(0)
	v_mul_f64 v[101:102], v[99:100], v[103:104]
	v_fma_f64 v[101:102], v[97:98], v[125:126], -v[101:102]
	v_mul_f64 v[97:98], v[97:98], v[103:104]
	v_fma_f64 v[97:98], v[99:100], v[125:126], v[97:98]
	s_waitcnt vmcnt(2)
	v_add_f64 v[85:86], v[85:86], -v[101:102]
	s_waitcnt vmcnt(0)
	v_add_f64 v[87:88], v[87:88], -v[97:98]
	buffer_store_dword v85, off, s[24:27], 0 offset:176 ; 4-byte Folded Spill
	s_nop 0
	buffer_store_dword v86, off, s[24:27], 0 offset:180 ; 4-byte Folded Spill
	buffer_store_dword v87, off, s[24:27], 0 offset:184 ; 4-byte Folded Spill
	buffer_store_dword v88, off, s[24:27], 0 offset:188 ; 4-byte Folded Spill
	ds_read2_b64 v[97:100], v94 offset0:16 offset1:17
	buffer_load_dword v85, off, s[24:27], 0 offset:160 ; 4-byte Folded Reload
	buffer_load_dword v86, off, s[24:27], 0 offset:164 ; 4-byte Folded Reload
	buffer_load_dword v87, off, s[24:27], 0 offset:168 ; 4-byte Folded Reload
	buffer_load_dword v88, off, s[24:27], 0 offset:172 ; 4-byte Folded Reload
	s_waitcnt lgkmcnt(0)
	v_mul_f64 v[101:102], v[99:100], v[103:104]
	v_fma_f64 v[101:102], v[97:98], v[125:126], -v[101:102]
	v_mul_f64 v[97:98], v[97:98], v[103:104]
	v_fma_f64 v[97:98], v[99:100], v[125:126], v[97:98]
	s_waitcnt vmcnt(2)
	v_add_f64 v[85:86], v[85:86], -v[101:102]
	s_waitcnt vmcnt(0)
	v_add_f64 v[87:88], v[87:88], -v[97:98]
	buffer_store_dword v85, off, s[24:27], 0 offset:160 ; 4-byte Folded Spill
	s_nop 0
	buffer_store_dword v86, off, s[24:27], 0 offset:164 ; 4-byte Folded Spill
	buffer_store_dword v87, off, s[24:27], 0 offset:168 ; 4-byte Folded Spill
	buffer_store_dword v88, off, s[24:27], 0 offset:172 ; 4-byte Folded Spill
	;; [unrolled: 19-line block ×11, first 2 shown]
	ds_read2_b64 v[97:100], v94 offset0:36 offset1:37
	s_waitcnt lgkmcnt(0)
	v_mul_f64 v[101:102], v[99:100], v[103:104]
	v_fma_f64 v[101:102], v[97:98], v[125:126], -v[101:102]
	v_mul_f64 v[97:98], v[97:98], v[103:104]
	v_add_f64 v[89:90], v[89:90], -v[101:102]
	v_fma_f64 v[97:98], v[99:100], v[125:126], v[97:98]
	v_add_f64 v[91:92], v[91:92], -v[97:98]
	ds_read2_b64 v[97:100], v94 offset0:38 offset1:39
	s_waitcnt lgkmcnt(0)
	v_mul_f64 v[101:102], v[99:100], v[103:104]
	v_fma_f64 v[101:102], v[97:98], v[125:126], -v[101:102]
	v_mul_f64 v[97:98], v[97:98], v[103:104]
	v_add_f64 v[111:112], v[111:112], -v[101:102]
	v_fma_f64 v[97:98], v[99:100], v[125:126], v[97:98]
	v_add_f64 v[113:114], v[113:114], -v[97:98]
	ds_read2_b64 v[97:100], v94 offset0:40 offset1:41
	buffer_load_dword v85, off, s[24:27], 0 ; 4-byte Folded Reload
	buffer_load_dword v86, off, s[24:27], 0 offset:4 ; 4-byte Folded Reload
	buffer_load_dword v87, off, s[24:27], 0 offset:8 ; 4-byte Folded Reload
	buffer_load_dword v88, off, s[24:27], 0 offset:12 ; 4-byte Folded Reload
	s_waitcnt lgkmcnt(0)
	v_mul_f64 v[101:102], v[99:100], v[103:104]
	v_fma_f64 v[101:102], v[97:98], v[125:126], -v[101:102]
	v_mul_f64 v[97:98], v[97:98], v[103:104]
	v_fma_f64 v[97:98], v[99:100], v[125:126], v[97:98]
	s_waitcnt vmcnt(2)
	v_add_f64 v[85:86], v[85:86], -v[101:102]
	s_waitcnt vmcnt(0)
	v_add_f64 v[87:88], v[87:88], -v[97:98]
	buffer_store_dword v85, off, s[24:27], 0 ; 4-byte Folded Spill
	s_nop 0
	buffer_store_dword v86, off, s[24:27], 0 offset:4 ; 4-byte Folded Spill
	buffer_store_dword v87, off, s[24:27], 0 offset:8 ; 4-byte Folded Spill
	;; [unrolled: 1-line block ×3, first 2 shown]
	ds_read2_b64 v[97:100], v94 offset0:42 offset1:43
	s_waitcnt lgkmcnt(0)
	v_mul_f64 v[101:102], v[99:100], v[103:104]
	v_fma_f64 v[101:102], v[97:98], v[125:126], -v[101:102]
	v_mul_f64 v[97:98], v[97:98], v[103:104]
	v_add_f64 v[81:82], v[81:82], -v[101:102]
	v_fma_f64 v[97:98], v[99:100], v[125:126], v[97:98]
	v_add_f64 v[83:84], v[83:84], -v[97:98]
	ds_read2_b64 v[97:100], v94 offset0:44 offset1:45
	s_waitcnt lgkmcnt(0)
	v_mul_f64 v[101:102], v[99:100], v[103:104]
	v_fma_f64 v[101:102], v[97:98], v[125:126], -v[101:102]
	v_mul_f64 v[97:98], v[97:98], v[103:104]
	v_add_f64 v[77:78], v[77:78], -v[101:102]
	v_fma_f64 v[97:98], v[99:100], v[125:126], v[97:98]
	v_add_f64 v[79:80], v[79:80], -v[97:98]
	;; [unrolled: 8-line block ×21, first 2 shown]
	ds_read2_b64 v[97:100], v94 offset0:84 offset1:85
	s_waitcnt lgkmcnt(0)
	v_mul_f64 v[101:102], v[99:100], v[103:104]
	v_fma_f64 v[101:102], v[97:98], v[125:126], -v[101:102]
	v_mul_f64 v[97:98], v[97:98], v[103:104]
	v_add_f64 v[121:122], v[121:122], -v[101:102]
	v_fma_f64 v[97:98], v[99:100], v[125:126], v[97:98]
	v_mov_b32_e32 v101, v125
	v_mov_b32_e32 v102, v126
	buffer_store_dword v101, off, s[24:27], 0 offset:192 ; 4-byte Folded Spill
	s_nop 0
	buffer_store_dword v102, off, s[24:27], 0 offset:196 ; 4-byte Folded Spill
	buffer_store_dword v103, off, s[24:27], 0 offset:200 ; 4-byte Folded Spill
	buffer_store_dword v104, off, s[24:27], 0 offset:204 ; 4-byte Folded Spill
	v_add_f64 v[123:124], v[123:124], -v[97:98]
.LBB84_146:
	s_or_b64 exec, exec, s[0:1]
	s_waitcnt vmcnt(0)
	s_barrier
	buffer_load_dword v85, off, s[24:27], 0 offset:176 ; 4-byte Folded Reload
	buffer_load_dword v86, off, s[24:27], 0 offset:180 ; 4-byte Folded Reload
	;; [unrolled: 1-line block ×4, first 2 shown]
	v_lshl_add_u32 v97, v96, 4, v94
	s_cmp_lt_i32 s3, 9
	s_waitcnt vmcnt(0)
	ds_write2_b64 v97, v[85:86], v[87:88] offset1:1
	s_waitcnt lgkmcnt(0)
	s_barrier
	ds_read2_b64 v[117:120], v94 offset0:14 offset1:15
	v_mov_b32_e32 v97, 7
	s_cbranch_scc1 .LBB84_149
; %bb.147:
	v_add_u32_e32 v98, 0x80, v94
	s_mov_b32 s0, 8
	v_mov_b32_e32 v97, 7
.LBB84_148:                             ; =>This Inner Loop Header: Depth=1
	s_waitcnt lgkmcnt(0)
	v_cmp_gt_f64_e32 vcc, 0, v[117:118]
	v_xor_b32_e32 v103, 0x80000000, v118
	ds_read2_b64 v[99:102], v98 offset1:1
	v_xor_b32_e32 v105, 0x80000000, v120
	v_add_u32_e32 v98, 16, v98
	s_waitcnt lgkmcnt(0)
	v_xor_b32_e32 v107, 0x80000000, v102
	v_cndmask_b32_e32 v104, v118, v103, vcc
	v_cmp_gt_f64_e32 vcc, 0, v[119:120]
	v_mov_b32_e32 v103, v117
	v_cndmask_b32_e32 v106, v120, v105, vcc
	v_cmp_gt_f64_e32 vcc, 0, v[99:100]
	v_mov_b32_e32 v105, v119
	v_add_f64 v[103:104], v[103:104], v[105:106]
	v_xor_b32_e32 v105, 0x80000000, v100
	v_cndmask_b32_e32 v106, v100, v105, vcc
	v_cmp_gt_f64_e32 vcc, 0, v[101:102]
	v_mov_b32_e32 v105, v99
	v_cndmask_b32_e32 v108, v102, v107, vcc
	v_mov_b32_e32 v107, v101
	v_add_f64 v[105:106], v[105:106], v[107:108]
	v_cmp_lt_f64_e32 vcc, v[103:104], v[105:106]
	v_cndmask_b32_e32 v117, v117, v99, vcc
	v_mov_b32_e32 v99, s0
	s_add_i32 s0, s0, 1
	v_cndmask_b32_e32 v118, v118, v100, vcc
	v_cndmask_b32_e32 v120, v120, v102, vcc
	;; [unrolled: 1-line block ×4, first 2 shown]
	s_cmp_lg_u32 s3, s0
	s_cbranch_scc1 .LBB84_148
.LBB84_149:
	s_waitcnt lgkmcnt(0)
	v_cmp_eq_f64_e32 vcc, 0, v[117:118]
	v_cmp_eq_f64_e64 s[0:1], 0, v[119:120]
	s_and_b64 s[0:1], vcc, s[0:1]
	s_and_saveexec_b64 s[18:19], s[0:1]
	s_xor_b64 s[0:1], exec, s[18:19]
; %bb.150:
	v_cmp_ne_u32_e32 vcc, 0, v95
	v_cndmask_b32_e32 v95, 8, v95, vcc
; %bb.151:
	s_andn2_saveexec_b64 s[0:1], s[0:1]
	s_cbranch_execz .LBB84_157
; %bb.152:
	v_cmp_ngt_f64_e64 s[18:19], |v[117:118]|, |v[119:120]|
	s_and_saveexec_b64 s[20:21], s[18:19]
	s_xor_b64 s[18:19], exec, s[20:21]
	s_cbranch_execz .LBB84_154
; %bb.153:
	v_div_scale_f64 v[98:99], s[20:21], v[119:120], v[119:120], v[117:118]
	v_rcp_f64_e32 v[100:101], v[98:99]
	v_fma_f64 v[102:103], -v[98:99], v[100:101], 1.0
	v_fma_f64 v[100:101], v[100:101], v[102:103], v[100:101]
	v_div_scale_f64 v[102:103], vcc, v[117:118], v[119:120], v[117:118]
	v_fma_f64 v[104:105], -v[98:99], v[100:101], 1.0
	v_fma_f64 v[100:101], v[100:101], v[104:105], v[100:101]
	v_mul_f64 v[104:105], v[102:103], v[100:101]
	v_fma_f64 v[98:99], -v[98:99], v[104:105], v[102:103]
	v_div_fmas_f64 v[98:99], v[98:99], v[100:101], v[104:105]
	v_div_fixup_f64 v[98:99], v[98:99], v[119:120], v[117:118]
	v_fma_f64 v[100:101], v[117:118], v[98:99], v[119:120]
	v_div_scale_f64 v[102:103], s[20:21], v[100:101], v[100:101], 1.0
	v_div_scale_f64 v[108:109], vcc, 1.0, v[100:101], 1.0
	v_rcp_f64_e32 v[104:105], v[102:103]
	v_fma_f64 v[106:107], -v[102:103], v[104:105], 1.0
	v_fma_f64 v[104:105], v[104:105], v[106:107], v[104:105]
	v_fma_f64 v[106:107], -v[102:103], v[104:105], 1.0
	v_fma_f64 v[104:105], v[104:105], v[106:107], v[104:105]
	v_mul_f64 v[106:107], v[108:109], v[104:105]
	v_fma_f64 v[102:103], -v[102:103], v[106:107], v[108:109]
	v_div_fmas_f64 v[102:103], v[102:103], v[104:105], v[106:107]
	v_div_fixup_f64 v[119:120], v[102:103], v[100:101], 1.0
	v_mul_f64 v[117:118], v[98:99], v[119:120]
	v_xor_b32_e32 v120, 0x80000000, v120
.LBB84_154:
	s_andn2_saveexec_b64 s[18:19], s[18:19]
	s_cbranch_execz .LBB84_156
; %bb.155:
	v_div_scale_f64 v[98:99], s[20:21], v[117:118], v[117:118], v[119:120]
	v_rcp_f64_e32 v[100:101], v[98:99]
	v_fma_f64 v[102:103], -v[98:99], v[100:101], 1.0
	v_fma_f64 v[100:101], v[100:101], v[102:103], v[100:101]
	v_div_scale_f64 v[102:103], vcc, v[119:120], v[117:118], v[119:120]
	v_fma_f64 v[104:105], -v[98:99], v[100:101], 1.0
	v_fma_f64 v[100:101], v[100:101], v[104:105], v[100:101]
	v_mul_f64 v[104:105], v[102:103], v[100:101]
	v_fma_f64 v[98:99], -v[98:99], v[104:105], v[102:103]
	v_div_fmas_f64 v[98:99], v[98:99], v[100:101], v[104:105]
	v_div_fixup_f64 v[98:99], v[98:99], v[117:118], v[119:120]
	v_fma_f64 v[100:101], v[119:120], v[98:99], v[117:118]
	v_div_scale_f64 v[102:103], s[20:21], v[100:101], v[100:101], 1.0
	v_div_scale_f64 v[108:109], vcc, 1.0, v[100:101], 1.0
	v_rcp_f64_e32 v[104:105], v[102:103]
	v_fma_f64 v[106:107], -v[102:103], v[104:105], 1.0
	v_fma_f64 v[104:105], v[104:105], v[106:107], v[104:105]
	v_fma_f64 v[106:107], -v[102:103], v[104:105], 1.0
	v_fma_f64 v[104:105], v[104:105], v[106:107], v[104:105]
	v_mul_f64 v[106:107], v[108:109], v[104:105]
	v_fma_f64 v[102:103], -v[102:103], v[106:107], v[108:109]
	v_div_fmas_f64 v[102:103], v[102:103], v[104:105], v[106:107]
	v_div_fixup_f64 v[117:118], v[102:103], v[100:101], 1.0
	v_mul_f64 v[119:120], v[98:99], -v[117:118]
.LBB84_156:
	s_or_b64 exec, exec, s[18:19]
.LBB84_157:
	s_or_b64 exec, exec, s[0:1]
	v_cmp_ne_u32_e32 vcc, v96, v97
	s_and_saveexec_b64 s[0:1], vcc
	s_xor_b64 s[0:1], exec, s[0:1]
	s_cbranch_execz .LBB84_163
; %bb.158:
	v_cmp_eq_u32_e32 vcc, 7, v96
	s_and_saveexec_b64 s[18:19], vcc
	s_cbranch_execz .LBB84_162
; %bb.159:
	v_cmp_ne_u32_e32 vcc, 7, v97
	s_xor_b64 s[20:21], s[6:7], -1
	s_and_b64 s[22:23], s[20:21], vcc
	s_and_saveexec_b64 s[20:21], s[22:23]
	s_cbranch_execz .LBB84_161
; %bb.160:
	v_mov_b32_e32 v85, v89
	v_mov_b32_e32 v86, v90
	;; [unrolled: 1-line block ×4, first 2 shown]
	buffer_load_dword v89, off, s[24:27], 0 offset:272 ; 4-byte Folded Reload
	buffer_load_dword v90, off, s[24:27], 0 offset:276 ; 4-byte Folded Reload
	v_ashrrev_i32_e32 v98, 31, v97
	v_lshlrev_b64 v[98:99], 2, v[97:98]
	s_waitcnt vmcnt(1)
	v_add_co_u32_e32 v98, vcc, v89, v98
	s_waitcnt vmcnt(0)
	v_addc_co_u32_e32 v99, vcc, v90, v99, vcc
	global_load_dword v0, v[98:99], off
	global_load_dword v96, v[89:90], off offset:28
	s_waitcnt vmcnt(1)
	global_store_dword v[89:90], v0, off offset:28
	v_mov_b32_e32 v92, v88
	v_mov_b32_e32 v91, v87
	;; [unrolled: 1-line block ×4, first 2 shown]
	s_waitcnt vmcnt(1)
	global_store_dword v[98:99], v96, off
.LBB84_161:
	s_or_b64 exec, exec, s[20:21]
	v_mov_b32_e32 v96, v97
	v_mov_b32_e32 v0, v97
.LBB84_162:
	s_or_b64 exec, exec, s[18:19]
.LBB84_163:
	s_andn2_saveexec_b64 s[0:1], s[0:1]
	s_cbranch_execz .LBB84_165
; %bb.164:
	buffer_load_dword v85, off, s[24:27], 0 offset:160 ; 4-byte Folded Reload
	buffer_load_dword v86, off, s[24:27], 0 offset:164 ; 4-byte Folded Reload
	;; [unrolled: 1-line block ×4, first 2 shown]
	v_mov_b32_e32 v96, 7
	s_waitcnt vmcnt(0)
	ds_write2_b64 v94, v[85:86], v[87:88] offset0:16 offset1:17
	buffer_load_dword v85, off, s[24:27], 0 offset:144 ; 4-byte Folded Reload
	buffer_load_dword v86, off, s[24:27], 0 offset:148 ; 4-byte Folded Reload
	buffer_load_dword v87, off, s[24:27], 0 offset:152 ; 4-byte Folded Reload
	buffer_load_dword v88, off, s[24:27], 0 offset:156 ; 4-byte Folded Reload
	s_waitcnt vmcnt(0)
	ds_write2_b64 v94, v[85:86], v[87:88] offset0:18 offset1:19
	buffer_load_dword v85, off, s[24:27], 0 offset:128 ; 4-byte Folded Reload
	buffer_load_dword v86, off, s[24:27], 0 offset:132 ; 4-byte Folded Reload
	buffer_load_dword v87, off, s[24:27], 0 offset:136 ; 4-byte Folded Reload
	buffer_load_dword v88, off, s[24:27], 0 offset:140 ; 4-byte Folded Reload
	;; [unrolled: 6-line block ×9, first 2 shown]
	s_waitcnt vmcnt(0)
	ds_write2_b64 v94, v[85:86], v[87:88] offset0:34 offset1:35
	ds_write2_b64 v94, v[89:90], v[91:92] offset0:36 offset1:37
	;; [unrolled: 1-line block ×3, first 2 shown]
	buffer_load_dword v85, off, s[24:27], 0 ; 4-byte Folded Reload
	buffer_load_dword v86, off, s[24:27], 0 offset:4 ; 4-byte Folded Reload
	buffer_load_dword v87, off, s[24:27], 0 offset:8 ; 4-byte Folded Reload
	;; [unrolled: 1-line block ×3, first 2 shown]
	s_waitcnt vmcnt(0)
	ds_write2_b64 v94, v[85:86], v[87:88] offset0:40 offset1:41
	ds_write2_b64 v94, v[81:82], v[83:84] offset0:42 offset1:43
	;; [unrolled: 1-line block ×23, first 2 shown]
.LBB84_165:
	s_or_b64 exec, exec, s[0:1]
	v_cmp_lt_i32_e32 vcc, 7, v96
	s_waitcnt vmcnt(0) lgkmcnt(0)
	s_barrier
	s_and_saveexec_b64 s[0:1], vcc
	s_cbranch_execz .LBB84_167
; %bb.166:
	buffer_load_dword v101, off, s[24:27], 0 offset:176 ; 4-byte Folded Reload
	buffer_load_dword v102, off, s[24:27], 0 offset:180 ; 4-byte Folded Reload
	;; [unrolled: 1-line block ×4, first 2 shown]
	s_waitcnt vmcnt(0)
	v_mul_f64 v[97:98], v[119:120], v[103:104]
	v_fma_f64 v[125:126], v[117:118], v[101:102], -v[97:98]
	v_mul_f64 v[97:98], v[117:118], v[103:104]
	v_fma_f64 v[103:104], v[119:120], v[101:102], v[97:98]
	ds_read2_b64 v[97:100], v94 offset0:16 offset1:17
	buffer_load_dword v85, off, s[24:27], 0 offset:160 ; 4-byte Folded Reload
	buffer_load_dword v86, off, s[24:27], 0 offset:164 ; 4-byte Folded Reload
	buffer_load_dword v87, off, s[24:27], 0 offset:168 ; 4-byte Folded Reload
	buffer_load_dword v88, off, s[24:27], 0 offset:172 ; 4-byte Folded Reload
	s_waitcnt lgkmcnt(0)
	v_mul_f64 v[101:102], v[99:100], v[103:104]
	v_fma_f64 v[101:102], v[97:98], v[125:126], -v[101:102]
	v_mul_f64 v[97:98], v[97:98], v[103:104]
	v_fma_f64 v[97:98], v[99:100], v[125:126], v[97:98]
	s_waitcnt vmcnt(2)
	v_add_f64 v[85:86], v[85:86], -v[101:102]
	s_waitcnt vmcnt(0)
	v_add_f64 v[87:88], v[87:88], -v[97:98]
	buffer_store_dword v85, off, s[24:27], 0 offset:160 ; 4-byte Folded Spill
	s_nop 0
	buffer_store_dword v86, off, s[24:27], 0 offset:164 ; 4-byte Folded Spill
	buffer_store_dword v87, off, s[24:27], 0 offset:168 ; 4-byte Folded Spill
	buffer_store_dword v88, off, s[24:27], 0 offset:172 ; 4-byte Folded Spill
	ds_read2_b64 v[97:100], v94 offset0:18 offset1:19
	buffer_load_dword v85, off, s[24:27], 0 offset:144 ; 4-byte Folded Reload
	buffer_load_dword v86, off, s[24:27], 0 offset:148 ; 4-byte Folded Reload
	buffer_load_dword v87, off, s[24:27], 0 offset:152 ; 4-byte Folded Reload
	buffer_load_dword v88, off, s[24:27], 0 offset:156 ; 4-byte Folded Reload
	s_waitcnt lgkmcnt(0)
	v_mul_f64 v[101:102], v[99:100], v[103:104]
	v_fma_f64 v[101:102], v[97:98], v[125:126], -v[101:102]
	v_mul_f64 v[97:98], v[97:98], v[103:104]
	v_fma_f64 v[97:98], v[99:100], v[125:126], v[97:98]
	s_waitcnt vmcnt(2)
	v_add_f64 v[85:86], v[85:86], -v[101:102]
	s_waitcnt vmcnt(0)
	v_add_f64 v[87:88], v[87:88], -v[97:98]
	buffer_store_dword v85, off, s[24:27], 0 offset:144 ; 4-byte Folded Spill
	s_nop 0
	buffer_store_dword v86, off, s[24:27], 0 offset:148 ; 4-byte Folded Spill
	buffer_store_dword v87, off, s[24:27], 0 offset:152 ; 4-byte Folded Spill
	buffer_store_dword v88, off, s[24:27], 0 offset:156 ; 4-byte Folded Spill
	;; [unrolled: 19-line block ×10, first 2 shown]
	ds_read2_b64 v[97:100], v94 offset0:36 offset1:37
	s_waitcnt lgkmcnt(0)
	v_mul_f64 v[101:102], v[99:100], v[103:104]
	v_fma_f64 v[101:102], v[97:98], v[125:126], -v[101:102]
	v_mul_f64 v[97:98], v[97:98], v[103:104]
	v_add_f64 v[89:90], v[89:90], -v[101:102]
	v_fma_f64 v[97:98], v[99:100], v[125:126], v[97:98]
	v_add_f64 v[91:92], v[91:92], -v[97:98]
	ds_read2_b64 v[97:100], v94 offset0:38 offset1:39
	s_waitcnt lgkmcnt(0)
	v_mul_f64 v[101:102], v[99:100], v[103:104]
	v_fma_f64 v[101:102], v[97:98], v[125:126], -v[101:102]
	v_mul_f64 v[97:98], v[97:98], v[103:104]
	v_add_f64 v[111:112], v[111:112], -v[101:102]
	v_fma_f64 v[97:98], v[99:100], v[125:126], v[97:98]
	v_add_f64 v[113:114], v[113:114], -v[97:98]
	ds_read2_b64 v[97:100], v94 offset0:40 offset1:41
	buffer_load_dword v85, off, s[24:27], 0 ; 4-byte Folded Reload
	buffer_load_dword v86, off, s[24:27], 0 offset:4 ; 4-byte Folded Reload
	buffer_load_dword v87, off, s[24:27], 0 offset:8 ; 4-byte Folded Reload
	;; [unrolled: 1-line block ×3, first 2 shown]
	s_waitcnt lgkmcnt(0)
	v_mul_f64 v[101:102], v[99:100], v[103:104]
	v_fma_f64 v[101:102], v[97:98], v[125:126], -v[101:102]
	v_mul_f64 v[97:98], v[97:98], v[103:104]
	v_fma_f64 v[97:98], v[99:100], v[125:126], v[97:98]
	s_waitcnt vmcnt(2)
	v_add_f64 v[85:86], v[85:86], -v[101:102]
	s_waitcnt vmcnt(0)
	v_add_f64 v[87:88], v[87:88], -v[97:98]
	buffer_store_dword v85, off, s[24:27], 0 ; 4-byte Folded Spill
	s_nop 0
	buffer_store_dword v86, off, s[24:27], 0 offset:4 ; 4-byte Folded Spill
	buffer_store_dword v87, off, s[24:27], 0 offset:8 ; 4-byte Folded Spill
	;; [unrolled: 1-line block ×3, first 2 shown]
	ds_read2_b64 v[97:100], v94 offset0:42 offset1:43
	s_waitcnt lgkmcnt(0)
	v_mul_f64 v[101:102], v[99:100], v[103:104]
	v_fma_f64 v[101:102], v[97:98], v[125:126], -v[101:102]
	v_mul_f64 v[97:98], v[97:98], v[103:104]
	v_add_f64 v[81:82], v[81:82], -v[101:102]
	v_fma_f64 v[97:98], v[99:100], v[125:126], v[97:98]
	v_add_f64 v[83:84], v[83:84], -v[97:98]
	ds_read2_b64 v[97:100], v94 offset0:44 offset1:45
	s_waitcnt lgkmcnt(0)
	v_mul_f64 v[101:102], v[99:100], v[103:104]
	v_fma_f64 v[101:102], v[97:98], v[125:126], -v[101:102]
	v_mul_f64 v[97:98], v[97:98], v[103:104]
	v_add_f64 v[77:78], v[77:78], -v[101:102]
	v_fma_f64 v[97:98], v[99:100], v[125:126], v[97:98]
	v_add_f64 v[79:80], v[79:80], -v[97:98]
	;; [unrolled: 8-line block ×21, first 2 shown]
	ds_read2_b64 v[97:100], v94 offset0:84 offset1:85
	s_waitcnt lgkmcnt(0)
	v_mul_f64 v[101:102], v[99:100], v[103:104]
	v_fma_f64 v[101:102], v[97:98], v[125:126], -v[101:102]
	v_mul_f64 v[97:98], v[97:98], v[103:104]
	v_add_f64 v[121:122], v[121:122], -v[101:102]
	v_fma_f64 v[97:98], v[99:100], v[125:126], v[97:98]
	v_mov_b32_e32 v101, v125
	v_mov_b32_e32 v102, v126
	buffer_store_dword v101, off, s[24:27], 0 offset:176 ; 4-byte Folded Spill
	s_nop 0
	buffer_store_dword v102, off, s[24:27], 0 offset:180 ; 4-byte Folded Spill
	buffer_store_dword v103, off, s[24:27], 0 offset:184 ; 4-byte Folded Spill
	;; [unrolled: 1-line block ×3, first 2 shown]
	v_add_f64 v[123:124], v[123:124], -v[97:98]
.LBB84_167:
	s_or_b64 exec, exec, s[0:1]
	s_waitcnt vmcnt(0)
	s_barrier
	buffer_load_dword v85, off, s[24:27], 0 offset:160 ; 4-byte Folded Reload
	buffer_load_dword v86, off, s[24:27], 0 offset:164 ; 4-byte Folded Reload
	;; [unrolled: 1-line block ×4, first 2 shown]
	v_lshl_add_u32 v97, v96, 4, v94
	s_cmp_lt_i32 s3, 10
	s_waitcnt vmcnt(0)
	ds_write2_b64 v97, v[85:86], v[87:88] offset1:1
	s_waitcnt lgkmcnt(0)
	s_barrier
	ds_read2_b64 v[117:120], v94 offset0:16 offset1:17
	v_mov_b32_e32 v97, 8
	s_cbranch_scc1 .LBB84_170
; %bb.168:
	v_add_u32_e32 v98, 0x90, v94
	s_mov_b32 s0, 9
	v_mov_b32_e32 v97, 8
.LBB84_169:                             ; =>This Inner Loop Header: Depth=1
	s_waitcnt lgkmcnt(0)
	v_cmp_gt_f64_e32 vcc, 0, v[117:118]
	v_xor_b32_e32 v103, 0x80000000, v118
	ds_read2_b64 v[99:102], v98 offset1:1
	v_xor_b32_e32 v105, 0x80000000, v120
	v_add_u32_e32 v98, 16, v98
	s_waitcnt lgkmcnt(0)
	v_xor_b32_e32 v107, 0x80000000, v102
	v_cndmask_b32_e32 v104, v118, v103, vcc
	v_cmp_gt_f64_e32 vcc, 0, v[119:120]
	v_mov_b32_e32 v103, v117
	v_cndmask_b32_e32 v106, v120, v105, vcc
	v_cmp_gt_f64_e32 vcc, 0, v[99:100]
	v_mov_b32_e32 v105, v119
	v_add_f64 v[103:104], v[103:104], v[105:106]
	v_xor_b32_e32 v105, 0x80000000, v100
	v_cndmask_b32_e32 v106, v100, v105, vcc
	v_cmp_gt_f64_e32 vcc, 0, v[101:102]
	v_mov_b32_e32 v105, v99
	v_cndmask_b32_e32 v108, v102, v107, vcc
	v_mov_b32_e32 v107, v101
	v_add_f64 v[105:106], v[105:106], v[107:108]
	v_cmp_lt_f64_e32 vcc, v[103:104], v[105:106]
	v_cndmask_b32_e32 v117, v117, v99, vcc
	v_mov_b32_e32 v99, s0
	s_add_i32 s0, s0, 1
	v_cndmask_b32_e32 v118, v118, v100, vcc
	v_cndmask_b32_e32 v120, v120, v102, vcc
	;; [unrolled: 1-line block ×4, first 2 shown]
	s_cmp_lg_u32 s3, s0
	s_cbranch_scc1 .LBB84_169
.LBB84_170:
	s_waitcnt lgkmcnt(0)
	v_cmp_eq_f64_e32 vcc, 0, v[117:118]
	v_cmp_eq_f64_e64 s[0:1], 0, v[119:120]
	s_and_b64 s[0:1], vcc, s[0:1]
	s_and_saveexec_b64 s[18:19], s[0:1]
	s_xor_b64 s[0:1], exec, s[18:19]
; %bb.171:
	v_cmp_ne_u32_e32 vcc, 0, v95
	v_cndmask_b32_e32 v95, 9, v95, vcc
; %bb.172:
	s_andn2_saveexec_b64 s[0:1], s[0:1]
	s_cbranch_execz .LBB84_178
; %bb.173:
	v_cmp_ngt_f64_e64 s[18:19], |v[117:118]|, |v[119:120]|
	s_and_saveexec_b64 s[20:21], s[18:19]
	s_xor_b64 s[18:19], exec, s[20:21]
	s_cbranch_execz .LBB84_175
; %bb.174:
	v_div_scale_f64 v[98:99], s[20:21], v[119:120], v[119:120], v[117:118]
	v_rcp_f64_e32 v[100:101], v[98:99]
	v_fma_f64 v[102:103], -v[98:99], v[100:101], 1.0
	v_fma_f64 v[100:101], v[100:101], v[102:103], v[100:101]
	v_div_scale_f64 v[102:103], vcc, v[117:118], v[119:120], v[117:118]
	v_fma_f64 v[104:105], -v[98:99], v[100:101], 1.0
	v_fma_f64 v[100:101], v[100:101], v[104:105], v[100:101]
	v_mul_f64 v[104:105], v[102:103], v[100:101]
	v_fma_f64 v[98:99], -v[98:99], v[104:105], v[102:103]
	v_div_fmas_f64 v[98:99], v[98:99], v[100:101], v[104:105]
	v_div_fixup_f64 v[98:99], v[98:99], v[119:120], v[117:118]
	v_fma_f64 v[100:101], v[117:118], v[98:99], v[119:120]
	v_div_scale_f64 v[102:103], s[20:21], v[100:101], v[100:101], 1.0
	v_div_scale_f64 v[108:109], vcc, 1.0, v[100:101], 1.0
	v_rcp_f64_e32 v[104:105], v[102:103]
	v_fma_f64 v[106:107], -v[102:103], v[104:105], 1.0
	v_fma_f64 v[104:105], v[104:105], v[106:107], v[104:105]
	v_fma_f64 v[106:107], -v[102:103], v[104:105], 1.0
	v_fma_f64 v[104:105], v[104:105], v[106:107], v[104:105]
	v_mul_f64 v[106:107], v[108:109], v[104:105]
	v_fma_f64 v[102:103], -v[102:103], v[106:107], v[108:109]
	v_div_fmas_f64 v[102:103], v[102:103], v[104:105], v[106:107]
	v_div_fixup_f64 v[119:120], v[102:103], v[100:101], 1.0
	v_mul_f64 v[117:118], v[98:99], v[119:120]
	v_xor_b32_e32 v120, 0x80000000, v120
.LBB84_175:
	s_andn2_saveexec_b64 s[18:19], s[18:19]
	s_cbranch_execz .LBB84_177
; %bb.176:
	v_div_scale_f64 v[98:99], s[20:21], v[117:118], v[117:118], v[119:120]
	v_rcp_f64_e32 v[100:101], v[98:99]
	v_fma_f64 v[102:103], -v[98:99], v[100:101], 1.0
	v_fma_f64 v[100:101], v[100:101], v[102:103], v[100:101]
	v_div_scale_f64 v[102:103], vcc, v[119:120], v[117:118], v[119:120]
	v_fma_f64 v[104:105], -v[98:99], v[100:101], 1.0
	v_fma_f64 v[100:101], v[100:101], v[104:105], v[100:101]
	v_mul_f64 v[104:105], v[102:103], v[100:101]
	v_fma_f64 v[98:99], -v[98:99], v[104:105], v[102:103]
	v_div_fmas_f64 v[98:99], v[98:99], v[100:101], v[104:105]
	v_div_fixup_f64 v[98:99], v[98:99], v[117:118], v[119:120]
	v_fma_f64 v[100:101], v[119:120], v[98:99], v[117:118]
	v_div_scale_f64 v[102:103], s[20:21], v[100:101], v[100:101], 1.0
	v_div_scale_f64 v[108:109], vcc, 1.0, v[100:101], 1.0
	v_rcp_f64_e32 v[104:105], v[102:103]
	v_fma_f64 v[106:107], -v[102:103], v[104:105], 1.0
	v_fma_f64 v[104:105], v[104:105], v[106:107], v[104:105]
	v_fma_f64 v[106:107], -v[102:103], v[104:105], 1.0
	v_fma_f64 v[104:105], v[104:105], v[106:107], v[104:105]
	v_mul_f64 v[106:107], v[108:109], v[104:105]
	v_fma_f64 v[102:103], -v[102:103], v[106:107], v[108:109]
	v_div_fmas_f64 v[102:103], v[102:103], v[104:105], v[106:107]
	v_div_fixup_f64 v[117:118], v[102:103], v[100:101], 1.0
	v_mul_f64 v[119:120], v[98:99], -v[117:118]
.LBB84_177:
	s_or_b64 exec, exec, s[18:19]
.LBB84_178:
	s_or_b64 exec, exec, s[0:1]
	v_cmp_ne_u32_e32 vcc, v96, v97
	s_and_saveexec_b64 s[0:1], vcc
	s_xor_b64 s[0:1], exec, s[0:1]
	s_cbranch_execz .LBB84_184
; %bb.179:
	v_cmp_eq_u32_e32 vcc, 8, v96
	s_and_saveexec_b64 s[18:19], vcc
	s_cbranch_execz .LBB84_183
; %bb.180:
	v_cmp_ne_u32_e32 vcc, 8, v97
	s_xor_b64 s[20:21], s[6:7], -1
	s_and_b64 s[22:23], s[20:21], vcc
	s_and_saveexec_b64 s[20:21], s[22:23]
	s_cbranch_execz .LBB84_182
; %bb.181:
	v_mov_b32_e32 v85, v89
	v_mov_b32_e32 v86, v90
	;; [unrolled: 1-line block ×4, first 2 shown]
	buffer_load_dword v89, off, s[24:27], 0 offset:272 ; 4-byte Folded Reload
	buffer_load_dword v90, off, s[24:27], 0 offset:276 ; 4-byte Folded Reload
	v_ashrrev_i32_e32 v98, 31, v97
	v_lshlrev_b64 v[98:99], 2, v[97:98]
	s_waitcnt vmcnt(1)
	v_add_co_u32_e32 v98, vcc, v89, v98
	s_waitcnt vmcnt(0)
	v_addc_co_u32_e32 v99, vcc, v90, v99, vcc
	global_load_dword v0, v[98:99], off
	global_load_dword v96, v[89:90], off offset:32
	s_waitcnt vmcnt(1)
	global_store_dword v[89:90], v0, off offset:32
	v_mov_b32_e32 v92, v88
	v_mov_b32_e32 v91, v87
	;; [unrolled: 1-line block ×4, first 2 shown]
	s_waitcnt vmcnt(1)
	global_store_dword v[98:99], v96, off
.LBB84_182:
	s_or_b64 exec, exec, s[20:21]
	v_mov_b32_e32 v96, v97
	v_mov_b32_e32 v0, v97
.LBB84_183:
	s_or_b64 exec, exec, s[18:19]
.LBB84_184:
	s_andn2_saveexec_b64 s[0:1], s[0:1]
	s_cbranch_execz .LBB84_186
; %bb.185:
	buffer_load_dword v85, off, s[24:27], 0 offset:144 ; 4-byte Folded Reload
	buffer_load_dword v86, off, s[24:27], 0 offset:148 ; 4-byte Folded Reload
	;; [unrolled: 1-line block ×4, first 2 shown]
	v_mov_b32_e32 v96, 8
	s_waitcnt vmcnt(0)
	ds_write2_b64 v94, v[85:86], v[87:88] offset0:18 offset1:19
	buffer_load_dword v85, off, s[24:27], 0 offset:128 ; 4-byte Folded Reload
	buffer_load_dword v86, off, s[24:27], 0 offset:132 ; 4-byte Folded Reload
	buffer_load_dword v87, off, s[24:27], 0 offset:136 ; 4-byte Folded Reload
	buffer_load_dword v88, off, s[24:27], 0 offset:140 ; 4-byte Folded Reload
	s_waitcnt vmcnt(0)
	ds_write2_b64 v94, v[85:86], v[87:88] offset0:20 offset1:21
	buffer_load_dword v85, off, s[24:27], 0 offset:112 ; 4-byte Folded Reload
	buffer_load_dword v86, off, s[24:27], 0 offset:116 ; 4-byte Folded Reload
	buffer_load_dword v87, off, s[24:27], 0 offset:120 ; 4-byte Folded Reload
	buffer_load_dword v88, off, s[24:27], 0 offset:124 ; 4-byte Folded Reload
	;; [unrolled: 6-line block ×8, first 2 shown]
	s_waitcnt vmcnt(0)
	ds_write2_b64 v94, v[85:86], v[87:88] offset0:34 offset1:35
	ds_write2_b64 v94, v[89:90], v[91:92] offset0:36 offset1:37
	;; [unrolled: 1-line block ×3, first 2 shown]
	buffer_load_dword v85, off, s[24:27], 0 ; 4-byte Folded Reload
	buffer_load_dword v86, off, s[24:27], 0 offset:4 ; 4-byte Folded Reload
	buffer_load_dword v87, off, s[24:27], 0 offset:8 ; 4-byte Folded Reload
	;; [unrolled: 1-line block ×3, first 2 shown]
	s_waitcnt vmcnt(0)
	ds_write2_b64 v94, v[85:86], v[87:88] offset0:40 offset1:41
	ds_write2_b64 v94, v[81:82], v[83:84] offset0:42 offset1:43
	;; [unrolled: 1-line block ×23, first 2 shown]
.LBB84_186:
	s_or_b64 exec, exec, s[0:1]
	v_cmp_lt_i32_e32 vcc, 8, v96
	s_waitcnt vmcnt(0) lgkmcnt(0)
	s_barrier
	s_and_saveexec_b64 s[0:1], vcc
	s_cbranch_execz .LBB84_188
; %bb.187:
	buffer_load_dword v101, off, s[24:27], 0 offset:160 ; 4-byte Folded Reload
	buffer_load_dword v102, off, s[24:27], 0 offset:164 ; 4-byte Folded Reload
	;; [unrolled: 1-line block ×4, first 2 shown]
	s_waitcnt vmcnt(0)
	v_mul_f64 v[97:98], v[119:120], v[103:104]
	v_fma_f64 v[125:126], v[117:118], v[101:102], -v[97:98]
	v_mul_f64 v[97:98], v[117:118], v[103:104]
	v_fma_f64 v[103:104], v[119:120], v[101:102], v[97:98]
	ds_read2_b64 v[97:100], v94 offset0:18 offset1:19
	buffer_load_dword v85, off, s[24:27], 0 offset:144 ; 4-byte Folded Reload
	buffer_load_dword v86, off, s[24:27], 0 offset:148 ; 4-byte Folded Reload
	buffer_load_dword v87, off, s[24:27], 0 offset:152 ; 4-byte Folded Reload
	buffer_load_dword v88, off, s[24:27], 0 offset:156 ; 4-byte Folded Reload
	s_waitcnt lgkmcnt(0)
	v_mul_f64 v[101:102], v[99:100], v[103:104]
	v_fma_f64 v[101:102], v[97:98], v[125:126], -v[101:102]
	v_mul_f64 v[97:98], v[97:98], v[103:104]
	v_fma_f64 v[97:98], v[99:100], v[125:126], v[97:98]
	s_waitcnt vmcnt(2)
	v_add_f64 v[85:86], v[85:86], -v[101:102]
	s_waitcnt vmcnt(0)
	v_add_f64 v[87:88], v[87:88], -v[97:98]
	buffer_store_dword v85, off, s[24:27], 0 offset:144 ; 4-byte Folded Spill
	s_nop 0
	buffer_store_dword v86, off, s[24:27], 0 offset:148 ; 4-byte Folded Spill
	buffer_store_dword v87, off, s[24:27], 0 offset:152 ; 4-byte Folded Spill
	buffer_store_dword v88, off, s[24:27], 0 offset:156 ; 4-byte Folded Spill
	ds_read2_b64 v[97:100], v94 offset0:20 offset1:21
	buffer_load_dword v85, off, s[24:27], 0 offset:128 ; 4-byte Folded Reload
	buffer_load_dword v86, off, s[24:27], 0 offset:132 ; 4-byte Folded Reload
	buffer_load_dword v87, off, s[24:27], 0 offset:136 ; 4-byte Folded Reload
	buffer_load_dword v88, off, s[24:27], 0 offset:140 ; 4-byte Folded Reload
	s_waitcnt lgkmcnt(0)
	v_mul_f64 v[101:102], v[99:100], v[103:104]
	v_fma_f64 v[101:102], v[97:98], v[125:126], -v[101:102]
	v_mul_f64 v[97:98], v[97:98], v[103:104]
	v_fma_f64 v[97:98], v[99:100], v[125:126], v[97:98]
	s_waitcnt vmcnt(2)
	v_add_f64 v[85:86], v[85:86], -v[101:102]
	s_waitcnt vmcnt(0)
	v_add_f64 v[87:88], v[87:88], -v[97:98]
	buffer_store_dword v85, off, s[24:27], 0 offset:128 ; 4-byte Folded Spill
	s_nop 0
	buffer_store_dword v86, off, s[24:27], 0 offset:132 ; 4-byte Folded Spill
	buffer_store_dword v87, off, s[24:27], 0 offset:136 ; 4-byte Folded Spill
	buffer_store_dword v88, off, s[24:27], 0 offset:140 ; 4-byte Folded Spill
	;; [unrolled: 19-line block ×9, first 2 shown]
	ds_read2_b64 v[97:100], v94 offset0:36 offset1:37
	s_waitcnt lgkmcnt(0)
	v_mul_f64 v[101:102], v[99:100], v[103:104]
	v_fma_f64 v[101:102], v[97:98], v[125:126], -v[101:102]
	v_mul_f64 v[97:98], v[97:98], v[103:104]
	v_add_f64 v[89:90], v[89:90], -v[101:102]
	v_fma_f64 v[97:98], v[99:100], v[125:126], v[97:98]
	v_add_f64 v[91:92], v[91:92], -v[97:98]
	ds_read2_b64 v[97:100], v94 offset0:38 offset1:39
	s_waitcnt lgkmcnt(0)
	v_mul_f64 v[101:102], v[99:100], v[103:104]
	v_fma_f64 v[101:102], v[97:98], v[125:126], -v[101:102]
	v_mul_f64 v[97:98], v[97:98], v[103:104]
	v_add_f64 v[111:112], v[111:112], -v[101:102]
	v_fma_f64 v[97:98], v[99:100], v[125:126], v[97:98]
	v_add_f64 v[113:114], v[113:114], -v[97:98]
	ds_read2_b64 v[97:100], v94 offset0:40 offset1:41
	buffer_load_dword v85, off, s[24:27], 0 ; 4-byte Folded Reload
	buffer_load_dword v86, off, s[24:27], 0 offset:4 ; 4-byte Folded Reload
	buffer_load_dword v87, off, s[24:27], 0 offset:8 ; 4-byte Folded Reload
	;; [unrolled: 1-line block ×3, first 2 shown]
	s_waitcnt lgkmcnt(0)
	v_mul_f64 v[101:102], v[99:100], v[103:104]
	v_fma_f64 v[101:102], v[97:98], v[125:126], -v[101:102]
	v_mul_f64 v[97:98], v[97:98], v[103:104]
	v_fma_f64 v[97:98], v[99:100], v[125:126], v[97:98]
	s_waitcnt vmcnt(2)
	v_add_f64 v[85:86], v[85:86], -v[101:102]
	s_waitcnt vmcnt(0)
	v_add_f64 v[87:88], v[87:88], -v[97:98]
	buffer_store_dword v85, off, s[24:27], 0 ; 4-byte Folded Spill
	s_nop 0
	buffer_store_dword v86, off, s[24:27], 0 offset:4 ; 4-byte Folded Spill
	buffer_store_dword v87, off, s[24:27], 0 offset:8 ; 4-byte Folded Spill
	;; [unrolled: 1-line block ×3, first 2 shown]
	ds_read2_b64 v[97:100], v94 offset0:42 offset1:43
	s_waitcnt lgkmcnt(0)
	v_mul_f64 v[101:102], v[99:100], v[103:104]
	v_fma_f64 v[101:102], v[97:98], v[125:126], -v[101:102]
	v_mul_f64 v[97:98], v[97:98], v[103:104]
	v_add_f64 v[81:82], v[81:82], -v[101:102]
	v_fma_f64 v[97:98], v[99:100], v[125:126], v[97:98]
	v_add_f64 v[83:84], v[83:84], -v[97:98]
	ds_read2_b64 v[97:100], v94 offset0:44 offset1:45
	s_waitcnt lgkmcnt(0)
	v_mul_f64 v[101:102], v[99:100], v[103:104]
	v_fma_f64 v[101:102], v[97:98], v[125:126], -v[101:102]
	v_mul_f64 v[97:98], v[97:98], v[103:104]
	v_add_f64 v[77:78], v[77:78], -v[101:102]
	v_fma_f64 v[97:98], v[99:100], v[125:126], v[97:98]
	v_add_f64 v[79:80], v[79:80], -v[97:98]
	;; [unrolled: 8-line block ×21, first 2 shown]
	ds_read2_b64 v[97:100], v94 offset0:84 offset1:85
	s_waitcnt lgkmcnt(0)
	v_mul_f64 v[101:102], v[99:100], v[103:104]
	v_fma_f64 v[101:102], v[97:98], v[125:126], -v[101:102]
	v_mul_f64 v[97:98], v[97:98], v[103:104]
	v_add_f64 v[121:122], v[121:122], -v[101:102]
	v_fma_f64 v[97:98], v[99:100], v[125:126], v[97:98]
	v_mov_b32_e32 v101, v125
	v_mov_b32_e32 v102, v126
	buffer_store_dword v101, off, s[24:27], 0 offset:160 ; 4-byte Folded Spill
	s_nop 0
	buffer_store_dword v102, off, s[24:27], 0 offset:164 ; 4-byte Folded Spill
	buffer_store_dword v103, off, s[24:27], 0 offset:168 ; 4-byte Folded Spill
	;; [unrolled: 1-line block ×3, first 2 shown]
	v_add_f64 v[123:124], v[123:124], -v[97:98]
.LBB84_188:
	s_or_b64 exec, exec, s[0:1]
	s_waitcnt vmcnt(0)
	s_barrier
	buffer_load_dword v85, off, s[24:27], 0 offset:144 ; 4-byte Folded Reload
	buffer_load_dword v86, off, s[24:27], 0 offset:148 ; 4-byte Folded Reload
	;; [unrolled: 1-line block ×4, first 2 shown]
	v_lshl_add_u32 v97, v96, 4, v94
	s_cmp_lt_i32 s3, 11
	s_waitcnt vmcnt(0)
	ds_write2_b64 v97, v[85:86], v[87:88] offset1:1
	s_waitcnt lgkmcnt(0)
	s_barrier
	ds_read2_b64 v[117:120], v94 offset0:18 offset1:19
	v_mov_b32_e32 v97, 9
	s_cbranch_scc1 .LBB84_191
; %bb.189:
	v_add_u32_e32 v98, 0xa0, v94
	s_mov_b32 s0, 10
	v_mov_b32_e32 v97, 9
.LBB84_190:                             ; =>This Inner Loop Header: Depth=1
	s_waitcnt lgkmcnt(0)
	v_cmp_gt_f64_e32 vcc, 0, v[117:118]
	v_xor_b32_e32 v103, 0x80000000, v118
	ds_read2_b64 v[99:102], v98 offset1:1
	v_xor_b32_e32 v105, 0x80000000, v120
	v_add_u32_e32 v98, 16, v98
	s_waitcnt lgkmcnt(0)
	v_xor_b32_e32 v107, 0x80000000, v102
	v_cndmask_b32_e32 v104, v118, v103, vcc
	v_cmp_gt_f64_e32 vcc, 0, v[119:120]
	v_mov_b32_e32 v103, v117
	v_cndmask_b32_e32 v106, v120, v105, vcc
	v_cmp_gt_f64_e32 vcc, 0, v[99:100]
	v_mov_b32_e32 v105, v119
	v_add_f64 v[103:104], v[103:104], v[105:106]
	v_xor_b32_e32 v105, 0x80000000, v100
	v_cndmask_b32_e32 v106, v100, v105, vcc
	v_cmp_gt_f64_e32 vcc, 0, v[101:102]
	v_mov_b32_e32 v105, v99
	v_cndmask_b32_e32 v108, v102, v107, vcc
	v_mov_b32_e32 v107, v101
	v_add_f64 v[105:106], v[105:106], v[107:108]
	v_cmp_lt_f64_e32 vcc, v[103:104], v[105:106]
	v_cndmask_b32_e32 v117, v117, v99, vcc
	v_mov_b32_e32 v99, s0
	s_add_i32 s0, s0, 1
	v_cndmask_b32_e32 v118, v118, v100, vcc
	v_cndmask_b32_e32 v120, v120, v102, vcc
	;; [unrolled: 1-line block ×4, first 2 shown]
	s_cmp_lg_u32 s3, s0
	s_cbranch_scc1 .LBB84_190
.LBB84_191:
	s_waitcnt lgkmcnt(0)
	v_cmp_eq_f64_e32 vcc, 0, v[117:118]
	v_cmp_eq_f64_e64 s[0:1], 0, v[119:120]
	s_and_b64 s[0:1], vcc, s[0:1]
	s_and_saveexec_b64 s[18:19], s[0:1]
	s_xor_b64 s[0:1], exec, s[18:19]
; %bb.192:
	v_cmp_ne_u32_e32 vcc, 0, v95
	v_cndmask_b32_e32 v95, 10, v95, vcc
; %bb.193:
	s_andn2_saveexec_b64 s[0:1], s[0:1]
	s_cbranch_execz .LBB84_199
; %bb.194:
	v_cmp_ngt_f64_e64 s[18:19], |v[117:118]|, |v[119:120]|
	s_and_saveexec_b64 s[20:21], s[18:19]
	s_xor_b64 s[18:19], exec, s[20:21]
	s_cbranch_execz .LBB84_196
; %bb.195:
	v_div_scale_f64 v[98:99], s[20:21], v[119:120], v[119:120], v[117:118]
	v_rcp_f64_e32 v[100:101], v[98:99]
	v_fma_f64 v[102:103], -v[98:99], v[100:101], 1.0
	v_fma_f64 v[100:101], v[100:101], v[102:103], v[100:101]
	v_div_scale_f64 v[102:103], vcc, v[117:118], v[119:120], v[117:118]
	v_fma_f64 v[104:105], -v[98:99], v[100:101], 1.0
	v_fma_f64 v[100:101], v[100:101], v[104:105], v[100:101]
	v_mul_f64 v[104:105], v[102:103], v[100:101]
	v_fma_f64 v[98:99], -v[98:99], v[104:105], v[102:103]
	v_div_fmas_f64 v[98:99], v[98:99], v[100:101], v[104:105]
	v_div_fixup_f64 v[98:99], v[98:99], v[119:120], v[117:118]
	v_fma_f64 v[100:101], v[117:118], v[98:99], v[119:120]
	v_div_scale_f64 v[102:103], s[20:21], v[100:101], v[100:101], 1.0
	v_div_scale_f64 v[108:109], vcc, 1.0, v[100:101], 1.0
	v_rcp_f64_e32 v[104:105], v[102:103]
	v_fma_f64 v[106:107], -v[102:103], v[104:105], 1.0
	v_fma_f64 v[104:105], v[104:105], v[106:107], v[104:105]
	v_fma_f64 v[106:107], -v[102:103], v[104:105], 1.0
	v_fma_f64 v[104:105], v[104:105], v[106:107], v[104:105]
	v_mul_f64 v[106:107], v[108:109], v[104:105]
	v_fma_f64 v[102:103], -v[102:103], v[106:107], v[108:109]
	v_div_fmas_f64 v[102:103], v[102:103], v[104:105], v[106:107]
	v_div_fixup_f64 v[119:120], v[102:103], v[100:101], 1.0
	v_mul_f64 v[117:118], v[98:99], v[119:120]
	v_xor_b32_e32 v120, 0x80000000, v120
.LBB84_196:
	s_andn2_saveexec_b64 s[18:19], s[18:19]
	s_cbranch_execz .LBB84_198
; %bb.197:
	v_div_scale_f64 v[98:99], s[20:21], v[117:118], v[117:118], v[119:120]
	v_rcp_f64_e32 v[100:101], v[98:99]
	v_fma_f64 v[102:103], -v[98:99], v[100:101], 1.0
	v_fma_f64 v[100:101], v[100:101], v[102:103], v[100:101]
	v_div_scale_f64 v[102:103], vcc, v[119:120], v[117:118], v[119:120]
	v_fma_f64 v[104:105], -v[98:99], v[100:101], 1.0
	v_fma_f64 v[100:101], v[100:101], v[104:105], v[100:101]
	v_mul_f64 v[104:105], v[102:103], v[100:101]
	v_fma_f64 v[98:99], -v[98:99], v[104:105], v[102:103]
	v_div_fmas_f64 v[98:99], v[98:99], v[100:101], v[104:105]
	v_div_fixup_f64 v[98:99], v[98:99], v[117:118], v[119:120]
	v_fma_f64 v[100:101], v[119:120], v[98:99], v[117:118]
	v_div_scale_f64 v[102:103], s[20:21], v[100:101], v[100:101], 1.0
	v_div_scale_f64 v[108:109], vcc, 1.0, v[100:101], 1.0
	v_rcp_f64_e32 v[104:105], v[102:103]
	v_fma_f64 v[106:107], -v[102:103], v[104:105], 1.0
	v_fma_f64 v[104:105], v[104:105], v[106:107], v[104:105]
	v_fma_f64 v[106:107], -v[102:103], v[104:105], 1.0
	v_fma_f64 v[104:105], v[104:105], v[106:107], v[104:105]
	v_mul_f64 v[106:107], v[108:109], v[104:105]
	v_fma_f64 v[102:103], -v[102:103], v[106:107], v[108:109]
	v_div_fmas_f64 v[102:103], v[102:103], v[104:105], v[106:107]
	v_div_fixup_f64 v[117:118], v[102:103], v[100:101], 1.0
	v_mul_f64 v[119:120], v[98:99], -v[117:118]
.LBB84_198:
	s_or_b64 exec, exec, s[18:19]
.LBB84_199:
	s_or_b64 exec, exec, s[0:1]
	v_cmp_ne_u32_e32 vcc, v96, v97
	s_and_saveexec_b64 s[0:1], vcc
	s_xor_b64 s[0:1], exec, s[0:1]
	s_cbranch_execz .LBB84_205
; %bb.200:
	v_cmp_eq_u32_e32 vcc, 9, v96
	s_and_saveexec_b64 s[18:19], vcc
	s_cbranch_execz .LBB84_204
; %bb.201:
	v_cmp_ne_u32_e32 vcc, 9, v97
	s_xor_b64 s[20:21], s[6:7], -1
	s_and_b64 s[22:23], s[20:21], vcc
	s_and_saveexec_b64 s[20:21], s[22:23]
	s_cbranch_execz .LBB84_203
; %bb.202:
	v_mov_b32_e32 v85, v89
	v_mov_b32_e32 v86, v90
	;; [unrolled: 1-line block ×4, first 2 shown]
	buffer_load_dword v89, off, s[24:27], 0 offset:272 ; 4-byte Folded Reload
	buffer_load_dword v90, off, s[24:27], 0 offset:276 ; 4-byte Folded Reload
	v_ashrrev_i32_e32 v98, 31, v97
	v_lshlrev_b64 v[98:99], 2, v[97:98]
	s_waitcnt vmcnt(1)
	v_add_co_u32_e32 v98, vcc, v89, v98
	s_waitcnt vmcnt(0)
	v_addc_co_u32_e32 v99, vcc, v90, v99, vcc
	global_load_dword v0, v[98:99], off
	global_load_dword v96, v[89:90], off offset:36
	s_waitcnt vmcnt(1)
	global_store_dword v[89:90], v0, off offset:36
	v_mov_b32_e32 v92, v88
	v_mov_b32_e32 v91, v87
	v_mov_b32_e32 v90, v86
	v_mov_b32_e32 v89, v85
	s_waitcnt vmcnt(1)
	global_store_dword v[98:99], v96, off
.LBB84_203:
	s_or_b64 exec, exec, s[20:21]
	v_mov_b32_e32 v96, v97
	v_mov_b32_e32 v0, v97
.LBB84_204:
	s_or_b64 exec, exec, s[18:19]
.LBB84_205:
	s_andn2_saveexec_b64 s[0:1], s[0:1]
	s_cbranch_execz .LBB84_207
; %bb.206:
	buffer_load_dword v85, off, s[24:27], 0 offset:128 ; 4-byte Folded Reload
	buffer_load_dword v86, off, s[24:27], 0 offset:132 ; 4-byte Folded Reload
	;; [unrolled: 1-line block ×4, first 2 shown]
	v_mov_b32_e32 v96, 9
	s_waitcnt vmcnt(0)
	ds_write2_b64 v94, v[85:86], v[87:88] offset0:20 offset1:21
	buffer_load_dword v85, off, s[24:27], 0 offset:112 ; 4-byte Folded Reload
	buffer_load_dword v86, off, s[24:27], 0 offset:116 ; 4-byte Folded Reload
	buffer_load_dword v87, off, s[24:27], 0 offset:120 ; 4-byte Folded Reload
	buffer_load_dword v88, off, s[24:27], 0 offset:124 ; 4-byte Folded Reload
	s_waitcnt vmcnt(0)
	ds_write2_b64 v94, v[85:86], v[87:88] offset0:22 offset1:23
	buffer_load_dword v85, off, s[24:27], 0 offset:96 ; 4-byte Folded Reload
	buffer_load_dword v86, off, s[24:27], 0 offset:100 ; 4-byte Folded Reload
	buffer_load_dword v87, off, s[24:27], 0 offset:104 ; 4-byte Folded Reload
	buffer_load_dword v88, off, s[24:27], 0 offset:108 ; 4-byte Folded Reload
	;; [unrolled: 6-line block ×7, first 2 shown]
	s_waitcnt vmcnt(0)
	ds_write2_b64 v94, v[85:86], v[87:88] offset0:34 offset1:35
	ds_write2_b64 v94, v[89:90], v[91:92] offset0:36 offset1:37
	;; [unrolled: 1-line block ×3, first 2 shown]
	buffer_load_dword v85, off, s[24:27], 0 ; 4-byte Folded Reload
	buffer_load_dword v86, off, s[24:27], 0 offset:4 ; 4-byte Folded Reload
	buffer_load_dword v87, off, s[24:27], 0 offset:8 ; 4-byte Folded Reload
	;; [unrolled: 1-line block ×3, first 2 shown]
	s_waitcnt vmcnt(0)
	ds_write2_b64 v94, v[85:86], v[87:88] offset0:40 offset1:41
	ds_write2_b64 v94, v[81:82], v[83:84] offset0:42 offset1:43
	;; [unrolled: 1-line block ×23, first 2 shown]
.LBB84_207:
	s_or_b64 exec, exec, s[0:1]
	v_cmp_lt_i32_e32 vcc, 9, v96
	s_waitcnt vmcnt(0) lgkmcnt(0)
	s_barrier
	s_and_saveexec_b64 s[0:1], vcc
	s_cbranch_execz .LBB84_209
; %bb.208:
	buffer_load_dword v101, off, s[24:27], 0 offset:144 ; 4-byte Folded Reload
	buffer_load_dword v102, off, s[24:27], 0 offset:148 ; 4-byte Folded Reload
	;; [unrolled: 1-line block ×4, first 2 shown]
	s_waitcnt vmcnt(0)
	v_mul_f64 v[97:98], v[119:120], v[103:104]
	v_fma_f64 v[125:126], v[117:118], v[101:102], -v[97:98]
	v_mul_f64 v[97:98], v[117:118], v[103:104]
	v_fma_f64 v[103:104], v[119:120], v[101:102], v[97:98]
	ds_read2_b64 v[97:100], v94 offset0:20 offset1:21
	buffer_load_dword v85, off, s[24:27], 0 offset:128 ; 4-byte Folded Reload
	buffer_load_dword v86, off, s[24:27], 0 offset:132 ; 4-byte Folded Reload
	buffer_load_dword v87, off, s[24:27], 0 offset:136 ; 4-byte Folded Reload
	buffer_load_dword v88, off, s[24:27], 0 offset:140 ; 4-byte Folded Reload
	s_waitcnt lgkmcnt(0)
	v_mul_f64 v[101:102], v[99:100], v[103:104]
	v_fma_f64 v[101:102], v[97:98], v[125:126], -v[101:102]
	v_mul_f64 v[97:98], v[97:98], v[103:104]
	v_fma_f64 v[97:98], v[99:100], v[125:126], v[97:98]
	s_waitcnt vmcnt(2)
	v_add_f64 v[85:86], v[85:86], -v[101:102]
	s_waitcnt vmcnt(0)
	v_add_f64 v[87:88], v[87:88], -v[97:98]
	buffer_store_dword v85, off, s[24:27], 0 offset:128 ; 4-byte Folded Spill
	s_nop 0
	buffer_store_dword v86, off, s[24:27], 0 offset:132 ; 4-byte Folded Spill
	buffer_store_dword v87, off, s[24:27], 0 offset:136 ; 4-byte Folded Spill
	buffer_store_dword v88, off, s[24:27], 0 offset:140 ; 4-byte Folded Spill
	ds_read2_b64 v[97:100], v94 offset0:22 offset1:23
	buffer_load_dword v85, off, s[24:27], 0 offset:112 ; 4-byte Folded Reload
	buffer_load_dword v86, off, s[24:27], 0 offset:116 ; 4-byte Folded Reload
	buffer_load_dword v87, off, s[24:27], 0 offset:120 ; 4-byte Folded Reload
	buffer_load_dword v88, off, s[24:27], 0 offset:124 ; 4-byte Folded Reload
	s_waitcnt lgkmcnt(0)
	v_mul_f64 v[101:102], v[99:100], v[103:104]
	v_fma_f64 v[101:102], v[97:98], v[125:126], -v[101:102]
	v_mul_f64 v[97:98], v[97:98], v[103:104]
	v_fma_f64 v[97:98], v[99:100], v[125:126], v[97:98]
	s_waitcnt vmcnt(2)
	v_add_f64 v[85:86], v[85:86], -v[101:102]
	s_waitcnt vmcnt(0)
	v_add_f64 v[87:88], v[87:88], -v[97:98]
	buffer_store_dword v85, off, s[24:27], 0 offset:112 ; 4-byte Folded Spill
	s_nop 0
	buffer_store_dword v86, off, s[24:27], 0 offset:116 ; 4-byte Folded Spill
	buffer_store_dword v87, off, s[24:27], 0 offset:120 ; 4-byte Folded Spill
	buffer_store_dword v88, off, s[24:27], 0 offset:124 ; 4-byte Folded Spill
	;; [unrolled: 19-line block ×8, first 2 shown]
	ds_read2_b64 v[97:100], v94 offset0:36 offset1:37
	s_waitcnt lgkmcnt(0)
	v_mul_f64 v[101:102], v[99:100], v[103:104]
	v_fma_f64 v[101:102], v[97:98], v[125:126], -v[101:102]
	v_mul_f64 v[97:98], v[97:98], v[103:104]
	v_add_f64 v[89:90], v[89:90], -v[101:102]
	v_fma_f64 v[97:98], v[99:100], v[125:126], v[97:98]
	v_add_f64 v[91:92], v[91:92], -v[97:98]
	ds_read2_b64 v[97:100], v94 offset0:38 offset1:39
	s_waitcnt lgkmcnt(0)
	v_mul_f64 v[101:102], v[99:100], v[103:104]
	v_fma_f64 v[101:102], v[97:98], v[125:126], -v[101:102]
	v_mul_f64 v[97:98], v[97:98], v[103:104]
	v_add_f64 v[111:112], v[111:112], -v[101:102]
	v_fma_f64 v[97:98], v[99:100], v[125:126], v[97:98]
	v_add_f64 v[113:114], v[113:114], -v[97:98]
	ds_read2_b64 v[97:100], v94 offset0:40 offset1:41
	buffer_load_dword v85, off, s[24:27], 0 ; 4-byte Folded Reload
	buffer_load_dword v86, off, s[24:27], 0 offset:4 ; 4-byte Folded Reload
	buffer_load_dword v87, off, s[24:27], 0 offset:8 ; 4-byte Folded Reload
	;; [unrolled: 1-line block ×3, first 2 shown]
	s_waitcnt lgkmcnt(0)
	v_mul_f64 v[101:102], v[99:100], v[103:104]
	v_fma_f64 v[101:102], v[97:98], v[125:126], -v[101:102]
	v_mul_f64 v[97:98], v[97:98], v[103:104]
	v_fma_f64 v[97:98], v[99:100], v[125:126], v[97:98]
	s_waitcnt vmcnt(2)
	v_add_f64 v[85:86], v[85:86], -v[101:102]
	s_waitcnt vmcnt(0)
	v_add_f64 v[87:88], v[87:88], -v[97:98]
	buffer_store_dword v85, off, s[24:27], 0 ; 4-byte Folded Spill
	s_nop 0
	buffer_store_dword v86, off, s[24:27], 0 offset:4 ; 4-byte Folded Spill
	buffer_store_dword v87, off, s[24:27], 0 offset:8 ; 4-byte Folded Spill
	;; [unrolled: 1-line block ×3, first 2 shown]
	ds_read2_b64 v[97:100], v94 offset0:42 offset1:43
	s_waitcnt lgkmcnt(0)
	v_mul_f64 v[101:102], v[99:100], v[103:104]
	v_fma_f64 v[101:102], v[97:98], v[125:126], -v[101:102]
	v_mul_f64 v[97:98], v[97:98], v[103:104]
	v_add_f64 v[81:82], v[81:82], -v[101:102]
	v_fma_f64 v[97:98], v[99:100], v[125:126], v[97:98]
	v_add_f64 v[83:84], v[83:84], -v[97:98]
	ds_read2_b64 v[97:100], v94 offset0:44 offset1:45
	s_waitcnt lgkmcnt(0)
	v_mul_f64 v[101:102], v[99:100], v[103:104]
	v_fma_f64 v[101:102], v[97:98], v[125:126], -v[101:102]
	v_mul_f64 v[97:98], v[97:98], v[103:104]
	v_add_f64 v[77:78], v[77:78], -v[101:102]
	v_fma_f64 v[97:98], v[99:100], v[125:126], v[97:98]
	v_add_f64 v[79:80], v[79:80], -v[97:98]
	;; [unrolled: 8-line block ×21, first 2 shown]
	ds_read2_b64 v[97:100], v94 offset0:84 offset1:85
	s_waitcnt lgkmcnt(0)
	v_mul_f64 v[101:102], v[99:100], v[103:104]
	v_fma_f64 v[101:102], v[97:98], v[125:126], -v[101:102]
	v_mul_f64 v[97:98], v[97:98], v[103:104]
	v_add_f64 v[121:122], v[121:122], -v[101:102]
	v_fma_f64 v[97:98], v[99:100], v[125:126], v[97:98]
	v_mov_b32_e32 v101, v125
	v_mov_b32_e32 v102, v126
	buffer_store_dword v101, off, s[24:27], 0 offset:144 ; 4-byte Folded Spill
	s_nop 0
	buffer_store_dword v102, off, s[24:27], 0 offset:148 ; 4-byte Folded Spill
	buffer_store_dword v103, off, s[24:27], 0 offset:152 ; 4-byte Folded Spill
	;; [unrolled: 1-line block ×3, first 2 shown]
	v_add_f64 v[123:124], v[123:124], -v[97:98]
.LBB84_209:
	s_or_b64 exec, exec, s[0:1]
	s_waitcnt vmcnt(0)
	s_barrier
	buffer_load_dword v85, off, s[24:27], 0 offset:128 ; 4-byte Folded Reload
	buffer_load_dword v86, off, s[24:27], 0 offset:132 ; 4-byte Folded Reload
	;; [unrolled: 1-line block ×4, first 2 shown]
	v_lshl_add_u32 v97, v96, 4, v94
	s_cmp_lt_i32 s3, 12
	s_waitcnt vmcnt(0)
	ds_write2_b64 v97, v[85:86], v[87:88] offset1:1
	s_waitcnt lgkmcnt(0)
	s_barrier
	ds_read2_b64 v[117:120], v94 offset0:20 offset1:21
	v_mov_b32_e32 v97, 10
	s_cbranch_scc1 .LBB84_212
; %bb.210:
	v_add_u32_e32 v98, 0xb0, v94
	s_mov_b32 s0, 11
	v_mov_b32_e32 v97, 10
.LBB84_211:                             ; =>This Inner Loop Header: Depth=1
	s_waitcnt lgkmcnt(0)
	v_cmp_gt_f64_e32 vcc, 0, v[117:118]
	v_xor_b32_e32 v103, 0x80000000, v118
	ds_read2_b64 v[99:102], v98 offset1:1
	v_xor_b32_e32 v105, 0x80000000, v120
	v_add_u32_e32 v98, 16, v98
	s_waitcnt lgkmcnt(0)
	v_xor_b32_e32 v107, 0x80000000, v102
	v_cndmask_b32_e32 v104, v118, v103, vcc
	v_cmp_gt_f64_e32 vcc, 0, v[119:120]
	v_mov_b32_e32 v103, v117
	v_cndmask_b32_e32 v106, v120, v105, vcc
	v_cmp_gt_f64_e32 vcc, 0, v[99:100]
	v_mov_b32_e32 v105, v119
	v_add_f64 v[103:104], v[103:104], v[105:106]
	v_xor_b32_e32 v105, 0x80000000, v100
	v_cndmask_b32_e32 v106, v100, v105, vcc
	v_cmp_gt_f64_e32 vcc, 0, v[101:102]
	v_mov_b32_e32 v105, v99
	v_cndmask_b32_e32 v108, v102, v107, vcc
	v_mov_b32_e32 v107, v101
	v_add_f64 v[105:106], v[105:106], v[107:108]
	v_cmp_lt_f64_e32 vcc, v[103:104], v[105:106]
	v_cndmask_b32_e32 v117, v117, v99, vcc
	v_mov_b32_e32 v99, s0
	s_add_i32 s0, s0, 1
	v_cndmask_b32_e32 v118, v118, v100, vcc
	v_cndmask_b32_e32 v120, v120, v102, vcc
	;; [unrolled: 1-line block ×4, first 2 shown]
	s_cmp_lg_u32 s3, s0
	s_cbranch_scc1 .LBB84_211
.LBB84_212:
	s_waitcnt lgkmcnt(0)
	v_cmp_eq_f64_e32 vcc, 0, v[117:118]
	v_cmp_eq_f64_e64 s[0:1], 0, v[119:120]
	s_and_b64 s[0:1], vcc, s[0:1]
	s_and_saveexec_b64 s[18:19], s[0:1]
	s_xor_b64 s[0:1], exec, s[18:19]
; %bb.213:
	v_cmp_ne_u32_e32 vcc, 0, v95
	v_cndmask_b32_e32 v95, 11, v95, vcc
; %bb.214:
	s_andn2_saveexec_b64 s[0:1], s[0:1]
	s_cbranch_execz .LBB84_220
; %bb.215:
	v_cmp_ngt_f64_e64 s[18:19], |v[117:118]|, |v[119:120]|
	s_and_saveexec_b64 s[20:21], s[18:19]
	s_xor_b64 s[18:19], exec, s[20:21]
	s_cbranch_execz .LBB84_217
; %bb.216:
	v_div_scale_f64 v[98:99], s[20:21], v[119:120], v[119:120], v[117:118]
	v_rcp_f64_e32 v[100:101], v[98:99]
	v_fma_f64 v[102:103], -v[98:99], v[100:101], 1.0
	v_fma_f64 v[100:101], v[100:101], v[102:103], v[100:101]
	v_div_scale_f64 v[102:103], vcc, v[117:118], v[119:120], v[117:118]
	v_fma_f64 v[104:105], -v[98:99], v[100:101], 1.0
	v_fma_f64 v[100:101], v[100:101], v[104:105], v[100:101]
	v_mul_f64 v[104:105], v[102:103], v[100:101]
	v_fma_f64 v[98:99], -v[98:99], v[104:105], v[102:103]
	v_div_fmas_f64 v[98:99], v[98:99], v[100:101], v[104:105]
	v_div_fixup_f64 v[98:99], v[98:99], v[119:120], v[117:118]
	v_fma_f64 v[100:101], v[117:118], v[98:99], v[119:120]
	v_div_scale_f64 v[102:103], s[20:21], v[100:101], v[100:101], 1.0
	v_div_scale_f64 v[108:109], vcc, 1.0, v[100:101], 1.0
	v_rcp_f64_e32 v[104:105], v[102:103]
	v_fma_f64 v[106:107], -v[102:103], v[104:105], 1.0
	v_fma_f64 v[104:105], v[104:105], v[106:107], v[104:105]
	v_fma_f64 v[106:107], -v[102:103], v[104:105], 1.0
	v_fma_f64 v[104:105], v[104:105], v[106:107], v[104:105]
	v_mul_f64 v[106:107], v[108:109], v[104:105]
	v_fma_f64 v[102:103], -v[102:103], v[106:107], v[108:109]
	v_div_fmas_f64 v[102:103], v[102:103], v[104:105], v[106:107]
	v_div_fixup_f64 v[119:120], v[102:103], v[100:101], 1.0
	v_mul_f64 v[117:118], v[98:99], v[119:120]
	v_xor_b32_e32 v120, 0x80000000, v120
.LBB84_217:
	s_andn2_saveexec_b64 s[18:19], s[18:19]
	s_cbranch_execz .LBB84_219
; %bb.218:
	v_div_scale_f64 v[98:99], s[20:21], v[117:118], v[117:118], v[119:120]
	v_rcp_f64_e32 v[100:101], v[98:99]
	v_fma_f64 v[102:103], -v[98:99], v[100:101], 1.0
	v_fma_f64 v[100:101], v[100:101], v[102:103], v[100:101]
	v_div_scale_f64 v[102:103], vcc, v[119:120], v[117:118], v[119:120]
	v_fma_f64 v[104:105], -v[98:99], v[100:101], 1.0
	v_fma_f64 v[100:101], v[100:101], v[104:105], v[100:101]
	v_mul_f64 v[104:105], v[102:103], v[100:101]
	v_fma_f64 v[98:99], -v[98:99], v[104:105], v[102:103]
	v_div_fmas_f64 v[98:99], v[98:99], v[100:101], v[104:105]
	v_div_fixup_f64 v[98:99], v[98:99], v[117:118], v[119:120]
	v_fma_f64 v[100:101], v[119:120], v[98:99], v[117:118]
	v_div_scale_f64 v[102:103], s[20:21], v[100:101], v[100:101], 1.0
	v_div_scale_f64 v[108:109], vcc, 1.0, v[100:101], 1.0
	v_rcp_f64_e32 v[104:105], v[102:103]
	v_fma_f64 v[106:107], -v[102:103], v[104:105], 1.0
	v_fma_f64 v[104:105], v[104:105], v[106:107], v[104:105]
	v_fma_f64 v[106:107], -v[102:103], v[104:105], 1.0
	v_fma_f64 v[104:105], v[104:105], v[106:107], v[104:105]
	v_mul_f64 v[106:107], v[108:109], v[104:105]
	v_fma_f64 v[102:103], -v[102:103], v[106:107], v[108:109]
	v_div_fmas_f64 v[102:103], v[102:103], v[104:105], v[106:107]
	v_div_fixup_f64 v[117:118], v[102:103], v[100:101], 1.0
	v_mul_f64 v[119:120], v[98:99], -v[117:118]
.LBB84_219:
	s_or_b64 exec, exec, s[18:19]
.LBB84_220:
	s_or_b64 exec, exec, s[0:1]
	v_cmp_ne_u32_e32 vcc, v96, v97
	s_and_saveexec_b64 s[0:1], vcc
	s_xor_b64 s[0:1], exec, s[0:1]
	s_cbranch_execz .LBB84_226
; %bb.221:
	v_cmp_eq_u32_e32 vcc, 10, v96
	s_and_saveexec_b64 s[18:19], vcc
	s_cbranch_execz .LBB84_225
; %bb.222:
	v_cmp_ne_u32_e32 vcc, 10, v97
	s_xor_b64 s[20:21], s[6:7], -1
	s_and_b64 s[22:23], s[20:21], vcc
	s_and_saveexec_b64 s[20:21], s[22:23]
	s_cbranch_execz .LBB84_224
; %bb.223:
	v_mov_b32_e32 v85, v89
	v_mov_b32_e32 v86, v90
	;; [unrolled: 1-line block ×4, first 2 shown]
	buffer_load_dword v89, off, s[24:27], 0 offset:272 ; 4-byte Folded Reload
	buffer_load_dword v90, off, s[24:27], 0 offset:276 ; 4-byte Folded Reload
	v_ashrrev_i32_e32 v98, 31, v97
	v_lshlrev_b64 v[98:99], 2, v[97:98]
	s_waitcnt vmcnt(1)
	v_add_co_u32_e32 v98, vcc, v89, v98
	s_waitcnt vmcnt(0)
	v_addc_co_u32_e32 v99, vcc, v90, v99, vcc
	global_load_dword v0, v[98:99], off
	global_load_dword v96, v[89:90], off offset:40
	s_waitcnt vmcnt(1)
	global_store_dword v[89:90], v0, off offset:40
	v_mov_b32_e32 v92, v88
	v_mov_b32_e32 v91, v87
	;; [unrolled: 1-line block ×4, first 2 shown]
	s_waitcnt vmcnt(1)
	global_store_dword v[98:99], v96, off
.LBB84_224:
	s_or_b64 exec, exec, s[20:21]
	v_mov_b32_e32 v96, v97
	v_mov_b32_e32 v0, v97
.LBB84_225:
	s_or_b64 exec, exec, s[18:19]
.LBB84_226:
	s_andn2_saveexec_b64 s[0:1], s[0:1]
	s_cbranch_execz .LBB84_228
; %bb.227:
	buffer_load_dword v85, off, s[24:27], 0 offset:112 ; 4-byte Folded Reload
	buffer_load_dword v86, off, s[24:27], 0 offset:116 ; 4-byte Folded Reload
	;; [unrolled: 1-line block ×4, first 2 shown]
	v_mov_b32_e32 v96, 10
	s_waitcnt vmcnt(0)
	ds_write2_b64 v94, v[85:86], v[87:88] offset0:22 offset1:23
	buffer_load_dword v85, off, s[24:27], 0 offset:96 ; 4-byte Folded Reload
	buffer_load_dword v86, off, s[24:27], 0 offset:100 ; 4-byte Folded Reload
	buffer_load_dword v87, off, s[24:27], 0 offset:104 ; 4-byte Folded Reload
	buffer_load_dword v88, off, s[24:27], 0 offset:108 ; 4-byte Folded Reload
	s_waitcnt vmcnt(0)
	ds_write2_b64 v94, v[85:86], v[87:88] offset0:24 offset1:25
	buffer_load_dword v85, off, s[24:27], 0 offset:80 ; 4-byte Folded Reload
	buffer_load_dword v86, off, s[24:27], 0 offset:84 ; 4-byte Folded Reload
	buffer_load_dword v87, off, s[24:27], 0 offset:88 ; 4-byte Folded Reload
	buffer_load_dword v88, off, s[24:27], 0 offset:92 ; 4-byte Folded Reload
	s_waitcnt vmcnt(0)
	ds_write2_b64 v94, v[85:86], v[87:88] offset0:26 offset1:27
	buffer_load_dword v85, off, s[24:27], 0 offset:64 ; 4-byte Folded Reload
	buffer_load_dword v86, off, s[24:27], 0 offset:68 ; 4-byte Folded Reload
	buffer_load_dword v87, off, s[24:27], 0 offset:72 ; 4-byte Folded Reload
	buffer_load_dword v88, off, s[24:27], 0 offset:76 ; 4-byte Folded Reload
	s_waitcnt vmcnt(0)
	ds_write2_b64 v94, v[85:86], v[87:88] offset0:28 offset1:29
	buffer_load_dword v85, off, s[24:27], 0 offset:48 ; 4-byte Folded Reload
	buffer_load_dword v86, off, s[24:27], 0 offset:52 ; 4-byte Folded Reload
	buffer_load_dword v87, off, s[24:27], 0 offset:56 ; 4-byte Folded Reload
	buffer_load_dword v88, off, s[24:27], 0 offset:60 ; 4-byte Folded Reload
	s_waitcnt vmcnt(0)
	ds_write2_b64 v94, v[85:86], v[87:88] offset0:30 offset1:31
	buffer_load_dword v85, off, s[24:27], 0 offset:32 ; 4-byte Folded Reload
	buffer_load_dword v86, off, s[24:27], 0 offset:36 ; 4-byte Folded Reload
	buffer_load_dword v87, off, s[24:27], 0 offset:40 ; 4-byte Folded Reload
	buffer_load_dword v88, off, s[24:27], 0 offset:44 ; 4-byte Folded Reload
	s_waitcnt vmcnt(0)
	ds_write2_b64 v94, v[85:86], v[87:88] offset0:32 offset1:33
	buffer_load_dword v85, off, s[24:27], 0 offset:16 ; 4-byte Folded Reload
	buffer_load_dword v86, off, s[24:27], 0 offset:20 ; 4-byte Folded Reload
	buffer_load_dword v87, off, s[24:27], 0 offset:24 ; 4-byte Folded Reload
	buffer_load_dword v88, off, s[24:27], 0 offset:28 ; 4-byte Folded Reload
	s_waitcnt vmcnt(0)
	ds_write2_b64 v94, v[85:86], v[87:88] offset0:34 offset1:35
	ds_write2_b64 v94, v[89:90], v[91:92] offset0:36 offset1:37
	;; [unrolled: 1-line block ×3, first 2 shown]
	buffer_load_dword v85, off, s[24:27], 0 ; 4-byte Folded Reload
	buffer_load_dword v86, off, s[24:27], 0 offset:4 ; 4-byte Folded Reload
	buffer_load_dword v87, off, s[24:27], 0 offset:8 ; 4-byte Folded Reload
	;; [unrolled: 1-line block ×3, first 2 shown]
	s_waitcnt vmcnt(0)
	ds_write2_b64 v94, v[85:86], v[87:88] offset0:40 offset1:41
	ds_write2_b64 v94, v[81:82], v[83:84] offset0:42 offset1:43
	;; [unrolled: 1-line block ×23, first 2 shown]
.LBB84_228:
	s_or_b64 exec, exec, s[0:1]
	v_cmp_lt_i32_e32 vcc, 10, v96
	s_waitcnt vmcnt(0) lgkmcnt(0)
	s_barrier
	s_and_saveexec_b64 s[0:1], vcc
	s_cbranch_execz .LBB84_230
; %bb.229:
	buffer_load_dword v101, off, s[24:27], 0 offset:128 ; 4-byte Folded Reload
	buffer_load_dword v102, off, s[24:27], 0 offset:132 ; 4-byte Folded Reload
	;; [unrolled: 1-line block ×4, first 2 shown]
	s_waitcnt vmcnt(0)
	v_mul_f64 v[97:98], v[119:120], v[103:104]
	v_fma_f64 v[125:126], v[117:118], v[101:102], -v[97:98]
	v_mul_f64 v[97:98], v[117:118], v[103:104]
	v_fma_f64 v[103:104], v[119:120], v[101:102], v[97:98]
	ds_read2_b64 v[97:100], v94 offset0:22 offset1:23
	buffer_load_dword v85, off, s[24:27], 0 offset:112 ; 4-byte Folded Reload
	buffer_load_dword v86, off, s[24:27], 0 offset:116 ; 4-byte Folded Reload
	buffer_load_dword v87, off, s[24:27], 0 offset:120 ; 4-byte Folded Reload
	buffer_load_dword v88, off, s[24:27], 0 offset:124 ; 4-byte Folded Reload
	s_waitcnt lgkmcnt(0)
	v_mul_f64 v[101:102], v[99:100], v[103:104]
	v_fma_f64 v[101:102], v[97:98], v[125:126], -v[101:102]
	v_mul_f64 v[97:98], v[97:98], v[103:104]
	v_fma_f64 v[97:98], v[99:100], v[125:126], v[97:98]
	s_waitcnt vmcnt(2)
	v_add_f64 v[85:86], v[85:86], -v[101:102]
	s_waitcnt vmcnt(0)
	v_add_f64 v[87:88], v[87:88], -v[97:98]
	buffer_store_dword v85, off, s[24:27], 0 offset:112 ; 4-byte Folded Spill
	s_nop 0
	buffer_store_dword v86, off, s[24:27], 0 offset:116 ; 4-byte Folded Spill
	buffer_store_dword v87, off, s[24:27], 0 offset:120 ; 4-byte Folded Spill
	buffer_store_dword v88, off, s[24:27], 0 offset:124 ; 4-byte Folded Spill
	ds_read2_b64 v[97:100], v94 offset0:24 offset1:25
	buffer_load_dword v85, off, s[24:27], 0 offset:96 ; 4-byte Folded Reload
	buffer_load_dword v86, off, s[24:27], 0 offset:100 ; 4-byte Folded Reload
	buffer_load_dword v87, off, s[24:27], 0 offset:104 ; 4-byte Folded Reload
	buffer_load_dword v88, off, s[24:27], 0 offset:108 ; 4-byte Folded Reload
	s_waitcnt lgkmcnt(0)
	v_mul_f64 v[101:102], v[99:100], v[103:104]
	v_fma_f64 v[101:102], v[97:98], v[125:126], -v[101:102]
	v_mul_f64 v[97:98], v[97:98], v[103:104]
	v_fma_f64 v[97:98], v[99:100], v[125:126], v[97:98]
	s_waitcnt vmcnt(2)
	v_add_f64 v[85:86], v[85:86], -v[101:102]
	s_waitcnt vmcnt(0)
	v_add_f64 v[87:88], v[87:88], -v[97:98]
	buffer_store_dword v85, off, s[24:27], 0 offset:96 ; 4-byte Folded Spill
	s_nop 0
	buffer_store_dword v86, off, s[24:27], 0 offset:100 ; 4-byte Folded Spill
	buffer_store_dword v87, off, s[24:27], 0 offset:104 ; 4-byte Folded Spill
	buffer_store_dword v88, off, s[24:27], 0 offset:108 ; 4-byte Folded Spill
	;; [unrolled: 19-line block ×7, first 2 shown]
	ds_read2_b64 v[97:100], v94 offset0:36 offset1:37
	s_waitcnt lgkmcnt(0)
	v_mul_f64 v[101:102], v[99:100], v[103:104]
	v_fma_f64 v[101:102], v[97:98], v[125:126], -v[101:102]
	v_mul_f64 v[97:98], v[97:98], v[103:104]
	v_add_f64 v[89:90], v[89:90], -v[101:102]
	v_fma_f64 v[97:98], v[99:100], v[125:126], v[97:98]
	v_add_f64 v[91:92], v[91:92], -v[97:98]
	ds_read2_b64 v[97:100], v94 offset0:38 offset1:39
	s_waitcnt lgkmcnt(0)
	v_mul_f64 v[101:102], v[99:100], v[103:104]
	v_fma_f64 v[101:102], v[97:98], v[125:126], -v[101:102]
	v_mul_f64 v[97:98], v[97:98], v[103:104]
	v_add_f64 v[111:112], v[111:112], -v[101:102]
	v_fma_f64 v[97:98], v[99:100], v[125:126], v[97:98]
	v_add_f64 v[113:114], v[113:114], -v[97:98]
	ds_read2_b64 v[97:100], v94 offset0:40 offset1:41
	buffer_load_dword v85, off, s[24:27], 0 ; 4-byte Folded Reload
	buffer_load_dword v86, off, s[24:27], 0 offset:4 ; 4-byte Folded Reload
	buffer_load_dword v87, off, s[24:27], 0 offset:8 ; 4-byte Folded Reload
	;; [unrolled: 1-line block ×3, first 2 shown]
	s_waitcnt lgkmcnt(0)
	v_mul_f64 v[101:102], v[99:100], v[103:104]
	v_fma_f64 v[101:102], v[97:98], v[125:126], -v[101:102]
	v_mul_f64 v[97:98], v[97:98], v[103:104]
	v_fma_f64 v[97:98], v[99:100], v[125:126], v[97:98]
	s_waitcnt vmcnt(2)
	v_add_f64 v[85:86], v[85:86], -v[101:102]
	s_waitcnt vmcnt(0)
	v_add_f64 v[87:88], v[87:88], -v[97:98]
	buffer_store_dword v85, off, s[24:27], 0 ; 4-byte Folded Spill
	s_nop 0
	buffer_store_dword v86, off, s[24:27], 0 offset:4 ; 4-byte Folded Spill
	buffer_store_dword v87, off, s[24:27], 0 offset:8 ; 4-byte Folded Spill
	;; [unrolled: 1-line block ×3, first 2 shown]
	ds_read2_b64 v[97:100], v94 offset0:42 offset1:43
	s_waitcnt lgkmcnt(0)
	v_mul_f64 v[101:102], v[99:100], v[103:104]
	v_fma_f64 v[101:102], v[97:98], v[125:126], -v[101:102]
	v_mul_f64 v[97:98], v[97:98], v[103:104]
	v_add_f64 v[81:82], v[81:82], -v[101:102]
	v_fma_f64 v[97:98], v[99:100], v[125:126], v[97:98]
	v_add_f64 v[83:84], v[83:84], -v[97:98]
	ds_read2_b64 v[97:100], v94 offset0:44 offset1:45
	s_waitcnt lgkmcnt(0)
	v_mul_f64 v[101:102], v[99:100], v[103:104]
	v_fma_f64 v[101:102], v[97:98], v[125:126], -v[101:102]
	v_mul_f64 v[97:98], v[97:98], v[103:104]
	v_add_f64 v[77:78], v[77:78], -v[101:102]
	v_fma_f64 v[97:98], v[99:100], v[125:126], v[97:98]
	v_add_f64 v[79:80], v[79:80], -v[97:98]
	;; [unrolled: 8-line block ×21, first 2 shown]
	ds_read2_b64 v[97:100], v94 offset0:84 offset1:85
	s_waitcnt lgkmcnt(0)
	v_mul_f64 v[101:102], v[99:100], v[103:104]
	v_fma_f64 v[101:102], v[97:98], v[125:126], -v[101:102]
	v_mul_f64 v[97:98], v[97:98], v[103:104]
	v_add_f64 v[121:122], v[121:122], -v[101:102]
	v_fma_f64 v[97:98], v[99:100], v[125:126], v[97:98]
	v_mov_b32_e32 v101, v125
	v_mov_b32_e32 v102, v126
	buffer_store_dword v101, off, s[24:27], 0 offset:128 ; 4-byte Folded Spill
	s_nop 0
	buffer_store_dword v102, off, s[24:27], 0 offset:132 ; 4-byte Folded Spill
	buffer_store_dword v103, off, s[24:27], 0 offset:136 ; 4-byte Folded Spill
	;; [unrolled: 1-line block ×3, first 2 shown]
	v_add_f64 v[123:124], v[123:124], -v[97:98]
.LBB84_230:
	s_or_b64 exec, exec, s[0:1]
	s_waitcnt vmcnt(0)
	s_barrier
	buffer_load_dword v85, off, s[24:27], 0 offset:112 ; 4-byte Folded Reload
	buffer_load_dword v86, off, s[24:27], 0 offset:116 ; 4-byte Folded Reload
	;; [unrolled: 1-line block ×4, first 2 shown]
	v_lshl_add_u32 v97, v96, 4, v94
	s_cmp_lt_i32 s3, 13
	s_waitcnt vmcnt(0)
	ds_write2_b64 v97, v[85:86], v[87:88] offset1:1
	s_waitcnt lgkmcnt(0)
	s_barrier
	ds_read2_b64 v[117:120], v94 offset0:22 offset1:23
	v_mov_b32_e32 v97, 11
	s_cbranch_scc1 .LBB84_233
; %bb.231:
	v_add_u32_e32 v98, 0xc0, v94
	s_mov_b32 s0, 12
	v_mov_b32_e32 v97, 11
.LBB84_232:                             ; =>This Inner Loop Header: Depth=1
	s_waitcnt lgkmcnt(0)
	v_cmp_gt_f64_e32 vcc, 0, v[117:118]
	v_xor_b32_e32 v103, 0x80000000, v118
	ds_read2_b64 v[99:102], v98 offset1:1
	v_xor_b32_e32 v105, 0x80000000, v120
	v_add_u32_e32 v98, 16, v98
	s_waitcnt lgkmcnt(0)
	v_xor_b32_e32 v107, 0x80000000, v102
	v_cndmask_b32_e32 v104, v118, v103, vcc
	v_cmp_gt_f64_e32 vcc, 0, v[119:120]
	v_mov_b32_e32 v103, v117
	v_cndmask_b32_e32 v106, v120, v105, vcc
	v_cmp_gt_f64_e32 vcc, 0, v[99:100]
	v_mov_b32_e32 v105, v119
	v_add_f64 v[103:104], v[103:104], v[105:106]
	v_xor_b32_e32 v105, 0x80000000, v100
	v_cndmask_b32_e32 v106, v100, v105, vcc
	v_cmp_gt_f64_e32 vcc, 0, v[101:102]
	v_mov_b32_e32 v105, v99
	v_cndmask_b32_e32 v108, v102, v107, vcc
	v_mov_b32_e32 v107, v101
	v_add_f64 v[105:106], v[105:106], v[107:108]
	v_cmp_lt_f64_e32 vcc, v[103:104], v[105:106]
	v_cndmask_b32_e32 v117, v117, v99, vcc
	v_mov_b32_e32 v99, s0
	s_add_i32 s0, s0, 1
	v_cndmask_b32_e32 v118, v118, v100, vcc
	v_cndmask_b32_e32 v120, v120, v102, vcc
	;; [unrolled: 1-line block ×4, first 2 shown]
	s_cmp_lg_u32 s3, s0
	s_cbranch_scc1 .LBB84_232
.LBB84_233:
	s_waitcnt lgkmcnt(0)
	v_cmp_eq_f64_e32 vcc, 0, v[117:118]
	v_cmp_eq_f64_e64 s[0:1], 0, v[119:120]
	s_and_b64 s[0:1], vcc, s[0:1]
	s_and_saveexec_b64 s[18:19], s[0:1]
	s_xor_b64 s[0:1], exec, s[18:19]
; %bb.234:
	v_cmp_ne_u32_e32 vcc, 0, v95
	v_cndmask_b32_e32 v95, 12, v95, vcc
; %bb.235:
	s_andn2_saveexec_b64 s[0:1], s[0:1]
	s_cbranch_execz .LBB84_241
; %bb.236:
	v_cmp_ngt_f64_e64 s[18:19], |v[117:118]|, |v[119:120]|
	s_and_saveexec_b64 s[20:21], s[18:19]
	s_xor_b64 s[18:19], exec, s[20:21]
	s_cbranch_execz .LBB84_238
; %bb.237:
	v_div_scale_f64 v[98:99], s[20:21], v[119:120], v[119:120], v[117:118]
	v_rcp_f64_e32 v[100:101], v[98:99]
	v_fma_f64 v[102:103], -v[98:99], v[100:101], 1.0
	v_fma_f64 v[100:101], v[100:101], v[102:103], v[100:101]
	v_div_scale_f64 v[102:103], vcc, v[117:118], v[119:120], v[117:118]
	v_fma_f64 v[104:105], -v[98:99], v[100:101], 1.0
	v_fma_f64 v[100:101], v[100:101], v[104:105], v[100:101]
	v_mul_f64 v[104:105], v[102:103], v[100:101]
	v_fma_f64 v[98:99], -v[98:99], v[104:105], v[102:103]
	v_div_fmas_f64 v[98:99], v[98:99], v[100:101], v[104:105]
	v_div_fixup_f64 v[98:99], v[98:99], v[119:120], v[117:118]
	v_fma_f64 v[100:101], v[117:118], v[98:99], v[119:120]
	v_div_scale_f64 v[102:103], s[20:21], v[100:101], v[100:101], 1.0
	v_div_scale_f64 v[108:109], vcc, 1.0, v[100:101], 1.0
	v_rcp_f64_e32 v[104:105], v[102:103]
	v_fma_f64 v[106:107], -v[102:103], v[104:105], 1.0
	v_fma_f64 v[104:105], v[104:105], v[106:107], v[104:105]
	v_fma_f64 v[106:107], -v[102:103], v[104:105], 1.0
	v_fma_f64 v[104:105], v[104:105], v[106:107], v[104:105]
	v_mul_f64 v[106:107], v[108:109], v[104:105]
	v_fma_f64 v[102:103], -v[102:103], v[106:107], v[108:109]
	v_div_fmas_f64 v[102:103], v[102:103], v[104:105], v[106:107]
	v_div_fixup_f64 v[119:120], v[102:103], v[100:101], 1.0
	v_mul_f64 v[117:118], v[98:99], v[119:120]
	v_xor_b32_e32 v120, 0x80000000, v120
.LBB84_238:
	s_andn2_saveexec_b64 s[18:19], s[18:19]
	s_cbranch_execz .LBB84_240
; %bb.239:
	v_div_scale_f64 v[98:99], s[20:21], v[117:118], v[117:118], v[119:120]
	v_rcp_f64_e32 v[100:101], v[98:99]
	v_fma_f64 v[102:103], -v[98:99], v[100:101], 1.0
	v_fma_f64 v[100:101], v[100:101], v[102:103], v[100:101]
	v_div_scale_f64 v[102:103], vcc, v[119:120], v[117:118], v[119:120]
	v_fma_f64 v[104:105], -v[98:99], v[100:101], 1.0
	v_fma_f64 v[100:101], v[100:101], v[104:105], v[100:101]
	v_mul_f64 v[104:105], v[102:103], v[100:101]
	v_fma_f64 v[98:99], -v[98:99], v[104:105], v[102:103]
	v_div_fmas_f64 v[98:99], v[98:99], v[100:101], v[104:105]
	v_div_fixup_f64 v[98:99], v[98:99], v[117:118], v[119:120]
	v_fma_f64 v[100:101], v[119:120], v[98:99], v[117:118]
	v_div_scale_f64 v[102:103], s[20:21], v[100:101], v[100:101], 1.0
	v_div_scale_f64 v[108:109], vcc, 1.0, v[100:101], 1.0
	v_rcp_f64_e32 v[104:105], v[102:103]
	v_fma_f64 v[106:107], -v[102:103], v[104:105], 1.0
	v_fma_f64 v[104:105], v[104:105], v[106:107], v[104:105]
	v_fma_f64 v[106:107], -v[102:103], v[104:105], 1.0
	v_fma_f64 v[104:105], v[104:105], v[106:107], v[104:105]
	v_mul_f64 v[106:107], v[108:109], v[104:105]
	v_fma_f64 v[102:103], -v[102:103], v[106:107], v[108:109]
	v_div_fmas_f64 v[102:103], v[102:103], v[104:105], v[106:107]
	v_div_fixup_f64 v[117:118], v[102:103], v[100:101], 1.0
	v_mul_f64 v[119:120], v[98:99], -v[117:118]
.LBB84_240:
	s_or_b64 exec, exec, s[18:19]
.LBB84_241:
	s_or_b64 exec, exec, s[0:1]
	v_cmp_ne_u32_e32 vcc, v96, v97
	s_and_saveexec_b64 s[0:1], vcc
	s_xor_b64 s[0:1], exec, s[0:1]
	s_cbranch_execz .LBB84_247
; %bb.242:
	v_cmp_eq_u32_e32 vcc, 11, v96
	s_and_saveexec_b64 s[18:19], vcc
	s_cbranch_execz .LBB84_246
; %bb.243:
	v_cmp_ne_u32_e32 vcc, 11, v97
	s_xor_b64 s[20:21], s[6:7], -1
	s_and_b64 s[22:23], s[20:21], vcc
	s_and_saveexec_b64 s[20:21], s[22:23]
	s_cbranch_execz .LBB84_245
; %bb.244:
	v_mov_b32_e32 v85, v89
	v_mov_b32_e32 v86, v90
	v_mov_b32_e32 v87, v91
	v_mov_b32_e32 v88, v92
	buffer_load_dword v89, off, s[24:27], 0 offset:272 ; 4-byte Folded Reload
	buffer_load_dword v90, off, s[24:27], 0 offset:276 ; 4-byte Folded Reload
	v_ashrrev_i32_e32 v98, 31, v97
	v_lshlrev_b64 v[98:99], 2, v[97:98]
	s_waitcnt vmcnt(1)
	v_add_co_u32_e32 v98, vcc, v89, v98
	s_waitcnt vmcnt(0)
	v_addc_co_u32_e32 v99, vcc, v90, v99, vcc
	global_load_dword v0, v[98:99], off
	global_load_dword v96, v[89:90], off offset:44
	s_waitcnt vmcnt(1)
	global_store_dword v[89:90], v0, off offset:44
	v_mov_b32_e32 v92, v88
	v_mov_b32_e32 v91, v87
	;; [unrolled: 1-line block ×4, first 2 shown]
	s_waitcnt vmcnt(1)
	global_store_dword v[98:99], v96, off
.LBB84_245:
	s_or_b64 exec, exec, s[20:21]
	v_mov_b32_e32 v96, v97
	v_mov_b32_e32 v0, v97
.LBB84_246:
	s_or_b64 exec, exec, s[18:19]
.LBB84_247:
	s_andn2_saveexec_b64 s[0:1], s[0:1]
	s_cbranch_execz .LBB84_249
; %bb.248:
	buffer_load_dword v85, off, s[24:27], 0 offset:96 ; 4-byte Folded Reload
	buffer_load_dword v86, off, s[24:27], 0 offset:100 ; 4-byte Folded Reload
	;; [unrolled: 1-line block ×4, first 2 shown]
	v_mov_b32_e32 v96, 11
	s_waitcnt vmcnt(0)
	ds_write2_b64 v94, v[85:86], v[87:88] offset0:24 offset1:25
	buffer_load_dword v85, off, s[24:27], 0 offset:80 ; 4-byte Folded Reload
	buffer_load_dword v86, off, s[24:27], 0 offset:84 ; 4-byte Folded Reload
	buffer_load_dword v87, off, s[24:27], 0 offset:88 ; 4-byte Folded Reload
	buffer_load_dword v88, off, s[24:27], 0 offset:92 ; 4-byte Folded Reload
	s_waitcnt vmcnt(0)
	ds_write2_b64 v94, v[85:86], v[87:88] offset0:26 offset1:27
	buffer_load_dword v85, off, s[24:27], 0 offset:64 ; 4-byte Folded Reload
	buffer_load_dword v86, off, s[24:27], 0 offset:68 ; 4-byte Folded Reload
	buffer_load_dword v87, off, s[24:27], 0 offset:72 ; 4-byte Folded Reload
	buffer_load_dword v88, off, s[24:27], 0 offset:76 ; 4-byte Folded Reload
	;; [unrolled: 6-line block ×5, first 2 shown]
	s_waitcnt vmcnt(0)
	ds_write2_b64 v94, v[85:86], v[87:88] offset0:34 offset1:35
	ds_write2_b64 v94, v[89:90], v[91:92] offset0:36 offset1:37
	;; [unrolled: 1-line block ×3, first 2 shown]
	buffer_load_dword v85, off, s[24:27], 0 ; 4-byte Folded Reload
	buffer_load_dword v86, off, s[24:27], 0 offset:4 ; 4-byte Folded Reload
	buffer_load_dword v87, off, s[24:27], 0 offset:8 ; 4-byte Folded Reload
	;; [unrolled: 1-line block ×3, first 2 shown]
	s_waitcnt vmcnt(0)
	ds_write2_b64 v94, v[85:86], v[87:88] offset0:40 offset1:41
	ds_write2_b64 v94, v[81:82], v[83:84] offset0:42 offset1:43
	;; [unrolled: 1-line block ×23, first 2 shown]
.LBB84_249:
	s_or_b64 exec, exec, s[0:1]
	v_cmp_lt_i32_e32 vcc, 11, v96
	s_waitcnt vmcnt(0) lgkmcnt(0)
	s_barrier
	s_and_saveexec_b64 s[0:1], vcc
	s_cbranch_execz .LBB84_251
; %bb.250:
	buffer_load_dword v101, off, s[24:27], 0 offset:112 ; 4-byte Folded Reload
	buffer_load_dword v102, off, s[24:27], 0 offset:116 ; 4-byte Folded Reload
	;; [unrolled: 1-line block ×4, first 2 shown]
	s_waitcnt vmcnt(0)
	v_mul_f64 v[97:98], v[119:120], v[103:104]
	v_fma_f64 v[125:126], v[117:118], v[101:102], -v[97:98]
	v_mul_f64 v[97:98], v[117:118], v[103:104]
	v_fma_f64 v[103:104], v[119:120], v[101:102], v[97:98]
	ds_read2_b64 v[97:100], v94 offset0:24 offset1:25
	buffer_load_dword v85, off, s[24:27], 0 offset:96 ; 4-byte Folded Reload
	buffer_load_dword v86, off, s[24:27], 0 offset:100 ; 4-byte Folded Reload
	buffer_load_dword v87, off, s[24:27], 0 offset:104 ; 4-byte Folded Reload
	buffer_load_dword v88, off, s[24:27], 0 offset:108 ; 4-byte Folded Reload
	s_waitcnt lgkmcnt(0)
	v_mul_f64 v[101:102], v[99:100], v[103:104]
	v_fma_f64 v[101:102], v[97:98], v[125:126], -v[101:102]
	v_mul_f64 v[97:98], v[97:98], v[103:104]
	v_fma_f64 v[97:98], v[99:100], v[125:126], v[97:98]
	s_waitcnt vmcnt(2)
	v_add_f64 v[85:86], v[85:86], -v[101:102]
	s_waitcnt vmcnt(0)
	v_add_f64 v[87:88], v[87:88], -v[97:98]
	buffer_store_dword v85, off, s[24:27], 0 offset:96 ; 4-byte Folded Spill
	s_nop 0
	buffer_store_dword v86, off, s[24:27], 0 offset:100 ; 4-byte Folded Spill
	buffer_store_dword v87, off, s[24:27], 0 offset:104 ; 4-byte Folded Spill
	buffer_store_dword v88, off, s[24:27], 0 offset:108 ; 4-byte Folded Spill
	ds_read2_b64 v[97:100], v94 offset0:26 offset1:27
	buffer_load_dword v85, off, s[24:27], 0 offset:80 ; 4-byte Folded Reload
	buffer_load_dword v86, off, s[24:27], 0 offset:84 ; 4-byte Folded Reload
	buffer_load_dword v87, off, s[24:27], 0 offset:88 ; 4-byte Folded Reload
	buffer_load_dword v88, off, s[24:27], 0 offset:92 ; 4-byte Folded Reload
	s_waitcnt lgkmcnt(0)
	v_mul_f64 v[101:102], v[99:100], v[103:104]
	v_fma_f64 v[101:102], v[97:98], v[125:126], -v[101:102]
	v_mul_f64 v[97:98], v[97:98], v[103:104]
	v_fma_f64 v[97:98], v[99:100], v[125:126], v[97:98]
	s_waitcnt vmcnt(2)
	v_add_f64 v[85:86], v[85:86], -v[101:102]
	s_waitcnt vmcnt(0)
	v_add_f64 v[87:88], v[87:88], -v[97:98]
	buffer_store_dword v85, off, s[24:27], 0 offset:80 ; 4-byte Folded Spill
	s_nop 0
	buffer_store_dword v86, off, s[24:27], 0 offset:84 ; 4-byte Folded Spill
	buffer_store_dword v87, off, s[24:27], 0 offset:88 ; 4-byte Folded Spill
	buffer_store_dword v88, off, s[24:27], 0 offset:92 ; 4-byte Folded Spill
	;; [unrolled: 19-line block ×6, first 2 shown]
	ds_read2_b64 v[97:100], v94 offset0:36 offset1:37
	s_waitcnt lgkmcnt(0)
	v_mul_f64 v[101:102], v[99:100], v[103:104]
	v_fma_f64 v[101:102], v[97:98], v[125:126], -v[101:102]
	v_mul_f64 v[97:98], v[97:98], v[103:104]
	v_add_f64 v[89:90], v[89:90], -v[101:102]
	v_fma_f64 v[97:98], v[99:100], v[125:126], v[97:98]
	v_add_f64 v[91:92], v[91:92], -v[97:98]
	ds_read2_b64 v[97:100], v94 offset0:38 offset1:39
	s_waitcnt lgkmcnt(0)
	v_mul_f64 v[101:102], v[99:100], v[103:104]
	v_fma_f64 v[101:102], v[97:98], v[125:126], -v[101:102]
	v_mul_f64 v[97:98], v[97:98], v[103:104]
	v_add_f64 v[111:112], v[111:112], -v[101:102]
	v_fma_f64 v[97:98], v[99:100], v[125:126], v[97:98]
	v_add_f64 v[113:114], v[113:114], -v[97:98]
	ds_read2_b64 v[97:100], v94 offset0:40 offset1:41
	buffer_load_dword v85, off, s[24:27], 0 ; 4-byte Folded Reload
	buffer_load_dword v86, off, s[24:27], 0 offset:4 ; 4-byte Folded Reload
	buffer_load_dword v87, off, s[24:27], 0 offset:8 ; 4-byte Folded Reload
	;; [unrolled: 1-line block ×3, first 2 shown]
	s_waitcnt lgkmcnt(0)
	v_mul_f64 v[101:102], v[99:100], v[103:104]
	v_fma_f64 v[101:102], v[97:98], v[125:126], -v[101:102]
	v_mul_f64 v[97:98], v[97:98], v[103:104]
	v_fma_f64 v[97:98], v[99:100], v[125:126], v[97:98]
	s_waitcnt vmcnt(2)
	v_add_f64 v[85:86], v[85:86], -v[101:102]
	s_waitcnt vmcnt(0)
	v_add_f64 v[87:88], v[87:88], -v[97:98]
	buffer_store_dword v85, off, s[24:27], 0 ; 4-byte Folded Spill
	s_nop 0
	buffer_store_dword v86, off, s[24:27], 0 offset:4 ; 4-byte Folded Spill
	buffer_store_dword v87, off, s[24:27], 0 offset:8 ; 4-byte Folded Spill
	;; [unrolled: 1-line block ×3, first 2 shown]
	ds_read2_b64 v[97:100], v94 offset0:42 offset1:43
	s_waitcnt lgkmcnt(0)
	v_mul_f64 v[101:102], v[99:100], v[103:104]
	v_fma_f64 v[101:102], v[97:98], v[125:126], -v[101:102]
	v_mul_f64 v[97:98], v[97:98], v[103:104]
	v_add_f64 v[81:82], v[81:82], -v[101:102]
	v_fma_f64 v[97:98], v[99:100], v[125:126], v[97:98]
	v_add_f64 v[83:84], v[83:84], -v[97:98]
	ds_read2_b64 v[97:100], v94 offset0:44 offset1:45
	s_waitcnt lgkmcnt(0)
	v_mul_f64 v[101:102], v[99:100], v[103:104]
	v_fma_f64 v[101:102], v[97:98], v[125:126], -v[101:102]
	v_mul_f64 v[97:98], v[97:98], v[103:104]
	v_add_f64 v[77:78], v[77:78], -v[101:102]
	v_fma_f64 v[97:98], v[99:100], v[125:126], v[97:98]
	v_add_f64 v[79:80], v[79:80], -v[97:98]
	;; [unrolled: 8-line block ×21, first 2 shown]
	ds_read2_b64 v[97:100], v94 offset0:84 offset1:85
	s_waitcnt lgkmcnt(0)
	v_mul_f64 v[101:102], v[99:100], v[103:104]
	v_fma_f64 v[101:102], v[97:98], v[125:126], -v[101:102]
	v_mul_f64 v[97:98], v[97:98], v[103:104]
	v_add_f64 v[121:122], v[121:122], -v[101:102]
	v_fma_f64 v[97:98], v[99:100], v[125:126], v[97:98]
	v_mov_b32_e32 v101, v125
	v_mov_b32_e32 v102, v126
	buffer_store_dword v101, off, s[24:27], 0 offset:112 ; 4-byte Folded Spill
	s_nop 0
	buffer_store_dword v102, off, s[24:27], 0 offset:116 ; 4-byte Folded Spill
	buffer_store_dword v103, off, s[24:27], 0 offset:120 ; 4-byte Folded Spill
	;; [unrolled: 1-line block ×3, first 2 shown]
	v_add_f64 v[123:124], v[123:124], -v[97:98]
.LBB84_251:
	s_or_b64 exec, exec, s[0:1]
	s_waitcnt vmcnt(0)
	s_barrier
	buffer_load_dword v85, off, s[24:27], 0 offset:96 ; 4-byte Folded Reload
	buffer_load_dword v86, off, s[24:27], 0 offset:100 ; 4-byte Folded Reload
	;; [unrolled: 1-line block ×4, first 2 shown]
	v_lshl_add_u32 v97, v96, 4, v94
	s_cmp_lt_i32 s3, 14
	s_waitcnt vmcnt(0)
	ds_write2_b64 v97, v[85:86], v[87:88] offset1:1
	s_waitcnt lgkmcnt(0)
	s_barrier
	ds_read2_b64 v[117:120], v94 offset0:24 offset1:25
	v_mov_b32_e32 v97, 12
	s_cbranch_scc1 .LBB84_254
; %bb.252:
	v_add_u32_e32 v98, 0xd0, v94
	s_mov_b32 s0, 13
	v_mov_b32_e32 v97, 12
.LBB84_253:                             ; =>This Inner Loop Header: Depth=1
	s_waitcnt lgkmcnt(0)
	v_cmp_gt_f64_e32 vcc, 0, v[117:118]
	v_xor_b32_e32 v103, 0x80000000, v118
	ds_read2_b64 v[99:102], v98 offset1:1
	v_xor_b32_e32 v105, 0x80000000, v120
	v_add_u32_e32 v98, 16, v98
	s_waitcnt lgkmcnt(0)
	v_xor_b32_e32 v107, 0x80000000, v102
	v_cndmask_b32_e32 v104, v118, v103, vcc
	v_cmp_gt_f64_e32 vcc, 0, v[119:120]
	v_mov_b32_e32 v103, v117
	v_cndmask_b32_e32 v106, v120, v105, vcc
	v_cmp_gt_f64_e32 vcc, 0, v[99:100]
	v_mov_b32_e32 v105, v119
	v_add_f64 v[103:104], v[103:104], v[105:106]
	v_xor_b32_e32 v105, 0x80000000, v100
	v_cndmask_b32_e32 v106, v100, v105, vcc
	v_cmp_gt_f64_e32 vcc, 0, v[101:102]
	v_mov_b32_e32 v105, v99
	v_cndmask_b32_e32 v108, v102, v107, vcc
	v_mov_b32_e32 v107, v101
	v_add_f64 v[105:106], v[105:106], v[107:108]
	v_cmp_lt_f64_e32 vcc, v[103:104], v[105:106]
	v_cndmask_b32_e32 v117, v117, v99, vcc
	v_mov_b32_e32 v99, s0
	s_add_i32 s0, s0, 1
	v_cndmask_b32_e32 v118, v118, v100, vcc
	v_cndmask_b32_e32 v120, v120, v102, vcc
	;; [unrolled: 1-line block ×4, first 2 shown]
	s_cmp_lg_u32 s3, s0
	s_cbranch_scc1 .LBB84_253
.LBB84_254:
	s_waitcnt lgkmcnt(0)
	v_cmp_eq_f64_e32 vcc, 0, v[117:118]
	v_cmp_eq_f64_e64 s[0:1], 0, v[119:120]
	s_and_b64 s[0:1], vcc, s[0:1]
	s_and_saveexec_b64 s[18:19], s[0:1]
	s_xor_b64 s[0:1], exec, s[18:19]
; %bb.255:
	v_cmp_ne_u32_e32 vcc, 0, v95
	v_cndmask_b32_e32 v95, 13, v95, vcc
; %bb.256:
	s_andn2_saveexec_b64 s[0:1], s[0:1]
	s_cbranch_execz .LBB84_262
; %bb.257:
	v_cmp_ngt_f64_e64 s[18:19], |v[117:118]|, |v[119:120]|
	s_and_saveexec_b64 s[20:21], s[18:19]
	s_xor_b64 s[18:19], exec, s[20:21]
	s_cbranch_execz .LBB84_259
; %bb.258:
	v_div_scale_f64 v[98:99], s[20:21], v[119:120], v[119:120], v[117:118]
	v_rcp_f64_e32 v[100:101], v[98:99]
	v_fma_f64 v[102:103], -v[98:99], v[100:101], 1.0
	v_fma_f64 v[100:101], v[100:101], v[102:103], v[100:101]
	v_div_scale_f64 v[102:103], vcc, v[117:118], v[119:120], v[117:118]
	v_fma_f64 v[104:105], -v[98:99], v[100:101], 1.0
	v_fma_f64 v[100:101], v[100:101], v[104:105], v[100:101]
	v_mul_f64 v[104:105], v[102:103], v[100:101]
	v_fma_f64 v[98:99], -v[98:99], v[104:105], v[102:103]
	v_div_fmas_f64 v[98:99], v[98:99], v[100:101], v[104:105]
	v_div_fixup_f64 v[98:99], v[98:99], v[119:120], v[117:118]
	v_fma_f64 v[100:101], v[117:118], v[98:99], v[119:120]
	v_div_scale_f64 v[102:103], s[20:21], v[100:101], v[100:101], 1.0
	v_div_scale_f64 v[108:109], vcc, 1.0, v[100:101], 1.0
	v_rcp_f64_e32 v[104:105], v[102:103]
	v_fma_f64 v[106:107], -v[102:103], v[104:105], 1.0
	v_fma_f64 v[104:105], v[104:105], v[106:107], v[104:105]
	v_fma_f64 v[106:107], -v[102:103], v[104:105], 1.0
	v_fma_f64 v[104:105], v[104:105], v[106:107], v[104:105]
	v_mul_f64 v[106:107], v[108:109], v[104:105]
	v_fma_f64 v[102:103], -v[102:103], v[106:107], v[108:109]
	v_div_fmas_f64 v[102:103], v[102:103], v[104:105], v[106:107]
	v_div_fixup_f64 v[119:120], v[102:103], v[100:101], 1.0
	v_mul_f64 v[117:118], v[98:99], v[119:120]
	v_xor_b32_e32 v120, 0x80000000, v120
.LBB84_259:
	s_andn2_saveexec_b64 s[18:19], s[18:19]
	s_cbranch_execz .LBB84_261
; %bb.260:
	v_div_scale_f64 v[98:99], s[20:21], v[117:118], v[117:118], v[119:120]
	v_rcp_f64_e32 v[100:101], v[98:99]
	v_fma_f64 v[102:103], -v[98:99], v[100:101], 1.0
	v_fma_f64 v[100:101], v[100:101], v[102:103], v[100:101]
	v_div_scale_f64 v[102:103], vcc, v[119:120], v[117:118], v[119:120]
	v_fma_f64 v[104:105], -v[98:99], v[100:101], 1.0
	v_fma_f64 v[100:101], v[100:101], v[104:105], v[100:101]
	v_mul_f64 v[104:105], v[102:103], v[100:101]
	v_fma_f64 v[98:99], -v[98:99], v[104:105], v[102:103]
	v_div_fmas_f64 v[98:99], v[98:99], v[100:101], v[104:105]
	v_div_fixup_f64 v[98:99], v[98:99], v[117:118], v[119:120]
	v_fma_f64 v[100:101], v[119:120], v[98:99], v[117:118]
	v_div_scale_f64 v[102:103], s[20:21], v[100:101], v[100:101], 1.0
	v_div_scale_f64 v[108:109], vcc, 1.0, v[100:101], 1.0
	v_rcp_f64_e32 v[104:105], v[102:103]
	v_fma_f64 v[106:107], -v[102:103], v[104:105], 1.0
	v_fma_f64 v[104:105], v[104:105], v[106:107], v[104:105]
	v_fma_f64 v[106:107], -v[102:103], v[104:105], 1.0
	v_fma_f64 v[104:105], v[104:105], v[106:107], v[104:105]
	v_mul_f64 v[106:107], v[108:109], v[104:105]
	v_fma_f64 v[102:103], -v[102:103], v[106:107], v[108:109]
	v_div_fmas_f64 v[102:103], v[102:103], v[104:105], v[106:107]
	v_div_fixup_f64 v[117:118], v[102:103], v[100:101], 1.0
	v_mul_f64 v[119:120], v[98:99], -v[117:118]
.LBB84_261:
	s_or_b64 exec, exec, s[18:19]
.LBB84_262:
	s_or_b64 exec, exec, s[0:1]
	v_cmp_ne_u32_e32 vcc, v96, v97
	s_and_saveexec_b64 s[0:1], vcc
	s_xor_b64 s[0:1], exec, s[0:1]
	s_cbranch_execz .LBB84_268
; %bb.263:
	v_cmp_eq_u32_e32 vcc, 12, v96
	s_and_saveexec_b64 s[18:19], vcc
	s_cbranch_execz .LBB84_267
; %bb.264:
	v_cmp_ne_u32_e32 vcc, 12, v97
	s_xor_b64 s[20:21], s[6:7], -1
	s_and_b64 s[22:23], s[20:21], vcc
	s_and_saveexec_b64 s[20:21], s[22:23]
	s_cbranch_execz .LBB84_266
; %bb.265:
	v_mov_b32_e32 v85, v89
	v_mov_b32_e32 v86, v90
	;; [unrolled: 1-line block ×4, first 2 shown]
	buffer_load_dword v89, off, s[24:27], 0 offset:272 ; 4-byte Folded Reload
	buffer_load_dword v90, off, s[24:27], 0 offset:276 ; 4-byte Folded Reload
	v_ashrrev_i32_e32 v98, 31, v97
	v_lshlrev_b64 v[98:99], 2, v[97:98]
	s_waitcnt vmcnt(1)
	v_add_co_u32_e32 v98, vcc, v89, v98
	s_waitcnt vmcnt(0)
	v_addc_co_u32_e32 v99, vcc, v90, v99, vcc
	global_load_dword v0, v[98:99], off
	global_load_dword v96, v[89:90], off offset:48
	s_waitcnt vmcnt(1)
	global_store_dword v[89:90], v0, off offset:48
	v_mov_b32_e32 v92, v88
	v_mov_b32_e32 v91, v87
	;; [unrolled: 1-line block ×4, first 2 shown]
	s_waitcnt vmcnt(1)
	global_store_dword v[98:99], v96, off
.LBB84_266:
	s_or_b64 exec, exec, s[20:21]
	v_mov_b32_e32 v96, v97
	v_mov_b32_e32 v0, v97
.LBB84_267:
	s_or_b64 exec, exec, s[18:19]
.LBB84_268:
	s_andn2_saveexec_b64 s[0:1], s[0:1]
	s_cbranch_execz .LBB84_270
; %bb.269:
	buffer_load_dword v85, off, s[24:27], 0 offset:80 ; 4-byte Folded Reload
	buffer_load_dword v86, off, s[24:27], 0 offset:84 ; 4-byte Folded Reload
	;; [unrolled: 1-line block ×4, first 2 shown]
	v_mov_b32_e32 v96, 12
	s_waitcnt vmcnt(0)
	ds_write2_b64 v94, v[85:86], v[87:88] offset0:26 offset1:27
	buffer_load_dword v85, off, s[24:27], 0 offset:64 ; 4-byte Folded Reload
	buffer_load_dword v86, off, s[24:27], 0 offset:68 ; 4-byte Folded Reload
	buffer_load_dword v87, off, s[24:27], 0 offset:72 ; 4-byte Folded Reload
	buffer_load_dword v88, off, s[24:27], 0 offset:76 ; 4-byte Folded Reload
	s_waitcnt vmcnt(0)
	ds_write2_b64 v94, v[85:86], v[87:88] offset0:28 offset1:29
	buffer_load_dword v85, off, s[24:27], 0 offset:48 ; 4-byte Folded Reload
	buffer_load_dword v86, off, s[24:27], 0 offset:52 ; 4-byte Folded Reload
	buffer_load_dword v87, off, s[24:27], 0 offset:56 ; 4-byte Folded Reload
	buffer_load_dword v88, off, s[24:27], 0 offset:60 ; 4-byte Folded Reload
	;; [unrolled: 6-line block ×4, first 2 shown]
	s_waitcnt vmcnt(0)
	ds_write2_b64 v94, v[85:86], v[87:88] offset0:34 offset1:35
	ds_write2_b64 v94, v[89:90], v[91:92] offset0:36 offset1:37
	;; [unrolled: 1-line block ×3, first 2 shown]
	buffer_load_dword v85, off, s[24:27], 0 ; 4-byte Folded Reload
	buffer_load_dword v86, off, s[24:27], 0 offset:4 ; 4-byte Folded Reload
	buffer_load_dword v87, off, s[24:27], 0 offset:8 ; 4-byte Folded Reload
	;; [unrolled: 1-line block ×3, first 2 shown]
	s_waitcnt vmcnt(0)
	ds_write2_b64 v94, v[85:86], v[87:88] offset0:40 offset1:41
	ds_write2_b64 v94, v[81:82], v[83:84] offset0:42 offset1:43
	;; [unrolled: 1-line block ×23, first 2 shown]
.LBB84_270:
	s_or_b64 exec, exec, s[0:1]
	v_cmp_lt_i32_e32 vcc, 12, v96
	s_waitcnt vmcnt(0) lgkmcnt(0)
	s_barrier
	s_and_saveexec_b64 s[0:1], vcc
	s_cbranch_execz .LBB84_272
; %bb.271:
	buffer_load_dword v101, off, s[24:27], 0 offset:96 ; 4-byte Folded Reload
	buffer_load_dword v102, off, s[24:27], 0 offset:100 ; 4-byte Folded Reload
	buffer_load_dword v103, off, s[24:27], 0 offset:104 ; 4-byte Folded Reload
	buffer_load_dword v104, off, s[24:27], 0 offset:108 ; 4-byte Folded Reload
	s_waitcnt vmcnt(0)
	v_mul_f64 v[97:98], v[119:120], v[103:104]
	v_fma_f64 v[125:126], v[117:118], v[101:102], -v[97:98]
	v_mul_f64 v[97:98], v[117:118], v[103:104]
	v_fma_f64 v[103:104], v[119:120], v[101:102], v[97:98]
	ds_read2_b64 v[97:100], v94 offset0:26 offset1:27
	buffer_load_dword v85, off, s[24:27], 0 offset:80 ; 4-byte Folded Reload
	buffer_load_dword v86, off, s[24:27], 0 offset:84 ; 4-byte Folded Reload
	buffer_load_dword v87, off, s[24:27], 0 offset:88 ; 4-byte Folded Reload
	buffer_load_dword v88, off, s[24:27], 0 offset:92 ; 4-byte Folded Reload
	s_waitcnt lgkmcnt(0)
	v_mul_f64 v[101:102], v[99:100], v[103:104]
	v_fma_f64 v[101:102], v[97:98], v[125:126], -v[101:102]
	v_mul_f64 v[97:98], v[97:98], v[103:104]
	v_fma_f64 v[97:98], v[99:100], v[125:126], v[97:98]
	s_waitcnt vmcnt(2)
	v_add_f64 v[85:86], v[85:86], -v[101:102]
	s_waitcnt vmcnt(0)
	v_add_f64 v[87:88], v[87:88], -v[97:98]
	buffer_store_dword v85, off, s[24:27], 0 offset:80 ; 4-byte Folded Spill
	s_nop 0
	buffer_store_dword v86, off, s[24:27], 0 offset:84 ; 4-byte Folded Spill
	buffer_store_dword v87, off, s[24:27], 0 offset:88 ; 4-byte Folded Spill
	buffer_store_dword v88, off, s[24:27], 0 offset:92 ; 4-byte Folded Spill
	ds_read2_b64 v[97:100], v94 offset0:28 offset1:29
	buffer_load_dword v85, off, s[24:27], 0 offset:64 ; 4-byte Folded Reload
	buffer_load_dword v86, off, s[24:27], 0 offset:68 ; 4-byte Folded Reload
	buffer_load_dword v87, off, s[24:27], 0 offset:72 ; 4-byte Folded Reload
	buffer_load_dword v88, off, s[24:27], 0 offset:76 ; 4-byte Folded Reload
	s_waitcnt lgkmcnt(0)
	v_mul_f64 v[101:102], v[99:100], v[103:104]
	v_fma_f64 v[101:102], v[97:98], v[125:126], -v[101:102]
	v_mul_f64 v[97:98], v[97:98], v[103:104]
	v_fma_f64 v[97:98], v[99:100], v[125:126], v[97:98]
	s_waitcnt vmcnt(2)
	v_add_f64 v[85:86], v[85:86], -v[101:102]
	s_waitcnt vmcnt(0)
	v_add_f64 v[87:88], v[87:88], -v[97:98]
	buffer_store_dword v85, off, s[24:27], 0 offset:64 ; 4-byte Folded Spill
	s_nop 0
	buffer_store_dword v86, off, s[24:27], 0 offset:68 ; 4-byte Folded Spill
	buffer_store_dword v87, off, s[24:27], 0 offset:72 ; 4-byte Folded Spill
	buffer_store_dword v88, off, s[24:27], 0 offset:76 ; 4-byte Folded Spill
	;; [unrolled: 19-line block ×5, first 2 shown]
	ds_read2_b64 v[97:100], v94 offset0:36 offset1:37
	s_waitcnt lgkmcnt(0)
	v_mul_f64 v[101:102], v[99:100], v[103:104]
	v_fma_f64 v[101:102], v[97:98], v[125:126], -v[101:102]
	v_mul_f64 v[97:98], v[97:98], v[103:104]
	v_add_f64 v[89:90], v[89:90], -v[101:102]
	v_fma_f64 v[97:98], v[99:100], v[125:126], v[97:98]
	v_add_f64 v[91:92], v[91:92], -v[97:98]
	ds_read2_b64 v[97:100], v94 offset0:38 offset1:39
	s_waitcnt lgkmcnt(0)
	v_mul_f64 v[101:102], v[99:100], v[103:104]
	v_fma_f64 v[101:102], v[97:98], v[125:126], -v[101:102]
	v_mul_f64 v[97:98], v[97:98], v[103:104]
	v_add_f64 v[111:112], v[111:112], -v[101:102]
	v_fma_f64 v[97:98], v[99:100], v[125:126], v[97:98]
	v_add_f64 v[113:114], v[113:114], -v[97:98]
	ds_read2_b64 v[97:100], v94 offset0:40 offset1:41
	buffer_load_dword v85, off, s[24:27], 0 ; 4-byte Folded Reload
	buffer_load_dword v86, off, s[24:27], 0 offset:4 ; 4-byte Folded Reload
	buffer_load_dword v87, off, s[24:27], 0 offset:8 ; 4-byte Folded Reload
	;; [unrolled: 1-line block ×3, first 2 shown]
	s_waitcnt lgkmcnt(0)
	v_mul_f64 v[101:102], v[99:100], v[103:104]
	v_fma_f64 v[101:102], v[97:98], v[125:126], -v[101:102]
	v_mul_f64 v[97:98], v[97:98], v[103:104]
	v_fma_f64 v[97:98], v[99:100], v[125:126], v[97:98]
	s_waitcnt vmcnt(2)
	v_add_f64 v[85:86], v[85:86], -v[101:102]
	s_waitcnt vmcnt(0)
	v_add_f64 v[87:88], v[87:88], -v[97:98]
	buffer_store_dword v85, off, s[24:27], 0 ; 4-byte Folded Spill
	s_nop 0
	buffer_store_dword v86, off, s[24:27], 0 offset:4 ; 4-byte Folded Spill
	buffer_store_dword v87, off, s[24:27], 0 offset:8 ; 4-byte Folded Spill
	;; [unrolled: 1-line block ×3, first 2 shown]
	ds_read2_b64 v[97:100], v94 offset0:42 offset1:43
	s_waitcnt lgkmcnt(0)
	v_mul_f64 v[101:102], v[99:100], v[103:104]
	v_fma_f64 v[101:102], v[97:98], v[125:126], -v[101:102]
	v_mul_f64 v[97:98], v[97:98], v[103:104]
	v_add_f64 v[81:82], v[81:82], -v[101:102]
	v_fma_f64 v[97:98], v[99:100], v[125:126], v[97:98]
	v_add_f64 v[83:84], v[83:84], -v[97:98]
	ds_read2_b64 v[97:100], v94 offset0:44 offset1:45
	s_waitcnt lgkmcnt(0)
	v_mul_f64 v[101:102], v[99:100], v[103:104]
	v_fma_f64 v[101:102], v[97:98], v[125:126], -v[101:102]
	v_mul_f64 v[97:98], v[97:98], v[103:104]
	v_add_f64 v[77:78], v[77:78], -v[101:102]
	v_fma_f64 v[97:98], v[99:100], v[125:126], v[97:98]
	v_add_f64 v[79:80], v[79:80], -v[97:98]
	;; [unrolled: 8-line block ×21, first 2 shown]
	ds_read2_b64 v[97:100], v94 offset0:84 offset1:85
	s_waitcnt lgkmcnt(0)
	v_mul_f64 v[101:102], v[99:100], v[103:104]
	v_fma_f64 v[101:102], v[97:98], v[125:126], -v[101:102]
	v_mul_f64 v[97:98], v[97:98], v[103:104]
	v_add_f64 v[121:122], v[121:122], -v[101:102]
	v_fma_f64 v[97:98], v[99:100], v[125:126], v[97:98]
	v_mov_b32_e32 v101, v125
	v_mov_b32_e32 v102, v126
	buffer_store_dword v101, off, s[24:27], 0 offset:96 ; 4-byte Folded Spill
	s_nop 0
	buffer_store_dword v102, off, s[24:27], 0 offset:100 ; 4-byte Folded Spill
	buffer_store_dword v103, off, s[24:27], 0 offset:104 ; 4-byte Folded Spill
	;; [unrolled: 1-line block ×3, first 2 shown]
	v_add_f64 v[123:124], v[123:124], -v[97:98]
.LBB84_272:
	s_or_b64 exec, exec, s[0:1]
	s_waitcnt vmcnt(0)
	s_barrier
	buffer_load_dword v85, off, s[24:27], 0 offset:80 ; 4-byte Folded Reload
	buffer_load_dword v86, off, s[24:27], 0 offset:84 ; 4-byte Folded Reload
	;; [unrolled: 1-line block ×4, first 2 shown]
	v_lshl_add_u32 v97, v96, 4, v94
	s_cmp_lt_i32 s3, 15
	s_waitcnt vmcnt(0)
	ds_write2_b64 v97, v[85:86], v[87:88] offset1:1
	s_waitcnt lgkmcnt(0)
	s_barrier
	ds_read2_b64 v[117:120], v94 offset0:26 offset1:27
	v_mov_b32_e32 v97, 13
	s_cbranch_scc1 .LBB84_275
; %bb.273:
	v_add_u32_e32 v98, 0xe0, v94
	s_mov_b32 s0, 14
	v_mov_b32_e32 v97, 13
.LBB84_274:                             ; =>This Inner Loop Header: Depth=1
	s_waitcnt lgkmcnt(0)
	v_cmp_gt_f64_e32 vcc, 0, v[117:118]
	v_xor_b32_e32 v103, 0x80000000, v118
	ds_read2_b64 v[99:102], v98 offset1:1
	v_xor_b32_e32 v105, 0x80000000, v120
	v_add_u32_e32 v98, 16, v98
	s_waitcnt lgkmcnt(0)
	v_xor_b32_e32 v107, 0x80000000, v102
	v_cndmask_b32_e32 v104, v118, v103, vcc
	v_cmp_gt_f64_e32 vcc, 0, v[119:120]
	v_mov_b32_e32 v103, v117
	v_cndmask_b32_e32 v106, v120, v105, vcc
	v_cmp_gt_f64_e32 vcc, 0, v[99:100]
	v_mov_b32_e32 v105, v119
	v_add_f64 v[103:104], v[103:104], v[105:106]
	v_xor_b32_e32 v105, 0x80000000, v100
	v_cndmask_b32_e32 v106, v100, v105, vcc
	v_cmp_gt_f64_e32 vcc, 0, v[101:102]
	v_mov_b32_e32 v105, v99
	v_cndmask_b32_e32 v108, v102, v107, vcc
	v_mov_b32_e32 v107, v101
	v_add_f64 v[105:106], v[105:106], v[107:108]
	v_cmp_lt_f64_e32 vcc, v[103:104], v[105:106]
	v_cndmask_b32_e32 v117, v117, v99, vcc
	v_mov_b32_e32 v99, s0
	s_add_i32 s0, s0, 1
	v_cndmask_b32_e32 v118, v118, v100, vcc
	v_cndmask_b32_e32 v120, v120, v102, vcc
	;; [unrolled: 1-line block ×4, first 2 shown]
	s_cmp_lg_u32 s3, s0
	s_cbranch_scc1 .LBB84_274
.LBB84_275:
	s_waitcnt lgkmcnt(0)
	v_cmp_eq_f64_e32 vcc, 0, v[117:118]
	v_cmp_eq_f64_e64 s[0:1], 0, v[119:120]
	s_and_b64 s[0:1], vcc, s[0:1]
	s_and_saveexec_b64 s[18:19], s[0:1]
	s_xor_b64 s[0:1], exec, s[18:19]
; %bb.276:
	v_cmp_ne_u32_e32 vcc, 0, v95
	v_cndmask_b32_e32 v95, 14, v95, vcc
; %bb.277:
	s_andn2_saveexec_b64 s[0:1], s[0:1]
	s_cbranch_execz .LBB84_283
; %bb.278:
	v_cmp_ngt_f64_e64 s[18:19], |v[117:118]|, |v[119:120]|
	s_and_saveexec_b64 s[20:21], s[18:19]
	s_xor_b64 s[18:19], exec, s[20:21]
	s_cbranch_execz .LBB84_280
; %bb.279:
	v_div_scale_f64 v[98:99], s[20:21], v[119:120], v[119:120], v[117:118]
	v_rcp_f64_e32 v[100:101], v[98:99]
	v_fma_f64 v[102:103], -v[98:99], v[100:101], 1.0
	v_fma_f64 v[100:101], v[100:101], v[102:103], v[100:101]
	v_div_scale_f64 v[102:103], vcc, v[117:118], v[119:120], v[117:118]
	v_fma_f64 v[104:105], -v[98:99], v[100:101], 1.0
	v_fma_f64 v[100:101], v[100:101], v[104:105], v[100:101]
	v_mul_f64 v[104:105], v[102:103], v[100:101]
	v_fma_f64 v[98:99], -v[98:99], v[104:105], v[102:103]
	v_div_fmas_f64 v[98:99], v[98:99], v[100:101], v[104:105]
	v_div_fixup_f64 v[98:99], v[98:99], v[119:120], v[117:118]
	v_fma_f64 v[100:101], v[117:118], v[98:99], v[119:120]
	v_div_scale_f64 v[102:103], s[20:21], v[100:101], v[100:101], 1.0
	v_div_scale_f64 v[108:109], vcc, 1.0, v[100:101], 1.0
	v_rcp_f64_e32 v[104:105], v[102:103]
	v_fma_f64 v[106:107], -v[102:103], v[104:105], 1.0
	v_fma_f64 v[104:105], v[104:105], v[106:107], v[104:105]
	v_fma_f64 v[106:107], -v[102:103], v[104:105], 1.0
	v_fma_f64 v[104:105], v[104:105], v[106:107], v[104:105]
	v_mul_f64 v[106:107], v[108:109], v[104:105]
	v_fma_f64 v[102:103], -v[102:103], v[106:107], v[108:109]
	v_div_fmas_f64 v[102:103], v[102:103], v[104:105], v[106:107]
	v_div_fixup_f64 v[119:120], v[102:103], v[100:101], 1.0
	v_mul_f64 v[117:118], v[98:99], v[119:120]
	v_xor_b32_e32 v120, 0x80000000, v120
.LBB84_280:
	s_andn2_saveexec_b64 s[18:19], s[18:19]
	s_cbranch_execz .LBB84_282
; %bb.281:
	v_div_scale_f64 v[98:99], s[20:21], v[117:118], v[117:118], v[119:120]
	v_rcp_f64_e32 v[100:101], v[98:99]
	v_fma_f64 v[102:103], -v[98:99], v[100:101], 1.0
	v_fma_f64 v[100:101], v[100:101], v[102:103], v[100:101]
	v_div_scale_f64 v[102:103], vcc, v[119:120], v[117:118], v[119:120]
	v_fma_f64 v[104:105], -v[98:99], v[100:101], 1.0
	v_fma_f64 v[100:101], v[100:101], v[104:105], v[100:101]
	v_mul_f64 v[104:105], v[102:103], v[100:101]
	v_fma_f64 v[98:99], -v[98:99], v[104:105], v[102:103]
	v_div_fmas_f64 v[98:99], v[98:99], v[100:101], v[104:105]
	v_div_fixup_f64 v[98:99], v[98:99], v[117:118], v[119:120]
	v_fma_f64 v[100:101], v[119:120], v[98:99], v[117:118]
	v_div_scale_f64 v[102:103], s[20:21], v[100:101], v[100:101], 1.0
	v_div_scale_f64 v[108:109], vcc, 1.0, v[100:101], 1.0
	v_rcp_f64_e32 v[104:105], v[102:103]
	v_fma_f64 v[106:107], -v[102:103], v[104:105], 1.0
	v_fma_f64 v[104:105], v[104:105], v[106:107], v[104:105]
	v_fma_f64 v[106:107], -v[102:103], v[104:105], 1.0
	v_fma_f64 v[104:105], v[104:105], v[106:107], v[104:105]
	v_mul_f64 v[106:107], v[108:109], v[104:105]
	v_fma_f64 v[102:103], -v[102:103], v[106:107], v[108:109]
	v_div_fmas_f64 v[102:103], v[102:103], v[104:105], v[106:107]
	v_div_fixup_f64 v[117:118], v[102:103], v[100:101], 1.0
	v_mul_f64 v[119:120], v[98:99], -v[117:118]
.LBB84_282:
	s_or_b64 exec, exec, s[18:19]
.LBB84_283:
	s_or_b64 exec, exec, s[0:1]
	v_cmp_ne_u32_e32 vcc, v96, v97
	s_and_saveexec_b64 s[0:1], vcc
	s_xor_b64 s[0:1], exec, s[0:1]
	s_cbranch_execz .LBB84_289
; %bb.284:
	v_cmp_eq_u32_e32 vcc, 13, v96
	s_and_saveexec_b64 s[18:19], vcc
	s_cbranch_execz .LBB84_288
; %bb.285:
	v_cmp_ne_u32_e32 vcc, 13, v97
	s_xor_b64 s[20:21], s[6:7], -1
	s_and_b64 s[22:23], s[20:21], vcc
	s_and_saveexec_b64 s[20:21], s[22:23]
	s_cbranch_execz .LBB84_287
; %bb.286:
	v_mov_b32_e32 v85, v89
	v_mov_b32_e32 v86, v90
	;; [unrolled: 1-line block ×4, first 2 shown]
	buffer_load_dword v89, off, s[24:27], 0 offset:272 ; 4-byte Folded Reload
	buffer_load_dword v90, off, s[24:27], 0 offset:276 ; 4-byte Folded Reload
	v_ashrrev_i32_e32 v98, 31, v97
	v_lshlrev_b64 v[98:99], 2, v[97:98]
	s_waitcnt vmcnt(1)
	v_add_co_u32_e32 v98, vcc, v89, v98
	s_waitcnt vmcnt(0)
	v_addc_co_u32_e32 v99, vcc, v90, v99, vcc
	global_load_dword v0, v[98:99], off
	global_load_dword v96, v[89:90], off offset:52
	s_waitcnt vmcnt(1)
	global_store_dword v[89:90], v0, off offset:52
	v_mov_b32_e32 v92, v88
	v_mov_b32_e32 v91, v87
	;; [unrolled: 1-line block ×4, first 2 shown]
	s_waitcnt vmcnt(1)
	global_store_dword v[98:99], v96, off
.LBB84_287:
	s_or_b64 exec, exec, s[20:21]
	v_mov_b32_e32 v96, v97
	v_mov_b32_e32 v0, v97
.LBB84_288:
	s_or_b64 exec, exec, s[18:19]
.LBB84_289:
	s_andn2_saveexec_b64 s[0:1], s[0:1]
	s_cbranch_execz .LBB84_291
; %bb.290:
	buffer_load_dword v85, off, s[24:27], 0 offset:64 ; 4-byte Folded Reload
	buffer_load_dword v86, off, s[24:27], 0 offset:68 ; 4-byte Folded Reload
	;; [unrolled: 1-line block ×4, first 2 shown]
	v_mov_b32_e32 v96, 13
	s_waitcnt vmcnt(0)
	ds_write2_b64 v94, v[85:86], v[87:88] offset0:28 offset1:29
	buffer_load_dword v85, off, s[24:27], 0 offset:48 ; 4-byte Folded Reload
	buffer_load_dword v86, off, s[24:27], 0 offset:52 ; 4-byte Folded Reload
	buffer_load_dword v87, off, s[24:27], 0 offset:56 ; 4-byte Folded Reload
	buffer_load_dword v88, off, s[24:27], 0 offset:60 ; 4-byte Folded Reload
	s_waitcnt vmcnt(0)
	ds_write2_b64 v94, v[85:86], v[87:88] offset0:30 offset1:31
	buffer_load_dword v85, off, s[24:27], 0 offset:32 ; 4-byte Folded Reload
	buffer_load_dword v86, off, s[24:27], 0 offset:36 ; 4-byte Folded Reload
	buffer_load_dword v87, off, s[24:27], 0 offset:40 ; 4-byte Folded Reload
	buffer_load_dword v88, off, s[24:27], 0 offset:44 ; 4-byte Folded Reload
	;; [unrolled: 6-line block ×3, first 2 shown]
	s_waitcnt vmcnt(0)
	ds_write2_b64 v94, v[85:86], v[87:88] offset0:34 offset1:35
	ds_write2_b64 v94, v[89:90], v[91:92] offset0:36 offset1:37
	;; [unrolled: 1-line block ×3, first 2 shown]
	buffer_load_dword v85, off, s[24:27], 0 ; 4-byte Folded Reload
	buffer_load_dword v86, off, s[24:27], 0 offset:4 ; 4-byte Folded Reload
	buffer_load_dword v87, off, s[24:27], 0 offset:8 ; 4-byte Folded Reload
	;; [unrolled: 1-line block ×3, first 2 shown]
	s_waitcnt vmcnt(0)
	ds_write2_b64 v94, v[85:86], v[87:88] offset0:40 offset1:41
	ds_write2_b64 v94, v[81:82], v[83:84] offset0:42 offset1:43
	ds_write2_b64 v94, v[77:78], v[79:80] offset0:44 offset1:45
	ds_write2_b64 v94, v[73:74], v[75:76] offset0:46 offset1:47
	ds_write2_b64 v94, v[69:70], v[71:72] offset0:48 offset1:49
	ds_write2_b64 v94, v[65:66], v[67:68] offset0:50 offset1:51
	ds_write2_b64 v94, v[61:62], v[63:64] offset0:52 offset1:53
	ds_write2_b64 v94, v[57:58], v[59:60] offset0:54 offset1:55
	ds_write2_b64 v94, v[53:54], v[55:56] offset0:56 offset1:57
	ds_write2_b64 v94, v[49:50], v[51:52] offset0:58 offset1:59
	ds_write2_b64 v94, v[45:46], v[47:48] offset0:60 offset1:61
	ds_write2_b64 v94, v[41:42], v[43:44] offset0:62 offset1:63
	ds_write2_b64 v94, v[37:38], v[39:40] offset0:64 offset1:65
	ds_write2_b64 v94, v[33:34], v[35:36] offset0:66 offset1:67
	ds_write2_b64 v94, v[29:30], v[31:32] offset0:68 offset1:69
	ds_write2_b64 v94, v[25:26], v[27:28] offset0:70 offset1:71
	ds_write2_b64 v94, v[21:22], v[23:24] offset0:72 offset1:73
	ds_write2_b64 v94, v[17:18], v[19:20] offset0:74 offset1:75
	ds_write2_b64 v94, v[13:14], v[15:16] offset0:76 offset1:77
	ds_write2_b64 v94, v[9:10], v[11:12] offset0:78 offset1:79
	ds_write2_b64 v94, v[5:6], v[7:8] offset0:80 offset1:81
	ds_write2_b64 v94, v[1:2], v[3:4] offset0:82 offset1:83
	ds_write2_b64 v94, v[121:122], v[123:124] offset0:84 offset1:85
.LBB84_291:
	s_or_b64 exec, exec, s[0:1]
	v_cmp_lt_i32_e32 vcc, 13, v96
	s_waitcnt vmcnt(0) lgkmcnt(0)
	s_barrier
	s_and_saveexec_b64 s[0:1], vcc
	s_cbranch_execz .LBB84_293
; %bb.292:
	buffer_load_dword v101, off, s[24:27], 0 offset:80 ; 4-byte Folded Reload
	buffer_load_dword v102, off, s[24:27], 0 offset:84 ; 4-byte Folded Reload
	;; [unrolled: 1-line block ×4, first 2 shown]
	s_waitcnt vmcnt(0)
	v_mul_f64 v[97:98], v[119:120], v[103:104]
	v_fma_f64 v[125:126], v[117:118], v[101:102], -v[97:98]
	v_mul_f64 v[97:98], v[117:118], v[103:104]
	v_fma_f64 v[103:104], v[119:120], v[101:102], v[97:98]
	ds_read2_b64 v[97:100], v94 offset0:28 offset1:29
	buffer_load_dword v85, off, s[24:27], 0 offset:64 ; 4-byte Folded Reload
	buffer_load_dword v86, off, s[24:27], 0 offset:68 ; 4-byte Folded Reload
	buffer_load_dword v87, off, s[24:27], 0 offset:72 ; 4-byte Folded Reload
	buffer_load_dword v88, off, s[24:27], 0 offset:76 ; 4-byte Folded Reload
	s_waitcnt lgkmcnt(0)
	v_mul_f64 v[101:102], v[99:100], v[103:104]
	v_fma_f64 v[101:102], v[97:98], v[125:126], -v[101:102]
	v_mul_f64 v[97:98], v[97:98], v[103:104]
	v_fma_f64 v[97:98], v[99:100], v[125:126], v[97:98]
	s_waitcnt vmcnt(2)
	v_add_f64 v[85:86], v[85:86], -v[101:102]
	s_waitcnt vmcnt(0)
	v_add_f64 v[87:88], v[87:88], -v[97:98]
	buffer_store_dword v85, off, s[24:27], 0 offset:64 ; 4-byte Folded Spill
	s_nop 0
	buffer_store_dword v86, off, s[24:27], 0 offset:68 ; 4-byte Folded Spill
	buffer_store_dword v87, off, s[24:27], 0 offset:72 ; 4-byte Folded Spill
	buffer_store_dword v88, off, s[24:27], 0 offset:76 ; 4-byte Folded Spill
	ds_read2_b64 v[97:100], v94 offset0:30 offset1:31
	buffer_load_dword v85, off, s[24:27], 0 offset:48 ; 4-byte Folded Reload
	buffer_load_dword v86, off, s[24:27], 0 offset:52 ; 4-byte Folded Reload
	buffer_load_dword v87, off, s[24:27], 0 offset:56 ; 4-byte Folded Reload
	buffer_load_dword v88, off, s[24:27], 0 offset:60 ; 4-byte Folded Reload
	s_waitcnt lgkmcnt(0)
	v_mul_f64 v[101:102], v[99:100], v[103:104]
	v_fma_f64 v[101:102], v[97:98], v[125:126], -v[101:102]
	v_mul_f64 v[97:98], v[97:98], v[103:104]
	v_fma_f64 v[97:98], v[99:100], v[125:126], v[97:98]
	s_waitcnt vmcnt(2)
	v_add_f64 v[85:86], v[85:86], -v[101:102]
	s_waitcnt vmcnt(0)
	v_add_f64 v[87:88], v[87:88], -v[97:98]
	buffer_store_dword v85, off, s[24:27], 0 offset:48 ; 4-byte Folded Spill
	s_nop 0
	buffer_store_dword v86, off, s[24:27], 0 offset:52 ; 4-byte Folded Spill
	buffer_store_dword v87, off, s[24:27], 0 offset:56 ; 4-byte Folded Spill
	buffer_store_dword v88, off, s[24:27], 0 offset:60 ; 4-byte Folded Spill
	;; [unrolled: 19-line block ×4, first 2 shown]
	ds_read2_b64 v[97:100], v94 offset0:36 offset1:37
	s_waitcnt lgkmcnt(0)
	v_mul_f64 v[101:102], v[99:100], v[103:104]
	v_fma_f64 v[101:102], v[97:98], v[125:126], -v[101:102]
	v_mul_f64 v[97:98], v[97:98], v[103:104]
	v_add_f64 v[89:90], v[89:90], -v[101:102]
	v_fma_f64 v[97:98], v[99:100], v[125:126], v[97:98]
	v_add_f64 v[91:92], v[91:92], -v[97:98]
	ds_read2_b64 v[97:100], v94 offset0:38 offset1:39
	s_waitcnt lgkmcnt(0)
	v_mul_f64 v[101:102], v[99:100], v[103:104]
	v_fma_f64 v[101:102], v[97:98], v[125:126], -v[101:102]
	v_mul_f64 v[97:98], v[97:98], v[103:104]
	v_add_f64 v[111:112], v[111:112], -v[101:102]
	v_fma_f64 v[97:98], v[99:100], v[125:126], v[97:98]
	v_add_f64 v[113:114], v[113:114], -v[97:98]
	ds_read2_b64 v[97:100], v94 offset0:40 offset1:41
	buffer_load_dword v85, off, s[24:27], 0 ; 4-byte Folded Reload
	buffer_load_dword v86, off, s[24:27], 0 offset:4 ; 4-byte Folded Reload
	buffer_load_dword v87, off, s[24:27], 0 offset:8 ; 4-byte Folded Reload
	;; [unrolled: 1-line block ×3, first 2 shown]
	s_waitcnt lgkmcnt(0)
	v_mul_f64 v[101:102], v[99:100], v[103:104]
	v_fma_f64 v[101:102], v[97:98], v[125:126], -v[101:102]
	v_mul_f64 v[97:98], v[97:98], v[103:104]
	v_fma_f64 v[97:98], v[99:100], v[125:126], v[97:98]
	s_waitcnt vmcnt(2)
	v_add_f64 v[85:86], v[85:86], -v[101:102]
	s_waitcnt vmcnt(0)
	v_add_f64 v[87:88], v[87:88], -v[97:98]
	buffer_store_dword v85, off, s[24:27], 0 ; 4-byte Folded Spill
	s_nop 0
	buffer_store_dword v86, off, s[24:27], 0 offset:4 ; 4-byte Folded Spill
	buffer_store_dword v87, off, s[24:27], 0 offset:8 ; 4-byte Folded Spill
	;; [unrolled: 1-line block ×3, first 2 shown]
	ds_read2_b64 v[97:100], v94 offset0:42 offset1:43
	s_waitcnt lgkmcnt(0)
	v_mul_f64 v[101:102], v[99:100], v[103:104]
	v_fma_f64 v[101:102], v[97:98], v[125:126], -v[101:102]
	v_mul_f64 v[97:98], v[97:98], v[103:104]
	v_add_f64 v[81:82], v[81:82], -v[101:102]
	v_fma_f64 v[97:98], v[99:100], v[125:126], v[97:98]
	v_add_f64 v[83:84], v[83:84], -v[97:98]
	ds_read2_b64 v[97:100], v94 offset0:44 offset1:45
	s_waitcnt lgkmcnt(0)
	v_mul_f64 v[101:102], v[99:100], v[103:104]
	v_fma_f64 v[101:102], v[97:98], v[125:126], -v[101:102]
	v_mul_f64 v[97:98], v[97:98], v[103:104]
	v_add_f64 v[77:78], v[77:78], -v[101:102]
	v_fma_f64 v[97:98], v[99:100], v[125:126], v[97:98]
	v_add_f64 v[79:80], v[79:80], -v[97:98]
	;; [unrolled: 8-line block ×21, first 2 shown]
	ds_read2_b64 v[97:100], v94 offset0:84 offset1:85
	s_waitcnt lgkmcnt(0)
	v_mul_f64 v[101:102], v[99:100], v[103:104]
	v_fma_f64 v[101:102], v[97:98], v[125:126], -v[101:102]
	v_mul_f64 v[97:98], v[97:98], v[103:104]
	v_add_f64 v[121:122], v[121:122], -v[101:102]
	v_fma_f64 v[97:98], v[99:100], v[125:126], v[97:98]
	v_mov_b32_e32 v101, v125
	v_mov_b32_e32 v102, v126
	buffer_store_dword v101, off, s[24:27], 0 offset:80 ; 4-byte Folded Spill
	s_nop 0
	buffer_store_dword v102, off, s[24:27], 0 offset:84 ; 4-byte Folded Spill
	buffer_store_dword v103, off, s[24:27], 0 offset:88 ; 4-byte Folded Spill
	;; [unrolled: 1-line block ×3, first 2 shown]
	v_add_f64 v[123:124], v[123:124], -v[97:98]
.LBB84_293:
	s_or_b64 exec, exec, s[0:1]
	s_waitcnt vmcnt(0)
	s_barrier
	buffer_load_dword v85, off, s[24:27], 0 offset:64 ; 4-byte Folded Reload
	buffer_load_dword v86, off, s[24:27], 0 offset:68 ; 4-byte Folded Reload
	;; [unrolled: 1-line block ×4, first 2 shown]
	v_lshl_add_u32 v97, v96, 4, v94
	s_cmp_lt_i32 s3, 16
	s_waitcnt vmcnt(0)
	ds_write2_b64 v97, v[85:86], v[87:88] offset1:1
	s_waitcnt lgkmcnt(0)
	s_barrier
	ds_read2_b64 v[117:120], v94 offset0:28 offset1:29
	v_mov_b32_e32 v97, 14
	s_cbranch_scc1 .LBB84_296
; %bb.294:
	v_add_u32_e32 v98, 0xf0, v94
	s_mov_b32 s0, 15
	v_mov_b32_e32 v97, 14
.LBB84_295:                             ; =>This Inner Loop Header: Depth=1
	s_waitcnt lgkmcnt(0)
	v_cmp_gt_f64_e32 vcc, 0, v[117:118]
	v_xor_b32_e32 v103, 0x80000000, v118
	ds_read2_b64 v[99:102], v98 offset1:1
	v_xor_b32_e32 v105, 0x80000000, v120
	v_add_u32_e32 v98, 16, v98
	s_waitcnt lgkmcnt(0)
	v_xor_b32_e32 v107, 0x80000000, v102
	v_cndmask_b32_e32 v104, v118, v103, vcc
	v_cmp_gt_f64_e32 vcc, 0, v[119:120]
	v_mov_b32_e32 v103, v117
	v_cndmask_b32_e32 v106, v120, v105, vcc
	v_cmp_gt_f64_e32 vcc, 0, v[99:100]
	v_mov_b32_e32 v105, v119
	v_add_f64 v[103:104], v[103:104], v[105:106]
	v_xor_b32_e32 v105, 0x80000000, v100
	v_cndmask_b32_e32 v106, v100, v105, vcc
	v_cmp_gt_f64_e32 vcc, 0, v[101:102]
	v_mov_b32_e32 v105, v99
	v_cndmask_b32_e32 v108, v102, v107, vcc
	v_mov_b32_e32 v107, v101
	v_add_f64 v[105:106], v[105:106], v[107:108]
	v_cmp_lt_f64_e32 vcc, v[103:104], v[105:106]
	v_cndmask_b32_e32 v117, v117, v99, vcc
	v_mov_b32_e32 v99, s0
	s_add_i32 s0, s0, 1
	v_cndmask_b32_e32 v118, v118, v100, vcc
	v_cndmask_b32_e32 v120, v120, v102, vcc
	;; [unrolled: 1-line block ×4, first 2 shown]
	s_cmp_lg_u32 s3, s0
	s_cbranch_scc1 .LBB84_295
.LBB84_296:
	s_waitcnt lgkmcnt(0)
	v_cmp_eq_f64_e32 vcc, 0, v[117:118]
	v_cmp_eq_f64_e64 s[0:1], 0, v[119:120]
	s_and_b64 s[0:1], vcc, s[0:1]
	s_and_saveexec_b64 s[18:19], s[0:1]
	s_xor_b64 s[0:1], exec, s[18:19]
; %bb.297:
	v_cmp_ne_u32_e32 vcc, 0, v95
	v_cndmask_b32_e32 v95, 15, v95, vcc
; %bb.298:
	s_andn2_saveexec_b64 s[0:1], s[0:1]
	s_cbranch_execz .LBB84_304
; %bb.299:
	v_cmp_ngt_f64_e64 s[18:19], |v[117:118]|, |v[119:120]|
	s_and_saveexec_b64 s[20:21], s[18:19]
	s_xor_b64 s[18:19], exec, s[20:21]
	s_cbranch_execz .LBB84_301
; %bb.300:
	v_div_scale_f64 v[98:99], s[20:21], v[119:120], v[119:120], v[117:118]
	v_rcp_f64_e32 v[100:101], v[98:99]
	v_fma_f64 v[102:103], -v[98:99], v[100:101], 1.0
	v_fma_f64 v[100:101], v[100:101], v[102:103], v[100:101]
	v_div_scale_f64 v[102:103], vcc, v[117:118], v[119:120], v[117:118]
	v_fma_f64 v[104:105], -v[98:99], v[100:101], 1.0
	v_fma_f64 v[100:101], v[100:101], v[104:105], v[100:101]
	v_mul_f64 v[104:105], v[102:103], v[100:101]
	v_fma_f64 v[98:99], -v[98:99], v[104:105], v[102:103]
	v_div_fmas_f64 v[98:99], v[98:99], v[100:101], v[104:105]
	v_div_fixup_f64 v[98:99], v[98:99], v[119:120], v[117:118]
	v_fma_f64 v[100:101], v[117:118], v[98:99], v[119:120]
	v_div_scale_f64 v[102:103], s[20:21], v[100:101], v[100:101], 1.0
	v_div_scale_f64 v[108:109], vcc, 1.0, v[100:101], 1.0
	v_rcp_f64_e32 v[104:105], v[102:103]
	v_fma_f64 v[106:107], -v[102:103], v[104:105], 1.0
	v_fma_f64 v[104:105], v[104:105], v[106:107], v[104:105]
	v_fma_f64 v[106:107], -v[102:103], v[104:105], 1.0
	v_fma_f64 v[104:105], v[104:105], v[106:107], v[104:105]
	v_mul_f64 v[106:107], v[108:109], v[104:105]
	v_fma_f64 v[102:103], -v[102:103], v[106:107], v[108:109]
	v_div_fmas_f64 v[102:103], v[102:103], v[104:105], v[106:107]
	v_div_fixup_f64 v[119:120], v[102:103], v[100:101], 1.0
	v_mul_f64 v[117:118], v[98:99], v[119:120]
	v_xor_b32_e32 v120, 0x80000000, v120
.LBB84_301:
	s_andn2_saveexec_b64 s[18:19], s[18:19]
	s_cbranch_execz .LBB84_303
; %bb.302:
	v_div_scale_f64 v[98:99], s[20:21], v[117:118], v[117:118], v[119:120]
	v_rcp_f64_e32 v[100:101], v[98:99]
	v_fma_f64 v[102:103], -v[98:99], v[100:101], 1.0
	v_fma_f64 v[100:101], v[100:101], v[102:103], v[100:101]
	v_div_scale_f64 v[102:103], vcc, v[119:120], v[117:118], v[119:120]
	v_fma_f64 v[104:105], -v[98:99], v[100:101], 1.0
	v_fma_f64 v[100:101], v[100:101], v[104:105], v[100:101]
	v_mul_f64 v[104:105], v[102:103], v[100:101]
	v_fma_f64 v[98:99], -v[98:99], v[104:105], v[102:103]
	v_div_fmas_f64 v[98:99], v[98:99], v[100:101], v[104:105]
	v_div_fixup_f64 v[98:99], v[98:99], v[117:118], v[119:120]
	v_fma_f64 v[100:101], v[119:120], v[98:99], v[117:118]
	v_div_scale_f64 v[102:103], s[20:21], v[100:101], v[100:101], 1.0
	v_div_scale_f64 v[108:109], vcc, 1.0, v[100:101], 1.0
	v_rcp_f64_e32 v[104:105], v[102:103]
	v_fma_f64 v[106:107], -v[102:103], v[104:105], 1.0
	v_fma_f64 v[104:105], v[104:105], v[106:107], v[104:105]
	v_fma_f64 v[106:107], -v[102:103], v[104:105], 1.0
	v_fma_f64 v[104:105], v[104:105], v[106:107], v[104:105]
	v_mul_f64 v[106:107], v[108:109], v[104:105]
	v_fma_f64 v[102:103], -v[102:103], v[106:107], v[108:109]
	v_div_fmas_f64 v[102:103], v[102:103], v[104:105], v[106:107]
	v_div_fixup_f64 v[117:118], v[102:103], v[100:101], 1.0
	v_mul_f64 v[119:120], v[98:99], -v[117:118]
.LBB84_303:
	s_or_b64 exec, exec, s[18:19]
.LBB84_304:
	s_or_b64 exec, exec, s[0:1]
	v_cmp_ne_u32_e32 vcc, v96, v97
	s_and_saveexec_b64 s[0:1], vcc
	s_xor_b64 s[0:1], exec, s[0:1]
	s_cbranch_execz .LBB84_310
; %bb.305:
	v_cmp_eq_u32_e32 vcc, 14, v96
	s_and_saveexec_b64 s[18:19], vcc
	s_cbranch_execz .LBB84_309
; %bb.306:
	v_cmp_ne_u32_e32 vcc, 14, v97
	s_xor_b64 s[20:21], s[6:7], -1
	s_and_b64 s[22:23], s[20:21], vcc
	s_and_saveexec_b64 s[20:21], s[22:23]
	s_cbranch_execz .LBB84_308
; %bb.307:
	v_mov_b32_e32 v85, v89
	v_mov_b32_e32 v86, v90
	;; [unrolled: 1-line block ×4, first 2 shown]
	buffer_load_dword v89, off, s[24:27], 0 offset:272 ; 4-byte Folded Reload
	buffer_load_dword v90, off, s[24:27], 0 offset:276 ; 4-byte Folded Reload
	v_ashrrev_i32_e32 v98, 31, v97
	v_lshlrev_b64 v[98:99], 2, v[97:98]
	s_waitcnt vmcnt(1)
	v_add_co_u32_e32 v98, vcc, v89, v98
	s_waitcnt vmcnt(0)
	v_addc_co_u32_e32 v99, vcc, v90, v99, vcc
	global_load_dword v0, v[98:99], off
	global_load_dword v96, v[89:90], off offset:56
	s_waitcnt vmcnt(1)
	global_store_dword v[89:90], v0, off offset:56
	v_mov_b32_e32 v92, v88
	v_mov_b32_e32 v91, v87
	;; [unrolled: 1-line block ×4, first 2 shown]
	s_waitcnt vmcnt(1)
	global_store_dword v[98:99], v96, off
.LBB84_308:
	s_or_b64 exec, exec, s[20:21]
	v_mov_b32_e32 v96, v97
	v_mov_b32_e32 v0, v97
.LBB84_309:
	s_or_b64 exec, exec, s[18:19]
.LBB84_310:
	s_andn2_saveexec_b64 s[0:1], s[0:1]
	s_cbranch_execz .LBB84_312
; %bb.311:
	buffer_load_dword v85, off, s[24:27], 0 offset:48 ; 4-byte Folded Reload
	buffer_load_dword v86, off, s[24:27], 0 offset:52 ; 4-byte Folded Reload
	;; [unrolled: 1-line block ×4, first 2 shown]
	v_mov_b32_e32 v96, 14
	s_waitcnt vmcnt(0)
	ds_write2_b64 v94, v[85:86], v[87:88] offset0:30 offset1:31
	buffer_load_dword v85, off, s[24:27], 0 offset:32 ; 4-byte Folded Reload
	buffer_load_dword v86, off, s[24:27], 0 offset:36 ; 4-byte Folded Reload
	;; [unrolled: 1-line block ×4, first 2 shown]
	s_waitcnt vmcnt(0)
	ds_write2_b64 v94, v[85:86], v[87:88] offset0:32 offset1:33
	buffer_load_dword v85, off, s[24:27], 0 offset:16 ; 4-byte Folded Reload
	buffer_load_dword v86, off, s[24:27], 0 offset:20 ; 4-byte Folded Reload
	;; [unrolled: 1-line block ×4, first 2 shown]
	s_waitcnt vmcnt(0)
	ds_write2_b64 v94, v[85:86], v[87:88] offset0:34 offset1:35
	ds_write2_b64 v94, v[89:90], v[91:92] offset0:36 offset1:37
	ds_write2_b64 v94, v[111:112], v[113:114] offset0:38 offset1:39
	buffer_load_dword v85, off, s[24:27], 0 ; 4-byte Folded Reload
	buffer_load_dword v86, off, s[24:27], 0 offset:4 ; 4-byte Folded Reload
	buffer_load_dword v87, off, s[24:27], 0 offset:8 ; 4-byte Folded Reload
	;; [unrolled: 1-line block ×3, first 2 shown]
	s_waitcnt vmcnt(0)
	ds_write2_b64 v94, v[85:86], v[87:88] offset0:40 offset1:41
	ds_write2_b64 v94, v[81:82], v[83:84] offset0:42 offset1:43
	;; [unrolled: 1-line block ×23, first 2 shown]
.LBB84_312:
	s_or_b64 exec, exec, s[0:1]
	v_cmp_lt_i32_e32 vcc, 14, v96
	s_waitcnt vmcnt(0) lgkmcnt(0)
	s_barrier
	s_and_saveexec_b64 s[0:1], vcc
	s_cbranch_execz .LBB84_314
; %bb.313:
	buffer_load_dword v101, off, s[24:27], 0 offset:64 ; 4-byte Folded Reload
	buffer_load_dword v102, off, s[24:27], 0 offset:68 ; 4-byte Folded Reload
	;; [unrolled: 1-line block ×4, first 2 shown]
	s_waitcnt vmcnt(0)
	v_mul_f64 v[97:98], v[119:120], v[103:104]
	v_fma_f64 v[125:126], v[117:118], v[101:102], -v[97:98]
	v_mul_f64 v[97:98], v[117:118], v[103:104]
	v_fma_f64 v[103:104], v[119:120], v[101:102], v[97:98]
	ds_read2_b64 v[97:100], v94 offset0:30 offset1:31
	buffer_load_dword v85, off, s[24:27], 0 offset:48 ; 4-byte Folded Reload
	buffer_load_dword v86, off, s[24:27], 0 offset:52 ; 4-byte Folded Reload
	buffer_load_dword v87, off, s[24:27], 0 offset:56 ; 4-byte Folded Reload
	buffer_load_dword v88, off, s[24:27], 0 offset:60 ; 4-byte Folded Reload
	s_waitcnt lgkmcnt(0)
	v_mul_f64 v[101:102], v[99:100], v[103:104]
	v_fma_f64 v[101:102], v[97:98], v[125:126], -v[101:102]
	v_mul_f64 v[97:98], v[97:98], v[103:104]
	v_fma_f64 v[97:98], v[99:100], v[125:126], v[97:98]
	s_waitcnt vmcnt(2)
	v_add_f64 v[85:86], v[85:86], -v[101:102]
	s_waitcnt vmcnt(0)
	v_add_f64 v[87:88], v[87:88], -v[97:98]
	buffer_store_dword v85, off, s[24:27], 0 offset:48 ; 4-byte Folded Spill
	s_nop 0
	buffer_store_dword v86, off, s[24:27], 0 offset:52 ; 4-byte Folded Spill
	buffer_store_dword v87, off, s[24:27], 0 offset:56 ; 4-byte Folded Spill
	buffer_store_dword v88, off, s[24:27], 0 offset:60 ; 4-byte Folded Spill
	ds_read2_b64 v[97:100], v94 offset0:32 offset1:33
	buffer_load_dword v85, off, s[24:27], 0 offset:32 ; 4-byte Folded Reload
	buffer_load_dword v86, off, s[24:27], 0 offset:36 ; 4-byte Folded Reload
	buffer_load_dword v87, off, s[24:27], 0 offset:40 ; 4-byte Folded Reload
	buffer_load_dword v88, off, s[24:27], 0 offset:44 ; 4-byte Folded Reload
	s_waitcnt lgkmcnt(0)
	v_mul_f64 v[101:102], v[99:100], v[103:104]
	v_fma_f64 v[101:102], v[97:98], v[125:126], -v[101:102]
	v_mul_f64 v[97:98], v[97:98], v[103:104]
	v_fma_f64 v[97:98], v[99:100], v[125:126], v[97:98]
	s_waitcnt vmcnt(2)
	v_add_f64 v[85:86], v[85:86], -v[101:102]
	s_waitcnt vmcnt(0)
	v_add_f64 v[87:88], v[87:88], -v[97:98]
	buffer_store_dword v85, off, s[24:27], 0 offset:32 ; 4-byte Folded Spill
	s_nop 0
	buffer_store_dword v86, off, s[24:27], 0 offset:36 ; 4-byte Folded Spill
	buffer_store_dword v87, off, s[24:27], 0 offset:40 ; 4-byte Folded Spill
	buffer_store_dword v88, off, s[24:27], 0 offset:44 ; 4-byte Folded Spill
	;; [unrolled: 19-line block ×3, first 2 shown]
	ds_read2_b64 v[97:100], v94 offset0:36 offset1:37
	s_waitcnt lgkmcnt(0)
	v_mul_f64 v[101:102], v[99:100], v[103:104]
	v_fma_f64 v[101:102], v[97:98], v[125:126], -v[101:102]
	v_mul_f64 v[97:98], v[97:98], v[103:104]
	v_add_f64 v[89:90], v[89:90], -v[101:102]
	v_fma_f64 v[97:98], v[99:100], v[125:126], v[97:98]
	v_add_f64 v[91:92], v[91:92], -v[97:98]
	ds_read2_b64 v[97:100], v94 offset0:38 offset1:39
	s_waitcnt lgkmcnt(0)
	v_mul_f64 v[101:102], v[99:100], v[103:104]
	v_fma_f64 v[101:102], v[97:98], v[125:126], -v[101:102]
	v_mul_f64 v[97:98], v[97:98], v[103:104]
	v_add_f64 v[111:112], v[111:112], -v[101:102]
	v_fma_f64 v[97:98], v[99:100], v[125:126], v[97:98]
	v_add_f64 v[113:114], v[113:114], -v[97:98]
	ds_read2_b64 v[97:100], v94 offset0:40 offset1:41
	buffer_load_dword v85, off, s[24:27], 0 ; 4-byte Folded Reload
	buffer_load_dword v86, off, s[24:27], 0 offset:4 ; 4-byte Folded Reload
	buffer_load_dword v87, off, s[24:27], 0 offset:8 ; 4-byte Folded Reload
	;; [unrolled: 1-line block ×3, first 2 shown]
	s_waitcnt lgkmcnt(0)
	v_mul_f64 v[101:102], v[99:100], v[103:104]
	v_fma_f64 v[101:102], v[97:98], v[125:126], -v[101:102]
	v_mul_f64 v[97:98], v[97:98], v[103:104]
	v_fma_f64 v[97:98], v[99:100], v[125:126], v[97:98]
	s_waitcnt vmcnt(2)
	v_add_f64 v[85:86], v[85:86], -v[101:102]
	s_waitcnt vmcnt(0)
	v_add_f64 v[87:88], v[87:88], -v[97:98]
	buffer_store_dword v85, off, s[24:27], 0 ; 4-byte Folded Spill
	s_nop 0
	buffer_store_dword v86, off, s[24:27], 0 offset:4 ; 4-byte Folded Spill
	buffer_store_dword v87, off, s[24:27], 0 offset:8 ; 4-byte Folded Spill
	;; [unrolled: 1-line block ×3, first 2 shown]
	ds_read2_b64 v[97:100], v94 offset0:42 offset1:43
	s_waitcnt lgkmcnt(0)
	v_mul_f64 v[101:102], v[99:100], v[103:104]
	v_fma_f64 v[101:102], v[97:98], v[125:126], -v[101:102]
	v_mul_f64 v[97:98], v[97:98], v[103:104]
	v_add_f64 v[81:82], v[81:82], -v[101:102]
	v_fma_f64 v[97:98], v[99:100], v[125:126], v[97:98]
	v_add_f64 v[83:84], v[83:84], -v[97:98]
	ds_read2_b64 v[97:100], v94 offset0:44 offset1:45
	s_waitcnt lgkmcnt(0)
	v_mul_f64 v[101:102], v[99:100], v[103:104]
	v_fma_f64 v[101:102], v[97:98], v[125:126], -v[101:102]
	v_mul_f64 v[97:98], v[97:98], v[103:104]
	v_add_f64 v[77:78], v[77:78], -v[101:102]
	v_fma_f64 v[97:98], v[99:100], v[125:126], v[97:98]
	v_add_f64 v[79:80], v[79:80], -v[97:98]
	;; [unrolled: 8-line block ×21, first 2 shown]
	ds_read2_b64 v[97:100], v94 offset0:84 offset1:85
	s_waitcnt lgkmcnt(0)
	v_mul_f64 v[101:102], v[99:100], v[103:104]
	v_fma_f64 v[101:102], v[97:98], v[125:126], -v[101:102]
	v_mul_f64 v[97:98], v[97:98], v[103:104]
	v_add_f64 v[121:122], v[121:122], -v[101:102]
	v_fma_f64 v[97:98], v[99:100], v[125:126], v[97:98]
	v_mov_b32_e32 v101, v125
	v_mov_b32_e32 v102, v126
	buffer_store_dword v101, off, s[24:27], 0 offset:64 ; 4-byte Folded Spill
	s_nop 0
	buffer_store_dword v102, off, s[24:27], 0 offset:68 ; 4-byte Folded Spill
	buffer_store_dword v103, off, s[24:27], 0 offset:72 ; 4-byte Folded Spill
	;; [unrolled: 1-line block ×3, first 2 shown]
	v_add_f64 v[123:124], v[123:124], -v[97:98]
.LBB84_314:
	s_or_b64 exec, exec, s[0:1]
	s_waitcnt vmcnt(0)
	s_barrier
	buffer_load_dword v85, off, s[24:27], 0 offset:48 ; 4-byte Folded Reload
	buffer_load_dword v86, off, s[24:27], 0 offset:52 ; 4-byte Folded Reload
	;; [unrolled: 1-line block ×4, first 2 shown]
	v_lshl_add_u32 v97, v96, 4, v94
	s_cmp_lt_i32 s3, 17
	s_waitcnt vmcnt(0)
	ds_write2_b64 v97, v[85:86], v[87:88] offset1:1
	s_waitcnt lgkmcnt(0)
	s_barrier
	ds_read2_b64 v[117:120], v94 offset0:30 offset1:31
	v_mov_b32_e32 v97, 15
	s_cbranch_scc1 .LBB84_317
; %bb.315:
	v_add_u32_e32 v98, 0x100, v94
	s_mov_b32 s0, 16
	v_mov_b32_e32 v97, 15
.LBB84_316:                             ; =>This Inner Loop Header: Depth=1
	s_waitcnt lgkmcnt(0)
	v_cmp_gt_f64_e32 vcc, 0, v[117:118]
	v_xor_b32_e32 v103, 0x80000000, v118
	ds_read2_b64 v[99:102], v98 offset1:1
	v_xor_b32_e32 v105, 0x80000000, v120
	v_add_u32_e32 v98, 16, v98
	s_waitcnt lgkmcnt(0)
	v_xor_b32_e32 v107, 0x80000000, v102
	v_cndmask_b32_e32 v104, v118, v103, vcc
	v_cmp_gt_f64_e32 vcc, 0, v[119:120]
	v_mov_b32_e32 v103, v117
	v_cndmask_b32_e32 v106, v120, v105, vcc
	v_cmp_gt_f64_e32 vcc, 0, v[99:100]
	v_mov_b32_e32 v105, v119
	v_add_f64 v[103:104], v[103:104], v[105:106]
	v_xor_b32_e32 v105, 0x80000000, v100
	v_cndmask_b32_e32 v106, v100, v105, vcc
	v_cmp_gt_f64_e32 vcc, 0, v[101:102]
	v_mov_b32_e32 v105, v99
	v_cndmask_b32_e32 v108, v102, v107, vcc
	v_mov_b32_e32 v107, v101
	v_add_f64 v[105:106], v[105:106], v[107:108]
	v_cmp_lt_f64_e32 vcc, v[103:104], v[105:106]
	v_cndmask_b32_e32 v117, v117, v99, vcc
	v_mov_b32_e32 v99, s0
	s_add_i32 s0, s0, 1
	v_cndmask_b32_e32 v118, v118, v100, vcc
	v_cndmask_b32_e32 v120, v120, v102, vcc
	;; [unrolled: 1-line block ×4, first 2 shown]
	s_cmp_lg_u32 s3, s0
	s_cbranch_scc1 .LBB84_316
.LBB84_317:
	s_waitcnt lgkmcnt(0)
	v_cmp_eq_f64_e32 vcc, 0, v[117:118]
	v_cmp_eq_f64_e64 s[0:1], 0, v[119:120]
	s_and_b64 s[0:1], vcc, s[0:1]
	s_and_saveexec_b64 s[18:19], s[0:1]
	s_xor_b64 s[0:1], exec, s[18:19]
; %bb.318:
	v_cmp_ne_u32_e32 vcc, 0, v95
	v_cndmask_b32_e32 v95, 16, v95, vcc
; %bb.319:
	s_andn2_saveexec_b64 s[0:1], s[0:1]
	s_cbranch_execz .LBB84_325
; %bb.320:
	v_cmp_ngt_f64_e64 s[18:19], |v[117:118]|, |v[119:120]|
	s_and_saveexec_b64 s[20:21], s[18:19]
	s_xor_b64 s[18:19], exec, s[20:21]
	s_cbranch_execz .LBB84_322
; %bb.321:
	v_div_scale_f64 v[98:99], s[20:21], v[119:120], v[119:120], v[117:118]
	v_rcp_f64_e32 v[100:101], v[98:99]
	v_fma_f64 v[102:103], -v[98:99], v[100:101], 1.0
	v_fma_f64 v[100:101], v[100:101], v[102:103], v[100:101]
	v_div_scale_f64 v[102:103], vcc, v[117:118], v[119:120], v[117:118]
	v_fma_f64 v[104:105], -v[98:99], v[100:101], 1.0
	v_fma_f64 v[100:101], v[100:101], v[104:105], v[100:101]
	v_mul_f64 v[104:105], v[102:103], v[100:101]
	v_fma_f64 v[98:99], -v[98:99], v[104:105], v[102:103]
	v_div_fmas_f64 v[98:99], v[98:99], v[100:101], v[104:105]
	v_div_fixup_f64 v[98:99], v[98:99], v[119:120], v[117:118]
	v_fma_f64 v[100:101], v[117:118], v[98:99], v[119:120]
	v_div_scale_f64 v[102:103], s[20:21], v[100:101], v[100:101], 1.0
	v_div_scale_f64 v[108:109], vcc, 1.0, v[100:101], 1.0
	v_rcp_f64_e32 v[104:105], v[102:103]
	v_fma_f64 v[106:107], -v[102:103], v[104:105], 1.0
	v_fma_f64 v[104:105], v[104:105], v[106:107], v[104:105]
	v_fma_f64 v[106:107], -v[102:103], v[104:105], 1.0
	v_fma_f64 v[104:105], v[104:105], v[106:107], v[104:105]
	v_mul_f64 v[106:107], v[108:109], v[104:105]
	v_fma_f64 v[102:103], -v[102:103], v[106:107], v[108:109]
	v_div_fmas_f64 v[102:103], v[102:103], v[104:105], v[106:107]
	v_div_fixup_f64 v[119:120], v[102:103], v[100:101], 1.0
	v_mul_f64 v[117:118], v[98:99], v[119:120]
	v_xor_b32_e32 v120, 0x80000000, v120
.LBB84_322:
	s_andn2_saveexec_b64 s[18:19], s[18:19]
	s_cbranch_execz .LBB84_324
; %bb.323:
	v_div_scale_f64 v[98:99], s[20:21], v[117:118], v[117:118], v[119:120]
	v_rcp_f64_e32 v[100:101], v[98:99]
	v_fma_f64 v[102:103], -v[98:99], v[100:101], 1.0
	v_fma_f64 v[100:101], v[100:101], v[102:103], v[100:101]
	v_div_scale_f64 v[102:103], vcc, v[119:120], v[117:118], v[119:120]
	v_fma_f64 v[104:105], -v[98:99], v[100:101], 1.0
	v_fma_f64 v[100:101], v[100:101], v[104:105], v[100:101]
	v_mul_f64 v[104:105], v[102:103], v[100:101]
	v_fma_f64 v[98:99], -v[98:99], v[104:105], v[102:103]
	v_div_fmas_f64 v[98:99], v[98:99], v[100:101], v[104:105]
	v_div_fixup_f64 v[98:99], v[98:99], v[117:118], v[119:120]
	v_fma_f64 v[100:101], v[119:120], v[98:99], v[117:118]
	v_div_scale_f64 v[102:103], s[20:21], v[100:101], v[100:101], 1.0
	v_div_scale_f64 v[108:109], vcc, 1.0, v[100:101], 1.0
	v_rcp_f64_e32 v[104:105], v[102:103]
	v_fma_f64 v[106:107], -v[102:103], v[104:105], 1.0
	v_fma_f64 v[104:105], v[104:105], v[106:107], v[104:105]
	v_fma_f64 v[106:107], -v[102:103], v[104:105], 1.0
	v_fma_f64 v[104:105], v[104:105], v[106:107], v[104:105]
	v_mul_f64 v[106:107], v[108:109], v[104:105]
	v_fma_f64 v[102:103], -v[102:103], v[106:107], v[108:109]
	v_div_fmas_f64 v[102:103], v[102:103], v[104:105], v[106:107]
	v_div_fixup_f64 v[117:118], v[102:103], v[100:101], 1.0
	v_mul_f64 v[119:120], v[98:99], -v[117:118]
.LBB84_324:
	s_or_b64 exec, exec, s[18:19]
.LBB84_325:
	s_or_b64 exec, exec, s[0:1]
	v_cmp_ne_u32_e32 vcc, v96, v97
	s_and_saveexec_b64 s[0:1], vcc
	s_xor_b64 s[0:1], exec, s[0:1]
	s_cbranch_execz .LBB84_331
; %bb.326:
	v_cmp_eq_u32_e32 vcc, 15, v96
	s_and_saveexec_b64 s[18:19], vcc
	s_cbranch_execz .LBB84_330
; %bb.327:
	v_cmp_ne_u32_e32 vcc, 15, v97
	s_xor_b64 s[20:21], s[6:7], -1
	s_and_b64 s[22:23], s[20:21], vcc
	s_and_saveexec_b64 s[20:21], s[22:23]
	s_cbranch_execz .LBB84_329
; %bb.328:
	v_mov_b32_e32 v85, v89
	v_mov_b32_e32 v86, v90
	;; [unrolled: 1-line block ×4, first 2 shown]
	buffer_load_dword v89, off, s[24:27], 0 offset:272 ; 4-byte Folded Reload
	buffer_load_dword v90, off, s[24:27], 0 offset:276 ; 4-byte Folded Reload
	v_ashrrev_i32_e32 v98, 31, v97
	v_lshlrev_b64 v[98:99], 2, v[97:98]
	s_waitcnt vmcnt(1)
	v_add_co_u32_e32 v98, vcc, v89, v98
	s_waitcnt vmcnt(0)
	v_addc_co_u32_e32 v99, vcc, v90, v99, vcc
	global_load_dword v0, v[98:99], off
	global_load_dword v96, v[89:90], off offset:60
	s_waitcnt vmcnt(1)
	global_store_dword v[89:90], v0, off offset:60
	v_mov_b32_e32 v92, v88
	v_mov_b32_e32 v91, v87
	;; [unrolled: 1-line block ×4, first 2 shown]
	s_waitcnt vmcnt(1)
	global_store_dword v[98:99], v96, off
.LBB84_329:
	s_or_b64 exec, exec, s[20:21]
	v_mov_b32_e32 v96, v97
	v_mov_b32_e32 v0, v97
.LBB84_330:
	s_or_b64 exec, exec, s[18:19]
.LBB84_331:
	s_andn2_saveexec_b64 s[0:1], s[0:1]
	s_cbranch_execz .LBB84_333
; %bb.332:
	buffer_load_dword v85, off, s[24:27], 0 offset:32 ; 4-byte Folded Reload
	buffer_load_dword v86, off, s[24:27], 0 offset:36 ; 4-byte Folded Reload
	buffer_load_dword v87, off, s[24:27], 0 offset:40 ; 4-byte Folded Reload
	buffer_load_dword v88, off, s[24:27], 0 offset:44 ; 4-byte Folded Reload
	v_mov_b32_e32 v96, 15
	s_waitcnt vmcnt(0)
	ds_write2_b64 v94, v[85:86], v[87:88] offset0:32 offset1:33
	buffer_load_dword v85, off, s[24:27], 0 offset:16 ; 4-byte Folded Reload
	buffer_load_dword v86, off, s[24:27], 0 offset:20 ; 4-byte Folded Reload
	;; [unrolled: 1-line block ×4, first 2 shown]
	s_waitcnt vmcnt(0)
	ds_write2_b64 v94, v[85:86], v[87:88] offset0:34 offset1:35
	ds_write2_b64 v94, v[89:90], v[91:92] offset0:36 offset1:37
	;; [unrolled: 1-line block ×3, first 2 shown]
	buffer_load_dword v85, off, s[24:27], 0 ; 4-byte Folded Reload
	buffer_load_dword v86, off, s[24:27], 0 offset:4 ; 4-byte Folded Reload
	buffer_load_dword v87, off, s[24:27], 0 offset:8 ; 4-byte Folded Reload
	;; [unrolled: 1-line block ×3, first 2 shown]
	s_waitcnt vmcnt(0)
	ds_write2_b64 v94, v[85:86], v[87:88] offset0:40 offset1:41
	ds_write2_b64 v94, v[81:82], v[83:84] offset0:42 offset1:43
	;; [unrolled: 1-line block ×23, first 2 shown]
.LBB84_333:
	s_or_b64 exec, exec, s[0:1]
	v_cmp_lt_i32_e32 vcc, 15, v96
	s_waitcnt vmcnt(0) lgkmcnt(0)
	s_barrier
	s_and_saveexec_b64 s[0:1], vcc
	s_cbranch_execz .LBB84_335
; %bb.334:
	buffer_load_dword v101, off, s[24:27], 0 offset:48 ; 4-byte Folded Reload
	buffer_load_dword v102, off, s[24:27], 0 offset:52 ; 4-byte Folded Reload
	;; [unrolled: 1-line block ×4, first 2 shown]
	s_waitcnt vmcnt(0)
	v_mul_f64 v[97:98], v[119:120], v[103:104]
	v_fma_f64 v[109:110], v[117:118], v[101:102], -v[97:98]
	v_mul_f64 v[97:98], v[117:118], v[103:104]
	v_fma_f64 v[103:104], v[119:120], v[101:102], v[97:98]
	ds_read2_b64 v[97:100], v94 offset0:32 offset1:33
	buffer_load_dword v85, off, s[24:27], 0 offset:32 ; 4-byte Folded Reload
	buffer_load_dword v86, off, s[24:27], 0 offset:36 ; 4-byte Folded Reload
	;; [unrolled: 1-line block ×4, first 2 shown]
	s_waitcnt lgkmcnt(0)
	v_mul_f64 v[101:102], v[99:100], v[103:104]
	v_fma_f64 v[101:102], v[97:98], v[109:110], -v[101:102]
	v_mul_f64 v[97:98], v[97:98], v[103:104]
	v_fma_f64 v[97:98], v[99:100], v[109:110], v[97:98]
	s_waitcnt vmcnt(2)
	v_add_f64 v[85:86], v[85:86], -v[101:102]
	s_waitcnt vmcnt(0)
	v_add_f64 v[87:88], v[87:88], -v[97:98]
	buffer_store_dword v85, off, s[24:27], 0 offset:32 ; 4-byte Folded Spill
	s_nop 0
	buffer_store_dword v86, off, s[24:27], 0 offset:36 ; 4-byte Folded Spill
	buffer_store_dword v87, off, s[24:27], 0 offset:40 ; 4-byte Folded Spill
	;; [unrolled: 1-line block ×3, first 2 shown]
	ds_read2_b64 v[97:100], v94 offset0:34 offset1:35
	buffer_load_dword v85, off, s[24:27], 0 offset:16 ; 4-byte Folded Reload
	buffer_load_dword v86, off, s[24:27], 0 offset:20 ; 4-byte Folded Reload
	;; [unrolled: 1-line block ×4, first 2 shown]
	s_waitcnt lgkmcnt(0)
	v_mul_f64 v[101:102], v[99:100], v[103:104]
	v_fma_f64 v[101:102], v[97:98], v[109:110], -v[101:102]
	v_mul_f64 v[97:98], v[97:98], v[103:104]
	v_fma_f64 v[97:98], v[99:100], v[109:110], v[97:98]
	s_waitcnt vmcnt(2)
	v_add_f64 v[85:86], v[85:86], -v[101:102]
	s_waitcnt vmcnt(0)
	v_add_f64 v[87:88], v[87:88], -v[97:98]
	buffer_store_dword v85, off, s[24:27], 0 offset:16 ; 4-byte Folded Spill
	s_nop 0
	buffer_store_dword v86, off, s[24:27], 0 offset:20 ; 4-byte Folded Spill
	buffer_store_dword v87, off, s[24:27], 0 offset:24 ; 4-byte Folded Spill
	;; [unrolled: 1-line block ×3, first 2 shown]
	ds_read2_b64 v[97:100], v94 offset0:36 offset1:37
	s_waitcnt lgkmcnt(0)
	v_mul_f64 v[101:102], v[99:100], v[103:104]
	v_fma_f64 v[101:102], v[97:98], v[109:110], -v[101:102]
	v_mul_f64 v[97:98], v[97:98], v[103:104]
	v_add_f64 v[89:90], v[89:90], -v[101:102]
	v_fma_f64 v[97:98], v[99:100], v[109:110], v[97:98]
	v_add_f64 v[91:92], v[91:92], -v[97:98]
	ds_read2_b64 v[97:100], v94 offset0:38 offset1:39
	s_waitcnt lgkmcnt(0)
	v_mul_f64 v[101:102], v[99:100], v[103:104]
	v_fma_f64 v[101:102], v[97:98], v[109:110], -v[101:102]
	v_mul_f64 v[97:98], v[97:98], v[103:104]
	v_add_f64 v[111:112], v[111:112], -v[101:102]
	v_fma_f64 v[97:98], v[99:100], v[109:110], v[97:98]
	v_add_f64 v[113:114], v[113:114], -v[97:98]
	ds_read2_b64 v[97:100], v94 offset0:40 offset1:41
	buffer_load_dword v85, off, s[24:27], 0 ; 4-byte Folded Reload
	buffer_load_dword v86, off, s[24:27], 0 offset:4 ; 4-byte Folded Reload
	buffer_load_dword v87, off, s[24:27], 0 offset:8 ; 4-byte Folded Reload
	;; [unrolled: 1-line block ×3, first 2 shown]
	s_waitcnt lgkmcnt(0)
	v_mul_f64 v[101:102], v[99:100], v[103:104]
	v_fma_f64 v[101:102], v[97:98], v[109:110], -v[101:102]
	v_mul_f64 v[97:98], v[97:98], v[103:104]
	v_fma_f64 v[97:98], v[99:100], v[109:110], v[97:98]
	s_waitcnt vmcnt(2)
	v_add_f64 v[85:86], v[85:86], -v[101:102]
	s_waitcnt vmcnt(0)
	v_add_f64 v[87:88], v[87:88], -v[97:98]
	buffer_store_dword v85, off, s[24:27], 0 ; 4-byte Folded Spill
	s_nop 0
	buffer_store_dword v86, off, s[24:27], 0 offset:4 ; 4-byte Folded Spill
	buffer_store_dword v87, off, s[24:27], 0 offset:8 ; 4-byte Folded Spill
	;; [unrolled: 1-line block ×3, first 2 shown]
	ds_read2_b64 v[97:100], v94 offset0:42 offset1:43
	s_waitcnt lgkmcnt(0)
	v_mul_f64 v[101:102], v[99:100], v[103:104]
	v_fma_f64 v[101:102], v[97:98], v[109:110], -v[101:102]
	v_mul_f64 v[97:98], v[97:98], v[103:104]
	v_add_f64 v[81:82], v[81:82], -v[101:102]
	v_fma_f64 v[97:98], v[99:100], v[109:110], v[97:98]
	v_add_f64 v[83:84], v[83:84], -v[97:98]
	ds_read2_b64 v[97:100], v94 offset0:44 offset1:45
	s_waitcnt lgkmcnt(0)
	v_mul_f64 v[101:102], v[99:100], v[103:104]
	v_fma_f64 v[101:102], v[97:98], v[109:110], -v[101:102]
	v_mul_f64 v[97:98], v[97:98], v[103:104]
	v_add_f64 v[77:78], v[77:78], -v[101:102]
	v_fma_f64 v[97:98], v[99:100], v[109:110], v[97:98]
	v_add_f64 v[79:80], v[79:80], -v[97:98]
	;; [unrolled: 8-line block ×21, first 2 shown]
	ds_read2_b64 v[97:100], v94 offset0:84 offset1:85
	s_waitcnt lgkmcnt(0)
	v_mul_f64 v[101:102], v[99:100], v[103:104]
	v_fma_f64 v[101:102], v[97:98], v[109:110], -v[101:102]
	v_mul_f64 v[97:98], v[97:98], v[103:104]
	v_add_f64 v[121:122], v[121:122], -v[101:102]
	v_fma_f64 v[97:98], v[99:100], v[109:110], v[97:98]
	v_mov_b32_e32 v101, v109
	v_mov_b32_e32 v102, v110
	buffer_store_dword v101, off, s[24:27], 0 offset:48 ; 4-byte Folded Spill
	s_nop 0
	buffer_store_dword v102, off, s[24:27], 0 offset:52 ; 4-byte Folded Spill
	buffer_store_dword v103, off, s[24:27], 0 offset:56 ; 4-byte Folded Spill
	;; [unrolled: 1-line block ×3, first 2 shown]
	v_add_f64 v[123:124], v[123:124], -v[97:98]
.LBB84_335:
	s_or_b64 exec, exec, s[0:1]
	s_waitcnt vmcnt(0)
	s_barrier
	buffer_load_dword v85, off, s[24:27], 0 offset:32 ; 4-byte Folded Reload
	buffer_load_dword v86, off, s[24:27], 0 offset:36 ; 4-byte Folded Reload
	;; [unrolled: 1-line block ×4, first 2 shown]
	v_lshl_add_u32 v97, v96, 4, v94
	s_cmp_lt_i32 s3, 18
	s_waitcnt vmcnt(0)
	ds_write2_b64 v97, v[85:86], v[87:88] offset1:1
	s_waitcnt lgkmcnt(0)
	s_barrier
	ds_read2_b64 v[117:120], v94 offset0:32 offset1:33
	v_mov_b32_e32 v97, 16
	s_cbranch_scc1 .LBB84_338
; %bb.336:
	v_add_u32_e32 v98, 0x110, v94
	s_mov_b32 s0, 17
	v_mov_b32_e32 v97, 16
.LBB84_337:                             ; =>This Inner Loop Header: Depth=1
	s_waitcnt lgkmcnt(0)
	v_cmp_gt_f64_e32 vcc, 0, v[117:118]
	v_xor_b32_e32 v103, 0x80000000, v118
	ds_read2_b64 v[99:102], v98 offset1:1
	v_xor_b32_e32 v105, 0x80000000, v120
	v_add_u32_e32 v98, 16, v98
	s_waitcnt lgkmcnt(0)
	v_xor_b32_e32 v107, 0x80000000, v102
	v_cndmask_b32_e32 v104, v118, v103, vcc
	v_cmp_gt_f64_e32 vcc, 0, v[119:120]
	v_mov_b32_e32 v103, v117
	v_cndmask_b32_e32 v106, v120, v105, vcc
	v_cmp_gt_f64_e32 vcc, 0, v[99:100]
	v_mov_b32_e32 v105, v119
	v_add_f64 v[103:104], v[103:104], v[105:106]
	v_xor_b32_e32 v105, 0x80000000, v100
	v_cndmask_b32_e32 v106, v100, v105, vcc
	v_cmp_gt_f64_e32 vcc, 0, v[101:102]
	v_mov_b32_e32 v105, v99
	v_cndmask_b32_e32 v108, v102, v107, vcc
	v_mov_b32_e32 v107, v101
	v_add_f64 v[105:106], v[105:106], v[107:108]
	v_cmp_lt_f64_e32 vcc, v[103:104], v[105:106]
	v_cndmask_b32_e32 v117, v117, v99, vcc
	v_mov_b32_e32 v99, s0
	s_add_i32 s0, s0, 1
	v_cndmask_b32_e32 v118, v118, v100, vcc
	v_cndmask_b32_e32 v120, v120, v102, vcc
	;; [unrolled: 1-line block ×4, first 2 shown]
	s_cmp_lg_u32 s3, s0
	s_cbranch_scc1 .LBB84_337
.LBB84_338:
	s_waitcnt lgkmcnt(0)
	v_cmp_eq_f64_e32 vcc, 0, v[117:118]
	v_cmp_eq_f64_e64 s[0:1], 0, v[119:120]
	s_and_b64 s[0:1], vcc, s[0:1]
	s_and_saveexec_b64 s[18:19], s[0:1]
	s_xor_b64 s[0:1], exec, s[18:19]
; %bb.339:
	v_cmp_ne_u32_e32 vcc, 0, v95
	v_cndmask_b32_e32 v95, 17, v95, vcc
; %bb.340:
	s_andn2_saveexec_b64 s[0:1], s[0:1]
	s_cbranch_execz .LBB84_346
; %bb.341:
	v_cmp_ngt_f64_e64 s[18:19], |v[117:118]|, |v[119:120]|
	s_and_saveexec_b64 s[20:21], s[18:19]
	s_xor_b64 s[18:19], exec, s[20:21]
	s_cbranch_execz .LBB84_343
; %bb.342:
	v_div_scale_f64 v[98:99], s[20:21], v[119:120], v[119:120], v[117:118]
	v_rcp_f64_e32 v[100:101], v[98:99]
	v_fma_f64 v[102:103], -v[98:99], v[100:101], 1.0
	v_fma_f64 v[100:101], v[100:101], v[102:103], v[100:101]
	v_div_scale_f64 v[102:103], vcc, v[117:118], v[119:120], v[117:118]
	v_fma_f64 v[104:105], -v[98:99], v[100:101], 1.0
	v_fma_f64 v[100:101], v[100:101], v[104:105], v[100:101]
	v_mul_f64 v[104:105], v[102:103], v[100:101]
	v_fma_f64 v[98:99], -v[98:99], v[104:105], v[102:103]
	v_div_fmas_f64 v[98:99], v[98:99], v[100:101], v[104:105]
	v_div_fixup_f64 v[98:99], v[98:99], v[119:120], v[117:118]
	v_fma_f64 v[100:101], v[117:118], v[98:99], v[119:120]
	v_div_scale_f64 v[102:103], s[20:21], v[100:101], v[100:101], 1.0
	v_div_scale_f64 v[108:109], vcc, 1.0, v[100:101], 1.0
	v_rcp_f64_e32 v[104:105], v[102:103]
	v_fma_f64 v[106:107], -v[102:103], v[104:105], 1.0
	v_fma_f64 v[104:105], v[104:105], v[106:107], v[104:105]
	v_fma_f64 v[106:107], -v[102:103], v[104:105], 1.0
	v_fma_f64 v[104:105], v[104:105], v[106:107], v[104:105]
	v_mul_f64 v[106:107], v[108:109], v[104:105]
	v_fma_f64 v[102:103], -v[102:103], v[106:107], v[108:109]
	v_div_fmas_f64 v[102:103], v[102:103], v[104:105], v[106:107]
	v_div_fixup_f64 v[119:120], v[102:103], v[100:101], 1.0
	v_mul_f64 v[117:118], v[98:99], v[119:120]
	v_xor_b32_e32 v120, 0x80000000, v120
.LBB84_343:
	s_andn2_saveexec_b64 s[18:19], s[18:19]
	s_cbranch_execz .LBB84_345
; %bb.344:
	v_div_scale_f64 v[98:99], s[20:21], v[117:118], v[117:118], v[119:120]
	v_rcp_f64_e32 v[100:101], v[98:99]
	v_fma_f64 v[102:103], -v[98:99], v[100:101], 1.0
	v_fma_f64 v[100:101], v[100:101], v[102:103], v[100:101]
	v_div_scale_f64 v[102:103], vcc, v[119:120], v[117:118], v[119:120]
	v_fma_f64 v[104:105], -v[98:99], v[100:101], 1.0
	v_fma_f64 v[100:101], v[100:101], v[104:105], v[100:101]
	v_mul_f64 v[104:105], v[102:103], v[100:101]
	v_fma_f64 v[98:99], -v[98:99], v[104:105], v[102:103]
	v_div_fmas_f64 v[98:99], v[98:99], v[100:101], v[104:105]
	v_div_fixup_f64 v[98:99], v[98:99], v[117:118], v[119:120]
	v_fma_f64 v[100:101], v[119:120], v[98:99], v[117:118]
	v_div_scale_f64 v[102:103], s[20:21], v[100:101], v[100:101], 1.0
	v_div_scale_f64 v[108:109], vcc, 1.0, v[100:101], 1.0
	v_rcp_f64_e32 v[104:105], v[102:103]
	v_fma_f64 v[106:107], -v[102:103], v[104:105], 1.0
	v_fma_f64 v[104:105], v[104:105], v[106:107], v[104:105]
	v_fma_f64 v[106:107], -v[102:103], v[104:105], 1.0
	v_fma_f64 v[104:105], v[104:105], v[106:107], v[104:105]
	v_mul_f64 v[106:107], v[108:109], v[104:105]
	v_fma_f64 v[102:103], -v[102:103], v[106:107], v[108:109]
	v_div_fmas_f64 v[102:103], v[102:103], v[104:105], v[106:107]
	v_div_fixup_f64 v[117:118], v[102:103], v[100:101], 1.0
	v_mul_f64 v[119:120], v[98:99], -v[117:118]
.LBB84_345:
	s_or_b64 exec, exec, s[18:19]
.LBB84_346:
	s_or_b64 exec, exec, s[0:1]
	v_cmp_ne_u32_e32 vcc, v96, v97
	s_and_saveexec_b64 s[0:1], vcc
	s_xor_b64 s[0:1], exec, s[0:1]
	s_cbranch_execz .LBB84_352
; %bb.347:
	v_cmp_eq_u32_e32 vcc, 16, v96
	s_and_saveexec_b64 s[18:19], vcc
	s_cbranch_execz .LBB84_351
; %bb.348:
	v_cmp_ne_u32_e32 vcc, 16, v97
	s_xor_b64 s[20:21], s[6:7], -1
	s_and_b64 s[22:23], s[20:21], vcc
	s_and_saveexec_b64 s[20:21], s[22:23]
	s_cbranch_execz .LBB84_350
; %bb.349:
	v_mov_b32_e32 v85, v89
	v_mov_b32_e32 v86, v90
	;; [unrolled: 1-line block ×4, first 2 shown]
	buffer_load_dword v89, off, s[24:27], 0 offset:272 ; 4-byte Folded Reload
	buffer_load_dword v90, off, s[24:27], 0 offset:276 ; 4-byte Folded Reload
	v_ashrrev_i32_e32 v98, 31, v97
	v_lshlrev_b64 v[98:99], 2, v[97:98]
	s_waitcnt vmcnt(1)
	v_add_co_u32_e32 v98, vcc, v89, v98
	s_waitcnt vmcnt(0)
	v_addc_co_u32_e32 v99, vcc, v90, v99, vcc
	global_load_dword v0, v[98:99], off
	global_load_dword v96, v[89:90], off offset:64
	s_waitcnt vmcnt(1)
	global_store_dword v[89:90], v0, off offset:64
	v_mov_b32_e32 v92, v88
	v_mov_b32_e32 v91, v87
	;; [unrolled: 1-line block ×4, first 2 shown]
	s_waitcnt vmcnt(1)
	global_store_dword v[98:99], v96, off
.LBB84_350:
	s_or_b64 exec, exec, s[20:21]
	v_mov_b32_e32 v96, v97
	v_mov_b32_e32 v0, v97
.LBB84_351:
	s_or_b64 exec, exec, s[18:19]
.LBB84_352:
	s_andn2_saveexec_b64 s[0:1], s[0:1]
	s_cbranch_execz .LBB84_354
; %bb.353:
	buffer_load_dword v85, off, s[24:27], 0 offset:16 ; 4-byte Folded Reload
	buffer_load_dword v86, off, s[24:27], 0 offset:20 ; 4-byte Folded Reload
	;; [unrolled: 1-line block ×4, first 2 shown]
	v_mov_b32_e32 v96, 16
	s_waitcnt vmcnt(0)
	ds_write2_b64 v94, v[85:86], v[87:88] offset0:34 offset1:35
	ds_write2_b64 v94, v[89:90], v[91:92] offset0:36 offset1:37
	;; [unrolled: 1-line block ×3, first 2 shown]
	buffer_load_dword v85, off, s[24:27], 0 ; 4-byte Folded Reload
	buffer_load_dword v86, off, s[24:27], 0 offset:4 ; 4-byte Folded Reload
	buffer_load_dword v87, off, s[24:27], 0 offset:8 ; 4-byte Folded Reload
	;; [unrolled: 1-line block ×3, first 2 shown]
	s_waitcnt vmcnt(0)
	ds_write2_b64 v94, v[85:86], v[87:88] offset0:40 offset1:41
	ds_write2_b64 v94, v[81:82], v[83:84] offset0:42 offset1:43
	ds_write2_b64 v94, v[77:78], v[79:80] offset0:44 offset1:45
	ds_write2_b64 v94, v[73:74], v[75:76] offset0:46 offset1:47
	ds_write2_b64 v94, v[69:70], v[71:72] offset0:48 offset1:49
	ds_write2_b64 v94, v[65:66], v[67:68] offset0:50 offset1:51
	ds_write2_b64 v94, v[61:62], v[63:64] offset0:52 offset1:53
	ds_write2_b64 v94, v[57:58], v[59:60] offset0:54 offset1:55
	ds_write2_b64 v94, v[53:54], v[55:56] offset0:56 offset1:57
	ds_write2_b64 v94, v[49:50], v[51:52] offset0:58 offset1:59
	ds_write2_b64 v94, v[45:46], v[47:48] offset0:60 offset1:61
	ds_write2_b64 v94, v[41:42], v[43:44] offset0:62 offset1:63
	ds_write2_b64 v94, v[37:38], v[39:40] offset0:64 offset1:65
	ds_write2_b64 v94, v[33:34], v[35:36] offset0:66 offset1:67
	ds_write2_b64 v94, v[29:30], v[31:32] offset0:68 offset1:69
	ds_write2_b64 v94, v[25:26], v[27:28] offset0:70 offset1:71
	ds_write2_b64 v94, v[21:22], v[23:24] offset0:72 offset1:73
	ds_write2_b64 v94, v[17:18], v[19:20] offset0:74 offset1:75
	ds_write2_b64 v94, v[13:14], v[15:16] offset0:76 offset1:77
	ds_write2_b64 v94, v[9:10], v[11:12] offset0:78 offset1:79
	ds_write2_b64 v94, v[5:6], v[7:8] offset0:80 offset1:81
	ds_write2_b64 v94, v[1:2], v[3:4] offset0:82 offset1:83
	ds_write2_b64 v94, v[121:122], v[123:124] offset0:84 offset1:85
.LBB84_354:
	s_or_b64 exec, exec, s[0:1]
	v_cmp_lt_i32_e32 vcc, 16, v96
	s_waitcnt vmcnt(0) lgkmcnt(0)
	s_barrier
	s_and_saveexec_b64 s[0:1], vcc
	s_cbranch_execz .LBB84_356
; %bb.355:
	buffer_load_dword v103, off, s[24:27], 0 offset:32 ; 4-byte Folded Reload
	buffer_load_dword v104, off, s[24:27], 0 offset:36 ; 4-byte Folded Reload
	;; [unrolled: 1-line block ×4, first 2 shown]
	s_waitcnt vmcnt(0)
	v_mul_f64 v[97:98], v[119:120], v[105:106]
	v_fma_f64 v[101:102], v[117:118], v[103:104], -v[97:98]
	v_mul_f64 v[97:98], v[117:118], v[105:106]
	v_fma_f64 v[105:106], v[119:120], v[103:104], v[97:98]
	ds_read2_b64 v[97:100], v94 offset0:34 offset1:35
	buffer_load_dword v85, off, s[24:27], 0 offset:16 ; 4-byte Folded Reload
	buffer_load_dword v86, off, s[24:27], 0 offset:20 ; 4-byte Folded Reload
	buffer_load_dword v87, off, s[24:27], 0 offset:24 ; 4-byte Folded Reload
	buffer_load_dword v88, off, s[24:27], 0 offset:28 ; 4-byte Folded Reload
	s_waitcnt lgkmcnt(0)
	v_mul_f64 v[103:104], v[99:100], v[105:106]
	v_fma_f64 v[103:104], v[97:98], v[101:102], -v[103:104]
	v_mul_f64 v[97:98], v[97:98], v[105:106]
	v_fma_f64 v[97:98], v[99:100], v[101:102], v[97:98]
	s_waitcnt vmcnt(2)
	v_add_f64 v[85:86], v[85:86], -v[103:104]
	s_waitcnt vmcnt(0)
	v_add_f64 v[87:88], v[87:88], -v[97:98]
	buffer_store_dword v85, off, s[24:27], 0 offset:16 ; 4-byte Folded Spill
	s_nop 0
	buffer_store_dword v86, off, s[24:27], 0 offset:20 ; 4-byte Folded Spill
	buffer_store_dword v87, off, s[24:27], 0 offset:24 ; 4-byte Folded Spill
	buffer_store_dword v88, off, s[24:27], 0 offset:28 ; 4-byte Folded Spill
	ds_read2_b64 v[97:100], v94 offset0:36 offset1:37
	s_waitcnt lgkmcnt(0)
	v_mul_f64 v[103:104], v[99:100], v[105:106]
	v_fma_f64 v[103:104], v[97:98], v[101:102], -v[103:104]
	v_mul_f64 v[97:98], v[97:98], v[105:106]
	v_add_f64 v[89:90], v[89:90], -v[103:104]
	v_fma_f64 v[97:98], v[99:100], v[101:102], v[97:98]
	v_add_f64 v[91:92], v[91:92], -v[97:98]
	ds_read2_b64 v[97:100], v94 offset0:38 offset1:39
	s_waitcnt lgkmcnt(0)
	v_mul_f64 v[103:104], v[99:100], v[105:106]
	v_fma_f64 v[103:104], v[97:98], v[101:102], -v[103:104]
	v_mul_f64 v[97:98], v[97:98], v[105:106]
	v_add_f64 v[111:112], v[111:112], -v[103:104]
	v_fma_f64 v[97:98], v[99:100], v[101:102], v[97:98]
	v_add_f64 v[113:114], v[113:114], -v[97:98]
	ds_read2_b64 v[97:100], v94 offset0:40 offset1:41
	buffer_load_dword v85, off, s[24:27], 0 ; 4-byte Folded Reload
	buffer_load_dword v86, off, s[24:27], 0 offset:4 ; 4-byte Folded Reload
	buffer_load_dword v87, off, s[24:27], 0 offset:8 ; 4-byte Folded Reload
	;; [unrolled: 1-line block ×3, first 2 shown]
	s_waitcnt lgkmcnt(0)
	v_mul_f64 v[103:104], v[99:100], v[105:106]
	v_fma_f64 v[103:104], v[97:98], v[101:102], -v[103:104]
	v_mul_f64 v[97:98], v[97:98], v[105:106]
	v_fma_f64 v[97:98], v[99:100], v[101:102], v[97:98]
	s_waitcnt vmcnt(2)
	v_add_f64 v[85:86], v[85:86], -v[103:104]
	s_waitcnt vmcnt(0)
	v_add_f64 v[87:88], v[87:88], -v[97:98]
	buffer_store_dword v85, off, s[24:27], 0 ; 4-byte Folded Spill
	s_nop 0
	buffer_store_dword v86, off, s[24:27], 0 offset:4 ; 4-byte Folded Spill
	buffer_store_dword v87, off, s[24:27], 0 offset:8 ; 4-byte Folded Spill
	;; [unrolled: 1-line block ×3, first 2 shown]
	ds_read2_b64 v[97:100], v94 offset0:42 offset1:43
	s_waitcnt lgkmcnt(0)
	v_mul_f64 v[103:104], v[99:100], v[105:106]
	v_fma_f64 v[103:104], v[97:98], v[101:102], -v[103:104]
	v_mul_f64 v[97:98], v[97:98], v[105:106]
	v_add_f64 v[81:82], v[81:82], -v[103:104]
	v_fma_f64 v[97:98], v[99:100], v[101:102], v[97:98]
	v_add_f64 v[83:84], v[83:84], -v[97:98]
	ds_read2_b64 v[97:100], v94 offset0:44 offset1:45
	s_waitcnt lgkmcnt(0)
	v_mul_f64 v[103:104], v[99:100], v[105:106]
	v_fma_f64 v[103:104], v[97:98], v[101:102], -v[103:104]
	v_mul_f64 v[97:98], v[97:98], v[105:106]
	v_add_f64 v[77:78], v[77:78], -v[103:104]
	v_fma_f64 v[97:98], v[99:100], v[101:102], v[97:98]
	v_add_f64 v[79:80], v[79:80], -v[97:98]
	;; [unrolled: 8-line block ×21, first 2 shown]
	ds_read2_b64 v[97:100], v94 offset0:84 offset1:85
	s_waitcnt lgkmcnt(0)
	v_mul_f64 v[103:104], v[99:100], v[105:106]
	v_fma_f64 v[103:104], v[97:98], v[101:102], -v[103:104]
	v_mul_f64 v[97:98], v[97:98], v[105:106]
	v_add_f64 v[121:122], v[121:122], -v[103:104]
	v_fma_f64 v[97:98], v[99:100], v[101:102], v[97:98]
	v_mov_b32_e32 v104, v102
	v_mov_b32_e32 v103, v101
	buffer_store_dword v103, off, s[24:27], 0 offset:32 ; 4-byte Folded Spill
	s_nop 0
	buffer_store_dword v104, off, s[24:27], 0 offset:36 ; 4-byte Folded Spill
	buffer_store_dword v105, off, s[24:27], 0 offset:40 ; 4-byte Folded Spill
	;; [unrolled: 1-line block ×3, first 2 shown]
	v_add_f64 v[123:124], v[123:124], -v[97:98]
.LBB84_356:
	s_or_b64 exec, exec, s[0:1]
	s_waitcnt vmcnt(0)
	s_barrier
	buffer_load_dword v85, off, s[24:27], 0 offset:16 ; 4-byte Folded Reload
	buffer_load_dword v86, off, s[24:27], 0 offset:20 ; 4-byte Folded Reload
	;; [unrolled: 1-line block ×4, first 2 shown]
	v_lshl_add_u32 v97, v96, 4, v94
	s_cmp_lt_i32 s3, 19
	s_waitcnt vmcnt(0)
	ds_write2_b64 v97, v[85:86], v[87:88] offset1:1
	s_waitcnt lgkmcnt(0)
	s_barrier
	ds_read2_b64 v[117:120], v94 offset0:34 offset1:35
	v_mov_b32_e32 v97, 17
	s_cbranch_scc1 .LBB84_359
; %bb.357:
	v_add_u32_e32 v98, 0x120, v94
	s_mov_b32 s0, 18
	v_mov_b32_e32 v97, 17
.LBB84_358:                             ; =>This Inner Loop Header: Depth=1
	s_waitcnt lgkmcnt(0)
	v_cmp_gt_f64_e32 vcc, 0, v[117:118]
	v_xor_b32_e32 v103, 0x80000000, v118
	ds_read2_b64 v[99:102], v98 offset1:1
	v_xor_b32_e32 v105, 0x80000000, v120
	v_add_u32_e32 v98, 16, v98
	s_waitcnt lgkmcnt(0)
	v_xor_b32_e32 v107, 0x80000000, v102
	v_cndmask_b32_e32 v104, v118, v103, vcc
	v_cmp_gt_f64_e32 vcc, 0, v[119:120]
	v_mov_b32_e32 v103, v117
	v_cndmask_b32_e32 v106, v120, v105, vcc
	v_cmp_gt_f64_e32 vcc, 0, v[99:100]
	v_mov_b32_e32 v105, v119
	v_add_f64 v[103:104], v[103:104], v[105:106]
	v_xor_b32_e32 v105, 0x80000000, v100
	v_cndmask_b32_e32 v106, v100, v105, vcc
	v_cmp_gt_f64_e32 vcc, 0, v[101:102]
	v_mov_b32_e32 v105, v99
	v_cndmask_b32_e32 v108, v102, v107, vcc
	v_mov_b32_e32 v107, v101
	v_add_f64 v[105:106], v[105:106], v[107:108]
	v_cmp_lt_f64_e32 vcc, v[103:104], v[105:106]
	v_cndmask_b32_e32 v117, v117, v99, vcc
	v_mov_b32_e32 v99, s0
	s_add_i32 s0, s0, 1
	v_cndmask_b32_e32 v118, v118, v100, vcc
	v_cndmask_b32_e32 v120, v120, v102, vcc
	;; [unrolled: 1-line block ×4, first 2 shown]
	s_cmp_lg_u32 s3, s0
	s_cbranch_scc1 .LBB84_358
.LBB84_359:
	s_waitcnt lgkmcnt(0)
	v_cmp_eq_f64_e32 vcc, 0, v[117:118]
	v_cmp_eq_f64_e64 s[0:1], 0, v[119:120]
	s_and_b64 s[0:1], vcc, s[0:1]
	s_and_saveexec_b64 s[18:19], s[0:1]
	s_xor_b64 s[0:1], exec, s[18:19]
; %bb.360:
	v_cmp_ne_u32_e32 vcc, 0, v95
	v_cndmask_b32_e32 v95, 18, v95, vcc
; %bb.361:
	s_andn2_saveexec_b64 s[0:1], s[0:1]
	s_cbranch_execz .LBB84_367
; %bb.362:
	v_cmp_ngt_f64_e64 s[18:19], |v[117:118]|, |v[119:120]|
	s_and_saveexec_b64 s[20:21], s[18:19]
	s_xor_b64 s[18:19], exec, s[20:21]
	s_cbranch_execz .LBB84_364
; %bb.363:
	v_div_scale_f64 v[98:99], s[20:21], v[119:120], v[119:120], v[117:118]
	v_rcp_f64_e32 v[100:101], v[98:99]
	v_fma_f64 v[102:103], -v[98:99], v[100:101], 1.0
	v_fma_f64 v[100:101], v[100:101], v[102:103], v[100:101]
	v_div_scale_f64 v[102:103], vcc, v[117:118], v[119:120], v[117:118]
	v_fma_f64 v[104:105], -v[98:99], v[100:101], 1.0
	v_fma_f64 v[100:101], v[100:101], v[104:105], v[100:101]
	v_mul_f64 v[104:105], v[102:103], v[100:101]
	v_fma_f64 v[98:99], -v[98:99], v[104:105], v[102:103]
	v_div_fmas_f64 v[98:99], v[98:99], v[100:101], v[104:105]
	v_div_fixup_f64 v[98:99], v[98:99], v[119:120], v[117:118]
	v_fma_f64 v[100:101], v[117:118], v[98:99], v[119:120]
	v_div_scale_f64 v[102:103], s[20:21], v[100:101], v[100:101], 1.0
	v_div_scale_f64 v[108:109], vcc, 1.0, v[100:101], 1.0
	v_rcp_f64_e32 v[104:105], v[102:103]
	v_fma_f64 v[106:107], -v[102:103], v[104:105], 1.0
	v_fma_f64 v[104:105], v[104:105], v[106:107], v[104:105]
	v_fma_f64 v[106:107], -v[102:103], v[104:105], 1.0
	v_fma_f64 v[104:105], v[104:105], v[106:107], v[104:105]
	v_mul_f64 v[106:107], v[108:109], v[104:105]
	v_fma_f64 v[102:103], -v[102:103], v[106:107], v[108:109]
	v_div_fmas_f64 v[102:103], v[102:103], v[104:105], v[106:107]
	v_div_fixup_f64 v[119:120], v[102:103], v[100:101], 1.0
	v_mul_f64 v[117:118], v[98:99], v[119:120]
	v_xor_b32_e32 v120, 0x80000000, v120
.LBB84_364:
	s_andn2_saveexec_b64 s[18:19], s[18:19]
	s_cbranch_execz .LBB84_366
; %bb.365:
	v_div_scale_f64 v[98:99], s[20:21], v[117:118], v[117:118], v[119:120]
	v_rcp_f64_e32 v[100:101], v[98:99]
	v_fma_f64 v[102:103], -v[98:99], v[100:101], 1.0
	v_fma_f64 v[100:101], v[100:101], v[102:103], v[100:101]
	v_div_scale_f64 v[102:103], vcc, v[119:120], v[117:118], v[119:120]
	v_fma_f64 v[104:105], -v[98:99], v[100:101], 1.0
	v_fma_f64 v[100:101], v[100:101], v[104:105], v[100:101]
	v_mul_f64 v[104:105], v[102:103], v[100:101]
	v_fma_f64 v[98:99], -v[98:99], v[104:105], v[102:103]
	v_div_fmas_f64 v[98:99], v[98:99], v[100:101], v[104:105]
	v_div_fixup_f64 v[98:99], v[98:99], v[117:118], v[119:120]
	v_fma_f64 v[100:101], v[119:120], v[98:99], v[117:118]
	v_div_scale_f64 v[102:103], s[20:21], v[100:101], v[100:101], 1.0
	v_div_scale_f64 v[108:109], vcc, 1.0, v[100:101], 1.0
	v_rcp_f64_e32 v[104:105], v[102:103]
	v_fma_f64 v[106:107], -v[102:103], v[104:105], 1.0
	v_fma_f64 v[104:105], v[104:105], v[106:107], v[104:105]
	v_fma_f64 v[106:107], -v[102:103], v[104:105], 1.0
	v_fma_f64 v[104:105], v[104:105], v[106:107], v[104:105]
	v_mul_f64 v[106:107], v[108:109], v[104:105]
	v_fma_f64 v[102:103], -v[102:103], v[106:107], v[108:109]
	v_div_fmas_f64 v[102:103], v[102:103], v[104:105], v[106:107]
	v_div_fixup_f64 v[117:118], v[102:103], v[100:101], 1.0
	v_mul_f64 v[119:120], v[98:99], -v[117:118]
.LBB84_366:
	s_or_b64 exec, exec, s[18:19]
.LBB84_367:
	s_or_b64 exec, exec, s[0:1]
	v_cmp_ne_u32_e32 vcc, v96, v97
	s_and_saveexec_b64 s[0:1], vcc
	s_xor_b64 s[0:1], exec, s[0:1]
	s_cbranch_execz .LBB84_373
; %bb.368:
	v_cmp_eq_u32_e32 vcc, 17, v96
	s_and_saveexec_b64 s[18:19], vcc
	s_cbranch_execz .LBB84_372
; %bb.369:
	v_cmp_ne_u32_e32 vcc, 17, v97
	s_xor_b64 s[20:21], s[6:7], -1
	s_and_b64 s[22:23], s[20:21], vcc
	s_and_saveexec_b64 s[20:21], s[22:23]
	s_cbranch_execz .LBB84_371
; %bb.370:
	v_mov_b32_e32 v85, v89
	v_mov_b32_e32 v86, v90
	;; [unrolled: 1-line block ×4, first 2 shown]
	buffer_load_dword v89, off, s[24:27], 0 offset:272 ; 4-byte Folded Reload
	buffer_load_dword v90, off, s[24:27], 0 offset:276 ; 4-byte Folded Reload
	v_ashrrev_i32_e32 v98, 31, v97
	v_lshlrev_b64 v[98:99], 2, v[97:98]
	s_waitcnt vmcnt(1)
	v_add_co_u32_e32 v98, vcc, v89, v98
	s_waitcnt vmcnt(0)
	v_addc_co_u32_e32 v99, vcc, v90, v99, vcc
	global_load_dword v0, v[98:99], off
	global_load_dword v96, v[89:90], off offset:68
	s_waitcnt vmcnt(1)
	global_store_dword v[89:90], v0, off offset:68
	v_mov_b32_e32 v92, v88
	v_mov_b32_e32 v91, v87
	v_mov_b32_e32 v90, v86
	v_mov_b32_e32 v89, v85
	s_waitcnt vmcnt(1)
	global_store_dword v[98:99], v96, off
.LBB84_371:
	s_or_b64 exec, exec, s[20:21]
	v_mov_b32_e32 v96, v97
	v_mov_b32_e32 v0, v97
.LBB84_372:
	s_or_b64 exec, exec, s[18:19]
.LBB84_373:
	s_andn2_saveexec_b64 s[0:1], s[0:1]
	s_cbranch_execz .LBB84_375
; %bb.374:
	ds_write2_b64 v94, v[89:90], v[91:92] offset0:36 offset1:37
	ds_write2_b64 v94, v[111:112], v[113:114] offset0:38 offset1:39
	buffer_load_dword v85, off, s[24:27], 0 ; 4-byte Folded Reload
	buffer_load_dword v86, off, s[24:27], 0 offset:4 ; 4-byte Folded Reload
	buffer_load_dword v87, off, s[24:27], 0 offset:8 ; 4-byte Folded Reload
	buffer_load_dword v88, off, s[24:27], 0 offset:12 ; 4-byte Folded Reload
	v_mov_b32_e32 v96, 17
	s_waitcnt vmcnt(0)
	ds_write2_b64 v94, v[85:86], v[87:88] offset0:40 offset1:41
	ds_write2_b64 v94, v[81:82], v[83:84] offset0:42 offset1:43
	;; [unrolled: 1-line block ×23, first 2 shown]
.LBB84_375:
	s_or_b64 exec, exec, s[0:1]
	v_cmp_lt_i32_e32 vcc, 17, v96
	s_waitcnt vmcnt(0) lgkmcnt(0)
	s_barrier
	s_and_saveexec_b64 s[0:1], vcc
	s_cbranch_execz .LBB84_377
; %bb.376:
	buffer_load_dword v103, off, s[24:27], 0 offset:16 ; 4-byte Folded Reload
	buffer_load_dword v104, off, s[24:27], 0 offset:20 ; 4-byte Folded Reload
	;; [unrolled: 1-line block ×4, first 2 shown]
	s_waitcnt vmcnt(0)
	v_mul_f64 v[99:100], v[117:118], v[105:106]
	v_mul_f64 v[97:98], v[119:120], v[105:106]
	v_fma_f64 v[105:106], v[119:120], v[103:104], v[99:100]
	ds_read2_b64 v[99:102], v94 offset0:36 offset1:37
	v_fma_f64 v[97:98], v[117:118], v[103:104], -v[97:98]
	s_waitcnt lgkmcnt(0)
	v_mul_f64 v[103:104], v[101:102], v[105:106]
	v_fma_f64 v[103:104], v[99:100], v[97:98], -v[103:104]
	v_mul_f64 v[99:100], v[99:100], v[105:106]
	v_add_f64 v[89:90], v[89:90], -v[103:104]
	v_fma_f64 v[99:100], v[101:102], v[97:98], v[99:100]
	v_add_f64 v[91:92], v[91:92], -v[99:100]
	ds_read2_b64 v[99:102], v94 offset0:38 offset1:39
	s_waitcnt lgkmcnt(0)
	v_mul_f64 v[103:104], v[101:102], v[105:106]
	v_fma_f64 v[103:104], v[99:100], v[97:98], -v[103:104]
	v_mul_f64 v[99:100], v[99:100], v[105:106]
	v_add_f64 v[111:112], v[111:112], -v[103:104]
	v_fma_f64 v[99:100], v[101:102], v[97:98], v[99:100]
	v_add_f64 v[113:114], v[113:114], -v[99:100]
	ds_read2_b64 v[99:102], v94 offset0:40 offset1:41
	buffer_load_dword v85, off, s[24:27], 0 ; 4-byte Folded Reload
	buffer_load_dword v86, off, s[24:27], 0 offset:4 ; 4-byte Folded Reload
	buffer_load_dword v87, off, s[24:27], 0 offset:8 ; 4-byte Folded Reload
	;; [unrolled: 1-line block ×3, first 2 shown]
	s_waitcnt lgkmcnt(0)
	v_mul_f64 v[103:104], v[101:102], v[105:106]
	v_fma_f64 v[103:104], v[99:100], v[97:98], -v[103:104]
	v_mul_f64 v[99:100], v[99:100], v[105:106]
	v_fma_f64 v[99:100], v[101:102], v[97:98], v[99:100]
	s_waitcnt vmcnt(2)
	v_add_f64 v[85:86], v[85:86], -v[103:104]
	s_waitcnt vmcnt(0)
	v_add_f64 v[87:88], v[87:88], -v[99:100]
	buffer_store_dword v85, off, s[24:27], 0 ; 4-byte Folded Spill
	s_nop 0
	buffer_store_dword v86, off, s[24:27], 0 offset:4 ; 4-byte Folded Spill
	buffer_store_dword v87, off, s[24:27], 0 offset:8 ; 4-byte Folded Spill
	;; [unrolled: 1-line block ×3, first 2 shown]
	ds_read2_b64 v[99:102], v94 offset0:42 offset1:43
	s_waitcnt lgkmcnt(0)
	v_mul_f64 v[103:104], v[101:102], v[105:106]
	v_fma_f64 v[103:104], v[99:100], v[97:98], -v[103:104]
	v_mul_f64 v[99:100], v[99:100], v[105:106]
	v_add_f64 v[81:82], v[81:82], -v[103:104]
	v_fma_f64 v[99:100], v[101:102], v[97:98], v[99:100]
	v_add_f64 v[83:84], v[83:84], -v[99:100]
	ds_read2_b64 v[99:102], v94 offset0:44 offset1:45
	s_waitcnt lgkmcnt(0)
	v_mul_f64 v[103:104], v[101:102], v[105:106]
	v_fma_f64 v[103:104], v[99:100], v[97:98], -v[103:104]
	v_mul_f64 v[99:100], v[99:100], v[105:106]
	v_add_f64 v[77:78], v[77:78], -v[103:104]
	v_fma_f64 v[99:100], v[101:102], v[97:98], v[99:100]
	v_add_f64 v[79:80], v[79:80], -v[99:100]
	;; [unrolled: 8-line block ×21, first 2 shown]
	ds_read2_b64 v[99:102], v94 offset0:84 offset1:85
	s_waitcnt lgkmcnt(0)
	v_mul_f64 v[103:104], v[101:102], v[105:106]
	v_fma_f64 v[103:104], v[99:100], v[97:98], -v[103:104]
	v_mul_f64 v[99:100], v[99:100], v[105:106]
	v_add_f64 v[121:122], v[121:122], -v[103:104]
	v_fma_f64 v[99:100], v[101:102], v[97:98], v[99:100]
	v_mov_b32_e32 v104, v98
	v_mov_b32_e32 v103, v97
	buffer_store_dword v103, off, s[24:27], 0 offset:16 ; 4-byte Folded Spill
	s_nop 0
	buffer_store_dword v104, off, s[24:27], 0 offset:20 ; 4-byte Folded Spill
	buffer_store_dword v105, off, s[24:27], 0 offset:24 ; 4-byte Folded Spill
	;; [unrolled: 1-line block ×3, first 2 shown]
	v_add_f64 v[123:124], v[123:124], -v[99:100]
.LBB84_377:
	s_or_b64 exec, exec, s[0:1]
	v_lshl_add_u32 v97, v96, 4, v94
	s_waitcnt vmcnt(0)
	s_barrier
	ds_write2_b64 v97, v[89:90], v[91:92] offset1:1
	s_waitcnt lgkmcnt(0)
	s_barrier
	ds_read2_b64 v[117:120], v94 offset0:36 offset1:37
	s_cmp_lt_i32 s3, 20
	v_mov_b32_e32 v97, 18
	s_cbranch_scc1 .LBB84_380
; %bb.378:
	v_add_u32_e32 v98, 0x130, v94
	s_mov_b32 s0, 19
	v_mov_b32_e32 v97, 18
.LBB84_379:                             ; =>This Inner Loop Header: Depth=1
	s_waitcnt lgkmcnt(0)
	v_cmp_gt_f64_e32 vcc, 0, v[117:118]
	v_xor_b32_e32 v103, 0x80000000, v118
	ds_read2_b64 v[99:102], v98 offset1:1
	v_xor_b32_e32 v105, 0x80000000, v120
	v_add_u32_e32 v98, 16, v98
	s_waitcnt lgkmcnt(0)
	v_xor_b32_e32 v107, 0x80000000, v102
	v_cndmask_b32_e32 v104, v118, v103, vcc
	v_cmp_gt_f64_e32 vcc, 0, v[119:120]
	v_mov_b32_e32 v103, v117
	v_cndmask_b32_e32 v106, v120, v105, vcc
	v_cmp_gt_f64_e32 vcc, 0, v[99:100]
	v_mov_b32_e32 v105, v119
	v_add_f64 v[103:104], v[103:104], v[105:106]
	v_xor_b32_e32 v105, 0x80000000, v100
	v_cndmask_b32_e32 v106, v100, v105, vcc
	v_cmp_gt_f64_e32 vcc, 0, v[101:102]
	v_mov_b32_e32 v105, v99
	v_cndmask_b32_e32 v108, v102, v107, vcc
	v_mov_b32_e32 v107, v101
	v_add_f64 v[105:106], v[105:106], v[107:108]
	v_cmp_lt_f64_e32 vcc, v[103:104], v[105:106]
	v_cndmask_b32_e32 v117, v117, v99, vcc
	v_mov_b32_e32 v99, s0
	s_add_i32 s0, s0, 1
	v_cndmask_b32_e32 v118, v118, v100, vcc
	v_cndmask_b32_e32 v120, v120, v102, vcc
	;; [unrolled: 1-line block ×4, first 2 shown]
	s_cmp_lg_u32 s3, s0
	s_cbranch_scc1 .LBB84_379
.LBB84_380:
	s_waitcnt lgkmcnt(0)
	v_cmp_eq_f64_e32 vcc, 0, v[117:118]
	v_cmp_eq_f64_e64 s[0:1], 0, v[119:120]
	s_and_b64 s[0:1], vcc, s[0:1]
	s_and_saveexec_b64 s[18:19], s[0:1]
	s_xor_b64 s[0:1], exec, s[18:19]
; %bb.381:
	v_cmp_ne_u32_e32 vcc, 0, v95
	v_cndmask_b32_e32 v95, 19, v95, vcc
; %bb.382:
	s_andn2_saveexec_b64 s[0:1], s[0:1]
	s_cbranch_execz .LBB84_388
; %bb.383:
	v_cmp_ngt_f64_e64 s[18:19], |v[117:118]|, |v[119:120]|
	s_and_saveexec_b64 s[20:21], s[18:19]
	s_xor_b64 s[18:19], exec, s[20:21]
	s_cbranch_execz .LBB84_385
; %bb.384:
	v_div_scale_f64 v[98:99], s[20:21], v[119:120], v[119:120], v[117:118]
	v_rcp_f64_e32 v[100:101], v[98:99]
	v_fma_f64 v[102:103], -v[98:99], v[100:101], 1.0
	v_fma_f64 v[100:101], v[100:101], v[102:103], v[100:101]
	v_div_scale_f64 v[102:103], vcc, v[117:118], v[119:120], v[117:118]
	v_fma_f64 v[104:105], -v[98:99], v[100:101], 1.0
	v_fma_f64 v[100:101], v[100:101], v[104:105], v[100:101]
	v_mul_f64 v[104:105], v[102:103], v[100:101]
	v_fma_f64 v[98:99], -v[98:99], v[104:105], v[102:103]
	v_div_fmas_f64 v[98:99], v[98:99], v[100:101], v[104:105]
	v_div_fixup_f64 v[98:99], v[98:99], v[119:120], v[117:118]
	v_fma_f64 v[100:101], v[117:118], v[98:99], v[119:120]
	v_div_scale_f64 v[102:103], s[20:21], v[100:101], v[100:101], 1.0
	v_div_scale_f64 v[108:109], vcc, 1.0, v[100:101], 1.0
	v_rcp_f64_e32 v[104:105], v[102:103]
	v_fma_f64 v[106:107], -v[102:103], v[104:105], 1.0
	v_fma_f64 v[104:105], v[104:105], v[106:107], v[104:105]
	v_fma_f64 v[106:107], -v[102:103], v[104:105], 1.0
	v_fma_f64 v[104:105], v[104:105], v[106:107], v[104:105]
	v_mul_f64 v[106:107], v[108:109], v[104:105]
	v_fma_f64 v[102:103], -v[102:103], v[106:107], v[108:109]
	v_div_fmas_f64 v[102:103], v[102:103], v[104:105], v[106:107]
	v_div_fixup_f64 v[119:120], v[102:103], v[100:101], 1.0
	v_mul_f64 v[117:118], v[98:99], v[119:120]
	v_xor_b32_e32 v120, 0x80000000, v120
.LBB84_385:
	s_andn2_saveexec_b64 s[18:19], s[18:19]
	s_cbranch_execz .LBB84_387
; %bb.386:
	v_div_scale_f64 v[98:99], s[20:21], v[117:118], v[117:118], v[119:120]
	v_rcp_f64_e32 v[100:101], v[98:99]
	v_fma_f64 v[102:103], -v[98:99], v[100:101], 1.0
	v_fma_f64 v[100:101], v[100:101], v[102:103], v[100:101]
	v_div_scale_f64 v[102:103], vcc, v[119:120], v[117:118], v[119:120]
	v_fma_f64 v[104:105], -v[98:99], v[100:101], 1.0
	v_fma_f64 v[100:101], v[100:101], v[104:105], v[100:101]
	v_mul_f64 v[104:105], v[102:103], v[100:101]
	v_fma_f64 v[98:99], -v[98:99], v[104:105], v[102:103]
	v_div_fmas_f64 v[98:99], v[98:99], v[100:101], v[104:105]
	v_div_fixup_f64 v[98:99], v[98:99], v[117:118], v[119:120]
	v_fma_f64 v[100:101], v[119:120], v[98:99], v[117:118]
	v_div_scale_f64 v[102:103], s[20:21], v[100:101], v[100:101], 1.0
	v_div_scale_f64 v[108:109], vcc, 1.0, v[100:101], 1.0
	v_rcp_f64_e32 v[104:105], v[102:103]
	v_fma_f64 v[106:107], -v[102:103], v[104:105], 1.0
	v_fma_f64 v[104:105], v[104:105], v[106:107], v[104:105]
	v_fma_f64 v[106:107], -v[102:103], v[104:105], 1.0
	v_fma_f64 v[104:105], v[104:105], v[106:107], v[104:105]
	v_mul_f64 v[106:107], v[108:109], v[104:105]
	v_fma_f64 v[102:103], -v[102:103], v[106:107], v[108:109]
	v_div_fmas_f64 v[102:103], v[102:103], v[104:105], v[106:107]
	v_div_fixup_f64 v[117:118], v[102:103], v[100:101], 1.0
	v_mul_f64 v[119:120], v[98:99], -v[117:118]
.LBB84_387:
	s_or_b64 exec, exec, s[18:19]
.LBB84_388:
	s_or_b64 exec, exec, s[0:1]
	v_cmp_ne_u32_e32 vcc, v96, v97
	s_and_saveexec_b64 s[0:1], vcc
	s_xor_b64 s[0:1], exec, s[0:1]
	s_cbranch_execz .LBB84_394
; %bb.389:
	v_cmp_eq_u32_e32 vcc, 18, v96
	s_and_saveexec_b64 s[18:19], vcc
	s_cbranch_execz .LBB84_393
; %bb.390:
	v_cmp_ne_u32_e32 vcc, 18, v97
	s_xor_b64 s[20:21], s[6:7], -1
	s_and_b64 s[22:23], s[20:21], vcc
	s_and_saveexec_b64 s[20:21], s[22:23]
	s_cbranch_execz .LBB84_392
; %bb.391:
	v_mov_b32_e32 v85, v89
	v_mov_b32_e32 v86, v90
	v_mov_b32_e32 v87, v91
	v_mov_b32_e32 v88, v92
	buffer_load_dword v89, off, s[24:27], 0 offset:272 ; 4-byte Folded Reload
	buffer_load_dword v90, off, s[24:27], 0 offset:276 ; 4-byte Folded Reload
	v_ashrrev_i32_e32 v98, 31, v97
	v_lshlrev_b64 v[98:99], 2, v[97:98]
	s_waitcnt vmcnt(1)
	v_add_co_u32_e32 v98, vcc, v89, v98
	s_waitcnt vmcnt(0)
	v_addc_co_u32_e32 v99, vcc, v90, v99, vcc
	global_load_dword v0, v[98:99], off
	global_load_dword v96, v[89:90], off offset:72
	s_waitcnt vmcnt(1)
	global_store_dword v[89:90], v0, off offset:72
	v_mov_b32_e32 v92, v88
	v_mov_b32_e32 v91, v87
	;; [unrolled: 1-line block ×4, first 2 shown]
	s_waitcnt vmcnt(1)
	global_store_dword v[98:99], v96, off
.LBB84_392:
	s_or_b64 exec, exec, s[20:21]
	v_mov_b32_e32 v96, v97
	v_mov_b32_e32 v0, v97
.LBB84_393:
	s_or_b64 exec, exec, s[18:19]
.LBB84_394:
	s_andn2_saveexec_b64 s[0:1], s[0:1]
	s_cbranch_execz .LBB84_396
; %bb.395:
	ds_write2_b64 v94, v[111:112], v[113:114] offset0:38 offset1:39
	buffer_load_dword v85, off, s[24:27], 0 ; 4-byte Folded Reload
	buffer_load_dword v86, off, s[24:27], 0 offset:4 ; 4-byte Folded Reload
	buffer_load_dword v87, off, s[24:27], 0 offset:8 ; 4-byte Folded Reload
	;; [unrolled: 1-line block ×3, first 2 shown]
	v_mov_b32_e32 v96, 18
	s_waitcnt vmcnt(0)
	ds_write2_b64 v94, v[85:86], v[87:88] offset0:40 offset1:41
	ds_write2_b64 v94, v[81:82], v[83:84] offset0:42 offset1:43
	;; [unrolled: 1-line block ×23, first 2 shown]
.LBB84_396:
	s_or_b64 exec, exec, s[0:1]
	v_cmp_lt_i32_e32 vcc, 18, v96
	s_waitcnt vmcnt(0) lgkmcnt(0)
	s_barrier
	s_and_saveexec_b64 s[0:1], vcc
	s_cbranch_execz .LBB84_398
; %bb.397:
	v_mul_f64 v[97:98], v[119:120], v[91:92]
	v_mov_b32_e32 v103, v111
	v_mov_b32_e32 v104, v112
	;; [unrolled: 1-line block ×4, first 2 shown]
	v_fma_f64 v[113:114], v[117:118], v[89:90], -v[97:98]
	v_mul_f64 v[97:98], v[117:118], v[91:92]
	v_fma_f64 v[91:92], v[119:120], v[89:90], v[97:98]
	ds_read2_b64 v[97:100], v94 offset0:38 offset1:39
	v_mov_b32_e32 v89, v113
	v_mov_b32_e32 v90, v114
	s_waitcnt lgkmcnt(0)
	v_mul_f64 v[101:102], v[99:100], v[91:92]
	v_fma_f64 v[101:102], v[97:98], v[113:114], -v[101:102]
	v_mul_f64 v[97:98], v[97:98], v[91:92]
	v_add_f64 v[103:104], v[103:104], -v[101:102]
	v_fma_f64 v[97:98], v[99:100], v[113:114], v[97:98]
	v_add_f64 v[105:106], v[105:106], -v[97:98]
	ds_read2_b64 v[97:100], v94 offset0:40 offset1:41
	buffer_load_dword v85, off, s[24:27], 0 ; 4-byte Folded Reload
	buffer_load_dword v86, off, s[24:27], 0 offset:4 ; 4-byte Folded Reload
	buffer_load_dword v87, off, s[24:27], 0 offset:8 ; 4-byte Folded Reload
	;; [unrolled: 1-line block ×3, first 2 shown]
	s_waitcnt lgkmcnt(0)
	v_mul_f64 v[101:102], v[99:100], v[91:92]
	v_fma_f64 v[101:102], v[97:98], v[113:114], -v[101:102]
	v_mul_f64 v[97:98], v[97:98], v[91:92]
	v_fma_f64 v[97:98], v[99:100], v[113:114], v[97:98]
	s_waitcnt vmcnt(2)
	v_add_f64 v[85:86], v[85:86], -v[101:102]
	s_waitcnt vmcnt(0)
	v_add_f64 v[87:88], v[87:88], -v[97:98]
	buffer_store_dword v85, off, s[24:27], 0 ; 4-byte Folded Spill
	s_nop 0
	buffer_store_dword v86, off, s[24:27], 0 offset:4 ; 4-byte Folded Spill
	buffer_store_dword v87, off, s[24:27], 0 offset:8 ; 4-byte Folded Spill
	;; [unrolled: 1-line block ×3, first 2 shown]
	ds_read2_b64 v[97:100], v94 offset0:42 offset1:43
	s_waitcnt lgkmcnt(0)
	v_mul_f64 v[101:102], v[99:100], v[91:92]
	v_fma_f64 v[101:102], v[97:98], v[113:114], -v[101:102]
	v_mul_f64 v[97:98], v[97:98], v[91:92]
	v_add_f64 v[81:82], v[81:82], -v[101:102]
	v_fma_f64 v[97:98], v[99:100], v[113:114], v[97:98]
	v_add_f64 v[83:84], v[83:84], -v[97:98]
	ds_read2_b64 v[97:100], v94 offset0:44 offset1:45
	s_waitcnt lgkmcnt(0)
	v_mul_f64 v[101:102], v[99:100], v[91:92]
	v_fma_f64 v[101:102], v[97:98], v[113:114], -v[101:102]
	v_mul_f64 v[97:98], v[97:98], v[91:92]
	v_add_f64 v[77:78], v[77:78], -v[101:102]
	v_fma_f64 v[97:98], v[99:100], v[113:114], v[97:98]
	v_add_f64 v[79:80], v[79:80], -v[97:98]
	ds_read2_b64 v[97:100], v94 offset0:46 offset1:47
	s_waitcnt lgkmcnt(0)
	v_mul_f64 v[101:102], v[99:100], v[91:92]
	v_fma_f64 v[101:102], v[97:98], v[113:114], -v[101:102]
	v_mul_f64 v[97:98], v[97:98], v[91:92]
	v_add_f64 v[73:74], v[73:74], -v[101:102]
	v_fma_f64 v[97:98], v[99:100], v[113:114], v[97:98]
	v_add_f64 v[75:76], v[75:76], -v[97:98]
	ds_read2_b64 v[97:100], v94 offset0:48 offset1:49
	s_waitcnt lgkmcnt(0)
	v_mul_f64 v[101:102], v[99:100], v[91:92]
	v_fma_f64 v[101:102], v[97:98], v[113:114], -v[101:102]
	v_mul_f64 v[97:98], v[97:98], v[91:92]
	v_add_f64 v[69:70], v[69:70], -v[101:102]
	v_fma_f64 v[97:98], v[99:100], v[113:114], v[97:98]
	v_add_f64 v[71:72], v[71:72], -v[97:98]
	ds_read2_b64 v[97:100], v94 offset0:50 offset1:51
	s_waitcnt lgkmcnt(0)
	v_mul_f64 v[101:102], v[99:100], v[91:92]
	v_fma_f64 v[101:102], v[97:98], v[113:114], -v[101:102]
	v_mul_f64 v[97:98], v[97:98], v[91:92]
	v_add_f64 v[65:66], v[65:66], -v[101:102]
	v_fma_f64 v[97:98], v[99:100], v[113:114], v[97:98]
	v_add_f64 v[67:68], v[67:68], -v[97:98]
	ds_read2_b64 v[97:100], v94 offset0:52 offset1:53
	s_waitcnt lgkmcnt(0)
	v_mul_f64 v[101:102], v[99:100], v[91:92]
	v_fma_f64 v[101:102], v[97:98], v[113:114], -v[101:102]
	v_mul_f64 v[97:98], v[97:98], v[91:92]
	v_add_f64 v[61:62], v[61:62], -v[101:102]
	v_fma_f64 v[97:98], v[99:100], v[113:114], v[97:98]
	v_add_f64 v[63:64], v[63:64], -v[97:98]
	ds_read2_b64 v[97:100], v94 offset0:54 offset1:55
	s_waitcnt lgkmcnt(0)
	v_mul_f64 v[101:102], v[99:100], v[91:92]
	v_fma_f64 v[101:102], v[97:98], v[113:114], -v[101:102]
	v_mul_f64 v[97:98], v[97:98], v[91:92]
	v_add_f64 v[57:58], v[57:58], -v[101:102]
	v_fma_f64 v[97:98], v[99:100], v[113:114], v[97:98]
	v_add_f64 v[59:60], v[59:60], -v[97:98]
	ds_read2_b64 v[97:100], v94 offset0:56 offset1:57
	s_waitcnt lgkmcnt(0)
	v_mul_f64 v[101:102], v[99:100], v[91:92]
	v_fma_f64 v[101:102], v[97:98], v[113:114], -v[101:102]
	v_mul_f64 v[97:98], v[97:98], v[91:92]
	v_add_f64 v[53:54], v[53:54], -v[101:102]
	v_fma_f64 v[97:98], v[99:100], v[113:114], v[97:98]
	v_add_f64 v[55:56], v[55:56], -v[97:98]
	ds_read2_b64 v[97:100], v94 offset0:58 offset1:59
	s_waitcnt lgkmcnt(0)
	v_mul_f64 v[101:102], v[99:100], v[91:92]
	v_fma_f64 v[101:102], v[97:98], v[113:114], -v[101:102]
	v_mul_f64 v[97:98], v[97:98], v[91:92]
	v_add_f64 v[49:50], v[49:50], -v[101:102]
	v_fma_f64 v[97:98], v[99:100], v[113:114], v[97:98]
	v_add_f64 v[51:52], v[51:52], -v[97:98]
	ds_read2_b64 v[97:100], v94 offset0:60 offset1:61
	s_waitcnt lgkmcnt(0)
	v_mul_f64 v[101:102], v[99:100], v[91:92]
	v_fma_f64 v[101:102], v[97:98], v[113:114], -v[101:102]
	v_mul_f64 v[97:98], v[97:98], v[91:92]
	v_add_f64 v[45:46], v[45:46], -v[101:102]
	v_fma_f64 v[97:98], v[99:100], v[113:114], v[97:98]
	v_add_f64 v[47:48], v[47:48], -v[97:98]
	ds_read2_b64 v[97:100], v94 offset0:62 offset1:63
	s_waitcnt lgkmcnt(0)
	v_mul_f64 v[101:102], v[99:100], v[91:92]
	v_fma_f64 v[101:102], v[97:98], v[113:114], -v[101:102]
	v_mul_f64 v[97:98], v[97:98], v[91:92]
	v_add_f64 v[41:42], v[41:42], -v[101:102]
	v_fma_f64 v[97:98], v[99:100], v[113:114], v[97:98]
	v_add_f64 v[43:44], v[43:44], -v[97:98]
	ds_read2_b64 v[97:100], v94 offset0:64 offset1:65
	s_waitcnt lgkmcnt(0)
	v_mul_f64 v[101:102], v[99:100], v[91:92]
	v_fma_f64 v[101:102], v[97:98], v[113:114], -v[101:102]
	v_mul_f64 v[97:98], v[97:98], v[91:92]
	v_add_f64 v[37:38], v[37:38], -v[101:102]
	v_fma_f64 v[97:98], v[99:100], v[113:114], v[97:98]
	v_add_f64 v[39:40], v[39:40], -v[97:98]
	ds_read2_b64 v[97:100], v94 offset0:66 offset1:67
	s_waitcnt lgkmcnt(0)
	v_mul_f64 v[101:102], v[99:100], v[91:92]
	v_fma_f64 v[101:102], v[97:98], v[113:114], -v[101:102]
	v_mul_f64 v[97:98], v[97:98], v[91:92]
	v_add_f64 v[33:34], v[33:34], -v[101:102]
	v_fma_f64 v[97:98], v[99:100], v[113:114], v[97:98]
	v_add_f64 v[35:36], v[35:36], -v[97:98]
	ds_read2_b64 v[97:100], v94 offset0:68 offset1:69
	s_waitcnt lgkmcnt(0)
	v_mul_f64 v[101:102], v[99:100], v[91:92]
	v_fma_f64 v[101:102], v[97:98], v[113:114], -v[101:102]
	v_mul_f64 v[97:98], v[97:98], v[91:92]
	v_add_f64 v[29:30], v[29:30], -v[101:102]
	v_fma_f64 v[97:98], v[99:100], v[113:114], v[97:98]
	v_add_f64 v[31:32], v[31:32], -v[97:98]
	ds_read2_b64 v[97:100], v94 offset0:70 offset1:71
	s_waitcnt lgkmcnt(0)
	v_mul_f64 v[101:102], v[99:100], v[91:92]
	v_fma_f64 v[101:102], v[97:98], v[113:114], -v[101:102]
	v_mul_f64 v[97:98], v[97:98], v[91:92]
	v_add_f64 v[25:26], v[25:26], -v[101:102]
	v_fma_f64 v[97:98], v[99:100], v[113:114], v[97:98]
	v_add_f64 v[27:28], v[27:28], -v[97:98]
	ds_read2_b64 v[97:100], v94 offset0:72 offset1:73
	s_waitcnt lgkmcnt(0)
	v_mul_f64 v[101:102], v[99:100], v[91:92]
	v_fma_f64 v[101:102], v[97:98], v[113:114], -v[101:102]
	v_mul_f64 v[97:98], v[97:98], v[91:92]
	v_add_f64 v[21:22], v[21:22], -v[101:102]
	v_fma_f64 v[97:98], v[99:100], v[113:114], v[97:98]
	v_add_f64 v[23:24], v[23:24], -v[97:98]
	ds_read2_b64 v[97:100], v94 offset0:74 offset1:75
	s_waitcnt lgkmcnt(0)
	v_mul_f64 v[101:102], v[99:100], v[91:92]
	v_fma_f64 v[101:102], v[97:98], v[113:114], -v[101:102]
	v_mul_f64 v[97:98], v[97:98], v[91:92]
	v_add_f64 v[17:18], v[17:18], -v[101:102]
	v_fma_f64 v[97:98], v[99:100], v[113:114], v[97:98]
	v_add_f64 v[19:20], v[19:20], -v[97:98]
	ds_read2_b64 v[97:100], v94 offset0:76 offset1:77
	s_waitcnt lgkmcnt(0)
	v_mul_f64 v[101:102], v[99:100], v[91:92]
	v_fma_f64 v[101:102], v[97:98], v[113:114], -v[101:102]
	v_mul_f64 v[97:98], v[97:98], v[91:92]
	v_add_f64 v[13:14], v[13:14], -v[101:102]
	v_fma_f64 v[97:98], v[99:100], v[113:114], v[97:98]
	v_add_f64 v[15:16], v[15:16], -v[97:98]
	ds_read2_b64 v[97:100], v94 offset0:78 offset1:79
	s_waitcnt lgkmcnt(0)
	v_mul_f64 v[101:102], v[99:100], v[91:92]
	v_fma_f64 v[101:102], v[97:98], v[113:114], -v[101:102]
	v_mul_f64 v[97:98], v[97:98], v[91:92]
	v_add_f64 v[9:10], v[9:10], -v[101:102]
	v_fma_f64 v[97:98], v[99:100], v[113:114], v[97:98]
	v_add_f64 v[11:12], v[11:12], -v[97:98]
	ds_read2_b64 v[97:100], v94 offset0:80 offset1:81
	s_waitcnt lgkmcnt(0)
	v_mul_f64 v[101:102], v[99:100], v[91:92]
	v_fma_f64 v[101:102], v[97:98], v[113:114], -v[101:102]
	v_mul_f64 v[97:98], v[97:98], v[91:92]
	v_add_f64 v[5:6], v[5:6], -v[101:102]
	v_fma_f64 v[97:98], v[99:100], v[113:114], v[97:98]
	v_add_f64 v[7:8], v[7:8], -v[97:98]
	ds_read2_b64 v[97:100], v94 offset0:82 offset1:83
	s_waitcnt lgkmcnt(0)
	v_mul_f64 v[101:102], v[99:100], v[91:92]
	v_fma_f64 v[101:102], v[97:98], v[113:114], -v[101:102]
	v_mul_f64 v[97:98], v[97:98], v[91:92]
	v_add_f64 v[1:2], v[1:2], -v[101:102]
	v_fma_f64 v[97:98], v[99:100], v[113:114], v[97:98]
	v_add_f64 v[3:4], v[3:4], -v[97:98]
	ds_read2_b64 v[97:100], v94 offset0:84 offset1:85
	s_waitcnt lgkmcnt(0)
	v_mul_f64 v[101:102], v[99:100], v[91:92]
	v_fma_f64 v[101:102], v[97:98], v[113:114], -v[101:102]
	v_mul_f64 v[97:98], v[97:98], v[91:92]
	v_add_f64 v[121:122], v[121:122], -v[101:102]
	v_fma_f64 v[97:98], v[99:100], v[113:114], v[97:98]
	v_mov_b32_e32 v114, v106
	v_mov_b32_e32 v113, v105
	;; [unrolled: 1-line block ×4, first 2 shown]
	v_add_f64 v[123:124], v[123:124], -v[97:98]
.LBB84_398:
	s_or_b64 exec, exec, s[0:1]
	v_lshl_add_u32 v97, v96, 4, v94
	s_waitcnt vmcnt(0)
	s_barrier
	ds_write2_b64 v97, v[111:112], v[113:114] offset1:1
	s_waitcnt lgkmcnt(0)
	s_barrier
	ds_read2_b64 v[117:120], v94 offset0:38 offset1:39
	s_cmp_lt_i32 s3, 21
	v_mov_b32_e32 v97, 19
	s_cbranch_scc1 .LBB84_401
; %bb.399:
	v_add_u32_e32 v98, 0x140, v94
	s_mov_b32 s0, 20
	v_mov_b32_e32 v97, 19
.LBB84_400:                             ; =>This Inner Loop Header: Depth=1
	s_waitcnt lgkmcnt(0)
	v_cmp_gt_f64_e32 vcc, 0, v[117:118]
	v_xor_b32_e32 v103, 0x80000000, v118
	ds_read2_b64 v[99:102], v98 offset1:1
	v_xor_b32_e32 v105, 0x80000000, v120
	v_add_u32_e32 v98, 16, v98
	s_waitcnt lgkmcnt(0)
	v_xor_b32_e32 v107, 0x80000000, v102
	v_cndmask_b32_e32 v104, v118, v103, vcc
	v_cmp_gt_f64_e32 vcc, 0, v[119:120]
	v_mov_b32_e32 v103, v117
	v_cndmask_b32_e32 v106, v120, v105, vcc
	v_cmp_gt_f64_e32 vcc, 0, v[99:100]
	v_mov_b32_e32 v105, v119
	v_add_f64 v[103:104], v[103:104], v[105:106]
	v_xor_b32_e32 v105, 0x80000000, v100
	v_cndmask_b32_e32 v106, v100, v105, vcc
	v_cmp_gt_f64_e32 vcc, 0, v[101:102]
	v_mov_b32_e32 v105, v99
	v_cndmask_b32_e32 v108, v102, v107, vcc
	v_mov_b32_e32 v107, v101
	v_add_f64 v[105:106], v[105:106], v[107:108]
	v_cmp_lt_f64_e32 vcc, v[103:104], v[105:106]
	v_cndmask_b32_e32 v117, v117, v99, vcc
	v_mov_b32_e32 v99, s0
	s_add_i32 s0, s0, 1
	v_cndmask_b32_e32 v118, v118, v100, vcc
	v_cndmask_b32_e32 v120, v120, v102, vcc
	;; [unrolled: 1-line block ×4, first 2 shown]
	s_cmp_lg_u32 s3, s0
	s_cbranch_scc1 .LBB84_400
.LBB84_401:
	s_waitcnt lgkmcnt(0)
	v_cmp_eq_f64_e32 vcc, 0, v[117:118]
	v_cmp_eq_f64_e64 s[0:1], 0, v[119:120]
	s_and_b64 s[0:1], vcc, s[0:1]
	s_and_saveexec_b64 s[18:19], s[0:1]
	s_xor_b64 s[0:1], exec, s[18:19]
; %bb.402:
	v_cmp_ne_u32_e32 vcc, 0, v95
	v_cndmask_b32_e32 v95, 20, v95, vcc
; %bb.403:
	s_andn2_saveexec_b64 s[0:1], s[0:1]
	s_cbranch_execz .LBB84_409
; %bb.404:
	v_cmp_ngt_f64_e64 s[18:19], |v[117:118]|, |v[119:120]|
	s_and_saveexec_b64 s[20:21], s[18:19]
	s_xor_b64 s[18:19], exec, s[20:21]
	s_cbranch_execz .LBB84_406
; %bb.405:
	v_div_scale_f64 v[98:99], s[20:21], v[119:120], v[119:120], v[117:118]
	v_rcp_f64_e32 v[100:101], v[98:99]
	v_fma_f64 v[102:103], -v[98:99], v[100:101], 1.0
	v_fma_f64 v[100:101], v[100:101], v[102:103], v[100:101]
	v_div_scale_f64 v[102:103], vcc, v[117:118], v[119:120], v[117:118]
	v_fma_f64 v[104:105], -v[98:99], v[100:101], 1.0
	v_fma_f64 v[100:101], v[100:101], v[104:105], v[100:101]
	v_mul_f64 v[104:105], v[102:103], v[100:101]
	v_fma_f64 v[98:99], -v[98:99], v[104:105], v[102:103]
	v_div_fmas_f64 v[98:99], v[98:99], v[100:101], v[104:105]
	v_div_fixup_f64 v[98:99], v[98:99], v[119:120], v[117:118]
	v_fma_f64 v[100:101], v[117:118], v[98:99], v[119:120]
	v_div_scale_f64 v[102:103], s[20:21], v[100:101], v[100:101], 1.0
	v_div_scale_f64 v[108:109], vcc, 1.0, v[100:101], 1.0
	v_rcp_f64_e32 v[104:105], v[102:103]
	v_fma_f64 v[106:107], -v[102:103], v[104:105], 1.0
	v_fma_f64 v[104:105], v[104:105], v[106:107], v[104:105]
	v_fma_f64 v[106:107], -v[102:103], v[104:105], 1.0
	v_fma_f64 v[104:105], v[104:105], v[106:107], v[104:105]
	v_mul_f64 v[106:107], v[108:109], v[104:105]
	v_fma_f64 v[102:103], -v[102:103], v[106:107], v[108:109]
	v_div_fmas_f64 v[102:103], v[102:103], v[104:105], v[106:107]
	v_div_fixup_f64 v[119:120], v[102:103], v[100:101], 1.0
	v_mul_f64 v[117:118], v[98:99], v[119:120]
	v_xor_b32_e32 v120, 0x80000000, v120
.LBB84_406:
	s_andn2_saveexec_b64 s[18:19], s[18:19]
	s_cbranch_execz .LBB84_408
; %bb.407:
	v_div_scale_f64 v[98:99], s[20:21], v[117:118], v[117:118], v[119:120]
	v_rcp_f64_e32 v[100:101], v[98:99]
	v_fma_f64 v[102:103], -v[98:99], v[100:101], 1.0
	v_fma_f64 v[100:101], v[100:101], v[102:103], v[100:101]
	v_div_scale_f64 v[102:103], vcc, v[119:120], v[117:118], v[119:120]
	v_fma_f64 v[104:105], -v[98:99], v[100:101], 1.0
	v_fma_f64 v[100:101], v[100:101], v[104:105], v[100:101]
	v_mul_f64 v[104:105], v[102:103], v[100:101]
	v_fma_f64 v[98:99], -v[98:99], v[104:105], v[102:103]
	v_div_fmas_f64 v[98:99], v[98:99], v[100:101], v[104:105]
	v_div_fixup_f64 v[98:99], v[98:99], v[117:118], v[119:120]
	v_fma_f64 v[100:101], v[119:120], v[98:99], v[117:118]
	v_div_scale_f64 v[102:103], s[20:21], v[100:101], v[100:101], 1.0
	v_div_scale_f64 v[108:109], vcc, 1.0, v[100:101], 1.0
	v_rcp_f64_e32 v[104:105], v[102:103]
	v_fma_f64 v[106:107], -v[102:103], v[104:105], 1.0
	v_fma_f64 v[104:105], v[104:105], v[106:107], v[104:105]
	v_fma_f64 v[106:107], -v[102:103], v[104:105], 1.0
	v_fma_f64 v[104:105], v[104:105], v[106:107], v[104:105]
	v_mul_f64 v[106:107], v[108:109], v[104:105]
	v_fma_f64 v[102:103], -v[102:103], v[106:107], v[108:109]
	v_div_fmas_f64 v[102:103], v[102:103], v[104:105], v[106:107]
	v_div_fixup_f64 v[117:118], v[102:103], v[100:101], 1.0
	v_mul_f64 v[119:120], v[98:99], -v[117:118]
.LBB84_408:
	s_or_b64 exec, exec, s[18:19]
.LBB84_409:
	s_or_b64 exec, exec, s[0:1]
	v_cmp_ne_u32_e32 vcc, v96, v97
	s_mov_b64 s[0:1], exec
	s_and_b64 s[18:19], s[0:1], vcc
	s_xor_b64 s[0:1], s[18:19], s[0:1]
	buffer_store_dword v89, off, s[24:27], 0 offset:296 ; 4-byte Folded Spill
	s_nop 0
	buffer_store_dword v90, off, s[24:27], 0 offset:300 ; 4-byte Folded Spill
	buffer_store_dword v91, off, s[24:27], 0 offset:304 ; 4-byte Folded Spill
	;; [unrolled: 1-line block ×3, first 2 shown]
	s_mov_b64 exec, s[18:19]
	s_cbranch_execz .LBB84_415
; %bb.410:
	v_cmp_eq_u32_e32 vcc, 19, v96
	s_and_saveexec_b64 s[18:19], vcc
	s_cbranch_execz .LBB84_414
; %bb.411:
	v_cmp_ne_u32_e32 vcc, 19, v97
	s_xor_b64 s[20:21], s[6:7], -1
	s_and_b64 s[22:23], s[20:21], vcc
	s_and_saveexec_b64 s[20:21], s[22:23]
	s_cbranch_execz .LBB84_413
; %bb.412:
	buffer_load_dword v89, off, s[24:27], 0 offset:272 ; 4-byte Folded Reload
	buffer_load_dword v90, off, s[24:27], 0 offset:276 ; 4-byte Folded Reload
	v_ashrrev_i32_e32 v98, 31, v97
	v_lshlrev_b64 v[98:99], 2, v[97:98]
	s_waitcnt vmcnt(1)
	v_add_co_u32_e32 v98, vcc, v89, v98
	s_waitcnt vmcnt(0)
	v_addc_co_u32_e32 v99, vcc, v90, v99, vcc
	global_load_dword v0, v[98:99], off
	global_load_dword v96, v[89:90], off offset:76
	s_waitcnt vmcnt(1)
	global_store_dword v[89:90], v0, off offset:76
	buffer_load_dword v89, off, s[24:27], 0 offset:296 ; 4-byte Folded Reload
	s_nop 0
	buffer_load_dword v90, off, s[24:27], 0 offset:300 ; 4-byte Folded Reload
	buffer_load_dword v91, off, s[24:27], 0 offset:304 ; 4-byte Folded Reload
	;; [unrolled: 1-line block ×3, first 2 shown]
	s_waitcnt vmcnt(5)
	global_store_dword v[98:99], v96, off
.LBB84_413:
	s_or_b64 exec, exec, s[20:21]
	v_mov_b32_e32 v96, v97
	v_mov_b32_e32 v0, v97
.LBB84_414:
	s_or_b64 exec, exec, s[18:19]
.LBB84_415:
	s_andn2_saveexec_b64 s[0:1], s[0:1]
	s_cbranch_execz .LBB84_417
; %bb.416:
	buffer_load_dword v85, off, s[24:27], 0 ; 4-byte Folded Reload
	buffer_load_dword v86, off, s[24:27], 0 offset:4 ; 4-byte Folded Reload
	buffer_load_dword v87, off, s[24:27], 0 offset:8 ; 4-byte Folded Reload
	;; [unrolled: 1-line block ×3, first 2 shown]
	v_mov_b32_e32 v96, 19
	s_waitcnt vmcnt(0)
	ds_write2_b64 v94, v[85:86], v[87:88] offset0:40 offset1:41
	ds_write2_b64 v94, v[81:82], v[83:84] offset0:42 offset1:43
	ds_write2_b64 v94, v[77:78], v[79:80] offset0:44 offset1:45
	ds_write2_b64 v94, v[73:74], v[75:76] offset0:46 offset1:47
	ds_write2_b64 v94, v[69:70], v[71:72] offset0:48 offset1:49
	ds_write2_b64 v94, v[65:66], v[67:68] offset0:50 offset1:51
	ds_write2_b64 v94, v[61:62], v[63:64] offset0:52 offset1:53
	ds_write2_b64 v94, v[57:58], v[59:60] offset0:54 offset1:55
	ds_write2_b64 v94, v[53:54], v[55:56] offset0:56 offset1:57
	ds_write2_b64 v94, v[49:50], v[51:52] offset0:58 offset1:59
	ds_write2_b64 v94, v[45:46], v[47:48] offset0:60 offset1:61
	ds_write2_b64 v94, v[41:42], v[43:44] offset0:62 offset1:63
	ds_write2_b64 v94, v[37:38], v[39:40] offset0:64 offset1:65
	ds_write2_b64 v94, v[33:34], v[35:36] offset0:66 offset1:67
	ds_write2_b64 v94, v[29:30], v[31:32] offset0:68 offset1:69
	ds_write2_b64 v94, v[25:26], v[27:28] offset0:70 offset1:71
	ds_write2_b64 v94, v[21:22], v[23:24] offset0:72 offset1:73
	ds_write2_b64 v94, v[17:18], v[19:20] offset0:74 offset1:75
	ds_write2_b64 v94, v[13:14], v[15:16] offset0:76 offset1:77
	ds_write2_b64 v94, v[9:10], v[11:12] offset0:78 offset1:79
	ds_write2_b64 v94, v[5:6], v[7:8] offset0:80 offset1:81
	ds_write2_b64 v94, v[1:2], v[3:4] offset0:82 offset1:83
	ds_write2_b64 v94, v[121:122], v[123:124] offset0:84 offset1:85
.LBB84_417:
	s_or_b64 exec, exec, s[0:1]
	v_cmp_lt_i32_e32 vcc, 19, v96
	s_waitcnt vmcnt(0) lgkmcnt(0)
	s_barrier
	s_and_saveexec_b64 s[0:1], vcc
	s_cbranch_execz .LBB84_419
; %bb.418:
	v_mul_f64 v[97:98], v[119:120], v[113:114]
	v_mul_f64 v[91:92], v[117:118], v[113:114]
	v_fma_f64 v[125:126], v[117:118], v[111:112], -v[97:98]
	ds_read2_b64 v[97:100], v94 offset0:40 offset1:41
	buffer_load_dword v85, off, s[24:27], 0 ; 4-byte Folded Reload
	buffer_load_dword v86, off, s[24:27], 0 offset:4 ; 4-byte Folded Reload
	buffer_load_dword v87, off, s[24:27], 0 offset:8 ; 4-byte Folded Reload
	;; [unrolled: 1-line block ×3, first 2 shown]
	v_fma_f64 v[113:114], v[119:120], v[111:112], v[91:92]
	v_mov_b32_e32 v111, v125
	v_mov_b32_e32 v112, v126
	s_waitcnt lgkmcnt(0)
	v_mul_f64 v[89:90], v[99:100], v[113:114]
	v_fma_f64 v[89:90], v[97:98], v[125:126], -v[89:90]
	v_mul_f64 v[97:98], v[97:98], v[113:114]
	v_fma_f64 v[97:98], v[99:100], v[125:126], v[97:98]
	s_waitcnt vmcnt(2)
	v_add_f64 v[85:86], v[85:86], -v[89:90]
	s_waitcnt vmcnt(0)
	v_add_f64 v[87:88], v[87:88], -v[97:98]
	buffer_store_dword v85, off, s[24:27], 0 ; 4-byte Folded Spill
	s_nop 0
	buffer_store_dword v86, off, s[24:27], 0 offset:4 ; 4-byte Folded Spill
	buffer_store_dword v87, off, s[24:27], 0 offset:8 ; 4-byte Folded Spill
	;; [unrolled: 1-line block ×3, first 2 shown]
	ds_read2_b64 v[97:100], v94 offset0:42 offset1:43
	s_waitcnt lgkmcnt(0)
	v_mul_f64 v[89:90], v[99:100], v[113:114]
	v_fma_f64 v[89:90], v[97:98], v[125:126], -v[89:90]
	v_mul_f64 v[97:98], v[97:98], v[113:114]
	v_add_f64 v[81:82], v[81:82], -v[89:90]
	v_fma_f64 v[97:98], v[99:100], v[125:126], v[97:98]
	v_add_f64 v[83:84], v[83:84], -v[97:98]
	ds_read2_b64 v[97:100], v94 offset0:44 offset1:45
	s_waitcnt lgkmcnt(0)
	v_mul_f64 v[89:90], v[99:100], v[113:114]
	v_fma_f64 v[89:90], v[97:98], v[125:126], -v[89:90]
	v_mul_f64 v[97:98], v[97:98], v[113:114]
	v_add_f64 v[77:78], v[77:78], -v[89:90]
	v_fma_f64 v[97:98], v[99:100], v[125:126], v[97:98]
	v_add_f64 v[79:80], v[79:80], -v[97:98]
	;; [unrolled: 8-line block ×21, first 2 shown]
	ds_read2_b64 v[97:100], v94 offset0:84 offset1:85
	s_waitcnt lgkmcnt(0)
	v_mul_f64 v[89:90], v[99:100], v[113:114]
	v_fma_f64 v[89:90], v[97:98], v[125:126], -v[89:90]
	v_mul_f64 v[97:98], v[97:98], v[113:114]
	v_add_f64 v[121:122], v[121:122], -v[89:90]
	buffer_load_dword v89, off, s[24:27], 0 offset:296 ; 4-byte Folded Reload
	buffer_load_dword v90, off, s[24:27], 0 offset:300 ; 4-byte Folded Reload
	;; [unrolled: 1-line block ×4, first 2 shown]
	v_fma_f64 v[97:98], v[99:100], v[125:126], v[97:98]
	v_add_f64 v[123:124], v[123:124], -v[97:98]
.LBB84_419:
	s_or_b64 exec, exec, s[0:1]
	s_waitcnt vmcnt(0)
	s_barrier
	buffer_load_dword v85, off, s[24:27], 0 ; 4-byte Folded Reload
	buffer_load_dword v86, off, s[24:27], 0 offset:4 ; 4-byte Folded Reload
	buffer_load_dword v87, off, s[24:27], 0 offset:8 ; 4-byte Folded Reload
	;; [unrolled: 1-line block ×3, first 2 shown]
	v_lshl_add_u32 v97, v96, 4, v94
	s_cmp_lt_i32 s3, 22
	s_waitcnt vmcnt(0)
	ds_write2_b64 v97, v[85:86], v[87:88] offset1:1
	s_waitcnt lgkmcnt(0)
	s_barrier
	ds_read2_b64 v[117:120], v94 offset0:40 offset1:41
	v_mov_b32_e32 v97, 20
	s_cbranch_scc1 .LBB84_422
; %bb.420:
	v_add_u32_e32 v98, 0x150, v94
	s_mov_b32 s0, 21
	v_mov_b32_e32 v97, 20
.LBB84_421:                             ; =>This Inner Loop Header: Depth=1
	s_waitcnt lgkmcnt(0)
	v_cmp_gt_f64_e32 vcc, 0, v[117:118]
	v_xor_b32_e32 v103, 0x80000000, v118
	ds_read2_b64 v[99:102], v98 offset1:1
	v_xor_b32_e32 v105, 0x80000000, v120
	v_add_u32_e32 v98, 16, v98
	s_waitcnt lgkmcnt(0)
	v_xor_b32_e32 v107, 0x80000000, v102
	v_cndmask_b32_e32 v104, v118, v103, vcc
	v_cmp_gt_f64_e32 vcc, 0, v[119:120]
	v_mov_b32_e32 v103, v117
	v_cndmask_b32_e32 v106, v120, v105, vcc
	v_cmp_gt_f64_e32 vcc, 0, v[99:100]
	v_mov_b32_e32 v105, v119
	v_add_f64 v[103:104], v[103:104], v[105:106]
	v_xor_b32_e32 v105, 0x80000000, v100
	v_cndmask_b32_e32 v106, v100, v105, vcc
	v_cmp_gt_f64_e32 vcc, 0, v[101:102]
	v_mov_b32_e32 v105, v99
	v_cndmask_b32_e32 v108, v102, v107, vcc
	v_mov_b32_e32 v107, v101
	v_add_f64 v[105:106], v[105:106], v[107:108]
	v_cmp_lt_f64_e32 vcc, v[103:104], v[105:106]
	v_cndmask_b32_e32 v117, v117, v99, vcc
	v_mov_b32_e32 v99, s0
	s_add_i32 s0, s0, 1
	v_cndmask_b32_e32 v118, v118, v100, vcc
	v_cndmask_b32_e32 v120, v120, v102, vcc
	;; [unrolled: 1-line block ×4, first 2 shown]
	s_cmp_lg_u32 s3, s0
	s_cbranch_scc1 .LBB84_421
.LBB84_422:
	s_waitcnt lgkmcnt(0)
	v_cmp_eq_f64_e32 vcc, 0, v[117:118]
	v_cmp_eq_f64_e64 s[0:1], 0, v[119:120]
	s_and_b64 s[0:1], vcc, s[0:1]
	s_and_saveexec_b64 s[18:19], s[0:1]
	s_xor_b64 s[0:1], exec, s[18:19]
; %bb.423:
	v_cmp_ne_u32_e32 vcc, 0, v95
	v_cndmask_b32_e32 v95, 21, v95, vcc
; %bb.424:
	s_andn2_saveexec_b64 s[0:1], s[0:1]
	s_cbranch_execz .LBB84_430
; %bb.425:
	v_cmp_ngt_f64_e64 s[18:19], |v[117:118]|, |v[119:120]|
	s_and_saveexec_b64 s[20:21], s[18:19]
	s_xor_b64 s[18:19], exec, s[20:21]
	s_cbranch_execz .LBB84_427
; %bb.426:
	v_div_scale_f64 v[98:99], s[20:21], v[119:120], v[119:120], v[117:118]
	v_rcp_f64_e32 v[100:101], v[98:99]
	v_fma_f64 v[102:103], -v[98:99], v[100:101], 1.0
	v_fma_f64 v[100:101], v[100:101], v[102:103], v[100:101]
	v_div_scale_f64 v[102:103], vcc, v[117:118], v[119:120], v[117:118]
	v_fma_f64 v[104:105], -v[98:99], v[100:101], 1.0
	v_fma_f64 v[100:101], v[100:101], v[104:105], v[100:101]
	v_mul_f64 v[104:105], v[102:103], v[100:101]
	v_fma_f64 v[98:99], -v[98:99], v[104:105], v[102:103]
	v_div_fmas_f64 v[98:99], v[98:99], v[100:101], v[104:105]
	v_div_fixup_f64 v[98:99], v[98:99], v[119:120], v[117:118]
	v_fma_f64 v[100:101], v[117:118], v[98:99], v[119:120]
	v_div_scale_f64 v[102:103], s[20:21], v[100:101], v[100:101], 1.0
	v_div_scale_f64 v[108:109], vcc, 1.0, v[100:101], 1.0
	v_rcp_f64_e32 v[104:105], v[102:103]
	v_fma_f64 v[106:107], -v[102:103], v[104:105], 1.0
	v_fma_f64 v[104:105], v[104:105], v[106:107], v[104:105]
	v_fma_f64 v[106:107], -v[102:103], v[104:105], 1.0
	v_fma_f64 v[104:105], v[104:105], v[106:107], v[104:105]
	v_mul_f64 v[106:107], v[108:109], v[104:105]
	v_fma_f64 v[102:103], -v[102:103], v[106:107], v[108:109]
	v_div_fmas_f64 v[102:103], v[102:103], v[104:105], v[106:107]
	v_div_fixup_f64 v[119:120], v[102:103], v[100:101], 1.0
	v_mul_f64 v[117:118], v[98:99], v[119:120]
	v_xor_b32_e32 v120, 0x80000000, v120
.LBB84_427:
	s_andn2_saveexec_b64 s[18:19], s[18:19]
	s_cbranch_execz .LBB84_429
; %bb.428:
	v_div_scale_f64 v[98:99], s[20:21], v[117:118], v[117:118], v[119:120]
	v_rcp_f64_e32 v[100:101], v[98:99]
	v_fma_f64 v[102:103], -v[98:99], v[100:101], 1.0
	v_fma_f64 v[100:101], v[100:101], v[102:103], v[100:101]
	v_div_scale_f64 v[102:103], vcc, v[119:120], v[117:118], v[119:120]
	v_fma_f64 v[104:105], -v[98:99], v[100:101], 1.0
	v_fma_f64 v[100:101], v[100:101], v[104:105], v[100:101]
	v_mul_f64 v[104:105], v[102:103], v[100:101]
	v_fma_f64 v[98:99], -v[98:99], v[104:105], v[102:103]
	v_div_fmas_f64 v[98:99], v[98:99], v[100:101], v[104:105]
	v_div_fixup_f64 v[98:99], v[98:99], v[117:118], v[119:120]
	v_fma_f64 v[100:101], v[119:120], v[98:99], v[117:118]
	v_div_scale_f64 v[102:103], s[20:21], v[100:101], v[100:101], 1.0
	v_div_scale_f64 v[108:109], vcc, 1.0, v[100:101], 1.0
	v_rcp_f64_e32 v[104:105], v[102:103]
	v_fma_f64 v[106:107], -v[102:103], v[104:105], 1.0
	v_fma_f64 v[104:105], v[104:105], v[106:107], v[104:105]
	v_fma_f64 v[106:107], -v[102:103], v[104:105], 1.0
	v_fma_f64 v[104:105], v[104:105], v[106:107], v[104:105]
	v_mul_f64 v[106:107], v[108:109], v[104:105]
	v_fma_f64 v[102:103], -v[102:103], v[106:107], v[108:109]
	v_div_fmas_f64 v[102:103], v[102:103], v[104:105], v[106:107]
	v_div_fixup_f64 v[117:118], v[102:103], v[100:101], 1.0
	v_mul_f64 v[119:120], v[98:99], -v[117:118]
.LBB84_429:
	s_or_b64 exec, exec, s[18:19]
.LBB84_430:
	s_or_b64 exec, exec, s[0:1]
	v_cmp_ne_u32_e32 vcc, v96, v97
	s_and_saveexec_b64 s[0:1], vcc
	s_xor_b64 s[0:1], exec, s[0:1]
	s_cbranch_execz .LBB84_436
; %bb.431:
	v_cmp_eq_u32_e32 vcc, 20, v96
	s_and_saveexec_b64 s[18:19], vcc
	s_cbranch_execz .LBB84_435
; %bb.432:
	v_cmp_ne_u32_e32 vcc, 20, v97
	s_xor_b64 s[20:21], s[6:7], -1
	s_and_b64 s[22:23], s[20:21], vcc
	s_and_saveexec_b64 s[20:21], s[22:23]
	s_cbranch_execz .LBB84_434
; %bb.433:
	buffer_load_dword v89, off, s[24:27], 0 offset:272 ; 4-byte Folded Reload
	buffer_load_dword v90, off, s[24:27], 0 offset:276 ; 4-byte Folded Reload
	v_ashrrev_i32_e32 v98, 31, v97
	v_lshlrev_b64 v[98:99], 2, v[97:98]
	s_waitcnt vmcnt(1)
	v_add_co_u32_e32 v98, vcc, v89, v98
	s_waitcnt vmcnt(0)
	v_addc_co_u32_e32 v99, vcc, v90, v99, vcc
	global_load_dword v0, v[98:99], off
	global_load_dword v96, v[89:90], off offset:80
	s_waitcnt vmcnt(1)
	global_store_dword v[89:90], v0, off offset:80
	buffer_load_dword v89, off, s[24:27], 0 offset:296 ; 4-byte Folded Reload
	s_nop 0
	buffer_load_dword v90, off, s[24:27], 0 offset:300 ; 4-byte Folded Reload
	buffer_load_dword v91, off, s[24:27], 0 offset:304 ; 4-byte Folded Reload
	;; [unrolled: 1-line block ×3, first 2 shown]
	s_waitcnt vmcnt(5)
	global_store_dword v[98:99], v96, off
.LBB84_434:
	s_or_b64 exec, exec, s[20:21]
	v_mov_b32_e32 v96, v97
	v_mov_b32_e32 v0, v97
.LBB84_435:
	s_or_b64 exec, exec, s[18:19]
.LBB84_436:
	s_andn2_saveexec_b64 s[0:1], s[0:1]
	s_cbranch_execz .LBB84_438
; %bb.437:
	v_mov_b32_e32 v96, 20
	ds_write2_b64 v94, v[81:82], v[83:84] offset0:42 offset1:43
	ds_write2_b64 v94, v[77:78], v[79:80] offset0:44 offset1:45
	;; [unrolled: 1-line block ×22, first 2 shown]
.LBB84_438:
	s_or_b64 exec, exec, s[0:1]
	v_cmp_lt_i32_e32 vcc, 20, v96
	s_waitcnt vmcnt(0) lgkmcnt(0)
	s_barrier
	s_and_saveexec_b64 s[0:1], vcc
	s_cbranch_execz .LBB84_440
; %bb.439:
	buffer_load_dword v85, off, s[24:27], 0 ; 4-byte Folded Reload
	buffer_load_dword v86, off, s[24:27], 0 offset:4 ; 4-byte Folded Reload
	buffer_load_dword v87, off, s[24:27], 0 offset:8 ; 4-byte Folded Reload
	;; [unrolled: 1-line block ×3, first 2 shown]
	s_waitcnt vmcnt(0)
	v_mul_f64 v[97:98], v[119:120], v[87:88]
	v_mul_f64 v[87:88], v[117:118], v[87:88]
	v_fma_f64 v[125:126], v[117:118], v[85:86], -v[97:98]
	v_fma_f64 v[87:88], v[119:120], v[85:86], v[87:88]
	ds_read2_b64 v[97:100], v94 offset0:42 offset1:43
	s_waitcnt lgkmcnt(0)
	v_mul_f64 v[85:86], v[99:100], v[87:88]
	v_fma_f64 v[85:86], v[97:98], v[125:126], -v[85:86]
	v_mul_f64 v[97:98], v[97:98], v[87:88]
	v_add_f64 v[81:82], v[81:82], -v[85:86]
	v_fma_f64 v[97:98], v[99:100], v[125:126], v[97:98]
	v_add_f64 v[83:84], v[83:84], -v[97:98]
	ds_read2_b64 v[97:100], v94 offset0:44 offset1:45
	s_waitcnt lgkmcnt(0)
	v_mul_f64 v[85:86], v[99:100], v[87:88]
	v_fma_f64 v[85:86], v[97:98], v[125:126], -v[85:86]
	v_mul_f64 v[97:98], v[97:98], v[87:88]
	v_add_f64 v[77:78], v[77:78], -v[85:86]
	v_fma_f64 v[97:98], v[99:100], v[125:126], v[97:98]
	v_add_f64 v[79:80], v[79:80], -v[97:98]
	;; [unrolled: 8-line block ×21, first 2 shown]
	ds_read2_b64 v[97:100], v94 offset0:84 offset1:85
	s_waitcnt lgkmcnt(0)
	v_mul_f64 v[85:86], v[99:100], v[87:88]
	v_fma_f64 v[85:86], v[97:98], v[125:126], -v[85:86]
	v_mul_f64 v[97:98], v[97:98], v[87:88]
	v_add_f64 v[121:122], v[121:122], -v[85:86]
	v_fma_f64 v[97:98], v[99:100], v[125:126], v[97:98]
	v_mov_b32_e32 v85, v125
	v_mov_b32_e32 v86, v126
	buffer_store_dword v85, off, s[24:27], 0 ; 4-byte Folded Spill
	s_nop 0
	buffer_store_dword v86, off, s[24:27], 0 offset:4 ; 4-byte Folded Spill
	buffer_store_dword v87, off, s[24:27], 0 offset:8 ; 4-byte Folded Spill
	;; [unrolled: 1-line block ×3, first 2 shown]
	v_add_f64 v[123:124], v[123:124], -v[97:98]
.LBB84_440:
	s_or_b64 exec, exec, s[0:1]
	v_lshl_add_u32 v97, v96, 4, v94
	s_waitcnt vmcnt(0)
	s_barrier
	ds_write2_b64 v97, v[81:82], v[83:84] offset1:1
	s_waitcnt lgkmcnt(0)
	s_barrier
	ds_read2_b64 v[117:120], v94 offset0:42 offset1:43
	s_cmp_lt_i32 s3, 23
	v_mov_b32_e32 v97, 21
	s_cbranch_scc1 .LBB84_443
; %bb.441:
	v_add_u32_e32 v98, 0x160, v94
	s_mov_b32 s0, 22
	v_mov_b32_e32 v97, 21
.LBB84_442:                             ; =>This Inner Loop Header: Depth=1
	s_waitcnt lgkmcnt(0)
	v_cmp_gt_f64_e32 vcc, 0, v[117:118]
	v_xor_b32_e32 v103, 0x80000000, v118
	ds_read2_b64 v[99:102], v98 offset1:1
	v_xor_b32_e32 v105, 0x80000000, v120
	v_add_u32_e32 v98, 16, v98
	s_waitcnt lgkmcnt(0)
	v_xor_b32_e32 v107, 0x80000000, v102
	v_cndmask_b32_e32 v104, v118, v103, vcc
	v_cmp_gt_f64_e32 vcc, 0, v[119:120]
	v_mov_b32_e32 v103, v117
	v_cndmask_b32_e32 v106, v120, v105, vcc
	v_cmp_gt_f64_e32 vcc, 0, v[99:100]
	v_mov_b32_e32 v105, v119
	v_add_f64 v[103:104], v[103:104], v[105:106]
	v_xor_b32_e32 v105, 0x80000000, v100
	v_cndmask_b32_e32 v106, v100, v105, vcc
	v_cmp_gt_f64_e32 vcc, 0, v[101:102]
	v_mov_b32_e32 v105, v99
	v_cndmask_b32_e32 v108, v102, v107, vcc
	v_mov_b32_e32 v107, v101
	v_add_f64 v[105:106], v[105:106], v[107:108]
	v_cmp_lt_f64_e32 vcc, v[103:104], v[105:106]
	v_cndmask_b32_e32 v117, v117, v99, vcc
	v_mov_b32_e32 v99, s0
	s_add_i32 s0, s0, 1
	v_cndmask_b32_e32 v118, v118, v100, vcc
	v_cndmask_b32_e32 v120, v120, v102, vcc
	;; [unrolled: 1-line block ×4, first 2 shown]
	s_cmp_lg_u32 s3, s0
	s_cbranch_scc1 .LBB84_442
.LBB84_443:
	s_waitcnt lgkmcnt(0)
	v_cmp_eq_f64_e32 vcc, 0, v[117:118]
	v_cmp_eq_f64_e64 s[0:1], 0, v[119:120]
	s_and_b64 s[0:1], vcc, s[0:1]
	s_and_saveexec_b64 s[18:19], s[0:1]
	s_xor_b64 s[0:1], exec, s[18:19]
; %bb.444:
	v_cmp_ne_u32_e32 vcc, 0, v95
	v_cndmask_b32_e32 v95, 22, v95, vcc
; %bb.445:
	s_andn2_saveexec_b64 s[0:1], s[0:1]
	s_cbranch_execz .LBB84_451
; %bb.446:
	v_cmp_ngt_f64_e64 s[18:19], |v[117:118]|, |v[119:120]|
	s_and_saveexec_b64 s[20:21], s[18:19]
	s_xor_b64 s[18:19], exec, s[20:21]
	s_cbranch_execz .LBB84_448
; %bb.447:
	v_div_scale_f64 v[98:99], s[20:21], v[119:120], v[119:120], v[117:118]
	v_rcp_f64_e32 v[100:101], v[98:99]
	v_fma_f64 v[102:103], -v[98:99], v[100:101], 1.0
	v_fma_f64 v[100:101], v[100:101], v[102:103], v[100:101]
	v_div_scale_f64 v[102:103], vcc, v[117:118], v[119:120], v[117:118]
	v_fma_f64 v[104:105], -v[98:99], v[100:101], 1.0
	v_fma_f64 v[100:101], v[100:101], v[104:105], v[100:101]
	v_mul_f64 v[104:105], v[102:103], v[100:101]
	v_fma_f64 v[98:99], -v[98:99], v[104:105], v[102:103]
	v_div_fmas_f64 v[98:99], v[98:99], v[100:101], v[104:105]
	v_div_fixup_f64 v[98:99], v[98:99], v[119:120], v[117:118]
	v_fma_f64 v[100:101], v[117:118], v[98:99], v[119:120]
	v_div_scale_f64 v[102:103], s[20:21], v[100:101], v[100:101], 1.0
	v_div_scale_f64 v[108:109], vcc, 1.0, v[100:101], 1.0
	v_rcp_f64_e32 v[104:105], v[102:103]
	v_fma_f64 v[106:107], -v[102:103], v[104:105], 1.0
	v_fma_f64 v[104:105], v[104:105], v[106:107], v[104:105]
	v_fma_f64 v[106:107], -v[102:103], v[104:105], 1.0
	v_fma_f64 v[104:105], v[104:105], v[106:107], v[104:105]
	v_mul_f64 v[106:107], v[108:109], v[104:105]
	v_fma_f64 v[102:103], -v[102:103], v[106:107], v[108:109]
	v_div_fmas_f64 v[102:103], v[102:103], v[104:105], v[106:107]
	v_div_fixup_f64 v[119:120], v[102:103], v[100:101], 1.0
	v_mul_f64 v[117:118], v[98:99], v[119:120]
	v_xor_b32_e32 v120, 0x80000000, v120
.LBB84_448:
	s_andn2_saveexec_b64 s[18:19], s[18:19]
	s_cbranch_execz .LBB84_450
; %bb.449:
	v_div_scale_f64 v[98:99], s[20:21], v[117:118], v[117:118], v[119:120]
	v_rcp_f64_e32 v[100:101], v[98:99]
	v_fma_f64 v[102:103], -v[98:99], v[100:101], 1.0
	v_fma_f64 v[100:101], v[100:101], v[102:103], v[100:101]
	v_div_scale_f64 v[102:103], vcc, v[119:120], v[117:118], v[119:120]
	v_fma_f64 v[104:105], -v[98:99], v[100:101], 1.0
	v_fma_f64 v[100:101], v[100:101], v[104:105], v[100:101]
	v_mul_f64 v[104:105], v[102:103], v[100:101]
	v_fma_f64 v[98:99], -v[98:99], v[104:105], v[102:103]
	v_div_fmas_f64 v[98:99], v[98:99], v[100:101], v[104:105]
	v_div_fixup_f64 v[98:99], v[98:99], v[117:118], v[119:120]
	v_fma_f64 v[100:101], v[119:120], v[98:99], v[117:118]
	v_div_scale_f64 v[102:103], s[20:21], v[100:101], v[100:101], 1.0
	v_div_scale_f64 v[108:109], vcc, 1.0, v[100:101], 1.0
	v_rcp_f64_e32 v[104:105], v[102:103]
	v_fma_f64 v[106:107], -v[102:103], v[104:105], 1.0
	v_fma_f64 v[104:105], v[104:105], v[106:107], v[104:105]
	v_fma_f64 v[106:107], -v[102:103], v[104:105], 1.0
	v_fma_f64 v[104:105], v[104:105], v[106:107], v[104:105]
	v_mul_f64 v[106:107], v[108:109], v[104:105]
	v_fma_f64 v[102:103], -v[102:103], v[106:107], v[108:109]
	v_div_fmas_f64 v[102:103], v[102:103], v[104:105], v[106:107]
	v_div_fixup_f64 v[117:118], v[102:103], v[100:101], 1.0
	v_mul_f64 v[119:120], v[98:99], -v[117:118]
.LBB84_450:
	s_or_b64 exec, exec, s[18:19]
.LBB84_451:
	s_or_b64 exec, exec, s[0:1]
	v_cmp_ne_u32_e32 vcc, v96, v97
	s_and_saveexec_b64 s[0:1], vcc
	s_xor_b64 s[0:1], exec, s[0:1]
	s_cbranch_execz .LBB84_457
; %bb.452:
	v_cmp_eq_u32_e32 vcc, 21, v96
	s_and_saveexec_b64 s[18:19], vcc
	s_cbranch_execz .LBB84_456
; %bb.453:
	v_cmp_ne_u32_e32 vcc, 21, v97
	s_xor_b64 s[20:21], s[6:7], -1
	s_and_b64 s[22:23], s[20:21], vcc
	s_and_saveexec_b64 s[20:21], s[22:23]
	s_cbranch_execz .LBB84_455
; %bb.454:
	buffer_load_dword v89, off, s[24:27], 0 offset:272 ; 4-byte Folded Reload
	buffer_load_dword v90, off, s[24:27], 0 offset:276 ; 4-byte Folded Reload
	v_ashrrev_i32_e32 v98, 31, v97
	v_lshlrev_b64 v[98:99], 2, v[97:98]
	s_waitcnt vmcnt(1)
	v_add_co_u32_e32 v98, vcc, v89, v98
	s_waitcnt vmcnt(0)
	v_addc_co_u32_e32 v99, vcc, v90, v99, vcc
	global_load_dword v0, v[98:99], off
	global_load_dword v96, v[89:90], off offset:84
	s_waitcnt vmcnt(1)
	global_store_dword v[89:90], v0, off offset:84
	buffer_load_dword v89, off, s[24:27], 0 offset:296 ; 4-byte Folded Reload
	s_nop 0
	buffer_load_dword v90, off, s[24:27], 0 offset:300 ; 4-byte Folded Reload
	buffer_load_dword v91, off, s[24:27], 0 offset:304 ; 4-byte Folded Reload
	;; [unrolled: 1-line block ×3, first 2 shown]
	s_waitcnt vmcnt(5)
	global_store_dword v[98:99], v96, off
.LBB84_455:
	s_or_b64 exec, exec, s[20:21]
	v_mov_b32_e32 v96, v97
	v_mov_b32_e32 v0, v97
.LBB84_456:
	s_or_b64 exec, exec, s[18:19]
.LBB84_457:
	s_andn2_saveexec_b64 s[0:1], s[0:1]
	s_cbranch_execz .LBB84_459
; %bb.458:
	v_mov_b32_e32 v96, 21
	ds_write2_b64 v94, v[77:78], v[79:80] offset0:44 offset1:45
	ds_write2_b64 v94, v[73:74], v[75:76] offset0:46 offset1:47
	ds_write2_b64 v94, v[69:70], v[71:72] offset0:48 offset1:49
	ds_write2_b64 v94, v[65:66], v[67:68] offset0:50 offset1:51
	ds_write2_b64 v94, v[61:62], v[63:64] offset0:52 offset1:53
	ds_write2_b64 v94, v[57:58], v[59:60] offset0:54 offset1:55
	ds_write2_b64 v94, v[53:54], v[55:56] offset0:56 offset1:57
	ds_write2_b64 v94, v[49:50], v[51:52] offset0:58 offset1:59
	ds_write2_b64 v94, v[45:46], v[47:48] offset0:60 offset1:61
	ds_write2_b64 v94, v[41:42], v[43:44] offset0:62 offset1:63
	ds_write2_b64 v94, v[37:38], v[39:40] offset0:64 offset1:65
	ds_write2_b64 v94, v[33:34], v[35:36] offset0:66 offset1:67
	ds_write2_b64 v94, v[29:30], v[31:32] offset0:68 offset1:69
	ds_write2_b64 v94, v[25:26], v[27:28] offset0:70 offset1:71
	ds_write2_b64 v94, v[21:22], v[23:24] offset0:72 offset1:73
	ds_write2_b64 v94, v[17:18], v[19:20] offset0:74 offset1:75
	ds_write2_b64 v94, v[13:14], v[15:16] offset0:76 offset1:77
	ds_write2_b64 v94, v[9:10], v[11:12] offset0:78 offset1:79
	ds_write2_b64 v94, v[5:6], v[7:8] offset0:80 offset1:81
	ds_write2_b64 v94, v[1:2], v[3:4] offset0:82 offset1:83
	ds_write2_b64 v94, v[121:122], v[123:124] offset0:84 offset1:85
.LBB84_459:
	s_or_b64 exec, exec, s[0:1]
	v_cmp_lt_i32_e32 vcc, 21, v96
	s_waitcnt vmcnt(0) lgkmcnt(0)
	s_barrier
	s_and_saveexec_b64 s[0:1], vcc
	s_cbranch_execz .LBB84_461
; %bb.460:
	v_mul_f64 v[97:98], v[119:120], v[83:84]
	v_mul_f64 v[83:84], v[117:118], v[83:84]
	v_fma_f64 v[125:126], v[117:118], v[81:82], -v[97:98]
	v_fma_f64 v[83:84], v[119:120], v[81:82], v[83:84]
	ds_read2_b64 v[97:100], v94 offset0:44 offset1:45
	s_waitcnt lgkmcnt(0)
	v_mul_f64 v[81:82], v[99:100], v[83:84]
	v_fma_f64 v[81:82], v[97:98], v[125:126], -v[81:82]
	v_mul_f64 v[97:98], v[97:98], v[83:84]
	v_add_f64 v[77:78], v[77:78], -v[81:82]
	v_fma_f64 v[97:98], v[99:100], v[125:126], v[97:98]
	v_add_f64 v[79:80], v[79:80], -v[97:98]
	ds_read2_b64 v[97:100], v94 offset0:46 offset1:47
	s_waitcnt lgkmcnt(0)
	v_mul_f64 v[81:82], v[99:100], v[83:84]
	v_fma_f64 v[81:82], v[97:98], v[125:126], -v[81:82]
	v_mul_f64 v[97:98], v[97:98], v[83:84]
	v_add_f64 v[73:74], v[73:74], -v[81:82]
	v_fma_f64 v[97:98], v[99:100], v[125:126], v[97:98]
	v_add_f64 v[75:76], v[75:76], -v[97:98]
	ds_read2_b64 v[97:100], v94 offset0:48 offset1:49
	s_waitcnt lgkmcnt(0)
	v_mul_f64 v[81:82], v[99:100], v[83:84]
	v_fma_f64 v[81:82], v[97:98], v[125:126], -v[81:82]
	v_mul_f64 v[97:98], v[97:98], v[83:84]
	v_add_f64 v[69:70], v[69:70], -v[81:82]
	v_fma_f64 v[97:98], v[99:100], v[125:126], v[97:98]
	v_add_f64 v[71:72], v[71:72], -v[97:98]
	ds_read2_b64 v[97:100], v94 offset0:50 offset1:51
	s_waitcnt lgkmcnt(0)
	v_mul_f64 v[81:82], v[99:100], v[83:84]
	v_fma_f64 v[81:82], v[97:98], v[125:126], -v[81:82]
	v_mul_f64 v[97:98], v[97:98], v[83:84]
	v_add_f64 v[65:66], v[65:66], -v[81:82]
	v_fma_f64 v[97:98], v[99:100], v[125:126], v[97:98]
	v_add_f64 v[67:68], v[67:68], -v[97:98]
	ds_read2_b64 v[97:100], v94 offset0:52 offset1:53
	s_waitcnt lgkmcnt(0)
	v_mul_f64 v[81:82], v[99:100], v[83:84]
	v_fma_f64 v[81:82], v[97:98], v[125:126], -v[81:82]
	v_mul_f64 v[97:98], v[97:98], v[83:84]
	v_add_f64 v[61:62], v[61:62], -v[81:82]
	v_fma_f64 v[97:98], v[99:100], v[125:126], v[97:98]
	v_add_f64 v[63:64], v[63:64], -v[97:98]
	ds_read2_b64 v[97:100], v94 offset0:54 offset1:55
	s_waitcnt lgkmcnt(0)
	v_mul_f64 v[81:82], v[99:100], v[83:84]
	v_fma_f64 v[81:82], v[97:98], v[125:126], -v[81:82]
	v_mul_f64 v[97:98], v[97:98], v[83:84]
	v_add_f64 v[57:58], v[57:58], -v[81:82]
	v_fma_f64 v[97:98], v[99:100], v[125:126], v[97:98]
	v_add_f64 v[59:60], v[59:60], -v[97:98]
	ds_read2_b64 v[97:100], v94 offset0:56 offset1:57
	s_waitcnt lgkmcnt(0)
	v_mul_f64 v[81:82], v[99:100], v[83:84]
	v_fma_f64 v[81:82], v[97:98], v[125:126], -v[81:82]
	v_mul_f64 v[97:98], v[97:98], v[83:84]
	v_add_f64 v[53:54], v[53:54], -v[81:82]
	v_fma_f64 v[97:98], v[99:100], v[125:126], v[97:98]
	v_add_f64 v[55:56], v[55:56], -v[97:98]
	ds_read2_b64 v[97:100], v94 offset0:58 offset1:59
	s_waitcnt lgkmcnt(0)
	v_mul_f64 v[81:82], v[99:100], v[83:84]
	v_fma_f64 v[81:82], v[97:98], v[125:126], -v[81:82]
	v_mul_f64 v[97:98], v[97:98], v[83:84]
	v_add_f64 v[49:50], v[49:50], -v[81:82]
	v_fma_f64 v[97:98], v[99:100], v[125:126], v[97:98]
	v_add_f64 v[51:52], v[51:52], -v[97:98]
	ds_read2_b64 v[97:100], v94 offset0:60 offset1:61
	s_waitcnt lgkmcnt(0)
	v_mul_f64 v[81:82], v[99:100], v[83:84]
	v_fma_f64 v[81:82], v[97:98], v[125:126], -v[81:82]
	v_mul_f64 v[97:98], v[97:98], v[83:84]
	v_add_f64 v[45:46], v[45:46], -v[81:82]
	v_fma_f64 v[97:98], v[99:100], v[125:126], v[97:98]
	v_add_f64 v[47:48], v[47:48], -v[97:98]
	ds_read2_b64 v[97:100], v94 offset0:62 offset1:63
	s_waitcnt lgkmcnt(0)
	v_mul_f64 v[81:82], v[99:100], v[83:84]
	v_fma_f64 v[81:82], v[97:98], v[125:126], -v[81:82]
	v_mul_f64 v[97:98], v[97:98], v[83:84]
	v_add_f64 v[41:42], v[41:42], -v[81:82]
	v_fma_f64 v[97:98], v[99:100], v[125:126], v[97:98]
	v_add_f64 v[43:44], v[43:44], -v[97:98]
	ds_read2_b64 v[97:100], v94 offset0:64 offset1:65
	s_waitcnt lgkmcnt(0)
	v_mul_f64 v[81:82], v[99:100], v[83:84]
	v_fma_f64 v[81:82], v[97:98], v[125:126], -v[81:82]
	v_mul_f64 v[97:98], v[97:98], v[83:84]
	v_add_f64 v[37:38], v[37:38], -v[81:82]
	v_fma_f64 v[97:98], v[99:100], v[125:126], v[97:98]
	v_add_f64 v[39:40], v[39:40], -v[97:98]
	ds_read2_b64 v[97:100], v94 offset0:66 offset1:67
	s_waitcnt lgkmcnt(0)
	v_mul_f64 v[81:82], v[99:100], v[83:84]
	v_fma_f64 v[81:82], v[97:98], v[125:126], -v[81:82]
	v_mul_f64 v[97:98], v[97:98], v[83:84]
	v_add_f64 v[33:34], v[33:34], -v[81:82]
	v_fma_f64 v[97:98], v[99:100], v[125:126], v[97:98]
	v_add_f64 v[35:36], v[35:36], -v[97:98]
	ds_read2_b64 v[97:100], v94 offset0:68 offset1:69
	s_waitcnt lgkmcnt(0)
	v_mul_f64 v[81:82], v[99:100], v[83:84]
	v_fma_f64 v[81:82], v[97:98], v[125:126], -v[81:82]
	v_mul_f64 v[97:98], v[97:98], v[83:84]
	v_add_f64 v[29:30], v[29:30], -v[81:82]
	v_fma_f64 v[97:98], v[99:100], v[125:126], v[97:98]
	v_add_f64 v[31:32], v[31:32], -v[97:98]
	ds_read2_b64 v[97:100], v94 offset0:70 offset1:71
	s_waitcnt lgkmcnt(0)
	v_mul_f64 v[81:82], v[99:100], v[83:84]
	v_fma_f64 v[81:82], v[97:98], v[125:126], -v[81:82]
	v_mul_f64 v[97:98], v[97:98], v[83:84]
	v_add_f64 v[25:26], v[25:26], -v[81:82]
	v_fma_f64 v[97:98], v[99:100], v[125:126], v[97:98]
	v_add_f64 v[27:28], v[27:28], -v[97:98]
	ds_read2_b64 v[97:100], v94 offset0:72 offset1:73
	s_waitcnt lgkmcnt(0)
	v_mul_f64 v[81:82], v[99:100], v[83:84]
	v_fma_f64 v[81:82], v[97:98], v[125:126], -v[81:82]
	v_mul_f64 v[97:98], v[97:98], v[83:84]
	v_add_f64 v[21:22], v[21:22], -v[81:82]
	v_fma_f64 v[97:98], v[99:100], v[125:126], v[97:98]
	v_add_f64 v[23:24], v[23:24], -v[97:98]
	ds_read2_b64 v[97:100], v94 offset0:74 offset1:75
	s_waitcnt lgkmcnt(0)
	v_mul_f64 v[81:82], v[99:100], v[83:84]
	v_fma_f64 v[81:82], v[97:98], v[125:126], -v[81:82]
	v_mul_f64 v[97:98], v[97:98], v[83:84]
	v_add_f64 v[17:18], v[17:18], -v[81:82]
	v_fma_f64 v[97:98], v[99:100], v[125:126], v[97:98]
	v_add_f64 v[19:20], v[19:20], -v[97:98]
	ds_read2_b64 v[97:100], v94 offset0:76 offset1:77
	s_waitcnt lgkmcnt(0)
	v_mul_f64 v[81:82], v[99:100], v[83:84]
	v_fma_f64 v[81:82], v[97:98], v[125:126], -v[81:82]
	v_mul_f64 v[97:98], v[97:98], v[83:84]
	v_add_f64 v[13:14], v[13:14], -v[81:82]
	v_fma_f64 v[97:98], v[99:100], v[125:126], v[97:98]
	v_add_f64 v[15:16], v[15:16], -v[97:98]
	ds_read2_b64 v[97:100], v94 offset0:78 offset1:79
	s_waitcnt lgkmcnt(0)
	v_mul_f64 v[81:82], v[99:100], v[83:84]
	v_fma_f64 v[81:82], v[97:98], v[125:126], -v[81:82]
	v_mul_f64 v[97:98], v[97:98], v[83:84]
	v_add_f64 v[9:10], v[9:10], -v[81:82]
	v_fma_f64 v[97:98], v[99:100], v[125:126], v[97:98]
	v_add_f64 v[11:12], v[11:12], -v[97:98]
	ds_read2_b64 v[97:100], v94 offset0:80 offset1:81
	s_waitcnt lgkmcnt(0)
	v_mul_f64 v[81:82], v[99:100], v[83:84]
	v_fma_f64 v[81:82], v[97:98], v[125:126], -v[81:82]
	v_mul_f64 v[97:98], v[97:98], v[83:84]
	v_add_f64 v[5:6], v[5:6], -v[81:82]
	v_fma_f64 v[97:98], v[99:100], v[125:126], v[97:98]
	v_add_f64 v[7:8], v[7:8], -v[97:98]
	ds_read2_b64 v[97:100], v94 offset0:82 offset1:83
	s_waitcnt lgkmcnt(0)
	v_mul_f64 v[81:82], v[99:100], v[83:84]
	v_fma_f64 v[81:82], v[97:98], v[125:126], -v[81:82]
	v_mul_f64 v[97:98], v[97:98], v[83:84]
	v_add_f64 v[1:2], v[1:2], -v[81:82]
	v_fma_f64 v[97:98], v[99:100], v[125:126], v[97:98]
	v_add_f64 v[3:4], v[3:4], -v[97:98]
	ds_read2_b64 v[97:100], v94 offset0:84 offset1:85
	s_waitcnt lgkmcnt(0)
	v_mul_f64 v[81:82], v[99:100], v[83:84]
	v_fma_f64 v[81:82], v[97:98], v[125:126], -v[81:82]
	v_mul_f64 v[97:98], v[97:98], v[83:84]
	v_add_f64 v[121:122], v[121:122], -v[81:82]
	v_fma_f64 v[97:98], v[99:100], v[125:126], v[97:98]
	v_mov_b32_e32 v81, v125
	v_mov_b32_e32 v82, v126
	v_add_f64 v[123:124], v[123:124], -v[97:98]
.LBB84_461:
	s_or_b64 exec, exec, s[0:1]
	v_lshl_add_u32 v97, v96, 4, v94
	s_barrier
	ds_write2_b64 v97, v[77:78], v[79:80] offset1:1
	s_waitcnt lgkmcnt(0)
	s_barrier
	ds_read2_b64 v[117:120], v94 offset0:44 offset1:45
	s_cmp_lt_i32 s3, 24
	v_mov_b32_e32 v97, 22
	s_cbranch_scc1 .LBB84_464
; %bb.462:
	v_add_u32_e32 v98, 0x170, v94
	s_mov_b32 s0, 23
	v_mov_b32_e32 v97, 22
.LBB84_463:                             ; =>This Inner Loop Header: Depth=1
	s_waitcnt lgkmcnt(0)
	v_cmp_gt_f64_e32 vcc, 0, v[117:118]
	v_xor_b32_e32 v103, 0x80000000, v118
	ds_read2_b64 v[99:102], v98 offset1:1
	v_xor_b32_e32 v105, 0x80000000, v120
	v_add_u32_e32 v98, 16, v98
	s_waitcnt lgkmcnt(0)
	v_xor_b32_e32 v107, 0x80000000, v102
	v_cndmask_b32_e32 v104, v118, v103, vcc
	v_cmp_gt_f64_e32 vcc, 0, v[119:120]
	v_mov_b32_e32 v103, v117
	v_cndmask_b32_e32 v106, v120, v105, vcc
	v_cmp_gt_f64_e32 vcc, 0, v[99:100]
	v_mov_b32_e32 v105, v119
	v_add_f64 v[103:104], v[103:104], v[105:106]
	v_xor_b32_e32 v105, 0x80000000, v100
	v_cndmask_b32_e32 v106, v100, v105, vcc
	v_cmp_gt_f64_e32 vcc, 0, v[101:102]
	v_mov_b32_e32 v105, v99
	v_cndmask_b32_e32 v108, v102, v107, vcc
	v_mov_b32_e32 v107, v101
	v_add_f64 v[105:106], v[105:106], v[107:108]
	v_cmp_lt_f64_e32 vcc, v[103:104], v[105:106]
	v_cndmask_b32_e32 v117, v117, v99, vcc
	v_mov_b32_e32 v99, s0
	s_add_i32 s0, s0, 1
	v_cndmask_b32_e32 v118, v118, v100, vcc
	v_cndmask_b32_e32 v120, v120, v102, vcc
	;; [unrolled: 1-line block ×4, first 2 shown]
	s_cmp_lg_u32 s3, s0
	s_cbranch_scc1 .LBB84_463
.LBB84_464:
	s_waitcnt lgkmcnt(0)
	v_cmp_eq_f64_e32 vcc, 0, v[117:118]
	v_cmp_eq_f64_e64 s[0:1], 0, v[119:120]
	s_and_b64 s[0:1], vcc, s[0:1]
	s_and_saveexec_b64 s[18:19], s[0:1]
	s_xor_b64 s[0:1], exec, s[18:19]
; %bb.465:
	v_cmp_ne_u32_e32 vcc, 0, v95
	v_cndmask_b32_e32 v95, 23, v95, vcc
; %bb.466:
	s_andn2_saveexec_b64 s[0:1], s[0:1]
	s_cbranch_execz .LBB84_472
; %bb.467:
	v_cmp_ngt_f64_e64 s[18:19], |v[117:118]|, |v[119:120]|
	s_and_saveexec_b64 s[20:21], s[18:19]
	s_xor_b64 s[18:19], exec, s[20:21]
	s_cbranch_execz .LBB84_469
; %bb.468:
	v_div_scale_f64 v[98:99], s[20:21], v[119:120], v[119:120], v[117:118]
	v_rcp_f64_e32 v[100:101], v[98:99]
	v_fma_f64 v[102:103], -v[98:99], v[100:101], 1.0
	v_fma_f64 v[100:101], v[100:101], v[102:103], v[100:101]
	v_div_scale_f64 v[102:103], vcc, v[117:118], v[119:120], v[117:118]
	v_fma_f64 v[104:105], -v[98:99], v[100:101], 1.0
	v_fma_f64 v[100:101], v[100:101], v[104:105], v[100:101]
	v_mul_f64 v[104:105], v[102:103], v[100:101]
	v_fma_f64 v[98:99], -v[98:99], v[104:105], v[102:103]
	v_div_fmas_f64 v[98:99], v[98:99], v[100:101], v[104:105]
	v_div_fixup_f64 v[98:99], v[98:99], v[119:120], v[117:118]
	v_fma_f64 v[100:101], v[117:118], v[98:99], v[119:120]
	v_div_scale_f64 v[102:103], s[20:21], v[100:101], v[100:101], 1.0
	v_div_scale_f64 v[108:109], vcc, 1.0, v[100:101], 1.0
	v_rcp_f64_e32 v[104:105], v[102:103]
	v_fma_f64 v[106:107], -v[102:103], v[104:105], 1.0
	v_fma_f64 v[104:105], v[104:105], v[106:107], v[104:105]
	v_fma_f64 v[106:107], -v[102:103], v[104:105], 1.0
	v_fma_f64 v[104:105], v[104:105], v[106:107], v[104:105]
	v_mul_f64 v[106:107], v[108:109], v[104:105]
	v_fma_f64 v[102:103], -v[102:103], v[106:107], v[108:109]
	v_div_fmas_f64 v[102:103], v[102:103], v[104:105], v[106:107]
	v_div_fixup_f64 v[119:120], v[102:103], v[100:101], 1.0
	v_mul_f64 v[117:118], v[98:99], v[119:120]
	v_xor_b32_e32 v120, 0x80000000, v120
.LBB84_469:
	s_andn2_saveexec_b64 s[18:19], s[18:19]
	s_cbranch_execz .LBB84_471
; %bb.470:
	v_div_scale_f64 v[98:99], s[20:21], v[117:118], v[117:118], v[119:120]
	v_rcp_f64_e32 v[100:101], v[98:99]
	v_fma_f64 v[102:103], -v[98:99], v[100:101], 1.0
	v_fma_f64 v[100:101], v[100:101], v[102:103], v[100:101]
	v_div_scale_f64 v[102:103], vcc, v[119:120], v[117:118], v[119:120]
	v_fma_f64 v[104:105], -v[98:99], v[100:101], 1.0
	v_fma_f64 v[100:101], v[100:101], v[104:105], v[100:101]
	v_mul_f64 v[104:105], v[102:103], v[100:101]
	v_fma_f64 v[98:99], -v[98:99], v[104:105], v[102:103]
	v_div_fmas_f64 v[98:99], v[98:99], v[100:101], v[104:105]
	v_div_fixup_f64 v[98:99], v[98:99], v[117:118], v[119:120]
	v_fma_f64 v[100:101], v[119:120], v[98:99], v[117:118]
	v_div_scale_f64 v[102:103], s[20:21], v[100:101], v[100:101], 1.0
	v_div_scale_f64 v[108:109], vcc, 1.0, v[100:101], 1.0
	v_rcp_f64_e32 v[104:105], v[102:103]
	v_fma_f64 v[106:107], -v[102:103], v[104:105], 1.0
	v_fma_f64 v[104:105], v[104:105], v[106:107], v[104:105]
	v_fma_f64 v[106:107], -v[102:103], v[104:105], 1.0
	v_fma_f64 v[104:105], v[104:105], v[106:107], v[104:105]
	v_mul_f64 v[106:107], v[108:109], v[104:105]
	v_fma_f64 v[102:103], -v[102:103], v[106:107], v[108:109]
	v_div_fmas_f64 v[102:103], v[102:103], v[104:105], v[106:107]
	v_div_fixup_f64 v[117:118], v[102:103], v[100:101], 1.0
	v_mul_f64 v[119:120], v[98:99], -v[117:118]
.LBB84_471:
	s_or_b64 exec, exec, s[18:19]
.LBB84_472:
	s_or_b64 exec, exec, s[0:1]
	v_cmp_ne_u32_e32 vcc, v96, v97
	s_and_saveexec_b64 s[0:1], vcc
	s_xor_b64 s[0:1], exec, s[0:1]
	s_cbranch_execz .LBB84_478
; %bb.473:
	v_cmp_eq_u32_e32 vcc, 22, v96
	s_and_saveexec_b64 s[18:19], vcc
	s_cbranch_execz .LBB84_477
; %bb.474:
	v_cmp_ne_u32_e32 vcc, 22, v97
	s_xor_b64 s[20:21], s[6:7], -1
	s_and_b64 s[22:23], s[20:21], vcc
	s_and_saveexec_b64 s[20:21], s[22:23]
	s_cbranch_execz .LBB84_476
; %bb.475:
	buffer_load_dword v89, off, s[24:27], 0 offset:272 ; 4-byte Folded Reload
	buffer_load_dword v90, off, s[24:27], 0 offset:276 ; 4-byte Folded Reload
	v_ashrrev_i32_e32 v98, 31, v97
	v_lshlrev_b64 v[98:99], 2, v[97:98]
	s_waitcnt vmcnt(1)
	v_add_co_u32_e32 v98, vcc, v89, v98
	s_waitcnt vmcnt(0)
	v_addc_co_u32_e32 v99, vcc, v90, v99, vcc
	global_load_dword v0, v[98:99], off
	global_load_dword v96, v[89:90], off offset:88
	s_waitcnt vmcnt(1)
	global_store_dword v[89:90], v0, off offset:88
	buffer_load_dword v89, off, s[24:27], 0 offset:296 ; 4-byte Folded Reload
	s_nop 0
	buffer_load_dword v90, off, s[24:27], 0 offset:300 ; 4-byte Folded Reload
	buffer_load_dword v91, off, s[24:27], 0 offset:304 ; 4-byte Folded Reload
	;; [unrolled: 1-line block ×3, first 2 shown]
	s_waitcnt vmcnt(5)
	global_store_dword v[98:99], v96, off
.LBB84_476:
	s_or_b64 exec, exec, s[20:21]
	v_mov_b32_e32 v96, v97
	v_mov_b32_e32 v0, v97
.LBB84_477:
	s_or_b64 exec, exec, s[18:19]
.LBB84_478:
	s_andn2_saveexec_b64 s[0:1], s[0:1]
	s_cbranch_execz .LBB84_480
; %bb.479:
	v_mov_b32_e32 v96, 22
	ds_write2_b64 v94, v[73:74], v[75:76] offset0:46 offset1:47
	ds_write2_b64 v94, v[69:70], v[71:72] offset0:48 offset1:49
	ds_write2_b64 v94, v[65:66], v[67:68] offset0:50 offset1:51
	ds_write2_b64 v94, v[61:62], v[63:64] offset0:52 offset1:53
	ds_write2_b64 v94, v[57:58], v[59:60] offset0:54 offset1:55
	ds_write2_b64 v94, v[53:54], v[55:56] offset0:56 offset1:57
	ds_write2_b64 v94, v[49:50], v[51:52] offset0:58 offset1:59
	ds_write2_b64 v94, v[45:46], v[47:48] offset0:60 offset1:61
	ds_write2_b64 v94, v[41:42], v[43:44] offset0:62 offset1:63
	ds_write2_b64 v94, v[37:38], v[39:40] offset0:64 offset1:65
	ds_write2_b64 v94, v[33:34], v[35:36] offset0:66 offset1:67
	ds_write2_b64 v94, v[29:30], v[31:32] offset0:68 offset1:69
	ds_write2_b64 v94, v[25:26], v[27:28] offset0:70 offset1:71
	ds_write2_b64 v94, v[21:22], v[23:24] offset0:72 offset1:73
	ds_write2_b64 v94, v[17:18], v[19:20] offset0:74 offset1:75
	ds_write2_b64 v94, v[13:14], v[15:16] offset0:76 offset1:77
	ds_write2_b64 v94, v[9:10], v[11:12] offset0:78 offset1:79
	ds_write2_b64 v94, v[5:6], v[7:8] offset0:80 offset1:81
	ds_write2_b64 v94, v[1:2], v[3:4] offset0:82 offset1:83
	ds_write2_b64 v94, v[121:122], v[123:124] offset0:84 offset1:85
.LBB84_480:
	s_or_b64 exec, exec, s[0:1]
	v_cmp_lt_i32_e32 vcc, 22, v96
	s_waitcnt vmcnt(0) lgkmcnt(0)
	s_barrier
	s_and_saveexec_b64 s[0:1], vcc
	s_cbranch_execz .LBB84_482
; %bb.481:
	v_mul_f64 v[97:98], v[119:120], v[79:80]
	v_mul_f64 v[79:80], v[117:118], v[79:80]
	v_fma_f64 v[125:126], v[117:118], v[77:78], -v[97:98]
	v_fma_f64 v[79:80], v[119:120], v[77:78], v[79:80]
	ds_read2_b64 v[97:100], v94 offset0:46 offset1:47
	s_waitcnt lgkmcnt(0)
	v_mul_f64 v[77:78], v[99:100], v[79:80]
	v_fma_f64 v[77:78], v[97:98], v[125:126], -v[77:78]
	v_mul_f64 v[97:98], v[97:98], v[79:80]
	v_add_f64 v[73:74], v[73:74], -v[77:78]
	v_fma_f64 v[97:98], v[99:100], v[125:126], v[97:98]
	v_add_f64 v[75:76], v[75:76], -v[97:98]
	ds_read2_b64 v[97:100], v94 offset0:48 offset1:49
	s_waitcnt lgkmcnt(0)
	v_mul_f64 v[77:78], v[99:100], v[79:80]
	v_fma_f64 v[77:78], v[97:98], v[125:126], -v[77:78]
	v_mul_f64 v[97:98], v[97:98], v[79:80]
	v_add_f64 v[69:70], v[69:70], -v[77:78]
	v_fma_f64 v[97:98], v[99:100], v[125:126], v[97:98]
	v_add_f64 v[71:72], v[71:72], -v[97:98]
	;; [unrolled: 8-line block ×19, first 2 shown]
	ds_read2_b64 v[97:100], v94 offset0:84 offset1:85
	s_waitcnt lgkmcnt(0)
	v_mul_f64 v[77:78], v[99:100], v[79:80]
	v_fma_f64 v[77:78], v[97:98], v[125:126], -v[77:78]
	v_mul_f64 v[97:98], v[97:98], v[79:80]
	v_add_f64 v[121:122], v[121:122], -v[77:78]
	v_fma_f64 v[97:98], v[99:100], v[125:126], v[97:98]
	v_mov_b32_e32 v77, v125
	v_mov_b32_e32 v78, v126
	v_add_f64 v[123:124], v[123:124], -v[97:98]
.LBB84_482:
	s_or_b64 exec, exec, s[0:1]
	v_lshl_add_u32 v97, v96, 4, v94
	s_barrier
	ds_write2_b64 v97, v[73:74], v[75:76] offset1:1
	s_waitcnt lgkmcnt(0)
	s_barrier
	ds_read2_b64 v[117:120], v94 offset0:46 offset1:47
	s_cmp_lt_i32 s3, 25
	v_mov_b32_e32 v97, 23
	s_cbranch_scc1 .LBB84_485
; %bb.483:
	v_add_u32_e32 v98, 0x180, v94
	s_mov_b32 s0, 24
	v_mov_b32_e32 v97, 23
.LBB84_484:                             ; =>This Inner Loop Header: Depth=1
	s_waitcnt lgkmcnt(0)
	v_cmp_gt_f64_e32 vcc, 0, v[117:118]
	v_xor_b32_e32 v103, 0x80000000, v118
	ds_read2_b64 v[99:102], v98 offset1:1
	v_xor_b32_e32 v105, 0x80000000, v120
	v_add_u32_e32 v98, 16, v98
	s_waitcnt lgkmcnt(0)
	v_xor_b32_e32 v107, 0x80000000, v102
	v_cndmask_b32_e32 v104, v118, v103, vcc
	v_cmp_gt_f64_e32 vcc, 0, v[119:120]
	v_mov_b32_e32 v103, v117
	v_cndmask_b32_e32 v106, v120, v105, vcc
	v_cmp_gt_f64_e32 vcc, 0, v[99:100]
	v_mov_b32_e32 v105, v119
	v_add_f64 v[103:104], v[103:104], v[105:106]
	v_xor_b32_e32 v105, 0x80000000, v100
	v_cndmask_b32_e32 v106, v100, v105, vcc
	v_cmp_gt_f64_e32 vcc, 0, v[101:102]
	v_mov_b32_e32 v105, v99
	v_cndmask_b32_e32 v108, v102, v107, vcc
	v_mov_b32_e32 v107, v101
	v_add_f64 v[105:106], v[105:106], v[107:108]
	v_cmp_lt_f64_e32 vcc, v[103:104], v[105:106]
	v_cndmask_b32_e32 v117, v117, v99, vcc
	v_mov_b32_e32 v99, s0
	s_add_i32 s0, s0, 1
	v_cndmask_b32_e32 v118, v118, v100, vcc
	v_cndmask_b32_e32 v120, v120, v102, vcc
	v_cndmask_b32_e32 v119, v119, v101, vcc
	v_cndmask_b32_e32 v97, v97, v99, vcc
	s_cmp_lg_u32 s3, s0
	s_cbranch_scc1 .LBB84_484
.LBB84_485:
	s_waitcnt lgkmcnt(0)
	v_cmp_eq_f64_e32 vcc, 0, v[117:118]
	v_cmp_eq_f64_e64 s[0:1], 0, v[119:120]
	s_and_b64 s[0:1], vcc, s[0:1]
	s_and_saveexec_b64 s[18:19], s[0:1]
	s_xor_b64 s[0:1], exec, s[18:19]
; %bb.486:
	v_cmp_ne_u32_e32 vcc, 0, v95
	v_cndmask_b32_e32 v95, 24, v95, vcc
; %bb.487:
	s_andn2_saveexec_b64 s[0:1], s[0:1]
	s_cbranch_execz .LBB84_493
; %bb.488:
	v_cmp_ngt_f64_e64 s[18:19], |v[117:118]|, |v[119:120]|
	s_and_saveexec_b64 s[20:21], s[18:19]
	s_xor_b64 s[18:19], exec, s[20:21]
	s_cbranch_execz .LBB84_490
; %bb.489:
	v_div_scale_f64 v[98:99], s[20:21], v[119:120], v[119:120], v[117:118]
	v_rcp_f64_e32 v[100:101], v[98:99]
	v_fma_f64 v[102:103], -v[98:99], v[100:101], 1.0
	v_fma_f64 v[100:101], v[100:101], v[102:103], v[100:101]
	v_div_scale_f64 v[102:103], vcc, v[117:118], v[119:120], v[117:118]
	v_fma_f64 v[104:105], -v[98:99], v[100:101], 1.0
	v_fma_f64 v[100:101], v[100:101], v[104:105], v[100:101]
	v_mul_f64 v[104:105], v[102:103], v[100:101]
	v_fma_f64 v[98:99], -v[98:99], v[104:105], v[102:103]
	v_div_fmas_f64 v[98:99], v[98:99], v[100:101], v[104:105]
	v_div_fixup_f64 v[98:99], v[98:99], v[119:120], v[117:118]
	v_fma_f64 v[100:101], v[117:118], v[98:99], v[119:120]
	v_div_scale_f64 v[102:103], s[20:21], v[100:101], v[100:101], 1.0
	v_div_scale_f64 v[108:109], vcc, 1.0, v[100:101], 1.0
	v_rcp_f64_e32 v[104:105], v[102:103]
	v_fma_f64 v[106:107], -v[102:103], v[104:105], 1.0
	v_fma_f64 v[104:105], v[104:105], v[106:107], v[104:105]
	v_fma_f64 v[106:107], -v[102:103], v[104:105], 1.0
	v_fma_f64 v[104:105], v[104:105], v[106:107], v[104:105]
	v_mul_f64 v[106:107], v[108:109], v[104:105]
	v_fma_f64 v[102:103], -v[102:103], v[106:107], v[108:109]
	v_div_fmas_f64 v[102:103], v[102:103], v[104:105], v[106:107]
	v_div_fixup_f64 v[119:120], v[102:103], v[100:101], 1.0
	v_mul_f64 v[117:118], v[98:99], v[119:120]
	v_xor_b32_e32 v120, 0x80000000, v120
.LBB84_490:
	s_andn2_saveexec_b64 s[18:19], s[18:19]
	s_cbranch_execz .LBB84_492
; %bb.491:
	v_div_scale_f64 v[98:99], s[20:21], v[117:118], v[117:118], v[119:120]
	v_rcp_f64_e32 v[100:101], v[98:99]
	v_fma_f64 v[102:103], -v[98:99], v[100:101], 1.0
	v_fma_f64 v[100:101], v[100:101], v[102:103], v[100:101]
	v_div_scale_f64 v[102:103], vcc, v[119:120], v[117:118], v[119:120]
	v_fma_f64 v[104:105], -v[98:99], v[100:101], 1.0
	v_fma_f64 v[100:101], v[100:101], v[104:105], v[100:101]
	v_mul_f64 v[104:105], v[102:103], v[100:101]
	v_fma_f64 v[98:99], -v[98:99], v[104:105], v[102:103]
	v_div_fmas_f64 v[98:99], v[98:99], v[100:101], v[104:105]
	v_div_fixup_f64 v[98:99], v[98:99], v[117:118], v[119:120]
	v_fma_f64 v[100:101], v[119:120], v[98:99], v[117:118]
	v_div_scale_f64 v[102:103], s[20:21], v[100:101], v[100:101], 1.0
	v_div_scale_f64 v[108:109], vcc, 1.0, v[100:101], 1.0
	v_rcp_f64_e32 v[104:105], v[102:103]
	v_fma_f64 v[106:107], -v[102:103], v[104:105], 1.0
	v_fma_f64 v[104:105], v[104:105], v[106:107], v[104:105]
	v_fma_f64 v[106:107], -v[102:103], v[104:105], 1.0
	v_fma_f64 v[104:105], v[104:105], v[106:107], v[104:105]
	v_mul_f64 v[106:107], v[108:109], v[104:105]
	v_fma_f64 v[102:103], -v[102:103], v[106:107], v[108:109]
	v_div_fmas_f64 v[102:103], v[102:103], v[104:105], v[106:107]
	v_div_fixup_f64 v[117:118], v[102:103], v[100:101], 1.0
	v_mul_f64 v[119:120], v[98:99], -v[117:118]
.LBB84_492:
	s_or_b64 exec, exec, s[18:19]
.LBB84_493:
	s_or_b64 exec, exec, s[0:1]
	v_cmp_ne_u32_e32 vcc, v96, v97
	s_and_saveexec_b64 s[0:1], vcc
	s_xor_b64 s[0:1], exec, s[0:1]
	s_cbranch_execz .LBB84_499
; %bb.494:
	v_cmp_eq_u32_e32 vcc, 23, v96
	s_and_saveexec_b64 s[18:19], vcc
	s_cbranch_execz .LBB84_498
; %bb.495:
	v_cmp_ne_u32_e32 vcc, 23, v97
	s_xor_b64 s[20:21], s[6:7], -1
	s_and_b64 s[22:23], s[20:21], vcc
	s_and_saveexec_b64 s[20:21], s[22:23]
	s_cbranch_execz .LBB84_497
; %bb.496:
	buffer_load_dword v89, off, s[24:27], 0 offset:272 ; 4-byte Folded Reload
	buffer_load_dword v90, off, s[24:27], 0 offset:276 ; 4-byte Folded Reload
	v_ashrrev_i32_e32 v98, 31, v97
	v_lshlrev_b64 v[98:99], 2, v[97:98]
	s_waitcnt vmcnt(1)
	v_add_co_u32_e32 v98, vcc, v89, v98
	s_waitcnt vmcnt(0)
	v_addc_co_u32_e32 v99, vcc, v90, v99, vcc
	global_load_dword v0, v[98:99], off
	global_load_dword v96, v[89:90], off offset:92
	s_waitcnt vmcnt(1)
	global_store_dword v[89:90], v0, off offset:92
	buffer_load_dword v89, off, s[24:27], 0 offset:296 ; 4-byte Folded Reload
	s_nop 0
	buffer_load_dword v90, off, s[24:27], 0 offset:300 ; 4-byte Folded Reload
	buffer_load_dword v91, off, s[24:27], 0 offset:304 ; 4-byte Folded Reload
	;; [unrolled: 1-line block ×3, first 2 shown]
	s_waitcnt vmcnt(5)
	global_store_dword v[98:99], v96, off
.LBB84_497:
	s_or_b64 exec, exec, s[20:21]
	v_mov_b32_e32 v96, v97
	v_mov_b32_e32 v0, v97
.LBB84_498:
	s_or_b64 exec, exec, s[18:19]
.LBB84_499:
	s_andn2_saveexec_b64 s[0:1], s[0:1]
	s_cbranch_execz .LBB84_501
; %bb.500:
	v_mov_b32_e32 v96, 23
	ds_write2_b64 v94, v[69:70], v[71:72] offset0:48 offset1:49
	ds_write2_b64 v94, v[65:66], v[67:68] offset0:50 offset1:51
	;; [unrolled: 1-line block ×19, first 2 shown]
.LBB84_501:
	s_or_b64 exec, exec, s[0:1]
	v_cmp_lt_i32_e32 vcc, 23, v96
	s_waitcnt vmcnt(0) lgkmcnt(0)
	s_barrier
	s_and_saveexec_b64 s[0:1], vcc
	s_cbranch_execz .LBB84_503
; %bb.502:
	v_mul_f64 v[97:98], v[119:120], v[75:76]
	v_mul_f64 v[75:76], v[117:118], v[75:76]
	v_fma_f64 v[125:126], v[117:118], v[73:74], -v[97:98]
	v_fma_f64 v[75:76], v[119:120], v[73:74], v[75:76]
	ds_read2_b64 v[97:100], v94 offset0:48 offset1:49
	s_waitcnt lgkmcnt(0)
	v_mul_f64 v[73:74], v[99:100], v[75:76]
	v_fma_f64 v[73:74], v[97:98], v[125:126], -v[73:74]
	v_mul_f64 v[97:98], v[97:98], v[75:76]
	v_add_f64 v[69:70], v[69:70], -v[73:74]
	v_fma_f64 v[97:98], v[99:100], v[125:126], v[97:98]
	v_add_f64 v[71:72], v[71:72], -v[97:98]
	ds_read2_b64 v[97:100], v94 offset0:50 offset1:51
	s_waitcnt lgkmcnt(0)
	v_mul_f64 v[73:74], v[99:100], v[75:76]
	v_fma_f64 v[73:74], v[97:98], v[125:126], -v[73:74]
	v_mul_f64 v[97:98], v[97:98], v[75:76]
	v_add_f64 v[65:66], v[65:66], -v[73:74]
	v_fma_f64 v[97:98], v[99:100], v[125:126], v[97:98]
	v_add_f64 v[67:68], v[67:68], -v[97:98]
	;; [unrolled: 8-line block ×18, first 2 shown]
	ds_read2_b64 v[97:100], v94 offset0:84 offset1:85
	s_waitcnt lgkmcnt(0)
	v_mul_f64 v[73:74], v[99:100], v[75:76]
	v_fma_f64 v[73:74], v[97:98], v[125:126], -v[73:74]
	v_mul_f64 v[97:98], v[97:98], v[75:76]
	v_add_f64 v[121:122], v[121:122], -v[73:74]
	v_fma_f64 v[97:98], v[99:100], v[125:126], v[97:98]
	v_mov_b32_e32 v73, v125
	v_mov_b32_e32 v74, v126
	v_add_f64 v[123:124], v[123:124], -v[97:98]
.LBB84_503:
	s_or_b64 exec, exec, s[0:1]
	v_lshl_add_u32 v97, v96, 4, v94
	s_barrier
	ds_write2_b64 v97, v[69:70], v[71:72] offset1:1
	s_waitcnt lgkmcnt(0)
	s_barrier
	ds_read2_b64 v[117:120], v94 offset0:48 offset1:49
	s_cmp_lt_i32 s3, 26
	v_mov_b32_e32 v97, 24
	s_cbranch_scc1 .LBB84_506
; %bb.504:
	v_add_u32_e32 v98, 0x190, v94
	s_mov_b32 s0, 25
	v_mov_b32_e32 v97, 24
.LBB84_505:                             ; =>This Inner Loop Header: Depth=1
	s_waitcnt lgkmcnt(0)
	v_cmp_gt_f64_e32 vcc, 0, v[117:118]
	v_xor_b32_e32 v103, 0x80000000, v118
	ds_read2_b64 v[99:102], v98 offset1:1
	v_xor_b32_e32 v105, 0x80000000, v120
	v_add_u32_e32 v98, 16, v98
	s_waitcnt lgkmcnt(0)
	v_xor_b32_e32 v107, 0x80000000, v102
	v_cndmask_b32_e32 v104, v118, v103, vcc
	v_cmp_gt_f64_e32 vcc, 0, v[119:120]
	v_mov_b32_e32 v103, v117
	v_cndmask_b32_e32 v106, v120, v105, vcc
	v_cmp_gt_f64_e32 vcc, 0, v[99:100]
	v_mov_b32_e32 v105, v119
	v_add_f64 v[103:104], v[103:104], v[105:106]
	v_xor_b32_e32 v105, 0x80000000, v100
	v_cndmask_b32_e32 v106, v100, v105, vcc
	v_cmp_gt_f64_e32 vcc, 0, v[101:102]
	v_mov_b32_e32 v105, v99
	v_cndmask_b32_e32 v108, v102, v107, vcc
	v_mov_b32_e32 v107, v101
	v_add_f64 v[105:106], v[105:106], v[107:108]
	v_cmp_lt_f64_e32 vcc, v[103:104], v[105:106]
	v_cndmask_b32_e32 v117, v117, v99, vcc
	v_mov_b32_e32 v99, s0
	s_add_i32 s0, s0, 1
	v_cndmask_b32_e32 v118, v118, v100, vcc
	v_cndmask_b32_e32 v120, v120, v102, vcc
	;; [unrolled: 1-line block ×4, first 2 shown]
	s_cmp_lg_u32 s3, s0
	s_cbranch_scc1 .LBB84_505
.LBB84_506:
	s_waitcnt lgkmcnt(0)
	v_cmp_eq_f64_e32 vcc, 0, v[117:118]
	v_cmp_eq_f64_e64 s[0:1], 0, v[119:120]
	s_and_b64 s[0:1], vcc, s[0:1]
	s_and_saveexec_b64 s[18:19], s[0:1]
	s_xor_b64 s[0:1], exec, s[18:19]
; %bb.507:
	v_cmp_ne_u32_e32 vcc, 0, v95
	v_cndmask_b32_e32 v95, 25, v95, vcc
; %bb.508:
	s_andn2_saveexec_b64 s[0:1], s[0:1]
	s_cbranch_execz .LBB84_514
; %bb.509:
	v_cmp_ngt_f64_e64 s[18:19], |v[117:118]|, |v[119:120]|
	s_and_saveexec_b64 s[20:21], s[18:19]
	s_xor_b64 s[18:19], exec, s[20:21]
	s_cbranch_execz .LBB84_511
; %bb.510:
	v_div_scale_f64 v[98:99], s[20:21], v[119:120], v[119:120], v[117:118]
	v_rcp_f64_e32 v[100:101], v[98:99]
	v_fma_f64 v[102:103], -v[98:99], v[100:101], 1.0
	v_fma_f64 v[100:101], v[100:101], v[102:103], v[100:101]
	v_div_scale_f64 v[102:103], vcc, v[117:118], v[119:120], v[117:118]
	v_fma_f64 v[104:105], -v[98:99], v[100:101], 1.0
	v_fma_f64 v[100:101], v[100:101], v[104:105], v[100:101]
	v_mul_f64 v[104:105], v[102:103], v[100:101]
	v_fma_f64 v[98:99], -v[98:99], v[104:105], v[102:103]
	v_div_fmas_f64 v[98:99], v[98:99], v[100:101], v[104:105]
	v_div_fixup_f64 v[98:99], v[98:99], v[119:120], v[117:118]
	v_fma_f64 v[100:101], v[117:118], v[98:99], v[119:120]
	v_div_scale_f64 v[102:103], s[20:21], v[100:101], v[100:101], 1.0
	v_div_scale_f64 v[108:109], vcc, 1.0, v[100:101], 1.0
	v_rcp_f64_e32 v[104:105], v[102:103]
	v_fma_f64 v[106:107], -v[102:103], v[104:105], 1.0
	v_fma_f64 v[104:105], v[104:105], v[106:107], v[104:105]
	v_fma_f64 v[106:107], -v[102:103], v[104:105], 1.0
	v_fma_f64 v[104:105], v[104:105], v[106:107], v[104:105]
	v_mul_f64 v[106:107], v[108:109], v[104:105]
	v_fma_f64 v[102:103], -v[102:103], v[106:107], v[108:109]
	v_div_fmas_f64 v[102:103], v[102:103], v[104:105], v[106:107]
	v_div_fixup_f64 v[119:120], v[102:103], v[100:101], 1.0
	v_mul_f64 v[117:118], v[98:99], v[119:120]
	v_xor_b32_e32 v120, 0x80000000, v120
.LBB84_511:
	s_andn2_saveexec_b64 s[18:19], s[18:19]
	s_cbranch_execz .LBB84_513
; %bb.512:
	v_div_scale_f64 v[98:99], s[20:21], v[117:118], v[117:118], v[119:120]
	v_rcp_f64_e32 v[100:101], v[98:99]
	v_fma_f64 v[102:103], -v[98:99], v[100:101], 1.0
	v_fma_f64 v[100:101], v[100:101], v[102:103], v[100:101]
	v_div_scale_f64 v[102:103], vcc, v[119:120], v[117:118], v[119:120]
	v_fma_f64 v[104:105], -v[98:99], v[100:101], 1.0
	v_fma_f64 v[100:101], v[100:101], v[104:105], v[100:101]
	v_mul_f64 v[104:105], v[102:103], v[100:101]
	v_fma_f64 v[98:99], -v[98:99], v[104:105], v[102:103]
	v_div_fmas_f64 v[98:99], v[98:99], v[100:101], v[104:105]
	v_div_fixup_f64 v[98:99], v[98:99], v[117:118], v[119:120]
	v_fma_f64 v[100:101], v[119:120], v[98:99], v[117:118]
	v_div_scale_f64 v[102:103], s[20:21], v[100:101], v[100:101], 1.0
	v_div_scale_f64 v[108:109], vcc, 1.0, v[100:101], 1.0
	v_rcp_f64_e32 v[104:105], v[102:103]
	v_fma_f64 v[106:107], -v[102:103], v[104:105], 1.0
	v_fma_f64 v[104:105], v[104:105], v[106:107], v[104:105]
	v_fma_f64 v[106:107], -v[102:103], v[104:105], 1.0
	v_fma_f64 v[104:105], v[104:105], v[106:107], v[104:105]
	v_mul_f64 v[106:107], v[108:109], v[104:105]
	v_fma_f64 v[102:103], -v[102:103], v[106:107], v[108:109]
	v_div_fmas_f64 v[102:103], v[102:103], v[104:105], v[106:107]
	v_div_fixup_f64 v[117:118], v[102:103], v[100:101], 1.0
	v_mul_f64 v[119:120], v[98:99], -v[117:118]
.LBB84_513:
	s_or_b64 exec, exec, s[18:19]
.LBB84_514:
	s_or_b64 exec, exec, s[0:1]
	v_cmp_ne_u32_e32 vcc, v96, v97
	s_and_saveexec_b64 s[0:1], vcc
	s_xor_b64 s[0:1], exec, s[0:1]
	s_cbranch_execz .LBB84_520
; %bb.515:
	v_cmp_eq_u32_e32 vcc, 24, v96
	s_and_saveexec_b64 s[18:19], vcc
	s_cbranch_execz .LBB84_519
; %bb.516:
	v_cmp_ne_u32_e32 vcc, 24, v97
	s_xor_b64 s[20:21], s[6:7], -1
	s_and_b64 s[22:23], s[20:21], vcc
	s_and_saveexec_b64 s[20:21], s[22:23]
	s_cbranch_execz .LBB84_518
; %bb.517:
	buffer_load_dword v89, off, s[24:27], 0 offset:272 ; 4-byte Folded Reload
	buffer_load_dword v90, off, s[24:27], 0 offset:276 ; 4-byte Folded Reload
	v_ashrrev_i32_e32 v98, 31, v97
	v_lshlrev_b64 v[98:99], 2, v[97:98]
	s_waitcnt vmcnt(1)
	v_add_co_u32_e32 v98, vcc, v89, v98
	s_waitcnt vmcnt(0)
	v_addc_co_u32_e32 v99, vcc, v90, v99, vcc
	global_load_dword v0, v[98:99], off
	global_load_dword v96, v[89:90], off offset:96
	s_waitcnt vmcnt(1)
	global_store_dword v[89:90], v0, off offset:96
	buffer_load_dword v89, off, s[24:27], 0 offset:296 ; 4-byte Folded Reload
	s_nop 0
	buffer_load_dword v90, off, s[24:27], 0 offset:300 ; 4-byte Folded Reload
	buffer_load_dword v91, off, s[24:27], 0 offset:304 ; 4-byte Folded Reload
	;; [unrolled: 1-line block ×3, first 2 shown]
	s_waitcnt vmcnt(5)
	global_store_dword v[98:99], v96, off
.LBB84_518:
	s_or_b64 exec, exec, s[20:21]
	v_mov_b32_e32 v96, v97
	v_mov_b32_e32 v0, v97
.LBB84_519:
	s_or_b64 exec, exec, s[18:19]
.LBB84_520:
	s_andn2_saveexec_b64 s[0:1], s[0:1]
	s_cbranch_execz .LBB84_522
; %bb.521:
	v_mov_b32_e32 v96, 24
	ds_write2_b64 v94, v[65:66], v[67:68] offset0:50 offset1:51
	ds_write2_b64 v94, v[61:62], v[63:64] offset0:52 offset1:53
	;; [unrolled: 1-line block ×18, first 2 shown]
.LBB84_522:
	s_or_b64 exec, exec, s[0:1]
	v_cmp_lt_i32_e32 vcc, 24, v96
	s_waitcnt vmcnt(0) lgkmcnt(0)
	s_barrier
	s_and_saveexec_b64 s[0:1], vcc
	s_cbranch_execz .LBB84_524
; %bb.523:
	v_mul_f64 v[97:98], v[119:120], v[71:72]
	v_mul_f64 v[71:72], v[117:118], v[71:72]
	ds_read2_b64 v[99:102], v94 offset0:50 offset1:51
	v_fma_f64 v[97:98], v[117:118], v[69:70], -v[97:98]
	v_fma_f64 v[71:72], v[119:120], v[69:70], v[71:72]
	s_waitcnt lgkmcnt(0)
	v_mul_f64 v[69:70], v[101:102], v[71:72]
	v_fma_f64 v[69:70], v[99:100], v[97:98], -v[69:70]
	v_mul_f64 v[99:100], v[99:100], v[71:72]
	v_add_f64 v[65:66], v[65:66], -v[69:70]
	v_fma_f64 v[99:100], v[101:102], v[97:98], v[99:100]
	v_add_f64 v[67:68], v[67:68], -v[99:100]
	ds_read2_b64 v[99:102], v94 offset0:52 offset1:53
	s_waitcnt lgkmcnt(0)
	v_mul_f64 v[69:70], v[101:102], v[71:72]
	v_fma_f64 v[69:70], v[99:100], v[97:98], -v[69:70]
	v_mul_f64 v[99:100], v[99:100], v[71:72]
	v_add_f64 v[61:62], v[61:62], -v[69:70]
	v_fma_f64 v[99:100], v[101:102], v[97:98], v[99:100]
	v_add_f64 v[63:64], v[63:64], -v[99:100]
	ds_read2_b64 v[99:102], v94 offset0:54 offset1:55
	;; [unrolled: 8-line block ×17, first 2 shown]
	s_waitcnt lgkmcnt(0)
	v_mul_f64 v[69:70], v[101:102], v[71:72]
	v_fma_f64 v[69:70], v[99:100], v[97:98], -v[69:70]
	v_mul_f64 v[99:100], v[99:100], v[71:72]
	v_add_f64 v[121:122], v[121:122], -v[69:70]
	v_fma_f64 v[99:100], v[101:102], v[97:98], v[99:100]
	v_mov_b32_e32 v69, v97
	v_mov_b32_e32 v70, v98
	v_add_f64 v[123:124], v[123:124], -v[99:100]
.LBB84_524:
	s_or_b64 exec, exec, s[0:1]
	v_lshl_add_u32 v97, v96, 4, v94
	s_barrier
	ds_write2_b64 v97, v[65:66], v[67:68] offset1:1
	s_waitcnt lgkmcnt(0)
	s_barrier
	ds_read2_b64 v[117:120], v94 offset0:50 offset1:51
	s_cmp_lt_i32 s3, 27
	v_mov_b32_e32 v97, 25
	s_cbranch_scc1 .LBB84_527
; %bb.525:
	v_add_u32_e32 v98, 0x1a0, v94
	s_mov_b32 s0, 26
	v_mov_b32_e32 v97, 25
.LBB84_526:                             ; =>This Inner Loop Header: Depth=1
	s_waitcnt lgkmcnt(0)
	v_cmp_gt_f64_e32 vcc, 0, v[117:118]
	v_xor_b32_e32 v103, 0x80000000, v118
	ds_read2_b64 v[99:102], v98 offset1:1
	v_xor_b32_e32 v105, 0x80000000, v120
	v_add_u32_e32 v98, 16, v98
	s_waitcnt lgkmcnt(0)
	v_xor_b32_e32 v107, 0x80000000, v102
	v_cndmask_b32_e32 v104, v118, v103, vcc
	v_cmp_gt_f64_e32 vcc, 0, v[119:120]
	v_mov_b32_e32 v103, v117
	v_cndmask_b32_e32 v106, v120, v105, vcc
	v_cmp_gt_f64_e32 vcc, 0, v[99:100]
	v_mov_b32_e32 v105, v119
	v_add_f64 v[103:104], v[103:104], v[105:106]
	v_xor_b32_e32 v105, 0x80000000, v100
	v_cndmask_b32_e32 v106, v100, v105, vcc
	v_cmp_gt_f64_e32 vcc, 0, v[101:102]
	v_mov_b32_e32 v105, v99
	v_cndmask_b32_e32 v108, v102, v107, vcc
	v_mov_b32_e32 v107, v101
	v_add_f64 v[105:106], v[105:106], v[107:108]
	v_cmp_lt_f64_e32 vcc, v[103:104], v[105:106]
	v_cndmask_b32_e32 v117, v117, v99, vcc
	v_mov_b32_e32 v99, s0
	s_add_i32 s0, s0, 1
	v_cndmask_b32_e32 v118, v118, v100, vcc
	v_cndmask_b32_e32 v120, v120, v102, vcc
	;; [unrolled: 1-line block ×4, first 2 shown]
	s_cmp_lg_u32 s3, s0
	s_cbranch_scc1 .LBB84_526
.LBB84_527:
	s_waitcnt lgkmcnt(0)
	v_cmp_eq_f64_e32 vcc, 0, v[117:118]
	v_cmp_eq_f64_e64 s[0:1], 0, v[119:120]
	s_and_b64 s[0:1], vcc, s[0:1]
	s_and_saveexec_b64 s[18:19], s[0:1]
	s_xor_b64 s[0:1], exec, s[18:19]
; %bb.528:
	v_cmp_ne_u32_e32 vcc, 0, v95
	v_cndmask_b32_e32 v95, 26, v95, vcc
; %bb.529:
	s_andn2_saveexec_b64 s[0:1], s[0:1]
	s_cbranch_execz .LBB84_535
; %bb.530:
	v_cmp_ngt_f64_e64 s[18:19], |v[117:118]|, |v[119:120]|
	s_and_saveexec_b64 s[20:21], s[18:19]
	s_xor_b64 s[18:19], exec, s[20:21]
	s_cbranch_execz .LBB84_532
; %bb.531:
	v_div_scale_f64 v[98:99], s[20:21], v[119:120], v[119:120], v[117:118]
	v_rcp_f64_e32 v[100:101], v[98:99]
	v_fma_f64 v[102:103], -v[98:99], v[100:101], 1.0
	v_fma_f64 v[100:101], v[100:101], v[102:103], v[100:101]
	v_div_scale_f64 v[102:103], vcc, v[117:118], v[119:120], v[117:118]
	v_fma_f64 v[104:105], -v[98:99], v[100:101], 1.0
	v_fma_f64 v[100:101], v[100:101], v[104:105], v[100:101]
	v_mul_f64 v[104:105], v[102:103], v[100:101]
	v_fma_f64 v[98:99], -v[98:99], v[104:105], v[102:103]
	v_div_fmas_f64 v[98:99], v[98:99], v[100:101], v[104:105]
	v_div_fixup_f64 v[98:99], v[98:99], v[119:120], v[117:118]
	v_fma_f64 v[100:101], v[117:118], v[98:99], v[119:120]
	v_div_scale_f64 v[102:103], s[20:21], v[100:101], v[100:101], 1.0
	v_div_scale_f64 v[108:109], vcc, 1.0, v[100:101], 1.0
	v_rcp_f64_e32 v[104:105], v[102:103]
	v_fma_f64 v[106:107], -v[102:103], v[104:105], 1.0
	v_fma_f64 v[104:105], v[104:105], v[106:107], v[104:105]
	v_fma_f64 v[106:107], -v[102:103], v[104:105], 1.0
	v_fma_f64 v[104:105], v[104:105], v[106:107], v[104:105]
	v_mul_f64 v[106:107], v[108:109], v[104:105]
	v_fma_f64 v[102:103], -v[102:103], v[106:107], v[108:109]
	v_div_fmas_f64 v[102:103], v[102:103], v[104:105], v[106:107]
	v_div_fixup_f64 v[119:120], v[102:103], v[100:101], 1.0
	v_mul_f64 v[117:118], v[98:99], v[119:120]
	v_xor_b32_e32 v120, 0x80000000, v120
.LBB84_532:
	s_andn2_saveexec_b64 s[18:19], s[18:19]
	s_cbranch_execz .LBB84_534
; %bb.533:
	v_div_scale_f64 v[98:99], s[20:21], v[117:118], v[117:118], v[119:120]
	v_rcp_f64_e32 v[100:101], v[98:99]
	v_fma_f64 v[102:103], -v[98:99], v[100:101], 1.0
	v_fma_f64 v[100:101], v[100:101], v[102:103], v[100:101]
	v_div_scale_f64 v[102:103], vcc, v[119:120], v[117:118], v[119:120]
	v_fma_f64 v[104:105], -v[98:99], v[100:101], 1.0
	v_fma_f64 v[100:101], v[100:101], v[104:105], v[100:101]
	v_mul_f64 v[104:105], v[102:103], v[100:101]
	v_fma_f64 v[98:99], -v[98:99], v[104:105], v[102:103]
	v_div_fmas_f64 v[98:99], v[98:99], v[100:101], v[104:105]
	v_div_fixup_f64 v[98:99], v[98:99], v[117:118], v[119:120]
	v_fma_f64 v[100:101], v[119:120], v[98:99], v[117:118]
	v_div_scale_f64 v[102:103], s[20:21], v[100:101], v[100:101], 1.0
	v_div_scale_f64 v[108:109], vcc, 1.0, v[100:101], 1.0
	v_rcp_f64_e32 v[104:105], v[102:103]
	v_fma_f64 v[106:107], -v[102:103], v[104:105], 1.0
	v_fma_f64 v[104:105], v[104:105], v[106:107], v[104:105]
	v_fma_f64 v[106:107], -v[102:103], v[104:105], 1.0
	v_fma_f64 v[104:105], v[104:105], v[106:107], v[104:105]
	v_mul_f64 v[106:107], v[108:109], v[104:105]
	v_fma_f64 v[102:103], -v[102:103], v[106:107], v[108:109]
	v_div_fmas_f64 v[102:103], v[102:103], v[104:105], v[106:107]
	v_div_fixup_f64 v[117:118], v[102:103], v[100:101], 1.0
	v_mul_f64 v[119:120], v[98:99], -v[117:118]
.LBB84_534:
	s_or_b64 exec, exec, s[18:19]
.LBB84_535:
	s_or_b64 exec, exec, s[0:1]
	v_cmp_ne_u32_e32 vcc, v96, v97
	s_and_saveexec_b64 s[0:1], vcc
	s_xor_b64 s[0:1], exec, s[0:1]
	s_cbranch_execz .LBB84_541
; %bb.536:
	v_cmp_eq_u32_e32 vcc, 25, v96
	s_and_saveexec_b64 s[18:19], vcc
	s_cbranch_execz .LBB84_540
; %bb.537:
	v_cmp_ne_u32_e32 vcc, 25, v97
	s_xor_b64 s[20:21], s[6:7], -1
	s_and_b64 s[22:23], s[20:21], vcc
	s_and_saveexec_b64 s[20:21], s[22:23]
	s_cbranch_execz .LBB84_539
; %bb.538:
	buffer_load_dword v89, off, s[24:27], 0 offset:272 ; 4-byte Folded Reload
	buffer_load_dword v90, off, s[24:27], 0 offset:276 ; 4-byte Folded Reload
	v_ashrrev_i32_e32 v98, 31, v97
	v_lshlrev_b64 v[98:99], 2, v[97:98]
	s_waitcnt vmcnt(1)
	v_add_co_u32_e32 v98, vcc, v89, v98
	s_waitcnt vmcnt(0)
	v_addc_co_u32_e32 v99, vcc, v90, v99, vcc
	global_load_dword v0, v[98:99], off
	global_load_dword v96, v[89:90], off offset:100
	s_waitcnt vmcnt(1)
	global_store_dword v[89:90], v0, off offset:100
	buffer_load_dword v89, off, s[24:27], 0 offset:296 ; 4-byte Folded Reload
	s_nop 0
	buffer_load_dword v90, off, s[24:27], 0 offset:300 ; 4-byte Folded Reload
	buffer_load_dword v91, off, s[24:27], 0 offset:304 ; 4-byte Folded Reload
	;; [unrolled: 1-line block ×3, first 2 shown]
	s_waitcnt vmcnt(5)
	global_store_dword v[98:99], v96, off
.LBB84_539:
	s_or_b64 exec, exec, s[20:21]
	v_mov_b32_e32 v96, v97
	v_mov_b32_e32 v0, v97
.LBB84_540:
	s_or_b64 exec, exec, s[18:19]
.LBB84_541:
	s_andn2_saveexec_b64 s[0:1], s[0:1]
	s_cbranch_execz .LBB84_543
; %bb.542:
	v_mov_b32_e32 v96, 25
	ds_write2_b64 v94, v[61:62], v[63:64] offset0:52 offset1:53
	ds_write2_b64 v94, v[57:58], v[59:60] offset0:54 offset1:55
	;; [unrolled: 1-line block ×17, first 2 shown]
.LBB84_543:
	s_or_b64 exec, exec, s[0:1]
	v_cmp_lt_i32_e32 vcc, 25, v96
	s_waitcnt vmcnt(0) lgkmcnt(0)
	s_barrier
	s_and_saveexec_b64 s[0:1], vcc
	s_cbranch_execz .LBB84_545
; %bb.544:
	v_mul_f64 v[97:98], v[119:120], v[67:68]
	v_mul_f64 v[67:68], v[117:118], v[67:68]
	ds_read2_b64 v[99:102], v94 offset0:52 offset1:53
	v_fma_f64 v[97:98], v[117:118], v[65:66], -v[97:98]
	v_fma_f64 v[67:68], v[119:120], v[65:66], v[67:68]
	s_waitcnt lgkmcnt(0)
	v_mul_f64 v[65:66], v[101:102], v[67:68]
	v_fma_f64 v[65:66], v[99:100], v[97:98], -v[65:66]
	v_mul_f64 v[99:100], v[99:100], v[67:68]
	v_add_f64 v[61:62], v[61:62], -v[65:66]
	v_fma_f64 v[99:100], v[101:102], v[97:98], v[99:100]
	v_add_f64 v[63:64], v[63:64], -v[99:100]
	ds_read2_b64 v[99:102], v94 offset0:54 offset1:55
	s_waitcnt lgkmcnt(0)
	v_mul_f64 v[65:66], v[101:102], v[67:68]
	v_fma_f64 v[65:66], v[99:100], v[97:98], -v[65:66]
	v_mul_f64 v[99:100], v[99:100], v[67:68]
	v_add_f64 v[57:58], v[57:58], -v[65:66]
	v_fma_f64 v[99:100], v[101:102], v[97:98], v[99:100]
	v_add_f64 v[59:60], v[59:60], -v[99:100]
	ds_read2_b64 v[99:102], v94 offset0:56 offset1:57
	s_waitcnt lgkmcnt(0)
	v_mul_f64 v[65:66], v[101:102], v[67:68]
	v_fma_f64 v[65:66], v[99:100], v[97:98], -v[65:66]
	v_mul_f64 v[99:100], v[99:100], v[67:68]
	v_add_f64 v[53:54], v[53:54], -v[65:66]
	v_fma_f64 v[99:100], v[101:102], v[97:98], v[99:100]
	v_add_f64 v[55:56], v[55:56], -v[99:100]
	ds_read2_b64 v[99:102], v94 offset0:58 offset1:59
	s_waitcnt lgkmcnt(0)
	v_mul_f64 v[65:66], v[101:102], v[67:68]
	v_fma_f64 v[65:66], v[99:100], v[97:98], -v[65:66]
	v_mul_f64 v[99:100], v[99:100], v[67:68]
	v_add_f64 v[49:50], v[49:50], -v[65:66]
	v_fma_f64 v[99:100], v[101:102], v[97:98], v[99:100]
	v_add_f64 v[51:52], v[51:52], -v[99:100]
	ds_read2_b64 v[99:102], v94 offset0:60 offset1:61
	s_waitcnt lgkmcnt(0)
	v_mul_f64 v[65:66], v[101:102], v[67:68]
	v_fma_f64 v[65:66], v[99:100], v[97:98], -v[65:66]
	v_mul_f64 v[99:100], v[99:100], v[67:68]
	v_add_f64 v[45:46], v[45:46], -v[65:66]
	v_fma_f64 v[99:100], v[101:102], v[97:98], v[99:100]
	v_add_f64 v[47:48], v[47:48], -v[99:100]
	ds_read2_b64 v[99:102], v94 offset0:62 offset1:63
	s_waitcnt lgkmcnt(0)
	v_mul_f64 v[65:66], v[101:102], v[67:68]
	v_fma_f64 v[65:66], v[99:100], v[97:98], -v[65:66]
	v_mul_f64 v[99:100], v[99:100], v[67:68]
	v_add_f64 v[41:42], v[41:42], -v[65:66]
	v_fma_f64 v[99:100], v[101:102], v[97:98], v[99:100]
	v_add_f64 v[43:44], v[43:44], -v[99:100]
	ds_read2_b64 v[99:102], v94 offset0:64 offset1:65
	s_waitcnt lgkmcnt(0)
	v_mul_f64 v[65:66], v[101:102], v[67:68]
	v_fma_f64 v[65:66], v[99:100], v[97:98], -v[65:66]
	v_mul_f64 v[99:100], v[99:100], v[67:68]
	v_add_f64 v[37:38], v[37:38], -v[65:66]
	v_fma_f64 v[99:100], v[101:102], v[97:98], v[99:100]
	v_add_f64 v[39:40], v[39:40], -v[99:100]
	ds_read2_b64 v[99:102], v94 offset0:66 offset1:67
	s_waitcnt lgkmcnt(0)
	v_mul_f64 v[65:66], v[101:102], v[67:68]
	v_fma_f64 v[65:66], v[99:100], v[97:98], -v[65:66]
	v_mul_f64 v[99:100], v[99:100], v[67:68]
	v_add_f64 v[33:34], v[33:34], -v[65:66]
	v_fma_f64 v[99:100], v[101:102], v[97:98], v[99:100]
	v_add_f64 v[35:36], v[35:36], -v[99:100]
	ds_read2_b64 v[99:102], v94 offset0:68 offset1:69
	s_waitcnt lgkmcnt(0)
	v_mul_f64 v[65:66], v[101:102], v[67:68]
	v_fma_f64 v[65:66], v[99:100], v[97:98], -v[65:66]
	v_mul_f64 v[99:100], v[99:100], v[67:68]
	v_add_f64 v[29:30], v[29:30], -v[65:66]
	v_fma_f64 v[99:100], v[101:102], v[97:98], v[99:100]
	v_add_f64 v[31:32], v[31:32], -v[99:100]
	ds_read2_b64 v[99:102], v94 offset0:70 offset1:71
	s_waitcnt lgkmcnt(0)
	v_mul_f64 v[65:66], v[101:102], v[67:68]
	v_fma_f64 v[65:66], v[99:100], v[97:98], -v[65:66]
	v_mul_f64 v[99:100], v[99:100], v[67:68]
	v_add_f64 v[25:26], v[25:26], -v[65:66]
	v_fma_f64 v[99:100], v[101:102], v[97:98], v[99:100]
	v_add_f64 v[27:28], v[27:28], -v[99:100]
	ds_read2_b64 v[99:102], v94 offset0:72 offset1:73
	s_waitcnt lgkmcnt(0)
	v_mul_f64 v[65:66], v[101:102], v[67:68]
	v_fma_f64 v[65:66], v[99:100], v[97:98], -v[65:66]
	v_mul_f64 v[99:100], v[99:100], v[67:68]
	v_add_f64 v[21:22], v[21:22], -v[65:66]
	v_fma_f64 v[99:100], v[101:102], v[97:98], v[99:100]
	v_add_f64 v[23:24], v[23:24], -v[99:100]
	ds_read2_b64 v[99:102], v94 offset0:74 offset1:75
	s_waitcnt lgkmcnt(0)
	v_mul_f64 v[65:66], v[101:102], v[67:68]
	v_fma_f64 v[65:66], v[99:100], v[97:98], -v[65:66]
	v_mul_f64 v[99:100], v[99:100], v[67:68]
	v_add_f64 v[17:18], v[17:18], -v[65:66]
	v_fma_f64 v[99:100], v[101:102], v[97:98], v[99:100]
	v_add_f64 v[19:20], v[19:20], -v[99:100]
	ds_read2_b64 v[99:102], v94 offset0:76 offset1:77
	s_waitcnt lgkmcnt(0)
	v_mul_f64 v[65:66], v[101:102], v[67:68]
	v_fma_f64 v[65:66], v[99:100], v[97:98], -v[65:66]
	v_mul_f64 v[99:100], v[99:100], v[67:68]
	v_add_f64 v[13:14], v[13:14], -v[65:66]
	v_fma_f64 v[99:100], v[101:102], v[97:98], v[99:100]
	v_add_f64 v[15:16], v[15:16], -v[99:100]
	ds_read2_b64 v[99:102], v94 offset0:78 offset1:79
	s_waitcnt lgkmcnt(0)
	v_mul_f64 v[65:66], v[101:102], v[67:68]
	v_fma_f64 v[65:66], v[99:100], v[97:98], -v[65:66]
	v_mul_f64 v[99:100], v[99:100], v[67:68]
	v_add_f64 v[9:10], v[9:10], -v[65:66]
	v_fma_f64 v[99:100], v[101:102], v[97:98], v[99:100]
	v_add_f64 v[11:12], v[11:12], -v[99:100]
	ds_read2_b64 v[99:102], v94 offset0:80 offset1:81
	s_waitcnt lgkmcnt(0)
	v_mul_f64 v[65:66], v[101:102], v[67:68]
	v_fma_f64 v[65:66], v[99:100], v[97:98], -v[65:66]
	v_mul_f64 v[99:100], v[99:100], v[67:68]
	v_add_f64 v[5:6], v[5:6], -v[65:66]
	v_fma_f64 v[99:100], v[101:102], v[97:98], v[99:100]
	v_add_f64 v[7:8], v[7:8], -v[99:100]
	ds_read2_b64 v[99:102], v94 offset0:82 offset1:83
	s_waitcnt lgkmcnt(0)
	v_mul_f64 v[65:66], v[101:102], v[67:68]
	v_fma_f64 v[65:66], v[99:100], v[97:98], -v[65:66]
	v_mul_f64 v[99:100], v[99:100], v[67:68]
	v_add_f64 v[1:2], v[1:2], -v[65:66]
	v_fma_f64 v[99:100], v[101:102], v[97:98], v[99:100]
	v_add_f64 v[3:4], v[3:4], -v[99:100]
	ds_read2_b64 v[99:102], v94 offset0:84 offset1:85
	s_waitcnt lgkmcnt(0)
	v_mul_f64 v[65:66], v[101:102], v[67:68]
	v_fma_f64 v[65:66], v[99:100], v[97:98], -v[65:66]
	v_mul_f64 v[99:100], v[99:100], v[67:68]
	v_add_f64 v[121:122], v[121:122], -v[65:66]
	v_fma_f64 v[99:100], v[101:102], v[97:98], v[99:100]
	v_mov_b32_e32 v65, v97
	v_mov_b32_e32 v66, v98
	v_add_f64 v[123:124], v[123:124], -v[99:100]
.LBB84_545:
	s_or_b64 exec, exec, s[0:1]
	v_lshl_add_u32 v97, v96, 4, v94
	s_barrier
	ds_write2_b64 v97, v[61:62], v[63:64] offset1:1
	s_waitcnt lgkmcnt(0)
	s_barrier
	ds_read2_b64 v[117:120], v94 offset0:52 offset1:53
	s_cmp_lt_i32 s3, 28
	v_mov_b32_e32 v97, 26
	s_cbranch_scc1 .LBB84_548
; %bb.546:
	v_add_u32_e32 v98, 0x1b0, v94
	s_mov_b32 s0, 27
	v_mov_b32_e32 v97, 26
.LBB84_547:                             ; =>This Inner Loop Header: Depth=1
	s_waitcnt lgkmcnt(0)
	v_cmp_gt_f64_e32 vcc, 0, v[117:118]
	v_xor_b32_e32 v103, 0x80000000, v118
	ds_read2_b64 v[99:102], v98 offset1:1
	v_xor_b32_e32 v105, 0x80000000, v120
	v_add_u32_e32 v98, 16, v98
	s_waitcnt lgkmcnt(0)
	v_xor_b32_e32 v107, 0x80000000, v102
	v_cndmask_b32_e32 v104, v118, v103, vcc
	v_cmp_gt_f64_e32 vcc, 0, v[119:120]
	v_mov_b32_e32 v103, v117
	v_cndmask_b32_e32 v106, v120, v105, vcc
	v_cmp_gt_f64_e32 vcc, 0, v[99:100]
	v_mov_b32_e32 v105, v119
	v_add_f64 v[103:104], v[103:104], v[105:106]
	v_xor_b32_e32 v105, 0x80000000, v100
	v_cndmask_b32_e32 v106, v100, v105, vcc
	v_cmp_gt_f64_e32 vcc, 0, v[101:102]
	v_mov_b32_e32 v105, v99
	v_cndmask_b32_e32 v108, v102, v107, vcc
	v_mov_b32_e32 v107, v101
	v_add_f64 v[105:106], v[105:106], v[107:108]
	v_cmp_lt_f64_e32 vcc, v[103:104], v[105:106]
	v_cndmask_b32_e32 v117, v117, v99, vcc
	v_mov_b32_e32 v99, s0
	s_add_i32 s0, s0, 1
	v_cndmask_b32_e32 v118, v118, v100, vcc
	v_cndmask_b32_e32 v120, v120, v102, vcc
	;; [unrolled: 1-line block ×4, first 2 shown]
	s_cmp_lg_u32 s3, s0
	s_cbranch_scc1 .LBB84_547
.LBB84_548:
	s_waitcnt lgkmcnt(0)
	v_cmp_eq_f64_e32 vcc, 0, v[117:118]
	v_cmp_eq_f64_e64 s[0:1], 0, v[119:120]
	s_and_b64 s[0:1], vcc, s[0:1]
	s_and_saveexec_b64 s[18:19], s[0:1]
	s_xor_b64 s[0:1], exec, s[18:19]
; %bb.549:
	v_cmp_ne_u32_e32 vcc, 0, v95
	v_cndmask_b32_e32 v95, 27, v95, vcc
; %bb.550:
	s_andn2_saveexec_b64 s[0:1], s[0:1]
	s_cbranch_execz .LBB84_556
; %bb.551:
	v_cmp_ngt_f64_e64 s[18:19], |v[117:118]|, |v[119:120]|
	s_and_saveexec_b64 s[20:21], s[18:19]
	s_xor_b64 s[18:19], exec, s[20:21]
	s_cbranch_execz .LBB84_553
; %bb.552:
	v_div_scale_f64 v[98:99], s[20:21], v[119:120], v[119:120], v[117:118]
	v_rcp_f64_e32 v[100:101], v[98:99]
	v_fma_f64 v[102:103], -v[98:99], v[100:101], 1.0
	v_fma_f64 v[100:101], v[100:101], v[102:103], v[100:101]
	v_div_scale_f64 v[102:103], vcc, v[117:118], v[119:120], v[117:118]
	v_fma_f64 v[104:105], -v[98:99], v[100:101], 1.0
	v_fma_f64 v[100:101], v[100:101], v[104:105], v[100:101]
	v_mul_f64 v[104:105], v[102:103], v[100:101]
	v_fma_f64 v[98:99], -v[98:99], v[104:105], v[102:103]
	v_div_fmas_f64 v[98:99], v[98:99], v[100:101], v[104:105]
	v_div_fixup_f64 v[98:99], v[98:99], v[119:120], v[117:118]
	v_fma_f64 v[100:101], v[117:118], v[98:99], v[119:120]
	v_div_scale_f64 v[102:103], s[20:21], v[100:101], v[100:101], 1.0
	v_div_scale_f64 v[108:109], vcc, 1.0, v[100:101], 1.0
	v_rcp_f64_e32 v[104:105], v[102:103]
	v_fma_f64 v[106:107], -v[102:103], v[104:105], 1.0
	v_fma_f64 v[104:105], v[104:105], v[106:107], v[104:105]
	v_fma_f64 v[106:107], -v[102:103], v[104:105], 1.0
	v_fma_f64 v[104:105], v[104:105], v[106:107], v[104:105]
	v_mul_f64 v[106:107], v[108:109], v[104:105]
	v_fma_f64 v[102:103], -v[102:103], v[106:107], v[108:109]
	v_div_fmas_f64 v[102:103], v[102:103], v[104:105], v[106:107]
	v_div_fixup_f64 v[119:120], v[102:103], v[100:101], 1.0
	v_mul_f64 v[117:118], v[98:99], v[119:120]
	v_xor_b32_e32 v120, 0x80000000, v120
.LBB84_553:
	s_andn2_saveexec_b64 s[18:19], s[18:19]
	s_cbranch_execz .LBB84_555
; %bb.554:
	v_div_scale_f64 v[98:99], s[20:21], v[117:118], v[117:118], v[119:120]
	v_rcp_f64_e32 v[100:101], v[98:99]
	v_fma_f64 v[102:103], -v[98:99], v[100:101], 1.0
	v_fma_f64 v[100:101], v[100:101], v[102:103], v[100:101]
	v_div_scale_f64 v[102:103], vcc, v[119:120], v[117:118], v[119:120]
	v_fma_f64 v[104:105], -v[98:99], v[100:101], 1.0
	v_fma_f64 v[100:101], v[100:101], v[104:105], v[100:101]
	v_mul_f64 v[104:105], v[102:103], v[100:101]
	v_fma_f64 v[98:99], -v[98:99], v[104:105], v[102:103]
	v_div_fmas_f64 v[98:99], v[98:99], v[100:101], v[104:105]
	v_div_fixup_f64 v[98:99], v[98:99], v[117:118], v[119:120]
	v_fma_f64 v[100:101], v[119:120], v[98:99], v[117:118]
	v_div_scale_f64 v[102:103], s[20:21], v[100:101], v[100:101], 1.0
	v_div_scale_f64 v[108:109], vcc, 1.0, v[100:101], 1.0
	v_rcp_f64_e32 v[104:105], v[102:103]
	v_fma_f64 v[106:107], -v[102:103], v[104:105], 1.0
	v_fma_f64 v[104:105], v[104:105], v[106:107], v[104:105]
	v_fma_f64 v[106:107], -v[102:103], v[104:105], 1.0
	v_fma_f64 v[104:105], v[104:105], v[106:107], v[104:105]
	v_mul_f64 v[106:107], v[108:109], v[104:105]
	v_fma_f64 v[102:103], -v[102:103], v[106:107], v[108:109]
	v_div_fmas_f64 v[102:103], v[102:103], v[104:105], v[106:107]
	v_div_fixup_f64 v[117:118], v[102:103], v[100:101], 1.0
	v_mul_f64 v[119:120], v[98:99], -v[117:118]
.LBB84_555:
	s_or_b64 exec, exec, s[18:19]
.LBB84_556:
	s_or_b64 exec, exec, s[0:1]
	v_cmp_ne_u32_e32 vcc, v96, v97
	s_and_saveexec_b64 s[0:1], vcc
	s_xor_b64 s[0:1], exec, s[0:1]
	s_cbranch_execz .LBB84_562
; %bb.557:
	v_cmp_eq_u32_e32 vcc, 26, v96
	s_and_saveexec_b64 s[18:19], vcc
	s_cbranch_execz .LBB84_561
; %bb.558:
	v_cmp_ne_u32_e32 vcc, 26, v97
	s_xor_b64 s[20:21], s[6:7], -1
	s_and_b64 s[22:23], s[20:21], vcc
	s_and_saveexec_b64 s[20:21], s[22:23]
	s_cbranch_execz .LBB84_560
; %bb.559:
	buffer_load_dword v89, off, s[24:27], 0 offset:272 ; 4-byte Folded Reload
	buffer_load_dword v90, off, s[24:27], 0 offset:276 ; 4-byte Folded Reload
	v_ashrrev_i32_e32 v98, 31, v97
	v_lshlrev_b64 v[98:99], 2, v[97:98]
	s_waitcnt vmcnt(1)
	v_add_co_u32_e32 v98, vcc, v89, v98
	s_waitcnt vmcnt(0)
	v_addc_co_u32_e32 v99, vcc, v90, v99, vcc
	global_load_dword v0, v[98:99], off
	global_load_dword v96, v[89:90], off offset:104
	s_waitcnt vmcnt(1)
	global_store_dword v[89:90], v0, off offset:104
	buffer_load_dword v89, off, s[24:27], 0 offset:296 ; 4-byte Folded Reload
	s_nop 0
	buffer_load_dword v90, off, s[24:27], 0 offset:300 ; 4-byte Folded Reload
	buffer_load_dword v91, off, s[24:27], 0 offset:304 ; 4-byte Folded Reload
	;; [unrolled: 1-line block ×3, first 2 shown]
	s_waitcnt vmcnt(5)
	global_store_dword v[98:99], v96, off
.LBB84_560:
	s_or_b64 exec, exec, s[20:21]
	v_mov_b32_e32 v96, v97
	v_mov_b32_e32 v0, v97
.LBB84_561:
	s_or_b64 exec, exec, s[18:19]
.LBB84_562:
	s_andn2_saveexec_b64 s[0:1], s[0:1]
	s_cbranch_execz .LBB84_564
; %bb.563:
	v_mov_b32_e32 v96, 26
	ds_write2_b64 v94, v[57:58], v[59:60] offset0:54 offset1:55
	ds_write2_b64 v94, v[53:54], v[55:56] offset0:56 offset1:57
	;; [unrolled: 1-line block ×16, first 2 shown]
.LBB84_564:
	s_or_b64 exec, exec, s[0:1]
	v_cmp_lt_i32_e32 vcc, 26, v96
	s_waitcnt vmcnt(0) lgkmcnt(0)
	s_barrier
	s_and_saveexec_b64 s[0:1], vcc
	s_cbranch_execz .LBB84_566
; %bb.565:
	v_mul_f64 v[97:98], v[117:118], v[63:64]
	v_mul_f64 v[63:64], v[119:120], v[63:64]
	ds_read2_b64 v[99:102], v94 offset0:54 offset1:55
	v_fma_f64 v[97:98], v[119:120], v[61:62], v[97:98]
	v_fma_f64 v[61:62], v[117:118], v[61:62], -v[63:64]
	s_waitcnt lgkmcnt(0)
	v_mul_f64 v[63:64], v[101:102], v[97:98]
	v_fma_f64 v[63:64], v[99:100], v[61:62], -v[63:64]
	v_mul_f64 v[99:100], v[99:100], v[97:98]
	v_add_f64 v[57:58], v[57:58], -v[63:64]
	v_fma_f64 v[99:100], v[101:102], v[61:62], v[99:100]
	v_add_f64 v[59:60], v[59:60], -v[99:100]
	ds_read2_b64 v[99:102], v94 offset0:56 offset1:57
	s_waitcnt lgkmcnt(0)
	v_mul_f64 v[63:64], v[101:102], v[97:98]
	v_fma_f64 v[63:64], v[99:100], v[61:62], -v[63:64]
	v_mul_f64 v[99:100], v[99:100], v[97:98]
	v_add_f64 v[53:54], v[53:54], -v[63:64]
	v_fma_f64 v[99:100], v[101:102], v[61:62], v[99:100]
	v_add_f64 v[55:56], v[55:56], -v[99:100]
	ds_read2_b64 v[99:102], v94 offset0:58 offset1:59
	;; [unrolled: 8-line block ×15, first 2 shown]
	s_waitcnt lgkmcnt(0)
	v_mul_f64 v[63:64], v[101:102], v[97:98]
	v_fma_f64 v[63:64], v[99:100], v[61:62], -v[63:64]
	v_mul_f64 v[99:100], v[99:100], v[97:98]
	v_add_f64 v[121:122], v[121:122], -v[63:64]
	v_fma_f64 v[99:100], v[101:102], v[61:62], v[99:100]
	v_mov_b32_e32 v63, v97
	v_mov_b32_e32 v64, v98
	v_add_f64 v[123:124], v[123:124], -v[99:100]
.LBB84_566:
	s_or_b64 exec, exec, s[0:1]
	v_lshl_add_u32 v97, v96, 4, v94
	s_barrier
	ds_write2_b64 v97, v[57:58], v[59:60] offset1:1
	s_waitcnt lgkmcnt(0)
	s_barrier
	ds_read2_b64 v[117:120], v94 offset0:54 offset1:55
	s_cmp_lt_i32 s3, 29
	v_mov_b32_e32 v97, 27
	s_cbranch_scc1 .LBB84_569
; %bb.567:
	v_add_u32_e32 v98, 0x1c0, v94
	s_mov_b32 s0, 28
	v_mov_b32_e32 v97, 27
.LBB84_568:                             ; =>This Inner Loop Header: Depth=1
	s_waitcnt lgkmcnt(0)
	v_cmp_gt_f64_e32 vcc, 0, v[117:118]
	v_xor_b32_e32 v103, 0x80000000, v118
	ds_read2_b64 v[99:102], v98 offset1:1
	v_xor_b32_e32 v105, 0x80000000, v120
	v_add_u32_e32 v98, 16, v98
	s_waitcnt lgkmcnt(0)
	v_xor_b32_e32 v107, 0x80000000, v102
	v_cndmask_b32_e32 v104, v118, v103, vcc
	v_cmp_gt_f64_e32 vcc, 0, v[119:120]
	v_mov_b32_e32 v103, v117
	v_cndmask_b32_e32 v106, v120, v105, vcc
	v_cmp_gt_f64_e32 vcc, 0, v[99:100]
	v_mov_b32_e32 v105, v119
	v_add_f64 v[103:104], v[103:104], v[105:106]
	v_xor_b32_e32 v105, 0x80000000, v100
	v_cndmask_b32_e32 v106, v100, v105, vcc
	v_cmp_gt_f64_e32 vcc, 0, v[101:102]
	v_mov_b32_e32 v105, v99
	v_cndmask_b32_e32 v108, v102, v107, vcc
	v_mov_b32_e32 v107, v101
	v_add_f64 v[105:106], v[105:106], v[107:108]
	v_cmp_lt_f64_e32 vcc, v[103:104], v[105:106]
	v_cndmask_b32_e32 v117, v117, v99, vcc
	v_mov_b32_e32 v99, s0
	s_add_i32 s0, s0, 1
	v_cndmask_b32_e32 v118, v118, v100, vcc
	v_cndmask_b32_e32 v120, v120, v102, vcc
	v_cndmask_b32_e32 v119, v119, v101, vcc
	v_cndmask_b32_e32 v97, v97, v99, vcc
	s_cmp_lg_u32 s3, s0
	s_cbranch_scc1 .LBB84_568
.LBB84_569:
	s_waitcnt lgkmcnt(0)
	v_cmp_eq_f64_e32 vcc, 0, v[117:118]
	v_cmp_eq_f64_e64 s[0:1], 0, v[119:120]
	s_and_b64 s[0:1], vcc, s[0:1]
	s_and_saveexec_b64 s[18:19], s[0:1]
	s_xor_b64 s[0:1], exec, s[18:19]
; %bb.570:
	v_cmp_ne_u32_e32 vcc, 0, v95
	v_cndmask_b32_e32 v95, 28, v95, vcc
; %bb.571:
	s_andn2_saveexec_b64 s[0:1], s[0:1]
	s_cbranch_execz .LBB84_577
; %bb.572:
	v_cmp_ngt_f64_e64 s[18:19], |v[117:118]|, |v[119:120]|
	s_and_saveexec_b64 s[20:21], s[18:19]
	s_xor_b64 s[18:19], exec, s[20:21]
	s_cbranch_execz .LBB84_574
; %bb.573:
	v_div_scale_f64 v[98:99], s[20:21], v[119:120], v[119:120], v[117:118]
	v_rcp_f64_e32 v[100:101], v[98:99]
	v_fma_f64 v[102:103], -v[98:99], v[100:101], 1.0
	v_fma_f64 v[100:101], v[100:101], v[102:103], v[100:101]
	v_div_scale_f64 v[102:103], vcc, v[117:118], v[119:120], v[117:118]
	v_fma_f64 v[104:105], -v[98:99], v[100:101], 1.0
	v_fma_f64 v[100:101], v[100:101], v[104:105], v[100:101]
	v_mul_f64 v[104:105], v[102:103], v[100:101]
	v_fma_f64 v[98:99], -v[98:99], v[104:105], v[102:103]
	v_div_fmas_f64 v[98:99], v[98:99], v[100:101], v[104:105]
	v_div_fixup_f64 v[98:99], v[98:99], v[119:120], v[117:118]
	v_fma_f64 v[100:101], v[117:118], v[98:99], v[119:120]
	v_div_scale_f64 v[102:103], s[20:21], v[100:101], v[100:101], 1.0
	v_div_scale_f64 v[108:109], vcc, 1.0, v[100:101], 1.0
	v_rcp_f64_e32 v[104:105], v[102:103]
	v_fma_f64 v[106:107], -v[102:103], v[104:105], 1.0
	v_fma_f64 v[104:105], v[104:105], v[106:107], v[104:105]
	v_fma_f64 v[106:107], -v[102:103], v[104:105], 1.0
	v_fma_f64 v[104:105], v[104:105], v[106:107], v[104:105]
	v_mul_f64 v[106:107], v[108:109], v[104:105]
	v_fma_f64 v[102:103], -v[102:103], v[106:107], v[108:109]
	v_div_fmas_f64 v[102:103], v[102:103], v[104:105], v[106:107]
	v_div_fixup_f64 v[119:120], v[102:103], v[100:101], 1.0
	v_mul_f64 v[117:118], v[98:99], v[119:120]
	v_xor_b32_e32 v120, 0x80000000, v120
.LBB84_574:
	s_andn2_saveexec_b64 s[18:19], s[18:19]
	s_cbranch_execz .LBB84_576
; %bb.575:
	v_div_scale_f64 v[98:99], s[20:21], v[117:118], v[117:118], v[119:120]
	v_rcp_f64_e32 v[100:101], v[98:99]
	v_fma_f64 v[102:103], -v[98:99], v[100:101], 1.0
	v_fma_f64 v[100:101], v[100:101], v[102:103], v[100:101]
	v_div_scale_f64 v[102:103], vcc, v[119:120], v[117:118], v[119:120]
	v_fma_f64 v[104:105], -v[98:99], v[100:101], 1.0
	v_fma_f64 v[100:101], v[100:101], v[104:105], v[100:101]
	v_mul_f64 v[104:105], v[102:103], v[100:101]
	v_fma_f64 v[98:99], -v[98:99], v[104:105], v[102:103]
	v_div_fmas_f64 v[98:99], v[98:99], v[100:101], v[104:105]
	v_div_fixup_f64 v[98:99], v[98:99], v[117:118], v[119:120]
	v_fma_f64 v[100:101], v[119:120], v[98:99], v[117:118]
	v_div_scale_f64 v[102:103], s[20:21], v[100:101], v[100:101], 1.0
	v_div_scale_f64 v[108:109], vcc, 1.0, v[100:101], 1.0
	v_rcp_f64_e32 v[104:105], v[102:103]
	v_fma_f64 v[106:107], -v[102:103], v[104:105], 1.0
	v_fma_f64 v[104:105], v[104:105], v[106:107], v[104:105]
	v_fma_f64 v[106:107], -v[102:103], v[104:105], 1.0
	v_fma_f64 v[104:105], v[104:105], v[106:107], v[104:105]
	v_mul_f64 v[106:107], v[108:109], v[104:105]
	v_fma_f64 v[102:103], -v[102:103], v[106:107], v[108:109]
	v_div_fmas_f64 v[102:103], v[102:103], v[104:105], v[106:107]
	v_div_fixup_f64 v[117:118], v[102:103], v[100:101], 1.0
	v_mul_f64 v[119:120], v[98:99], -v[117:118]
.LBB84_576:
	s_or_b64 exec, exec, s[18:19]
.LBB84_577:
	s_or_b64 exec, exec, s[0:1]
	v_cmp_ne_u32_e32 vcc, v96, v97
	s_and_saveexec_b64 s[0:1], vcc
	s_xor_b64 s[0:1], exec, s[0:1]
	s_cbranch_execz .LBB84_583
; %bb.578:
	v_cmp_eq_u32_e32 vcc, 27, v96
	s_and_saveexec_b64 s[18:19], vcc
	s_cbranch_execz .LBB84_582
; %bb.579:
	v_cmp_ne_u32_e32 vcc, 27, v97
	s_xor_b64 s[20:21], s[6:7], -1
	s_and_b64 s[22:23], s[20:21], vcc
	s_and_saveexec_b64 s[20:21], s[22:23]
	s_cbranch_execz .LBB84_581
; %bb.580:
	buffer_load_dword v89, off, s[24:27], 0 offset:272 ; 4-byte Folded Reload
	buffer_load_dword v90, off, s[24:27], 0 offset:276 ; 4-byte Folded Reload
	v_ashrrev_i32_e32 v98, 31, v97
	v_lshlrev_b64 v[98:99], 2, v[97:98]
	s_waitcnt vmcnt(1)
	v_add_co_u32_e32 v98, vcc, v89, v98
	s_waitcnt vmcnt(0)
	v_addc_co_u32_e32 v99, vcc, v90, v99, vcc
	global_load_dword v0, v[98:99], off
	global_load_dword v96, v[89:90], off offset:108
	s_waitcnt vmcnt(1)
	global_store_dword v[89:90], v0, off offset:108
	buffer_load_dword v89, off, s[24:27], 0 offset:296 ; 4-byte Folded Reload
	s_nop 0
	buffer_load_dword v90, off, s[24:27], 0 offset:300 ; 4-byte Folded Reload
	buffer_load_dword v91, off, s[24:27], 0 offset:304 ; 4-byte Folded Reload
	;; [unrolled: 1-line block ×3, first 2 shown]
	s_waitcnt vmcnt(5)
	global_store_dword v[98:99], v96, off
.LBB84_581:
	s_or_b64 exec, exec, s[20:21]
	v_mov_b32_e32 v96, v97
	v_mov_b32_e32 v0, v97
.LBB84_582:
	s_or_b64 exec, exec, s[18:19]
.LBB84_583:
	s_andn2_saveexec_b64 s[0:1], s[0:1]
	s_cbranch_execz .LBB84_585
; %bb.584:
	v_mov_b32_e32 v96, 27
	ds_write2_b64 v94, v[53:54], v[55:56] offset0:56 offset1:57
	ds_write2_b64 v94, v[49:50], v[51:52] offset0:58 offset1:59
	;; [unrolled: 1-line block ×15, first 2 shown]
.LBB84_585:
	s_or_b64 exec, exec, s[0:1]
	v_cmp_lt_i32_e32 vcc, 27, v96
	s_waitcnt vmcnt(0) lgkmcnt(0)
	s_barrier
	s_and_saveexec_b64 s[0:1], vcc
	s_cbranch_execz .LBB84_587
; %bb.586:
	v_mul_f64 v[97:98], v[117:118], v[59:60]
	v_mul_f64 v[59:60], v[119:120], v[59:60]
	ds_read2_b64 v[99:102], v94 offset0:56 offset1:57
	v_fma_f64 v[97:98], v[119:120], v[57:58], v[97:98]
	v_fma_f64 v[57:58], v[117:118], v[57:58], -v[59:60]
	s_waitcnt lgkmcnt(0)
	v_mul_f64 v[59:60], v[101:102], v[97:98]
	v_fma_f64 v[59:60], v[99:100], v[57:58], -v[59:60]
	v_mul_f64 v[99:100], v[99:100], v[97:98]
	v_add_f64 v[53:54], v[53:54], -v[59:60]
	v_fma_f64 v[99:100], v[101:102], v[57:58], v[99:100]
	v_add_f64 v[55:56], v[55:56], -v[99:100]
	ds_read2_b64 v[99:102], v94 offset0:58 offset1:59
	s_waitcnt lgkmcnt(0)
	v_mul_f64 v[59:60], v[101:102], v[97:98]
	v_fma_f64 v[59:60], v[99:100], v[57:58], -v[59:60]
	v_mul_f64 v[99:100], v[99:100], v[97:98]
	v_add_f64 v[49:50], v[49:50], -v[59:60]
	v_fma_f64 v[99:100], v[101:102], v[57:58], v[99:100]
	v_add_f64 v[51:52], v[51:52], -v[99:100]
	ds_read2_b64 v[99:102], v94 offset0:60 offset1:61
	;; [unrolled: 8-line block ×14, first 2 shown]
	s_waitcnt lgkmcnt(0)
	v_mul_f64 v[59:60], v[101:102], v[97:98]
	v_fma_f64 v[59:60], v[99:100], v[57:58], -v[59:60]
	v_mul_f64 v[99:100], v[99:100], v[97:98]
	v_add_f64 v[121:122], v[121:122], -v[59:60]
	v_fma_f64 v[99:100], v[101:102], v[57:58], v[99:100]
	v_mov_b32_e32 v59, v97
	v_mov_b32_e32 v60, v98
	v_add_f64 v[123:124], v[123:124], -v[99:100]
.LBB84_587:
	s_or_b64 exec, exec, s[0:1]
	v_lshl_add_u32 v97, v96, 4, v94
	s_barrier
	ds_write2_b64 v97, v[53:54], v[55:56] offset1:1
	s_waitcnt lgkmcnt(0)
	s_barrier
	ds_read2_b64 v[117:120], v94 offset0:56 offset1:57
	s_cmp_lt_i32 s3, 30
	v_mov_b32_e32 v97, 28
	s_cbranch_scc1 .LBB84_590
; %bb.588:
	v_add_u32_e32 v98, 0x1d0, v94
	s_mov_b32 s0, 29
	v_mov_b32_e32 v97, 28
.LBB84_589:                             ; =>This Inner Loop Header: Depth=1
	s_waitcnt lgkmcnt(0)
	v_cmp_gt_f64_e32 vcc, 0, v[117:118]
	v_xor_b32_e32 v103, 0x80000000, v118
	ds_read2_b64 v[99:102], v98 offset1:1
	v_xor_b32_e32 v105, 0x80000000, v120
	v_add_u32_e32 v98, 16, v98
	s_waitcnt lgkmcnt(0)
	v_xor_b32_e32 v107, 0x80000000, v102
	v_cndmask_b32_e32 v104, v118, v103, vcc
	v_cmp_gt_f64_e32 vcc, 0, v[119:120]
	v_mov_b32_e32 v103, v117
	v_cndmask_b32_e32 v106, v120, v105, vcc
	v_cmp_gt_f64_e32 vcc, 0, v[99:100]
	v_mov_b32_e32 v105, v119
	v_add_f64 v[103:104], v[103:104], v[105:106]
	v_xor_b32_e32 v105, 0x80000000, v100
	v_cndmask_b32_e32 v106, v100, v105, vcc
	v_cmp_gt_f64_e32 vcc, 0, v[101:102]
	v_mov_b32_e32 v105, v99
	v_cndmask_b32_e32 v108, v102, v107, vcc
	v_mov_b32_e32 v107, v101
	v_add_f64 v[105:106], v[105:106], v[107:108]
	v_cmp_lt_f64_e32 vcc, v[103:104], v[105:106]
	v_cndmask_b32_e32 v117, v117, v99, vcc
	v_mov_b32_e32 v99, s0
	s_add_i32 s0, s0, 1
	v_cndmask_b32_e32 v118, v118, v100, vcc
	v_cndmask_b32_e32 v120, v120, v102, vcc
	;; [unrolled: 1-line block ×4, first 2 shown]
	s_cmp_lg_u32 s3, s0
	s_cbranch_scc1 .LBB84_589
.LBB84_590:
	s_waitcnt lgkmcnt(0)
	v_cmp_eq_f64_e32 vcc, 0, v[117:118]
	v_cmp_eq_f64_e64 s[0:1], 0, v[119:120]
	s_and_b64 s[0:1], vcc, s[0:1]
	s_and_saveexec_b64 s[18:19], s[0:1]
	s_xor_b64 s[0:1], exec, s[18:19]
; %bb.591:
	v_cmp_ne_u32_e32 vcc, 0, v95
	v_cndmask_b32_e32 v95, 29, v95, vcc
; %bb.592:
	s_andn2_saveexec_b64 s[0:1], s[0:1]
	s_cbranch_execz .LBB84_598
; %bb.593:
	v_cmp_ngt_f64_e64 s[18:19], |v[117:118]|, |v[119:120]|
	s_and_saveexec_b64 s[20:21], s[18:19]
	s_xor_b64 s[18:19], exec, s[20:21]
	s_cbranch_execz .LBB84_595
; %bb.594:
	v_div_scale_f64 v[98:99], s[20:21], v[119:120], v[119:120], v[117:118]
	v_rcp_f64_e32 v[100:101], v[98:99]
	v_fma_f64 v[102:103], -v[98:99], v[100:101], 1.0
	v_fma_f64 v[100:101], v[100:101], v[102:103], v[100:101]
	v_div_scale_f64 v[102:103], vcc, v[117:118], v[119:120], v[117:118]
	v_fma_f64 v[104:105], -v[98:99], v[100:101], 1.0
	v_fma_f64 v[100:101], v[100:101], v[104:105], v[100:101]
	v_mul_f64 v[104:105], v[102:103], v[100:101]
	v_fma_f64 v[98:99], -v[98:99], v[104:105], v[102:103]
	v_div_fmas_f64 v[98:99], v[98:99], v[100:101], v[104:105]
	v_div_fixup_f64 v[98:99], v[98:99], v[119:120], v[117:118]
	v_fma_f64 v[100:101], v[117:118], v[98:99], v[119:120]
	v_div_scale_f64 v[102:103], s[20:21], v[100:101], v[100:101], 1.0
	v_div_scale_f64 v[108:109], vcc, 1.0, v[100:101], 1.0
	v_rcp_f64_e32 v[104:105], v[102:103]
	v_fma_f64 v[106:107], -v[102:103], v[104:105], 1.0
	v_fma_f64 v[104:105], v[104:105], v[106:107], v[104:105]
	v_fma_f64 v[106:107], -v[102:103], v[104:105], 1.0
	v_fma_f64 v[104:105], v[104:105], v[106:107], v[104:105]
	v_mul_f64 v[106:107], v[108:109], v[104:105]
	v_fma_f64 v[102:103], -v[102:103], v[106:107], v[108:109]
	v_div_fmas_f64 v[102:103], v[102:103], v[104:105], v[106:107]
	v_div_fixup_f64 v[119:120], v[102:103], v[100:101], 1.0
	v_mul_f64 v[117:118], v[98:99], v[119:120]
	v_xor_b32_e32 v120, 0x80000000, v120
.LBB84_595:
	s_andn2_saveexec_b64 s[18:19], s[18:19]
	s_cbranch_execz .LBB84_597
; %bb.596:
	v_div_scale_f64 v[98:99], s[20:21], v[117:118], v[117:118], v[119:120]
	v_rcp_f64_e32 v[100:101], v[98:99]
	v_fma_f64 v[102:103], -v[98:99], v[100:101], 1.0
	v_fma_f64 v[100:101], v[100:101], v[102:103], v[100:101]
	v_div_scale_f64 v[102:103], vcc, v[119:120], v[117:118], v[119:120]
	v_fma_f64 v[104:105], -v[98:99], v[100:101], 1.0
	v_fma_f64 v[100:101], v[100:101], v[104:105], v[100:101]
	v_mul_f64 v[104:105], v[102:103], v[100:101]
	v_fma_f64 v[98:99], -v[98:99], v[104:105], v[102:103]
	v_div_fmas_f64 v[98:99], v[98:99], v[100:101], v[104:105]
	v_div_fixup_f64 v[98:99], v[98:99], v[117:118], v[119:120]
	v_fma_f64 v[100:101], v[119:120], v[98:99], v[117:118]
	v_div_scale_f64 v[102:103], s[20:21], v[100:101], v[100:101], 1.0
	v_div_scale_f64 v[108:109], vcc, 1.0, v[100:101], 1.0
	v_rcp_f64_e32 v[104:105], v[102:103]
	v_fma_f64 v[106:107], -v[102:103], v[104:105], 1.0
	v_fma_f64 v[104:105], v[104:105], v[106:107], v[104:105]
	v_fma_f64 v[106:107], -v[102:103], v[104:105], 1.0
	v_fma_f64 v[104:105], v[104:105], v[106:107], v[104:105]
	v_mul_f64 v[106:107], v[108:109], v[104:105]
	v_fma_f64 v[102:103], -v[102:103], v[106:107], v[108:109]
	v_div_fmas_f64 v[102:103], v[102:103], v[104:105], v[106:107]
	v_div_fixup_f64 v[117:118], v[102:103], v[100:101], 1.0
	v_mul_f64 v[119:120], v[98:99], -v[117:118]
.LBB84_597:
	s_or_b64 exec, exec, s[18:19]
.LBB84_598:
	s_or_b64 exec, exec, s[0:1]
	v_cmp_ne_u32_e32 vcc, v96, v97
	s_and_saveexec_b64 s[0:1], vcc
	s_xor_b64 s[0:1], exec, s[0:1]
	s_cbranch_execz .LBB84_604
; %bb.599:
	v_cmp_eq_u32_e32 vcc, 28, v96
	s_and_saveexec_b64 s[18:19], vcc
	s_cbranch_execz .LBB84_603
; %bb.600:
	v_cmp_ne_u32_e32 vcc, 28, v97
	s_xor_b64 s[20:21], s[6:7], -1
	s_and_b64 s[22:23], s[20:21], vcc
	s_and_saveexec_b64 s[20:21], s[22:23]
	s_cbranch_execz .LBB84_602
; %bb.601:
	buffer_load_dword v89, off, s[24:27], 0 offset:272 ; 4-byte Folded Reload
	buffer_load_dword v90, off, s[24:27], 0 offset:276 ; 4-byte Folded Reload
	v_ashrrev_i32_e32 v98, 31, v97
	v_lshlrev_b64 v[98:99], 2, v[97:98]
	s_waitcnt vmcnt(1)
	v_add_co_u32_e32 v98, vcc, v89, v98
	s_waitcnt vmcnt(0)
	v_addc_co_u32_e32 v99, vcc, v90, v99, vcc
	global_load_dword v0, v[98:99], off
	global_load_dword v96, v[89:90], off offset:112
	s_waitcnt vmcnt(1)
	global_store_dword v[89:90], v0, off offset:112
	buffer_load_dword v89, off, s[24:27], 0 offset:296 ; 4-byte Folded Reload
	s_nop 0
	buffer_load_dword v90, off, s[24:27], 0 offset:300 ; 4-byte Folded Reload
	buffer_load_dword v91, off, s[24:27], 0 offset:304 ; 4-byte Folded Reload
	buffer_load_dword v92, off, s[24:27], 0 offset:308 ; 4-byte Folded Reload
	s_waitcnt vmcnt(5)
	global_store_dword v[98:99], v96, off
.LBB84_602:
	s_or_b64 exec, exec, s[20:21]
	v_mov_b32_e32 v96, v97
	v_mov_b32_e32 v0, v97
.LBB84_603:
	s_or_b64 exec, exec, s[18:19]
.LBB84_604:
	s_andn2_saveexec_b64 s[0:1], s[0:1]
	s_cbranch_execz .LBB84_606
; %bb.605:
	v_mov_b32_e32 v96, 28
	ds_write2_b64 v94, v[49:50], v[51:52] offset0:58 offset1:59
	ds_write2_b64 v94, v[45:46], v[47:48] offset0:60 offset1:61
	;; [unrolled: 1-line block ×14, first 2 shown]
.LBB84_606:
	s_or_b64 exec, exec, s[0:1]
	v_cmp_lt_i32_e32 vcc, 28, v96
	s_waitcnt vmcnt(0) lgkmcnt(0)
	s_barrier
	s_and_saveexec_b64 s[0:1], vcc
	s_cbranch_execz .LBB84_608
; %bb.607:
	v_mul_f64 v[97:98], v[117:118], v[55:56]
	v_mul_f64 v[55:56], v[119:120], v[55:56]
	ds_read2_b64 v[99:102], v94 offset0:58 offset1:59
	v_fma_f64 v[97:98], v[119:120], v[53:54], v[97:98]
	v_fma_f64 v[53:54], v[117:118], v[53:54], -v[55:56]
	s_waitcnt lgkmcnt(0)
	v_mul_f64 v[55:56], v[101:102], v[97:98]
	v_fma_f64 v[55:56], v[99:100], v[53:54], -v[55:56]
	v_mul_f64 v[99:100], v[99:100], v[97:98]
	v_add_f64 v[49:50], v[49:50], -v[55:56]
	v_fma_f64 v[99:100], v[101:102], v[53:54], v[99:100]
	v_add_f64 v[51:52], v[51:52], -v[99:100]
	ds_read2_b64 v[99:102], v94 offset0:60 offset1:61
	s_waitcnt lgkmcnt(0)
	v_mul_f64 v[55:56], v[101:102], v[97:98]
	v_fma_f64 v[55:56], v[99:100], v[53:54], -v[55:56]
	v_mul_f64 v[99:100], v[99:100], v[97:98]
	v_add_f64 v[45:46], v[45:46], -v[55:56]
	v_fma_f64 v[99:100], v[101:102], v[53:54], v[99:100]
	v_add_f64 v[47:48], v[47:48], -v[99:100]
	ds_read2_b64 v[99:102], v94 offset0:62 offset1:63
	;; [unrolled: 8-line block ×13, first 2 shown]
	s_waitcnt lgkmcnt(0)
	v_mul_f64 v[55:56], v[101:102], v[97:98]
	v_fma_f64 v[55:56], v[99:100], v[53:54], -v[55:56]
	v_mul_f64 v[99:100], v[99:100], v[97:98]
	v_add_f64 v[121:122], v[121:122], -v[55:56]
	v_fma_f64 v[99:100], v[101:102], v[53:54], v[99:100]
	v_mov_b32_e32 v55, v97
	v_mov_b32_e32 v56, v98
	v_add_f64 v[123:124], v[123:124], -v[99:100]
.LBB84_608:
	s_or_b64 exec, exec, s[0:1]
	v_lshl_add_u32 v97, v96, 4, v94
	s_barrier
	ds_write2_b64 v97, v[49:50], v[51:52] offset1:1
	s_waitcnt lgkmcnt(0)
	s_barrier
	ds_read2_b64 v[117:120], v94 offset0:58 offset1:59
	s_cmp_lt_i32 s3, 31
	v_mov_b32_e32 v97, 29
	s_cbranch_scc1 .LBB84_611
; %bb.609:
	v_add_u32_e32 v98, 0x1e0, v94
	s_mov_b32 s0, 30
	v_mov_b32_e32 v97, 29
.LBB84_610:                             ; =>This Inner Loop Header: Depth=1
	s_waitcnt lgkmcnt(0)
	v_cmp_gt_f64_e32 vcc, 0, v[117:118]
	v_xor_b32_e32 v103, 0x80000000, v118
	ds_read2_b64 v[99:102], v98 offset1:1
	v_xor_b32_e32 v105, 0x80000000, v120
	v_add_u32_e32 v98, 16, v98
	s_waitcnt lgkmcnt(0)
	v_xor_b32_e32 v107, 0x80000000, v102
	v_cndmask_b32_e32 v104, v118, v103, vcc
	v_cmp_gt_f64_e32 vcc, 0, v[119:120]
	v_mov_b32_e32 v103, v117
	v_cndmask_b32_e32 v106, v120, v105, vcc
	v_cmp_gt_f64_e32 vcc, 0, v[99:100]
	v_mov_b32_e32 v105, v119
	v_add_f64 v[103:104], v[103:104], v[105:106]
	v_xor_b32_e32 v105, 0x80000000, v100
	v_cndmask_b32_e32 v106, v100, v105, vcc
	v_cmp_gt_f64_e32 vcc, 0, v[101:102]
	v_mov_b32_e32 v105, v99
	v_cndmask_b32_e32 v108, v102, v107, vcc
	v_mov_b32_e32 v107, v101
	v_add_f64 v[105:106], v[105:106], v[107:108]
	v_cmp_lt_f64_e32 vcc, v[103:104], v[105:106]
	v_cndmask_b32_e32 v117, v117, v99, vcc
	v_mov_b32_e32 v99, s0
	s_add_i32 s0, s0, 1
	v_cndmask_b32_e32 v118, v118, v100, vcc
	v_cndmask_b32_e32 v120, v120, v102, vcc
	;; [unrolled: 1-line block ×4, first 2 shown]
	s_cmp_lg_u32 s3, s0
	s_cbranch_scc1 .LBB84_610
.LBB84_611:
	s_waitcnt lgkmcnt(0)
	v_cmp_eq_f64_e32 vcc, 0, v[117:118]
	v_cmp_eq_f64_e64 s[0:1], 0, v[119:120]
	s_and_b64 s[0:1], vcc, s[0:1]
	s_and_saveexec_b64 s[18:19], s[0:1]
	s_xor_b64 s[0:1], exec, s[18:19]
; %bb.612:
	v_cmp_ne_u32_e32 vcc, 0, v95
	v_cndmask_b32_e32 v95, 30, v95, vcc
; %bb.613:
	s_andn2_saveexec_b64 s[0:1], s[0:1]
	s_cbranch_execz .LBB84_619
; %bb.614:
	v_cmp_ngt_f64_e64 s[18:19], |v[117:118]|, |v[119:120]|
	s_and_saveexec_b64 s[20:21], s[18:19]
	s_xor_b64 s[18:19], exec, s[20:21]
	s_cbranch_execz .LBB84_616
; %bb.615:
	v_div_scale_f64 v[98:99], s[20:21], v[119:120], v[119:120], v[117:118]
	v_rcp_f64_e32 v[100:101], v[98:99]
	v_fma_f64 v[102:103], -v[98:99], v[100:101], 1.0
	v_fma_f64 v[100:101], v[100:101], v[102:103], v[100:101]
	v_div_scale_f64 v[102:103], vcc, v[117:118], v[119:120], v[117:118]
	v_fma_f64 v[104:105], -v[98:99], v[100:101], 1.0
	v_fma_f64 v[100:101], v[100:101], v[104:105], v[100:101]
	v_mul_f64 v[104:105], v[102:103], v[100:101]
	v_fma_f64 v[98:99], -v[98:99], v[104:105], v[102:103]
	v_div_fmas_f64 v[98:99], v[98:99], v[100:101], v[104:105]
	v_div_fixup_f64 v[98:99], v[98:99], v[119:120], v[117:118]
	v_fma_f64 v[100:101], v[117:118], v[98:99], v[119:120]
	v_div_scale_f64 v[102:103], s[20:21], v[100:101], v[100:101], 1.0
	v_div_scale_f64 v[108:109], vcc, 1.0, v[100:101], 1.0
	v_rcp_f64_e32 v[104:105], v[102:103]
	v_fma_f64 v[106:107], -v[102:103], v[104:105], 1.0
	v_fma_f64 v[104:105], v[104:105], v[106:107], v[104:105]
	v_fma_f64 v[106:107], -v[102:103], v[104:105], 1.0
	v_fma_f64 v[104:105], v[104:105], v[106:107], v[104:105]
	v_mul_f64 v[106:107], v[108:109], v[104:105]
	v_fma_f64 v[102:103], -v[102:103], v[106:107], v[108:109]
	v_div_fmas_f64 v[102:103], v[102:103], v[104:105], v[106:107]
	v_div_fixup_f64 v[119:120], v[102:103], v[100:101], 1.0
	v_mul_f64 v[117:118], v[98:99], v[119:120]
	v_xor_b32_e32 v120, 0x80000000, v120
.LBB84_616:
	s_andn2_saveexec_b64 s[18:19], s[18:19]
	s_cbranch_execz .LBB84_618
; %bb.617:
	v_div_scale_f64 v[98:99], s[20:21], v[117:118], v[117:118], v[119:120]
	v_rcp_f64_e32 v[100:101], v[98:99]
	v_fma_f64 v[102:103], -v[98:99], v[100:101], 1.0
	v_fma_f64 v[100:101], v[100:101], v[102:103], v[100:101]
	v_div_scale_f64 v[102:103], vcc, v[119:120], v[117:118], v[119:120]
	v_fma_f64 v[104:105], -v[98:99], v[100:101], 1.0
	v_fma_f64 v[100:101], v[100:101], v[104:105], v[100:101]
	v_mul_f64 v[104:105], v[102:103], v[100:101]
	v_fma_f64 v[98:99], -v[98:99], v[104:105], v[102:103]
	v_div_fmas_f64 v[98:99], v[98:99], v[100:101], v[104:105]
	v_div_fixup_f64 v[98:99], v[98:99], v[117:118], v[119:120]
	v_fma_f64 v[100:101], v[119:120], v[98:99], v[117:118]
	v_div_scale_f64 v[102:103], s[20:21], v[100:101], v[100:101], 1.0
	v_div_scale_f64 v[108:109], vcc, 1.0, v[100:101], 1.0
	v_rcp_f64_e32 v[104:105], v[102:103]
	v_fma_f64 v[106:107], -v[102:103], v[104:105], 1.0
	v_fma_f64 v[104:105], v[104:105], v[106:107], v[104:105]
	v_fma_f64 v[106:107], -v[102:103], v[104:105], 1.0
	v_fma_f64 v[104:105], v[104:105], v[106:107], v[104:105]
	v_mul_f64 v[106:107], v[108:109], v[104:105]
	v_fma_f64 v[102:103], -v[102:103], v[106:107], v[108:109]
	v_div_fmas_f64 v[102:103], v[102:103], v[104:105], v[106:107]
	v_div_fixup_f64 v[117:118], v[102:103], v[100:101], 1.0
	v_mul_f64 v[119:120], v[98:99], -v[117:118]
.LBB84_618:
	s_or_b64 exec, exec, s[18:19]
.LBB84_619:
	s_or_b64 exec, exec, s[0:1]
	v_cmp_ne_u32_e32 vcc, v96, v97
	s_and_saveexec_b64 s[0:1], vcc
	s_xor_b64 s[0:1], exec, s[0:1]
	s_cbranch_execz .LBB84_625
; %bb.620:
	v_cmp_eq_u32_e32 vcc, 29, v96
	s_and_saveexec_b64 s[18:19], vcc
	s_cbranch_execz .LBB84_624
; %bb.621:
	v_cmp_ne_u32_e32 vcc, 29, v97
	s_xor_b64 s[20:21], s[6:7], -1
	s_and_b64 s[22:23], s[20:21], vcc
	s_and_saveexec_b64 s[20:21], s[22:23]
	s_cbranch_execz .LBB84_623
; %bb.622:
	buffer_load_dword v89, off, s[24:27], 0 offset:272 ; 4-byte Folded Reload
	buffer_load_dword v90, off, s[24:27], 0 offset:276 ; 4-byte Folded Reload
	v_ashrrev_i32_e32 v98, 31, v97
	v_lshlrev_b64 v[98:99], 2, v[97:98]
	s_waitcnt vmcnt(1)
	v_add_co_u32_e32 v98, vcc, v89, v98
	s_waitcnt vmcnt(0)
	v_addc_co_u32_e32 v99, vcc, v90, v99, vcc
	global_load_dword v0, v[98:99], off
	global_load_dword v96, v[89:90], off offset:116
	s_waitcnt vmcnt(1)
	global_store_dword v[89:90], v0, off offset:116
	buffer_load_dword v89, off, s[24:27], 0 offset:296 ; 4-byte Folded Reload
	s_nop 0
	buffer_load_dword v90, off, s[24:27], 0 offset:300 ; 4-byte Folded Reload
	buffer_load_dword v91, off, s[24:27], 0 offset:304 ; 4-byte Folded Reload
	buffer_load_dword v92, off, s[24:27], 0 offset:308 ; 4-byte Folded Reload
	s_waitcnt vmcnt(5)
	global_store_dword v[98:99], v96, off
.LBB84_623:
	s_or_b64 exec, exec, s[20:21]
	v_mov_b32_e32 v96, v97
	v_mov_b32_e32 v0, v97
.LBB84_624:
	s_or_b64 exec, exec, s[18:19]
.LBB84_625:
	s_andn2_saveexec_b64 s[0:1], s[0:1]
	s_cbranch_execz .LBB84_627
; %bb.626:
	v_mov_b32_e32 v96, 29
	ds_write2_b64 v94, v[45:46], v[47:48] offset0:60 offset1:61
	ds_write2_b64 v94, v[41:42], v[43:44] offset0:62 offset1:63
	;; [unrolled: 1-line block ×13, first 2 shown]
.LBB84_627:
	s_or_b64 exec, exec, s[0:1]
	v_cmp_lt_i32_e32 vcc, 29, v96
	s_waitcnt vmcnt(0) lgkmcnt(0)
	s_barrier
	s_and_saveexec_b64 s[0:1], vcc
	s_cbranch_execz .LBB84_629
; %bb.628:
	v_mul_f64 v[97:98], v[117:118], v[51:52]
	v_mul_f64 v[51:52], v[119:120], v[51:52]
	ds_read2_b64 v[99:102], v94 offset0:60 offset1:61
	v_fma_f64 v[97:98], v[119:120], v[49:50], v[97:98]
	v_fma_f64 v[49:50], v[117:118], v[49:50], -v[51:52]
	s_waitcnt lgkmcnt(0)
	v_mul_f64 v[51:52], v[101:102], v[97:98]
	v_fma_f64 v[51:52], v[99:100], v[49:50], -v[51:52]
	v_mul_f64 v[99:100], v[99:100], v[97:98]
	v_add_f64 v[45:46], v[45:46], -v[51:52]
	v_fma_f64 v[99:100], v[101:102], v[49:50], v[99:100]
	v_add_f64 v[47:48], v[47:48], -v[99:100]
	ds_read2_b64 v[99:102], v94 offset0:62 offset1:63
	s_waitcnt lgkmcnt(0)
	v_mul_f64 v[51:52], v[101:102], v[97:98]
	v_fma_f64 v[51:52], v[99:100], v[49:50], -v[51:52]
	v_mul_f64 v[99:100], v[99:100], v[97:98]
	v_add_f64 v[41:42], v[41:42], -v[51:52]
	v_fma_f64 v[99:100], v[101:102], v[49:50], v[99:100]
	v_add_f64 v[43:44], v[43:44], -v[99:100]
	ds_read2_b64 v[99:102], v94 offset0:64 offset1:65
	;; [unrolled: 8-line block ×12, first 2 shown]
	s_waitcnt lgkmcnt(0)
	v_mul_f64 v[51:52], v[101:102], v[97:98]
	v_fma_f64 v[51:52], v[99:100], v[49:50], -v[51:52]
	v_mul_f64 v[99:100], v[99:100], v[97:98]
	v_add_f64 v[121:122], v[121:122], -v[51:52]
	v_fma_f64 v[99:100], v[101:102], v[49:50], v[99:100]
	v_mov_b32_e32 v51, v97
	v_mov_b32_e32 v52, v98
	v_add_f64 v[123:124], v[123:124], -v[99:100]
.LBB84_629:
	s_or_b64 exec, exec, s[0:1]
	v_lshl_add_u32 v97, v96, 4, v94
	s_barrier
	ds_write2_b64 v97, v[45:46], v[47:48] offset1:1
	s_waitcnt lgkmcnt(0)
	s_barrier
	ds_read2_b64 v[117:120], v94 offset0:60 offset1:61
	s_cmp_lt_i32 s3, 32
	v_mov_b32_e32 v97, 30
	s_cbranch_scc1 .LBB84_632
; %bb.630:
	v_add_u32_e32 v98, 0x1f0, v94
	s_mov_b32 s0, 31
	v_mov_b32_e32 v97, 30
.LBB84_631:                             ; =>This Inner Loop Header: Depth=1
	s_waitcnt lgkmcnt(0)
	v_cmp_gt_f64_e32 vcc, 0, v[117:118]
	v_xor_b32_e32 v103, 0x80000000, v118
	ds_read2_b64 v[99:102], v98 offset1:1
	v_xor_b32_e32 v105, 0x80000000, v120
	v_add_u32_e32 v98, 16, v98
	s_waitcnt lgkmcnt(0)
	v_xor_b32_e32 v107, 0x80000000, v102
	v_cndmask_b32_e32 v104, v118, v103, vcc
	v_cmp_gt_f64_e32 vcc, 0, v[119:120]
	v_mov_b32_e32 v103, v117
	v_cndmask_b32_e32 v106, v120, v105, vcc
	v_cmp_gt_f64_e32 vcc, 0, v[99:100]
	v_mov_b32_e32 v105, v119
	v_add_f64 v[103:104], v[103:104], v[105:106]
	v_xor_b32_e32 v105, 0x80000000, v100
	v_cndmask_b32_e32 v106, v100, v105, vcc
	v_cmp_gt_f64_e32 vcc, 0, v[101:102]
	v_mov_b32_e32 v105, v99
	v_cndmask_b32_e32 v108, v102, v107, vcc
	v_mov_b32_e32 v107, v101
	v_add_f64 v[105:106], v[105:106], v[107:108]
	v_cmp_lt_f64_e32 vcc, v[103:104], v[105:106]
	v_cndmask_b32_e32 v117, v117, v99, vcc
	v_mov_b32_e32 v99, s0
	s_add_i32 s0, s0, 1
	v_cndmask_b32_e32 v118, v118, v100, vcc
	v_cndmask_b32_e32 v120, v120, v102, vcc
	;; [unrolled: 1-line block ×4, first 2 shown]
	s_cmp_lg_u32 s3, s0
	s_cbranch_scc1 .LBB84_631
.LBB84_632:
	s_waitcnt lgkmcnt(0)
	v_cmp_eq_f64_e32 vcc, 0, v[117:118]
	v_cmp_eq_f64_e64 s[0:1], 0, v[119:120]
	s_and_b64 s[0:1], vcc, s[0:1]
	s_and_saveexec_b64 s[18:19], s[0:1]
	s_xor_b64 s[0:1], exec, s[18:19]
; %bb.633:
	v_cmp_ne_u32_e32 vcc, 0, v95
	v_cndmask_b32_e32 v95, 31, v95, vcc
; %bb.634:
	s_andn2_saveexec_b64 s[0:1], s[0:1]
	s_cbranch_execz .LBB84_640
; %bb.635:
	v_cmp_ngt_f64_e64 s[18:19], |v[117:118]|, |v[119:120]|
	s_and_saveexec_b64 s[20:21], s[18:19]
	s_xor_b64 s[18:19], exec, s[20:21]
	s_cbranch_execz .LBB84_637
; %bb.636:
	v_div_scale_f64 v[98:99], s[20:21], v[119:120], v[119:120], v[117:118]
	v_rcp_f64_e32 v[100:101], v[98:99]
	v_fma_f64 v[102:103], -v[98:99], v[100:101], 1.0
	v_fma_f64 v[100:101], v[100:101], v[102:103], v[100:101]
	v_div_scale_f64 v[102:103], vcc, v[117:118], v[119:120], v[117:118]
	v_fma_f64 v[104:105], -v[98:99], v[100:101], 1.0
	v_fma_f64 v[100:101], v[100:101], v[104:105], v[100:101]
	v_mul_f64 v[104:105], v[102:103], v[100:101]
	v_fma_f64 v[98:99], -v[98:99], v[104:105], v[102:103]
	v_div_fmas_f64 v[98:99], v[98:99], v[100:101], v[104:105]
	v_div_fixup_f64 v[98:99], v[98:99], v[119:120], v[117:118]
	v_fma_f64 v[100:101], v[117:118], v[98:99], v[119:120]
	v_div_scale_f64 v[102:103], s[20:21], v[100:101], v[100:101], 1.0
	v_div_scale_f64 v[108:109], vcc, 1.0, v[100:101], 1.0
	v_rcp_f64_e32 v[104:105], v[102:103]
	v_fma_f64 v[106:107], -v[102:103], v[104:105], 1.0
	v_fma_f64 v[104:105], v[104:105], v[106:107], v[104:105]
	v_fma_f64 v[106:107], -v[102:103], v[104:105], 1.0
	v_fma_f64 v[104:105], v[104:105], v[106:107], v[104:105]
	v_mul_f64 v[106:107], v[108:109], v[104:105]
	v_fma_f64 v[102:103], -v[102:103], v[106:107], v[108:109]
	v_div_fmas_f64 v[102:103], v[102:103], v[104:105], v[106:107]
	v_div_fixup_f64 v[119:120], v[102:103], v[100:101], 1.0
	v_mul_f64 v[117:118], v[98:99], v[119:120]
	v_xor_b32_e32 v120, 0x80000000, v120
.LBB84_637:
	s_andn2_saveexec_b64 s[18:19], s[18:19]
	s_cbranch_execz .LBB84_639
; %bb.638:
	v_div_scale_f64 v[98:99], s[20:21], v[117:118], v[117:118], v[119:120]
	v_rcp_f64_e32 v[100:101], v[98:99]
	v_fma_f64 v[102:103], -v[98:99], v[100:101], 1.0
	v_fma_f64 v[100:101], v[100:101], v[102:103], v[100:101]
	v_div_scale_f64 v[102:103], vcc, v[119:120], v[117:118], v[119:120]
	v_fma_f64 v[104:105], -v[98:99], v[100:101], 1.0
	v_fma_f64 v[100:101], v[100:101], v[104:105], v[100:101]
	v_mul_f64 v[104:105], v[102:103], v[100:101]
	v_fma_f64 v[98:99], -v[98:99], v[104:105], v[102:103]
	v_div_fmas_f64 v[98:99], v[98:99], v[100:101], v[104:105]
	v_div_fixup_f64 v[98:99], v[98:99], v[117:118], v[119:120]
	v_fma_f64 v[100:101], v[119:120], v[98:99], v[117:118]
	v_div_scale_f64 v[102:103], s[20:21], v[100:101], v[100:101], 1.0
	v_div_scale_f64 v[108:109], vcc, 1.0, v[100:101], 1.0
	v_rcp_f64_e32 v[104:105], v[102:103]
	v_fma_f64 v[106:107], -v[102:103], v[104:105], 1.0
	v_fma_f64 v[104:105], v[104:105], v[106:107], v[104:105]
	v_fma_f64 v[106:107], -v[102:103], v[104:105], 1.0
	v_fma_f64 v[104:105], v[104:105], v[106:107], v[104:105]
	v_mul_f64 v[106:107], v[108:109], v[104:105]
	v_fma_f64 v[102:103], -v[102:103], v[106:107], v[108:109]
	v_div_fmas_f64 v[102:103], v[102:103], v[104:105], v[106:107]
	v_div_fixup_f64 v[117:118], v[102:103], v[100:101], 1.0
	v_mul_f64 v[119:120], v[98:99], -v[117:118]
.LBB84_639:
	s_or_b64 exec, exec, s[18:19]
.LBB84_640:
	s_or_b64 exec, exec, s[0:1]
	v_cmp_ne_u32_e32 vcc, v96, v97
	s_and_saveexec_b64 s[0:1], vcc
	s_xor_b64 s[0:1], exec, s[0:1]
	s_cbranch_execz .LBB84_646
; %bb.641:
	v_cmp_eq_u32_e32 vcc, 30, v96
	s_and_saveexec_b64 s[18:19], vcc
	s_cbranch_execz .LBB84_645
; %bb.642:
	v_cmp_ne_u32_e32 vcc, 30, v97
	s_xor_b64 s[20:21], s[6:7], -1
	s_and_b64 s[22:23], s[20:21], vcc
	s_and_saveexec_b64 s[20:21], s[22:23]
	s_cbranch_execz .LBB84_644
; %bb.643:
	buffer_load_dword v89, off, s[24:27], 0 offset:272 ; 4-byte Folded Reload
	buffer_load_dword v90, off, s[24:27], 0 offset:276 ; 4-byte Folded Reload
	v_ashrrev_i32_e32 v98, 31, v97
	v_lshlrev_b64 v[98:99], 2, v[97:98]
	s_waitcnt vmcnt(1)
	v_add_co_u32_e32 v98, vcc, v89, v98
	s_waitcnt vmcnt(0)
	v_addc_co_u32_e32 v99, vcc, v90, v99, vcc
	global_load_dword v0, v[98:99], off
	global_load_dword v96, v[89:90], off offset:120
	s_waitcnt vmcnt(1)
	global_store_dword v[89:90], v0, off offset:120
	buffer_load_dword v89, off, s[24:27], 0 offset:296 ; 4-byte Folded Reload
	s_nop 0
	buffer_load_dword v90, off, s[24:27], 0 offset:300 ; 4-byte Folded Reload
	buffer_load_dword v91, off, s[24:27], 0 offset:304 ; 4-byte Folded Reload
	buffer_load_dword v92, off, s[24:27], 0 offset:308 ; 4-byte Folded Reload
	s_waitcnt vmcnt(5)
	global_store_dword v[98:99], v96, off
.LBB84_644:
	s_or_b64 exec, exec, s[20:21]
	v_mov_b32_e32 v96, v97
	v_mov_b32_e32 v0, v97
.LBB84_645:
	s_or_b64 exec, exec, s[18:19]
.LBB84_646:
	s_andn2_saveexec_b64 s[0:1], s[0:1]
	s_cbranch_execz .LBB84_648
; %bb.647:
	v_mov_b32_e32 v96, 30
	ds_write2_b64 v94, v[41:42], v[43:44] offset0:62 offset1:63
	ds_write2_b64 v94, v[37:38], v[39:40] offset0:64 offset1:65
	;; [unrolled: 1-line block ×12, first 2 shown]
.LBB84_648:
	s_or_b64 exec, exec, s[0:1]
	v_cmp_lt_i32_e32 vcc, 30, v96
	s_waitcnt vmcnt(0) lgkmcnt(0)
	s_barrier
	s_and_saveexec_b64 s[0:1], vcc
	s_cbranch_execz .LBB84_650
; %bb.649:
	v_mul_f64 v[97:98], v[117:118], v[47:48]
	v_mul_f64 v[47:48], v[119:120], v[47:48]
	ds_read2_b64 v[99:102], v94 offset0:62 offset1:63
	v_fma_f64 v[97:98], v[119:120], v[45:46], v[97:98]
	v_fma_f64 v[45:46], v[117:118], v[45:46], -v[47:48]
	s_waitcnt lgkmcnt(0)
	v_mul_f64 v[47:48], v[101:102], v[97:98]
	v_fma_f64 v[47:48], v[99:100], v[45:46], -v[47:48]
	v_mul_f64 v[99:100], v[99:100], v[97:98]
	v_add_f64 v[41:42], v[41:42], -v[47:48]
	v_fma_f64 v[99:100], v[101:102], v[45:46], v[99:100]
	v_add_f64 v[43:44], v[43:44], -v[99:100]
	ds_read2_b64 v[99:102], v94 offset0:64 offset1:65
	s_waitcnt lgkmcnt(0)
	v_mul_f64 v[47:48], v[101:102], v[97:98]
	v_fma_f64 v[47:48], v[99:100], v[45:46], -v[47:48]
	v_mul_f64 v[99:100], v[99:100], v[97:98]
	v_add_f64 v[37:38], v[37:38], -v[47:48]
	v_fma_f64 v[99:100], v[101:102], v[45:46], v[99:100]
	v_add_f64 v[39:40], v[39:40], -v[99:100]
	ds_read2_b64 v[99:102], v94 offset0:66 offset1:67
	;; [unrolled: 8-line block ×11, first 2 shown]
	s_waitcnt lgkmcnt(0)
	v_mul_f64 v[47:48], v[101:102], v[97:98]
	v_fma_f64 v[47:48], v[99:100], v[45:46], -v[47:48]
	v_mul_f64 v[99:100], v[99:100], v[97:98]
	v_add_f64 v[121:122], v[121:122], -v[47:48]
	v_fma_f64 v[99:100], v[101:102], v[45:46], v[99:100]
	v_mov_b32_e32 v47, v97
	v_mov_b32_e32 v48, v98
	v_add_f64 v[123:124], v[123:124], -v[99:100]
.LBB84_650:
	s_or_b64 exec, exec, s[0:1]
	v_lshl_add_u32 v97, v96, 4, v94
	s_barrier
	ds_write2_b64 v97, v[41:42], v[43:44] offset1:1
	s_waitcnt lgkmcnt(0)
	s_barrier
	ds_read2_b64 v[117:120], v94 offset0:62 offset1:63
	s_cmp_lt_i32 s3, 33
	v_mov_b32_e32 v97, 31
	s_cbranch_scc1 .LBB84_653
; %bb.651:
	v_add_u32_e32 v98, 0x200, v94
	s_mov_b32 s0, 32
	v_mov_b32_e32 v97, 31
.LBB84_652:                             ; =>This Inner Loop Header: Depth=1
	s_waitcnt lgkmcnt(0)
	v_cmp_gt_f64_e32 vcc, 0, v[117:118]
	v_xor_b32_e32 v103, 0x80000000, v118
	ds_read2_b64 v[99:102], v98 offset1:1
	v_xor_b32_e32 v105, 0x80000000, v120
	v_add_u32_e32 v98, 16, v98
	s_waitcnt lgkmcnt(0)
	v_xor_b32_e32 v107, 0x80000000, v102
	v_cndmask_b32_e32 v104, v118, v103, vcc
	v_cmp_gt_f64_e32 vcc, 0, v[119:120]
	v_mov_b32_e32 v103, v117
	v_cndmask_b32_e32 v106, v120, v105, vcc
	v_cmp_gt_f64_e32 vcc, 0, v[99:100]
	v_mov_b32_e32 v105, v119
	v_add_f64 v[103:104], v[103:104], v[105:106]
	v_xor_b32_e32 v105, 0x80000000, v100
	v_cndmask_b32_e32 v106, v100, v105, vcc
	v_cmp_gt_f64_e32 vcc, 0, v[101:102]
	v_mov_b32_e32 v105, v99
	v_cndmask_b32_e32 v108, v102, v107, vcc
	v_mov_b32_e32 v107, v101
	v_add_f64 v[105:106], v[105:106], v[107:108]
	v_cmp_lt_f64_e32 vcc, v[103:104], v[105:106]
	v_cndmask_b32_e32 v117, v117, v99, vcc
	v_mov_b32_e32 v99, s0
	s_add_i32 s0, s0, 1
	v_cndmask_b32_e32 v118, v118, v100, vcc
	v_cndmask_b32_e32 v120, v120, v102, vcc
	v_cndmask_b32_e32 v119, v119, v101, vcc
	v_cndmask_b32_e32 v97, v97, v99, vcc
	s_cmp_lg_u32 s3, s0
	s_cbranch_scc1 .LBB84_652
.LBB84_653:
	s_waitcnt lgkmcnt(0)
	v_cmp_eq_f64_e32 vcc, 0, v[117:118]
	v_cmp_eq_f64_e64 s[0:1], 0, v[119:120]
	s_and_b64 s[0:1], vcc, s[0:1]
	s_and_saveexec_b64 s[18:19], s[0:1]
	s_xor_b64 s[0:1], exec, s[18:19]
; %bb.654:
	v_cmp_ne_u32_e32 vcc, 0, v95
	v_cndmask_b32_e32 v95, 32, v95, vcc
; %bb.655:
	s_andn2_saveexec_b64 s[0:1], s[0:1]
	s_cbranch_execz .LBB84_661
; %bb.656:
	v_cmp_ngt_f64_e64 s[18:19], |v[117:118]|, |v[119:120]|
	s_and_saveexec_b64 s[20:21], s[18:19]
	s_xor_b64 s[18:19], exec, s[20:21]
	s_cbranch_execz .LBB84_658
; %bb.657:
	v_div_scale_f64 v[98:99], s[20:21], v[119:120], v[119:120], v[117:118]
	v_rcp_f64_e32 v[100:101], v[98:99]
	v_fma_f64 v[102:103], -v[98:99], v[100:101], 1.0
	v_fma_f64 v[100:101], v[100:101], v[102:103], v[100:101]
	v_div_scale_f64 v[102:103], vcc, v[117:118], v[119:120], v[117:118]
	v_fma_f64 v[104:105], -v[98:99], v[100:101], 1.0
	v_fma_f64 v[100:101], v[100:101], v[104:105], v[100:101]
	v_mul_f64 v[104:105], v[102:103], v[100:101]
	v_fma_f64 v[98:99], -v[98:99], v[104:105], v[102:103]
	v_div_fmas_f64 v[98:99], v[98:99], v[100:101], v[104:105]
	v_div_fixup_f64 v[98:99], v[98:99], v[119:120], v[117:118]
	v_fma_f64 v[100:101], v[117:118], v[98:99], v[119:120]
	v_div_scale_f64 v[102:103], s[20:21], v[100:101], v[100:101], 1.0
	v_div_scale_f64 v[108:109], vcc, 1.0, v[100:101], 1.0
	v_rcp_f64_e32 v[104:105], v[102:103]
	v_fma_f64 v[106:107], -v[102:103], v[104:105], 1.0
	v_fma_f64 v[104:105], v[104:105], v[106:107], v[104:105]
	v_fma_f64 v[106:107], -v[102:103], v[104:105], 1.0
	v_fma_f64 v[104:105], v[104:105], v[106:107], v[104:105]
	v_mul_f64 v[106:107], v[108:109], v[104:105]
	v_fma_f64 v[102:103], -v[102:103], v[106:107], v[108:109]
	v_div_fmas_f64 v[102:103], v[102:103], v[104:105], v[106:107]
	v_div_fixup_f64 v[119:120], v[102:103], v[100:101], 1.0
	v_mul_f64 v[117:118], v[98:99], v[119:120]
	v_xor_b32_e32 v120, 0x80000000, v120
.LBB84_658:
	s_andn2_saveexec_b64 s[18:19], s[18:19]
	s_cbranch_execz .LBB84_660
; %bb.659:
	v_div_scale_f64 v[98:99], s[20:21], v[117:118], v[117:118], v[119:120]
	v_rcp_f64_e32 v[100:101], v[98:99]
	v_fma_f64 v[102:103], -v[98:99], v[100:101], 1.0
	v_fma_f64 v[100:101], v[100:101], v[102:103], v[100:101]
	v_div_scale_f64 v[102:103], vcc, v[119:120], v[117:118], v[119:120]
	v_fma_f64 v[104:105], -v[98:99], v[100:101], 1.0
	v_fma_f64 v[100:101], v[100:101], v[104:105], v[100:101]
	v_mul_f64 v[104:105], v[102:103], v[100:101]
	v_fma_f64 v[98:99], -v[98:99], v[104:105], v[102:103]
	v_div_fmas_f64 v[98:99], v[98:99], v[100:101], v[104:105]
	v_div_fixup_f64 v[98:99], v[98:99], v[117:118], v[119:120]
	v_fma_f64 v[100:101], v[119:120], v[98:99], v[117:118]
	v_div_scale_f64 v[102:103], s[20:21], v[100:101], v[100:101], 1.0
	v_div_scale_f64 v[108:109], vcc, 1.0, v[100:101], 1.0
	v_rcp_f64_e32 v[104:105], v[102:103]
	v_fma_f64 v[106:107], -v[102:103], v[104:105], 1.0
	v_fma_f64 v[104:105], v[104:105], v[106:107], v[104:105]
	v_fma_f64 v[106:107], -v[102:103], v[104:105], 1.0
	v_fma_f64 v[104:105], v[104:105], v[106:107], v[104:105]
	v_mul_f64 v[106:107], v[108:109], v[104:105]
	v_fma_f64 v[102:103], -v[102:103], v[106:107], v[108:109]
	v_div_fmas_f64 v[102:103], v[102:103], v[104:105], v[106:107]
	v_div_fixup_f64 v[117:118], v[102:103], v[100:101], 1.0
	v_mul_f64 v[119:120], v[98:99], -v[117:118]
.LBB84_660:
	s_or_b64 exec, exec, s[18:19]
.LBB84_661:
	s_or_b64 exec, exec, s[0:1]
	v_cmp_ne_u32_e32 vcc, v96, v97
	s_and_saveexec_b64 s[0:1], vcc
	s_xor_b64 s[0:1], exec, s[0:1]
	s_cbranch_execz .LBB84_667
; %bb.662:
	v_cmp_eq_u32_e32 vcc, 31, v96
	s_and_saveexec_b64 s[18:19], vcc
	s_cbranch_execz .LBB84_666
; %bb.663:
	v_cmp_ne_u32_e32 vcc, 31, v97
	s_xor_b64 s[20:21], s[6:7], -1
	s_and_b64 s[22:23], s[20:21], vcc
	s_and_saveexec_b64 s[20:21], s[22:23]
	s_cbranch_execz .LBB84_665
; %bb.664:
	buffer_load_dword v89, off, s[24:27], 0 offset:272 ; 4-byte Folded Reload
	buffer_load_dword v90, off, s[24:27], 0 offset:276 ; 4-byte Folded Reload
	v_ashrrev_i32_e32 v98, 31, v97
	v_lshlrev_b64 v[98:99], 2, v[97:98]
	s_waitcnt vmcnt(1)
	v_add_co_u32_e32 v98, vcc, v89, v98
	s_waitcnt vmcnt(0)
	v_addc_co_u32_e32 v99, vcc, v90, v99, vcc
	global_load_dword v0, v[98:99], off
	global_load_dword v96, v[89:90], off offset:124
	s_waitcnt vmcnt(1)
	global_store_dword v[89:90], v0, off offset:124
	buffer_load_dword v89, off, s[24:27], 0 offset:296 ; 4-byte Folded Reload
	s_nop 0
	buffer_load_dword v90, off, s[24:27], 0 offset:300 ; 4-byte Folded Reload
	buffer_load_dword v91, off, s[24:27], 0 offset:304 ; 4-byte Folded Reload
	;; [unrolled: 1-line block ×3, first 2 shown]
	s_waitcnt vmcnt(5)
	global_store_dword v[98:99], v96, off
.LBB84_665:
	s_or_b64 exec, exec, s[20:21]
	v_mov_b32_e32 v96, v97
	v_mov_b32_e32 v0, v97
.LBB84_666:
	s_or_b64 exec, exec, s[18:19]
.LBB84_667:
	s_andn2_saveexec_b64 s[0:1], s[0:1]
	s_cbranch_execz .LBB84_669
; %bb.668:
	v_mov_b32_e32 v96, 31
	ds_write2_b64 v94, v[37:38], v[39:40] offset0:64 offset1:65
	ds_write2_b64 v94, v[33:34], v[35:36] offset0:66 offset1:67
	;; [unrolled: 1-line block ×11, first 2 shown]
.LBB84_669:
	s_or_b64 exec, exec, s[0:1]
	v_cmp_lt_i32_e32 vcc, 31, v96
	s_waitcnt vmcnt(0) lgkmcnt(0)
	s_barrier
	s_and_saveexec_b64 s[0:1], vcc
	s_cbranch_execz .LBB84_671
; %bb.670:
	v_mul_f64 v[97:98], v[117:118], v[43:44]
	v_mul_f64 v[43:44], v[119:120], v[43:44]
	ds_read2_b64 v[99:102], v94 offset0:64 offset1:65
	v_fma_f64 v[97:98], v[119:120], v[41:42], v[97:98]
	v_fma_f64 v[41:42], v[117:118], v[41:42], -v[43:44]
	s_waitcnt lgkmcnt(0)
	v_mul_f64 v[43:44], v[101:102], v[97:98]
	v_fma_f64 v[43:44], v[99:100], v[41:42], -v[43:44]
	v_mul_f64 v[99:100], v[99:100], v[97:98]
	v_add_f64 v[37:38], v[37:38], -v[43:44]
	v_fma_f64 v[99:100], v[101:102], v[41:42], v[99:100]
	v_add_f64 v[39:40], v[39:40], -v[99:100]
	ds_read2_b64 v[99:102], v94 offset0:66 offset1:67
	s_waitcnt lgkmcnt(0)
	v_mul_f64 v[43:44], v[101:102], v[97:98]
	v_fma_f64 v[43:44], v[99:100], v[41:42], -v[43:44]
	v_mul_f64 v[99:100], v[99:100], v[97:98]
	v_add_f64 v[33:34], v[33:34], -v[43:44]
	v_fma_f64 v[99:100], v[101:102], v[41:42], v[99:100]
	v_add_f64 v[35:36], v[35:36], -v[99:100]
	ds_read2_b64 v[99:102], v94 offset0:68 offset1:69
	;; [unrolled: 8-line block ×10, first 2 shown]
	s_waitcnt lgkmcnt(0)
	v_mul_f64 v[43:44], v[101:102], v[97:98]
	v_fma_f64 v[43:44], v[99:100], v[41:42], -v[43:44]
	v_mul_f64 v[99:100], v[99:100], v[97:98]
	v_add_f64 v[121:122], v[121:122], -v[43:44]
	v_fma_f64 v[99:100], v[101:102], v[41:42], v[99:100]
	v_mov_b32_e32 v43, v97
	v_mov_b32_e32 v44, v98
	v_add_f64 v[123:124], v[123:124], -v[99:100]
.LBB84_671:
	s_or_b64 exec, exec, s[0:1]
	v_lshl_add_u32 v97, v96, 4, v94
	s_barrier
	ds_write2_b64 v97, v[37:38], v[39:40] offset1:1
	s_waitcnt lgkmcnt(0)
	s_barrier
	ds_read2_b64 v[117:120], v94 offset0:64 offset1:65
	s_cmp_lt_i32 s3, 34
	v_mov_b32_e32 v97, 32
	s_cbranch_scc1 .LBB84_674
; %bb.672:
	v_add_u32_e32 v98, 0x210, v94
	s_mov_b32 s0, 33
	v_mov_b32_e32 v97, 32
.LBB84_673:                             ; =>This Inner Loop Header: Depth=1
	s_waitcnt lgkmcnt(0)
	v_cmp_gt_f64_e32 vcc, 0, v[117:118]
	v_xor_b32_e32 v103, 0x80000000, v118
	ds_read2_b64 v[99:102], v98 offset1:1
	v_xor_b32_e32 v105, 0x80000000, v120
	v_add_u32_e32 v98, 16, v98
	s_waitcnt lgkmcnt(0)
	v_xor_b32_e32 v107, 0x80000000, v102
	v_cndmask_b32_e32 v104, v118, v103, vcc
	v_cmp_gt_f64_e32 vcc, 0, v[119:120]
	v_mov_b32_e32 v103, v117
	v_cndmask_b32_e32 v106, v120, v105, vcc
	v_cmp_gt_f64_e32 vcc, 0, v[99:100]
	v_mov_b32_e32 v105, v119
	v_add_f64 v[103:104], v[103:104], v[105:106]
	v_xor_b32_e32 v105, 0x80000000, v100
	v_cndmask_b32_e32 v106, v100, v105, vcc
	v_cmp_gt_f64_e32 vcc, 0, v[101:102]
	v_mov_b32_e32 v105, v99
	v_cndmask_b32_e32 v108, v102, v107, vcc
	v_mov_b32_e32 v107, v101
	v_add_f64 v[105:106], v[105:106], v[107:108]
	v_cmp_lt_f64_e32 vcc, v[103:104], v[105:106]
	v_cndmask_b32_e32 v117, v117, v99, vcc
	v_mov_b32_e32 v99, s0
	s_add_i32 s0, s0, 1
	v_cndmask_b32_e32 v118, v118, v100, vcc
	v_cndmask_b32_e32 v120, v120, v102, vcc
	;; [unrolled: 1-line block ×4, first 2 shown]
	s_cmp_lg_u32 s3, s0
	s_cbranch_scc1 .LBB84_673
.LBB84_674:
	s_waitcnt lgkmcnt(0)
	v_cmp_eq_f64_e32 vcc, 0, v[117:118]
	v_cmp_eq_f64_e64 s[0:1], 0, v[119:120]
	s_and_b64 s[0:1], vcc, s[0:1]
	s_and_saveexec_b64 s[18:19], s[0:1]
	s_xor_b64 s[0:1], exec, s[18:19]
; %bb.675:
	v_cmp_ne_u32_e32 vcc, 0, v95
	v_cndmask_b32_e32 v95, 33, v95, vcc
; %bb.676:
	s_andn2_saveexec_b64 s[0:1], s[0:1]
	s_cbranch_execz .LBB84_682
; %bb.677:
	v_cmp_ngt_f64_e64 s[18:19], |v[117:118]|, |v[119:120]|
	s_and_saveexec_b64 s[20:21], s[18:19]
	s_xor_b64 s[18:19], exec, s[20:21]
	s_cbranch_execz .LBB84_679
; %bb.678:
	v_div_scale_f64 v[98:99], s[20:21], v[119:120], v[119:120], v[117:118]
	v_rcp_f64_e32 v[100:101], v[98:99]
	v_fma_f64 v[102:103], -v[98:99], v[100:101], 1.0
	v_fma_f64 v[100:101], v[100:101], v[102:103], v[100:101]
	v_div_scale_f64 v[102:103], vcc, v[117:118], v[119:120], v[117:118]
	v_fma_f64 v[104:105], -v[98:99], v[100:101], 1.0
	v_fma_f64 v[100:101], v[100:101], v[104:105], v[100:101]
	v_mul_f64 v[104:105], v[102:103], v[100:101]
	v_fma_f64 v[98:99], -v[98:99], v[104:105], v[102:103]
	v_div_fmas_f64 v[98:99], v[98:99], v[100:101], v[104:105]
	v_div_fixup_f64 v[98:99], v[98:99], v[119:120], v[117:118]
	v_fma_f64 v[100:101], v[117:118], v[98:99], v[119:120]
	v_div_scale_f64 v[102:103], s[20:21], v[100:101], v[100:101], 1.0
	v_div_scale_f64 v[108:109], vcc, 1.0, v[100:101], 1.0
	v_rcp_f64_e32 v[104:105], v[102:103]
	v_fma_f64 v[106:107], -v[102:103], v[104:105], 1.0
	v_fma_f64 v[104:105], v[104:105], v[106:107], v[104:105]
	v_fma_f64 v[106:107], -v[102:103], v[104:105], 1.0
	v_fma_f64 v[104:105], v[104:105], v[106:107], v[104:105]
	v_mul_f64 v[106:107], v[108:109], v[104:105]
	v_fma_f64 v[102:103], -v[102:103], v[106:107], v[108:109]
	v_div_fmas_f64 v[102:103], v[102:103], v[104:105], v[106:107]
	v_div_fixup_f64 v[119:120], v[102:103], v[100:101], 1.0
	v_mul_f64 v[117:118], v[98:99], v[119:120]
	v_xor_b32_e32 v120, 0x80000000, v120
.LBB84_679:
	s_andn2_saveexec_b64 s[18:19], s[18:19]
	s_cbranch_execz .LBB84_681
; %bb.680:
	v_div_scale_f64 v[98:99], s[20:21], v[117:118], v[117:118], v[119:120]
	v_rcp_f64_e32 v[100:101], v[98:99]
	v_fma_f64 v[102:103], -v[98:99], v[100:101], 1.0
	v_fma_f64 v[100:101], v[100:101], v[102:103], v[100:101]
	v_div_scale_f64 v[102:103], vcc, v[119:120], v[117:118], v[119:120]
	v_fma_f64 v[104:105], -v[98:99], v[100:101], 1.0
	v_fma_f64 v[100:101], v[100:101], v[104:105], v[100:101]
	v_mul_f64 v[104:105], v[102:103], v[100:101]
	v_fma_f64 v[98:99], -v[98:99], v[104:105], v[102:103]
	v_div_fmas_f64 v[98:99], v[98:99], v[100:101], v[104:105]
	v_div_fixup_f64 v[98:99], v[98:99], v[117:118], v[119:120]
	v_fma_f64 v[100:101], v[119:120], v[98:99], v[117:118]
	v_div_scale_f64 v[102:103], s[20:21], v[100:101], v[100:101], 1.0
	v_div_scale_f64 v[108:109], vcc, 1.0, v[100:101], 1.0
	v_rcp_f64_e32 v[104:105], v[102:103]
	v_fma_f64 v[106:107], -v[102:103], v[104:105], 1.0
	v_fma_f64 v[104:105], v[104:105], v[106:107], v[104:105]
	v_fma_f64 v[106:107], -v[102:103], v[104:105], 1.0
	v_fma_f64 v[104:105], v[104:105], v[106:107], v[104:105]
	v_mul_f64 v[106:107], v[108:109], v[104:105]
	v_fma_f64 v[102:103], -v[102:103], v[106:107], v[108:109]
	v_div_fmas_f64 v[102:103], v[102:103], v[104:105], v[106:107]
	v_div_fixup_f64 v[117:118], v[102:103], v[100:101], 1.0
	v_mul_f64 v[119:120], v[98:99], -v[117:118]
.LBB84_681:
	s_or_b64 exec, exec, s[18:19]
.LBB84_682:
	s_or_b64 exec, exec, s[0:1]
	v_cmp_ne_u32_e32 vcc, v96, v97
	s_and_saveexec_b64 s[0:1], vcc
	s_xor_b64 s[0:1], exec, s[0:1]
	s_cbranch_execz .LBB84_688
; %bb.683:
	v_cmp_eq_u32_e32 vcc, 32, v96
	s_and_saveexec_b64 s[18:19], vcc
	s_cbranch_execz .LBB84_687
; %bb.684:
	v_cmp_ne_u32_e32 vcc, 32, v97
	s_xor_b64 s[20:21], s[6:7], -1
	s_and_b64 s[22:23], s[20:21], vcc
	s_and_saveexec_b64 s[20:21], s[22:23]
	s_cbranch_execz .LBB84_686
; %bb.685:
	buffer_load_dword v89, off, s[24:27], 0 offset:272 ; 4-byte Folded Reload
	buffer_load_dword v90, off, s[24:27], 0 offset:276 ; 4-byte Folded Reload
	v_ashrrev_i32_e32 v98, 31, v97
	v_lshlrev_b64 v[98:99], 2, v[97:98]
	s_waitcnt vmcnt(1)
	v_add_co_u32_e32 v98, vcc, v89, v98
	s_waitcnt vmcnt(0)
	v_addc_co_u32_e32 v99, vcc, v90, v99, vcc
	global_load_dword v0, v[98:99], off
	global_load_dword v96, v[89:90], off offset:128
	s_waitcnt vmcnt(1)
	global_store_dword v[89:90], v0, off offset:128
	buffer_load_dword v89, off, s[24:27], 0 offset:296 ; 4-byte Folded Reload
	s_nop 0
	buffer_load_dword v90, off, s[24:27], 0 offset:300 ; 4-byte Folded Reload
	buffer_load_dword v91, off, s[24:27], 0 offset:304 ; 4-byte Folded Reload
	;; [unrolled: 1-line block ×3, first 2 shown]
	s_waitcnt vmcnt(5)
	global_store_dword v[98:99], v96, off
.LBB84_686:
	s_or_b64 exec, exec, s[20:21]
	v_mov_b32_e32 v96, v97
	v_mov_b32_e32 v0, v97
.LBB84_687:
	s_or_b64 exec, exec, s[18:19]
.LBB84_688:
	s_andn2_saveexec_b64 s[0:1], s[0:1]
	s_cbranch_execz .LBB84_690
; %bb.689:
	v_mov_b32_e32 v96, 32
	ds_write2_b64 v94, v[33:34], v[35:36] offset0:66 offset1:67
	ds_write2_b64 v94, v[29:30], v[31:32] offset0:68 offset1:69
	;; [unrolled: 1-line block ×10, first 2 shown]
.LBB84_690:
	s_or_b64 exec, exec, s[0:1]
	v_cmp_lt_i32_e32 vcc, 32, v96
	s_waitcnt vmcnt(0) lgkmcnt(0)
	s_barrier
	s_and_saveexec_b64 s[0:1], vcc
	s_cbranch_execz .LBB84_692
; %bb.691:
	v_mul_f64 v[97:98], v[117:118], v[39:40]
	v_mul_f64 v[39:40], v[119:120], v[39:40]
	ds_read2_b64 v[99:102], v94 offset0:66 offset1:67
	v_fma_f64 v[97:98], v[119:120], v[37:38], v[97:98]
	v_fma_f64 v[37:38], v[117:118], v[37:38], -v[39:40]
	s_waitcnt lgkmcnt(0)
	v_mul_f64 v[39:40], v[101:102], v[97:98]
	v_fma_f64 v[39:40], v[99:100], v[37:38], -v[39:40]
	v_mul_f64 v[99:100], v[99:100], v[97:98]
	v_add_f64 v[33:34], v[33:34], -v[39:40]
	v_fma_f64 v[99:100], v[101:102], v[37:38], v[99:100]
	v_add_f64 v[35:36], v[35:36], -v[99:100]
	ds_read2_b64 v[99:102], v94 offset0:68 offset1:69
	s_waitcnt lgkmcnt(0)
	v_mul_f64 v[39:40], v[101:102], v[97:98]
	v_fma_f64 v[39:40], v[99:100], v[37:38], -v[39:40]
	v_mul_f64 v[99:100], v[99:100], v[97:98]
	v_add_f64 v[29:30], v[29:30], -v[39:40]
	v_fma_f64 v[99:100], v[101:102], v[37:38], v[99:100]
	v_add_f64 v[31:32], v[31:32], -v[99:100]
	ds_read2_b64 v[99:102], v94 offset0:70 offset1:71
	;; [unrolled: 8-line block ×9, first 2 shown]
	s_waitcnt lgkmcnt(0)
	v_mul_f64 v[39:40], v[101:102], v[97:98]
	v_fma_f64 v[39:40], v[99:100], v[37:38], -v[39:40]
	v_mul_f64 v[99:100], v[99:100], v[97:98]
	v_add_f64 v[121:122], v[121:122], -v[39:40]
	v_fma_f64 v[99:100], v[101:102], v[37:38], v[99:100]
	v_mov_b32_e32 v39, v97
	v_mov_b32_e32 v40, v98
	v_add_f64 v[123:124], v[123:124], -v[99:100]
.LBB84_692:
	s_or_b64 exec, exec, s[0:1]
	v_lshl_add_u32 v97, v96, 4, v94
	s_barrier
	ds_write2_b64 v97, v[33:34], v[35:36] offset1:1
	s_waitcnt lgkmcnt(0)
	s_barrier
	ds_read2_b64 v[117:120], v94 offset0:66 offset1:67
	s_cmp_lt_i32 s3, 35
	v_mov_b32_e32 v97, 33
	s_cbranch_scc1 .LBB84_695
; %bb.693:
	v_add_u32_e32 v98, 0x220, v94
	s_mov_b32 s0, 34
	v_mov_b32_e32 v97, 33
.LBB84_694:                             ; =>This Inner Loop Header: Depth=1
	s_waitcnt lgkmcnt(0)
	v_cmp_gt_f64_e32 vcc, 0, v[117:118]
	v_xor_b32_e32 v103, 0x80000000, v118
	ds_read2_b64 v[99:102], v98 offset1:1
	v_xor_b32_e32 v105, 0x80000000, v120
	v_add_u32_e32 v98, 16, v98
	s_waitcnt lgkmcnt(0)
	v_xor_b32_e32 v107, 0x80000000, v102
	v_cndmask_b32_e32 v104, v118, v103, vcc
	v_cmp_gt_f64_e32 vcc, 0, v[119:120]
	v_mov_b32_e32 v103, v117
	v_cndmask_b32_e32 v106, v120, v105, vcc
	v_cmp_gt_f64_e32 vcc, 0, v[99:100]
	v_mov_b32_e32 v105, v119
	v_add_f64 v[103:104], v[103:104], v[105:106]
	v_xor_b32_e32 v105, 0x80000000, v100
	v_cndmask_b32_e32 v106, v100, v105, vcc
	v_cmp_gt_f64_e32 vcc, 0, v[101:102]
	v_mov_b32_e32 v105, v99
	v_cndmask_b32_e32 v108, v102, v107, vcc
	v_mov_b32_e32 v107, v101
	v_add_f64 v[105:106], v[105:106], v[107:108]
	v_cmp_lt_f64_e32 vcc, v[103:104], v[105:106]
	v_cndmask_b32_e32 v117, v117, v99, vcc
	v_mov_b32_e32 v99, s0
	s_add_i32 s0, s0, 1
	v_cndmask_b32_e32 v118, v118, v100, vcc
	v_cndmask_b32_e32 v120, v120, v102, vcc
	;; [unrolled: 1-line block ×4, first 2 shown]
	s_cmp_lg_u32 s3, s0
	s_cbranch_scc1 .LBB84_694
.LBB84_695:
	s_waitcnt lgkmcnt(0)
	v_cmp_eq_f64_e32 vcc, 0, v[117:118]
	v_cmp_eq_f64_e64 s[0:1], 0, v[119:120]
	s_and_b64 s[0:1], vcc, s[0:1]
	s_and_saveexec_b64 s[18:19], s[0:1]
	s_xor_b64 s[0:1], exec, s[18:19]
; %bb.696:
	v_cmp_ne_u32_e32 vcc, 0, v95
	v_cndmask_b32_e32 v95, 34, v95, vcc
; %bb.697:
	s_andn2_saveexec_b64 s[0:1], s[0:1]
	s_cbranch_execz .LBB84_703
; %bb.698:
	v_cmp_ngt_f64_e64 s[18:19], |v[117:118]|, |v[119:120]|
	s_and_saveexec_b64 s[20:21], s[18:19]
	s_xor_b64 s[18:19], exec, s[20:21]
	s_cbranch_execz .LBB84_700
; %bb.699:
	v_div_scale_f64 v[98:99], s[20:21], v[119:120], v[119:120], v[117:118]
	v_rcp_f64_e32 v[100:101], v[98:99]
	v_fma_f64 v[102:103], -v[98:99], v[100:101], 1.0
	v_fma_f64 v[100:101], v[100:101], v[102:103], v[100:101]
	v_div_scale_f64 v[102:103], vcc, v[117:118], v[119:120], v[117:118]
	v_fma_f64 v[104:105], -v[98:99], v[100:101], 1.0
	v_fma_f64 v[100:101], v[100:101], v[104:105], v[100:101]
	v_mul_f64 v[104:105], v[102:103], v[100:101]
	v_fma_f64 v[98:99], -v[98:99], v[104:105], v[102:103]
	v_div_fmas_f64 v[98:99], v[98:99], v[100:101], v[104:105]
	v_div_fixup_f64 v[98:99], v[98:99], v[119:120], v[117:118]
	v_fma_f64 v[100:101], v[117:118], v[98:99], v[119:120]
	v_div_scale_f64 v[102:103], s[20:21], v[100:101], v[100:101], 1.0
	v_div_scale_f64 v[108:109], vcc, 1.0, v[100:101], 1.0
	v_rcp_f64_e32 v[104:105], v[102:103]
	v_fma_f64 v[106:107], -v[102:103], v[104:105], 1.0
	v_fma_f64 v[104:105], v[104:105], v[106:107], v[104:105]
	v_fma_f64 v[106:107], -v[102:103], v[104:105], 1.0
	v_fma_f64 v[104:105], v[104:105], v[106:107], v[104:105]
	v_mul_f64 v[106:107], v[108:109], v[104:105]
	v_fma_f64 v[102:103], -v[102:103], v[106:107], v[108:109]
	v_div_fmas_f64 v[102:103], v[102:103], v[104:105], v[106:107]
	v_div_fixup_f64 v[119:120], v[102:103], v[100:101], 1.0
	v_mul_f64 v[117:118], v[98:99], v[119:120]
	v_xor_b32_e32 v120, 0x80000000, v120
.LBB84_700:
	s_andn2_saveexec_b64 s[18:19], s[18:19]
	s_cbranch_execz .LBB84_702
; %bb.701:
	v_div_scale_f64 v[98:99], s[20:21], v[117:118], v[117:118], v[119:120]
	v_rcp_f64_e32 v[100:101], v[98:99]
	v_fma_f64 v[102:103], -v[98:99], v[100:101], 1.0
	v_fma_f64 v[100:101], v[100:101], v[102:103], v[100:101]
	v_div_scale_f64 v[102:103], vcc, v[119:120], v[117:118], v[119:120]
	v_fma_f64 v[104:105], -v[98:99], v[100:101], 1.0
	v_fma_f64 v[100:101], v[100:101], v[104:105], v[100:101]
	v_mul_f64 v[104:105], v[102:103], v[100:101]
	v_fma_f64 v[98:99], -v[98:99], v[104:105], v[102:103]
	v_div_fmas_f64 v[98:99], v[98:99], v[100:101], v[104:105]
	v_div_fixup_f64 v[98:99], v[98:99], v[117:118], v[119:120]
	v_fma_f64 v[100:101], v[119:120], v[98:99], v[117:118]
	v_div_scale_f64 v[102:103], s[20:21], v[100:101], v[100:101], 1.0
	v_div_scale_f64 v[108:109], vcc, 1.0, v[100:101], 1.0
	v_rcp_f64_e32 v[104:105], v[102:103]
	v_fma_f64 v[106:107], -v[102:103], v[104:105], 1.0
	v_fma_f64 v[104:105], v[104:105], v[106:107], v[104:105]
	v_fma_f64 v[106:107], -v[102:103], v[104:105], 1.0
	v_fma_f64 v[104:105], v[104:105], v[106:107], v[104:105]
	v_mul_f64 v[106:107], v[108:109], v[104:105]
	v_fma_f64 v[102:103], -v[102:103], v[106:107], v[108:109]
	v_div_fmas_f64 v[102:103], v[102:103], v[104:105], v[106:107]
	v_div_fixup_f64 v[117:118], v[102:103], v[100:101], 1.0
	v_mul_f64 v[119:120], v[98:99], -v[117:118]
.LBB84_702:
	s_or_b64 exec, exec, s[18:19]
.LBB84_703:
	s_or_b64 exec, exec, s[0:1]
	v_cmp_ne_u32_e32 vcc, v96, v97
	s_and_saveexec_b64 s[0:1], vcc
	s_xor_b64 s[0:1], exec, s[0:1]
	s_cbranch_execz .LBB84_709
; %bb.704:
	v_cmp_eq_u32_e32 vcc, 33, v96
	s_and_saveexec_b64 s[18:19], vcc
	s_cbranch_execz .LBB84_708
; %bb.705:
	v_cmp_ne_u32_e32 vcc, 33, v97
	s_xor_b64 s[20:21], s[6:7], -1
	s_and_b64 s[22:23], s[20:21], vcc
	s_and_saveexec_b64 s[20:21], s[22:23]
	s_cbranch_execz .LBB84_707
; %bb.706:
	buffer_load_dword v89, off, s[24:27], 0 offset:272 ; 4-byte Folded Reload
	buffer_load_dword v90, off, s[24:27], 0 offset:276 ; 4-byte Folded Reload
	v_ashrrev_i32_e32 v98, 31, v97
	v_lshlrev_b64 v[98:99], 2, v[97:98]
	s_waitcnt vmcnt(1)
	v_add_co_u32_e32 v98, vcc, v89, v98
	s_waitcnt vmcnt(0)
	v_addc_co_u32_e32 v99, vcc, v90, v99, vcc
	global_load_dword v0, v[98:99], off
	global_load_dword v96, v[89:90], off offset:132
	s_waitcnt vmcnt(1)
	global_store_dword v[89:90], v0, off offset:132
	buffer_load_dword v89, off, s[24:27], 0 offset:296 ; 4-byte Folded Reload
	s_nop 0
	buffer_load_dword v90, off, s[24:27], 0 offset:300 ; 4-byte Folded Reload
	buffer_load_dword v91, off, s[24:27], 0 offset:304 ; 4-byte Folded Reload
	;; [unrolled: 1-line block ×3, first 2 shown]
	s_waitcnt vmcnt(5)
	global_store_dword v[98:99], v96, off
.LBB84_707:
	s_or_b64 exec, exec, s[20:21]
	v_mov_b32_e32 v96, v97
	v_mov_b32_e32 v0, v97
.LBB84_708:
	s_or_b64 exec, exec, s[18:19]
.LBB84_709:
	s_andn2_saveexec_b64 s[0:1], s[0:1]
	s_cbranch_execz .LBB84_711
; %bb.710:
	v_mov_b32_e32 v96, 33
	ds_write2_b64 v94, v[29:30], v[31:32] offset0:68 offset1:69
	ds_write2_b64 v94, v[25:26], v[27:28] offset0:70 offset1:71
	;; [unrolled: 1-line block ×9, first 2 shown]
.LBB84_711:
	s_or_b64 exec, exec, s[0:1]
	v_cmp_lt_i32_e32 vcc, 33, v96
	s_waitcnt vmcnt(0) lgkmcnt(0)
	s_barrier
	s_and_saveexec_b64 s[0:1], vcc
	s_cbranch_execz .LBB84_713
; %bb.712:
	v_mul_f64 v[97:98], v[117:118], v[35:36]
	v_mul_f64 v[35:36], v[119:120], v[35:36]
	ds_read2_b64 v[99:102], v94 offset0:68 offset1:69
	v_fma_f64 v[97:98], v[119:120], v[33:34], v[97:98]
	v_fma_f64 v[33:34], v[117:118], v[33:34], -v[35:36]
	s_waitcnt lgkmcnt(0)
	v_mul_f64 v[35:36], v[101:102], v[97:98]
	v_fma_f64 v[35:36], v[99:100], v[33:34], -v[35:36]
	v_mul_f64 v[99:100], v[99:100], v[97:98]
	v_add_f64 v[29:30], v[29:30], -v[35:36]
	v_fma_f64 v[99:100], v[101:102], v[33:34], v[99:100]
	v_add_f64 v[31:32], v[31:32], -v[99:100]
	ds_read2_b64 v[99:102], v94 offset0:70 offset1:71
	s_waitcnt lgkmcnt(0)
	v_mul_f64 v[35:36], v[101:102], v[97:98]
	v_fma_f64 v[35:36], v[99:100], v[33:34], -v[35:36]
	v_mul_f64 v[99:100], v[99:100], v[97:98]
	v_add_f64 v[25:26], v[25:26], -v[35:36]
	v_fma_f64 v[99:100], v[101:102], v[33:34], v[99:100]
	v_add_f64 v[27:28], v[27:28], -v[99:100]
	ds_read2_b64 v[99:102], v94 offset0:72 offset1:73
	;; [unrolled: 8-line block ×8, first 2 shown]
	s_waitcnt lgkmcnt(0)
	v_mul_f64 v[35:36], v[101:102], v[97:98]
	v_fma_f64 v[35:36], v[99:100], v[33:34], -v[35:36]
	v_mul_f64 v[99:100], v[99:100], v[97:98]
	v_add_f64 v[121:122], v[121:122], -v[35:36]
	v_fma_f64 v[99:100], v[101:102], v[33:34], v[99:100]
	v_mov_b32_e32 v35, v97
	v_mov_b32_e32 v36, v98
	v_add_f64 v[123:124], v[123:124], -v[99:100]
.LBB84_713:
	s_or_b64 exec, exec, s[0:1]
	v_lshl_add_u32 v97, v96, 4, v94
	s_barrier
	ds_write2_b64 v97, v[29:30], v[31:32] offset1:1
	s_waitcnt lgkmcnt(0)
	s_barrier
	ds_read2_b64 v[117:120], v94 offset0:68 offset1:69
	s_cmp_lt_i32 s3, 36
	v_mov_b32_e32 v97, 34
	s_cbranch_scc1 .LBB84_716
; %bb.714:
	v_add_u32_e32 v98, 0x230, v94
	s_mov_b32 s0, 35
	v_mov_b32_e32 v97, 34
.LBB84_715:                             ; =>This Inner Loop Header: Depth=1
	s_waitcnt lgkmcnt(0)
	v_cmp_gt_f64_e32 vcc, 0, v[117:118]
	v_xor_b32_e32 v103, 0x80000000, v118
	ds_read2_b64 v[99:102], v98 offset1:1
	v_xor_b32_e32 v105, 0x80000000, v120
	v_add_u32_e32 v98, 16, v98
	s_waitcnt lgkmcnt(0)
	v_xor_b32_e32 v107, 0x80000000, v102
	v_cndmask_b32_e32 v104, v118, v103, vcc
	v_cmp_gt_f64_e32 vcc, 0, v[119:120]
	v_mov_b32_e32 v103, v117
	v_cndmask_b32_e32 v106, v120, v105, vcc
	v_cmp_gt_f64_e32 vcc, 0, v[99:100]
	v_mov_b32_e32 v105, v119
	v_add_f64 v[103:104], v[103:104], v[105:106]
	v_xor_b32_e32 v105, 0x80000000, v100
	v_cndmask_b32_e32 v106, v100, v105, vcc
	v_cmp_gt_f64_e32 vcc, 0, v[101:102]
	v_mov_b32_e32 v105, v99
	v_cndmask_b32_e32 v108, v102, v107, vcc
	v_mov_b32_e32 v107, v101
	v_add_f64 v[105:106], v[105:106], v[107:108]
	v_cmp_lt_f64_e32 vcc, v[103:104], v[105:106]
	v_cndmask_b32_e32 v117, v117, v99, vcc
	v_mov_b32_e32 v99, s0
	s_add_i32 s0, s0, 1
	v_cndmask_b32_e32 v118, v118, v100, vcc
	v_cndmask_b32_e32 v120, v120, v102, vcc
	;; [unrolled: 1-line block ×4, first 2 shown]
	s_cmp_lg_u32 s3, s0
	s_cbranch_scc1 .LBB84_715
.LBB84_716:
	s_waitcnt lgkmcnt(0)
	v_cmp_eq_f64_e32 vcc, 0, v[117:118]
	v_cmp_eq_f64_e64 s[0:1], 0, v[119:120]
	s_and_b64 s[0:1], vcc, s[0:1]
	s_and_saveexec_b64 s[18:19], s[0:1]
	s_xor_b64 s[0:1], exec, s[18:19]
; %bb.717:
	v_cmp_ne_u32_e32 vcc, 0, v95
	v_cndmask_b32_e32 v95, 35, v95, vcc
; %bb.718:
	s_andn2_saveexec_b64 s[0:1], s[0:1]
	s_cbranch_execz .LBB84_724
; %bb.719:
	v_cmp_ngt_f64_e64 s[18:19], |v[117:118]|, |v[119:120]|
	s_and_saveexec_b64 s[20:21], s[18:19]
	s_xor_b64 s[18:19], exec, s[20:21]
	s_cbranch_execz .LBB84_721
; %bb.720:
	v_div_scale_f64 v[98:99], s[20:21], v[119:120], v[119:120], v[117:118]
	v_rcp_f64_e32 v[100:101], v[98:99]
	v_fma_f64 v[102:103], -v[98:99], v[100:101], 1.0
	v_fma_f64 v[100:101], v[100:101], v[102:103], v[100:101]
	v_div_scale_f64 v[102:103], vcc, v[117:118], v[119:120], v[117:118]
	v_fma_f64 v[104:105], -v[98:99], v[100:101], 1.0
	v_fma_f64 v[100:101], v[100:101], v[104:105], v[100:101]
	v_mul_f64 v[104:105], v[102:103], v[100:101]
	v_fma_f64 v[98:99], -v[98:99], v[104:105], v[102:103]
	v_div_fmas_f64 v[98:99], v[98:99], v[100:101], v[104:105]
	v_div_fixup_f64 v[98:99], v[98:99], v[119:120], v[117:118]
	v_fma_f64 v[100:101], v[117:118], v[98:99], v[119:120]
	v_div_scale_f64 v[102:103], s[20:21], v[100:101], v[100:101], 1.0
	v_div_scale_f64 v[108:109], vcc, 1.0, v[100:101], 1.0
	v_rcp_f64_e32 v[104:105], v[102:103]
	v_fma_f64 v[106:107], -v[102:103], v[104:105], 1.0
	v_fma_f64 v[104:105], v[104:105], v[106:107], v[104:105]
	v_fma_f64 v[106:107], -v[102:103], v[104:105], 1.0
	v_fma_f64 v[104:105], v[104:105], v[106:107], v[104:105]
	v_mul_f64 v[106:107], v[108:109], v[104:105]
	v_fma_f64 v[102:103], -v[102:103], v[106:107], v[108:109]
	v_div_fmas_f64 v[102:103], v[102:103], v[104:105], v[106:107]
	v_div_fixup_f64 v[119:120], v[102:103], v[100:101], 1.0
	v_mul_f64 v[117:118], v[98:99], v[119:120]
	v_xor_b32_e32 v120, 0x80000000, v120
.LBB84_721:
	s_andn2_saveexec_b64 s[18:19], s[18:19]
	s_cbranch_execz .LBB84_723
; %bb.722:
	v_div_scale_f64 v[98:99], s[20:21], v[117:118], v[117:118], v[119:120]
	v_rcp_f64_e32 v[100:101], v[98:99]
	v_fma_f64 v[102:103], -v[98:99], v[100:101], 1.0
	v_fma_f64 v[100:101], v[100:101], v[102:103], v[100:101]
	v_div_scale_f64 v[102:103], vcc, v[119:120], v[117:118], v[119:120]
	v_fma_f64 v[104:105], -v[98:99], v[100:101], 1.0
	v_fma_f64 v[100:101], v[100:101], v[104:105], v[100:101]
	v_mul_f64 v[104:105], v[102:103], v[100:101]
	v_fma_f64 v[98:99], -v[98:99], v[104:105], v[102:103]
	v_div_fmas_f64 v[98:99], v[98:99], v[100:101], v[104:105]
	v_div_fixup_f64 v[98:99], v[98:99], v[117:118], v[119:120]
	v_fma_f64 v[100:101], v[119:120], v[98:99], v[117:118]
	v_div_scale_f64 v[102:103], s[20:21], v[100:101], v[100:101], 1.0
	v_div_scale_f64 v[108:109], vcc, 1.0, v[100:101], 1.0
	v_rcp_f64_e32 v[104:105], v[102:103]
	v_fma_f64 v[106:107], -v[102:103], v[104:105], 1.0
	v_fma_f64 v[104:105], v[104:105], v[106:107], v[104:105]
	v_fma_f64 v[106:107], -v[102:103], v[104:105], 1.0
	v_fma_f64 v[104:105], v[104:105], v[106:107], v[104:105]
	v_mul_f64 v[106:107], v[108:109], v[104:105]
	v_fma_f64 v[102:103], -v[102:103], v[106:107], v[108:109]
	v_div_fmas_f64 v[102:103], v[102:103], v[104:105], v[106:107]
	v_div_fixup_f64 v[117:118], v[102:103], v[100:101], 1.0
	v_mul_f64 v[119:120], v[98:99], -v[117:118]
.LBB84_723:
	s_or_b64 exec, exec, s[18:19]
.LBB84_724:
	s_or_b64 exec, exec, s[0:1]
	v_cmp_ne_u32_e32 vcc, v96, v97
	s_and_saveexec_b64 s[0:1], vcc
	s_xor_b64 s[0:1], exec, s[0:1]
	s_cbranch_execz .LBB84_730
; %bb.725:
	v_cmp_eq_u32_e32 vcc, 34, v96
	s_and_saveexec_b64 s[18:19], vcc
	s_cbranch_execz .LBB84_729
; %bb.726:
	v_cmp_ne_u32_e32 vcc, 34, v97
	s_xor_b64 s[20:21], s[6:7], -1
	s_and_b64 s[22:23], s[20:21], vcc
	s_and_saveexec_b64 s[20:21], s[22:23]
	s_cbranch_execz .LBB84_728
; %bb.727:
	buffer_load_dword v89, off, s[24:27], 0 offset:272 ; 4-byte Folded Reload
	buffer_load_dword v90, off, s[24:27], 0 offset:276 ; 4-byte Folded Reload
	v_ashrrev_i32_e32 v98, 31, v97
	v_lshlrev_b64 v[98:99], 2, v[97:98]
	s_waitcnt vmcnt(1)
	v_add_co_u32_e32 v98, vcc, v89, v98
	s_waitcnt vmcnt(0)
	v_addc_co_u32_e32 v99, vcc, v90, v99, vcc
	global_load_dword v0, v[98:99], off
	global_load_dword v96, v[89:90], off offset:136
	s_waitcnt vmcnt(1)
	global_store_dword v[89:90], v0, off offset:136
	buffer_load_dword v89, off, s[24:27], 0 offset:296 ; 4-byte Folded Reload
	s_nop 0
	buffer_load_dword v90, off, s[24:27], 0 offset:300 ; 4-byte Folded Reload
	buffer_load_dword v91, off, s[24:27], 0 offset:304 ; 4-byte Folded Reload
	;; [unrolled: 1-line block ×3, first 2 shown]
	s_waitcnt vmcnt(5)
	global_store_dword v[98:99], v96, off
.LBB84_728:
	s_or_b64 exec, exec, s[20:21]
	v_mov_b32_e32 v96, v97
	v_mov_b32_e32 v0, v97
.LBB84_729:
	s_or_b64 exec, exec, s[18:19]
.LBB84_730:
	s_andn2_saveexec_b64 s[0:1], s[0:1]
	s_cbranch_execz .LBB84_732
; %bb.731:
	v_mov_b32_e32 v96, 34
	ds_write2_b64 v94, v[25:26], v[27:28] offset0:70 offset1:71
	ds_write2_b64 v94, v[21:22], v[23:24] offset0:72 offset1:73
	;; [unrolled: 1-line block ×8, first 2 shown]
.LBB84_732:
	s_or_b64 exec, exec, s[0:1]
	v_cmp_lt_i32_e32 vcc, 34, v96
	s_waitcnt vmcnt(0) lgkmcnt(0)
	s_barrier
	s_and_saveexec_b64 s[0:1], vcc
	s_cbranch_execz .LBB84_734
; %bb.733:
	v_mul_f64 v[97:98], v[117:118], v[31:32]
	v_mul_f64 v[31:32], v[119:120], v[31:32]
	ds_read2_b64 v[99:102], v94 offset0:70 offset1:71
	v_fma_f64 v[97:98], v[119:120], v[29:30], v[97:98]
	v_fma_f64 v[29:30], v[117:118], v[29:30], -v[31:32]
	s_waitcnt lgkmcnt(0)
	v_mul_f64 v[31:32], v[101:102], v[97:98]
	v_fma_f64 v[31:32], v[99:100], v[29:30], -v[31:32]
	v_mul_f64 v[99:100], v[99:100], v[97:98]
	v_add_f64 v[25:26], v[25:26], -v[31:32]
	v_fma_f64 v[99:100], v[101:102], v[29:30], v[99:100]
	v_add_f64 v[27:28], v[27:28], -v[99:100]
	ds_read2_b64 v[99:102], v94 offset0:72 offset1:73
	s_waitcnt lgkmcnt(0)
	v_mul_f64 v[31:32], v[101:102], v[97:98]
	v_fma_f64 v[31:32], v[99:100], v[29:30], -v[31:32]
	v_mul_f64 v[99:100], v[99:100], v[97:98]
	v_add_f64 v[21:22], v[21:22], -v[31:32]
	v_fma_f64 v[99:100], v[101:102], v[29:30], v[99:100]
	v_add_f64 v[23:24], v[23:24], -v[99:100]
	ds_read2_b64 v[99:102], v94 offset0:74 offset1:75
	;; [unrolled: 8-line block ×7, first 2 shown]
	s_waitcnt lgkmcnt(0)
	v_mul_f64 v[31:32], v[101:102], v[97:98]
	v_fma_f64 v[31:32], v[99:100], v[29:30], -v[31:32]
	v_mul_f64 v[99:100], v[99:100], v[97:98]
	v_add_f64 v[121:122], v[121:122], -v[31:32]
	v_fma_f64 v[99:100], v[101:102], v[29:30], v[99:100]
	v_mov_b32_e32 v31, v97
	v_mov_b32_e32 v32, v98
	v_add_f64 v[123:124], v[123:124], -v[99:100]
.LBB84_734:
	s_or_b64 exec, exec, s[0:1]
	v_lshl_add_u32 v97, v96, 4, v94
	s_barrier
	ds_write2_b64 v97, v[25:26], v[27:28] offset1:1
	s_waitcnt lgkmcnt(0)
	s_barrier
	ds_read2_b64 v[117:120], v94 offset0:70 offset1:71
	s_cmp_lt_i32 s3, 37
	v_mov_b32_e32 v97, 35
	s_cbranch_scc1 .LBB84_737
; %bb.735:
	v_add_u32_e32 v98, 0x240, v94
	s_mov_b32 s0, 36
	v_mov_b32_e32 v97, 35
.LBB84_736:                             ; =>This Inner Loop Header: Depth=1
	s_waitcnt lgkmcnt(0)
	v_cmp_gt_f64_e32 vcc, 0, v[117:118]
	v_xor_b32_e32 v103, 0x80000000, v118
	ds_read2_b64 v[99:102], v98 offset1:1
	v_xor_b32_e32 v105, 0x80000000, v120
	v_add_u32_e32 v98, 16, v98
	s_waitcnt lgkmcnt(0)
	v_xor_b32_e32 v107, 0x80000000, v102
	v_cndmask_b32_e32 v104, v118, v103, vcc
	v_cmp_gt_f64_e32 vcc, 0, v[119:120]
	v_mov_b32_e32 v103, v117
	v_cndmask_b32_e32 v106, v120, v105, vcc
	v_cmp_gt_f64_e32 vcc, 0, v[99:100]
	v_mov_b32_e32 v105, v119
	v_add_f64 v[103:104], v[103:104], v[105:106]
	v_xor_b32_e32 v105, 0x80000000, v100
	v_cndmask_b32_e32 v106, v100, v105, vcc
	v_cmp_gt_f64_e32 vcc, 0, v[101:102]
	v_mov_b32_e32 v105, v99
	v_cndmask_b32_e32 v108, v102, v107, vcc
	v_mov_b32_e32 v107, v101
	v_add_f64 v[105:106], v[105:106], v[107:108]
	v_cmp_lt_f64_e32 vcc, v[103:104], v[105:106]
	v_cndmask_b32_e32 v117, v117, v99, vcc
	v_mov_b32_e32 v99, s0
	s_add_i32 s0, s0, 1
	v_cndmask_b32_e32 v118, v118, v100, vcc
	v_cndmask_b32_e32 v120, v120, v102, vcc
	;; [unrolled: 1-line block ×4, first 2 shown]
	s_cmp_lg_u32 s3, s0
	s_cbranch_scc1 .LBB84_736
.LBB84_737:
	s_waitcnt lgkmcnt(0)
	v_cmp_eq_f64_e32 vcc, 0, v[117:118]
	v_cmp_eq_f64_e64 s[0:1], 0, v[119:120]
	s_and_b64 s[0:1], vcc, s[0:1]
	s_and_saveexec_b64 s[18:19], s[0:1]
	s_xor_b64 s[0:1], exec, s[18:19]
; %bb.738:
	v_cmp_ne_u32_e32 vcc, 0, v95
	v_cndmask_b32_e32 v95, 36, v95, vcc
; %bb.739:
	s_andn2_saveexec_b64 s[0:1], s[0:1]
	s_cbranch_execz .LBB84_745
; %bb.740:
	v_cmp_ngt_f64_e64 s[18:19], |v[117:118]|, |v[119:120]|
	s_and_saveexec_b64 s[20:21], s[18:19]
	s_xor_b64 s[18:19], exec, s[20:21]
	s_cbranch_execz .LBB84_742
; %bb.741:
	v_div_scale_f64 v[98:99], s[20:21], v[119:120], v[119:120], v[117:118]
	v_rcp_f64_e32 v[100:101], v[98:99]
	v_fma_f64 v[102:103], -v[98:99], v[100:101], 1.0
	v_fma_f64 v[100:101], v[100:101], v[102:103], v[100:101]
	v_div_scale_f64 v[102:103], vcc, v[117:118], v[119:120], v[117:118]
	v_fma_f64 v[104:105], -v[98:99], v[100:101], 1.0
	v_fma_f64 v[100:101], v[100:101], v[104:105], v[100:101]
	v_mul_f64 v[104:105], v[102:103], v[100:101]
	v_fma_f64 v[98:99], -v[98:99], v[104:105], v[102:103]
	v_div_fmas_f64 v[98:99], v[98:99], v[100:101], v[104:105]
	v_div_fixup_f64 v[98:99], v[98:99], v[119:120], v[117:118]
	v_fma_f64 v[100:101], v[117:118], v[98:99], v[119:120]
	v_div_scale_f64 v[102:103], s[20:21], v[100:101], v[100:101], 1.0
	v_div_scale_f64 v[108:109], vcc, 1.0, v[100:101], 1.0
	v_rcp_f64_e32 v[104:105], v[102:103]
	v_fma_f64 v[106:107], -v[102:103], v[104:105], 1.0
	v_fma_f64 v[104:105], v[104:105], v[106:107], v[104:105]
	v_fma_f64 v[106:107], -v[102:103], v[104:105], 1.0
	v_fma_f64 v[104:105], v[104:105], v[106:107], v[104:105]
	v_mul_f64 v[106:107], v[108:109], v[104:105]
	v_fma_f64 v[102:103], -v[102:103], v[106:107], v[108:109]
	v_div_fmas_f64 v[102:103], v[102:103], v[104:105], v[106:107]
	v_div_fixup_f64 v[119:120], v[102:103], v[100:101], 1.0
	v_mul_f64 v[117:118], v[98:99], v[119:120]
	v_xor_b32_e32 v120, 0x80000000, v120
.LBB84_742:
	s_andn2_saveexec_b64 s[18:19], s[18:19]
	s_cbranch_execz .LBB84_744
; %bb.743:
	v_div_scale_f64 v[98:99], s[20:21], v[117:118], v[117:118], v[119:120]
	v_rcp_f64_e32 v[100:101], v[98:99]
	v_fma_f64 v[102:103], -v[98:99], v[100:101], 1.0
	v_fma_f64 v[100:101], v[100:101], v[102:103], v[100:101]
	v_div_scale_f64 v[102:103], vcc, v[119:120], v[117:118], v[119:120]
	v_fma_f64 v[104:105], -v[98:99], v[100:101], 1.0
	v_fma_f64 v[100:101], v[100:101], v[104:105], v[100:101]
	v_mul_f64 v[104:105], v[102:103], v[100:101]
	v_fma_f64 v[98:99], -v[98:99], v[104:105], v[102:103]
	v_div_fmas_f64 v[98:99], v[98:99], v[100:101], v[104:105]
	v_div_fixup_f64 v[98:99], v[98:99], v[117:118], v[119:120]
	v_fma_f64 v[100:101], v[119:120], v[98:99], v[117:118]
	v_div_scale_f64 v[102:103], s[20:21], v[100:101], v[100:101], 1.0
	v_div_scale_f64 v[108:109], vcc, 1.0, v[100:101], 1.0
	v_rcp_f64_e32 v[104:105], v[102:103]
	v_fma_f64 v[106:107], -v[102:103], v[104:105], 1.0
	v_fma_f64 v[104:105], v[104:105], v[106:107], v[104:105]
	v_fma_f64 v[106:107], -v[102:103], v[104:105], 1.0
	v_fma_f64 v[104:105], v[104:105], v[106:107], v[104:105]
	v_mul_f64 v[106:107], v[108:109], v[104:105]
	v_fma_f64 v[102:103], -v[102:103], v[106:107], v[108:109]
	v_div_fmas_f64 v[102:103], v[102:103], v[104:105], v[106:107]
	v_div_fixup_f64 v[117:118], v[102:103], v[100:101], 1.0
	v_mul_f64 v[119:120], v[98:99], -v[117:118]
.LBB84_744:
	s_or_b64 exec, exec, s[18:19]
.LBB84_745:
	s_or_b64 exec, exec, s[0:1]
	v_cmp_ne_u32_e32 vcc, v96, v97
	s_and_saveexec_b64 s[0:1], vcc
	s_xor_b64 s[0:1], exec, s[0:1]
	s_cbranch_execz .LBB84_751
; %bb.746:
	v_cmp_eq_u32_e32 vcc, 35, v96
	s_and_saveexec_b64 s[18:19], vcc
	s_cbranch_execz .LBB84_750
; %bb.747:
	v_cmp_ne_u32_e32 vcc, 35, v97
	s_xor_b64 s[20:21], s[6:7], -1
	s_and_b64 s[22:23], s[20:21], vcc
	s_and_saveexec_b64 s[20:21], s[22:23]
	s_cbranch_execz .LBB84_749
; %bb.748:
	buffer_load_dword v89, off, s[24:27], 0 offset:272 ; 4-byte Folded Reload
	buffer_load_dword v90, off, s[24:27], 0 offset:276 ; 4-byte Folded Reload
	v_ashrrev_i32_e32 v98, 31, v97
	v_lshlrev_b64 v[98:99], 2, v[97:98]
	s_waitcnt vmcnt(1)
	v_add_co_u32_e32 v98, vcc, v89, v98
	s_waitcnt vmcnt(0)
	v_addc_co_u32_e32 v99, vcc, v90, v99, vcc
	global_load_dword v0, v[98:99], off
	global_load_dword v96, v[89:90], off offset:140
	s_waitcnt vmcnt(1)
	global_store_dword v[89:90], v0, off offset:140
	buffer_load_dword v89, off, s[24:27], 0 offset:296 ; 4-byte Folded Reload
	s_nop 0
	buffer_load_dword v90, off, s[24:27], 0 offset:300 ; 4-byte Folded Reload
	buffer_load_dword v91, off, s[24:27], 0 offset:304 ; 4-byte Folded Reload
	;; [unrolled: 1-line block ×3, first 2 shown]
	s_waitcnt vmcnt(5)
	global_store_dword v[98:99], v96, off
.LBB84_749:
	s_or_b64 exec, exec, s[20:21]
	v_mov_b32_e32 v96, v97
	v_mov_b32_e32 v0, v97
.LBB84_750:
	s_or_b64 exec, exec, s[18:19]
.LBB84_751:
	s_andn2_saveexec_b64 s[0:1], s[0:1]
	s_cbranch_execz .LBB84_753
; %bb.752:
	v_mov_b32_e32 v96, 35
	ds_write2_b64 v94, v[21:22], v[23:24] offset0:72 offset1:73
	ds_write2_b64 v94, v[17:18], v[19:20] offset0:74 offset1:75
	;; [unrolled: 1-line block ×7, first 2 shown]
.LBB84_753:
	s_or_b64 exec, exec, s[0:1]
	v_cmp_lt_i32_e32 vcc, 35, v96
	s_waitcnt vmcnt(0) lgkmcnt(0)
	s_barrier
	s_and_saveexec_b64 s[0:1], vcc
	s_cbranch_execz .LBB84_755
; %bb.754:
	v_mul_f64 v[97:98], v[117:118], v[27:28]
	v_mul_f64 v[27:28], v[119:120], v[27:28]
	ds_read2_b64 v[99:102], v94 offset0:72 offset1:73
	v_fma_f64 v[97:98], v[119:120], v[25:26], v[97:98]
	v_fma_f64 v[25:26], v[117:118], v[25:26], -v[27:28]
	s_waitcnt lgkmcnt(0)
	v_mul_f64 v[27:28], v[101:102], v[97:98]
	v_fma_f64 v[27:28], v[99:100], v[25:26], -v[27:28]
	v_mul_f64 v[99:100], v[99:100], v[97:98]
	v_add_f64 v[21:22], v[21:22], -v[27:28]
	v_fma_f64 v[99:100], v[101:102], v[25:26], v[99:100]
	v_add_f64 v[23:24], v[23:24], -v[99:100]
	ds_read2_b64 v[99:102], v94 offset0:74 offset1:75
	s_waitcnt lgkmcnt(0)
	v_mul_f64 v[27:28], v[101:102], v[97:98]
	v_fma_f64 v[27:28], v[99:100], v[25:26], -v[27:28]
	v_mul_f64 v[99:100], v[99:100], v[97:98]
	v_add_f64 v[17:18], v[17:18], -v[27:28]
	v_fma_f64 v[99:100], v[101:102], v[25:26], v[99:100]
	v_add_f64 v[19:20], v[19:20], -v[99:100]
	ds_read2_b64 v[99:102], v94 offset0:76 offset1:77
	;; [unrolled: 8-line block ×6, first 2 shown]
	s_waitcnt lgkmcnt(0)
	v_mul_f64 v[27:28], v[101:102], v[97:98]
	v_fma_f64 v[27:28], v[99:100], v[25:26], -v[27:28]
	v_mul_f64 v[99:100], v[99:100], v[97:98]
	v_add_f64 v[121:122], v[121:122], -v[27:28]
	v_fma_f64 v[99:100], v[101:102], v[25:26], v[99:100]
	v_mov_b32_e32 v27, v97
	v_mov_b32_e32 v28, v98
	v_add_f64 v[123:124], v[123:124], -v[99:100]
.LBB84_755:
	s_or_b64 exec, exec, s[0:1]
	v_lshl_add_u32 v97, v96, 4, v94
	s_barrier
	ds_write2_b64 v97, v[21:22], v[23:24] offset1:1
	s_waitcnt lgkmcnt(0)
	s_barrier
	ds_read2_b64 v[117:120], v94 offset0:72 offset1:73
	s_cmp_lt_i32 s3, 38
	v_mov_b32_e32 v97, 36
	s_cbranch_scc1 .LBB84_758
; %bb.756:
	v_add_u32_e32 v98, 0x250, v94
	s_mov_b32 s0, 37
	v_mov_b32_e32 v97, 36
.LBB84_757:                             ; =>This Inner Loop Header: Depth=1
	s_waitcnt lgkmcnt(0)
	v_cmp_gt_f64_e32 vcc, 0, v[117:118]
	v_xor_b32_e32 v103, 0x80000000, v118
	ds_read2_b64 v[99:102], v98 offset1:1
	v_xor_b32_e32 v105, 0x80000000, v120
	v_add_u32_e32 v98, 16, v98
	s_waitcnt lgkmcnt(0)
	v_xor_b32_e32 v107, 0x80000000, v102
	v_cndmask_b32_e32 v104, v118, v103, vcc
	v_cmp_gt_f64_e32 vcc, 0, v[119:120]
	v_mov_b32_e32 v103, v117
	v_cndmask_b32_e32 v106, v120, v105, vcc
	v_cmp_gt_f64_e32 vcc, 0, v[99:100]
	v_mov_b32_e32 v105, v119
	v_add_f64 v[103:104], v[103:104], v[105:106]
	v_xor_b32_e32 v105, 0x80000000, v100
	v_cndmask_b32_e32 v106, v100, v105, vcc
	v_cmp_gt_f64_e32 vcc, 0, v[101:102]
	v_mov_b32_e32 v105, v99
	v_cndmask_b32_e32 v108, v102, v107, vcc
	v_mov_b32_e32 v107, v101
	v_add_f64 v[105:106], v[105:106], v[107:108]
	v_cmp_lt_f64_e32 vcc, v[103:104], v[105:106]
	v_cndmask_b32_e32 v117, v117, v99, vcc
	v_mov_b32_e32 v99, s0
	s_add_i32 s0, s0, 1
	v_cndmask_b32_e32 v118, v118, v100, vcc
	v_cndmask_b32_e32 v120, v120, v102, vcc
	;; [unrolled: 1-line block ×4, first 2 shown]
	s_cmp_lg_u32 s3, s0
	s_cbranch_scc1 .LBB84_757
.LBB84_758:
	s_waitcnt lgkmcnt(0)
	v_cmp_eq_f64_e32 vcc, 0, v[117:118]
	v_cmp_eq_f64_e64 s[0:1], 0, v[119:120]
	s_and_b64 s[0:1], vcc, s[0:1]
	s_and_saveexec_b64 s[18:19], s[0:1]
	s_xor_b64 s[0:1], exec, s[18:19]
; %bb.759:
	v_cmp_ne_u32_e32 vcc, 0, v95
	v_cndmask_b32_e32 v95, 37, v95, vcc
; %bb.760:
	s_andn2_saveexec_b64 s[0:1], s[0:1]
	s_cbranch_execz .LBB84_766
; %bb.761:
	v_cmp_ngt_f64_e64 s[18:19], |v[117:118]|, |v[119:120]|
	s_and_saveexec_b64 s[20:21], s[18:19]
	s_xor_b64 s[18:19], exec, s[20:21]
	s_cbranch_execz .LBB84_763
; %bb.762:
	v_div_scale_f64 v[98:99], s[20:21], v[119:120], v[119:120], v[117:118]
	v_rcp_f64_e32 v[100:101], v[98:99]
	v_fma_f64 v[102:103], -v[98:99], v[100:101], 1.0
	v_fma_f64 v[100:101], v[100:101], v[102:103], v[100:101]
	v_div_scale_f64 v[102:103], vcc, v[117:118], v[119:120], v[117:118]
	v_fma_f64 v[104:105], -v[98:99], v[100:101], 1.0
	v_fma_f64 v[100:101], v[100:101], v[104:105], v[100:101]
	v_mul_f64 v[104:105], v[102:103], v[100:101]
	v_fma_f64 v[98:99], -v[98:99], v[104:105], v[102:103]
	v_div_fmas_f64 v[98:99], v[98:99], v[100:101], v[104:105]
	v_div_fixup_f64 v[98:99], v[98:99], v[119:120], v[117:118]
	v_fma_f64 v[100:101], v[117:118], v[98:99], v[119:120]
	v_div_scale_f64 v[102:103], s[20:21], v[100:101], v[100:101], 1.0
	v_div_scale_f64 v[108:109], vcc, 1.0, v[100:101], 1.0
	v_rcp_f64_e32 v[104:105], v[102:103]
	v_fma_f64 v[106:107], -v[102:103], v[104:105], 1.0
	v_fma_f64 v[104:105], v[104:105], v[106:107], v[104:105]
	v_fma_f64 v[106:107], -v[102:103], v[104:105], 1.0
	v_fma_f64 v[104:105], v[104:105], v[106:107], v[104:105]
	v_mul_f64 v[106:107], v[108:109], v[104:105]
	v_fma_f64 v[102:103], -v[102:103], v[106:107], v[108:109]
	v_div_fmas_f64 v[102:103], v[102:103], v[104:105], v[106:107]
	v_div_fixup_f64 v[119:120], v[102:103], v[100:101], 1.0
	v_mul_f64 v[117:118], v[98:99], v[119:120]
	v_xor_b32_e32 v120, 0x80000000, v120
.LBB84_763:
	s_andn2_saveexec_b64 s[18:19], s[18:19]
	s_cbranch_execz .LBB84_765
; %bb.764:
	v_div_scale_f64 v[98:99], s[20:21], v[117:118], v[117:118], v[119:120]
	v_rcp_f64_e32 v[100:101], v[98:99]
	v_fma_f64 v[102:103], -v[98:99], v[100:101], 1.0
	v_fma_f64 v[100:101], v[100:101], v[102:103], v[100:101]
	v_div_scale_f64 v[102:103], vcc, v[119:120], v[117:118], v[119:120]
	v_fma_f64 v[104:105], -v[98:99], v[100:101], 1.0
	v_fma_f64 v[100:101], v[100:101], v[104:105], v[100:101]
	v_mul_f64 v[104:105], v[102:103], v[100:101]
	v_fma_f64 v[98:99], -v[98:99], v[104:105], v[102:103]
	v_div_fmas_f64 v[98:99], v[98:99], v[100:101], v[104:105]
	v_div_fixup_f64 v[98:99], v[98:99], v[117:118], v[119:120]
	v_fma_f64 v[100:101], v[119:120], v[98:99], v[117:118]
	v_div_scale_f64 v[102:103], s[20:21], v[100:101], v[100:101], 1.0
	v_div_scale_f64 v[108:109], vcc, 1.0, v[100:101], 1.0
	v_rcp_f64_e32 v[104:105], v[102:103]
	v_fma_f64 v[106:107], -v[102:103], v[104:105], 1.0
	v_fma_f64 v[104:105], v[104:105], v[106:107], v[104:105]
	v_fma_f64 v[106:107], -v[102:103], v[104:105], 1.0
	v_fma_f64 v[104:105], v[104:105], v[106:107], v[104:105]
	v_mul_f64 v[106:107], v[108:109], v[104:105]
	v_fma_f64 v[102:103], -v[102:103], v[106:107], v[108:109]
	v_div_fmas_f64 v[102:103], v[102:103], v[104:105], v[106:107]
	v_div_fixup_f64 v[117:118], v[102:103], v[100:101], 1.0
	v_mul_f64 v[119:120], v[98:99], -v[117:118]
.LBB84_765:
	s_or_b64 exec, exec, s[18:19]
.LBB84_766:
	s_or_b64 exec, exec, s[0:1]
	v_cmp_ne_u32_e32 vcc, v96, v97
	s_and_saveexec_b64 s[0:1], vcc
	s_xor_b64 s[0:1], exec, s[0:1]
	s_cbranch_execz .LBB84_772
; %bb.767:
	v_cmp_eq_u32_e32 vcc, 36, v96
	s_and_saveexec_b64 s[18:19], vcc
	s_cbranch_execz .LBB84_771
; %bb.768:
	v_cmp_ne_u32_e32 vcc, 36, v97
	s_xor_b64 s[20:21], s[6:7], -1
	s_and_b64 s[22:23], s[20:21], vcc
	s_and_saveexec_b64 s[20:21], s[22:23]
	s_cbranch_execz .LBB84_770
; %bb.769:
	buffer_load_dword v89, off, s[24:27], 0 offset:272 ; 4-byte Folded Reload
	buffer_load_dword v90, off, s[24:27], 0 offset:276 ; 4-byte Folded Reload
	v_ashrrev_i32_e32 v98, 31, v97
	v_lshlrev_b64 v[98:99], 2, v[97:98]
	s_waitcnt vmcnt(1)
	v_add_co_u32_e32 v98, vcc, v89, v98
	s_waitcnt vmcnt(0)
	v_addc_co_u32_e32 v99, vcc, v90, v99, vcc
	global_load_dword v0, v[98:99], off
	global_load_dword v96, v[89:90], off offset:144
	s_waitcnt vmcnt(1)
	global_store_dword v[89:90], v0, off offset:144
	buffer_load_dword v89, off, s[24:27], 0 offset:296 ; 4-byte Folded Reload
	s_nop 0
	buffer_load_dword v90, off, s[24:27], 0 offset:300 ; 4-byte Folded Reload
	buffer_load_dword v91, off, s[24:27], 0 offset:304 ; 4-byte Folded Reload
	;; [unrolled: 1-line block ×3, first 2 shown]
	s_waitcnt vmcnt(5)
	global_store_dword v[98:99], v96, off
.LBB84_770:
	s_or_b64 exec, exec, s[20:21]
	v_mov_b32_e32 v96, v97
	v_mov_b32_e32 v0, v97
.LBB84_771:
	s_or_b64 exec, exec, s[18:19]
.LBB84_772:
	s_andn2_saveexec_b64 s[0:1], s[0:1]
	s_cbranch_execz .LBB84_774
; %bb.773:
	v_mov_b32_e32 v96, 36
	ds_write2_b64 v94, v[17:18], v[19:20] offset0:74 offset1:75
	ds_write2_b64 v94, v[13:14], v[15:16] offset0:76 offset1:77
	;; [unrolled: 1-line block ×6, first 2 shown]
.LBB84_774:
	s_or_b64 exec, exec, s[0:1]
	v_cmp_lt_i32_e32 vcc, 36, v96
	s_waitcnt vmcnt(0) lgkmcnt(0)
	s_barrier
	s_and_saveexec_b64 s[0:1], vcc
	s_cbranch_execz .LBB84_776
; %bb.775:
	v_mul_f64 v[97:98], v[117:118], v[23:24]
	v_mul_f64 v[23:24], v[119:120], v[23:24]
	ds_read2_b64 v[99:102], v94 offset0:74 offset1:75
	v_fma_f64 v[97:98], v[119:120], v[21:22], v[97:98]
	v_fma_f64 v[21:22], v[117:118], v[21:22], -v[23:24]
	s_waitcnt lgkmcnt(0)
	v_mul_f64 v[23:24], v[101:102], v[97:98]
	v_fma_f64 v[23:24], v[99:100], v[21:22], -v[23:24]
	v_mul_f64 v[99:100], v[99:100], v[97:98]
	v_add_f64 v[17:18], v[17:18], -v[23:24]
	v_fma_f64 v[99:100], v[101:102], v[21:22], v[99:100]
	v_add_f64 v[19:20], v[19:20], -v[99:100]
	ds_read2_b64 v[99:102], v94 offset0:76 offset1:77
	s_waitcnt lgkmcnt(0)
	v_mul_f64 v[23:24], v[101:102], v[97:98]
	v_fma_f64 v[23:24], v[99:100], v[21:22], -v[23:24]
	v_mul_f64 v[99:100], v[99:100], v[97:98]
	v_add_f64 v[13:14], v[13:14], -v[23:24]
	v_fma_f64 v[99:100], v[101:102], v[21:22], v[99:100]
	v_add_f64 v[15:16], v[15:16], -v[99:100]
	ds_read2_b64 v[99:102], v94 offset0:78 offset1:79
	;; [unrolled: 8-line block ×5, first 2 shown]
	s_waitcnt lgkmcnt(0)
	v_mul_f64 v[23:24], v[101:102], v[97:98]
	v_fma_f64 v[23:24], v[99:100], v[21:22], -v[23:24]
	v_mul_f64 v[99:100], v[99:100], v[97:98]
	v_add_f64 v[121:122], v[121:122], -v[23:24]
	v_fma_f64 v[99:100], v[101:102], v[21:22], v[99:100]
	v_mov_b32_e32 v23, v97
	v_mov_b32_e32 v24, v98
	v_add_f64 v[123:124], v[123:124], -v[99:100]
.LBB84_776:
	s_or_b64 exec, exec, s[0:1]
	v_lshl_add_u32 v97, v96, 4, v94
	s_barrier
	ds_write2_b64 v97, v[17:18], v[19:20] offset1:1
	s_waitcnt lgkmcnt(0)
	s_barrier
	ds_read2_b64 v[117:120], v94 offset0:74 offset1:75
	s_cmp_lt_i32 s3, 39
	v_mov_b32_e32 v97, 37
	s_cbranch_scc1 .LBB84_779
; %bb.777:
	v_add_u32_e32 v98, 0x260, v94
	s_mov_b32 s0, 38
	v_mov_b32_e32 v97, 37
.LBB84_778:                             ; =>This Inner Loop Header: Depth=1
	s_waitcnt lgkmcnt(0)
	v_cmp_gt_f64_e32 vcc, 0, v[117:118]
	v_xor_b32_e32 v103, 0x80000000, v118
	ds_read2_b64 v[99:102], v98 offset1:1
	v_xor_b32_e32 v105, 0x80000000, v120
	v_add_u32_e32 v98, 16, v98
	s_waitcnt lgkmcnt(0)
	v_xor_b32_e32 v107, 0x80000000, v102
	v_cndmask_b32_e32 v104, v118, v103, vcc
	v_cmp_gt_f64_e32 vcc, 0, v[119:120]
	v_mov_b32_e32 v103, v117
	v_cndmask_b32_e32 v106, v120, v105, vcc
	v_cmp_gt_f64_e32 vcc, 0, v[99:100]
	v_mov_b32_e32 v105, v119
	v_add_f64 v[103:104], v[103:104], v[105:106]
	v_xor_b32_e32 v105, 0x80000000, v100
	v_cndmask_b32_e32 v106, v100, v105, vcc
	v_cmp_gt_f64_e32 vcc, 0, v[101:102]
	v_mov_b32_e32 v105, v99
	v_cndmask_b32_e32 v108, v102, v107, vcc
	v_mov_b32_e32 v107, v101
	v_add_f64 v[105:106], v[105:106], v[107:108]
	v_cmp_lt_f64_e32 vcc, v[103:104], v[105:106]
	v_cndmask_b32_e32 v117, v117, v99, vcc
	v_mov_b32_e32 v99, s0
	s_add_i32 s0, s0, 1
	v_cndmask_b32_e32 v118, v118, v100, vcc
	v_cndmask_b32_e32 v120, v120, v102, vcc
	;; [unrolled: 1-line block ×4, first 2 shown]
	s_cmp_lg_u32 s3, s0
	s_cbranch_scc1 .LBB84_778
.LBB84_779:
	s_waitcnt lgkmcnt(0)
	v_cmp_eq_f64_e32 vcc, 0, v[117:118]
	v_cmp_eq_f64_e64 s[0:1], 0, v[119:120]
	s_and_b64 s[0:1], vcc, s[0:1]
	s_and_saveexec_b64 s[18:19], s[0:1]
	s_xor_b64 s[0:1], exec, s[18:19]
; %bb.780:
	v_cmp_ne_u32_e32 vcc, 0, v95
	v_cndmask_b32_e32 v95, 38, v95, vcc
; %bb.781:
	s_andn2_saveexec_b64 s[0:1], s[0:1]
	s_cbranch_execz .LBB84_787
; %bb.782:
	v_cmp_ngt_f64_e64 s[18:19], |v[117:118]|, |v[119:120]|
	s_and_saveexec_b64 s[20:21], s[18:19]
	s_xor_b64 s[18:19], exec, s[20:21]
	s_cbranch_execz .LBB84_784
; %bb.783:
	v_div_scale_f64 v[98:99], s[20:21], v[119:120], v[119:120], v[117:118]
	v_rcp_f64_e32 v[100:101], v[98:99]
	v_fma_f64 v[102:103], -v[98:99], v[100:101], 1.0
	v_fma_f64 v[100:101], v[100:101], v[102:103], v[100:101]
	v_div_scale_f64 v[102:103], vcc, v[117:118], v[119:120], v[117:118]
	v_fma_f64 v[104:105], -v[98:99], v[100:101], 1.0
	v_fma_f64 v[100:101], v[100:101], v[104:105], v[100:101]
	v_mul_f64 v[104:105], v[102:103], v[100:101]
	v_fma_f64 v[98:99], -v[98:99], v[104:105], v[102:103]
	v_div_fmas_f64 v[98:99], v[98:99], v[100:101], v[104:105]
	v_div_fixup_f64 v[98:99], v[98:99], v[119:120], v[117:118]
	v_fma_f64 v[100:101], v[117:118], v[98:99], v[119:120]
	v_div_scale_f64 v[102:103], s[20:21], v[100:101], v[100:101], 1.0
	v_div_scale_f64 v[108:109], vcc, 1.0, v[100:101], 1.0
	v_rcp_f64_e32 v[104:105], v[102:103]
	v_fma_f64 v[106:107], -v[102:103], v[104:105], 1.0
	v_fma_f64 v[104:105], v[104:105], v[106:107], v[104:105]
	v_fma_f64 v[106:107], -v[102:103], v[104:105], 1.0
	v_fma_f64 v[104:105], v[104:105], v[106:107], v[104:105]
	v_mul_f64 v[106:107], v[108:109], v[104:105]
	v_fma_f64 v[102:103], -v[102:103], v[106:107], v[108:109]
	v_div_fmas_f64 v[102:103], v[102:103], v[104:105], v[106:107]
	v_div_fixup_f64 v[119:120], v[102:103], v[100:101], 1.0
	v_mul_f64 v[117:118], v[98:99], v[119:120]
	v_xor_b32_e32 v120, 0x80000000, v120
.LBB84_784:
	s_andn2_saveexec_b64 s[18:19], s[18:19]
	s_cbranch_execz .LBB84_786
; %bb.785:
	v_div_scale_f64 v[98:99], s[20:21], v[117:118], v[117:118], v[119:120]
	v_rcp_f64_e32 v[100:101], v[98:99]
	v_fma_f64 v[102:103], -v[98:99], v[100:101], 1.0
	v_fma_f64 v[100:101], v[100:101], v[102:103], v[100:101]
	v_div_scale_f64 v[102:103], vcc, v[119:120], v[117:118], v[119:120]
	v_fma_f64 v[104:105], -v[98:99], v[100:101], 1.0
	v_fma_f64 v[100:101], v[100:101], v[104:105], v[100:101]
	v_mul_f64 v[104:105], v[102:103], v[100:101]
	v_fma_f64 v[98:99], -v[98:99], v[104:105], v[102:103]
	v_div_fmas_f64 v[98:99], v[98:99], v[100:101], v[104:105]
	v_div_fixup_f64 v[98:99], v[98:99], v[117:118], v[119:120]
	v_fma_f64 v[100:101], v[119:120], v[98:99], v[117:118]
	v_div_scale_f64 v[102:103], s[20:21], v[100:101], v[100:101], 1.0
	v_div_scale_f64 v[108:109], vcc, 1.0, v[100:101], 1.0
	v_rcp_f64_e32 v[104:105], v[102:103]
	v_fma_f64 v[106:107], -v[102:103], v[104:105], 1.0
	v_fma_f64 v[104:105], v[104:105], v[106:107], v[104:105]
	v_fma_f64 v[106:107], -v[102:103], v[104:105], 1.0
	v_fma_f64 v[104:105], v[104:105], v[106:107], v[104:105]
	v_mul_f64 v[106:107], v[108:109], v[104:105]
	v_fma_f64 v[102:103], -v[102:103], v[106:107], v[108:109]
	v_div_fmas_f64 v[102:103], v[102:103], v[104:105], v[106:107]
	v_div_fixup_f64 v[117:118], v[102:103], v[100:101], 1.0
	v_mul_f64 v[119:120], v[98:99], -v[117:118]
.LBB84_786:
	s_or_b64 exec, exec, s[18:19]
.LBB84_787:
	s_or_b64 exec, exec, s[0:1]
	v_cmp_ne_u32_e32 vcc, v96, v97
	s_and_saveexec_b64 s[0:1], vcc
	s_xor_b64 s[0:1], exec, s[0:1]
	s_cbranch_execz .LBB84_793
; %bb.788:
	v_cmp_eq_u32_e32 vcc, 37, v96
	s_and_saveexec_b64 s[18:19], vcc
	s_cbranch_execz .LBB84_792
; %bb.789:
	v_cmp_ne_u32_e32 vcc, 37, v97
	s_xor_b64 s[20:21], s[6:7], -1
	s_and_b64 s[22:23], s[20:21], vcc
	s_and_saveexec_b64 s[20:21], s[22:23]
	s_cbranch_execz .LBB84_791
; %bb.790:
	buffer_load_dword v89, off, s[24:27], 0 offset:272 ; 4-byte Folded Reload
	buffer_load_dword v90, off, s[24:27], 0 offset:276 ; 4-byte Folded Reload
	v_ashrrev_i32_e32 v98, 31, v97
	v_lshlrev_b64 v[98:99], 2, v[97:98]
	s_waitcnt vmcnt(1)
	v_add_co_u32_e32 v98, vcc, v89, v98
	s_waitcnt vmcnt(0)
	v_addc_co_u32_e32 v99, vcc, v90, v99, vcc
	global_load_dword v0, v[98:99], off
	global_load_dword v96, v[89:90], off offset:148
	s_waitcnt vmcnt(1)
	global_store_dword v[89:90], v0, off offset:148
	buffer_load_dword v89, off, s[24:27], 0 offset:296 ; 4-byte Folded Reload
	s_nop 0
	buffer_load_dword v90, off, s[24:27], 0 offset:300 ; 4-byte Folded Reload
	buffer_load_dword v91, off, s[24:27], 0 offset:304 ; 4-byte Folded Reload
	;; [unrolled: 1-line block ×3, first 2 shown]
	s_waitcnt vmcnt(5)
	global_store_dword v[98:99], v96, off
.LBB84_791:
	s_or_b64 exec, exec, s[20:21]
	v_mov_b32_e32 v96, v97
	v_mov_b32_e32 v0, v97
.LBB84_792:
	s_or_b64 exec, exec, s[18:19]
.LBB84_793:
	s_andn2_saveexec_b64 s[0:1], s[0:1]
	s_cbranch_execz .LBB84_795
; %bb.794:
	v_mov_b32_e32 v96, 37
	ds_write2_b64 v94, v[13:14], v[15:16] offset0:76 offset1:77
	ds_write2_b64 v94, v[9:10], v[11:12] offset0:78 offset1:79
	;; [unrolled: 1-line block ×5, first 2 shown]
.LBB84_795:
	s_or_b64 exec, exec, s[0:1]
	v_cmp_lt_i32_e32 vcc, 37, v96
	s_waitcnt vmcnt(0) lgkmcnt(0)
	s_barrier
	s_and_saveexec_b64 s[0:1], vcc
	s_cbranch_execz .LBB84_797
; %bb.796:
	v_mul_f64 v[97:98], v[117:118], v[19:20]
	v_mul_f64 v[19:20], v[119:120], v[19:20]
	v_fma_f64 v[101:102], v[119:120], v[17:18], v[97:98]
	ds_read2_b64 v[97:100], v94 offset0:76 offset1:77
	v_fma_f64 v[17:18], v[117:118], v[17:18], -v[19:20]
	s_waitcnt lgkmcnt(0)
	v_mul_f64 v[19:20], v[99:100], v[101:102]
	v_fma_f64 v[19:20], v[97:98], v[17:18], -v[19:20]
	v_mul_f64 v[97:98], v[97:98], v[101:102]
	v_add_f64 v[13:14], v[13:14], -v[19:20]
	v_fma_f64 v[97:98], v[99:100], v[17:18], v[97:98]
	v_add_f64 v[15:16], v[15:16], -v[97:98]
	ds_read2_b64 v[97:100], v94 offset0:78 offset1:79
	s_waitcnt lgkmcnt(0)
	v_mul_f64 v[19:20], v[99:100], v[101:102]
	v_fma_f64 v[19:20], v[97:98], v[17:18], -v[19:20]
	v_mul_f64 v[97:98], v[97:98], v[101:102]
	v_add_f64 v[9:10], v[9:10], -v[19:20]
	v_fma_f64 v[97:98], v[99:100], v[17:18], v[97:98]
	v_add_f64 v[11:12], v[11:12], -v[97:98]
	ds_read2_b64 v[97:100], v94 offset0:80 offset1:81
	;; [unrolled: 8-line block ×4, first 2 shown]
	s_waitcnt lgkmcnt(0)
	v_mul_f64 v[19:20], v[99:100], v[101:102]
	v_fma_f64 v[19:20], v[97:98], v[17:18], -v[19:20]
	v_mul_f64 v[97:98], v[97:98], v[101:102]
	v_add_f64 v[121:122], v[121:122], -v[19:20]
	v_fma_f64 v[97:98], v[99:100], v[17:18], v[97:98]
	v_mov_b32_e32 v19, v101
	v_mov_b32_e32 v20, v102
	v_add_f64 v[123:124], v[123:124], -v[97:98]
.LBB84_797:
	s_or_b64 exec, exec, s[0:1]
	v_lshl_add_u32 v97, v96, 4, v94
	s_barrier
	ds_write2_b64 v97, v[13:14], v[15:16] offset1:1
	s_waitcnt lgkmcnt(0)
	s_barrier
	ds_read2_b64 v[117:120], v94 offset0:76 offset1:77
	s_cmp_lt_i32 s3, 40
	v_mov_b32_e32 v97, 38
	s_cbranch_scc1 .LBB84_800
; %bb.798:
	v_add_u32_e32 v98, 0x270, v94
	s_mov_b32 s0, 39
	v_mov_b32_e32 v97, 38
.LBB84_799:                             ; =>This Inner Loop Header: Depth=1
	s_waitcnt lgkmcnt(0)
	v_cmp_gt_f64_e32 vcc, 0, v[117:118]
	v_xor_b32_e32 v103, 0x80000000, v118
	ds_read2_b64 v[99:102], v98 offset1:1
	v_xor_b32_e32 v105, 0x80000000, v120
	v_add_u32_e32 v98, 16, v98
	s_waitcnt lgkmcnt(0)
	v_xor_b32_e32 v107, 0x80000000, v102
	v_cndmask_b32_e32 v104, v118, v103, vcc
	v_cmp_gt_f64_e32 vcc, 0, v[119:120]
	v_mov_b32_e32 v103, v117
	v_cndmask_b32_e32 v106, v120, v105, vcc
	v_cmp_gt_f64_e32 vcc, 0, v[99:100]
	v_mov_b32_e32 v105, v119
	v_add_f64 v[103:104], v[103:104], v[105:106]
	v_xor_b32_e32 v105, 0x80000000, v100
	v_cndmask_b32_e32 v106, v100, v105, vcc
	v_cmp_gt_f64_e32 vcc, 0, v[101:102]
	v_mov_b32_e32 v105, v99
	v_cndmask_b32_e32 v108, v102, v107, vcc
	v_mov_b32_e32 v107, v101
	v_add_f64 v[105:106], v[105:106], v[107:108]
	v_cmp_lt_f64_e32 vcc, v[103:104], v[105:106]
	v_cndmask_b32_e32 v117, v117, v99, vcc
	v_mov_b32_e32 v99, s0
	s_add_i32 s0, s0, 1
	v_cndmask_b32_e32 v118, v118, v100, vcc
	v_cndmask_b32_e32 v120, v120, v102, vcc
	;; [unrolled: 1-line block ×4, first 2 shown]
	s_cmp_lg_u32 s3, s0
	s_cbranch_scc1 .LBB84_799
.LBB84_800:
	s_waitcnt lgkmcnt(0)
	v_cmp_eq_f64_e32 vcc, 0, v[117:118]
	v_cmp_eq_f64_e64 s[0:1], 0, v[119:120]
	s_and_b64 s[0:1], vcc, s[0:1]
	s_and_saveexec_b64 s[18:19], s[0:1]
	s_xor_b64 s[0:1], exec, s[18:19]
; %bb.801:
	v_cmp_ne_u32_e32 vcc, 0, v95
	v_cndmask_b32_e32 v95, 39, v95, vcc
; %bb.802:
	s_andn2_saveexec_b64 s[0:1], s[0:1]
	s_cbranch_execz .LBB84_808
; %bb.803:
	v_cmp_ngt_f64_e64 s[18:19], |v[117:118]|, |v[119:120]|
	s_and_saveexec_b64 s[20:21], s[18:19]
	s_xor_b64 s[18:19], exec, s[20:21]
	s_cbranch_execz .LBB84_805
; %bb.804:
	v_div_scale_f64 v[98:99], s[20:21], v[119:120], v[119:120], v[117:118]
	v_rcp_f64_e32 v[100:101], v[98:99]
	v_fma_f64 v[102:103], -v[98:99], v[100:101], 1.0
	v_fma_f64 v[100:101], v[100:101], v[102:103], v[100:101]
	v_div_scale_f64 v[102:103], vcc, v[117:118], v[119:120], v[117:118]
	v_fma_f64 v[104:105], -v[98:99], v[100:101], 1.0
	v_fma_f64 v[100:101], v[100:101], v[104:105], v[100:101]
	v_mul_f64 v[104:105], v[102:103], v[100:101]
	v_fma_f64 v[98:99], -v[98:99], v[104:105], v[102:103]
	v_div_fmas_f64 v[98:99], v[98:99], v[100:101], v[104:105]
	v_div_fixup_f64 v[98:99], v[98:99], v[119:120], v[117:118]
	v_fma_f64 v[100:101], v[117:118], v[98:99], v[119:120]
	v_div_scale_f64 v[102:103], s[20:21], v[100:101], v[100:101], 1.0
	v_div_scale_f64 v[108:109], vcc, 1.0, v[100:101], 1.0
	v_rcp_f64_e32 v[104:105], v[102:103]
	v_fma_f64 v[106:107], -v[102:103], v[104:105], 1.0
	v_fma_f64 v[104:105], v[104:105], v[106:107], v[104:105]
	v_fma_f64 v[106:107], -v[102:103], v[104:105], 1.0
	v_fma_f64 v[104:105], v[104:105], v[106:107], v[104:105]
	v_mul_f64 v[106:107], v[108:109], v[104:105]
	v_fma_f64 v[102:103], -v[102:103], v[106:107], v[108:109]
	v_div_fmas_f64 v[102:103], v[102:103], v[104:105], v[106:107]
	v_div_fixup_f64 v[119:120], v[102:103], v[100:101], 1.0
	v_mul_f64 v[117:118], v[98:99], v[119:120]
	v_xor_b32_e32 v120, 0x80000000, v120
.LBB84_805:
	s_andn2_saveexec_b64 s[18:19], s[18:19]
	s_cbranch_execz .LBB84_807
; %bb.806:
	v_div_scale_f64 v[98:99], s[20:21], v[117:118], v[117:118], v[119:120]
	v_rcp_f64_e32 v[100:101], v[98:99]
	v_fma_f64 v[102:103], -v[98:99], v[100:101], 1.0
	v_fma_f64 v[100:101], v[100:101], v[102:103], v[100:101]
	v_div_scale_f64 v[102:103], vcc, v[119:120], v[117:118], v[119:120]
	v_fma_f64 v[104:105], -v[98:99], v[100:101], 1.0
	v_fma_f64 v[100:101], v[100:101], v[104:105], v[100:101]
	v_mul_f64 v[104:105], v[102:103], v[100:101]
	v_fma_f64 v[98:99], -v[98:99], v[104:105], v[102:103]
	v_div_fmas_f64 v[98:99], v[98:99], v[100:101], v[104:105]
	v_div_fixup_f64 v[98:99], v[98:99], v[117:118], v[119:120]
	v_fma_f64 v[100:101], v[119:120], v[98:99], v[117:118]
	v_div_scale_f64 v[102:103], s[20:21], v[100:101], v[100:101], 1.0
	v_div_scale_f64 v[108:109], vcc, 1.0, v[100:101], 1.0
	v_rcp_f64_e32 v[104:105], v[102:103]
	v_fma_f64 v[106:107], -v[102:103], v[104:105], 1.0
	v_fma_f64 v[104:105], v[104:105], v[106:107], v[104:105]
	v_fma_f64 v[106:107], -v[102:103], v[104:105], 1.0
	v_fma_f64 v[104:105], v[104:105], v[106:107], v[104:105]
	v_mul_f64 v[106:107], v[108:109], v[104:105]
	v_fma_f64 v[102:103], -v[102:103], v[106:107], v[108:109]
	v_div_fmas_f64 v[102:103], v[102:103], v[104:105], v[106:107]
	v_div_fixup_f64 v[117:118], v[102:103], v[100:101], 1.0
	v_mul_f64 v[119:120], v[98:99], -v[117:118]
.LBB84_807:
	s_or_b64 exec, exec, s[18:19]
.LBB84_808:
	s_or_b64 exec, exec, s[0:1]
	v_cmp_ne_u32_e32 vcc, v96, v97
	s_and_saveexec_b64 s[0:1], vcc
	s_xor_b64 s[0:1], exec, s[0:1]
	s_cbranch_execz .LBB84_814
; %bb.809:
	v_cmp_eq_u32_e32 vcc, 38, v96
	s_and_saveexec_b64 s[18:19], vcc
	s_cbranch_execz .LBB84_813
; %bb.810:
	v_cmp_ne_u32_e32 vcc, 38, v97
	s_xor_b64 s[20:21], s[6:7], -1
	s_and_b64 s[22:23], s[20:21], vcc
	s_and_saveexec_b64 s[20:21], s[22:23]
	s_cbranch_execz .LBB84_812
; %bb.811:
	buffer_load_dword v89, off, s[24:27], 0 offset:272 ; 4-byte Folded Reload
	buffer_load_dword v90, off, s[24:27], 0 offset:276 ; 4-byte Folded Reload
	v_ashrrev_i32_e32 v98, 31, v97
	v_lshlrev_b64 v[98:99], 2, v[97:98]
	s_waitcnt vmcnt(1)
	v_add_co_u32_e32 v98, vcc, v89, v98
	s_waitcnt vmcnt(0)
	v_addc_co_u32_e32 v99, vcc, v90, v99, vcc
	global_load_dword v0, v[98:99], off
	global_load_dword v96, v[89:90], off offset:152
	s_waitcnt vmcnt(1)
	global_store_dword v[89:90], v0, off offset:152
	buffer_load_dword v89, off, s[24:27], 0 offset:296 ; 4-byte Folded Reload
	s_nop 0
	buffer_load_dword v90, off, s[24:27], 0 offset:300 ; 4-byte Folded Reload
	buffer_load_dword v91, off, s[24:27], 0 offset:304 ; 4-byte Folded Reload
	;; [unrolled: 1-line block ×3, first 2 shown]
	s_waitcnt vmcnt(5)
	global_store_dword v[98:99], v96, off
.LBB84_812:
	s_or_b64 exec, exec, s[20:21]
	v_mov_b32_e32 v96, v97
	v_mov_b32_e32 v0, v97
.LBB84_813:
	s_or_b64 exec, exec, s[18:19]
.LBB84_814:
	s_andn2_saveexec_b64 s[0:1], s[0:1]
	s_cbranch_execz .LBB84_816
; %bb.815:
	v_mov_b32_e32 v96, 38
	ds_write2_b64 v94, v[9:10], v[11:12] offset0:78 offset1:79
	ds_write2_b64 v94, v[5:6], v[7:8] offset0:80 offset1:81
	;; [unrolled: 1-line block ×4, first 2 shown]
.LBB84_816:
	s_or_b64 exec, exec, s[0:1]
	v_cmp_lt_i32_e32 vcc, 38, v96
	s_waitcnt vmcnt(0) lgkmcnt(0)
	s_barrier
	s_and_saveexec_b64 s[0:1], vcc
	s_cbranch_execz .LBB84_818
; %bb.817:
	v_mul_f64 v[97:98], v[117:118], v[15:16]
	v_mul_f64 v[15:16], v[119:120], v[15:16]
	v_fma_f64 v[101:102], v[119:120], v[13:14], v[97:98]
	ds_read2_b64 v[97:100], v94 offset0:78 offset1:79
	v_fma_f64 v[13:14], v[117:118], v[13:14], -v[15:16]
	s_waitcnt lgkmcnt(0)
	v_mul_f64 v[15:16], v[99:100], v[101:102]
	v_fma_f64 v[15:16], v[97:98], v[13:14], -v[15:16]
	v_mul_f64 v[97:98], v[97:98], v[101:102]
	v_add_f64 v[9:10], v[9:10], -v[15:16]
	v_fma_f64 v[97:98], v[99:100], v[13:14], v[97:98]
	v_add_f64 v[11:12], v[11:12], -v[97:98]
	ds_read2_b64 v[97:100], v94 offset0:80 offset1:81
	s_waitcnt lgkmcnt(0)
	v_mul_f64 v[15:16], v[99:100], v[101:102]
	v_fma_f64 v[15:16], v[97:98], v[13:14], -v[15:16]
	v_mul_f64 v[97:98], v[97:98], v[101:102]
	v_add_f64 v[5:6], v[5:6], -v[15:16]
	v_fma_f64 v[97:98], v[99:100], v[13:14], v[97:98]
	v_add_f64 v[7:8], v[7:8], -v[97:98]
	ds_read2_b64 v[97:100], v94 offset0:82 offset1:83
	;; [unrolled: 8-line block ×3, first 2 shown]
	s_waitcnt lgkmcnt(0)
	v_mul_f64 v[15:16], v[99:100], v[101:102]
	v_fma_f64 v[15:16], v[97:98], v[13:14], -v[15:16]
	v_mul_f64 v[97:98], v[97:98], v[101:102]
	v_add_f64 v[121:122], v[121:122], -v[15:16]
	v_fma_f64 v[97:98], v[99:100], v[13:14], v[97:98]
	v_mov_b32_e32 v15, v101
	v_mov_b32_e32 v16, v102
	v_add_f64 v[123:124], v[123:124], -v[97:98]
.LBB84_818:
	s_or_b64 exec, exec, s[0:1]
	v_lshl_add_u32 v97, v96, 4, v94
	s_barrier
	ds_write2_b64 v97, v[9:10], v[11:12] offset1:1
	s_waitcnt lgkmcnt(0)
	s_barrier
	ds_read2_b64 v[117:120], v94 offset0:78 offset1:79
	s_cmp_lt_i32 s3, 41
	v_mov_b32_e32 v97, 39
	s_cbranch_scc1 .LBB84_821
; %bb.819:
	v_add_u32_e32 v98, 0x280, v94
	s_mov_b32 s0, 40
	v_mov_b32_e32 v97, 39
.LBB84_820:                             ; =>This Inner Loop Header: Depth=1
	s_waitcnt lgkmcnt(0)
	v_cmp_gt_f64_e32 vcc, 0, v[117:118]
	v_xor_b32_e32 v103, 0x80000000, v118
	ds_read2_b64 v[99:102], v98 offset1:1
	v_xor_b32_e32 v105, 0x80000000, v120
	v_add_u32_e32 v98, 16, v98
	s_waitcnt lgkmcnt(0)
	v_xor_b32_e32 v107, 0x80000000, v102
	v_cndmask_b32_e32 v104, v118, v103, vcc
	v_cmp_gt_f64_e32 vcc, 0, v[119:120]
	v_mov_b32_e32 v103, v117
	v_cndmask_b32_e32 v106, v120, v105, vcc
	v_cmp_gt_f64_e32 vcc, 0, v[99:100]
	v_mov_b32_e32 v105, v119
	v_add_f64 v[103:104], v[103:104], v[105:106]
	v_xor_b32_e32 v105, 0x80000000, v100
	v_cndmask_b32_e32 v106, v100, v105, vcc
	v_cmp_gt_f64_e32 vcc, 0, v[101:102]
	v_mov_b32_e32 v105, v99
	v_cndmask_b32_e32 v108, v102, v107, vcc
	v_mov_b32_e32 v107, v101
	v_add_f64 v[105:106], v[105:106], v[107:108]
	v_cmp_lt_f64_e32 vcc, v[103:104], v[105:106]
	v_cndmask_b32_e32 v117, v117, v99, vcc
	v_mov_b32_e32 v99, s0
	s_add_i32 s0, s0, 1
	v_cndmask_b32_e32 v118, v118, v100, vcc
	v_cndmask_b32_e32 v120, v120, v102, vcc
	;; [unrolled: 1-line block ×4, first 2 shown]
	s_cmp_lg_u32 s3, s0
	s_cbranch_scc1 .LBB84_820
.LBB84_821:
	s_waitcnt lgkmcnt(0)
	v_cmp_eq_f64_e32 vcc, 0, v[117:118]
	v_cmp_eq_f64_e64 s[0:1], 0, v[119:120]
	s_and_b64 s[0:1], vcc, s[0:1]
	s_and_saveexec_b64 s[18:19], s[0:1]
	s_xor_b64 s[0:1], exec, s[18:19]
; %bb.822:
	v_cmp_ne_u32_e32 vcc, 0, v95
	v_cndmask_b32_e32 v95, 40, v95, vcc
; %bb.823:
	s_andn2_saveexec_b64 s[0:1], s[0:1]
	s_cbranch_execz .LBB84_829
; %bb.824:
	v_cmp_ngt_f64_e64 s[18:19], |v[117:118]|, |v[119:120]|
	s_and_saveexec_b64 s[20:21], s[18:19]
	s_xor_b64 s[18:19], exec, s[20:21]
	s_cbranch_execz .LBB84_826
; %bb.825:
	v_div_scale_f64 v[98:99], s[20:21], v[119:120], v[119:120], v[117:118]
	v_rcp_f64_e32 v[100:101], v[98:99]
	v_fma_f64 v[102:103], -v[98:99], v[100:101], 1.0
	v_fma_f64 v[100:101], v[100:101], v[102:103], v[100:101]
	v_div_scale_f64 v[102:103], vcc, v[117:118], v[119:120], v[117:118]
	v_fma_f64 v[104:105], -v[98:99], v[100:101], 1.0
	v_fma_f64 v[100:101], v[100:101], v[104:105], v[100:101]
	v_mul_f64 v[104:105], v[102:103], v[100:101]
	v_fma_f64 v[98:99], -v[98:99], v[104:105], v[102:103]
	v_div_fmas_f64 v[98:99], v[98:99], v[100:101], v[104:105]
	v_div_fixup_f64 v[98:99], v[98:99], v[119:120], v[117:118]
	v_fma_f64 v[100:101], v[117:118], v[98:99], v[119:120]
	v_div_scale_f64 v[102:103], s[20:21], v[100:101], v[100:101], 1.0
	v_div_scale_f64 v[108:109], vcc, 1.0, v[100:101], 1.0
	v_rcp_f64_e32 v[104:105], v[102:103]
	v_fma_f64 v[106:107], -v[102:103], v[104:105], 1.0
	v_fma_f64 v[104:105], v[104:105], v[106:107], v[104:105]
	v_fma_f64 v[106:107], -v[102:103], v[104:105], 1.0
	v_fma_f64 v[104:105], v[104:105], v[106:107], v[104:105]
	v_mul_f64 v[106:107], v[108:109], v[104:105]
	v_fma_f64 v[102:103], -v[102:103], v[106:107], v[108:109]
	v_div_fmas_f64 v[102:103], v[102:103], v[104:105], v[106:107]
	v_div_fixup_f64 v[119:120], v[102:103], v[100:101], 1.0
	v_mul_f64 v[117:118], v[98:99], v[119:120]
	v_xor_b32_e32 v120, 0x80000000, v120
.LBB84_826:
	s_andn2_saveexec_b64 s[18:19], s[18:19]
	s_cbranch_execz .LBB84_828
; %bb.827:
	v_div_scale_f64 v[98:99], s[20:21], v[117:118], v[117:118], v[119:120]
	v_rcp_f64_e32 v[100:101], v[98:99]
	v_fma_f64 v[102:103], -v[98:99], v[100:101], 1.0
	v_fma_f64 v[100:101], v[100:101], v[102:103], v[100:101]
	v_div_scale_f64 v[102:103], vcc, v[119:120], v[117:118], v[119:120]
	v_fma_f64 v[104:105], -v[98:99], v[100:101], 1.0
	v_fma_f64 v[100:101], v[100:101], v[104:105], v[100:101]
	v_mul_f64 v[104:105], v[102:103], v[100:101]
	v_fma_f64 v[98:99], -v[98:99], v[104:105], v[102:103]
	v_div_fmas_f64 v[98:99], v[98:99], v[100:101], v[104:105]
	v_div_fixup_f64 v[98:99], v[98:99], v[117:118], v[119:120]
	v_fma_f64 v[100:101], v[119:120], v[98:99], v[117:118]
	v_div_scale_f64 v[102:103], s[20:21], v[100:101], v[100:101], 1.0
	v_div_scale_f64 v[108:109], vcc, 1.0, v[100:101], 1.0
	v_rcp_f64_e32 v[104:105], v[102:103]
	v_fma_f64 v[106:107], -v[102:103], v[104:105], 1.0
	v_fma_f64 v[104:105], v[104:105], v[106:107], v[104:105]
	v_fma_f64 v[106:107], -v[102:103], v[104:105], 1.0
	v_fma_f64 v[104:105], v[104:105], v[106:107], v[104:105]
	v_mul_f64 v[106:107], v[108:109], v[104:105]
	v_fma_f64 v[102:103], -v[102:103], v[106:107], v[108:109]
	v_div_fmas_f64 v[102:103], v[102:103], v[104:105], v[106:107]
	v_div_fixup_f64 v[117:118], v[102:103], v[100:101], 1.0
	v_mul_f64 v[119:120], v[98:99], -v[117:118]
.LBB84_828:
	s_or_b64 exec, exec, s[18:19]
.LBB84_829:
	s_or_b64 exec, exec, s[0:1]
	v_cmp_ne_u32_e32 vcc, v96, v97
	s_and_saveexec_b64 s[0:1], vcc
	s_xor_b64 s[0:1], exec, s[0:1]
	s_cbranch_execz .LBB84_835
; %bb.830:
	v_cmp_eq_u32_e32 vcc, 39, v96
	s_and_saveexec_b64 s[18:19], vcc
	s_cbranch_execz .LBB84_834
; %bb.831:
	v_cmp_ne_u32_e32 vcc, 39, v97
	s_xor_b64 s[20:21], s[6:7], -1
	s_and_b64 s[22:23], s[20:21], vcc
	s_and_saveexec_b64 s[20:21], s[22:23]
	s_cbranch_execz .LBB84_833
; %bb.832:
	buffer_load_dword v89, off, s[24:27], 0 offset:272 ; 4-byte Folded Reload
	buffer_load_dword v90, off, s[24:27], 0 offset:276 ; 4-byte Folded Reload
	v_ashrrev_i32_e32 v98, 31, v97
	v_lshlrev_b64 v[98:99], 2, v[97:98]
	s_waitcnt vmcnt(1)
	v_add_co_u32_e32 v98, vcc, v89, v98
	s_waitcnt vmcnt(0)
	v_addc_co_u32_e32 v99, vcc, v90, v99, vcc
	global_load_dword v0, v[98:99], off
	global_load_dword v96, v[89:90], off offset:156
	s_waitcnt vmcnt(1)
	global_store_dword v[89:90], v0, off offset:156
	buffer_load_dword v89, off, s[24:27], 0 offset:296 ; 4-byte Folded Reload
	s_nop 0
	buffer_load_dword v90, off, s[24:27], 0 offset:300 ; 4-byte Folded Reload
	buffer_load_dword v91, off, s[24:27], 0 offset:304 ; 4-byte Folded Reload
	;; [unrolled: 1-line block ×3, first 2 shown]
	s_waitcnt vmcnt(5)
	global_store_dword v[98:99], v96, off
.LBB84_833:
	s_or_b64 exec, exec, s[20:21]
	v_mov_b32_e32 v96, v97
	v_mov_b32_e32 v0, v97
.LBB84_834:
	s_or_b64 exec, exec, s[18:19]
.LBB84_835:
	s_andn2_saveexec_b64 s[0:1], s[0:1]
	s_cbranch_execz .LBB84_837
; %bb.836:
	v_mov_b32_e32 v96, 39
	ds_write2_b64 v94, v[5:6], v[7:8] offset0:80 offset1:81
	ds_write2_b64 v94, v[1:2], v[3:4] offset0:82 offset1:83
	ds_write2_b64 v94, v[121:122], v[123:124] offset0:84 offset1:85
.LBB84_837:
	s_or_b64 exec, exec, s[0:1]
	v_cmp_lt_i32_e32 vcc, 39, v96
	s_waitcnt vmcnt(0) lgkmcnt(0)
	s_barrier
	s_and_saveexec_b64 s[0:1], vcc
	s_cbranch_execz .LBB84_839
; %bb.838:
	v_mul_f64 v[97:98], v[117:118], v[11:12]
	v_mul_f64 v[11:12], v[119:120], v[11:12]
	v_fma_f64 v[101:102], v[119:120], v[9:10], v[97:98]
	ds_read2_b64 v[97:100], v94 offset0:80 offset1:81
	v_fma_f64 v[9:10], v[117:118], v[9:10], -v[11:12]
	s_waitcnt lgkmcnt(0)
	v_mul_f64 v[11:12], v[99:100], v[101:102]
	v_fma_f64 v[11:12], v[97:98], v[9:10], -v[11:12]
	v_mul_f64 v[97:98], v[97:98], v[101:102]
	v_add_f64 v[5:6], v[5:6], -v[11:12]
	v_fma_f64 v[97:98], v[99:100], v[9:10], v[97:98]
	v_add_f64 v[7:8], v[7:8], -v[97:98]
	ds_read2_b64 v[97:100], v94 offset0:82 offset1:83
	s_waitcnt lgkmcnt(0)
	v_mul_f64 v[11:12], v[99:100], v[101:102]
	v_fma_f64 v[11:12], v[97:98], v[9:10], -v[11:12]
	v_mul_f64 v[97:98], v[97:98], v[101:102]
	v_add_f64 v[1:2], v[1:2], -v[11:12]
	v_fma_f64 v[97:98], v[99:100], v[9:10], v[97:98]
	v_add_f64 v[3:4], v[3:4], -v[97:98]
	ds_read2_b64 v[97:100], v94 offset0:84 offset1:85
	s_waitcnt lgkmcnt(0)
	v_mul_f64 v[11:12], v[99:100], v[101:102]
	v_fma_f64 v[11:12], v[97:98], v[9:10], -v[11:12]
	v_mul_f64 v[97:98], v[97:98], v[101:102]
	v_add_f64 v[121:122], v[121:122], -v[11:12]
	v_fma_f64 v[97:98], v[99:100], v[9:10], v[97:98]
	v_mov_b32_e32 v11, v101
	v_mov_b32_e32 v12, v102
	v_add_f64 v[123:124], v[123:124], -v[97:98]
.LBB84_839:
	s_or_b64 exec, exec, s[0:1]
	v_lshl_add_u32 v97, v96, 4, v94
	s_barrier
	ds_write2_b64 v97, v[5:6], v[7:8] offset1:1
	s_waitcnt lgkmcnt(0)
	s_barrier
	ds_read2_b64 v[117:120], v94 offset0:80 offset1:81
	s_cmp_lt_i32 s3, 42
	v_mov_b32_e32 v97, 40
	s_cbranch_scc1 .LBB84_842
; %bb.840:
	v_add_u32_e32 v98, 0x290, v94
	s_mov_b32 s0, 41
	v_mov_b32_e32 v97, 40
.LBB84_841:                             ; =>This Inner Loop Header: Depth=1
	s_waitcnt lgkmcnt(0)
	v_cmp_gt_f64_e32 vcc, 0, v[117:118]
	v_xor_b32_e32 v103, 0x80000000, v118
	ds_read2_b64 v[99:102], v98 offset1:1
	v_xor_b32_e32 v105, 0x80000000, v120
	v_add_u32_e32 v98, 16, v98
	s_waitcnt lgkmcnt(0)
	v_xor_b32_e32 v107, 0x80000000, v102
	v_cndmask_b32_e32 v104, v118, v103, vcc
	v_cmp_gt_f64_e32 vcc, 0, v[119:120]
	v_mov_b32_e32 v103, v117
	v_cndmask_b32_e32 v106, v120, v105, vcc
	v_cmp_gt_f64_e32 vcc, 0, v[99:100]
	v_mov_b32_e32 v105, v119
	v_add_f64 v[103:104], v[103:104], v[105:106]
	v_xor_b32_e32 v105, 0x80000000, v100
	v_cndmask_b32_e32 v106, v100, v105, vcc
	v_cmp_gt_f64_e32 vcc, 0, v[101:102]
	v_mov_b32_e32 v105, v99
	v_cndmask_b32_e32 v108, v102, v107, vcc
	v_mov_b32_e32 v107, v101
	v_add_f64 v[105:106], v[105:106], v[107:108]
	v_cmp_lt_f64_e32 vcc, v[103:104], v[105:106]
	v_cndmask_b32_e32 v117, v117, v99, vcc
	v_mov_b32_e32 v99, s0
	s_add_i32 s0, s0, 1
	v_cndmask_b32_e32 v118, v118, v100, vcc
	v_cndmask_b32_e32 v120, v120, v102, vcc
	;; [unrolled: 1-line block ×4, first 2 shown]
	s_cmp_lg_u32 s3, s0
	s_cbranch_scc1 .LBB84_841
.LBB84_842:
	s_waitcnt lgkmcnt(0)
	v_cmp_eq_f64_e32 vcc, 0, v[117:118]
	v_cmp_eq_f64_e64 s[0:1], 0, v[119:120]
	s_and_b64 s[0:1], vcc, s[0:1]
	s_and_saveexec_b64 s[18:19], s[0:1]
	s_xor_b64 s[0:1], exec, s[18:19]
; %bb.843:
	v_cmp_ne_u32_e32 vcc, 0, v95
	v_cndmask_b32_e32 v95, 41, v95, vcc
; %bb.844:
	s_andn2_saveexec_b64 s[0:1], s[0:1]
	s_cbranch_execz .LBB84_850
; %bb.845:
	v_cmp_ngt_f64_e64 s[18:19], |v[117:118]|, |v[119:120]|
	s_and_saveexec_b64 s[20:21], s[18:19]
	s_xor_b64 s[18:19], exec, s[20:21]
	s_cbranch_execz .LBB84_847
; %bb.846:
	v_div_scale_f64 v[98:99], s[20:21], v[119:120], v[119:120], v[117:118]
	v_rcp_f64_e32 v[100:101], v[98:99]
	v_fma_f64 v[102:103], -v[98:99], v[100:101], 1.0
	v_fma_f64 v[100:101], v[100:101], v[102:103], v[100:101]
	v_div_scale_f64 v[102:103], vcc, v[117:118], v[119:120], v[117:118]
	v_fma_f64 v[104:105], -v[98:99], v[100:101], 1.0
	v_fma_f64 v[100:101], v[100:101], v[104:105], v[100:101]
	v_mul_f64 v[104:105], v[102:103], v[100:101]
	v_fma_f64 v[98:99], -v[98:99], v[104:105], v[102:103]
	v_div_fmas_f64 v[98:99], v[98:99], v[100:101], v[104:105]
	v_div_fixup_f64 v[98:99], v[98:99], v[119:120], v[117:118]
	v_fma_f64 v[100:101], v[117:118], v[98:99], v[119:120]
	v_div_scale_f64 v[102:103], s[20:21], v[100:101], v[100:101], 1.0
	v_div_scale_f64 v[108:109], vcc, 1.0, v[100:101], 1.0
	v_rcp_f64_e32 v[104:105], v[102:103]
	v_fma_f64 v[106:107], -v[102:103], v[104:105], 1.0
	v_fma_f64 v[104:105], v[104:105], v[106:107], v[104:105]
	v_fma_f64 v[106:107], -v[102:103], v[104:105], 1.0
	v_fma_f64 v[104:105], v[104:105], v[106:107], v[104:105]
	v_mul_f64 v[106:107], v[108:109], v[104:105]
	v_fma_f64 v[102:103], -v[102:103], v[106:107], v[108:109]
	v_div_fmas_f64 v[102:103], v[102:103], v[104:105], v[106:107]
	v_div_fixup_f64 v[119:120], v[102:103], v[100:101], 1.0
	v_mul_f64 v[117:118], v[98:99], v[119:120]
	v_xor_b32_e32 v120, 0x80000000, v120
.LBB84_847:
	s_andn2_saveexec_b64 s[18:19], s[18:19]
	s_cbranch_execz .LBB84_849
; %bb.848:
	v_div_scale_f64 v[98:99], s[20:21], v[117:118], v[117:118], v[119:120]
	v_rcp_f64_e32 v[100:101], v[98:99]
	v_fma_f64 v[102:103], -v[98:99], v[100:101], 1.0
	v_fma_f64 v[100:101], v[100:101], v[102:103], v[100:101]
	v_div_scale_f64 v[102:103], vcc, v[119:120], v[117:118], v[119:120]
	v_fma_f64 v[104:105], -v[98:99], v[100:101], 1.0
	v_fma_f64 v[100:101], v[100:101], v[104:105], v[100:101]
	v_mul_f64 v[104:105], v[102:103], v[100:101]
	v_fma_f64 v[98:99], -v[98:99], v[104:105], v[102:103]
	v_div_fmas_f64 v[98:99], v[98:99], v[100:101], v[104:105]
	v_div_fixup_f64 v[98:99], v[98:99], v[117:118], v[119:120]
	v_fma_f64 v[100:101], v[119:120], v[98:99], v[117:118]
	v_div_scale_f64 v[102:103], s[20:21], v[100:101], v[100:101], 1.0
	v_div_scale_f64 v[108:109], vcc, 1.0, v[100:101], 1.0
	v_rcp_f64_e32 v[104:105], v[102:103]
	v_fma_f64 v[106:107], -v[102:103], v[104:105], 1.0
	v_fma_f64 v[104:105], v[104:105], v[106:107], v[104:105]
	v_fma_f64 v[106:107], -v[102:103], v[104:105], 1.0
	v_fma_f64 v[104:105], v[104:105], v[106:107], v[104:105]
	v_mul_f64 v[106:107], v[108:109], v[104:105]
	v_fma_f64 v[102:103], -v[102:103], v[106:107], v[108:109]
	v_div_fmas_f64 v[102:103], v[102:103], v[104:105], v[106:107]
	v_div_fixup_f64 v[117:118], v[102:103], v[100:101], 1.0
	v_mul_f64 v[119:120], v[98:99], -v[117:118]
.LBB84_849:
	s_or_b64 exec, exec, s[18:19]
.LBB84_850:
	s_or_b64 exec, exec, s[0:1]
	v_cmp_ne_u32_e32 vcc, v96, v97
	s_and_saveexec_b64 s[0:1], vcc
	s_xor_b64 s[0:1], exec, s[0:1]
	s_cbranch_execz .LBB84_856
; %bb.851:
	v_cmp_eq_u32_e32 vcc, 40, v96
	s_and_saveexec_b64 s[18:19], vcc
	s_cbranch_execz .LBB84_855
; %bb.852:
	v_cmp_ne_u32_e32 vcc, 40, v97
	s_xor_b64 s[20:21], s[6:7], -1
	s_and_b64 s[22:23], s[20:21], vcc
	s_and_saveexec_b64 s[20:21], s[22:23]
	s_cbranch_execz .LBB84_854
; %bb.853:
	buffer_load_dword v89, off, s[24:27], 0 offset:272 ; 4-byte Folded Reload
	buffer_load_dword v90, off, s[24:27], 0 offset:276 ; 4-byte Folded Reload
	v_ashrrev_i32_e32 v98, 31, v97
	v_lshlrev_b64 v[98:99], 2, v[97:98]
	s_waitcnt vmcnt(1)
	v_add_co_u32_e32 v98, vcc, v89, v98
	s_waitcnt vmcnt(0)
	v_addc_co_u32_e32 v99, vcc, v90, v99, vcc
	global_load_dword v0, v[98:99], off
	global_load_dword v96, v[89:90], off offset:160
	s_waitcnt vmcnt(1)
	global_store_dword v[89:90], v0, off offset:160
	buffer_load_dword v89, off, s[24:27], 0 offset:296 ; 4-byte Folded Reload
	s_nop 0
	buffer_load_dword v90, off, s[24:27], 0 offset:300 ; 4-byte Folded Reload
	buffer_load_dword v91, off, s[24:27], 0 offset:304 ; 4-byte Folded Reload
	;; [unrolled: 1-line block ×3, first 2 shown]
	s_waitcnt vmcnt(5)
	global_store_dword v[98:99], v96, off
.LBB84_854:
	s_or_b64 exec, exec, s[20:21]
	v_mov_b32_e32 v96, v97
	v_mov_b32_e32 v0, v97
.LBB84_855:
	s_or_b64 exec, exec, s[18:19]
.LBB84_856:
	s_andn2_saveexec_b64 s[0:1], s[0:1]
	s_cbranch_execz .LBB84_858
; %bb.857:
	v_mov_b32_e32 v96, 40
	ds_write2_b64 v94, v[1:2], v[3:4] offset0:82 offset1:83
	ds_write2_b64 v94, v[121:122], v[123:124] offset0:84 offset1:85
.LBB84_858:
	s_or_b64 exec, exec, s[0:1]
	v_cmp_lt_i32_e32 vcc, 40, v96
	s_waitcnt vmcnt(0) lgkmcnt(0)
	s_barrier
	s_and_saveexec_b64 s[0:1], vcc
	s_cbranch_execz .LBB84_860
; %bb.859:
	v_mul_f64 v[97:98], v[117:118], v[7:8]
	v_mul_f64 v[7:8], v[119:120], v[7:8]
	v_fma_f64 v[101:102], v[119:120], v[5:6], v[97:98]
	ds_read2_b64 v[97:100], v94 offset0:82 offset1:83
	v_fma_f64 v[5:6], v[117:118], v[5:6], -v[7:8]
	s_waitcnt lgkmcnt(0)
	v_mul_f64 v[7:8], v[99:100], v[101:102]
	v_fma_f64 v[7:8], v[97:98], v[5:6], -v[7:8]
	v_mul_f64 v[97:98], v[97:98], v[101:102]
	v_add_f64 v[1:2], v[1:2], -v[7:8]
	v_fma_f64 v[97:98], v[99:100], v[5:6], v[97:98]
	v_add_f64 v[3:4], v[3:4], -v[97:98]
	ds_read2_b64 v[97:100], v94 offset0:84 offset1:85
	s_waitcnt lgkmcnt(0)
	v_mul_f64 v[7:8], v[99:100], v[101:102]
	v_fma_f64 v[7:8], v[97:98], v[5:6], -v[7:8]
	v_mul_f64 v[97:98], v[97:98], v[101:102]
	v_add_f64 v[121:122], v[121:122], -v[7:8]
	v_fma_f64 v[97:98], v[99:100], v[5:6], v[97:98]
	v_mov_b32_e32 v7, v101
	v_mov_b32_e32 v8, v102
	v_add_f64 v[123:124], v[123:124], -v[97:98]
.LBB84_860:
	s_or_b64 exec, exec, s[0:1]
	v_lshl_add_u32 v97, v96, 4, v94
	s_barrier
	ds_write2_b64 v97, v[1:2], v[3:4] offset1:1
	s_waitcnt lgkmcnt(0)
	s_barrier
	ds_read2_b64 v[117:120], v94 offset0:82 offset1:83
	s_cmp_lt_i32 s3, 43
	v_mov_b32_e32 v97, 41
	s_cbranch_scc1 .LBB84_863
; %bb.861:
	v_add_u32_e32 v98, 0x2a0, v94
	s_mov_b32 s0, 42
	v_mov_b32_e32 v97, 41
.LBB84_862:                             ; =>This Inner Loop Header: Depth=1
	s_waitcnt lgkmcnt(0)
	v_cmp_gt_f64_e32 vcc, 0, v[117:118]
	v_xor_b32_e32 v103, 0x80000000, v118
	ds_read2_b64 v[99:102], v98 offset1:1
	v_xor_b32_e32 v105, 0x80000000, v120
	v_add_u32_e32 v98, 16, v98
	s_waitcnt lgkmcnt(0)
	v_xor_b32_e32 v107, 0x80000000, v102
	v_cndmask_b32_e32 v104, v118, v103, vcc
	v_cmp_gt_f64_e32 vcc, 0, v[119:120]
	v_mov_b32_e32 v103, v117
	v_cndmask_b32_e32 v106, v120, v105, vcc
	v_cmp_gt_f64_e32 vcc, 0, v[99:100]
	v_mov_b32_e32 v105, v119
	v_add_f64 v[103:104], v[103:104], v[105:106]
	v_xor_b32_e32 v105, 0x80000000, v100
	v_cndmask_b32_e32 v106, v100, v105, vcc
	v_cmp_gt_f64_e32 vcc, 0, v[101:102]
	v_mov_b32_e32 v105, v99
	v_cndmask_b32_e32 v108, v102, v107, vcc
	v_mov_b32_e32 v107, v101
	v_add_f64 v[105:106], v[105:106], v[107:108]
	v_cmp_lt_f64_e32 vcc, v[103:104], v[105:106]
	v_cndmask_b32_e32 v117, v117, v99, vcc
	v_mov_b32_e32 v99, s0
	s_add_i32 s0, s0, 1
	v_cndmask_b32_e32 v118, v118, v100, vcc
	v_cndmask_b32_e32 v120, v120, v102, vcc
	v_cndmask_b32_e32 v119, v119, v101, vcc
	v_cndmask_b32_e32 v97, v97, v99, vcc
	s_cmp_lg_u32 s3, s0
	s_cbranch_scc1 .LBB84_862
.LBB84_863:
	s_waitcnt lgkmcnt(0)
	v_cmp_eq_f64_e32 vcc, 0, v[117:118]
	v_cmp_eq_f64_e64 s[0:1], 0, v[119:120]
	s_and_b64 s[0:1], vcc, s[0:1]
	s_and_saveexec_b64 s[18:19], s[0:1]
	s_xor_b64 s[0:1], exec, s[18:19]
; %bb.864:
	v_cmp_ne_u32_e32 vcc, 0, v95
	v_cndmask_b32_e32 v95, 42, v95, vcc
; %bb.865:
	s_andn2_saveexec_b64 s[0:1], s[0:1]
	s_cbranch_execz .LBB84_871
; %bb.866:
	v_cmp_ngt_f64_e64 s[18:19], |v[117:118]|, |v[119:120]|
	s_and_saveexec_b64 s[20:21], s[18:19]
	s_xor_b64 s[18:19], exec, s[20:21]
	s_cbranch_execz .LBB84_868
; %bb.867:
	v_div_scale_f64 v[98:99], s[20:21], v[119:120], v[119:120], v[117:118]
	v_rcp_f64_e32 v[100:101], v[98:99]
	v_fma_f64 v[102:103], -v[98:99], v[100:101], 1.0
	v_fma_f64 v[100:101], v[100:101], v[102:103], v[100:101]
	v_div_scale_f64 v[102:103], vcc, v[117:118], v[119:120], v[117:118]
	v_fma_f64 v[104:105], -v[98:99], v[100:101], 1.0
	v_fma_f64 v[100:101], v[100:101], v[104:105], v[100:101]
	v_mul_f64 v[104:105], v[102:103], v[100:101]
	v_fma_f64 v[98:99], -v[98:99], v[104:105], v[102:103]
	v_div_fmas_f64 v[98:99], v[98:99], v[100:101], v[104:105]
	v_div_fixup_f64 v[98:99], v[98:99], v[119:120], v[117:118]
	v_fma_f64 v[100:101], v[117:118], v[98:99], v[119:120]
	v_div_scale_f64 v[102:103], s[20:21], v[100:101], v[100:101], 1.0
	v_div_scale_f64 v[108:109], vcc, 1.0, v[100:101], 1.0
	v_rcp_f64_e32 v[104:105], v[102:103]
	v_fma_f64 v[106:107], -v[102:103], v[104:105], 1.0
	v_fma_f64 v[104:105], v[104:105], v[106:107], v[104:105]
	v_fma_f64 v[106:107], -v[102:103], v[104:105], 1.0
	v_fma_f64 v[104:105], v[104:105], v[106:107], v[104:105]
	v_mul_f64 v[106:107], v[108:109], v[104:105]
	v_fma_f64 v[102:103], -v[102:103], v[106:107], v[108:109]
	v_div_fmas_f64 v[102:103], v[102:103], v[104:105], v[106:107]
	v_div_fixup_f64 v[119:120], v[102:103], v[100:101], 1.0
	v_mul_f64 v[117:118], v[98:99], v[119:120]
	v_xor_b32_e32 v120, 0x80000000, v120
.LBB84_868:
	s_andn2_saveexec_b64 s[18:19], s[18:19]
	s_cbranch_execz .LBB84_870
; %bb.869:
	v_div_scale_f64 v[98:99], s[20:21], v[117:118], v[117:118], v[119:120]
	v_rcp_f64_e32 v[100:101], v[98:99]
	v_fma_f64 v[102:103], -v[98:99], v[100:101], 1.0
	v_fma_f64 v[100:101], v[100:101], v[102:103], v[100:101]
	v_div_scale_f64 v[102:103], vcc, v[119:120], v[117:118], v[119:120]
	v_fma_f64 v[104:105], -v[98:99], v[100:101], 1.0
	v_fma_f64 v[100:101], v[100:101], v[104:105], v[100:101]
	v_mul_f64 v[104:105], v[102:103], v[100:101]
	v_fma_f64 v[98:99], -v[98:99], v[104:105], v[102:103]
	v_div_fmas_f64 v[98:99], v[98:99], v[100:101], v[104:105]
	v_div_fixup_f64 v[98:99], v[98:99], v[117:118], v[119:120]
	v_fma_f64 v[100:101], v[119:120], v[98:99], v[117:118]
	v_div_scale_f64 v[102:103], s[20:21], v[100:101], v[100:101], 1.0
	v_div_scale_f64 v[108:109], vcc, 1.0, v[100:101], 1.0
	v_rcp_f64_e32 v[104:105], v[102:103]
	v_fma_f64 v[106:107], -v[102:103], v[104:105], 1.0
	v_fma_f64 v[104:105], v[104:105], v[106:107], v[104:105]
	v_fma_f64 v[106:107], -v[102:103], v[104:105], 1.0
	v_fma_f64 v[104:105], v[104:105], v[106:107], v[104:105]
	v_mul_f64 v[106:107], v[108:109], v[104:105]
	v_fma_f64 v[102:103], -v[102:103], v[106:107], v[108:109]
	v_div_fmas_f64 v[102:103], v[102:103], v[104:105], v[106:107]
	v_div_fixup_f64 v[117:118], v[102:103], v[100:101], 1.0
	v_mul_f64 v[119:120], v[98:99], -v[117:118]
.LBB84_870:
	s_or_b64 exec, exec, s[18:19]
.LBB84_871:
	s_or_b64 exec, exec, s[0:1]
	v_cmp_ne_u32_e32 vcc, v96, v97
	s_and_saveexec_b64 s[0:1], vcc
	s_xor_b64 s[0:1], exec, s[0:1]
	s_cbranch_execz .LBB84_877
; %bb.872:
	v_cmp_eq_u32_e32 vcc, 41, v96
	s_and_saveexec_b64 s[18:19], vcc
	s_cbranch_execz .LBB84_876
; %bb.873:
	v_cmp_ne_u32_e32 vcc, 41, v97
	s_xor_b64 s[20:21], s[6:7], -1
	s_and_b64 s[22:23], s[20:21], vcc
	s_and_saveexec_b64 s[20:21], s[22:23]
	s_cbranch_execz .LBB84_875
; %bb.874:
	buffer_load_dword v89, off, s[24:27], 0 offset:272 ; 4-byte Folded Reload
	buffer_load_dword v90, off, s[24:27], 0 offset:276 ; 4-byte Folded Reload
	v_ashrrev_i32_e32 v98, 31, v97
	v_lshlrev_b64 v[98:99], 2, v[97:98]
	s_waitcnt vmcnt(1)
	v_add_co_u32_e32 v98, vcc, v89, v98
	s_waitcnt vmcnt(0)
	v_addc_co_u32_e32 v99, vcc, v90, v99, vcc
	global_load_dword v0, v[98:99], off
	global_load_dword v96, v[89:90], off offset:164
	s_waitcnt vmcnt(1)
	global_store_dword v[89:90], v0, off offset:164
	buffer_load_dword v89, off, s[24:27], 0 offset:296 ; 4-byte Folded Reload
	s_nop 0
	buffer_load_dword v90, off, s[24:27], 0 offset:300 ; 4-byte Folded Reload
	buffer_load_dword v91, off, s[24:27], 0 offset:304 ; 4-byte Folded Reload
	;; [unrolled: 1-line block ×3, first 2 shown]
	s_waitcnt vmcnt(5)
	global_store_dword v[98:99], v96, off
.LBB84_875:
	s_or_b64 exec, exec, s[20:21]
	v_mov_b32_e32 v96, v97
	v_mov_b32_e32 v0, v97
.LBB84_876:
	s_or_b64 exec, exec, s[18:19]
.LBB84_877:
	s_andn2_saveexec_b64 s[0:1], s[0:1]
; %bb.878:
	v_mov_b32_e32 v96, 41
	ds_write2_b64 v94, v[121:122], v[123:124] offset0:84 offset1:85
; %bb.879:
	s_or_b64 exec, exec, s[0:1]
	v_cmp_lt_i32_e32 vcc, 41, v96
	s_waitcnt vmcnt(0) lgkmcnt(0)
	s_barrier
	s_and_saveexec_b64 s[0:1], vcc
	s_cbranch_execz .LBB84_881
; %bb.880:
	v_mul_f64 v[97:98], v[117:118], v[3:4]
	v_mul_f64 v[3:4], v[119:120], v[3:4]
	v_fma_f64 v[101:102], v[119:120], v[1:2], v[97:98]
	ds_read2_b64 v[97:100], v94 offset0:84 offset1:85
	v_fma_f64 v[1:2], v[117:118], v[1:2], -v[3:4]
	s_waitcnt lgkmcnt(0)
	v_mul_f64 v[3:4], v[99:100], v[101:102]
	v_fma_f64 v[3:4], v[97:98], v[1:2], -v[3:4]
	v_mul_f64 v[97:98], v[97:98], v[101:102]
	v_add_f64 v[121:122], v[121:122], -v[3:4]
	v_fma_f64 v[97:98], v[99:100], v[1:2], v[97:98]
	v_mov_b32_e32 v3, v101
	v_mov_b32_e32 v4, v102
	v_add_f64 v[123:124], v[123:124], -v[97:98]
.LBB84_881:
	s_or_b64 exec, exec, s[0:1]
	v_lshl_add_u32 v97, v96, 4, v94
	s_barrier
	ds_write2_b64 v97, v[121:122], v[123:124] offset1:1
	s_waitcnt lgkmcnt(0)
	s_barrier
	ds_read2_b64 v[117:120], v94 offset0:84 offset1:85
	s_cmp_lt_i32 s3, 44
	v_mov_b32_e32 v97, 42
	s_cbranch_scc1 .LBB84_884
; %bb.882:
	v_add_u32_e32 v94, 0x2b0, v94
	s_mov_b32 s0, 43
	v_mov_b32_e32 v97, 42
.LBB84_883:                             ; =>This Inner Loop Header: Depth=1
	s_waitcnt lgkmcnt(0)
	v_cmp_gt_f64_e32 vcc, 0, v[117:118]
	v_xor_b32_e32 v102, 0x80000000, v118
	ds_read2_b64 v[98:101], v94 offset1:1
	v_xor_b32_e32 v104, 0x80000000, v120
	v_add_u32_e32 v94, 16, v94
	s_waitcnt lgkmcnt(0)
	v_xor_b32_e32 v106, 0x80000000, v101
	v_cndmask_b32_e32 v103, v118, v102, vcc
	v_cmp_gt_f64_e32 vcc, 0, v[119:120]
	v_mov_b32_e32 v102, v117
	v_cndmask_b32_e32 v105, v120, v104, vcc
	v_cmp_gt_f64_e32 vcc, 0, v[98:99]
	v_mov_b32_e32 v104, v119
	v_add_f64 v[102:103], v[102:103], v[104:105]
	v_xor_b32_e32 v104, 0x80000000, v99
	v_cndmask_b32_e32 v105, v99, v104, vcc
	v_cmp_gt_f64_e32 vcc, 0, v[100:101]
	v_mov_b32_e32 v104, v98
	v_cndmask_b32_e32 v107, v101, v106, vcc
	v_mov_b32_e32 v106, v100
	v_add_f64 v[104:105], v[104:105], v[106:107]
	v_cmp_lt_f64_e32 vcc, v[102:103], v[104:105]
	v_cndmask_b32_e32 v117, v117, v98, vcc
	v_mov_b32_e32 v98, s0
	s_add_i32 s0, s0, 1
	v_cndmask_b32_e32 v118, v118, v99, vcc
	v_cndmask_b32_e32 v120, v120, v101, vcc
	;; [unrolled: 1-line block ×4, first 2 shown]
	s_cmp_lg_u32 s3, s0
	s_cbranch_scc1 .LBB84_883
.LBB84_884:
	s_waitcnt lgkmcnt(0)
	v_cmp_eq_f64_e32 vcc, 0, v[117:118]
	v_cmp_eq_f64_e64 s[0:1], 0, v[119:120]
	s_and_b64 s[0:1], vcc, s[0:1]
	s_and_saveexec_b64 s[18:19], s[0:1]
	s_xor_b64 s[0:1], exec, s[18:19]
; %bb.885:
	v_cmp_ne_u32_e32 vcc, 0, v95
	v_cndmask_b32_e32 v95, 43, v95, vcc
; %bb.886:
	s_andn2_saveexec_b64 s[0:1], s[0:1]
	s_cbranch_execz .LBB84_892
; %bb.887:
	v_cmp_ngt_f64_e64 s[18:19], |v[117:118]|, |v[119:120]|
	s_and_saveexec_b64 s[20:21], s[18:19]
	s_xor_b64 s[18:19], exec, s[20:21]
	s_cbranch_execz .LBB84_889
; %bb.888:
	v_div_scale_f64 v[98:99], s[20:21], v[119:120], v[119:120], v[117:118]
	v_rcp_f64_e32 v[100:101], v[98:99]
	v_fma_f64 v[102:103], -v[98:99], v[100:101], 1.0
	v_fma_f64 v[100:101], v[100:101], v[102:103], v[100:101]
	v_div_scale_f64 v[102:103], vcc, v[117:118], v[119:120], v[117:118]
	v_fma_f64 v[104:105], -v[98:99], v[100:101], 1.0
	v_fma_f64 v[100:101], v[100:101], v[104:105], v[100:101]
	v_mul_f64 v[104:105], v[102:103], v[100:101]
	v_fma_f64 v[98:99], -v[98:99], v[104:105], v[102:103]
	v_div_fmas_f64 v[98:99], v[98:99], v[100:101], v[104:105]
	v_div_fixup_f64 v[98:99], v[98:99], v[119:120], v[117:118]
	v_fma_f64 v[100:101], v[117:118], v[98:99], v[119:120]
	v_div_scale_f64 v[102:103], s[20:21], v[100:101], v[100:101], 1.0
	v_div_scale_f64 v[108:109], vcc, 1.0, v[100:101], 1.0
	v_rcp_f64_e32 v[104:105], v[102:103]
	v_fma_f64 v[106:107], -v[102:103], v[104:105], 1.0
	v_fma_f64 v[104:105], v[104:105], v[106:107], v[104:105]
	v_fma_f64 v[106:107], -v[102:103], v[104:105], 1.0
	v_fma_f64 v[104:105], v[104:105], v[106:107], v[104:105]
	v_mul_f64 v[106:107], v[108:109], v[104:105]
	v_fma_f64 v[102:103], -v[102:103], v[106:107], v[108:109]
	v_div_fmas_f64 v[102:103], v[102:103], v[104:105], v[106:107]
	v_div_fixup_f64 v[119:120], v[102:103], v[100:101], 1.0
	v_mul_f64 v[117:118], v[98:99], v[119:120]
	v_xor_b32_e32 v120, 0x80000000, v120
.LBB84_889:
	s_andn2_saveexec_b64 s[18:19], s[18:19]
	s_cbranch_execz .LBB84_891
; %bb.890:
	v_div_scale_f64 v[98:99], s[20:21], v[117:118], v[117:118], v[119:120]
	v_rcp_f64_e32 v[100:101], v[98:99]
	v_fma_f64 v[102:103], -v[98:99], v[100:101], 1.0
	v_fma_f64 v[100:101], v[100:101], v[102:103], v[100:101]
	v_div_scale_f64 v[102:103], vcc, v[119:120], v[117:118], v[119:120]
	v_fma_f64 v[104:105], -v[98:99], v[100:101], 1.0
	v_fma_f64 v[100:101], v[100:101], v[104:105], v[100:101]
	v_mul_f64 v[104:105], v[102:103], v[100:101]
	v_fma_f64 v[98:99], -v[98:99], v[104:105], v[102:103]
	v_div_fmas_f64 v[98:99], v[98:99], v[100:101], v[104:105]
	v_div_fixup_f64 v[98:99], v[98:99], v[117:118], v[119:120]
	v_fma_f64 v[100:101], v[119:120], v[98:99], v[117:118]
	v_div_scale_f64 v[102:103], s[20:21], v[100:101], v[100:101], 1.0
	v_div_scale_f64 v[108:109], vcc, 1.0, v[100:101], 1.0
	v_rcp_f64_e32 v[104:105], v[102:103]
	v_fma_f64 v[106:107], -v[102:103], v[104:105], 1.0
	v_fma_f64 v[104:105], v[104:105], v[106:107], v[104:105]
	v_fma_f64 v[106:107], -v[102:103], v[104:105], 1.0
	v_fma_f64 v[104:105], v[104:105], v[106:107], v[104:105]
	v_mul_f64 v[106:107], v[108:109], v[104:105]
	v_fma_f64 v[102:103], -v[102:103], v[106:107], v[108:109]
	v_div_fmas_f64 v[102:103], v[102:103], v[104:105], v[106:107]
	v_div_fixup_f64 v[117:118], v[102:103], v[100:101], 1.0
	v_mul_f64 v[119:120], v[98:99], -v[117:118]
.LBB84_891:
	s_or_b64 exec, exec, s[18:19]
.LBB84_892:
	s_or_b64 exec, exec, s[0:1]
	v_cmp_ne_u32_e32 vcc, v96, v97
	v_mov_b32_e32 v98, 42
	s_and_saveexec_b64 s[0:1], vcc
	s_cbranch_execz .LBB84_898
; %bb.893:
	v_cmp_eq_u32_e32 vcc, 42, v96
	s_and_saveexec_b64 s[18:19], vcc
	s_cbranch_execz .LBB84_897
; %bb.894:
	v_cmp_ne_u32_e32 vcc, 42, v97
	s_xor_b64 s[6:7], s[6:7], -1
	s_and_b64 s[20:21], s[6:7], vcc
	s_and_saveexec_b64 s[6:7], s[20:21]
	s_cbranch_execz .LBB84_896
; %bb.895:
	buffer_load_dword v89, off, s[24:27], 0 offset:272 ; 4-byte Folded Reload
	buffer_load_dword v90, off, s[24:27], 0 offset:276 ; 4-byte Folded Reload
	v_ashrrev_i32_e32 v98, 31, v97
	v_lshlrev_b64 v[98:99], 2, v[97:98]
	s_waitcnt vmcnt(1)
	v_add_co_u32_e32 v98, vcc, v89, v98
	s_waitcnt vmcnt(0)
	v_addc_co_u32_e32 v99, vcc, v90, v99, vcc
	global_load_dword v0, v[98:99], off
	global_load_dword v94, v[89:90], off offset:168
	s_waitcnt vmcnt(1)
	global_store_dword v[89:90], v0, off offset:168
	buffer_load_dword v89, off, s[24:27], 0 offset:296 ; 4-byte Folded Reload
	s_nop 0
	buffer_load_dword v90, off, s[24:27], 0 offset:300 ; 4-byte Folded Reload
	buffer_load_dword v91, off, s[24:27], 0 offset:304 ; 4-byte Folded Reload
	;; [unrolled: 1-line block ×3, first 2 shown]
	s_waitcnt vmcnt(5)
	global_store_dword v[98:99], v94, off
.LBB84_896:
	s_or_b64 exec, exec, s[6:7]
	v_mov_b32_e32 v96, v97
	v_mov_b32_e32 v0, v97
.LBB84_897:
	s_or_b64 exec, exec, s[18:19]
	v_mov_b32_e32 v98, v96
.LBB84_898:
	s_or_b64 exec, exec, s[0:1]
	v_cmp_gt_i32_e32 vcc, 43, v98
	v_ashrrev_i32_e32 v99, 31, v98
	s_waitcnt vmcnt(0)
	s_barrier
	s_barrier
	s_and_saveexec_b64 s[0:1], vcc
	s_cbranch_execz .LBB84_900
; %bb.899:
	v_mul_lo_u32 v94, s15, v115
	v_mul_lo_u32 v100, s14, v116
	v_mad_u64_u32 v[96:97], s[6:7], s14, v115, 0
	s_lshl_b64 s[6:7], s[12:13], 2
	v_add3_u32 v0, v0, s17, 1
	v_add3_u32 v97, v97, v100, v94
	v_lshlrev_b64 v[96:97], 2, v[96:97]
	v_mov_b32_e32 v94, s11
	v_add_co_u32_e32 v96, vcc, s10, v96
	v_addc_co_u32_e32 v94, vcc, v94, v97, vcc
	v_mov_b32_e32 v97, s7
	v_add_co_u32_e32 v100, vcc, s6, v96
	v_addc_co_u32_e32 v94, vcc, v94, v97, vcc
	v_lshlrev_b64 v[96:97], 2, v[98:99]
	v_add_co_u32_e32 v96, vcc, v100, v96
	v_addc_co_u32_e32 v97, vcc, v94, v97, vcc
	global_store_dword v[96:97], v0, off
.LBB84_900:
	s_or_b64 exec, exec, s[0:1]
	v_cmp_eq_u32_e32 vcc, 0, v98
	s_and_saveexec_b64 s[6:7], vcc
	s_cbranch_execz .LBB84_903
; %bb.901:
	v_lshlrev_b64 v[96:97], 2, v[115:116]
	v_mov_b32_e32 v0, s5
	v_add_co_u32_e32 v100, vcc, s4, v96
	v_addc_co_u32_e32 v101, vcc, v0, v97, vcc
	global_load_dword v0, v[100:101], off
	v_cmp_ne_u32_e64 s[0:1], 0, v95
	s_waitcnt vmcnt(0)
	v_cmp_eq_u32_e32 vcc, 0, v0
	s_and_b64 s[0:1], vcc, s[0:1]
	s_and_b64 exec, exec, s[0:1]
	s_cbranch_execz .LBB84_903
; %bb.902:
	v_add_u32_e32 v0, s17, v95
	global_store_dword v[100:101], v0, off
.LBB84_903:
	s_or_b64 exec, exec, s[6:7]
	buffer_load_dword v85, off, s[24:27], 0 offset:312 ; 4-byte Folded Reload
	buffer_load_dword v86, off, s[24:27], 0 offset:316 ; 4-byte Folded Reload
	;; [unrolled: 1-line block ×4, first 2 shown]
	v_mul_f64 v[94:95], v[117:118], v[123:124]
	v_mul_f64 v[96:97], v[119:120], v[123:124]
	v_cmp_lt_i32_e32 vcc, 42, v98
	v_mov_b32_e32 v0, s9
	v_fma_f64 v[94:95], v[119:120], v[121:122], v[94:95]
	v_fma_f64 v[96:97], v[117:118], v[121:122], -v[96:97]
	v_cndmask_b32_e32 v120, v124, v95, vcc
	v_cndmask_b32_e32 v119, v123, v94, vcc
	v_lshlrev_b64 v[94:95], 4, v[98:99]
	v_cndmask_b32_e32 v118, v122, v97, vcc
	v_cndmask_b32_e32 v117, v121, v96, vcc
	v_add_co_u32_e32 v94, vcc, v127, v94
	v_addc_co_u32_e32 v95, vcc, v93, v95, vcc
	s_waitcnt vmcnt(0)
	global_store_dwordx4 v[94:95], v[85:88], off
	buffer_load_dword v85, off, s[24:27], 0 offset:280 ; 4-byte Folded Reload
	s_nop 0
	buffer_load_dword v86, off, s[24:27], 0 offset:284 ; 4-byte Folded Reload
	buffer_load_dword v87, off, s[24:27], 0 offset:288 ; 4-byte Folded Reload
	;; [unrolled: 1-line block ×3, first 2 shown]
	v_add_co_u32_e32 v94, vcc, s8, v94
	v_addc_co_u32_e32 v95, vcc, v95, v0, vcc
	s_waitcnt vmcnt(0)
	global_store_dwordx4 v[94:95], v[85:88], off
	buffer_load_dword v85, off, s[24:27], 0 offset:256 ; 4-byte Folded Reload
	s_nop 0
	buffer_load_dword v86, off, s[24:27], 0 offset:260 ; 4-byte Folded Reload
	buffer_load_dword v87, off, s[24:27], 0 offset:264 ; 4-byte Folded Reload
	;; [unrolled: 1-line block ×3, first 2 shown]
	v_add_u32_e32 v94, s16, v98
	v_ashrrev_i32_e32 v95, 31, v94
	v_lshlrev_b64 v[95:96], 4, v[94:95]
	v_add_u32_e32 v94, s2, v94
	v_add_co_u32_e32 v95, vcc, v127, v95
	v_addc_co_u32_e32 v96, vcc, v93, v96, vcc
	s_waitcnt vmcnt(0)
	global_store_dwordx4 v[95:96], v[85:88], off
	buffer_load_dword v85, off, s[24:27], 0 offset:240 ; 4-byte Folded Reload
	s_nop 0
	buffer_load_dword v86, off, s[24:27], 0 offset:244 ; 4-byte Folded Reload
	buffer_load_dword v87, off, s[24:27], 0 offset:248 ; 4-byte Folded Reload
	buffer_load_dword v88, off, s[24:27], 0 offset:252 ; 4-byte Folded Reload
	v_ashrrev_i32_e32 v95, 31, v94
	v_lshlrev_b64 v[95:96], 4, v[94:95]
	v_add_u32_e32 v94, s2, v94
	v_add_co_u32_e32 v95, vcc, v127, v95
	v_addc_co_u32_e32 v96, vcc, v93, v96, vcc
	s_waitcnt vmcnt(0)
	global_store_dwordx4 v[95:96], v[85:88], off
	buffer_load_dword v85, off, s[24:27], 0 offset:224 ; 4-byte Folded Reload
	s_nop 0
	buffer_load_dword v86, off, s[24:27], 0 offset:228 ; 4-byte Folded Reload
	buffer_load_dword v87, off, s[24:27], 0 offset:232 ; 4-byte Folded Reload
	buffer_load_dword v88, off, s[24:27], 0 offset:236 ; 4-byte Folded Reload
	;; [unrolled: 12-line block ×15, first 2 shown]
	v_ashrrev_i32_e32 v95, 31, v94
	v_lshlrev_b64 v[95:96], 4, v[94:95]
	v_add_u32_e32 v94, s2, v94
	v_add_co_u32_e32 v95, vcc, v127, v95
	v_addc_co_u32_e32 v96, vcc, v93, v96, vcc
	s_waitcnt vmcnt(0)
	global_store_dwordx4 v[95:96], v[85:88], off
	v_ashrrev_i32_e32 v95, 31, v94
	v_lshlrev_b64 v[95:96], 4, v[94:95]
	v_add_u32_e32 v94, s2, v94
	v_add_co_u32_e32 v95, vcc, v127, v95
	v_addc_co_u32_e32 v96, vcc, v93, v96, vcc
	global_store_dwordx4 v[95:96], v[89:92], off
	v_ashrrev_i32_e32 v95, 31, v94
	v_lshlrev_b64 v[95:96], 4, v[94:95]
	v_add_u32_e32 v89, s2, v94
	v_add_co_u32_e32 v95, vcc, v127, v95
	v_addc_co_u32_e32 v96, vcc, v93, v96, vcc
	global_store_dwordx4 v[95:96], v[111:114], off
	buffer_load_dword v85, off, s[24:27], 0 ; 4-byte Folded Reload
	buffer_load_dword v86, off, s[24:27], 0 offset:4 ; 4-byte Folded Reload
	buffer_load_dword v87, off, s[24:27], 0 offset:8 ; 4-byte Folded Reload
	;; [unrolled: 1-line block ×3, first 2 shown]
	v_ashrrev_i32_e32 v90, 31, v89
	v_lshlrev_b64 v[90:91], 4, v[89:90]
	v_add_co_u32_e32 v90, vcc, v127, v90
	v_addc_co_u32_e32 v91, vcc, v93, v91, vcc
	s_waitcnt vmcnt(0)
	global_store_dwordx4 v[90:91], v[85:88], off
	s_nop 0
	v_add_u32_e32 v85, s2, v89
	v_ashrrev_i32_e32 v86, 31, v85
	v_lshlrev_b64 v[86:87], 4, v[85:86]
	v_add_co_u32_e32 v86, vcc, v127, v86
	v_addc_co_u32_e32 v87, vcc, v93, v87, vcc
	global_store_dwordx4 v[86:87], v[81:84], off
	s_nop 0
	v_add_u32_e32 v81, s2, v85
	v_ashrrev_i32_e32 v82, 31, v81
	v_lshlrev_b64 v[82:83], 4, v[81:82]
	v_add_co_u32_e32 v82, vcc, v127, v82
	v_addc_co_u32_e32 v83, vcc, v93, v83, vcc
	;; [unrolled: 7-line block ×20, first 2 shown]
	global_store_dwordx4 v[10:11], v[5:8], off
	s_nop 0
	v_add_u32_e32 v5, s2, v9
	v_ashrrev_i32_e32 v6, 31, v5
	v_lshlrev_b64 v[6:7], 4, v[5:6]
	v_add_u32_e32 v0, s2, v5
	v_add_co_u32_e32 v6, vcc, v127, v6
	v_addc_co_u32_e32 v7, vcc, v93, v7, vcc
	global_store_dwordx4 v[6:7], v[1:4], off
	s_nop 0
	v_ashrrev_i32_e32 v1, 31, v0
	v_lshlrev_b64 v[0:1], 4, v[0:1]
	v_add_co_u32_e32 v0, vcc, v127, v0
	v_addc_co_u32_e32 v1, vcc, v93, v1, vcc
	global_store_dwordx4 v[0:1], v[117:120], off
.LBB84_904:
	s_endpgm
	.section	.rodata,"a",@progbits
	.p2align	6, 0x0
	.amdhsa_kernel _ZN9rocsolver6v33100L18getf2_small_kernelILi43E19rocblas_complex_numIdEiiPS3_EEvT1_T3_lS5_lPS5_llPT2_S5_S5_S7_l
		.amdhsa_group_segment_fixed_size 0
		.amdhsa_private_segment_fixed_size 332
		.amdhsa_kernarg_size 352
		.amdhsa_user_sgpr_count 6
		.amdhsa_user_sgpr_private_segment_buffer 1
		.amdhsa_user_sgpr_dispatch_ptr 0
		.amdhsa_user_sgpr_queue_ptr 0
		.amdhsa_user_sgpr_kernarg_segment_ptr 1
		.amdhsa_user_sgpr_dispatch_id 0
		.amdhsa_user_sgpr_flat_scratch_init 0
		.amdhsa_user_sgpr_private_segment_size 0
		.amdhsa_uses_dynamic_stack 0
		.amdhsa_system_sgpr_private_segment_wavefront_offset 1
		.amdhsa_system_sgpr_workgroup_id_x 1
		.amdhsa_system_sgpr_workgroup_id_y 1
		.amdhsa_system_sgpr_workgroup_id_z 0
		.amdhsa_system_sgpr_workgroup_info 0
		.amdhsa_system_vgpr_workitem_id 1
		.amdhsa_next_free_vgpr 128
		.amdhsa_next_free_sgpr 28
		.amdhsa_reserve_vcc 1
		.amdhsa_reserve_flat_scratch 0
		.amdhsa_float_round_mode_32 0
		.amdhsa_float_round_mode_16_64 0
		.amdhsa_float_denorm_mode_32 3
		.amdhsa_float_denorm_mode_16_64 3
		.amdhsa_dx10_clamp 1
		.amdhsa_ieee_mode 1
		.amdhsa_fp16_overflow 0
		.amdhsa_exception_fp_ieee_invalid_op 0
		.amdhsa_exception_fp_denorm_src 0
		.amdhsa_exception_fp_ieee_div_zero 0
		.amdhsa_exception_fp_ieee_overflow 0
		.amdhsa_exception_fp_ieee_underflow 0
		.amdhsa_exception_fp_ieee_inexact 0
		.amdhsa_exception_int_div_zero 0
	.end_amdhsa_kernel
	.section	.text._ZN9rocsolver6v33100L18getf2_small_kernelILi43E19rocblas_complex_numIdEiiPS3_EEvT1_T3_lS5_lPS5_llPT2_S5_S5_S7_l,"axG",@progbits,_ZN9rocsolver6v33100L18getf2_small_kernelILi43E19rocblas_complex_numIdEiiPS3_EEvT1_T3_lS5_lPS5_llPT2_S5_S5_S7_l,comdat
.Lfunc_end84:
	.size	_ZN9rocsolver6v33100L18getf2_small_kernelILi43E19rocblas_complex_numIdEiiPS3_EEvT1_T3_lS5_lPS5_llPT2_S5_S5_S7_l, .Lfunc_end84-_ZN9rocsolver6v33100L18getf2_small_kernelILi43E19rocblas_complex_numIdEiiPS3_EEvT1_T3_lS5_lPS5_llPT2_S5_S5_S7_l
                                        ; -- End function
	.set _ZN9rocsolver6v33100L18getf2_small_kernelILi43E19rocblas_complex_numIdEiiPS3_EEvT1_T3_lS5_lPS5_llPT2_S5_S5_S7_l.num_vgpr, 128
	.set _ZN9rocsolver6v33100L18getf2_small_kernelILi43E19rocblas_complex_numIdEiiPS3_EEvT1_T3_lS5_lPS5_llPT2_S5_S5_S7_l.num_agpr, 0
	.set _ZN9rocsolver6v33100L18getf2_small_kernelILi43E19rocblas_complex_numIdEiiPS3_EEvT1_T3_lS5_lPS5_llPT2_S5_S5_S7_l.numbered_sgpr, 28
	.set _ZN9rocsolver6v33100L18getf2_small_kernelILi43E19rocblas_complex_numIdEiiPS3_EEvT1_T3_lS5_lPS5_llPT2_S5_S5_S7_l.num_named_barrier, 0
	.set _ZN9rocsolver6v33100L18getf2_small_kernelILi43E19rocblas_complex_numIdEiiPS3_EEvT1_T3_lS5_lPS5_llPT2_S5_S5_S7_l.private_seg_size, 332
	.set _ZN9rocsolver6v33100L18getf2_small_kernelILi43E19rocblas_complex_numIdEiiPS3_EEvT1_T3_lS5_lPS5_llPT2_S5_S5_S7_l.uses_vcc, 1
	.set _ZN9rocsolver6v33100L18getf2_small_kernelILi43E19rocblas_complex_numIdEiiPS3_EEvT1_T3_lS5_lPS5_llPT2_S5_S5_S7_l.uses_flat_scratch, 0
	.set _ZN9rocsolver6v33100L18getf2_small_kernelILi43E19rocblas_complex_numIdEiiPS3_EEvT1_T3_lS5_lPS5_llPT2_S5_S5_S7_l.has_dyn_sized_stack, 0
	.set _ZN9rocsolver6v33100L18getf2_small_kernelILi43E19rocblas_complex_numIdEiiPS3_EEvT1_T3_lS5_lPS5_llPT2_S5_S5_S7_l.has_recursion, 0
	.set _ZN9rocsolver6v33100L18getf2_small_kernelILi43E19rocblas_complex_numIdEiiPS3_EEvT1_T3_lS5_lPS5_llPT2_S5_S5_S7_l.has_indirect_call, 0
	.section	.AMDGPU.csdata,"",@progbits
; Kernel info:
; codeLenInByte = 128320
; TotalNumSgprs: 32
; NumVgprs: 128
; ScratchSize: 332
; MemoryBound: 0
; FloatMode: 240
; IeeeMode: 1
; LDSByteSize: 0 bytes/workgroup (compile time only)
; SGPRBlocks: 3
; VGPRBlocks: 31
; NumSGPRsForWavesPerEU: 32
; NumVGPRsForWavesPerEU: 128
; Occupancy: 2
; WaveLimiterHint : 0
; COMPUTE_PGM_RSRC2:SCRATCH_EN: 1
; COMPUTE_PGM_RSRC2:USER_SGPR: 6
; COMPUTE_PGM_RSRC2:TRAP_HANDLER: 0
; COMPUTE_PGM_RSRC2:TGID_X_EN: 1
; COMPUTE_PGM_RSRC2:TGID_Y_EN: 1
; COMPUTE_PGM_RSRC2:TGID_Z_EN: 0
; COMPUTE_PGM_RSRC2:TIDIG_COMP_CNT: 1
	.section	.text._ZN9rocsolver6v33100L23getf2_npvt_small_kernelILi43E19rocblas_complex_numIdEiiPS3_EEvT1_T3_lS5_lPT2_S5_S5_,"axG",@progbits,_ZN9rocsolver6v33100L23getf2_npvt_small_kernelILi43E19rocblas_complex_numIdEiiPS3_EEvT1_T3_lS5_lPT2_S5_S5_,comdat
	.globl	_ZN9rocsolver6v33100L23getf2_npvt_small_kernelILi43E19rocblas_complex_numIdEiiPS3_EEvT1_T3_lS5_lPT2_S5_S5_ ; -- Begin function _ZN9rocsolver6v33100L23getf2_npvt_small_kernelILi43E19rocblas_complex_numIdEiiPS3_EEvT1_T3_lS5_lPT2_S5_S5_
	.p2align	8
	.type	_ZN9rocsolver6v33100L23getf2_npvt_small_kernelILi43E19rocblas_complex_numIdEiiPS3_EEvT1_T3_lS5_lPT2_S5_S5_,@function
_ZN9rocsolver6v33100L23getf2_npvt_small_kernelILi43E19rocblas_complex_numIdEiiPS3_EEvT1_T3_lS5_lPT2_S5_S5_: ; @_ZN9rocsolver6v33100L23getf2_npvt_small_kernelILi43E19rocblas_complex_numIdEiiPS3_EEvT1_T3_lS5_lPT2_S5_S5_
; %bb.0:
	s_mov_b64 s[22:23], s[2:3]
	s_mov_b64 s[20:21], s[0:1]
	s_load_dword s0, s[4:5], 0x44
	s_load_dwordx2 s[12:13], s[4:5], 0x30
	s_add_u32 s20, s20, s8
	s_addc_u32 s21, s21, 0
	s_waitcnt lgkmcnt(0)
	s_lshr_b32 s2, s0, 16
	s_mul_i32 s7, s7, s2
	v_add_u32_e32 v3, s7, v1
	v_mov_b32_e32 v2, v3
	v_cmp_gt_i32_e32 vcc, s12, v3
	s_and_saveexec_b64 s[0:1], vcc
	s_cbranch_execz .LBB85_390
; %bb.1:
	s_load_dwordx4 s[8:11], s[4:5], 0x20
	s_load_dwordx4 s[16:19], s[4:5], 0x8
	v_ashrrev_i32_e32 v3, 31, v2
	s_mulk_i32 s2, 0x2b0
	s_waitcnt lgkmcnt(0)
	v_mul_lo_u32 v4, s9, v2
	v_mul_lo_u32 v5, s8, v3
	buffer_store_dword v2, off, s[20:23], 0 offset:1264 ; 4-byte Folded Spill
	s_nop 0
	buffer_store_dword v3, off, s[20:23], 0 offset:1268 ; 4-byte Folded Spill
	v_mov_b32_e32 v6, s17
	v_mad_u64_u32 v[2:3], s[0:1], s8, v2, 0
	s_load_dword s0, s[4:5], 0x18
	s_lshl_b64 s[4:5], s[18:19], 4
	v_add3_u32 v3, v3, v5, v4
	v_lshlrev_b64 v[2:3], 4, v[2:3]
	v_mov_b32_e32 v4, s5
	v_add_co_u32_e32 v2, vcc, s16, v2
	v_addc_co_u32_e32 v3, vcc, v6, v3, vcc
	v_add_co_u32_e32 v2, vcc, s4, v2
	s_waitcnt lgkmcnt(0)
	s_add_i32 s1, s0, s0
	v_addc_co_u32_e32 v3, vcc, v3, v4, vcc
	v_add_u32_e32 v4, s1, v0
	v_ashrrev_i32_e32 v5, 31, v4
	v_lshlrev_b64 v[5:6], 4, v[4:5]
	v_add_u32_e32 v4, s0, v4
	v_add_co_u32_e32 v91, vcc, v2, v5
	v_ashrrev_i32_e32 v5, 31, v4
	v_addc_co_u32_e32 v92, vcc, v3, v6, vcc
	v_lshlrev_b64 v[5:6], 4, v[4:5]
	v_add_u32_e32 v4, s0, v4
	v_add_co_u32_e32 v7, vcc, v2, v5
	v_ashrrev_i32_e32 v5, 31, v4
	v_addc_co_u32_e32 v8, vcc, v3, v6, vcc
	;; [unrolled: 5-line block ×39, first 2 shown]
	v_lshlrev_b64 v[5:6], 4, v[4:5]
	v_add_u32_e32 v4, s0, v4
	v_add_co_u32_e32 v111, vcc, v2, v5
	v_ashrrev_i32_e32 v5, 31, v4
	v_lshlrev_b64 v[4:5], 4, v[4:5]
	v_addc_co_u32_e32 v112, vcc, v3, v6, vcc
	v_add_co_u32_e32 v113, vcc, v2, v4
	v_addc_co_u32_e32 v114, vcc, v3, v5, vcc
	v_lshlrev_b32_e32 v4, 4, v0
	v_add_co_u32_e32 v4, vcc, v2, v4
	s_ashr_i32 s1, s0, 31
	v_addc_co_u32_e32 v5, vcc, 0, v3, vcc
	s_lshl_b64 s[0:1], s[0:1], 4
	v_mov_b32_e32 v2, s1
	v_add_co_u32_e32 v61, vcc, s0, v4
	v_addc_co_u32_e32 v62, vcc, v5, v2, vcc
	buffer_store_dword v4, off, s[20:23], 0 offset:688 ; 4-byte Folded Spill
	s_nop 0
	buffer_store_dword v5, off, s[20:23], 0 offset:692 ; 4-byte Folded Spill
	s_movk_i32 s0, 0x2b0
	s_add_i32 s1, s2, 0
	v_mad_u32_u24 v125, v1, s0, 0
	v_lshl_add_u32 v127, v1, 4, s1
	v_cmp_ne_u32_e64 s[2:3], 0, v0
	v_cmp_eq_u32_e64 s[0:1], 0, v0
	global_load_dwordx4 v[1:4], v[4:5], off
	s_waitcnt vmcnt(0)
	buffer_store_dword v1, off, s[20:23], 0 offset:320 ; 4-byte Folded Spill
	s_nop 0
	buffer_store_dword v2, off, s[20:23], 0 offset:324 ; 4-byte Folded Spill
	buffer_store_dword v3, off, s[20:23], 0 offset:328 ; 4-byte Folded Spill
	;; [unrolled: 1-line block ×4, first 2 shown]
	s_nop 0
	buffer_store_dword v62, off, s[20:23], 0 offset:700 ; 4-byte Folded Spill
	global_load_dwordx4 v[1:4], v[61:62], off
	s_waitcnt vmcnt(0)
	buffer_store_dword v1, off, s[20:23], 0 offset:304 ; 4-byte Folded Spill
	s_nop 0
	buffer_store_dword v2, off, s[20:23], 0 offset:308 ; 4-byte Folded Spill
	buffer_store_dword v3, off, s[20:23], 0 offset:312 ; 4-byte Folded Spill
	;; [unrolled: 1-line block ×3, first 2 shown]
	global_load_dwordx4 v[1:4], v[91:92], off
	s_waitcnt vmcnt(0)
	buffer_store_dword v1, off, s[20:23], 0 offset:288 ; 4-byte Folded Spill
	s_nop 0
	buffer_store_dword v2, off, s[20:23], 0 offset:292 ; 4-byte Folded Spill
	buffer_store_dword v3, off, s[20:23], 0 offset:296 ; 4-byte Folded Spill
	buffer_store_dword v4, off, s[20:23], 0 offset:300 ; 4-byte Folded Spill
	buffer_store_dword v7, off, s[20:23], 0 offset:352 ; 4-byte Folded Spill
	s_nop 0
	buffer_store_dword v8, off, s[20:23], 0 offset:356 ; 4-byte Folded Spill
	global_load_dwordx4 v[1:4], v[7:8], off
	s_waitcnt vmcnt(0)
	buffer_store_dword v1, off, s[20:23], 0 offset:272 ; 4-byte Folded Spill
	s_nop 0
	buffer_store_dword v2, off, s[20:23], 0 offset:276 ; 4-byte Folded Spill
	buffer_store_dword v3, off, s[20:23], 0 offset:280 ; 4-byte Folded Spill
	buffer_store_dword v4, off, s[20:23], 0 offset:284 ; 4-byte Folded Spill
	buffer_store_dword v59, off, s[20:23], 0 offset:664 ; 4-byte Folded Spill
	s_nop 0
	buffer_store_dword v60, off, s[20:23], 0 offset:668 ; 4-byte Folded Spill
	;; [unrolled: 10-line block ×15, first 2 shown]
	global_load_dwordx4 v[117:120], v[33:34], off
	s_nop 0
	buffer_store_dword v35, off, s[20:23], 0 offset:464 ; 4-byte Folded Spill
	s_nop 0
	buffer_store_dword v36, off, s[20:23], 0 offset:468 ; 4-byte Folded Spill
	global_load_dwordx4 v[85:88], v[35:36], off
	s_nop 0
	buffer_store_dword v37, off, s[20:23], 0 offset:472 ; 4-byte Folded Spill
	s_nop 0
	buffer_store_dword v38, off, s[20:23], 0 offset:476 ; 4-byte Folded Spill
	global_load_dwordx4 v[1:4], v[37:38], off
	s_waitcnt vmcnt(0)
	buffer_store_dword v1, off, s[20:23], 0 offset:48 ; 4-byte Folded Spill
	s_nop 0
	buffer_store_dword v2, off, s[20:23], 0 offset:52 ; 4-byte Folded Spill
	buffer_store_dword v3, off, s[20:23], 0 offset:56 ; 4-byte Folded Spill
	;; [unrolled: 1-line block ×4, first 2 shown]
	s_nop 0
	buffer_store_dword v40, off, s[20:23], 0 offset:484 ; 4-byte Folded Spill
	global_load_dwordx4 v[77:80], v[39:40], off
	s_nop 0
	buffer_store_dword v41, off, s[20:23], 0 offset:488 ; 4-byte Folded Spill
	s_nop 0
	buffer_store_dword v42, off, s[20:23], 0 offset:492 ; 4-byte Folded Spill
	global_load_dwordx4 v[1:4], v[41:42], off
	s_nop 0
	buffer_store_dword v43, off, s[20:23], 0 offset:496 ; 4-byte Folded Spill
	s_nop 0
	buffer_store_dword v44, off, s[20:23], 0 offset:500 ; 4-byte Folded Spill
	global_load_dwordx4 v[9:12], v[43:44], off
	s_waitcnt vmcnt(0)
	buffer_store_dword v9, off, s[20:23], 0 offset:32 ; 4-byte Folded Spill
	s_nop 0
	buffer_store_dword v10, off, s[20:23], 0 offset:36 ; 4-byte Folded Spill
	buffer_store_dword v11, off, s[20:23], 0 offset:40 ; 4-byte Folded Spill
	;; [unrolled: 1-line block ×4, first 2 shown]
	s_nop 0
	buffer_store_dword v54, off, s[20:23], 0 offset:652 ; 4-byte Folded Spill
	global_load_dwordx4 v[5:8], v[53:54], off
	s_waitcnt vmcnt(0)
	buffer_store_dword v5, off, s[20:23], 0 offset:16 ; 4-byte Folded Spill
	s_nop 0
	buffer_store_dword v6, off, s[20:23], 0 offset:20 ; 4-byte Folded Spill
	buffer_store_dword v7, off, s[20:23], 0 offset:24 ; 4-byte Folded Spill
	;; [unrolled: 1-line block ×4, first 2 shown]
	s_nop 0
	buffer_store_dword v56, off, s[20:23], 0 offset:644 ; 4-byte Folded Spill
	global_load_dwordx4 v[5:8], v[55:56], off
	s_waitcnt vmcnt(0)
	buffer_store_dword v5, off, s[20:23], 0 ; 4-byte Folded Spill
	s_nop 0
	buffer_store_dword v6, off, s[20:23], 0 offset:4 ; 4-byte Folded Spill
	buffer_store_dword v7, off, s[20:23], 0 offset:8 ; 4-byte Folded Spill
	buffer_store_dword v8, off, s[20:23], 0 offset:12 ; 4-byte Folded Spill
	buffer_store_dword v57, off, s[20:23], 0 offset:656 ; 4-byte Folded Spill
	s_nop 0
	buffer_store_dword v58, off, s[20:23], 0 offset:660 ; 4-byte Folded Spill
	global_load_dwordx4 v[65:68], v[57:58], off
	s_nop 0
	buffer_store_dword v45, off, s[20:23], 0 offset:504 ; 4-byte Folded Spill
	s_nop 0
	buffer_store_dword v46, off, s[20:23], 0 offset:508 ; 4-byte Folded Spill
	global_load_dwordx4 v[61:64], v[45:46], off
	s_nop 0
	buffer_store_dword v47, off, s[20:23], 0 offset:512 ; 4-byte Folded Spill
	;; [unrolled: 5-line block ×9, first 2 shown]
	s_nop 0
	buffer_store_dword v98, off, s[20:23], 0 offset:572 ; 4-byte Folded Spill
	v_mov_b32_e32 v96, v4
	v_mov_b32_e32 v95, v3
	v_mov_b32_e32 v94, v2
	v_mov_b32_e32 v93, v1
	global_load_dwordx4 v[29:32], v[97:98], off
	s_nop 0
	buffer_store_dword v99, off, s[20:23], 0 offset:576 ; 4-byte Folded Spill
	s_nop 0
	buffer_store_dword v100, off, s[20:23], 0 offset:580 ; 4-byte Folded Spill
	global_load_dwordx4 v[25:28], v[99:100], off
	s_nop 0
	buffer_store_dword v101, off, s[20:23], 0 offset:584 ; 4-byte Folded Spill
	s_nop 0
	buffer_store_dword v102, off, s[20:23], 0 offset:588 ; 4-byte Folded Spill
	;; [unrolled: 5-line block ×8, first 2 shown]
	global_load_dwordx4 v[121:124], v[113:114], off
	v_mov_b32_e32 v116, v88
	v_mov_b32_e32 v115, v87
	;; [unrolled: 1-line block ×4, first 2 shown]
	s_and_saveexec_b64 s[6:7], s[0:1]
	s_cbranch_execz .LBB85_8
; %bb.2:
	buffer_load_dword v81, off, s[20:23], 0 offset:320 ; 4-byte Folded Reload
	buffer_load_dword v82, off, s[20:23], 0 offset:324 ; 4-byte Folded Reload
	;; [unrolled: 1-line block ×4, first 2 shown]
	s_waitcnt vmcnt(0)
	ds_write2_b64 v127, v[81:82], v[83:84] offset1:1
	buffer_load_dword v81, off, s[20:23], 0 offset:304 ; 4-byte Folded Reload
	buffer_load_dword v82, off, s[20:23], 0 offset:308 ; 4-byte Folded Reload
	buffer_load_dword v83, off, s[20:23], 0 offset:312 ; 4-byte Folded Reload
	buffer_load_dword v84, off, s[20:23], 0 offset:316 ; 4-byte Folded Reload
	s_waitcnt vmcnt(0)
	ds_write2_b64 v125, v[81:82], v[83:84] offset0:2 offset1:3
	buffer_load_dword v81, off, s[20:23], 0 offset:288 ; 4-byte Folded Reload
	buffer_load_dword v82, off, s[20:23], 0 offset:292 ; 4-byte Folded Reload
	buffer_load_dword v83, off, s[20:23], 0 offset:296 ; 4-byte Folded Reload
	buffer_load_dword v84, off, s[20:23], 0 offset:300 ; 4-byte Folded Reload
	s_waitcnt vmcnt(0)
	ds_write2_b64 v125, v[81:82], v[83:84] offset0:4 offset1:5
	;; [unrolled: 6-line block ×16, first 2 shown]
	ds_write2_b64 v125, v[117:118], v[119:120] offset0:34 offset1:35
	ds_write2_b64 v125, v[113:114], v[115:116] offset0:36 offset1:37
	buffer_load_dword v81, off, s[20:23], 0 offset:48 ; 4-byte Folded Reload
	buffer_load_dword v82, off, s[20:23], 0 offset:52 ; 4-byte Folded Reload
	;; [unrolled: 1-line block ×4, first 2 shown]
	s_waitcnt vmcnt(0)
	ds_write2_b64 v125, v[81:82], v[83:84] offset0:38 offset1:39
	ds_write2_b64 v125, v[77:78], v[79:80] offset0:40 offset1:41
	;; [unrolled: 1-line block ×3, first 2 shown]
	buffer_load_dword v85, off, s[20:23], 0 offset:32 ; 4-byte Folded Reload
	buffer_load_dword v86, off, s[20:23], 0 offset:36 ; 4-byte Folded Reload
	;; [unrolled: 1-line block ×4, first 2 shown]
	s_waitcnt vmcnt(0)
	ds_write2_b64 v125, v[85:86], v[87:88] offset0:44 offset1:45
	buffer_load_dword v73, off, s[20:23], 0 offset:16 ; 4-byte Folded Reload
	buffer_load_dword v74, off, s[20:23], 0 offset:20 ; 4-byte Folded Reload
	;; [unrolled: 1-line block ×4, first 2 shown]
	s_waitcnt vmcnt(0)
	ds_write2_b64 v125, v[73:74], v[75:76] offset0:46 offset1:47
	buffer_load_dword v69, off, s[20:23], 0 ; 4-byte Folded Reload
	buffer_load_dword v70, off, s[20:23], 0 offset:4 ; 4-byte Folded Reload
	buffer_load_dword v71, off, s[20:23], 0 offset:8 ; 4-byte Folded Reload
	;; [unrolled: 1-line block ×3, first 2 shown]
	s_waitcnt vmcnt(0)
	ds_write2_b64 v125, v[69:70], v[71:72] offset0:48 offset1:49
	ds_write2_b64 v125, v[65:66], v[67:68] offset0:50 offset1:51
	;; [unrolled: 1-line block ×19, first 2 shown]
	ds_read2_b64 v[97:100], v127 offset1:1
	s_waitcnt lgkmcnt(0)
	v_cmp_neq_f64_e32 vcc, 0, v[97:98]
	v_cmp_neq_f64_e64 s[4:5], 0, v[99:100]
	s_or_b64 s[4:5], vcc, s[4:5]
	s_and_b64 exec, exec, s[4:5]
	s_cbranch_execz .LBB85_8
; %bb.3:
	v_cmp_ngt_f64_e64 s[4:5], |v[97:98]|, |v[99:100]|
                                        ; implicit-def: $vgpr101_vgpr102
	s_and_saveexec_b64 s[8:9], s[4:5]
	s_xor_b64 s[4:5], exec, s[8:9]
                                        ; implicit-def: $vgpr103_vgpr104
	s_cbranch_execz .LBB85_5
; %bb.4:
	v_div_scale_f64 v[101:102], s[8:9], v[99:100], v[99:100], v[97:98]
	v_rcp_f64_e32 v[103:104], v[101:102]
	v_fma_f64 v[105:106], -v[101:102], v[103:104], 1.0
	v_fma_f64 v[103:104], v[103:104], v[105:106], v[103:104]
	v_div_scale_f64 v[105:106], vcc, v[97:98], v[99:100], v[97:98]
	v_fma_f64 v[107:108], -v[101:102], v[103:104], 1.0
	v_fma_f64 v[103:104], v[103:104], v[107:108], v[103:104]
	v_mul_f64 v[107:108], v[105:106], v[103:104]
	v_fma_f64 v[101:102], -v[101:102], v[107:108], v[105:106]
	v_div_fmas_f64 v[101:102], v[101:102], v[103:104], v[107:108]
	v_div_fixup_f64 v[101:102], v[101:102], v[99:100], v[97:98]
	v_fma_f64 v[97:98], v[97:98], v[101:102], v[99:100]
	v_div_scale_f64 v[99:100], s[8:9], v[97:98], v[97:98], 1.0
	v_div_scale_f64 v[107:108], vcc, 1.0, v[97:98], 1.0
	v_rcp_f64_e32 v[103:104], v[99:100]
	v_fma_f64 v[105:106], -v[99:100], v[103:104], 1.0
	v_fma_f64 v[103:104], v[103:104], v[105:106], v[103:104]
	v_fma_f64 v[105:106], -v[99:100], v[103:104], 1.0
	v_fma_f64 v[103:104], v[103:104], v[105:106], v[103:104]
	v_mul_f64 v[105:106], v[107:108], v[103:104]
	v_fma_f64 v[99:100], -v[99:100], v[105:106], v[107:108]
	v_div_fmas_f64 v[99:100], v[99:100], v[103:104], v[105:106]
	v_div_fixup_f64 v[103:104], v[99:100], v[97:98], 1.0
                                        ; implicit-def: $vgpr97_vgpr98
	v_mul_f64 v[101:102], v[101:102], v[103:104]
	v_xor_b32_e32 v104, 0x80000000, v104
.LBB85_5:
	s_andn2_saveexec_b64 s[4:5], s[4:5]
	s_cbranch_execz .LBB85_7
; %bb.6:
	v_div_scale_f64 v[101:102], s[8:9], v[97:98], v[97:98], v[99:100]
	v_rcp_f64_e32 v[103:104], v[101:102]
	v_fma_f64 v[105:106], -v[101:102], v[103:104], 1.0
	v_fma_f64 v[103:104], v[103:104], v[105:106], v[103:104]
	v_div_scale_f64 v[105:106], vcc, v[99:100], v[97:98], v[99:100]
	v_fma_f64 v[107:108], -v[101:102], v[103:104], 1.0
	v_fma_f64 v[103:104], v[103:104], v[107:108], v[103:104]
	v_mul_f64 v[107:108], v[105:106], v[103:104]
	v_fma_f64 v[101:102], -v[101:102], v[107:108], v[105:106]
	v_div_fmas_f64 v[101:102], v[101:102], v[103:104], v[107:108]
	v_div_fixup_f64 v[103:104], v[101:102], v[97:98], v[99:100]
	v_fma_f64 v[97:98], v[99:100], v[103:104], v[97:98]
	v_div_scale_f64 v[99:100], s[8:9], v[97:98], v[97:98], 1.0
	v_div_scale_f64 v[107:108], vcc, 1.0, v[97:98], 1.0
	v_rcp_f64_e32 v[101:102], v[99:100]
	v_fma_f64 v[105:106], -v[99:100], v[101:102], 1.0
	v_fma_f64 v[101:102], v[101:102], v[105:106], v[101:102]
	v_fma_f64 v[105:106], -v[99:100], v[101:102], 1.0
	v_fma_f64 v[101:102], v[101:102], v[105:106], v[101:102]
	v_mul_f64 v[105:106], v[107:108], v[101:102]
	v_fma_f64 v[99:100], -v[99:100], v[105:106], v[107:108]
	v_div_fmas_f64 v[99:100], v[99:100], v[101:102], v[105:106]
	v_div_fixup_f64 v[101:102], v[99:100], v[97:98], 1.0
	v_mul_f64 v[103:104], v[103:104], -v[101:102]
.LBB85_7:
	s_or_b64 exec, exec, s[4:5]
	ds_write2_b64 v127, v[101:102], v[103:104] offset1:1
.LBB85_8:
	s_or_b64 exec, exec, s[6:7]
	s_waitcnt vmcnt(0) lgkmcnt(0)
	s_barrier
	ds_read2_b64 v[81:84], v127 offset1:1
	s_waitcnt lgkmcnt(0)
	buffer_store_dword v81, off, s[20:23], 0 offset:704 ; 4-byte Folded Spill
	s_nop 0
	buffer_store_dword v82, off, s[20:23], 0 offset:708 ; 4-byte Folded Spill
	buffer_store_dword v83, off, s[20:23], 0 offset:712 ; 4-byte Folded Spill
	;; [unrolled: 1-line block ×3, first 2 shown]
	s_and_saveexec_b64 s[4:5], s[2:3]
	s_cbranch_execz .LBB85_10
; %bb.9:
	buffer_load_dword v87, off, s[20:23], 0 offset:320 ; 4-byte Folded Reload
	buffer_load_dword v88, off, s[20:23], 0 offset:324 ; 4-byte Folded Reload
	;; [unrolled: 1-line block ×8, first 2 shown]
	s_waitcnt vmcnt(2)
	v_mul_f64 v[99:100], v[81:82], v[89:90]
	s_waitcnt vmcnt(0)
	v_mul_f64 v[97:98], v[83:84], v[89:90]
	v_fma_f64 v[89:90], v[83:84], v[87:88], v[99:100]
	ds_read2_b64 v[99:102], v125 offset0:2 offset1:3
	v_fma_f64 v[97:98], v[81:82], v[87:88], -v[97:98]
	buffer_load_dword v81, off, s[20:23], 0 offset:304 ; 4-byte Folded Reload
	buffer_load_dword v82, off, s[20:23], 0 offset:308 ; 4-byte Folded Reload
	buffer_load_dword v83, off, s[20:23], 0 offset:312 ; 4-byte Folded Reload
	buffer_load_dword v84, off, s[20:23], 0 offset:316 ; 4-byte Folded Reload
	s_waitcnt lgkmcnt(0)
	v_mul_f64 v[103:104], v[101:102], v[89:90]
	v_fma_f64 v[103:104], v[99:100], v[97:98], -v[103:104]
	v_mul_f64 v[99:100], v[99:100], v[89:90]
	v_fma_f64 v[99:100], v[101:102], v[97:98], v[99:100]
	s_waitcnt vmcnt(2)
	v_add_f64 v[81:82], v[81:82], -v[103:104]
	s_waitcnt vmcnt(0)
	v_add_f64 v[83:84], v[83:84], -v[99:100]
	buffer_store_dword v81, off, s[20:23], 0 offset:304 ; 4-byte Folded Spill
	s_nop 0
	buffer_store_dword v82, off, s[20:23], 0 offset:308 ; 4-byte Folded Spill
	buffer_store_dword v83, off, s[20:23], 0 offset:312 ; 4-byte Folded Spill
	buffer_store_dword v84, off, s[20:23], 0 offset:316 ; 4-byte Folded Spill
	ds_read2_b64 v[99:102], v125 offset0:4 offset1:5
	buffer_load_dword v81, off, s[20:23], 0 offset:288 ; 4-byte Folded Reload
	buffer_load_dword v82, off, s[20:23], 0 offset:292 ; 4-byte Folded Reload
	buffer_load_dword v83, off, s[20:23], 0 offset:296 ; 4-byte Folded Reload
	buffer_load_dword v84, off, s[20:23], 0 offset:300 ; 4-byte Folded Reload
	s_waitcnt lgkmcnt(0)
	v_mul_f64 v[103:104], v[101:102], v[89:90]
	v_fma_f64 v[103:104], v[99:100], v[97:98], -v[103:104]
	v_mul_f64 v[99:100], v[99:100], v[89:90]
	v_fma_f64 v[99:100], v[101:102], v[97:98], v[99:100]
	s_waitcnt vmcnt(2)
	v_add_f64 v[81:82], v[81:82], -v[103:104]
	s_waitcnt vmcnt(0)
	v_add_f64 v[83:84], v[83:84], -v[99:100]
	buffer_store_dword v81, off, s[20:23], 0 offset:288 ; 4-byte Folded Spill
	s_nop 0
	buffer_store_dword v82, off, s[20:23], 0 offset:292 ; 4-byte Folded Spill
	buffer_store_dword v83, off, s[20:23], 0 offset:296 ; 4-byte Folded Spill
	buffer_store_dword v84, off, s[20:23], 0 offset:300 ; 4-byte Folded Spill
	ds_read2_b64 v[99:102], v125 offset0:6 offset1:7
	;; [unrolled: 19-line block ×16, first 2 shown]
	s_waitcnt lgkmcnt(0)
	v_mul_f64 v[103:104], v[101:102], v[89:90]
	v_fma_f64 v[103:104], v[99:100], v[97:98], -v[103:104]
	v_mul_f64 v[99:100], v[99:100], v[89:90]
	v_add_f64 v[117:118], v[117:118], -v[103:104]
	v_fma_f64 v[99:100], v[101:102], v[97:98], v[99:100]
	v_add_f64 v[119:120], v[119:120], -v[99:100]
	ds_read2_b64 v[99:102], v125 offset0:36 offset1:37
	s_waitcnt lgkmcnt(0)
	v_mul_f64 v[103:104], v[101:102], v[89:90]
	v_fma_f64 v[103:104], v[99:100], v[97:98], -v[103:104]
	v_mul_f64 v[99:100], v[99:100], v[89:90]
	v_add_f64 v[113:114], v[113:114], -v[103:104]
	v_fma_f64 v[99:100], v[101:102], v[97:98], v[99:100]
	v_add_f64 v[115:116], v[115:116], -v[99:100]
	ds_read2_b64 v[99:102], v125 offset0:38 offset1:39
	buffer_load_dword v81, off, s[20:23], 0 offset:48 ; 4-byte Folded Reload
	buffer_load_dword v82, off, s[20:23], 0 offset:52 ; 4-byte Folded Reload
	;; [unrolled: 1-line block ×4, first 2 shown]
	s_waitcnt lgkmcnt(0)
	v_mul_f64 v[103:104], v[101:102], v[89:90]
	v_fma_f64 v[103:104], v[99:100], v[97:98], -v[103:104]
	v_mul_f64 v[99:100], v[99:100], v[89:90]
	v_fma_f64 v[99:100], v[101:102], v[97:98], v[99:100]
	s_waitcnt vmcnt(2)
	v_add_f64 v[81:82], v[81:82], -v[103:104]
	s_waitcnt vmcnt(0)
	v_add_f64 v[83:84], v[83:84], -v[99:100]
	buffer_store_dword v81, off, s[20:23], 0 offset:48 ; 4-byte Folded Spill
	s_nop 0
	buffer_store_dword v82, off, s[20:23], 0 offset:52 ; 4-byte Folded Spill
	buffer_store_dword v83, off, s[20:23], 0 offset:56 ; 4-byte Folded Spill
	;; [unrolled: 1-line block ×3, first 2 shown]
	ds_read2_b64 v[99:102], v125 offset0:40 offset1:41
	s_waitcnt lgkmcnt(0)
	v_mul_f64 v[103:104], v[101:102], v[89:90]
	v_fma_f64 v[103:104], v[99:100], v[97:98], -v[103:104]
	v_mul_f64 v[99:100], v[99:100], v[89:90]
	v_add_f64 v[77:78], v[77:78], -v[103:104]
	v_fma_f64 v[99:100], v[101:102], v[97:98], v[99:100]
	v_add_f64 v[79:80], v[79:80], -v[99:100]
	ds_read2_b64 v[99:102], v125 offset0:42 offset1:43
	s_waitcnt lgkmcnt(0)
	v_mul_f64 v[103:104], v[101:102], v[89:90]
	v_fma_f64 v[103:104], v[99:100], v[97:98], -v[103:104]
	v_mul_f64 v[99:100], v[99:100], v[89:90]
	v_add_f64 v[93:94], v[93:94], -v[103:104]
	v_fma_f64 v[99:100], v[101:102], v[97:98], v[99:100]
	v_add_f64 v[95:96], v[95:96], -v[99:100]
	ds_read2_b64 v[99:102], v125 offset0:44 offset1:45
	buffer_load_dword v85, off, s[20:23], 0 offset:32 ; 4-byte Folded Reload
	buffer_load_dword v86, off, s[20:23], 0 offset:36 ; 4-byte Folded Reload
	;; [unrolled: 1-line block ×4, first 2 shown]
	s_waitcnt lgkmcnt(0)
	v_mul_f64 v[103:104], v[101:102], v[89:90]
	v_fma_f64 v[103:104], v[99:100], v[97:98], -v[103:104]
	v_mul_f64 v[99:100], v[99:100], v[89:90]
	v_fma_f64 v[99:100], v[101:102], v[97:98], v[99:100]
	s_waitcnt vmcnt(2)
	v_add_f64 v[85:86], v[85:86], -v[103:104]
	s_waitcnt vmcnt(0)
	v_add_f64 v[87:88], v[87:88], -v[99:100]
	buffer_store_dword v85, off, s[20:23], 0 offset:32 ; 4-byte Folded Spill
	s_nop 0
	buffer_store_dword v86, off, s[20:23], 0 offset:36 ; 4-byte Folded Spill
	buffer_store_dword v87, off, s[20:23], 0 offset:40 ; 4-byte Folded Spill
	;; [unrolled: 1-line block ×3, first 2 shown]
	ds_read2_b64 v[99:102], v125 offset0:46 offset1:47
	buffer_load_dword v73, off, s[20:23], 0 offset:16 ; 4-byte Folded Reload
	buffer_load_dword v74, off, s[20:23], 0 offset:20 ; 4-byte Folded Reload
	;; [unrolled: 1-line block ×4, first 2 shown]
	v_mov_b32_e32 v87, v97
	v_mov_b32_e32 v88, v98
	s_waitcnt lgkmcnt(0)
	v_mul_f64 v[103:104], v[101:102], v[89:90]
	v_fma_f64 v[103:104], v[99:100], v[97:98], -v[103:104]
	v_mul_f64 v[99:100], v[99:100], v[89:90]
	v_fma_f64 v[99:100], v[101:102], v[97:98], v[99:100]
	s_waitcnt vmcnt(2)
	v_add_f64 v[73:74], v[73:74], -v[103:104]
	s_waitcnt vmcnt(0)
	v_add_f64 v[75:76], v[75:76], -v[99:100]
	buffer_store_dword v73, off, s[20:23], 0 offset:16 ; 4-byte Folded Spill
	s_nop 0
	buffer_store_dword v74, off, s[20:23], 0 offset:20 ; 4-byte Folded Spill
	buffer_store_dword v75, off, s[20:23], 0 offset:24 ; 4-byte Folded Spill
	;; [unrolled: 1-line block ×3, first 2 shown]
	ds_read2_b64 v[99:102], v125 offset0:48 offset1:49
	buffer_load_dword v69, off, s[20:23], 0 ; 4-byte Folded Reload
	buffer_load_dword v70, off, s[20:23], 0 offset:4 ; 4-byte Folded Reload
	buffer_load_dword v71, off, s[20:23], 0 offset:8 ; 4-byte Folded Reload
	;; [unrolled: 1-line block ×3, first 2 shown]
	s_waitcnt lgkmcnt(0)
	v_mul_f64 v[103:104], v[101:102], v[89:90]
	v_fma_f64 v[103:104], v[99:100], v[97:98], -v[103:104]
	v_mul_f64 v[99:100], v[99:100], v[89:90]
	v_fma_f64 v[99:100], v[101:102], v[97:98], v[99:100]
	s_waitcnt vmcnt(2)
	v_add_f64 v[69:70], v[69:70], -v[103:104]
	s_waitcnt vmcnt(0)
	v_add_f64 v[71:72], v[71:72], -v[99:100]
	buffer_store_dword v69, off, s[20:23], 0 ; 4-byte Folded Spill
	s_nop 0
	buffer_store_dword v70, off, s[20:23], 0 offset:4 ; 4-byte Folded Spill
	buffer_store_dword v71, off, s[20:23], 0 offset:8 ; 4-byte Folded Spill
	;; [unrolled: 1-line block ×3, first 2 shown]
	ds_read2_b64 v[99:102], v125 offset0:50 offset1:51
	s_waitcnt lgkmcnt(0)
	v_mul_f64 v[103:104], v[101:102], v[89:90]
	v_fma_f64 v[103:104], v[99:100], v[97:98], -v[103:104]
	v_mul_f64 v[99:100], v[99:100], v[89:90]
	v_add_f64 v[65:66], v[65:66], -v[103:104]
	v_fma_f64 v[99:100], v[101:102], v[97:98], v[99:100]
	v_add_f64 v[67:68], v[67:68], -v[99:100]
	ds_read2_b64 v[99:102], v125 offset0:52 offset1:53
	s_waitcnt lgkmcnt(0)
	v_mul_f64 v[103:104], v[101:102], v[89:90]
	v_fma_f64 v[103:104], v[99:100], v[97:98], -v[103:104]
	v_mul_f64 v[99:100], v[99:100], v[89:90]
	v_add_f64 v[61:62], v[61:62], -v[103:104]
	v_fma_f64 v[99:100], v[101:102], v[97:98], v[99:100]
	v_add_f64 v[63:64], v[63:64], -v[99:100]
	;; [unrolled: 8-line block ×17, first 2 shown]
	ds_read2_b64 v[99:102], v125 offset0:84 offset1:85
	s_waitcnt lgkmcnt(0)
	v_mul_f64 v[103:104], v[101:102], v[89:90]
	v_fma_f64 v[103:104], v[99:100], v[97:98], -v[103:104]
	v_mul_f64 v[99:100], v[99:100], v[89:90]
	buffer_store_dword v87, off, s[20:23], 0 offset:320 ; 4-byte Folded Spill
	s_nop 0
	buffer_store_dword v88, off, s[20:23], 0 offset:324 ; 4-byte Folded Spill
	buffer_store_dword v89, off, s[20:23], 0 offset:328 ; 4-byte Folded Spill
	;; [unrolled: 1-line block ×3, first 2 shown]
	v_add_f64 v[121:122], v[121:122], -v[103:104]
	v_fma_f64 v[99:100], v[101:102], v[97:98], v[99:100]
	v_add_f64 v[123:124], v[123:124], -v[99:100]
.LBB85_10:
	s_or_b64 exec, exec, s[4:5]
	v_cmp_eq_u32_e32 vcc, 1, v0
	s_waitcnt vmcnt(0)
	s_barrier
	s_and_saveexec_b64 s[4:5], vcc
	s_cbranch_execz .LBB85_17
; %bb.11:
	buffer_load_dword v81, off, s[20:23], 0 offset:304 ; 4-byte Folded Reload
	buffer_load_dword v82, off, s[20:23], 0 offset:308 ; 4-byte Folded Reload
	buffer_load_dword v83, off, s[20:23], 0 offset:312 ; 4-byte Folded Reload
	buffer_load_dword v84, off, s[20:23], 0 offset:316 ; 4-byte Folded Reload
	s_waitcnt vmcnt(0)
	ds_write2_b64 v127, v[81:82], v[83:84] offset1:1
	buffer_load_dword v81, off, s[20:23], 0 offset:288 ; 4-byte Folded Reload
	buffer_load_dword v82, off, s[20:23], 0 offset:292 ; 4-byte Folded Reload
	buffer_load_dword v83, off, s[20:23], 0 offset:296 ; 4-byte Folded Reload
	buffer_load_dword v84, off, s[20:23], 0 offset:300 ; 4-byte Folded Reload
	s_waitcnt vmcnt(0)
	ds_write2_b64 v125, v[81:82], v[83:84] offset0:4 offset1:5
	buffer_load_dword v81, off, s[20:23], 0 offset:272 ; 4-byte Folded Reload
	buffer_load_dword v82, off, s[20:23], 0 offset:276 ; 4-byte Folded Reload
	buffer_load_dword v83, off, s[20:23], 0 offset:280 ; 4-byte Folded Reload
	buffer_load_dword v84, off, s[20:23], 0 offset:284 ; 4-byte Folded Reload
	s_waitcnt vmcnt(0)
	ds_write2_b64 v125, v[81:82], v[83:84] offset0:6 offset1:7
	;; [unrolled: 6-line block ×15, first 2 shown]
	ds_write2_b64 v125, v[117:118], v[119:120] offset0:34 offset1:35
	ds_write2_b64 v125, v[113:114], v[115:116] offset0:36 offset1:37
	buffer_load_dword v81, off, s[20:23], 0 offset:48 ; 4-byte Folded Reload
	buffer_load_dword v82, off, s[20:23], 0 offset:52 ; 4-byte Folded Reload
	;; [unrolled: 1-line block ×4, first 2 shown]
	s_waitcnt vmcnt(0)
	ds_write2_b64 v125, v[81:82], v[83:84] offset0:38 offset1:39
	ds_write2_b64 v125, v[77:78], v[79:80] offset0:40 offset1:41
	ds_write2_b64 v125, v[93:94], v[95:96] offset0:42 offset1:43
	buffer_load_dword v85, off, s[20:23], 0 offset:32 ; 4-byte Folded Reload
	buffer_load_dword v86, off, s[20:23], 0 offset:36 ; 4-byte Folded Reload
	;; [unrolled: 1-line block ×4, first 2 shown]
	s_waitcnt vmcnt(0)
	ds_write2_b64 v125, v[85:86], v[87:88] offset0:44 offset1:45
	buffer_load_dword v73, off, s[20:23], 0 offset:16 ; 4-byte Folded Reload
	buffer_load_dword v74, off, s[20:23], 0 offset:20 ; 4-byte Folded Reload
	;; [unrolled: 1-line block ×4, first 2 shown]
	s_waitcnt vmcnt(0)
	ds_write2_b64 v125, v[73:74], v[75:76] offset0:46 offset1:47
	buffer_load_dword v69, off, s[20:23], 0 ; 4-byte Folded Reload
	buffer_load_dword v70, off, s[20:23], 0 offset:4 ; 4-byte Folded Reload
	buffer_load_dword v71, off, s[20:23], 0 offset:8 ; 4-byte Folded Reload
	;; [unrolled: 1-line block ×3, first 2 shown]
	s_waitcnt vmcnt(0)
	ds_write2_b64 v125, v[69:70], v[71:72] offset0:48 offset1:49
	ds_write2_b64 v125, v[65:66], v[67:68] offset0:50 offset1:51
	;; [unrolled: 1-line block ×19, first 2 shown]
	ds_read2_b64 v[97:100], v127 offset1:1
	s_waitcnt lgkmcnt(0)
	v_cmp_neq_f64_e32 vcc, 0, v[97:98]
	v_cmp_neq_f64_e64 s[2:3], 0, v[99:100]
	s_or_b64 s[2:3], vcc, s[2:3]
	s_and_b64 exec, exec, s[2:3]
	s_cbranch_execz .LBB85_17
; %bb.12:
	v_cmp_ngt_f64_e64 s[2:3], |v[97:98]|, |v[99:100]|
                                        ; implicit-def: $vgpr101_vgpr102
	s_and_saveexec_b64 s[6:7], s[2:3]
	s_xor_b64 s[2:3], exec, s[6:7]
                                        ; implicit-def: $vgpr103_vgpr104
	s_cbranch_execz .LBB85_14
; %bb.13:
	v_div_scale_f64 v[101:102], s[6:7], v[99:100], v[99:100], v[97:98]
	v_rcp_f64_e32 v[103:104], v[101:102]
	v_fma_f64 v[105:106], -v[101:102], v[103:104], 1.0
	v_fma_f64 v[103:104], v[103:104], v[105:106], v[103:104]
	v_div_scale_f64 v[105:106], vcc, v[97:98], v[99:100], v[97:98]
	v_fma_f64 v[107:108], -v[101:102], v[103:104], 1.0
	v_fma_f64 v[103:104], v[103:104], v[107:108], v[103:104]
	v_mul_f64 v[107:108], v[105:106], v[103:104]
	v_fma_f64 v[101:102], -v[101:102], v[107:108], v[105:106]
	v_div_fmas_f64 v[101:102], v[101:102], v[103:104], v[107:108]
	v_div_fixup_f64 v[101:102], v[101:102], v[99:100], v[97:98]
	v_fma_f64 v[97:98], v[97:98], v[101:102], v[99:100]
	v_div_scale_f64 v[99:100], s[6:7], v[97:98], v[97:98], 1.0
	v_div_scale_f64 v[107:108], vcc, 1.0, v[97:98], 1.0
	v_rcp_f64_e32 v[103:104], v[99:100]
	v_fma_f64 v[105:106], -v[99:100], v[103:104], 1.0
	v_fma_f64 v[103:104], v[103:104], v[105:106], v[103:104]
	v_fma_f64 v[105:106], -v[99:100], v[103:104], 1.0
	v_fma_f64 v[103:104], v[103:104], v[105:106], v[103:104]
	v_mul_f64 v[105:106], v[107:108], v[103:104]
	v_fma_f64 v[99:100], -v[99:100], v[105:106], v[107:108]
	v_div_fmas_f64 v[99:100], v[99:100], v[103:104], v[105:106]
	v_div_fixup_f64 v[103:104], v[99:100], v[97:98], 1.0
                                        ; implicit-def: $vgpr97_vgpr98
	v_mul_f64 v[101:102], v[101:102], v[103:104]
	v_xor_b32_e32 v104, 0x80000000, v104
.LBB85_14:
	s_andn2_saveexec_b64 s[2:3], s[2:3]
	s_cbranch_execz .LBB85_16
; %bb.15:
	v_div_scale_f64 v[101:102], s[6:7], v[97:98], v[97:98], v[99:100]
	v_rcp_f64_e32 v[103:104], v[101:102]
	v_fma_f64 v[105:106], -v[101:102], v[103:104], 1.0
	v_fma_f64 v[103:104], v[103:104], v[105:106], v[103:104]
	v_div_scale_f64 v[105:106], vcc, v[99:100], v[97:98], v[99:100]
	v_fma_f64 v[107:108], -v[101:102], v[103:104], 1.0
	v_fma_f64 v[103:104], v[103:104], v[107:108], v[103:104]
	v_mul_f64 v[107:108], v[105:106], v[103:104]
	v_fma_f64 v[101:102], -v[101:102], v[107:108], v[105:106]
	v_div_fmas_f64 v[101:102], v[101:102], v[103:104], v[107:108]
	v_div_fixup_f64 v[103:104], v[101:102], v[97:98], v[99:100]
	v_fma_f64 v[97:98], v[99:100], v[103:104], v[97:98]
	v_div_scale_f64 v[99:100], s[6:7], v[97:98], v[97:98], 1.0
	v_div_scale_f64 v[107:108], vcc, 1.0, v[97:98], 1.0
	v_rcp_f64_e32 v[101:102], v[99:100]
	v_fma_f64 v[105:106], -v[99:100], v[101:102], 1.0
	v_fma_f64 v[101:102], v[101:102], v[105:106], v[101:102]
	v_fma_f64 v[105:106], -v[99:100], v[101:102], 1.0
	v_fma_f64 v[101:102], v[101:102], v[105:106], v[101:102]
	v_mul_f64 v[105:106], v[107:108], v[101:102]
	v_fma_f64 v[99:100], -v[99:100], v[105:106], v[107:108]
	v_div_fmas_f64 v[99:100], v[99:100], v[101:102], v[105:106]
	v_div_fixup_f64 v[101:102], v[99:100], v[97:98], 1.0
	v_mul_f64 v[103:104], v[103:104], -v[101:102]
.LBB85_16:
	s_or_b64 exec, exec, s[2:3]
	ds_write2_b64 v127, v[101:102], v[103:104] offset1:1
.LBB85_17:
	s_or_b64 exec, exec, s[4:5]
	s_waitcnt lgkmcnt(0)
	s_barrier
	ds_read2_b64 v[81:84], v127 offset1:1
	v_cmp_lt_u32_e32 vcc, 1, v0
	s_waitcnt lgkmcnt(0)
	buffer_store_dword v81, off, s[20:23], 0 offset:720 ; 4-byte Folded Spill
	s_nop 0
	buffer_store_dword v82, off, s[20:23], 0 offset:724 ; 4-byte Folded Spill
	buffer_store_dword v83, off, s[20:23], 0 offset:728 ; 4-byte Folded Spill
	;; [unrolled: 1-line block ×3, first 2 shown]
	s_and_saveexec_b64 s[2:3], vcc
	s_cbranch_execz .LBB85_19
; %bb.18:
	buffer_load_dword v87, off, s[20:23], 0 offset:304 ; 4-byte Folded Reload
	buffer_load_dword v88, off, s[20:23], 0 offset:308 ; 4-byte Folded Reload
	;; [unrolled: 1-line block ×8, first 2 shown]
	s_waitcnt vmcnt(2)
	v_mul_f64 v[99:100], v[81:82], v[89:90]
	s_waitcnt vmcnt(0)
	v_mul_f64 v[97:98], v[83:84], v[89:90]
	v_fma_f64 v[89:90], v[83:84], v[87:88], v[99:100]
	ds_read2_b64 v[99:102], v125 offset0:4 offset1:5
	v_fma_f64 v[97:98], v[81:82], v[87:88], -v[97:98]
	buffer_load_dword v81, off, s[20:23], 0 offset:288 ; 4-byte Folded Reload
	buffer_load_dword v82, off, s[20:23], 0 offset:292 ; 4-byte Folded Reload
	buffer_load_dword v83, off, s[20:23], 0 offset:296 ; 4-byte Folded Reload
	buffer_load_dword v84, off, s[20:23], 0 offset:300 ; 4-byte Folded Reload
	s_waitcnt lgkmcnt(0)
	v_mul_f64 v[103:104], v[101:102], v[89:90]
	v_fma_f64 v[103:104], v[99:100], v[97:98], -v[103:104]
	v_mul_f64 v[99:100], v[99:100], v[89:90]
	v_fma_f64 v[99:100], v[101:102], v[97:98], v[99:100]
	s_waitcnt vmcnt(2)
	v_add_f64 v[81:82], v[81:82], -v[103:104]
	s_waitcnt vmcnt(0)
	v_add_f64 v[83:84], v[83:84], -v[99:100]
	buffer_store_dword v81, off, s[20:23], 0 offset:288 ; 4-byte Folded Spill
	s_nop 0
	buffer_store_dword v82, off, s[20:23], 0 offset:292 ; 4-byte Folded Spill
	buffer_store_dword v83, off, s[20:23], 0 offset:296 ; 4-byte Folded Spill
	buffer_store_dword v84, off, s[20:23], 0 offset:300 ; 4-byte Folded Spill
	ds_read2_b64 v[99:102], v125 offset0:6 offset1:7
	buffer_load_dword v81, off, s[20:23], 0 offset:272 ; 4-byte Folded Reload
	buffer_load_dword v82, off, s[20:23], 0 offset:276 ; 4-byte Folded Reload
	buffer_load_dword v83, off, s[20:23], 0 offset:280 ; 4-byte Folded Reload
	buffer_load_dword v84, off, s[20:23], 0 offset:284 ; 4-byte Folded Reload
	s_waitcnt lgkmcnt(0)
	v_mul_f64 v[103:104], v[101:102], v[89:90]
	v_fma_f64 v[103:104], v[99:100], v[97:98], -v[103:104]
	v_mul_f64 v[99:100], v[99:100], v[89:90]
	v_fma_f64 v[99:100], v[101:102], v[97:98], v[99:100]
	s_waitcnt vmcnt(2)
	v_add_f64 v[81:82], v[81:82], -v[103:104]
	s_waitcnt vmcnt(0)
	v_add_f64 v[83:84], v[83:84], -v[99:100]
	buffer_store_dword v81, off, s[20:23], 0 offset:272 ; 4-byte Folded Spill
	s_nop 0
	buffer_store_dword v82, off, s[20:23], 0 offset:276 ; 4-byte Folded Spill
	buffer_store_dword v83, off, s[20:23], 0 offset:280 ; 4-byte Folded Spill
	buffer_store_dword v84, off, s[20:23], 0 offset:284 ; 4-byte Folded Spill
	ds_read2_b64 v[99:102], v125 offset0:8 offset1:9
	;; [unrolled: 19-line block ×15, first 2 shown]
	s_waitcnt lgkmcnt(0)
	v_mul_f64 v[103:104], v[101:102], v[89:90]
	v_fma_f64 v[103:104], v[99:100], v[97:98], -v[103:104]
	v_mul_f64 v[99:100], v[99:100], v[89:90]
	v_add_f64 v[117:118], v[117:118], -v[103:104]
	v_fma_f64 v[99:100], v[101:102], v[97:98], v[99:100]
	v_add_f64 v[119:120], v[119:120], -v[99:100]
	ds_read2_b64 v[99:102], v125 offset0:36 offset1:37
	s_waitcnt lgkmcnt(0)
	v_mul_f64 v[103:104], v[101:102], v[89:90]
	v_fma_f64 v[103:104], v[99:100], v[97:98], -v[103:104]
	v_mul_f64 v[99:100], v[99:100], v[89:90]
	v_add_f64 v[113:114], v[113:114], -v[103:104]
	v_fma_f64 v[99:100], v[101:102], v[97:98], v[99:100]
	v_add_f64 v[115:116], v[115:116], -v[99:100]
	ds_read2_b64 v[99:102], v125 offset0:38 offset1:39
	buffer_load_dword v81, off, s[20:23], 0 offset:48 ; 4-byte Folded Reload
	buffer_load_dword v82, off, s[20:23], 0 offset:52 ; 4-byte Folded Reload
	;; [unrolled: 1-line block ×4, first 2 shown]
	s_waitcnt lgkmcnt(0)
	v_mul_f64 v[103:104], v[101:102], v[89:90]
	v_fma_f64 v[103:104], v[99:100], v[97:98], -v[103:104]
	v_mul_f64 v[99:100], v[99:100], v[89:90]
	v_fma_f64 v[99:100], v[101:102], v[97:98], v[99:100]
	s_waitcnt vmcnt(2)
	v_add_f64 v[81:82], v[81:82], -v[103:104]
	s_waitcnt vmcnt(0)
	v_add_f64 v[83:84], v[83:84], -v[99:100]
	buffer_store_dword v81, off, s[20:23], 0 offset:48 ; 4-byte Folded Spill
	s_nop 0
	buffer_store_dword v82, off, s[20:23], 0 offset:52 ; 4-byte Folded Spill
	buffer_store_dword v83, off, s[20:23], 0 offset:56 ; 4-byte Folded Spill
	;; [unrolled: 1-line block ×3, first 2 shown]
	ds_read2_b64 v[99:102], v125 offset0:40 offset1:41
	s_waitcnt lgkmcnt(0)
	v_mul_f64 v[103:104], v[101:102], v[89:90]
	v_fma_f64 v[103:104], v[99:100], v[97:98], -v[103:104]
	v_mul_f64 v[99:100], v[99:100], v[89:90]
	v_add_f64 v[77:78], v[77:78], -v[103:104]
	v_fma_f64 v[99:100], v[101:102], v[97:98], v[99:100]
	v_add_f64 v[79:80], v[79:80], -v[99:100]
	ds_read2_b64 v[99:102], v125 offset0:42 offset1:43
	s_waitcnt lgkmcnt(0)
	v_mul_f64 v[103:104], v[101:102], v[89:90]
	v_fma_f64 v[103:104], v[99:100], v[97:98], -v[103:104]
	v_mul_f64 v[99:100], v[99:100], v[89:90]
	v_add_f64 v[93:94], v[93:94], -v[103:104]
	v_fma_f64 v[99:100], v[101:102], v[97:98], v[99:100]
	v_add_f64 v[95:96], v[95:96], -v[99:100]
	ds_read2_b64 v[99:102], v125 offset0:44 offset1:45
	buffer_load_dword v85, off, s[20:23], 0 offset:32 ; 4-byte Folded Reload
	buffer_load_dword v86, off, s[20:23], 0 offset:36 ; 4-byte Folded Reload
	;; [unrolled: 1-line block ×4, first 2 shown]
	s_waitcnt lgkmcnt(0)
	v_mul_f64 v[103:104], v[101:102], v[89:90]
	v_fma_f64 v[103:104], v[99:100], v[97:98], -v[103:104]
	v_mul_f64 v[99:100], v[99:100], v[89:90]
	v_fma_f64 v[99:100], v[101:102], v[97:98], v[99:100]
	s_waitcnt vmcnt(2)
	v_add_f64 v[85:86], v[85:86], -v[103:104]
	s_waitcnt vmcnt(0)
	v_add_f64 v[87:88], v[87:88], -v[99:100]
	buffer_store_dword v85, off, s[20:23], 0 offset:32 ; 4-byte Folded Spill
	s_nop 0
	buffer_store_dword v86, off, s[20:23], 0 offset:36 ; 4-byte Folded Spill
	buffer_store_dword v87, off, s[20:23], 0 offset:40 ; 4-byte Folded Spill
	;; [unrolled: 1-line block ×3, first 2 shown]
	ds_read2_b64 v[99:102], v125 offset0:46 offset1:47
	buffer_load_dword v73, off, s[20:23], 0 offset:16 ; 4-byte Folded Reload
	buffer_load_dword v74, off, s[20:23], 0 offset:20 ; 4-byte Folded Reload
	;; [unrolled: 1-line block ×4, first 2 shown]
	v_mov_b32_e32 v87, v97
	v_mov_b32_e32 v88, v98
	s_waitcnt lgkmcnt(0)
	v_mul_f64 v[103:104], v[101:102], v[89:90]
	v_fma_f64 v[103:104], v[99:100], v[97:98], -v[103:104]
	v_mul_f64 v[99:100], v[99:100], v[89:90]
	v_fma_f64 v[99:100], v[101:102], v[97:98], v[99:100]
	s_waitcnt vmcnt(2)
	v_add_f64 v[73:74], v[73:74], -v[103:104]
	s_waitcnt vmcnt(0)
	v_add_f64 v[75:76], v[75:76], -v[99:100]
	buffer_store_dword v73, off, s[20:23], 0 offset:16 ; 4-byte Folded Spill
	s_nop 0
	buffer_store_dword v74, off, s[20:23], 0 offset:20 ; 4-byte Folded Spill
	buffer_store_dword v75, off, s[20:23], 0 offset:24 ; 4-byte Folded Spill
	;; [unrolled: 1-line block ×3, first 2 shown]
	ds_read2_b64 v[99:102], v125 offset0:48 offset1:49
	buffer_load_dword v69, off, s[20:23], 0 ; 4-byte Folded Reload
	buffer_load_dword v70, off, s[20:23], 0 offset:4 ; 4-byte Folded Reload
	buffer_load_dword v71, off, s[20:23], 0 offset:8 ; 4-byte Folded Reload
	;; [unrolled: 1-line block ×3, first 2 shown]
	s_waitcnt lgkmcnt(0)
	v_mul_f64 v[103:104], v[101:102], v[89:90]
	v_fma_f64 v[103:104], v[99:100], v[97:98], -v[103:104]
	v_mul_f64 v[99:100], v[99:100], v[89:90]
	v_fma_f64 v[99:100], v[101:102], v[97:98], v[99:100]
	s_waitcnt vmcnt(2)
	v_add_f64 v[69:70], v[69:70], -v[103:104]
	s_waitcnt vmcnt(0)
	v_add_f64 v[71:72], v[71:72], -v[99:100]
	buffer_store_dword v69, off, s[20:23], 0 ; 4-byte Folded Spill
	s_nop 0
	buffer_store_dword v70, off, s[20:23], 0 offset:4 ; 4-byte Folded Spill
	buffer_store_dword v71, off, s[20:23], 0 offset:8 ; 4-byte Folded Spill
	;; [unrolled: 1-line block ×3, first 2 shown]
	ds_read2_b64 v[99:102], v125 offset0:50 offset1:51
	s_waitcnt lgkmcnt(0)
	v_mul_f64 v[103:104], v[101:102], v[89:90]
	v_fma_f64 v[103:104], v[99:100], v[97:98], -v[103:104]
	v_mul_f64 v[99:100], v[99:100], v[89:90]
	v_add_f64 v[65:66], v[65:66], -v[103:104]
	v_fma_f64 v[99:100], v[101:102], v[97:98], v[99:100]
	v_add_f64 v[67:68], v[67:68], -v[99:100]
	ds_read2_b64 v[99:102], v125 offset0:52 offset1:53
	s_waitcnt lgkmcnt(0)
	v_mul_f64 v[103:104], v[101:102], v[89:90]
	v_fma_f64 v[103:104], v[99:100], v[97:98], -v[103:104]
	v_mul_f64 v[99:100], v[99:100], v[89:90]
	v_add_f64 v[61:62], v[61:62], -v[103:104]
	v_fma_f64 v[99:100], v[101:102], v[97:98], v[99:100]
	v_add_f64 v[63:64], v[63:64], -v[99:100]
	;; [unrolled: 8-line block ×17, first 2 shown]
	ds_read2_b64 v[99:102], v125 offset0:84 offset1:85
	s_waitcnt lgkmcnt(0)
	v_mul_f64 v[103:104], v[101:102], v[89:90]
	v_fma_f64 v[103:104], v[99:100], v[97:98], -v[103:104]
	v_mul_f64 v[99:100], v[99:100], v[89:90]
	buffer_store_dword v87, off, s[20:23], 0 offset:304 ; 4-byte Folded Spill
	s_nop 0
	buffer_store_dword v88, off, s[20:23], 0 offset:308 ; 4-byte Folded Spill
	buffer_store_dword v89, off, s[20:23], 0 offset:312 ; 4-byte Folded Spill
	;; [unrolled: 1-line block ×3, first 2 shown]
	v_add_f64 v[121:122], v[121:122], -v[103:104]
	v_fma_f64 v[99:100], v[101:102], v[97:98], v[99:100]
	v_add_f64 v[123:124], v[123:124], -v[99:100]
.LBB85_19:
	s_or_b64 exec, exec, s[2:3]
	v_cmp_eq_u32_e32 vcc, 2, v0
	s_waitcnt vmcnt(0)
	s_barrier
	s_and_saveexec_b64 s[4:5], vcc
	s_cbranch_execz .LBB85_26
; %bb.20:
	buffer_load_dword v81, off, s[20:23], 0 offset:288 ; 4-byte Folded Reload
	buffer_load_dword v82, off, s[20:23], 0 offset:292 ; 4-byte Folded Reload
	;; [unrolled: 1-line block ×4, first 2 shown]
	s_waitcnt vmcnt(0)
	ds_write2_b64 v127, v[81:82], v[83:84] offset1:1
	buffer_load_dword v81, off, s[20:23], 0 offset:272 ; 4-byte Folded Reload
	buffer_load_dword v82, off, s[20:23], 0 offset:276 ; 4-byte Folded Reload
	buffer_load_dword v83, off, s[20:23], 0 offset:280 ; 4-byte Folded Reload
	buffer_load_dword v84, off, s[20:23], 0 offset:284 ; 4-byte Folded Reload
	s_waitcnt vmcnt(0)
	ds_write2_b64 v125, v[81:82], v[83:84] offset0:6 offset1:7
	buffer_load_dword v81, off, s[20:23], 0 offset:256 ; 4-byte Folded Reload
	buffer_load_dword v82, off, s[20:23], 0 offset:260 ; 4-byte Folded Reload
	buffer_load_dword v83, off, s[20:23], 0 offset:264 ; 4-byte Folded Reload
	buffer_load_dword v84, off, s[20:23], 0 offset:268 ; 4-byte Folded Reload
	s_waitcnt vmcnt(0)
	ds_write2_b64 v125, v[81:82], v[83:84] offset0:8 offset1:9
	;; [unrolled: 6-line block ×14, first 2 shown]
	ds_write2_b64 v125, v[117:118], v[119:120] offset0:34 offset1:35
	ds_write2_b64 v125, v[113:114], v[115:116] offset0:36 offset1:37
	buffer_load_dword v81, off, s[20:23], 0 offset:48 ; 4-byte Folded Reload
	buffer_load_dword v82, off, s[20:23], 0 offset:52 ; 4-byte Folded Reload
	buffer_load_dword v83, off, s[20:23], 0 offset:56 ; 4-byte Folded Reload
	buffer_load_dword v84, off, s[20:23], 0 offset:60 ; 4-byte Folded Reload
	s_waitcnt vmcnt(0)
	ds_write2_b64 v125, v[81:82], v[83:84] offset0:38 offset1:39
	ds_write2_b64 v125, v[77:78], v[79:80] offset0:40 offset1:41
	;; [unrolled: 1-line block ×3, first 2 shown]
	buffer_load_dword v85, off, s[20:23], 0 offset:32 ; 4-byte Folded Reload
	buffer_load_dword v86, off, s[20:23], 0 offset:36 ; 4-byte Folded Reload
	;; [unrolled: 1-line block ×4, first 2 shown]
	s_waitcnt vmcnt(0)
	ds_write2_b64 v125, v[85:86], v[87:88] offset0:44 offset1:45
	buffer_load_dword v73, off, s[20:23], 0 offset:16 ; 4-byte Folded Reload
	buffer_load_dword v74, off, s[20:23], 0 offset:20 ; 4-byte Folded Reload
	buffer_load_dword v75, off, s[20:23], 0 offset:24 ; 4-byte Folded Reload
	buffer_load_dword v76, off, s[20:23], 0 offset:28 ; 4-byte Folded Reload
	s_waitcnt vmcnt(0)
	ds_write2_b64 v125, v[73:74], v[75:76] offset0:46 offset1:47
	buffer_load_dword v69, off, s[20:23], 0 ; 4-byte Folded Reload
	buffer_load_dword v70, off, s[20:23], 0 offset:4 ; 4-byte Folded Reload
	buffer_load_dword v71, off, s[20:23], 0 offset:8 ; 4-byte Folded Reload
	;; [unrolled: 1-line block ×3, first 2 shown]
	s_waitcnt vmcnt(0)
	ds_write2_b64 v125, v[69:70], v[71:72] offset0:48 offset1:49
	ds_write2_b64 v125, v[65:66], v[67:68] offset0:50 offset1:51
	;; [unrolled: 1-line block ×19, first 2 shown]
	ds_read2_b64 v[97:100], v127 offset1:1
	s_waitcnt lgkmcnt(0)
	v_cmp_neq_f64_e32 vcc, 0, v[97:98]
	v_cmp_neq_f64_e64 s[2:3], 0, v[99:100]
	s_or_b64 s[2:3], vcc, s[2:3]
	s_and_b64 exec, exec, s[2:3]
	s_cbranch_execz .LBB85_26
; %bb.21:
	v_cmp_ngt_f64_e64 s[2:3], |v[97:98]|, |v[99:100]|
                                        ; implicit-def: $vgpr101_vgpr102
	s_and_saveexec_b64 s[6:7], s[2:3]
	s_xor_b64 s[2:3], exec, s[6:7]
                                        ; implicit-def: $vgpr103_vgpr104
	s_cbranch_execz .LBB85_23
; %bb.22:
	v_div_scale_f64 v[101:102], s[6:7], v[99:100], v[99:100], v[97:98]
	v_rcp_f64_e32 v[103:104], v[101:102]
	v_fma_f64 v[105:106], -v[101:102], v[103:104], 1.0
	v_fma_f64 v[103:104], v[103:104], v[105:106], v[103:104]
	v_div_scale_f64 v[105:106], vcc, v[97:98], v[99:100], v[97:98]
	v_fma_f64 v[107:108], -v[101:102], v[103:104], 1.0
	v_fma_f64 v[103:104], v[103:104], v[107:108], v[103:104]
	v_mul_f64 v[107:108], v[105:106], v[103:104]
	v_fma_f64 v[101:102], -v[101:102], v[107:108], v[105:106]
	v_div_fmas_f64 v[101:102], v[101:102], v[103:104], v[107:108]
	v_div_fixup_f64 v[101:102], v[101:102], v[99:100], v[97:98]
	v_fma_f64 v[97:98], v[97:98], v[101:102], v[99:100]
	v_div_scale_f64 v[99:100], s[6:7], v[97:98], v[97:98], 1.0
	v_div_scale_f64 v[107:108], vcc, 1.0, v[97:98], 1.0
	v_rcp_f64_e32 v[103:104], v[99:100]
	v_fma_f64 v[105:106], -v[99:100], v[103:104], 1.0
	v_fma_f64 v[103:104], v[103:104], v[105:106], v[103:104]
	v_fma_f64 v[105:106], -v[99:100], v[103:104], 1.0
	v_fma_f64 v[103:104], v[103:104], v[105:106], v[103:104]
	v_mul_f64 v[105:106], v[107:108], v[103:104]
	v_fma_f64 v[99:100], -v[99:100], v[105:106], v[107:108]
	v_div_fmas_f64 v[99:100], v[99:100], v[103:104], v[105:106]
	v_div_fixup_f64 v[103:104], v[99:100], v[97:98], 1.0
                                        ; implicit-def: $vgpr97_vgpr98
	v_mul_f64 v[101:102], v[101:102], v[103:104]
	v_xor_b32_e32 v104, 0x80000000, v104
.LBB85_23:
	s_andn2_saveexec_b64 s[2:3], s[2:3]
	s_cbranch_execz .LBB85_25
; %bb.24:
	v_div_scale_f64 v[101:102], s[6:7], v[97:98], v[97:98], v[99:100]
	v_rcp_f64_e32 v[103:104], v[101:102]
	v_fma_f64 v[105:106], -v[101:102], v[103:104], 1.0
	v_fma_f64 v[103:104], v[103:104], v[105:106], v[103:104]
	v_div_scale_f64 v[105:106], vcc, v[99:100], v[97:98], v[99:100]
	v_fma_f64 v[107:108], -v[101:102], v[103:104], 1.0
	v_fma_f64 v[103:104], v[103:104], v[107:108], v[103:104]
	v_mul_f64 v[107:108], v[105:106], v[103:104]
	v_fma_f64 v[101:102], -v[101:102], v[107:108], v[105:106]
	v_div_fmas_f64 v[101:102], v[101:102], v[103:104], v[107:108]
	v_div_fixup_f64 v[103:104], v[101:102], v[97:98], v[99:100]
	v_fma_f64 v[97:98], v[99:100], v[103:104], v[97:98]
	v_div_scale_f64 v[99:100], s[6:7], v[97:98], v[97:98], 1.0
	v_div_scale_f64 v[107:108], vcc, 1.0, v[97:98], 1.0
	v_rcp_f64_e32 v[101:102], v[99:100]
	v_fma_f64 v[105:106], -v[99:100], v[101:102], 1.0
	v_fma_f64 v[101:102], v[101:102], v[105:106], v[101:102]
	v_fma_f64 v[105:106], -v[99:100], v[101:102], 1.0
	v_fma_f64 v[101:102], v[101:102], v[105:106], v[101:102]
	v_mul_f64 v[105:106], v[107:108], v[101:102]
	v_fma_f64 v[99:100], -v[99:100], v[105:106], v[107:108]
	v_div_fmas_f64 v[99:100], v[99:100], v[101:102], v[105:106]
	v_div_fixup_f64 v[101:102], v[99:100], v[97:98], 1.0
	v_mul_f64 v[103:104], v[103:104], -v[101:102]
.LBB85_25:
	s_or_b64 exec, exec, s[2:3]
	ds_write2_b64 v127, v[101:102], v[103:104] offset1:1
.LBB85_26:
	s_or_b64 exec, exec, s[4:5]
	s_waitcnt lgkmcnt(0)
	s_barrier
	ds_read2_b64 v[81:84], v127 offset1:1
	v_cmp_lt_u32_e32 vcc, 2, v0
	s_waitcnt lgkmcnt(0)
	buffer_store_dword v81, off, s[20:23], 0 offset:736 ; 4-byte Folded Spill
	s_nop 0
	buffer_store_dword v82, off, s[20:23], 0 offset:740 ; 4-byte Folded Spill
	buffer_store_dword v83, off, s[20:23], 0 offset:744 ; 4-byte Folded Spill
	;; [unrolled: 1-line block ×3, first 2 shown]
	s_and_saveexec_b64 s[2:3], vcc
	s_cbranch_execz .LBB85_28
; %bb.27:
	buffer_load_dword v87, off, s[20:23], 0 offset:288 ; 4-byte Folded Reload
	buffer_load_dword v88, off, s[20:23], 0 offset:292 ; 4-byte Folded Reload
	;; [unrolled: 1-line block ×8, first 2 shown]
	s_waitcnt vmcnt(2)
	v_mul_f64 v[99:100], v[81:82], v[89:90]
	s_waitcnt vmcnt(0)
	v_mul_f64 v[97:98], v[83:84], v[89:90]
	v_fma_f64 v[89:90], v[83:84], v[87:88], v[99:100]
	ds_read2_b64 v[99:102], v125 offset0:6 offset1:7
	v_fma_f64 v[97:98], v[81:82], v[87:88], -v[97:98]
	buffer_load_dword v81, off, s[20:23], 0 offset:272 ; 4-byte Folded Reload
	buffer_load_dword v82, off, s[20:23], 0 offset:276 ; 4-byte Folded Reload
	buffer_load_dword v83, off, s[20:23], 0 offset:280 ; 4-byte Folded Reload
	buffer_load_dword v84, off, s[20:23], 0 offset:284 ; 4-byte Folded Reload
	s_waitcnt lgkmcnt(0)
	v_mul_f64 v[103:104], v[101:102], v[89:90]
	v_fma_f64 v[103:104], v[99:100], v[97:98], -v[103:104]
	v_mul_f64 v[99:100], v[99:100], v[89:90]
	v_fma_f64 v[99:100], v[101:102], v[97:98], v[99:100]
	s_waitcnt vmcnt(2)
	v_add_f64 v[81:82], v[81:82], -v[103:104]
	s_waitcnt vmcnt(0)
	v_add_f64 v[83:84], v[83:84], -v[99:100]
	buffer_store_dword v81, off, s[20:23], 0 offset:272 ; 4-byte Folded Spill
	s_nop 0
	buffer_store_dword v82, off, s[20:23], 0 offset:276 ; 4-byte Folded Spill
	buffer_store_dword v83, off, s[20:23], 0 offset:280 ; 4-byte Folded Spill
	buffer_store_dword v84, off, s[20:23], 0 offset:284 ; 4-byte Folded Spill
	ds_read2_b64 v[99:102], v125 offset0:8 offset1:9
	buffer_load_dword v81, off, s[20:23], 0 offset:256 ; 4-byte Folded Reload
	buffer_load_dword v82, off, s[20:23], 0 offset:260 ; 4-byte Folded Reload
	buffer_load_dword v83, off, s[20:23], 0 offset:264 ; 4-byte Folded Reload
	buffer_load_dword v84, off, s[20:23], 0 offset:268 ; 4-byte Folded Reload
	s_waitcnt lgkmcnt(0)
	v_mul_f64 v[103:104], v[101:102], v[89:90]
	v_fma_f64 v[103:104], v[99:100], v[97:98], -v[103:104]
	v_mul_f64 v[99:100], v[99:100], v[89:90]
	v_fma_f64 v[99:100], v[101:102], v[97:98], v[99:100]
	s_waitcnt vmcnt(2)
	v_add_f64 v[81:82], v[81:82], -v[103:104]
	s_waitcnt vmcnt(0)
	v_add_f64 v[83:84], v[83:84], -v[99:100]
	buffer_store_dword v81, off, s[20:23], 0 offset:256 ; 4-byte Folded Spill
	s_nop 0
	buffer_store_dword v82, off, s[20:23], 0 offset:260 ; 4-byte Folded Spill
	buffer_store_dword v83, off, s[20:23], 0 offset:264 ; 4-byte Folded Spill
	buffer_store_dword v84, off, s[20:23], 0 offset:268 ; 4-byte Folded Spill
	ds_read2_b64 v[99:102], v125 offset0:10 offset1:11
	;; [unrolled: 19-line block ×14, first 2 shown]
	s_waitcnt lgkmcnt(0)
	v_mul_f64 v[103:104], v[101:102], v[89:90]
	v_fma_f64 v[103:104], v[99:100], v[97:98], -v[103:104]
	v_mul_f64 v[99:100], v[99:100], v[89:90]
	v_add_f64 v[117:118], v[117:118], -v[103:104]
	v_fma_f64 v[99:100], v[101:102], v[97:98], v[99:100]
	v_add_f64 v[119:120], v[119:120], -v[99:100]
	ds_read2_b64 v[99:102], v125 offset0:36 offset1:37
	s_waitcnt lgkmcnt(0)
	v_mul_f64 v[103:104], v[101:102], v[89:90]
	v_fma_f64 v[103:104], v[99:100], v[97:98], -v[103:104]
	v_mul_f64 v[99:100], v[99:100], v[89:90]
	v_add_f64 v[113:114], v[113:114], -v[103:104]
	v_fma_f64 v[99:100], v[101:102], v[97:98], v[99:100]
	v_add_f64 v[115:116], v[115:116], -v[99:100]
	ds_read2_b64 v[99:102], v125 offset0:38 offset1:39
	buffer_load_dword v81, off, s[20:23], 0 offset:48 ; 4-byte Folded Reload
	buffer_load_dword v82, off, s[20:23], 0 offset:52 ; 4-byte Folded Reload
	;; [unrolled: 1-line block ×4, first 2 shown]
	s_waitcnt lgkmcnt(0)
	v_mul_f64 v[103:104], v[101:102], v[89:90]
	v_fma_f64 v[103:104], v[99:100], v[97:98], -v[103:104]
	v_mul_f64 v[99:100], v[99:100], v[89:90]
	v_fma_f64 v[99:100], v[101:102], v[97:98], v[99:100]
	s_waitcnt vmcnt(2)
	v_add_f64 v[81:82], v[81:82], -v[103:104]
	s_waitcnt vmcnt(0)
	v_add_f64 v[83:84], v[83:84], -v[99:100]
	buffer_store_dword v81, off, s[20:23], 0 offset:48 ; 4-byte Folded Spill
	s_nop 0
	buffer_store_dword v82, off, s[20:23], 0 offset:52 ; 4-byte Folded Spill
	buffer_store_dword v83, off, s[20:23], 0 offset:56 ; 4-byte Folded Spill
	;; [unrolled: 1-line block ×3, first 2 shown]
	ds_read2_b64 v[99:102], v125 offset0:40 offset1:41
	s_waitcnt lgkmcnt(0)
	v_mul_f64 v[103:104], v[101:102], v[89:90]
	v_fma_f64 v[103:104], v[99:100], v[97:98], -v[103:104]
	v_mul_f64 v[99:100], v[99:100], v[89:90]
	v_add_f64 v[77:78], v[77:78], -v[103:104]
	v_fma_f64 v[99:100], v[101:102], v[97:98], v[99:100]
	v_add_f64 v[79:80], v[79:80], -v[99:100]
	ds_read2_b64 v[99:102], v125 offset0:42 offset1:43
	s_waitcnt lgkmcnt(0)
	v_mul_f64 v[103:104], v[101:102], v[89:90]
	v_fma_f64 v[103:104], v[99:100], v[97:98], -v[103:104]
	v_mul_f64 v[99:100], v[99:100], v[89:90]
	v_add_f64 v[93:94], v[93:94], -v[103:104]
	v_fma_f64 v[99:100], v[101:102], v[97:98], v[99:100]
	v_add_f64 v[95:96], v[95:96], -v[99:100]
	ds_read2_b64 v[99:102], v125 offset0:44 offset1:45
	buffer_load_dword v85, off, s[20:23], 0 offset:32 ; 4-byte Folded Reload
	buffer_load_dword v86, off, s[20:23], 0 offset:36 ; 4-byte Folded Reload
	;; [unrolled: 1-line block ×4, first 2 shown]
	s_waitcnt lgkmcnt(0)
	v_mul_f64 v[103:104], v[101:102], v[89:90]
	v_fma_f64 v[103:104], v[99:100], v[97:98], -v[103:104]
	v_mul_f64 v[99:100], v[99:100], v[89:90]
	v_fma_f64 v[99:100], v[101:102], v[97:98], v[99:100]
	s_waitcnt vmcnt(2)
	v_add_f64 v[85:86], v[85:86], -v[103:104]
	s_waitcnt vmcnt(0)
	v_add_f64 v[87:88], v[87:88], -v[99:100]
	buffer_store_dword v85, off, s[20:23], 0 offset:32 ; 4-byte Folded Spill
	s_nop 0
	buffer_store_dword v86, off, s[20:23], 0 offset:36 ; 4-byte Folded Spill
	buffer_store_dword v87, off, s[20:23], 0 offset:40 ; 4-byte Folded Spill
	;; [unrolled: 1-line block ×3, first 2 shown]
	ds_read2_b64 v[99:102], v125 offset0:46 offset1:47
	buffer_load_dword v73, off, s[20:23], 0 offset:16 ; 4-byte Folded Reload
	buffer_load_dword v74, off, s[20:23], 0 offset:20 ; 4-byte Folded Reload
	;; [unrolled: 1-line block ×4, first 2 shown]
	v_mov_b32_e32 v87, v97
	v_mov_b32_e32 v88, v98
	s_waitcnt lgkmcnt(0)
	v_mul_f64 v[103:104], v[101:102], v[89:90]
	v_fma_f64 v[103:104], v[99:100], v[97:98], -v[103:104]
	v_mul_f64 v[99:100], v[99:100], v[89:90]
	v_fma_f64 v[99:100], v[101:102], v[97:98], v[99:100]
	s_waitcnt vmcnt(2)
	v_add_f64 v[73:74], v[73:74], -v[103:104]
	s_waitcnt vmcnt(0)
	v_add_f64 v[75:76], v[75:76], -v[99:100]
	buffer_store_dword v73, off, s[20:23], 0 offset:16 ; 4-byte Folded Spill
	s_nop 0
	buffer_store_dword v74, off, s[20:23], 0 offset:20 ; 4-byte Folded Spill
	buffer_store_dword v75, off, s[20:23], 0 offset:24 ; 4-byte Folded Spill
	buffer_store_dword v76, off, s[20:23], 0 offset:28 ; 4-byte Folded Spill
	ds_read2_b64 v[99:102], v125 offset0:48 offset1:49
	buffer_load_dword v69, off, s[20:23], 0 ; 4-byte Folded Reload
	buffer_load_dword v70, off, s[20:23], 0 offset:4 ; 4-byte Folded Reload
	buffer_load_dword v71, off, s[20:23], 0 offset:8 ; 4-byte Folded Reload
	;; [unrolled: 1-line block ×3, first 2 shown]
	s_waitcnt lgkmcnt(0)
	v_mul_f64 v[103:104], v[101:102], v[89:90]
	v_fma_f64 v[103:104], v[99:100], v[97:98], -v[103:104]
	v_mul_f64 v[99:100], v[99:100], v[89:90]
	v_fma_f64 v[99:100], v[101:102], v[97:98], v[99:100]
	s_waitcnt vmcnt(2)
	v_add_f64 v[69:70], v[69:70], -v[103:104]
	s_waitcnt vmcnt(0)
	v_add_f64 v[71:72], v[71:72], -v[99:100]
	buffer_store_dword v69, off, s[20:23], 0 ; 4-byte Folded Spill
	s_nop 0
	buffer_store_dword v70, off, s[20:23], 0 offset:4 ; 4-byte Folded Spill
	buffer_store_dword v71, off, s[20:23], 0 offset:8 ; 4-byte Folded Spill
	;; [unrolled: 1-line block ×3, first 2 shown]
	ds_read2_b64 v[99:102], v125 offset0:50 offset1:51
	s_waitcnt lgkmcnt(0)
	v_mul_f64 v[103:104], v[101:102], v[89:90]
	v_fma_f64 v[103:104], v[99:100], v[97:98], -v[103:104]
	v_mul_f64 v[99:100], v[99:100], v[89:90]
	v_add_f64 v[65:66], v[65:66], -v[103:104]
	v_fma_f64 v[99:100], v[101:102], v[97:98], v[99:100]
	v_add_f64 v[67:68], v[67:68], -v[99:100]
	ds_read2_b64 v[99:102], v125 offset0:52 offset1:53
	s_waitcnt lgkmcnt(0)
	v_mul_f64 v[103:104], v[101:102], v[89:90]
	v_fma_f64 v[103:104], v[99:100], v[97:98], -v[103:104]
	v_mul_f64 v[99:100], v[99:100], v[89:90]
	v_add_f64 v[61:62], v[61:62], -v[103:104]
	v_fma_f64 v[99:100], v[101:102], v[97:98], v[99:100]
	v_add_f64 v[63:64], v[63:64], -v[99:100]
	;; [unrolled: 8-line block ×17, first 2 shown]
	ds_read2_b64 v[99:102], v125 offset0:84 offset1:85
	s_waitcnt lgkmcnt(0)
	v_mul_f64 v[103:104], v[101:102], v[89:90]
	v_fma_f64 v[103:104], v[99:100], v[97:98], -v[103:104]
	v_mul_f64 v[99:100], v[99:100], v[89:90]
	buffer_store_dword v87, off, s[20:23], 0 offset:288 ; 4-byte Folded Spill
	s_nop 0
	buffer_store_dword v88, off, s[20:23], 0 offset:292 ; 4-byte Folded Spill
	buffer_store_dword v89, off, s[20:23], 0 offset:296 ; 4-byte Folded Spill
	;; [unrolled: 1-line block ×3, first 2 shown]
	v_add_f64 v[121:122], v[121:122], -v[103:104]
	v_fma_f64 v[99:100], v[101:102], v[97:98], v[99:100]
	v_add_f64 v[123:124], v[123:124], -v[99:100]
.LBB85_28:
	s_or_b64 exec, exec, s[2:3]
	v_cmp_eq_u32_e32 vcc, 3, v0
	s_waitcnt vmcnt(0)
	s_barrier
	s_and_saveexec_b64 s[4:5], vcc
	s_cbranch_execz .LBB85_35
; %bb.29:
	buffer_load_dword v81, off, s[20:23], 0 offset:272 ; 4-byte Folded Reload
	buffer_load_dword v82, off, s[20:23], 0 offset:276 ; 4-byte Folded Reload
	;; [unrolled: 1-line block ×4, first 2 shown]
	s_waitcnt vmcnt(0)
	ds_write2_b64 v127, v[81:82], v[83:84] offset1:1
	buffer_load_dword v81, off, s[20:23], 0 offset:256 ; 4-byte Folded Reload
	buffer_load_dword v82, off, s[20:23], 0 offset:260 ; 4-byte Folded Reload
	buffer_load_dword v83, off, s[20:23], 0 offset:264 ; 4-byte Folded Reload
	buffer_load_dword v84, off, s[20:23], 0 offset:268 ; 4-byte Folded Reload
	s_waitcnt vmcnt(0)
	ds_write2_b64 v125, v[81:82], v[83:84] offset0:8 offset1:9
	buffer_load_dword v81, off, s[20:23], 0 offset:240 ; 4-byte Folded Reload
	buffer_load_dword v82, off, s[20:23], 0 offset:244 ; 4-byte Folded Reload
	buffer_load_dword v83, off, s[20:23], 0 offset:248 ; 4-byte Folded Reload
	buffer_load_dword v84, off, s[20:23], 0 offset:252 ; 4-byte Folded Reload
	s_waitcnt vmcnt(0)
	ds_write2_b64 v125, v[81:82], v[83:84] offset0:10 offset1:11
	;; [unrolled: 6-line block ×13, first 2 shown]
	ds_write2_b64 v125, v[117:118], v[119:120] offset0:34 offset1:35
	ds_write2_b64 v125, v[113:114], v[115:116] offset0:36 offset1:37
	buffer_load_dword v81, off, s[20:23], 0 offset:48 ; 4-byte Folded Reload
	buffer_load_dword v82, off, s[20:23], 0 offset:52 ; 4-byte Folded Reload
	;; [unrolled: 1-line block ×4, first 2 shown]
	s_waitcnt vmcnt(0)
	ds_write2_b64 v125, v[81:82], v[83:84] offset0:38 offset1:39
	ds_write2_b64 v125, v[77:78], v[79:80] offset0:40 offset1:41
	;; [unrolled: 1-line block ×3, first 2 shown]
	buffer_load_dword v85, off, s[20:23], 0 offset:32 ; 4-byte Folded Reload
	buffer_load_dword v86, off, s[20:23], 0 offset:36 ; 4-byte Folded Reload
	;; [unrolled: 1-line block ×4, first 2 shown]
	s_waitcnt vmcnt(0)
	ds_write2_b64 v125, v[85:86], v[87:88] offset0:44 offset1:45
	buffer_load_dword v73, off, s[20:23], 0 offset:16 ; 4-byte Folded Reload
	buffer_load_dword v74, off, s[20:23], 0 offset:20 ; 4-byte Folded Reload
	buffer_load_dword v75, off, s[20:23], 0 offset:24 ; 4-byte Folded Reload
	buffer_load_dword v76, off, s[20:23], 0 offset:28 ; 4-byte Folded Reload
	s_waitcnt vmcnt(0)
	ds_write2_b64 v125, v[73:74], v[75:76] offset0:46 offset1:47
	buffer_load_dword v69, off, s[20:23], 0 ; 4-byte Folded Reload
	buffer_load_dword v70, off, s[20:23], 0 offset:4 ; 4-byte Folded Reload
	buffer_load_dword v71, off, s[20:23], 0 offset:8 ; 4-byte Folded Reload
	;; [unrolled: 1-line block ×3, first 2 shown]
	s_waitcnt vmcnt(0)
	ds_write2_b64 v125, v[69:70], v[71:72] offset0:48 offset1:49
	ds_write2_b64 v125, v[65:66], v[67:68] offset0:50 offset1:51
	;; [unrolled: 1-line block ×19, first 2 shown]
	ds_read2_b64 v[97:100], v127 offset1:1
	s_waitcnt lgkmcnt(0)
	v_cmp_neq_f64_e32 vcc, 0, v[97:98]
	v_cmp_neq_f64_e64 s[2:3], 0, v[99:100]
	s_or_b64 s[2:3], vcc, s[2:3]
	s_and_b64 exec, exec, s[2:3]
	s_cbranch_execz .LBB85_35
; %bb.30:
	v_cmp_ngt_f64_e64 s[2:3], |v[97:98]|, |v[99:100]|
                                        ; implicit-def: $vgpr101_vgpr102
	s_and_saveexec_b64 s[6:7], s[2:3]
	s_xor_b64 s[2:3], exec, s[6:7]
                                        ; implicit-def: $vgpr103_vgpr104
	s_cbranch_execz .LBB85_32
; %bb.31:
	v_div_scale_f64 v[101:102], s[6:7], v[99:100], v[99:100], v[97:98]
	v_rcp_f64_e32 v[103:104], v[101:102]
	v_fma_f64 v[105:106], -v[101:102], v[103:104], 1.0
	v_fma_f64 v[103:104], v[103:104], v[105:106], v[103:104]
	v_div_scale_f64 v[105:106], vcc, v[97:98], v[99:100], v[97:98]
	v_fma_f64 v[107:108], -v[101:102], v[103:104], 1.0
	v_fma_f64 v[103:104], v[103:104], v[107:108], v[103:104]
	v_mul_f64 v[107:108], v[105:106], v[103:104]
	v_fma_f64 v[101:102], -v[101:102], v[107:108], v[105:106]
	v_div_fmas_f64 v[101:102], v[101:102], v[103:104], v[107:108]
	v_div_fixup_f64 v[101:102], v[101:102], v[99:100], v[97:98]
	v_fma_f64 v[97:98], v[97:98], v[101:102], v[99:100]
	v_div_scale_f64 v[99:100], s[6:7], v[97:98], v[97:98], 1.0
	v_div_scale_f64 v[107:108], vcc, 1.0, v[97:98], 1.0
	v_rcp_f64_e32 v[103:104], v[99:100]
	v_fma_f64 v[105:106], -v[99:100], v[103:104], 1.0
	v_fma_f64 v[103:104], v[103:104], v[105:106], v[103:104]
	v_fma_f64 v[105:106], -v[99:100], v[103:104], 1.0
	v_fma_f64 v[103:104], v[103:104], v[105:106], v[103:104]
	v_mul_f64 v[105:106], v[107:108], v[103:104]
	v_fma_f64 v[99:100], -v[99:100], v[105:106], v[107:108]
	v_div_fmas_f64 v[99:100], v[99:100], v[103:104], v[105:106]
	v_div_fixup_f64 v[103:104], v[99:100], v[97:98], 1.0
                                        ; implicit-def: $vgpr97_vgpr98
	v_mul_f64 v[101:102], v[101:102], v[103:104]
	v_xor_b32_e32 v104, 0x80000000, v104
.LBB85_32:
	s_andn2_saveexec_b64 s[2:3], s[2:3]
	s_cbranch_execz .LBB85_34
; %bb.33:
	v_div_scale_f64 v[101:102], s[6:7], v[97:98], v[97:98], v[99:100]
	v_rcp_f64_e32 v[103:104], v[101:102]
	v_fma_f64 v[105:106], -v[101:102], v[103:104], 1.0
	v_fma_f64 v[103:104], v[103:104], v[105:106], v[103:104]
	v_div_scale_f64 v[105:106], vcc, v[99:100], v[97:98], v[99:100]
	v_fma_f64 v[107:108], -v[101:102], v[103:104], 1.0
	v_fma_f64 v[103:104], v[103:104], v[107:108], v[103:104]
	v_mul_f64 v[107:108], v[105:106], v[103:104]
	v_fma_f64 v[101:102], -v[101:102], v[107:108], v[105:106]
	v_div_fmas_f64 v[101:102], v[101:102], v[103:104], v[107:108]
	v_div_fixup_f64 v[103:104], v[101:102], v[97:98], v[99:100]
	v_fma_f64 v[97:98], v[99:100], v[103:104], v[97:98]
	v_div_scale_f64 v[99:100], s[6:7], v[97:98], v[97:98], 1.0
	v_div_scale_f64 v[107:108], vcc, 1.0, v[97:98], 1.0
	v_rcp_f64_e32 v[101:102], v[99:100]
	v_fma_f64 v[105:106], -v[99:100], v[101:102], 1.0
	v_fma_f64 v[101:102], v[101:102], v[105:106], v[101:102]
	v_fma_f64 v[105:106], -v[99:100], v[101:102], 1.0
	v_fma_f64 v[101:102], v[101:102], v[105:106], v[101:102]
	v_mul_f64 v[105:106], v[107:108], v[101:102]
	v_fma_f64 v[99:100], -v[99:100], v[105:106], v[107:108]
	v_div_fmas_f64 v[99:100], v[99:100], v[101:102], v[105:106]
	v_div_fixup_f64 v[101:102], v[99:100], v[97:98], 1.0
	v_mul_f64 v[103:104], v[103:104], -v[101:102]
.LBB85_34:
	s_or_b64 exec, exec, s[2:3]
	ds_write2_b64 v127, v[101:102], v[103:104] offset1:1
.LBB85_35:
	s_or_b64 exec, exec, s[4:5]
	s_waitcnt lgkmcnt(0)
	s_barrier
	ds_read2_b64 v[81:84], v127 offset1:1
	v_cmp_lt_u32_e32 vcc, 3, v0
	s_waitcnt lgkmcnt(0)
	buffer_store_dword v81, off, s[20:23], 0 offset:752 ; 4-byte Folded Spill
	s_nop 0
	buffer_store_dword v82, off, s[20:23], 0 offset:756 ; 4-byte Folded Spill
	buffer_store_dword v83, off, s[20:23], 0 offset:760 ; 4-byte Folded Spill
	;; [unrolled: 1-line block ×3, first 2 shown]
	s_and_saveexec_b64 s[2:3], vcc
	s_cbranch_execz .LBB85_37
; %bb.36:
	buffer_load_dword v87, off, s[20:23], 0 offset:272 ; 4-byte Folded Reload
	buffer_load_dword v88, off, s[20:23], 0 offset:276 ; 4-byte Folded Reload
	;; [unrolled: 1-line block ×8, first 2 shown]
	s_waitcnt vmcnt(2)
	v_mul_f64 v[99:100], v[81:82], v[89:90]
	s_waitcnt vmcnt(0)
	v_mul_f64 v[97:98], v[83:84], v[89:90]
	v_fma_f64 v[89:90], v[83:84], v[87:88], v[99:100]
	ds_read2_b64 v[99:102], v125 offset0:8 offset1:9
	v_fma_f64 v[97:98], v[81:82], v[87:88], -v[97:98]
	buffer_load_dword v81, off, s[20:23], 0 offset:256 ; 4-byte Folded Reload
	buffer_load_dword v82, off, s[20:23], 0 offset:260 ; 4-byte Folded Reload
	buffer_load_dword v83, off, s[20:23], 0 offset:264 ; 4-byte Folded Reload
	buffer_load_dword v84, off, s[20:23], 0 offset:268 ; 4-byte Folded Reload
	s_waitcnt lgkmcnt(0)
	v_mul_f64 v[103:104], v[101:102], v[89:90]
	v_fma_f64 v[103:104], v[99:100], v[97:98], -v[103:104]
	v_mul_f64 v[99:100], v[99:100], v[89:90]
	v_fma_f64 v[99:100], v[101:102], v[97:98], v[99:100]
	s_waitcnt vmcnt(2)
	v_add_f64 v[81:82], v[81:82], -v[103:104]
	s_waitcnt vmcnt(0)
	v_add_f64 v[83:84], v[83:84], -v[99:100]
	buffer_store_dword v81, off, s[20:23], 0 offset:256 ; 4-byte Folded Spill
	s_nop 0
	buffer_store_dword v82, off, s[20:23], 0 offset:260 ; 4-byte Folded Spill
	buffer_store_dword v83, off, s[20:23], 0 offset:264 ; 4-byte Folded Spill
	buffer_store_dword v84, off, s[20:23], 0 offset:268 ; 4-byte Folded Spill
	ds_read2_b64 v[99:102], v125 offset0:10 offset1:11
	buffer_load_dword v81, off, s[20:23], 0 offset:240 ; 4-byte Folded Reload
	buffer_load_dword v82, off, s[20:23], 0 offset:244 ; 4-byte Folded Reload
	buffer_load_dword v83, off, s[20:23], 0 offset:248 ; 4-byte Folded Reload
	buffer_load_dword v84, off, s[20:23], 0 offset:252 ; 4-byte Folded Reload
	s_waitcnt lgkmcnt(0)
	v_mul_f64 v[103:104], v[101:102], v[89:90]
	v_fma_f64 v[103:104], v[99:100], v[97:98], -v[103:104]
	v_mul_f64 v[99:100], v[99:100], v[89:90]
	v_fma_f64 v[99:100], v[101:102], v[97:98], v[99:100]
	s_waitcnt vmcnt(2)
	v_add_f64 v[81:82], v[81:82], -v[103:104]
	s_waitcnt vmcnt(0)
	v_add_f64 v[83:84], v[83:84], -v[99:100]
	buffer_store_dword v81, off, s[20:23], 0 offset:240 ; 4-byte Folded Spill
	s_nop 0
	buffer_store_dword v82, off, s[20:23], 0 offset:244 ; 4-byte Folded Spill
	buffer_store_dword v83, off, s[20:23], 0 offset:248 ; 4-byte Folded Spill
	buffer_store_dword v84, off, s[20:23], 0 offset:252 ; 4-byte Folded Spill
	ds_read2_b64 v[99:102], v125 offset0:12 offset1:13
	;; [unrolled: 19-line block ×13, first 2 shown]
	s_waitcnt lgkmcnt(0)
	v_mul_f64 v[103:104], v[101:102], v[89:90]
	v_fma_f64 v[103:104], v[99:100], v[97:98], -v[103:104]
	v_mul_f64 v[99:100], v[99:100], v[89:90]
	v_add_f64 v[117:118], v[117:118], -v[103:104]
	v_fma_f64 v[99:100], v[101:102], v[97:98], v[99:100]
	v_add_f64 v[119:120], v[119:120], -v[99:100]
	ds_read2_b64 v[99:102], v125 offset0:36 offset1:37
	s_waitcnt lgkmcnt(0)
	v_mul_f64 v[103:104], v[101:102], v[89:90]
	v_fma_f64 v[103:104], v[99:100], v[97:98], -v[103:104]
	v_mul_f64 v[99:100], v[99:100], v[89:90]
	v_add_f64 v[113:114], v[113:114], -v[103:104]
	v_fma_f64 v[99:100], v[101:102], v[97:98], v[99:100]
	v_add_f64 v[115:116], v[115:116], -v[99:100]
	ds_read2_b64 v[99:102], v125 offset0:38 offset1:39
	buffer_load_dword v81, off, s[20:23], 0 offset:48 ; 4-byte Folded Reload
	buffer_load_dword v82, off, s[20:23], 0 offset:52 ; 4-byte Folded Reload
	;; [unrolled: 1-line block ×4, first 2 shown]
	s_waitcnt lgkmcnt(0)
	v_mul_f64 v[103:104], v[101:102], v[89:90]
	v_fma_f64 v[103:104], v[99:100], v[97:98], -v[103:104]
	v_mul_f64 v[99:100], v[99:100], v[89:90]
	v_fma_f64 v[99:100], v[101:102], v[97:98], v[99:100]
	s_waitcnt vmcnt(2)
	v_add_f64 v[81:82], v[81:82], -v[103:104]
	s_waitcnt vmcnt(0)
	v_add_f64 v[83:84], v[83:84], -v[99:100]
	buffer_store_dword v81, off, s[20:23], 0 offset:48 ; 4-byte Folded Spill
	s_nop 0
	buffer_store_dword v82, off, s[20:23], 0 offset:52 ; 4-byte Folded Spill
	buffer_store_dword v83, off, s[20:23], 0 offset:56 ; 4-byte Folded Spill
	buffer_store_dword v84, off, s[20:23], 0 offset:60 ; 4-byte Folded Spill
	ds_read2_b64 v[99:102], v125 offset0:40 offset1:41
	s_waitcnt lgkmcnt(0)
	v_mul_f64 v[103:104], v[101:102], v[89:90]
	v_fma_f64 v[103:104], v[99:100], v[97:98], -v[103:104]
	v_mul_f64 v[99:100], v[99:100], v[89:90]
	v_add_f64 v[77:78], v[77:78], -v[103:104]
	v_fma_f64 v[99:100], v[101:102], v[97:98], v[99:100]
	v_add_f64 v[79:80], v[79:80], -v[99:100]
	ds_read2_b64 v[99:102], v125 offset0:42 offset1:43
	s_waitcnt lgkmcnt(0)
	v_mul_f64 v[103:104], v[101:102], v[89:90]
	v_fma_f64 v[103:104], v[99:100], v[97:98], -v[103:104]
	v_mul_f64 v[99:100], v[99:100], v[89:90]
	v_add_f64 v[93:94], v[93:94], -v[103:104]
	v_fma_f64 v[99:100], v[101:102], v[97:98], v[99:100]
	v_add_f64 v[95:96], v[95:96], -v[99:100]
	ds_read2_b64 v[99:102], v125 offset0:44 offset1:45
	buffer_load_dword v85, off, s[20:23], 0 offset:32 ; 4-byte Folded Reload
	buffer_load_dword v86, off, s[20:23], 0 offset:36 ; 4-byte Folded Reload
	;; [unrolled: 1-line block ×4, first 2 shown]
	s_waitcnt lgkmcnt(0)
	v_mul_f64 v[103:104], v[101:102], v[89:90]
	v_fma_f64 v[103:104], v[99:100], v[97:98], -v[103:104]
	v_mul_f64 v[99:100], v[99:100], v[89:90]
	v_fma_f64 v[99:100], v[101:102], v[97:98], v[99:100]
	s_waitcnt vmcnt(2)
	v_add_f64 v[85:86], v[85:86], -v[103:104]
	s_waitcnt vmcnt(0)
	v_add_f64 v[87:88], v[87:88], -v[99:100]
	buffer_store_dword v85, off, s[20:23], 0 offset:32 ; 4-byte Folded Spill
	s_nop 0
	buffer_store_dword v86, off, s[20:23], 0 offset:36 ; 4-byte Folded Spill
	buffer_store_dword v87, off, s[20:23], 0 offset:40 ; 4-byte Folded Spill
	;; [unrolled: 1-line block ×3, first 2 shown]
	ds_read2_b64 v[99:102], v125 offset0:46 offset1:47
	buffer_load_dword v73, off, s[20:23], 0 offset:16 ; 4-byte Folded Reload
	buffer_load_dword v74, off, s[20:23], 0 offset:20 ; 4-byte Folded Reload
	;; [unrolled: 1-line block ×4, first 2 shown]
	v_mov_b32_e32 v87, v97
	v_mov_b32_e32 v88, v98
	s_waitcnt lgkmcnt(0)
	v_mul_f64 v[103:104], v[101:102], v[89:90]
	v_fma_f64 v[103:104], v[99:100], v[97:98], -v[103:104]
	v_mul_f64 v[99:100], v[99:100], v[89:90]
	v_fma_f64 v[99:100], v[101:102], v[97:98], v[99:100]
	s_waitcnt vmcnt(2)
	v_add_f64 v[73:74], v[73:74], -v[103:104]
	s_waitcnt vmcnt(0)
	v_add_f64 v[75:76], v[75:76], -v[99:100]
	buffer_store_dword v73, off, s[20:23], 0 offset:16 ; 4-byte Folded Spill
	s_nop 0
	buffer_store_dword v74, off, s[20:23], 0 offset:20 ; 4-byte Folded Spill
	buffer_store_dword v75, off, s[20:23], 0 offset:24 ; 4-byte Folded Spill
	;; [unrolled: 1-line block ×3, first 2 shown]
	ds_read2_b64 v[99:102], v125 offset0:48 offset1:49
	buffer_load_dword v69, off, s[20:23], 0 ; 4-byte Folded Reload
	buffer_load_dword v70, off, s[20:23], 0 offset:4 ; 4-byte Folded Reload
	buffer_load_dword v71, off, s[20:23], 0 offset:8 ; 4-byte Folded Reload
	;; [unrolled: 1-line block ×3, first 2 shown]
	s_waitcnt lgkmcnt(0)
	v_mul_f64 v[103:104], v[101:102], v[89:90]
	v_fma_f64 v[103:104], v[99:100], v[97:98], -v[103:104]
	v_mul_f64 v[99:100], v[99:100], v[89:90]
	v_fma_f64 v[99:100], v[101:102], v[97:98], v[99:100]
	s_waitcnt vmcnt(2)
	v_add_f64 v[69:70], v[69:70], -v[103:104]
	s_waitcnt vmcnt(0)
	v_add_f64 v[71:72], v[71:72], -v[99:100]
	buffer_store_dword v69, off, s[20:23], 0 ; 4-byte Folded Spill
	s_nop 0
	buffer_store_dword v70, off, s[20:23], 0 offset:4 ; 4-byte Folded Spill
	buffer_store_dword v71, off, s[20:23], 0 offset:8 ; 4-byte Folded Spill
	buffer_store_dword v72, off, s[20:23], 0 offset:12 ; 4-byte Folded Spill
	ds_read2_b64 v[99:102], v125 offset0:50 offset1:51
	s_waitcnt lgkmcnt(0)
	v_mul_f64 v[103:104], v[101:102], v[89:90]
	v_fma_f64 v[103:104], v[99:100], v[97:98], -v[103:104]
	v_mul_f64 v[99:100], v[99:100], v[89:90]
	v_add_f64 v[65:66], v[65:66], -v[103:104]
	v_fma_f64 v[99:100], v[101:102], v[97:98], v[99:100]
	v_add_f64 v[67:68], v[67:68], -v[99:100]
	ds_read2_b64 v[99:102], v125 offset0:52 offset1:53
	s_waitcnt lgkmcnt(0)
	v_mul_f64 v[103:104], v[101:102], v[89:90]
	v_fma_f64 v[103:104], v[99:100], v[97:98], -v[103:104]
	v_mul_f64 v[99:100], v[99:100], v[89:90]
	v_add_f64 v[61:62], v[61:62], -v[103:104]
	v_fma_f64 v[99:100], v[101:102], v[97:98], v[99:100]
	v_add_f64 v[63:64], v[63:64], -v[99:100]
	;; [unrolled: 8-line block ×17, first 2 shown]
	ds_read2_b64 v[99:102], v125 offset0:84 offset1:85
	s_waitcnt lgkmcnt(0)
	v_mul_f64 v[103:104], v[101:102], v[89:90]
	v_fma_f64 v[103:104], v[99:100], v[97:98], -v[103:104]
	v_mul_f64 v[99:100], v[99:100], v[89:90]
	buffer_store_dword v87, off, s[20:23], 0 offset:272 ; 4-byte Folded Spill
	s_nop 0
	buffer_store_dword v88, off, s[20:23], 0 offset:276 ; 4-byte Folded Spill
	buffer_store_dword v89, off, s[20:23], 0 offset:280 ; 4-byte Folded Spill
	;; [unrolled: 1-line block ×3, first 2 shown]
	v_add_f64 v[121:122], v[121:122], -v[103:104]
	v_fma_f64 v[99:100], v[101:102], v[97:98], v[99:100]
	v_add_f64 v[123:124], v[123:124], -v[99:100]
.LBB85_37:
	s_or_b64 exec, exec, s[2:3]
	v_cmp_eq_u32_e32 vcc, 4, v0
	s_waitcnt vmcnt(0)
	s_barrier
	s_and_saveexec_b64 s[4:5], vcc
	s_cbranch_execz .LBB85_44
; %bb.38:
	buffer_load_dword v81, off, s[20:23], 0 offset:256 ; 4-byte Folded Reload
	buffer_load_dword v82, off, s[20:23], 0 offset:260 ; 4-byte Folded Reload
	;; [unrolled: 1-line block ×4, first 2 shown]
	s_waitcnt vmcnt(0)
	ds_write2_b64 v127, v[81:82], v[83:84] offset1:1
	buffer_load_dword v81, off, s[20:23], 0 offset:240 ; 4-byte Folded Reload
	buffer_load_dword v82, off, s[20:23], 0 offset:244 ; 4-byte Folded Reload
	buffer_load_dword v83, off, s[20:23], 0 offset:248 ; 4-byte Folded Reload
	buffer_load_dword v84, off, s[20:23], 0 offset:252 ; 4-byte Folded Reload
	s_waitcnt vmcnt(0)
	ds_write2_b64 v125, v[81:82], v[83:84] offset0:10 offset1:11
	buffer_load_dword v81, off, s[20:23], 0 offset:224 ; 4-byte Folded Reload
	buffer_load_dword v82, off, s[20:23], 0 offset:228 ; 4-byte Folded Reload
	buffer_load_dword v83, off, s[20:23], 0 offset:232 ; 4-byte Folded Reload
	buffer_load_dword v84, off, s[20:23], 0 offset:236 ; 4-byte Folded Reload
	s_waitcnt vmcnt(0)
	ds_write2_b64 v125, v[81:82], v[83:84] offset0:12 offset1:13
	;; [unrolled: 6-line block ×12, first 2 shown]
	ds_write2_b64 v125, v[117:118], v[119:120] offset0:34 offset1:35
	ds_write2_b64 v125, v[113:114], v[115:116] offset0:36 offset1:37
	buffer_load_dword v81, off, s[20:23], 0 offset:48 ; 4-byte Folded Reload
	buffer_load_dword v82, off, s[20:23], 0 offset:52 ; 4-byte Folded Reload
	;; [unrolled: 1-line block ×4, first 2 shown]
	s_waitcnt vmcnt(0)
	ds_write2_b64 v125, v[81:82], v[83:84] offset0:38 offset1:39
	ds_write2_b64 v125, v[77:78], v[79:80] offset0:40 offset1:41
	;; [unrolled: 1-line block ×3, first 2 shown]
	buffer_load_dword v85, off, s[20:23], 0 offset:32 ; 4-byte Folded Reload
	buffer_load_dword v86, off, s[20:23], 0 offset:36 ; 4-byte Folded Reload
	;; [unrolled: 1-line block ×4, first 2 shown]
	s_waitcnt vmcnt(0)
	ds_write2_b64 v125, v[85:86], v[87:88] offset0:44 offset1:45
	buffer_load_dword v73, off, s[20:23], 0 offset:16 ; 4-byte Folded Reload
	buffer_load_dword v74, off, s[20:23], 0 offset:20 ; 4-byte Folded Reload
	;; [unrolled: 1-line block ×4, first 2 shown]
	s_waitcnt vmcnt(0)
	ds_write2_b64 v125, v[73:74], v[75:76] offset0:46 offset1:47
	buffer_load_dword v69, off, s[20:23], 0 ; 4-byte Folded Reload
	buffer_load_dword v70, off, s[20:23], 0 offset:4 ; 4-byte Folded Reload
	buffer_load_dword v71, off, s[20:23], 0 offset:8 ; 4-byte Folded Reload
	;; [unrolled: 1-line block ×3, first 2 shown]
	s_waitcnt vmcnt(0)
	ds_write2_b64 v125, v[69:70], v[71:72] offset0:48 offset1:49
	ds_write2_b64 v125, v[65:66], v[67:68] offset0:50 offset1:51
	;; [unrolled: 1-line block ×19, first 2 shown]
	ds_read2_b64 v[97:100], v127 offset1:1
	s_waitcnt lgkmcnt(0)
	v_cmp_neq_f64_e32 vcc, 0, v[97:98]
	v_cmp_neq_f64_e64 s[2:3], 0, v[99:100]
	s_or_b64 s[2:3], vcc, s[2:3]
	s_and_b64 exec, exec, s[2:3]
	s_cbranch_execz .LBB85_44
; %bb.39:
	v_cmp_ngt_f64_e64 s[2:3], |v[97:98]|, |v[99:100]|
                                        ; implicit-def: $vgpr101_vgpr102
	s_and_saveexec_b64 s[6:7], s[2:3]
	s_xor_b64 s[2:3], exec, s[6:7]
                                        ; implicit-def: $vgpr103_vgpr104
	s_cbranch_execz .LBB85_41
; %bb.40:
	v_div_scale_f64 v[101:102], s[6:7], v[99:100], v[99:100], v[97:98]
	v_rcp_f64_e32 v[103:104], v[101:102]
	v_fma_f64 v[105:106], -v[101:102], v[103:104], 1.0
	v_fma_f64 v[103:104], v[103:104], v[105:106], v[103:104]
	v_div_scale_f64 v[105:106], vcc, v[97:98], v[99:100], v[97:98]
	v_fma_f64 v[107:108], -v[101:102], v[103:104], 1.0
	v_fma_f64 v[103:104], v[103:104], v[107:108], v[103:104]
	v_mul_f64 v[107:108], v[105:106], v[103:104]
	v_fma_f64 v[101:102], -v[101:102], v[107:108], v[105:106]
	v_div_fmas_f64 v[101:102], v[101:102], v[103:104], v[107:108]
	v_div_fixup_f64 v[101:102], v[101:102], v[99:100], v[97:98]
	v_fma_f64 v[97:98], v[97:98], v[101:102], v[99:100]
	v_div_scale_f64 v[99:100], s[6:7], v[97:98], v[97:98], 1.0
	v_div_scale_f64 v[107:108], vcc, 1.0, v[97:98], 1.0
	v_rcp_f64_e32 v[103:104], v[99:100]
	v_fma_f64 v[105:106], -v[99:100], v[103:104], 1.0
	v_fma_f64 v[103:104], v[103:104], v[105:106], v[103:104]
	v_fma_f64 v[105:106], -v[99:100], v[103:104], 1.0
	v_fma_f64 v[103:104], v[103:104], v[105:106], v[103:104]
	v_mul_f64 v[105:106], v[107:108], v[103:104]
	v_fma_f64 v[99:100], -v[99:100], v[105:106], v[107:108]
	v_div_fmas_f64 v[99:100], v[99:100], v[103:104], v[105:106]
	v_div_fixup_f64 v[103:104], v[99:100], v[97:98], 1.0
                                        ; implicit-def: $vgpr97_vgpr98
	v_mul_f64 v[101:102], v[101:102], v[103:104]
	v_xor_b32_e32 v104, 0x80000000, v104
.LBB85_41:
	s_andn2_saveexec_b64 s[2:3], s[2:3]
	s_cbranch_execz .LBB85_43
; %bb.42:
	v_div_scale_f64 v[101:102], s[6:7], v[97:98], v[97:98], v[99:100]
	v_rcp_f64_e32 v[103:104], v[101:102]
	v_fma_f64 v[105:106], -v[101:102], v[103:104], 1.0
	v_fma_f64 v[103:104], v[103:104], v[105:106], v[103:104]
	v_div_scale_f64 v[105:106], vcc, v[99:100], v[97:98], v[99:100]
	v_fma_f64 v[107:108], -v[101:102], v[103:104], 1.0
	v_fma_f64 v[103:104], v[103:104], v[107:108], v[103:104]
	v_mul_f64 v[107:108], v[105:106], v[103:104]
	v_fma_f64 v[101:102], -v[101:102], v[107:108], v[105:106]
	v_div_fmas_f64 v[101:102], v[101:102], v[103:104], v[107:108]
	v_div_fixup_f64 v[103:104], v[101:102], v[97:98], v[99:100]
	v_fma_f64 v[97:98], v[99:100], v[103:104], v[97:98]
	v_div_scale_f64 v[99:100], s[6:7], v[97:98], v[97:98], 1.0
	v_div_scale_f64 v[107:108], vcc, 1.0, v[97:98], 1.0
	v_rcp_f64_e32 v[101:102], v[99:100]
	v_fma_f64 v[105:106], -v[99:100], v[101:102], 1.0
	v_fma_f64 v[101:102], v[101:102], v[105:106], v[101:102]
	v_fma_f64 v[105:106], -v[99:100], v[101:102], 1.0
	v_fma_f64 v[101:102], v[101:102], v[105:106], v[101:102]
	v_mul_f64 v[105:106], v[107:108], v[101:102]
	v_fma_f64 v[99:100], -v[99:100], v[105:106], v[107:108]
	v_div_fmas_f64 v[99:100], v[99:100], v[101:102], v[105:106]
	v_div_fixup_f64 v[101:102], v[99:100], v[97:98], 1.0
	v_mul_f64 v[103:104], v[103:104], -v[101:102]
.LBB85_43:
	s_or_b64 exec, exec, s[2:3]
	ds_write2_b64 v127, v[101:102], v[103:104] offset1:1
.LBB85_44:
	s_or_b64 exec, exec, s[4:5]
	s_waitcnt lgkmcnt(0)
	s_barrier
	ds_read2_b64 v[81:84], v127 offset1:1
	v_cmp_lt_u32_e32 vcc, 4, v0
	s_waitcnt lgkmcnt(0)
	buffer_store_dword v81, off, s[20:23], 0 offset:768 ; 4-byte Folded Spill
	s_nop 0
	buffer_store_dword v82, off, s[20:23], 0 offset:772 ; 4-byte Folded Spill
	buffer_store_dword v83, off, s[20:23], 0 offset:776 ; 4-byte Folded Spill
	;; [unrolled: 1-line block ×3, first 2 shown]
	s_and_saveexec_b64 s[2:3], vcc
	s_cbranch_execz .LBB85_46
; %bb.45:
	buffer_load_dword v87, off, s[20:23], 0 offset:256 ; 4-byte Folded Reload
	buffer_load_dword v88, off, s[20:23], 0 offset:260 ; 4-byte Folded Reload
	;; [unrolled: 1-line block ×8, first 2 shown]
	s_waitcnt vmcnt(2)
	v_mul_f64 v[99:100], v[81:82], v[89:90]
	s_waitcnt vmcnt(0)
	v_mul_f64 v[97:98], v[83:84], v[89:90]
	v_fma_f64 v[89:90], v[83:84], v[87:88], v[99:100]
	ds_read2_b64 v[99:102], v125 offset0:10 offset1:11
	v_fma_f64 v[97:98], v[81:82], v[87:88], -v[97:98]
	buffer_load_dword v81, off, s[20:23], 0 offset:240 ; 4-byte Folded Reload
	buffer_load_dword v82, off, s[20:23], 0 offset:244 ; 4-byte Folded Reload
	buffer_load_dword v83, off, s[20:23], 0 offset:248 ; 4-byte Folded Reload
	buffer_load_dword v84, off, s[20:23], 0 offset:252 ; 4-byte Folded Reload
	s_waitcnt lgkmcnt(0)
	v_mul_f64 v[103:104], v[101:102], v[89:90]
	v_fma_f64 v[103:104], v[99:100], v[97:98], -v[103:104]
	v_mul_f64 v[99:100], v[99:100], v[89:90]
	v_fma_f64 v[99:100], v[101:102], v[97:98], v[99:100]
	s_waitcnt vmcnt(2)
	v_add_f64 v[81:82], v[81:82], -v[103:104]
	s_waitcnt vmcnt(0)
	v_add_f64 v[83:84], v[83:84], -v[99:100]
	buffer_store_dword v81, off, s[20:23], 0 offset:240 ; 4-byte Folded Spill
	s_nop 0
	buffer_store_dword v82, off, s[20:23], 0 offset:244 ; 4-byte Folded Spill
	buffer_store_dword v83, off, s[20:23], 0 offset:248 ; 4-byte Folded Spill
	buffer_store_dword v84, off, s[20:23], 0 offset:252 ; 4-byte Folded Spill
	ds_read2_b64 v[99:102], v125 offset0:12 offset1:13
	buffer_load_dword v81, off, s[20:23], 0 offset:224 ; 4-byte Folded Reload
	buffer_load_dword v82, off, s[20:23], 0 offset:228 ; 4-byte Folded Reload
	buffer_load_dword v83, off, s[20:23], 0 offset:232 ; 4-byte Folded Reload
	buffer_load_dword v84, off, s[20:23], 0 offset:236 ; 4-byte Folded Reload
	s_waitcnt lgkmcnt(0)
	v_mul_f64 v[103:104], v[101:102], v[89:90]
	v_fma_f64 v[103:104], v[99:100], v[97:98], -v[103:104]
	v_mul_f64 v[99:100], v[99:100], v[89:90]
	v_fma_f64 v[99:100], v[101:102], v[97:98], v[99:100]
	s_waitcnt vmcnt(2)
	v_add_f64 v[81:82], v[81:82], -v[103:104]
	s_waitcnt vmcnt(0)
	v_add_f64 v[83:84], v[83:84], -v[99:100]
	buffer_store_dword v81, off, s[20:23], 0 offset:224 ; 4-byte Folded Spill
	s_nop 0
	buffer_store_dword v82, off, s[20:23], 0 offset:228 ; 4-byte Folded Spill
	buffer_store_dword v83, off, s[20:23], 0 offset:232 ; 4-byte Folded Spill
	buffer_store_dword v84, off, s[20:23], 0 offset:236 ; 4-byte Folded Spill
	ds_read2_b64 v[99:102], v125 offset0:14 offset1:15
	;; [unrolled: 19-line block ×12, first 2 shown]
	s_waitcnt lgkmcnt(0)
	v_mul_f64 v[103:104], v[101:102], v[89:90]
	v_fma_f64 v[103:104], v[99:100], v[97:98], -v[103:104]
	v_mul_f64 v[99:100], v[99:100], v[89:90]
	v_add_f64 v[117:118], v[117:118], -v[103:104]
	v_fma_f64 v[99:100], v[101:102], v[97:98], v[99:100]
	v_add_f64 v[119:120], v[119:120], -v[99:100]
	ds_read2_b64 v[99:102], v125 offset0:36 offset1:37
	s_waitcnt lgkmcnt(0)
	v_mul_f64 v[103:104], v[101:102], v[89:90]
	v_fma_f64 v[103:104], v[99:100], v[97:98], -v[103:104]
	v_mul_f64 v[99:100], v[99:100], v[89:90]
	v_add_f64 v[113:114], v[113:114], -v[103:104]
	v_fma_f64 v[99:100], v[101:102], v[97:98], v[99:100]
	v_add_f64 v[115:116], v[115:116], -v[99:100]
	ds_read2_b64 v[99:102], v125 offset0:38 offset1:39
	buffer_load_dword v81, off, s[20:23], 0 offset:48 ; 4-byte Folded Reload
	buffer_load_dword v82, off, s[20:23], 0 offset:52 ; 4-byte Folded Reload
	;; [unrolled: 1-line block ×4, first 2 shown]
	s_waitcnt lgkmcnt(0)
	v_mul_f64 v[103:104], v[101:102], v[89:90]
	v_fma_f64 v[103:104], v[99:100], v[97:98], -v[103:104]
	v_mul_f64 v[99:100], v[99:100], v[89:90]
	v_fma_f64 v[99:100], v[101:102], v[97:98], v[99:100]
	s_waitcnt vmcnt(2)
	v_add_f64 v[81:82], v[81:82], -v[103:104]
	s_waitcnt vmcnt(0)
	v_add_f64 v[83:84], v[83:84], -v[99:100]
	buffer_store_dword v81, off, s[20:23], 0 offset:48 ; 4-byte Folded Spill
	s_nop 0
	buffer_store_dword v82, off, s[20:23], 0 offset:52 ; 4-byte Folded Spill
	buffer_store_dword v83, off, s[20:23], 0 offset:56 ; 4-byte Folded Spill
	;; [unrolled: 1-line block ×3, first 2 shown]
	ds_read2_b64 v[99:102], v125 offset0:40 offset1:41
	s_waitcnt lgkmcnt(0)
	v_mul_f64 v[103:104], v[101:102], v[89:90]
	v_fma_f64 v[103:104], v[99:100], v[97:98], -v[103:104]
	v_mul_f64 v[99:100], v[99:100], v[89:90]
	v_add_f64 v[77:78], v[77:78], -v[103:104]
	v_fma_f64 v[99:100], v[101:102], v[97:98], v[99:100]
	v_add_f64 v[79:80], v[79:80], -v[99:100]
	ds_read2_b64 v[99:102], v125 offset0:42 offset1:43
	s_waitcnt lgkmcnt(0)
	v_mul_f64 v[103:104], v[101:102], v[89:90]
	v_fma_f64 v[103:104], v[99:100], v[97:98], -v[103:104]
	v_mul_f64 v[99:100], v[99:100], v[89:90]
	v_add_f64 v[93:94], v[93:94], -v[103:104]
	v_fma_f64 v[99:100], v[101:102], v[97:98], v[99:100]
	v_add_f64 v[95:96], v[95:96], -v[99:100]
	ds_read2_b64 v[99:102], v125 offset0:44 offset1:45
	buffer_load_dword v85, off, s[20:23], 0 offset:32 ; 4-byte Folded Reload
	buffer_load_dword v86, off, s[20:23], 0 offset:36 ; 4-byte Folded Reload
	;; [unrolled: 1-line block ×4, first 2 shown]
	s_waitcnt lgkmcnt(0)
	v_mul_f64 v[103:104], v[101:102], v[89:90]
	v_fma_f64 v[103:104], v[99:100], v[97:98], -v[103:104]
	v_mul_f64 v[99:100], v[99:100], v[89:90]
	v_fma_f64 v[99:100], v[101:102], v[97:98], v[99:100]
	s_waitcnt vmcnt(2)
	v_add_f64 v[85:86], v[85:86], -v[103:104]
	s_waitcnt vmcnt(0)
	v_add_f64 v[87:88], v[87:88], -v[99:100]
	buffer_store_dword v85, off, s[20:23], 0 offset:32 ; 4-byte Folded Spill
	s_nop 0
	buffer_store_dword v86, off, s[20:23], 0 offset:36 ; 4-byte Folded Spill
	buffer_store_dword v87, off, s[20:23], 0 offset:40 ; 4-byte Folded Spill
	;; [unrolled: 1-line block ×3, first 2 shown]
	ds_read2_b64 v[99:102], v125 offset0:46 offset1:47
	buffer_load_dword v73, off, s[20:23], 0 offset:16 ; 4-byte Folded Reload
	buffer_load_dword v74, off, s[20:23], 0 offset:20 ; 4-byte Folded Reload
	;; [unrolled: 1-line block ×4, first 2 shown]
	v_mov_b32_e32 v87, v97
	v_mov_b32_e32 v88, v98
	s_waitcnt lgkmcnt(0)
	v_mul_f64 v[103:104], v[101:102], v[89:90]
	v_fma_f64 v[103:104], v[99:100], v[97:98], -v[103:104]
	v_mul_f64 v[99:100], v[99:100], v[89:90]
	v_fma_f64 v[99:100], v[101:102], v[97:98], v[99:100]
	s_waitcnt vmcnt(2)
	v_add_f64 v[73:74], v[73:74], -v[103:104]
	s_waitcnt vmcnt(0)
	v_add_f64 v[75:76], v[75:76], -v[99:100]
	buffer_store_dword v73, off, s[20:23], 0 offset:16 ; 4-byte Folded Spill
	s_nop 0
	buffer_store_dword v74, off, s[20:23], 0 offset:20 ; 4-byte Folded Spill
	buffer_store_dword v75, off, s[20:23], 0 offset:24 ; 4-byte Folded Spill
	;; [unrolled: 1-line block ×3, first 2 shown]
	ds_read2_b64 v[99:102], v125 offset0:48 offset1:49
	buffer_load_dword v69, off, s[20:23], 0 ; 4-byte Folded Reload
	buffer_load_dword v70, off, s[20:23], 0 offset:4 ; 4-byte Folded Reload
	buffer_load_dword v71, off, s[20:23], 0 offset:8 ; 4-byte Folded Reload
	;; [unrolled: 1-line block ×3, first 2 shown]
	s_waitcnt lgkmcnt(0)
	v_mul_f64 v[103:104], v[101:102], v[89:90]
	v_fma_f64 v[103:104], v[99:100], v[97:98], -v[103:104]
	v_mul_f64 v[99:100], v[99:100], v[89:90]
	v_fma_f64 v[99:100], v[101:102], v[97:98], v[99:100]
	s_waitcnt vmcnt(2)
	v_add_f64 v[69:70], v[69:70], -v[103:104]
	s_waitcnt vmcnt(0)
	v_add_f64 v[71:72], v[71:72], -v[99:100]
	buffer_store_dword v69, off, s[20:23], 0 ; 4-byte Folded Spill
	s_nop 0
	buffer_store_dword v70, off, s[20:23], 0 offset:4 ; 4-byte Folded Spill
	buffer_store_dword v71, off, s[20:23], 0 offset:8 ; 4-byte Folded Spill
	;; [unrolled: 1-line block ×3, first 2 shown]
	ds_read2_b64 v[99:102], v125 offset0:50 offset1:51
	s_waitcnt lgkmcnt(0)
	v_mul_f64 v[103:104], v[101:102], v[89:90]
	v_fma_f64 v[103:104], v[99:100], v[97:98], -v[103:104]
	v_mul_f64 v[99:100], v[99:100], v[89:90]
	v_add_f64 v[65:66], v[65:66], -v[103:104]
	v_fma_f64 v[99:100], v[101:102], v[97:98], v[99:100]
	v_add_f64 v[67:68], v[67:68], -v[99:100]
	ds_read2_b64 v[99:102], v125 offset0:52 offset1:53
	s_waitcnt lgkmcnt(0)
	v_mul_f64 v[103:104], v[101:102], v[89:90]
	v_fma_f64 v[103:104], v[99:100], v[97:98], -v[103:104]
	v_mul_f64 v[99:100], v[99:100], v[89:90]
	v_add_f64 v[61:62], v[61:62], -v[103:104]
	v_fma_f64 v[99:100], v[101:102], v[97:98], v[99:100]
	v_add_f64 v[63:64], v[63:64], -v[99:100]
	;; [unrolled: 8-line block ×17, first 2 shown]
	ds_read2_b64 v[99:102], v125 offset0:84 offset1:85
	s_waitcnt lgkmcnt(0)
	v_mul_f64 v[103:104], v[101:102], v[89:90]
	v_fma_f64 v[103:104], v[99:100], v[97:98], -v[103:104]
	v_mul_f64 v[99:100], v[99:100], v[89:90]
	buffer_store_dword v87, off, s[20:23], 0 offset:256 ; 4-byte Folded Spill
	s_nop 0
	buffer_store_dword v88, off, s[20:23], 0 offset:260 ; 4-byte Folded Spill
	buffer_store_dword v89, off, s[20:23], 0 offset:264 ; 4-byte Folded Spill
	;; [unrolled: 1-line block ×3, first 2 shown]
	v_add_f64 v[121:122], v[121:122], -v[103:104]
	v_fma_f64 v[99:100], v[101:102], v[97:98], v[99:100]
	v_add_f64 v[123:124], v[123:124], -v[99:100]
.LBB85_46:
	s_or_b64 exec, exec, s[2:3]
	v_cmp_eq_u32_e32 vcc, 5, v0
	s_waitcnt vmcnt(0)
	s_barrier
	s_and_saveexec_b64 s[4:5], vcc
	s_cbranch_execz .LBB85_53
; %bb.47:
	buffer_load_dword v81, off, s[20:23], 0 offset:240 ; 4-byte Folded Reload
	buffer_load_dword v82, off, s[20:23], 0 offset:244 ; 4-byte Folded Reload
	;; [unrolled: 1-line block ×4, first 2 shown]
	s_waitcnt vmcnt(0)
	ds_write2_b64 v127, v[81:82], v[83:84] offset1:1
	buffer_load_dword v81, off, s[20:23], 0 offset:224 ; 4-byte Folded Reload
	buffer_load_dword v82, off, s[20:23], 0 offset:228 ; 4-byte Folded Reload
	buffer_load_dword v83, off, s[20:23], 0 offset:232 ; 4-byte Folded Reload
	buffer_load_dword v84, off, s[20:23], 0 offset:236 ; 4-byte Folded Reload
	s_waitcnt vmcnt(0)
	ds_write2_b64 v125, v[81:82], v[83:84] offset0:12 offset1:13
	buffer_load_dword v81, off, s[20:23], 0 offset:208 ; 4-byte Folded Reload
	buffer_load_dword v82, off, s[20:23], 0 offset:212 ; 4-byte Folded Reload
	buffer_load_dword v83, off, s[20:23], 0 offset:216 ; 4-byte Folded Reload
	buffer_load_dword v84, off, s[20:23], 0 offset:220 ; 4-byte Folded Reload
	s_waitcnt vmcnt(0)
	ds_write2_b64 v125, v[81:82], v[83:84] offset0:14 offset1:15
	;; [unrolled: 6-line block ×11, first 2 shown]
	ds_write2_b64 v125, v[117:118], v[119:120] offset0:34 offset1:35
	ds_write2_b64 v125, v[113:114], v[115:116] offset0:36 offset1:37
	buffer_load_dword v81, off, s[20:23], 0 offset:48 ; 4-byte Folded Reload
	buffer_load_dword v82, off, s[20:23], 0 offset:52 ; 4-byte Folded Reload
	;; [unrolled: 1-line block ×4, first 2 shown]
	s_waitcnt vmcnt(0)
	ds_write2_b64 v125, v[81:82], v[83:84] offset0:38 offset1:39
	ds_write2_b64 v125, v[77:78], v[79:80] offset0:40 offset1:41
	;; [unrolled: 1-line block ×3, first 2 shown]
	buffer_load_dword v85, off, s[20:23], 0 offset:32 ; 4-byte Folded Reload
	buffer_load_dword v86, off, s[20:23], 0 offset:36 ; 4-byte Folded Reload
	;; [unrolled: 1-line block ×4, first 2 shown]
	s_waitcnt vmcnt(0)
	ds_write2_b64 v125, v[85:86], v[87:88] offset0:44 offset1:45
	buffer_load_dword v73, off, s[20:23], 0 offset:16 ; 4-byte Folded Reload
	buffer_load_dword v74, off, s[20:23], 0 offset:20 ; 4-byte Folded Reload
	;; [unrolled: 1-line block ×4, first 2 shown]
	s_waitcnt vmcnt(0)
	ds_write2_b64 v125, v[73:74], v[75:76] offset0:46 offset1:47
	buffer_load_dword v69, off, s[20:23], 0 ; 4-byte Folded Reload
	buffer_load_dword v70, off, s[20:23], 0 offset:4 ; 4-byte Folded Reload
	buffer_load_dword v71, off, s[20:23], 0 offset:8 ; 4-byte Folded Reload
	;; [unrolled: 1-line block ×3, first 2 shown]
	s_waitcnt vmcnt(0)
	ds_write2_b64 v125, v[69:70], v[71:72] offset0:48 offset1:49
	ds_write2_b64 v125, v[65:66], v[67:68] offset0:50 offset1:51
	;; [unrolled: 1-line block ×19, first 2 shown]
	ds_read2_b64 v[97:100], v127 offset1:1
	s_waitcnt lgkmcnt(0)
	v_cmp_neq_f64_e32 vcc, 0, v[97:98]
	v_cmp_neq_f64_e64 s[2:3], 0, v[99:100]
	s_or_b64 s[2:3], vcc, s[2:3]
	s_and_b64 exec, exec, s[2:3]
	s_cbranch_execz .LBB85_53
; %bb.48:
	v_cmp_ngt_f64_e64 s[2:3], |v[97:98]|, |v[99:100]|
                                        ; implicit-def: $vgpr101_vgpr102
	s_and_saveexec_b64 s[6:7], s[2:3]
	s_xor_b64 s[2:3], exec, s[6:7]
                                        ; implicit-def: $vgpr103_vgpr104
	s_cbranch_execz .LBB85_50
; %bb.49:
	v_div_scale_f64 v[101:102], s[6:7], v[99:100], v[99:100], v[97:98]
	v_rcp_f64_e32 v[103:104], v[101:102]
	v_fma_f64 v[105:106], -v[101:102], v[103:104], 1.0
	v_fma_f64 v[103:104], v[103:104], v[105:106], v[103:104]
	v_div_scale_f64 v[105:106], vcc, v[97:98], v[99:100], v[97:98]
	v_fma_f64 v[107:108], -v[101:102], v[103:104], 1.0
	v_fma_f64 v[103:104], v[103:104], v[107:108], v[103:104]
	v_mul_f64 v[107:108], v[105:106], v[103:104]
	v_fma_f64 v[101:102], -v[101:102], v[107:108], v[105:106]
	v_div_fmas_f64 v[101:102], v[101:102], v[103:104], v[107:108]
	v_div_fixup_f64 v[101:102], v[101:102], v[99:100], v[97:98]
	v_fma_f64 v[97:98], v[97:98], v[101:102], v[99:100]
	v_div_scale_f64 v[99:100], s[6:7], v[97:98], v[97:98], 1.0
	v_div_scale_f64 v[107:108], vcc, 1.0, v[97:98], 1.0
	v_rcp_f64_e32 v[103:104], v[99:100]
	v_fma_f64 v[105:106], -v[99:100], v[103:104], 1.0
	v_fma_f64 v[103:104], v[103:104], v[105:106], v[103:104]
	v_fma_f64 v[105:106], -v[99:100], v[103:104], 1.0
	v_fma_f64 v[103:104], v[103:104], v[105:106], v[103:104]
	v_mul_f64 v[105:106], v[107:108], v[103:104]
	v_fma_f64 v[99:100], -v[99:100], v[105:106], v[107:108]
	v_div_fmas_f64 v[99:100], v[99:100], v[103:104], v[105:106]
	v_div_fixup_f64 v[103:104], v[99:100], v[97:98], 1.0
                                        ; implicit-def: $vgpr97_vgpr98
	v_mul_f64 v[101:102], v[101:102], v[103:104]
	v_xor_b32_e32 v104, 0x80000000, v104
.LBB85_50:
	s_andn2_saveexec_b64 s[2:3], s[2:3]
	s_cbranch_execz .LBB85_52
; %bb.51:
	v_div_scale_f64 v[101:102], s[6:7], v[97:98], v[97:98], v[99:100]
	v_rcp_f64_e32 v[103:104], v[101:102]
	v_fma_f64 v[105:106], -v[101:102], v[103:104], 1.0
	v_fma_f64 v[103:104], v[103:104], v[105:106], v[103:104]
	v_div_scale_f64 v[105:106], vcc, v[99:100], v[97:98], v[99:100]
	v_fma_f64 v[107:108], -v[101:102], v[103:104], 1.0
	v_fma_f64 v[103:104], v[103:104], v[107:108], v[103:104]
	v_mul_f64 v[107:108], v[105:106], v[103:104]
	v_fma_f64 v[101:102], -v[101:102], v[107:108], v[105:106]
	v_div_fmas_f64 v[101:102], v[101:102], v[103:104], v[107:108]
	v_div_fixup_f64 v[103:104], v[101:102], v[97:98], v[99:100]
	v_fma_f64 v[97:98], v[99:100], v[103:104], v[97:98]
	v_div_scale_f64 v[99:100], s[6:7], v[97:98], v[97:98], 1.0
	v_div_scale_f64 v[107:108], vcc, 1.0, v[97:98], 1.0
	v_rcp_f64_e32 v[101:102], v[99:100]
	v_fma_f64 v[105:106], -v[99:100], v[101:102], 1.0
	v_fma_f64 v[101:102], v[101:102], v[105:106], v[101:102]
	v_fma_f64 v[105:106], -v[99:100], v[101:102], 1.0
	v_fma_f64 v[101:102], v[101:102], v[105:106], v[101:102]
	v_mul_f64 v[105:106], v[107:108], v[101:102]
	v_fma_f64 v[99:100], -v[99:100], v[105:106], v[107:108]
	v_div_fmas_f64 v[99:100], v[99:100], v[101:102], v[105:106]
	v_div_fixup_f64 v[101:102], v[99:100], v[97:98], 1.0
	v_mul_f64 v[103:104], v[103:104], -v[101:102]
.LBB85_52:
	s_or_b64 exec, exec, s[2:3]
	ds_write2_b64 v127, v[101:102], v[103:104] offset1:1
.LBB85_53:
	s_or_b64 exec, exec, s[4:5]
	s_waitcnt lgkmcnt(0)
	s_barrier
	ds_read2_b64 v[81:84], v127 offset1:1
	v_cmp_lt_u32_e32 vcc, 5, v0
	s_waitcnt lgkmcnt(0)
	buffer_store_dword v81, off, s[20:23], 0 offset:784 ; 4-byte Folded Spill
	s_nop 0
	buffer_store_dword v82, off, s[20:23], 0 offset:788 ; 4-byte Folded Spill
	buffer_store_dword v83, off, s[20:23], 0 offset:792 ; 4-byte Folded Spill
	;; [unrolled: 1-line block ×3, first 2 shown]
	s_and_saveexec_b64 s[2:3], vcc
	s_cbranch_execz .LBB85_55
; %bb.54:
	buffer_load_dword v87, off, s[20:23], 0 offset:240 ; 4-byte Folded Reload
	buffer_load_dword v88, off, s[20:23], 0 offset:244 ; 4-byte Folded Reload
	;; [unrolled: 1-line block ×8, first 2 shown]
	s_waitcnt vmcnt(2)
	v_mul_f64 v[99:100], v[81:82], v[89:90]
	s_waitcnt vmcnt(0)
	v_mul_f64 v[97:98], v[83:84], v[89:90]
	v_fma_f64 v[89:90], v[83:84], v[87:88], v[99:100]
	ds_read2_b64 v[99:102], v125 offset0:12 offset1:13
	v_fma_f64 v[97:98], v[81:82], v[87:88], -v[97:98]
	buffer_load_dword v81, off, s[20:23], 0 offset:224 ; 4-byte Folded Reload
	buffer_load_dword v82, off, s[20:23], 0 offset:228 ; 4-byte Folded Reload
	buffer_load_dword v83, off, s[20:23], 0 offset:232 ; 4-byte Folded Reload
	buffer_load_dword v84, off, s[20:23], 0 offset:236 ; 4-byte Folded Reload
	s_waitcnt lgkmcnt(0)
	v_mul_f64 v[103:104], v[101:102], v[89:90]
	v_fma_f64 v[103:104], v[99:100], v[97:98], -v[103:104]
	v_mul_f64 v[99:100], v[99:100], v[89:90]
	v_fma_f64 v[99:100], v[101:102], v[97:98], v[99:100]
	s_waitcnt vmcnt(2)
	v_add_f64 v[81:82], v[81:82], -v[103:104]
	s_waitcnt vmcnt(0)
	v_add_f64 v[83:84], v[83:84], -v[99:100]
	buffer_store_dword v81, off, s[20:23], 0 offset:224 ; 4-byte Folded Spill
	s_nop 0
	buffer_store_dword v82, off, s[20:23], 0 offset:228 ; 4-byte Folded Spill
	buffer_store_dword v83, off, s[20:23], 0 offset:232 ; 4-byte Folded Spill
	buffer_store_dword v84, off, s[20:23], 0 offset:236 ; 4-byte Folded Spill
	ds_read2_b64 v[99:102], v125 offset0:14 offset1:15
	buffer_load_dword v81, off, s[20:23], 0 offset:208 ; 4-byte Folded Reload
	buffer_load_dword v82, off, s[20:23], 0 offset:212 ; 4-byte Folded Reload
	buffer_load_dword v83, off, s[20:23], 0 offset:216 ; 4-byte Folded Reload
	buffer_load_dword v84, off, s[20:23], 0 offset:220 ; 4-byte Folded Reload
	s_waitcnt lgkmcnt(0)
	v_mul_f64 v[103:104], v[101:102], v[89:90]
	v_fma_f64 v[103:104], v[99:100], v[97:98], -v[103:104]
	v_mul_f64 v[99:100], v[99:100], v[89:90]
	v_fma_f64 v[99:100], v[101:102], v[97:98], v[99:100]
	s_waitcnt vmcnt(2)
	v_add_f64 v[81:82], v[81:82], -v[103:104]
	s_waitcnt vmcnt(0)
	v_add_f64 v[83:84], v[83:84], -v[99:100]
	buffer_store_dword v81, off, s[20:23], 0 offset:208 ; 4-byte Folded Spill
	s_nop 0
	buffer_store_dword v82, off, s[20:23], 0 offset:212 ; 4-byte Folded Spill
	buffer_store_dword v83, off, s[20:23], 0 offset:216 ; 4-byte Folded Spill
	buffer_store_dword v84, off, s[20:23], 0 offset:220 ; 4-byte Folded Spill
	ds_read2_b64 v[99:102], v125 offset0:16 offset1:17
	;; [unrolled: 19-line block ×11, first 2 shown]
	s_waitcnt lgkmcnt(0)
	v_mul_f64 v[103:104], v[101:102], v[89:90]
	v_fma_f64 v[103:104], v[99:100], v[97:98], -v[103:104]
	v_mul_f64 v[99:100], v[99:100], v[89:90]
	v_add_f64 v[117:118], v[117:118], -v[103:104]
	v_fma_f64 v[99:100], v[101:102], v[97:98], v[99:100]
	v_add_f64 v[119:120], v[119:120], -v[99:100]
	ds_read2_b64 v[99:102], v125 offset0:36 offset1:37
	s_waitcnt lgkmcnt(0)
	v_mul_f64 v[103:104], v[101:102], v[89:90]
	v_fma_f64 v[103:104], v[99:100], v[97:98], -v[103:104]
	v_mul_f64 v[99:100], v[99:100], v[89:90]
	v_add_f64 v[113:114], v[113:114], -v[103:104]
	v_fma_f64 v[99:100], v[101:102], v[97:98], v[99:100]
	v_add_f64 v[115:116], v[115:116], -v[99:100]
	ds_read2_b64 v[99:102], v125 offset0:38 offset1:39
	buffer_load_dword v81, off, s[20:23], 0 offset:48 ; 4-byte Folded Reload
	buffer_load_dword v82, off, s[20:23], 0 offset:52 ; 4-byte Folded Reload
	;; [unrolled: 1-line block ×4, first 2 shown]
	s_waitcnt lgkmcnt(0)
	v_mul_f64 v[103:104], v[101:102], v[89:90]
	v_fma_f64 v[103:104], v[99:100], v[97:98], -v[103:104]
	v_mul_f64 v[99:100], v[99:100], v[89:90]
	v_fma_f64 v[99:100], v[101:102], v[97:98], v[99:100]
	s_waitcnt vmcnt(2)
	v_add_f64 v[81:82], v[81:82], -v[103:104]
	s_waitcnt vmcnt(0)
	v_add_f64 v[83:84], v[83:84], -v[99:100]
	buffer_store_dword v81, off, s[20:23], 0 offset:48 ; 4-byte Folded Spill
	s_nop 0
	buffer_store_dword v82, off, s[20:23], 0 offset:52 ; 4-byte Folded Spill
	buffer_store_dword v83, off, s[20:23], 0 offset:56 ; 4-byte Folded Spill
	;; [unrolled: 1-line block ×3, first 2 shown]
	ds_read2_b64 v[99:102], v125 offset0:40 offset1:41
	s_waitcnt lgkmcnt(0)
	v_mul_f64 v[103:104], v[101:102], v[89:90]
	v_fma_f64 v[103:104], v[99:100], v[97:98], -v[103:104]
	v_mul_f64 v[99:100], v[99:100], v[89:90]
	v_add_f64 v[77:78], v[77:78], -v[103:104]
	v_fma_f64 v[99:100], v[101:102], v[97:98], v[99:100]
	v_add_f64 v[79:80], v[79:80], -v[99:100]
	ds_read2_b64 v[99:102], v125 offset0:42 offset1:43
	s_waitcnt lgkmcnt(0)
	v_mul_f64 v[103:104], v[101:102], v[89:90]
	v_fma_f64 v[103:104], v[99:100], v[97:98], -v[103:104]
	v_mul_f64 v[99:100], v[99:100], v[89:90]
	v_add_f64 v[93:94], v[93:94], -v[103:104]
	v_fma_f64 v[99:100], v[101:102], v[97:98], v[99:100]
	v_add_f64 v[95:96], v[95:96], -v[99:100]
	ds_read2_b64 v[99:102], v125 offset0:44 offset1:45
	buffer_load_dword v85, off, s[20:23], 0 offset:32 ; 4-byte Folded Reload
	buffer_load_dword v86, off, s[20:23], 0 offset:36 ; 4-byte Folded Reload
	;; [unrolled: 1-line block ×4, first 2 shown]
	s_waitcnt lgkmcnt(0)
	v_mul_f64 v[103:104], v[101:102], v[89:90]
	v_fma_f64 v[103:104], v[99:100], v[97:98], -v[103:104]
	v_mul_f64 v[99:100], v[99:100], v[89:90]
	v_fma_f64 v[99:100], v[101:102], v[97:98], v[99:100]
	s_waitcnt vmcnt(2)
	v_add_f64 v[85:86], v[85:86], -v[103:104]
	s_waitcnt vmcnt(0)
	v_add_f64 v[87:88], v[87:88], -v[99:100]
	buffer_store_dword v85, off, s[20:23], 0 offset:32 ; 4-byte Folded Spill
	s_nop 0
	buffer_store_dword v86, off, s[20:23], 0 offset:36 ; 4-byte Folded Spill
	buffer_store_dword v87, off, s[20:23], 0 offset:40 ; 4-byte Folded Spill
	buffer_store_dword v88, off, s[20:23], 0 offset:44 ; 4-byte Folded Spill
	ds_read2_b64 v[99:102], v125 offset0:46 offset1:47
	buffer_load_dword v73, off, s[20:23], 0 offset:16 ; 4-byte Folded Reload
	buffer_load_dword v74, off, s[20:23], 0 offset:20 ; 4-byte Folded Reload
	;; [unrolled: 1-line block ×4, first 2 shown]
	v_mov_b32_e32 v87, v97
	v_mov_b32_e32 v88, v98
	s_waitcnt lgkmcnt(0)
	v_mul_f64 v[103:104], v[101:102], v[89:90]
	v_fma_f64 v[103:104], v[99:100], v[97:98], -v[103:104]
	v_mul_f64 v[99:100], v[99:100], v[89:90]
	v_fma_f64 v[99:100], v[101:102], v[97:98], v[99:100]
	s_waitcnt vmcnt(2)
	v_add_f64 v[73:74], v[73:74], -v[103:104]
	s_waitcnt vmcnt(0)
	v_add_f64 v[75:76], v[75:76], -v[99:100]
	buffer_store_dword v73, off, s[20:23], 0 offset:16 ; 4-byte Folded Spill
	s_nop 0
	buffer_store_dword v74, off, s[20:23], 0 offset:20 ; 4-byte Folded Spill
	buffer_store_dword v75, off, s[20:23], 0 offset:24 ; 4-byte Folded Spill
	;; [unrolled: 1-line block ×3, first 2 shown]
	ds_read2_b64 v[99:102], v125 offset0:48 offset1:49
	buffer_load_dword v69, off, s[20:23], 0 ; 4-byte Folded Reload
	buffer_load_dword v70, off, s[20:23], 0 offset:4 ; 4-byte Folded Reload
	buffer_load_dword v71, off, s[20:23], 0 offset:8 ; 4-byte Folded Reload
	;; [unrolled: 1-line block ×3, first 2 shown]
	s_waitcnt lgkmcnt(0)
	v_mul_f64 v[103:104], v[101:102], v[89:90]
	v_fma_f64 v[103:104], v[99:100], v[97:98], -v[103:104]
	v_mul_f64 v[99:100], v[99:100], v[89:90]
	v_fma_f64 v[99:100], v[101:102], v[97:98], v[99:100]
	s_waitcnt vmcnt(2)
	v_add_f64 v[69:70], v[69:70], -v[103:104]
	s_waitcnt vmcnt(0)
	v_add_f64 v[71:72], v[71:72], -v[99:100]
	buffer_store_dword v69, off, s[20:23], 0 ; 4-byte Folded Spill
	s_nop 0
	buffer_store_dword v70, off, s[20:23], 0 offset:4 ; 4-byte Folded Spill
	buffer_store_dword v71, off, s[20:23], 0 offset:8 ; 4-byte Folded Spill
	buffer_store_dword v72, off, s[20:23], 0 offset:12 ; 4-byte Folded Spill
	ds_read2_b64 v[99:102], v125 offset0:50 offset1:51
	s_waitcnt lgkmcnt(0)
	v_mul_f64 v[103:104], v[101:102], v[89:90]
	v_fma_f64 v[103:104], v[99:100], v[97:98], -v[103:104]
	v_mul_f64 v[99:100], v[99:100], v[89:90]
	v_add_f64 v[65:66], v[65:66], -v[103:104]
	v_fma_f64 v[99:100], v[101:102], v[97:98], v[99:100]
	v_add_f64 v[67:68], v[67:68], -v[99:100]
	ds_read2_b64 v[99:102], v125 offset0:52 offset1:53
	s_waitcnt lgkmcnt(0)
	v_mul_f64 v[103:104], v[101:102], v[89:90]
	v_fma_f64 v[103:104], v[99:100], v[97:98], -v[103:104]
	v_mul_f64 v[99:100], v[99:100], v[89:90]
	v_add_f64 v[61:62], v[61:62], -v[103:104]
	v_fma_f64 v[99:100], v[101:102], v[97:98], v[99:100]
	v_add_f64 v[63:64], v[63:64], -v[99:100]
	;; [unrolled: 8-line block ×17, first 2 shown]
	ds_read2_b64 v[99:102], v125 offset0:84 offset1:85
	s_waitcnt lgkmcnt(0)
	v_mul_f64 v[103:104], v[101:102], v[89:90]
	v_fma_f64 v[103:104], v[99:100], v[97:98], -v[103:104]
	v_mul_f64 v[99:100], v[99:100], v[89:90]
	buffer_store_dword v87, off, s[20:23], 0 offset:240 ; 4-byte Folded Spill
	s_nop 0
	buffer_store_dword v88, off, s[20:23], 0 offset:244 ; 4-byte Folded Spill
	buffer_store_dword v89, off, s[20:23], 0 offset:248 ; 4-byte Folded Spill
	;; [unrolled: 1-line block ×3, first 2 shown]
	v_add_f64 v[121:122], v[121:122], -v[103:104]
	v_fma_f64 v[99:100], v[101:102], v[97:98], v[99:100]
	v_add_f64 v[123:124], v[123:124], -v[99:100]
.LBB85_55:
	s_or_b64 exec, exec, s[2:3]
	v_cmp_eq_u32_e32 vcc, 6, v0
	s_waitcnt vmcnt(0)
	s_barrier
	s_and_saveexec_b64 s[4:5], vcc
	s_cbranch_execz .LBB85_62
; %bb.56:
	buffer_load_dword v81, off, s[20:23], 0 offset:224 ; 4-byte Folded Reload
	buffer_load_dword v82, off, s[20:23], 0 offset:228 ; 4-byte Folded Reload
	buffer_load_dword v83, off, s[20:23], 0 offset:232 ; 4-byte Folded Reload
	buffer_load_dword v84, off, s[20:23], 0 offset:236 ; 4-byte Folded Reload
	s_waitcnt vmcnt(0)
	ds_write2_b64 v127, v[81:82], v[83:84] offset1:1
	buffer_load_dword v81, off, s[20:23], 0 offset:208 ; 4-byte Folded Reload
	buffer_load_dword v82, off, s[20:23], 0 offset:212 ; 4-byte Folded Reload
	buffer_load_dword v83, off, s[20:23], 0 offset:216 ; 4-byte Folded Reload
	buffer_load_dword v84, off, s[20:23], 0 offset:220 ; 4-byte Folded Reload
	s_waitcnt vmcnt(0)
	ds_write2_b64 v125, v[81:82], v[83:84] offset0:14 offset1:15
	buffer_load_dword v81, off, s[20:23], 0 offset:192 ; 4-byte Folded Reload
	buffer_load_dword v82, off, s[20:23], 0 offset:196 ; 4-byte Folded Reload
	buffer_load_dword v83, off, s[20:23], 0 offset:200 ; 4-byte Folded Reload
	buffer_load_dword v84, off, s[20:23], 0 offset:204 ; 4-byte Folded Reload
	s_waitcnt vmcnt(0)
	ds_write2_b64 v125, v[81:82], v[83:84] offset0:16 offset1:17
	;; [unrolled: 6-line block ×10, first 2 shown]
	ds_write2_b64 v125, v[117:118], v[119:120] offset0:34 offset1:35
	ds_write2_b64 v125, v[113:114], v[115:116] offset0:36 offset1:37
	buffer_load_dword v81, off, s[20:23], 0 offset:48 ; 4-byte Folded Reload
	buffer_load_dword v82, off, s[20:23], 0 offset:52 ; 4-byte Folded Reload
	;; [unrolled: 1-line block ×4, first 2 shown]
	s_waitcnt vmcnt(0)
	ds_write2_b64 v125, v[81:82], v[83:84] offset0:38 offset1:39
	ds_write2_b64 v125, v[77:78], v[79:80] offset0:40 offset1:41
	;; [unrolled: 1-line block ×3, first 2 shown]
	buffer_load_dword v85, off, s[20:23], 0 offset:32 ; 4-byte Folded Reload
	buffer_load_dword v86, off, s[20:23], 0 offset:36 ; 4-byte Folded Reload
	;; [unrolled: 1-line block ×4, first 2 shown]
	s_waitcnt vmcnt(0)
	ds_write2_b64 v125, v[85:86], v[87:88] offset0:44 offset1:45
	buffer_load_dword v73, off, s[20:23], 0 offset:16 ; 4-byte Folded Reload
	buffer_load_dword v74, off, s[20:23], 0 offset:20 ; 4-byte Folded Reload
	buffer_load_dword v75, off, s[20:23], 0 offset:24 ; 4-byte Folded Reload
	buffer_load_dword v76, off, s[20:23], 0 offset:28 ; 4-byte Folded Reload
	s_waitcnt vmcnt(0)
	ds_write2_b64 v125, v[73:74], v[75:76] offset0:46 offset1:47
	buffer_load_dword v69, off, s[20:23], 0 ; 4-byte Folded Reload
	buffer_load_dword v70, off, s[20:23], 0 offset:4 ; 4-byte Folded Reload
	buffer_load_dword v71, off, s[20:23], 0 offset:8 ; 4-byte Folded Reload
	;; [unrolled: 1-line block ×3, first 2 shown]
	s_waitcnt vmcnt(0)
	ds_write2_b64 v125, v[69:70], v[71:72] offset0:48 offset1:49
	ds_write2_b64 v125, v[65:66], v[67:68] offset0:50 offset1:51
	;; [unrolled: 1-line block ×19, first 2 shown]
	ds_read2_b64 v[97:100], v127 offset1:1
	s_waitcnt lgkmcnt(0)
	v_cmp_neq_f64_e32 vcc, 0, v[97:98]
	v_cmp_neq_f64_e64 s[2:3], 0, v[99:100]
	s_or_b64 s[2:3], vcc, s[2:3]
	s_and_b64 exec, exec, s[2:3]
	s_cbranch_execz .LBB85_62
; %bb.57:
	v_cmp_ngt_f64_e64 s[2:3], |v[97:98]|, |v[99:100]|
                                        ; implicit-def: $vgpr101_vgpr102
	s_and_saveexec_b64 s[6:7], s[2:3]
	s_xor_b64 s[2:3], exec, s[6:7]
                                        ; implicit-def: $vgpr103_vgpr104
	s_cbranch_execz .LBB85_59
; %bb.58:
	v_div_scale_f64 v[101:102], s[6:7], v[99:100], v[99:100], v[97:98]
	v_rcp_f64_e32 v[103:104], v[101:102]
	v_fma_f64 v[105:106], -v[101:102], v[103:104], 1.0
	v_fma_f64 v[103:104], v[103:104], v[105:106], v[103:104]
	v_div_scale_f64 v[105:106], vcc, v[97:98], v[99:100], v[97:98]
	v_fma_f64 v[107:108], -v[101:102], v[103:104], 1.0
	v_fma_f64 v[103:104], v[103:104], v[107:108], v[103:104]
	v_mul_f64 v[107:108], v[105:106], v[103:104]
	v_fma_f64 v[101:102], -v[101:102], v[107:108], v[105:106]
	v_div_fmas_f64 v[101:102], v[101:102], v[103:104], v[107:108]
	v_div_fixup_f64 v[101:102], v[101:102], v[99:100], v[97:98]
	v_fma_f64 v[97:98], v[97:98], v[101:102], v[99:100]
	v_div_scale_f64 v[99:100], s[6:7], v[97:98], v[97:98], 1.0
	v_div_scale_f64 v[107:108], vcc, 1.0, v[97:98], 1.0
	v_rcp_f64_e32 v[103:104], v[99:100]
	v_fma_f64 v[105:106], -v[99:100], v[103:104], 1.0
	v_fma_f64 v[103:104], v[103:104], v[105:106], v[103:104]
	v_fma_f64 v[105:106], -v[99:100], v[103:104], 1.0
	v_fma_f64 v[103:104], v[103:104], v[105:106], v[103:104]
	v_mul_f64 v[105:106], v[107:108], v[103:104]
	v_fma_f64 v[99:100], -v[99:100], v[105:106], v[107:108]
	v_div_fmas_f64 v[99:100], v[99:100], v[103:104], v[105:106]
	v_div_fixup_f64 v[103:104], v[99:100], v[97:98], 1.0
                                        ; implicit-def: $vgpr97_vgpr98
	v_mul_f64 v[101:102], v[101:102], v[103:104]
	v_xor_b32_e32 v104, 0x80000000, v104
.LBB85_59:
	s_andn2_saveexec_b64 s[2:3], s[2:3]
	s_cbranch_execz .LBB85_61
; %bb.60:
	v_div_scale_f64 v[101:102], s[6:7], v[97:98], v[97:98], v[99:100]
	v_rcp_f64_e32 v[103:104], v[101:102]
	v_fma_f64 v[105:106], -v[101:102], v[103:104], 1.0
	v_fma_f64 v[103:104], v[103:104], v[105:106], v[103:104]
	v_div_scale_f64 v[105:106], vcc, v[99:100], v[97:98], v[99:100]
	v_fma_f64 v[107:108], -v[101:102], v[103:104], 1.0
	v_fma_f64 v[103:104], v[103:104], v[107:108], v[103:104]
	v_mul_f64 v[107:108], v[105:106], v[103:104]
	v_fma_f64 v[101:102], -v[101:102], v[107:108], v[105:106]
	v_div_fmas_f64 v[101:102], v[101:102], v[103:104], v[107:108]
	v_div_fixup_f64 v[103:104], v[101:102], v[97:98], v[99:100]
	v_fma_f64 v[97:98], v[99:100], v[103:104], v[97:98]
	v_div_scale_f64 v[99:100], s[6:7], v[97:98], v[97:98], 1.0
	v_div_scale_f64 v[107:108], vcc, 1.0, v[97:98], 1.0
	v_rcp_f64_e32 v[101:102], v[99:100]
	v_fma_f64 v[105:106], -v[99:100], v[101:102], 1.0
	v_fma_f64 v[101:102], v[101:102], v[105:106], v[101:102]
	v_fma_f64 v[105:106], -v[99:100], v[101:102], 1.0
	v_fma_f64 v[101:102], v[101:102], v[105:106], v[101:102]
	v_mul_f64 v[105:106], v[107:108], v[101:102]
	v_fma_f64 v[99:100], -v[99:100], v[105:106], v[107:108]
	v_div_fmas_f64 v[99:100], v[99:100], v[101:102], v[105:106]
	v_div_fixup_f64 v[101:102], v[99:100], v[97:98], 1.0
	v_mul_f64 v[103:104], v[103:104], -v[101:102]
.LBB85_61:
	s_or_b64 exec, exec, s[2:3]
	ds_write2_b64 v127, v[101:102], v[103:104] offset1:1
.LBB85_62:
	s_or_b64 exec, exec, s[4:5]
	s_waitcnt lgkmcnt(0)
	s_barrier
	ds_read2_b64 v[81:84], v127 offset1:1
	v_cmp_lt_u32_e32 vcc, 6, v0
	s_waitcnt lgkmcnt(0)
	buffer_store_dword v81, off, s[20:23], 0 offset:800 ; 4-byte Folded Spill
	s_nop 0
	buffer_store_dword v82, off, s[20:23], 0 offset:804 ; 4-byte Folded Spill
	buffer_store_dword v83, off, s[20:23], 0 offset:808 ; 4-byte Folded Spill
	buffer_store_dword v84, off, s[20:23], 0 offset:812 ; 4-byte Folded Spill
	s_and_saveexec_b64 s[2:3], vcc
	s_cbranch_execz .LBB85_64
; %bb.63:
	buffer_load_dword v87, off, s[20:23], 0 offset:224 ; 4-byte Folded Reload
	buffer_load_dword v88, off, s[20:23], 0 offset:228 ; 4-byte Folded Reload
	buffer_load_dword v89, off, s[20:23], 0 offset:232 ; 4-byte Folded Reload
	buffer_load_dword v90, off, s[20:23], 0 offset:236 ; 4-byte Folded Reload
	buffer_load_dword v81, off, s[20:23], 0 offset:800 ; 4-byte Folded Reload
	buffer_load_dword v82, off, s[20:23], 0 offset:804 ; 4-byte Folded Reload
	buffer_load_dword v83, off, s[20:23], 0 offset:808 ; 4-byte Folded Reload
	buffer_load_dword v84, off, s[20:23], 0 offset:812 ; 4-byte Folded Reload
	s_waitcnt vmcnt(2)
	v_mul_f64 v[99:100], v[81:82], v[89:90]
	s_waitcnt vmcnt(0)
	v_mul_f64 v[97:98], v[83:84], v[89:90]
	v_fma_f64 v[89:90], v[83:84], v[87:88], v[99:100]
	ds_read2_b64 v[99:102], v125 offset0:14 offset1:15
	v_fma_f64 v[97:98], v[81:82], v[87:88], -v[97:98]
	buffer_load_dword v81, off, s[20:23], 0 offset:208 ; 4-byte Folded Reload
	buffer_load_dword v82, off, s[20:23], 0 offset:212 ; 4-byte Folded Reload
	buffer_load_dword v83, off, s[20:23], 0 offset:216 ; 4-byte Folded Reload
	buffer_load_dword v84, off, s[20:23], 0 offset:220 ; 4-byte Folded Reload
	s_waitcnt lgkmcnt(0)
	v_mul_f64 v[103:104], v[101:102], v[89:90]
	v_fma_f64 v[103:104], v[99:100], v[97:98], -v[103:104]
	v_mul_f64 v[99:100], v[99:100], v[89:90]
	v_fma_f64 v[99:100], v[101:102], v[97:98], v[99:100]
	s_waitcnt vmcnt(2)
	v_add_f64 v[81:82], v[81:82], -v[103:104]
	s_waitcnt vmcnt(0)
	v_add_f64 v[83:84], v[83:84], -v[99:100]
	buffer_store_dword v81, off, s[20:23], 0 offset:208 ; 4-byte Folded Spill
	s_nop 0
	buffer_store_dword v82, off, s[20:23], 0 offset:212 ; 4-byte Folded Spill
	buffer_store_dword v83, off, s[20:23], 0 offset:216 ; 4-byte Folded Spill
	buffer_store_dword v84, off, s[20:23], 0 offset:220 ; 4-byte Folded Spill
	ds_read2_b64 v[99:102], v125 offset0:16 offset1:17
	buffer_load_dword v81, off, s[20:23], 0 offset:192 ; 4-byte Folded Reload
	buffer_load_dword v82, off, s[20:23], 0 offset:196 ; 4-byte Folded Reload
	buffer_load_dword v83, off, s[20:23], 0 offset:200 ; 4-byte Folded Reload
	buffer_load_dword v84, off, s[20:23], 0 offset:204 ; 4-byte Folded Reload
	s_waitcnt lgkmcnt(0)
	v_mul_f64 v[103:104], v[101:102], v[89:90]
	v_fma_f64 v[103:104], v[99:100], v[97:98], -v[103:104]
	v_mul_f64 v[99:100], v[99:100], v[89:90]
	v_fma_f64 v[99:100], v[101:102], v[97:98], v[99:100]
	s_waitcnt vmcnt(2)
	v_add_f64 v[81:82], v[81:82], -v[103:104]
	s_waitcnt vmcnt(0)
	v_add_f64 v[83:84], v[83:84], -v[99:100]
	buffer_store_dword v81, off, s[20:23], 0 offset:192 ; 4-byte Folded Spill
	s_nop 0
	buffer_store_dword v82, off, s[20:23], 0 offset:196 ; 4-byte Folded Spill
	buffer_store_dword v83, off, s[20:23], 0 offset:200 ; 4-byte Folded Spill
	buffer_store_dword v84, off, s[20:23], 0 offset:204 ; 4-byte Folded Spill
	ds_read2_b64 v[99:102], v125 offset0:18 offset1:19
	;; [unrolled: 19-line block ×10, first 2 shown]
	s_waitcnt lgkmcnt(0)
	v_mul_f64 v[103:104], v[101:102], v[89:90]
	v_fma_f64 v[103:104], v[99:100], v[97:98], -v[103:104]
	v_mul_f64 v[99:100], v[99:100], v[89:90]
	v_add_f64 v[117:118], v[117:118], -v[103:104]
	v_fma_f64 v[99:100], v[101:102], v[97:98], v[99:100]
	v_add_f64 v[119:120], v[119:120], -v[99:100]
	ds_read2_b64 v[99:102], v125 offset0:36 offset1:37
	s_waitcnt lgkmcnt(0)
	v_mul_f64 v[103:104], v[101:102], v[89:90]
	v_fma_f64 v[103:104], v[99:100], v[97:98], -v[103:104]
	v_mul_f64 v[99:100], v[99:100], v[89:90]
	v_add_f64 v[113:114], v[113:114], -v[103:104]
	v_fma_f64 v[99:100], v[101:102], v[97:98], v[99:100]
	v_add_f64 v[115:116], v[115:116], -v[99:100]
	ds_read2_b64 v[99:102], v125 offset0:38 offset1:39
	buffer_load_dword v81, off, s[20:23], 0 offset:48 ; 4-byte Folded Reload
	buffer_load_dword v82, off, s[20:23], 0 offset:52 ; 4-byte Folded Reload
	;; [unrolled: 1-line block ×4, first 2 shown]
	s_waitcnt lgkmcnt(0)
	v_mul_f64 v[103:104], v[101:102], v[89:90]
	v_fma_f64 v[103:104], v[99:100], v[97:98], -v[103:104]
	v_mul_f64 v[99:100], v[99:100], v[89:90]
	v_fma_f64 v[99:100], v[101:102], v[97:98], v[99:100]
	s_waitcnt vmcnt(2)
	v_add_f64 v[81:82], v[81:82], -v[103:104]
	s_waitcnt vmcnt(0)
	v_add_f64 v[83:84], v[83:84], -v[99:100]
	buffer_store_dword v81, off, s[20:23], 0 offset:48 ; 4-byte Folded Spill
	s_nop 0
	buffer_store_dword v82, off, s[20:23], 0 offset:52 ; 4-byte Folded Spill
	buffer_store_dword v83, off, s[20:23], 0 offset:56 ; 4-byte Folded Spill
	;; [unrolled: 1-line block ×3, first 2 shown]
	ds_read2_b64 v[99:102], v125 offset0:40 offset1:41
	s_waitcnt lgkmcnt(0)
	v_mul_f64 v[103:104], v[101:102], v[89:90]
	v_fma_f64 v[103:104], v[99:100], v[97:98], -v[103:104]
	v_mul_f64 v[99:100], v[99:100], v[89:90]
	v_add_f64 v[77:78], v[77:78], -v[103:104]
	v_fma_f64 v[99:100], v[101:102], v[97:98], v[99:100]
	v_add_f64 v[79:80], v[79:80], -v[99:100]
	ds_read2_b64 v[99:102], v125 offset0:42 offset1:43
	s_waitcnt lgkmcnt(0)
	v_mul_f64 v[103:104], v[101:102], v[89:90]
	v_fma_f64 v[103:104], v[99:100], v[97:98], -v[103:104]
	v_mul_f64 v[99:100], v[99:100], v[89:90]
	v_add_f64 v[93:94], v[93:94], -v[103:104]
	v_fma_f64 v[99:100], v[101:102], v[97:98], v[99:100]
	v_add_f64 v[95:96], v[95:96], -v[99:100]
	ds_read2_b64 v[99:102], v125 offset0:44 offset1:45
	buffer_load_dword v85, off, s[20:23], 0 offset:32 ; 4-byte Folded Reload
	buffer_load_dword v86, off, s[20:23], 0 offset:36 ; 4-byte Folded Reload
	;; [unrolled: 1-line block ×4, first 2 shown]
	s_waitcnt lgkmcnt(0)
	v_mul_f64 v[103:104], v[101:102], v[89:90]
	v_fma_f64 v[103:104], v[99:100], v[97:98], -v[103:104]
	v_mul_f64 v[99:100], v[99:100], v[89:90]
	v_fma_f64 v[99:100], v[101:102], v[97:98], v[99:100]
	s_waitcnt vmcnt(2)
	v_add_f64 v[85:86], v[85:86], -v[103:104]
	s_waitcnt vmcnt(0)
	v_add_f64 v[87:88], v[87:88], -v[99:100]
	buffer_store_dword v85, off, s[20:23], 0 offset:32 ; 4-byte Folded Spill
	s_nop 0
	buffer_store_dword v86, off, s[20:23], 0 offset:36 ; 4-byte Folded Spill
	buffer_store_dword v87, off, s[20:23], 0 offset:40 ; 4-byte Folded Spill
	;; [unrolled: 1-line block ×3, first 2 shown]
	ds_read2_b64 v[99:102], v125 offset0:46 offset1:47
	buffer_load_dword v73, off, s[20:23], 0 offset:16 ; 4-byte Folded Reload
	buffer_load_dword v74, off, s[20:23], 0 offset:20 ; 4-byte Folded Reload
	;; [unrolled: 1-line block ×4, first 2 shown]
	v_mov_b32_e32 v87, v97
	v_mov_b32_e32 v88, v98
	s_waitcnt lgkmcnt(0)
	v_mul_f64 v[103:104], v[101:102], v[89:90]
	v_fma_f64 v[103:104], v[99:100], v[97:98], -v[103:104]
	v_mul_f64 v[99:100], v[99:100], v[89:90]
	v_fma_f64 v[99:100], v[101:102], v[97:98], v[99:100]
	s_waitcnt vmcnt(2)
	v_add_f64 v[73:74], v[73:74], -v[103:104]
	s_waitcnt vmcnt(0)
	v_add_f64 v[75:76], v[75:76], -v[99:100]
	buffer_store_dword v73, off, s[20:23], 0 offset:16 ; 4-byte Folded Spill
	s_nop 0
	buffer_store_dword v74, off, s[20:23], 0 offset:20 ; 4-byte Folded Spill
	buffer_store_dword v75, off, s[20:23], 0 offset:24 ; 4-byte Folded Spill
	;; [unrolled: 1-line block ×3, first 2 shown]
	ds_read2_b64 v[99:102], v125 offset0:48 offset1:49
	buffer_load_dword v69, off, s[20:23], 0 ; 4-byte Folded Reload
	buffer_load_dword v70, off, s[20:23], 0 offset:4 ; 4-byte Folded Reload
	buffer_load_dword v71, off, s[20:23], 0 offset:8 ; 4-byte Folded Reload
	;; [unrolled: 1-line block ×3, first 2 shown]
	s_waitcnt lgkmcnt(0)
	v_mul_f64 v[103:104], v[101:102], v[89:90]
	v_fma_f64 v[103:104], v[99:100], v[97:98], -v[103:104]
	v_mul_f64 v[99:100], v[99:100], v[89:90]
	v_fma_f64 v[99:100], v[101:102], v[97:98], v[99:100]
	s_waitcnt vmcnt(2)
	v_add_f64 v[69:70], v[69:70], -v[103:104]
	s_waitcnt vmcnt(0)
	v_add_f64 v[71:72], v[71:72], -v[99:100]
	buffer_store_dword v69, off, s[20:23], 0 ; 4-byte Folded Spill
	s_nop 0
	buffer_store_dword v70, off, s[20:23], 0 offset:4 ; 4-byte Folded Spill
	buffer_store_dword v71, off, s[20:23], 0 offset:8 ; 4-byte Folded Spill
	;; [unrolled: 1-line block ×3, first 2 shown]
	ds_read2_b64 v[99:102], v125 offset0:50 offset1:51
	s_waitcnt lgkmcnt(0)
	v_mul_f64 v[103:104], v[101:102], v[89:90]
	v_fma_f64 v[103:104], v[99:100], v[97:98], -v[103:104]
	v_mul_f64 v[99:100], v[99:100], v[89:90]
	v_add_f64 v[65:66], v[65:66], -v[103:104]
	v_fma_f64 v[99:100], v[101:102], v[97:98], v[99:100]
	v_add_f64 v[67:68], v[67:68], -v[99:100]
	ds_read2_b64 v[99:102], v125 offset0:52 offset1:53
	s_waitcnt lgkmcnt(0)
	v_mul_f64 v[103:104], v[101:102], v[89:90]
	v_fma_f64 v[103:104], v[99:100], v[97:98], -v[103:104]
	v_mul_f64 v[99:100], v[99:100], v[89:90]
	v_add_f64 v[61:62], v[61:62], -v[103:104]
	v_fma_f64 v[99:100], v[101:102], v[97:98], v[99:100]
	v_add_f64 v[63:64], v[63:64], -v[99:100]
	;; [unrolled: 8-line block ×17, first 2 shown]
	ds_read2_b64 v[99:102], v125 offset0:84 offset1:85
	s_waitcnt lgkmcnt(0)
	v_mul_f64 v[103:104], v[101:102], v[89:90]
	v_fma_f64 v[103:104], v[99:100], v[97:98], -v[103:104]
	v_mul_f64 v[99:100], v[99:100], v[89:90]
	buffer_store_dword v87, off, s[20:23], 0 offset:224 ; 4-byte Folded Spill
	s_nop 0
	buffer_store_dword v88, off, s[20:23], 0 offset:228 ; 4-byte Folded Spill
	buffer_store_dword v89, off, s[20:23], 0 offset:232 ; 4-byte Folded Spill
	;; [unrolled: 1-line block ×3, first 2 shown]
	v_add_f64 v[121:122], v[121:122], -v[103:104]
	v_fma_f64 v[99:100], v[101:102], v[97:98], v[99:100]
	v_add_f64 v[123:124], v[123:124], -v[99:100]
.LBB85_64:
	s_or_b64 exec, exec, s[2:3]
	v_cmp_eq_u32_e32 vcc, 7, v0
	s_waitcnt vmcnt(0)
	s_barrier
	s_and_saveexec_b64 s[4:5], vcc
	s_cbranch_execz .LBB85_71
; %bb.65:
	buffer_load_dword v81, off, s[20:23], 0 offset:208 ; 4-byte Folded Reload
	buffer_load_dword v82, off, s[20:23], 0 offset:212 ; 4-byte Folded Reload
	;; [unrolled: 1-line block ×4, first 2 shown]
	s_waitcnt vmcnt(0)
	ds_write2_b64 v127, v[81:82], v[83:84] offset1:1
	buffer_load_dword v81, off, s[20:23], 0 offset:192 ; 4-byte Folded Reload
	buffer_load_dword v82, off, s[20:23], 0 offset:196 ; 4-byte Folded Reload
	buffer_load_dword v83, off, s[20:23], 0 offset:200 ; 4-byte Folded Reload
	buffer_load_dword v84, off, s[20:23], 0 offset:204 ; 4-byte Folded Reload
	s_waitcnt vmcnt(0)
	ds_write2_b64 v125, v[81:82], v[83:84] offset0:16 offset1:17
	buffer_load_dword v81, off, s[20:23], 0 offset:176 ; 4-byte Folded Reload
	buffer_load_dword v82, off, s[20:23], 0 offset:180 ; 4-byte Folded Reload
	buffer_load_dword v83, off, s[20:23], 0 offset:184 ; 4-byte Folded Reload
	buffer_load_dword v84, off, s[20:23], 0 offset:188 ; 4-byte Folded Reload
	s_waitcnt vmcnt(0)
	ds_write2_b64 v125, v[81:82], v[83:84] offset0:18 offset1:19
	;; [unrolled: 6-line block ×9, first 2 shown]
	ds_write2_b64 v125, v[117:118], v[119:120] offset0:34 offset1:35
	ds_write2_b64 v125, v[113:114], v[115:116] offset0:36 offset1:37
	buffer_load_dword v81, off, s[20:23], 0 offset:48 ; 4-byte Folded Reload
	buffer_load_dword v82, off, s[20:23], 0 offset:52 ; 4-byte Folded Reload
	;; [unrolled: 1-line block ×4, first 2 shown]
	s_waitcnt vmcnt(0)
	ds_write2_b64 v125, v[81:82], v[83:84] offset0:38 offset1:39
	ds_write2_b64 v125, v[77:78], v[79:80] offset0:40 offset1:41
	;; [unrolled: 1-line block ×3, first 2 shown]
	buffer_load_dword v85, off, s[20:23], 0 offset:32 ; 4-byte Folded Reload
	buffer_load_dword v86, off, s[20:23], 0 offset:36 ; 4-byte Folded Reload
	;; [unrolled: 1-line block ×4, first 2 shown]
	s_waitcnt vmcnt(0)
	ds_write2_b64 v125, v[85:86], v[87:88] offset0:44 offset1:45
	buffer_load_dword v73, off, s[20:23], 0 offset:16 ; 4-byte Folded Reload
	buffer_load_dword v74, off, s[20:23], 0 offset:20 ; 4-byte Folded Reload
	;; [unrolled: 1-line block ×4, first 2 shown]
	s_waitcnt vmcnt(0)
	ds_write2_b64 v125, v[73:74], v[75:76] offset0:46 offset1:47
	buffer_load_dword v69, off, s[20:23], 0 ; 4-byte Folded Reload
	buffer_load_dword v70, off, s[20:23], 0 offset:4 ; 4-byte Folded Reload
	buffer_load_dword v71, off, s[20:23], 0 offset:8 ; 4-byte Folded Reload
	;; [unrolled: 1-line block ×3, first 2 shown]
	s_waitcnt vmcnt(0)
	ds_write2_b64 v125, v[69:70], v[71:72] offset0:48 offset1:49
	ds_write2_b64 v125, v[65:66], v[67:68] offset0:50 offset1:51
	;; [unrolled: 1-line block ×19, first 2 shown]
	ds_read2_b64 v[97:100], v127 offset1:1
	s_waitcnt lgkmcnt(0)
	v_cmp_neq_f64_e32 vcc, 0, v[97:98]
	v_cmp_neq_f64_e64 s[2:3], 0, v[99:100]
	s_or_b64 s[2:3], vcc, s[2:3]
	s_and_b64 exec, exec, s[2:3]
	s_cbranch_execz .LBB85_71
; %bb.66:
	v_cmp_ngt_f64_e64 s[2:3], |v[97:98]|, |v[99:100]|
                                        ; implicit-def: $vgpr101_vgpr102
	s_and_saveexec_b64 s[6:7], s[2:3]
	s_xor_b64 s[2:3], exec, s[6:7]
                                        ; implicit-def: $vgpr103_vgpr104
	s_cbranch_execz .LBB85_68
; %bb.67:
	v_div_scale_f64 v[101:102], s[6:7], v[99:100], v[99:100], v[97:98]
	v_rcp_f64_e32 v[103:104], v[101:102]
	v_fma_f64 v[105:106], -v[101:102], v[103:104], 1.0
	v_fma_f64 v[103:104], v[103:104], v[105:106], v[103:104]
	v_div_scale_f64 v[105:106], vcc, v[97:98], v[99:100], v[97:98]
	v_fma_f64 v[107:108], -v[101:102], v[103:104], 1.0
	v_fma_f64 v[103:104], v[103:104], v[107:108], v[103:104]
	v_mul_f64 v[107:108], v[105:106], v[103:104]
	v_fma_f64 v[101:102], -v[101:102], v[107:108], v[105:106]
	v_div_fmas_f64 v[101:102], v[101:102], v[103:104], v[107:108]
	v_div_fixup_f64 v[101:102], v[101:102], v[99:100], v[97:98]
	v_fma_f64 v[97:98], v[97:98], v[101:102], v[99:100]
	v_div_scale_f64 v[99:100], s[6:7], v[97:98], v[97:98], 1.0
	v_div_scale_f64 v[107:108], vcc, 1.0, v[97:98], 1.0
	v_rcp_f64_e32 v[103:104], v[99:100]
	v_fma_f64 v[105:106], -v[99:100], v[103:104], 1.0
	v_fma_f64 v[103:104], v[103:104], v[105:106], v[103:104]
	v_fma_f64 v[105:106], -v[99:100], v[103:104], 1.0
	v_fma_f64 v[103:104], v[103:104], v[105:106], v[103:104]
	v_mul_f64 v[105:106], v[107:108], v[103:104]
	v_fma_f64 v[99:100], -v[99:100], v[105:106], v[107:108]
	v_div_fmas_f64 v[99:100], v[99:100], v[103:104], v[105:106]
	v_div_fixup_f64 v[103:104], v[99:100], v[97:98], 1.0
                                        ; implicit-def: $vgpr97_vgpr98
	v_mul_f64 v[101:102], v[101:102], v[103:104]
	v_xor_b32_e32 v104, 0x80000000, v104
.LBB85_68:
	s_andn2_saveexec_b64 s[2:3], s[2:3]
	s_cbranch_execz .LBB85_70
; %bb.69:
	v_div_scale_f64 v[101:102], s[6:7], v[97:98], v[97:98], v[99:100]
	v_rcp_f64_e32 v[103:104], v[101:102]
	v_fma_f64 v[105:106], -v[101:102], v[103:104], 1.0
	v_fma_f64 v[103:104], v[103:104], v[105:106], v[103:104]
	v_div_scale_f64 v[105:106], vcc, v[99:100], v[97:98], v[99:100]
	v_fma_f64 v[107:108], -v[101:102], v[103:104], 1.0
	v_fma_f64 v[103:104], v[103:104], v[107:108], v[103:104]
	v_mul_f64 v[107:108], v[105:106], v[103:104]
	v_fma_f64 v[101:102], -v[101:102], v[107:108], v[105:106]
	v_div_fmas_f64 v[101:102], v[101:102], v[103:104], v[107:108]
	v_div_fixup_f64 v[103:104], v[101:102], v[97:98], v[99:100]
	v_fma_f64 v[97:98], v[99:100], v[103:104], v[97:98]
	v_div_scale_f64 v[99:100], s[6:7], v[97:98], v[97:98], 1.0
	v_div_scale_f64 v[107:108], vcc, 1.0, v[97:98], 1.0
	v_rcp_f64_e32 v[101:102], v[99:100]
	v_fma_f64 v[105:106], -v[99:100], v[101:102], 1.0
	v_fma_f64 v[101:102], v[101:102], v[105:106], v[101:102]
	v_fma_f64 v[105:106], -v[99:100], v[101:102], 1.0
	v_fma_f64 v[101:102], v[101:102], v[105:106], v[101:102]
	v_mul_f64 v[105:106], v[107:108], v[101:102]
	v_fma_f64 v[99:100], -v[99:100], v[105:106], v[107:108]
	v_div_fmas_f64 v[99:100], v[99:100], v[101:102], v[105:106]
	v_div_fixup_f64 v[101:102], v[99:100], v[97:98], 1.0
	v_mul_f64 v[103:104], v[103:104], -v[101:102]
.LBB85_70:
	s_or_b64 exec, exec, s[2:3]
	ds_write2_b64 v127, v[101:102], v[103:104] offset1:1
.LBB85_71:
	s_or_b64 exec, exec, s[4:5]
	s_waitcnt lgkmcnt(0)
	s_barrier
	ds_read2_b64 v[81:84], v127 offset1:1
	v_cmp_lt_u32_e32 vcc, 7, v0
	s_waitcnt lgkmcnt(0)
	buffer_store_dword v81, off, s[20:23], 0 offset:816 ; 4-byte Folded Spill
	s_nop 0
	buffer_store_dword v82, off, s[20:23], 0 offset:820 ; 4-byte Folded Spill
	buffer_store_dword v83, off, s[20:23], 0 offset:824 ; 4-byte Folded Spill
	;; [unrolled: 1-line block ×3, first 2 shown]
	s_and_saveexec_b64 s[2:3], vcc
	s_cbranch_execz .LBB85_73
; %bb.72:
	buffer_load_dword v87, off, s[20:23], 0 offset:208 ; 4-byte Folded Reload
	buffer_load_dword v88, off, s[20:23], 0 offset:212 ; 4-byte Folded Reload
	;; [unrolled: 1-line block ×8, first 2 shown]
	s_waitcnt vmcnt(2)
	v_mul_f64 v[99:100], v[81:82], v[89:90]
	s_waitcnt vmcnt(0)
	v_mul_f64 v[97:98], v[83:84], v[89:90]
	v_fma_f64 v[89:90], v[83:84], v[87:88], v[99:100]
	ds_read2_b64 v[99:102], v125 offset0:16 offset1:17
	v_fma_f64 v[97:98], v[81:82], v[87:88], -v[97:98]
	buffer_load_dword v81, off, s[20:23], 0 offset:192 ; 4-byte Folded Reload
	buffer_load_dword v82, off, s[20:23], 0 offset:196 ; 4-byte Folded Reload
	buffer_load_dword v83, off, s[20:23], 0 offset:200 ; 4-byte Folded Reload
	buffer_load_dword v84, off, s[20:23], 0 offset:204 ; 4-byte Folded Reload
	s_waitcnt lgkmcnt(0)
	v_mul_f64 v[103:104], v[101:102], v[89:90]
	v_fma_f64 v[103:104], v[99:100], v[97:98], -v[103:104]
	v_mul_f64 v[99:100], v[99:100], v[89:90]
	v_fma_f64 v[99:100], v[101:102], v[97:98], v[99:100]
	s_waitcnt vmcnt(2)
	v_add_f64 v[81:82], v[81:82], -v[103:104]
	s_waitcnt vmcnt(0)
	v_add_f64 v[83:84], v[83:84], -v[99:100]
	buffer_store_dword v81, off, s[20:23], 0 offset:192 ; 4-byte Folded Spill
	s_nop 0
	buffer_store_dword v82, off, s[20:23], 0 offset:196 ; 4-byte Folded Spill
	buffer_store_dword v83, off, s[20:23], 0 offset:200 ; 4-byte Folded Spill
	buffer_store_dword v84, off, s[20:23], 0 offset:204 ; 4-byte Folded Spill
	ds_read2_b64 v[99:102], v125 offset0:18 offset1:19
	buffer_load_dword v81, off, s[20:23], 0 offset:176 ; 4-byte Folded Reload
	buffer_load_dword v82, off, s[20:23], 0 offset:180 ; 4-byte Folded Reload
	buffer_load_dword v83, off, s[20:23], 0 offset:184 ; 4-byte Folded Reload
	buffer_load_dword v84, off, s[20:23], 0 offset:188 ; 4-byte Folded Reload
	s_waitcnt lgkmcnt(0)
	v_mul_f64 v[103:104], v[101:102], v[89:90]
	v_fma_f64 v[103:104], v[99:100], v[97:98], -v[103:104]
	v_mul_f64 v[99:100], v[99:100], v[89:90]
	v_fma_f64 v[99:100], v[101:102], v[97:98], v[99:100]
	s_waitcnt vmcnt(2)
	v_add_f64 v[81:82], v[81:82], -v[103:104]
	s_waitcnt vmcnt(0)
	v_add_f64 v[83:84], v[83:84], -v[99:100]
	buffer_store_dword v81, off, s[20:23], 0 offset:176 ; 4-byte Folded Spill
	s_nop 0
	buffer_store_dword v82, off, s[20:23], 0 offset:180 ; 4-byte Folded Spill
	buffer_store_dword v83, off, s[20:23], 0 offset:184 ; 4-byte Folded Spill
	buffer_store_dword v84, off, s[20:23], 0 offset:188 ; 4-byte Folded Spill
	ds_read2_b64 v[99:102], v125 offset0:20 offset1:21
	;; [unrolled: 19-line block ×9, first 2 shown]
	s_waitcnt lgkmcnt(0)
	v_mul_f64 v[103:104], v[101:102], v[89:90]
	v_fma_f64 v[103:104], v[99:100], v[97:98], -v[103:104]
	v_mul_f64 v[99:100], v[99:100], v[89:90]
	v_add_f64 v[117:118], v[117:118], -v[103:104]
	v_fma_f64 v[99:100], v[101:102], v[97:98], v[99:100]
	v_add_f64 v[119:120], v[119:120], -v[99:100]
	ds_read2_b64 v[99:102], v125 offset0:36 offset1:37
	s_waitcnt lgkmcnt(0)
	v_mul_f64 v[103:104], v[101:102], v[89:90]
	v_fma_f64 v[103:104], v[99:100], v[97:98], -v[103:104]
	v_mul_f64 v[99:100], v[99:100], v[89:90]
	v_add_f64 v[113:114], v[113:114], -v[103:104]
	v_fma_f64 v[99:100], v[101:102], v[97:98], v[99:100]
	v_add_f64 v[115:116], v[115:116], -v[99:100]
	ds_read2_b64 v[99:102], v125 offset0:38 offset1:39
	buffer_load_dword v81, off, s[20:23], 0 offset:48 ; 4-byte Folded Reload
	buffer_load_dword v82, off, s[20:23], 0 offset:52 ; 4-byte Folded Reload
	;; [unrolled: 1-line block ×4, first 2 shown]
	s_waitcnt lgkmcnt(0)
	v_mul_f64 v[103:104], v[101:102], v[89:90]
	v_fma_f64 v[103:104], v[99:100], v[97:98], -v[103:104]
	v_mul_f64 v[99:100], v[99:100], v[89:90]
	v_fma_f64 v[99:100], v[101:102], v[97:98], v[99:100]
	s_waitcnt vmcnt(2)
	v_add_f64 v[81:82], v[81:82], -v[103:104]
	s_waitcnt vmcnt(0)
	v_add_f64 v[83:84], v[83:84], -v[99:100]
	buffer_store_dword v81, off, s[20:23], 0 offset:48 ; 4-byte Folded Spill
	s_nop 0
	buffer_store_dword v82, off, s[20:23], 0 offset:52 ; 4-byte Folded Spill
	buffer_store_dword v83, off, s[20:23], 0 offset:56 ; 4-byte Folded Spill
	;; [unrolled: 1-line block ×3, first 2 shown]
	ds_read2_b64 v[99:102], v125 offset0:40 offset1:41
	s_waitcnt lgkmcnt(0)
	v_mul_f64 v[103:104], v[101:102], v[89:90]
	v_fma_f64 v[103:104], v[99:100], v[97:98], -v[103:104]
	v_mul_f64 v[99:100], v[99:100], v[89:90]
	v_add_f64 v[77:78], v[77:78], -v[103:104]
	v_fma_f64 v[99:100], v[101:102], v[97:98], v[99:100]
	v_add_f64 v[79:80], v[79:80], -v[99:100]
	ds_read2_b64 v[99:102], v125 offset0:42 offset1:43
	s_waitcnt lgkmcnt(0)
	v_mul_f64 v[103:104], v[101:102], v[89:90]
	v_fma_f64 v[103:104], v[99:100], v[97:98], -v[103:104]
	v_mul_f64 v[99:100], v[99:100], v[89:90]
	v_add_f64 v[93:94], v[93:94], -v[103:104]
	v_fma_f64 v[99:100], v[101:102], v[97:98], v[99:100]
	v_add_f64 v[95:96], v[95:96], -v[99:100]
	ds_read2_b64 v[99:102], v125 offset0:44 offset1:45
	buffer_load_dword v85, off, s[20:23], 0 offset:32 ; 4-byte Folded Reload
	buffer_load_dword v86, off, s[20:23], 0 offset:36 ; 4-byte Folded Reload
	;; [unrolled: 1-line block ×4, first 2 shown]
	s_waitcnt lgkmcnt(0)
	v_mul_f64 v[103:104], v[101:102], v[89:90]
	v_fma_f64 v[103:104], v[99:100], v[97:98], -v[103:104]
	v_mul_f64 v[99:100], v[99:100], v[89:90]
	v_fma_f64 v[99:100], v[101:102], v[97:98], v[99:100]
	s_waitcnt vmcnt(2)
	v_add_f64 v[85:86], v[85:86], -v[103:104]
	s_waitcnt vmcnt(0)
	v_add_f64 v[87:88], v[87:88], -v[99:100]
	buffer_store_dword v85, off, s[20:23], 0 offset:32 ; 4-byte Folded Spill
	s_nop 0
	buffer_store_dword v86, off, s[20:23], 0 offset:36 ; 4-byte Folded Spill
	buffer_store_dword v87, off, s[20:23], 0 offset:40 ; 4-byte Folded Spill
	;; [unrolled: 1-line block ×3, first 2 shown]
	ds_read2_b64 v[99:102], v125 offset0:46 offset1:47
	buffer_load_dword v73, off, s[20:23], 0 offset:16 ; 4-byte Folded Reload
	buffer_load_dword v74, off, s[20:23], 0 offset:20 ; 4-byte Folded Reload
	;; [unrolled: 1-line block ×4, first 2 shown]
	v_mov_b32_e32 v87, v97
	v_mov_b32_e32 v88, v98
	s_waitcnt lgkmcnt(0)
	v_mul_f64 v[103:104], v[101:102], v[89:90]
	v_fma_f64 v[103:104], v[99:100], v[97:98], -v[103:104]
	v_mul_f64 v[99:100], v[99:100], v[89:90]
	v_fma_f64 v[99:100], v[101:102], v[97:98], v[99:100]
	s_waitcnt vmcnt(2)
	v_add_f64 v[73:74], v[73:74], -v[103:104]
	s_waitcnt vmcnt(0)
	v_add_f64 v[75:76], v[75:76], -v[99:100]
	buffer_store_dword v73, off, s[20:23], 0 offset:16 ; 4-byte Folded Spill
	s_nop 0
	buffer_store_dword v74, off, s[20:23], 0 offset:20 ; 4-byte Folded Spill
	buffer_store_dword v75, off, s[20:23], 0 offset:24 ; 4-byte Folded Spill
	buffer_store_dword v76, off, s[20:23], 0 offset:28 ; 4-byte Folded Spill
	ds_read2_b64 v[99:102], v125 offset0:48 offset1:49
	buffer_load_dword v69, off, s[20:23], 0 ; 4-byte Folded Reload
	buffer_load_dword v70, off, s[20:23], 0 offset:4 ; 4-byte Folded Reload
	buffer_load_dword v71, off, s[20:23], 0 offset:8 ; 4-byte Folded Reload
	;; [unrolled: 1-line block ×3, first 2 shown]
	s_waitcnt lgkmcnt(0)
	v_mul_f64 v[103:104], v[101:102], v[89:90]
	v_fma_f64 v[103:104], v[99:100], v[97:98], -v[103:104]
	v_mul_f64 v[99:100], v[99:100], v[89:90]
	v_fma_f64 v[99:100], v[101:102], v[97:98], v[99:100]
	s_waitcnt vmcnt(2)
	v_add_f64 v[69:70], v[69:70], -v[103:104]
	s_waitcnt vmcnt(0)
	v_add_f64 v[71:72], v[71:72], -v[99:100]
	buffer_store_dword v69, off, s[20:23], 0 ; 4-byte Folded Spill
	s_nop 0
	buffer_store_dword v70, off, s[20:23], 0 offset:4 ; 4-byte Folded Spill
	buffer_store_dword v71, off, s[20:23], 0 offset:8 ; 4-byte Folded Spill
	;; [unrolled: 1-line block ×3, first 2 shown]
	ds_read2_b64 v[99:102], v125 offset0:50 offset1:51
	s_waitcnt lgkmcnt(0)
	v_mul_f64 v[103:104], v[101:102], v[89:90]
	v_fma_f64 v[103:104], v[99:100], v[97:98], -v[103:104]
	v_mul_f64 v[99:100], v[99:100], v[89:90]
	v_add_f64 v[65:66], v[65:66], -v[103:104]
	v_fma_f64 v[99:100], v[101:102], v[97:98], v[99:100]
	v_add_f64 v[67:68], v[67:68], -v[99:100]
	ds_read2_b64 v[99:102], v125 offset0:52 offset1:53
	s_waitcnt lgkmcnt(0)
	v_mul_f64 v[103:104], v[101:102], v[89:90]
	v_fma_f64 v[103:104], v[99:100], v[97:98], -v[103:104]
	v_mul_f64 v[99:100], v[99:100], v[89:90]
	v_add_f64 v[61:62], v[61:62], -v[103:104]
	v_fma_f64 v[99:100], v[101:102], v[97:98], v[99:100]
	v_add_f64 v[63:64], v[63:64], -v[99:100]
	;; [unrolled: 8-line block ×17, first 2 shown]
	ds_read2_b64 v[99:102], v125 offset0:84 offset1:85
	s_waitcnt lgkmcnt(0)
	v_mul_f64 v[103:104], v[101:102], v[89:90]
	v_fma_f64 v[103:104], v[99:100], v[97:98], -v[103:104]
	v_mul_f64 v[99:100], v[99:100], v[89:90]
	buffer_store_dword v87, off, s[20:23], 0 offset:208 ; 4-byte Folded Spill
	s_nop 0
	buffer_store_dword v88, off, s[20:23], 0 offset:212 ; 4-byte Folded Spill
	buffer_store_dword v89, off, s[20:23], 0 offset:216 ; 4-byte Folded Spill
	;; [unrolled: 1-line block ×3, first 2 shown]
	v_add_f64 v[121:122], v[121:122], -v[103:104]
	v_fma_f64 v[99:100], v[101:102], v[97:98], v[99:100]
	v_add_f64 v[123:124], v[123:124], -v[99:100]
.LBB85_73:
	s_or_b64 exec, exec, s[2:3]
	v_cmp_eq_u32_e32 vcc, 8, v0
	s_waitcnt vmcnt(0)
	s_barrier
	s_and_saveexec_b64 s[4:5], vcc
	s_cbranch_execz .LBB85_80
; %bb.74:
	buffer_load_dword v81, off, s[20:23], 0 offset:192 ; 4-byte Folded Reload
	buffer_load_dword v82, off, s[20:23], 0 offset:196 ; 4-byte Folded Reload
	;; [unrolled: 1-line block ×4, first 2 shown]
	s_waitcnt vmcnt(0)
	ds_write2_b64 v127, v[81:82], v[83:84] offset1:1
	buffer_load_dword v81, off, s[20:23], 0 offset:176 ; 4-byte Folded Reload
	buffer_load_dword v82, off, s[20:23], 0 offset:180 ; 4-byte Folded Reload
	buffer_load_dword v83, off, s[20:23], 0 offset:184 ; 4-byte Folded Reload
	buffer_load_dword v84, off, s[20:23], 0 offset:188 ; 4-byte Folded Reload
	s_waitcnt vmcnt(0)
	ds_write2_b64 v125, v[81:82], v[83:84] offset0:18 offset1:19
	buffer_load_dword v81, off, s[20:23], 0 offset:160 ; 4-byte Folded Reload
	buffer_load_dword v82, off, s[20:23], 0 offset:164 ; 4-byte Folded Reload
	buffer_load_dword v83, off, s[20:23], 0 offset:168 ; 4-byte Folded Reload
	buffer_load_dword v84, off, s[20:23], 0 offset:172 ; 4-byte Folded Reload
	s_waitcnt vmcnt(0)
	ds_write2_b64 v125, v[81:82], v[83:84] offset0:20 offset1:21
	;; [unrolled: 6-line block ×8, first 2 shown]
	ds_write2_b64 v125, v[117:118], v[119:120] offset0:34 offset1:35
	ds_write2_b64 v125, v[113:114], v[115:116] offset0:36 offset1:37
	buffer_load_dword v81, off, s[20:23], 0 offset:48 ; 4-byte Folded Reload
	buffer_load_dword v82, off, s[20:23], 0 offset:52 ; 4-byte Folded Reload
	;; [unrolled: 1-line block ×4, first 2 shown]
	s_waitcnt vmcnt(0)
	ds_write2_b64 v125, v[81:82], v[83:84] offset0:38 offset1:39
	ds_write2_b64 v125, v[77:78], v[79:80] offset0:40 offset1:41
	;; [unrolled: 1-line block ×3, first 2 shown]
	buffer_load_dword v85, off, s[20:23], 0 offset:32 ; 4-byte Folded Reload
	buffer_load_dword v86, off, s[20:23], 0 offset:36 ; 4-byte Folded Reload
	;; [unrolled: 1-line block ×4, first 2 shown]
	s_waitcnt vmcnt(0)
	ds_write2_b64 v125, v[85:86], v[87:88] offset0:44 offset1:45
	buffer_load_dword v73, off, s[20:23], 0 offset:16 ; 4-byte Folded Reload
	buffer_load_dword v74, off, s[20:23], 0 offset:20 ; 4-byte Folded Reload
	;; [unrolled: 1-line block ×4, first 2 shown]
	s_waitcnt vmcnt(0)
	ds_write2_b64 v125, v[73:74], v[75:76] offset0:46 offset1:47
	buffer_load_dword v69, off, s[20:23], 0 ; 4-byte Folded Reload
	buffer_load_dword v70, off, s[20:23], 0 offset:4 ; 4-byte Folded Reload
	buffer_load_dword v71, off, s[20:23], 0 offset:8 ; 4-byte Folded Reload
	;; [unrolled: 1-line block ×3, first 2 shown]
	s_waitcnt vmcnt(0)
	ds_write2_b64 v125, v[69:70], v[71:72] offset0:48 offset1:49
	ds_write2_b64 v125, v[65:66], v[67:68] offset0:50 offset1:51
	;; [unrolled: 1-line block ×19, first 2 shown]
	ds_read2_b64 v[97:100], v127 offset1:1
	s_waitcnt lgkmcnt(0)
	v_cmp_neq_f64_e32 vcc, 0, v[97:98]
	v_cmp_neq_f64_e64 s[2:3], 0, v[99:100]
	s_or_b64 s[2:3], vcc, s[2:3]
	s_and_b64 exec, exec, s[2:3]
	s_cbranch_execz .LBB85_80
; %bb.75:
	v_cmp_ngt_f64_e64 s[2:3], |v[97:98]|, |v[99:100]|
                                        ; implicit-def: $vgpr101_vgpr102
	s_and_saveexec_b64 s[6:7], s[2:3]
	s_xor_b64 s[2:3], exec, s[6:7]
                                        ; implicit-def: $vgpr103_vgpr104
	s_cbranch_execz .LBB85_77
; %bb.76:
	v_div_scale_f64 v[101:102], s[6:7], v[99:100], v[99:100], v[97:98]
	v_rcp_f64_e32 v[103:104], v[101:102]
	v_fma_f64 v[105:106], -v[101:102], v[103:104], 1.0
	v_fma_f64 v[103:104], v[103:104], v[105:106], v[103:104]
	v_div_scale_f64 v[105:106], vcc, v[97:98], v[99:100], v[97:98]
	v_fma_f64 v[107:108], -v[101:102], v[103:104], 1.0
	v_fma_f64 v[103:104], v[103:104], v[107:108], v[103:104]
	v_mul_f64 v[107:108], v[105:106], v[103:104]
	v_fma_f64 v[101:102], -v[101:102], v[107:108], v[105:106]
	v_div_fmas_f64 v[101:102], v[101:102], v[103:104], v[107:108]
	v_div_fixup_f64 v[101:102], v[101:102], v[99:100], v[97:98]
	v_fma_f64 v[97:98], v[97:98], v[101:102], v[99:100]
	v_div_scale_f64 v[99:100], s[6:7], v[97:98], v[97:98], 1.0
	v_div_scale_f64 v[107:108], vcc, 1.0, v[97:98], 1.0
	v_rcp_f64_e32 v[103:104], v[99:100]
	v_fma_f64 v[105:106], -v[99:100], v[103:104], 1.0
	v_fma_f64 v[103:104], v[103:104], v[105:106], v[103:104]
	v_fma_f64 v[105:106], -v[99:100], v[103:104], 1.0
	v_fma_f64 v[103:104], v[103:104], v[105:106], v[103:104]
	v_mul_f64 v[105:106], v[107:108], v[103:104]
	v_fma_f64 v[99:100], -v[99:100], v[105:106], v[107:108]
	v_div_fmas_f64 v[99:100], v[99:100], v[103:104], v[105:106]
	v_div_fixup_f64 v[103:104], v[99:100], v[97:98], 1.0
                                        ; implicit-def: $vgpr97_vgpr98
	v_mul_f64 v[101:102], v[101:102], v[103:104]
	v_xor_b32_e32 v104, 0x80000000, v104
.LBB85_77:
	s_andn2_saveexec_b64 s[2:3], s[2:3]
	s_cbranch_execz .LBB85_79
; %bb.78:
	v_div_scale_f64 v[101:102], s[6:7], v[97:98], v[97:98], v[99:100]
	v_rcp_f64_e32 v[103:104], v[101:102]
	v_fma_f64 v[105:106], -v[101:102], v[103:104], 1.0
	v_fma_f64 v[103:104], v[103:104], v[105:106], v[103:104]
	v_div_scale_f64 v[105:106], vcc, v[99:100], v[97:98], v[99:100]
	v_fma_f64 v[107:108], -v[101:102], v[103:104], 1.0
	v_fma_f64 v[103:104], v[103:104], v[107:108], v[103:104]
	v_mul_f64 v[107:108], v[105:106], v[103:104]
	v_fma_f64 v[101:102], -v[101:102], v[107:108], v[105:106]
	v_div_fmas_f64 v[101:102], v[101:102], v[103:104], v[107:108]
	v_div_fixup_f64 v[103:104], v[101:102], v[97:98], v[99:100]
	v_fma_f64 v[97:98], v[99:100], v[103:104], v[97:98]
	v_div_scale_f64 v[99:100], s[6:7], v[97:98], v[97:98], 1.0
	v_div_scale_f64 v[107:108], vcc, 1.0, v[97:98], 1.0
	v_rcp_f64_e32 v[101:102], v[99:100]
	v_fma_f64 v[105:106], -v[99:100], v[101:102], 1.0
	v_fma_f64 v[101:102], v[101:102], v[105:106], v[101:102]
	v_fma_f64 v[105:106], -v[99:100], v[101:102], 1.0
	v_fma_f64 v[101:102], v[101:102], v[105:106], v[101:102]
	v_mul_f64 v[105:106], v[107:108], v[101:102]
	v_fma_f64 v[99:100], -v[99:100], v[105:106], v[107:108]
	v_div_fmas_f64 v[99:100], v[99:100], v[101:102], v[105:106]
	v_div_fixup_f64 v[101:102], v[99:100], v[97:98], 1.0
	v_mul_f64 v[103:104], v[103:104], -v[101:102]
.LBB85_79:
	s_or_b64 exec, exec, s[2:3]
	ds_write2_b64 v127, v[101:102], v[103:104] offset1:1
.LBB85_80:
	s_or_b64 exec, exec, s[4:5]
	s_waitcnt lgkmcnt(0)
	s_barrier
	ds_read2_b64 v[81:84], v127 offset1:1
	v_cmp_lt_u32_e32 vcc, 8, v0
	s_waitcnt lgkmcnt(0)
	buffer_store_dword v81, off, s[20:23], 0 offset:832 ; 4-byte Folded Spill
	s_nop 0
	buffer_store_dword v82, off, s[20:23], 0 offset:836 ; 4-byte Folded Spill
	buffer_store_dword v83, off, s[20:23], 0 offset:840 ; 4-byte Folded Spill
	;; [unrolled: 1-line block ×3, first 2 shown]
	s_and_saveexec_b64 s[2:3], vcc
	s_cbranch_execz .LBB85_82
; %bb.81:
	buffer_load_dword v87, off, s[20:23], 0 offset:192 ; 4-byte Folded Reload
	buffer_load_dword v88, off, s[20:23], 0 offset:196 ; 4-byte Folded Reload
	;; [unrolled: 1-line block ×8, first 2 shown]
	s_waitcnt vmcnt(2)
	v_mul_f64 v[99:100], v[81:82], v[89:90]
	s_waitcnt vmcnt(0)
	v_mul_f64 v[97:98], v[83:84], v[89:90]
	v_fma_f64 v[89:90], v[83:84], v[87:88], v[99:100]
	ds_read2_b64 v[99:102], v125 offset0:18 offset1:19
	v_fma_f64 v[97:98], v[81:82], v[87:88], -v[97:98]
	buffer_load_dword v81, off, s[20:23], 0 offset:176 ; 4-byte Folded Reload
	buffer_load_dword v82, off, s[20:23], 0 offset:180 ; 4-byte Folded Reload
	buffer_load_dword v83, off, s[20:23], 0 offset:184 ; 4-byte Folded Reload
	buffer_load_dword v84, off, s[20:23], 0 offset:188 ; 4-byte Folded Reload
	s_waitcnt lgkmcnt(0)
	v_mul_f64 v[103:104], v[101:102], v[89:90]
	v_fma_f64 v[103:104], v[99:100], v[97:98], -v[103:104]
	v_mul_f64 v[99:100], v[99:100], v[89:90]
	v_fma_f64 v[99:100], v[101:102], v[97:98], v[99:100]
	s_waitcnt vmcnt(2)
	v_add_f64 v[81:82], v[81:82], -v[103:104]
	s_waitcnt vmcnt(0)
	v_add_f64 v[83:84], v[83:84], -v[99:100]
	buffer_store_dword v81, off, s[20:23], 0 offset:176 ; 4-byte Folded Spill
	s_nop 0
	buffer_store_dword v82, off, s[20:23], 0 offset:180 ; 4-byte Folded Spill
	buffer_store_dword v83, off, s[20:23], 0 offset:184 ; 4-byte Folded Spill
	buffer_store_dword v84, off, s[20:23], 0 offset:188 ; 4-byte Folded Spill
	ds_read2_b64 v[99:102], v125 offset0:20 offset1:21
	buffer_load_dword v81, off, s[20:23], 0 offset:160 ; 4-byte Folded Reload
	buffer_load_dword v82, off, s[20:23], 0 offset:164 ; 4-byte Folded Reload
	buffer_load_dword v83, off, s[20:23], 0 offset:168 ; 4-byte Folded Reload
	buffer_load_dword v84, off, s[20:23], 0 offset:172 ; 4-byte Folded Reload
	s_waitcnt lgkmcnt(0)
	v_mul_f64 v[103:104], v[101:102], v[89:90]
	v_fma_f64 v[103:104], v[99:100], v[97:98], -v[103:104]
	v_mul_f64 v[99:100], v[99:100], v[89:90]
	v_fma_f64 v[99:100], v[101:102], v[97:98], v[99:100]
	s_waitcnt vmcnt(2)
	v_add_f64 v[81:82], v[81:82], -v[103:104]
	s_waitcnt vmcnt(0)
	v_add_f64 v[83:84], v[83:84], -v[99:100]
	buffer_store_dword v81, off, s[20:23], 0 offset:160 ; 4-byte Folded Spill
	s_nop 0
	buffer_store_dword v82, off, s[20:23], 0 offset:164 ; 4-byte Folded Spill
	buffer_store_dword v83, off, s[20:23], 0 offset:168 ; 4-byte Folded Spill
	buffer_store_dword v84, off, s[20:23], 0 offset:172 ; 4-byte Folded Spill
	ds_read2_b64 v[99:102], v125 offset0:22 offset1:23
	;; [unrolled: 19-line block ×8, first 2 shown]
	s_waitcnt lgkmcnt(0)
	v_mul_f64 v[103:104], v[101:102], v[89:90]
	v_fma_f64 v[103:104], v[99:100], v[97:98], -v[103:104]
	v_mul_f64 v[99:100], v[99:100], v[89:90]
	v_add_f64 v[117:118], v[117:118], -v[103:104]
	v_fma_f64 v[99:100], v[101:102], v[97:98], v[99:100]
	v_add_f64 v[119:120], v[119:120], -v[99:100]
	ds_read2_b64 v[99:102], v125 offset0:36 offset1:37
	s_waitcnt lgkmcnt(0)
	v_mul_f64 v[103:104], v[101:102], v[89:90]
	v_fma_f64 v[103:104], v[99:100], v[97:98], -v[103:104]
	v_mul_f64 v[99:100], v[99:100], v[89:90]
	v_add_f64 v[113:114], v[113:114], -v[103:104]
	v_fma_f64 v[99:100], v[101:102], v[97:98], v[99:100]
	v_add_f64 v[115:116], v[115:116], -v[99:100]
	ds_read2_b64 v[99:102], v125 offset0:38 offset1:39
	buffer_load_dword v81, off, s[20:23], 0 offset:48 ; 4-byte Folded Reload
	buffer_load_dword v82, off, s[20:23], 0 offset:52 ; 4-byte Folded Reload
	;; [unrolled: 1-line block ×4, first 2 shown]
	s_waitcnt lgkmcnt(0)
	v_mul_f64 v[103:104], v[101:102], v[89:90]
	v_fma_f64 v[103:104], v[99:100], v[97:98], -v[103:104]
	v_mul_f64 v[99:100], v[99:100], v[89:90]
	v_fma_f64 v[99:100], v[101:102], v[97:98], v[99:100]
	s_waitcnt vmcnt(2)
	v_add_f64 v[81:82], v[81:82], -v[103:104]
	s_waitcnt vmcnt(0)
	v_add_f64 v[83:84], v[83:84], -v[99:100]
	buffer_store_dword v81, off, s[20:23], 0 offset:48 ; 4-byte Folded Spill
	s_nop 0
	buffer_store_dword v82, off, s[20:23], 0 offset:52 ; 4-byte Folded Spill
	buffer_store_dword v83, off, s[20:23], 0 offset:56 ; 4-byte Folded Spill
	;; [unrolled: 1-line block ×3, first 2 shown]
	ds_read2_b64 v[99:102], v125 offset0:40 offset1:41
	s_waitcnt lgkmcnt(0)
	v_mul_f64 v[103:104], v[101:102], v[89:90]
	v_fma_f64 v[103:104], v[99:100], v[97:98], -v[103:104]
	v_mul_f64 v[99:100], v[99:100], v[89:90]
	v_add_f64 v[77:78], v[77:78], -v[103:104]
	v_fma_f64 v[99:100], v[101:102], v[97:98], v[99:100]
	v_add_f64 v[79:80], v[79:80], -v[99:100]
	ds_read2_b64 v[99:102], v125 offset0:42 offset1:43
	s_waitcnt lgkmcnt(0)
	v_mul_f64 v[103:104], v[101:102], v[89:90]
	v_fma_f64 v[103:104], v[99:100], v[97:98], -v[103:104]
	v_mul_f64 v[99:100], v[99:100], v[89:90]
	v_add_f64 v[93:94], v[93:94], -v[103:104]
	v_fma_f64 v[99:100], v[101:102], v[97:98], v[99:100]
	v_add_f64 v[95:96], v[95:96], -v[99:100]
	ds_read2_b64 v[99:102], v125 offset0:44 offset1:45
	buffer_load_dword v85, off, s[20:23], 0 offset:32 ; 4-byte Folded Reload
	buffer_load_dword v86, off, s[20:23], 0 offset:36 ; 4-byte Folded Reload
	;; [unrolled: 1-line block ×4, first 2 shown]
	s_waitcnt lgkmcnt(0)
	v_mul_f64 v[103:104], v[101:102], v[89:90]
	v_fma_f64 v[103:104], v[99:100], v[97:98], -v[103:104]
	v_mul_f64 v[99:100], v[99:100], v[89:90]
	v_fma_f64 v[99:100], v[101:102], v[97:98], v[99:100]
	s_waitcnt vmcnt(2)
	v_add_f64 v[85:86], v[85:86], -v[103:104]
	s_waitcnt vmcnt(0)
	v_add_f64 v[87:88], v[87:88], -v[99:100]
	buffer_store_dword v85, off, s[20:23], 0 offset:32 ; 4-byte Folded Spill
	s_nop 0
	buffer_store_dword v86, off, s[20:23], 0 offset:36 ; 4-byte Folded Spill
	buffer_store_dword v87, off, s[20:23], 0 offset:40 ; 4-byte Folded Spill
	;; [unrolled: 1-line block ×3, first 2 shown]
	ds_read2_b64 v[99:102], v125 offset0:46 offset1:47
	buffer_load_dword v73, off, s[20:23], 0 offset:16 ; 4-byte Folded Reload
	buffer_load_dword v74, off, s[20:23], 0 offset:20 ; 4-byte Folded Reload
	;; [unrolled: 1-line block ×4, first 2 shown]
	v_mov_b32_e32 v87, v97
	v_mov_b32_e32 v88, v98
	s_waitcnt lgkmcnt(0)
	v_mul_f64 v[103:104], v[101:102], v[89:90]
	v_fma_f64 v[103:104], v[99:100], v[97:98], -v[103:104]
	v_mul_f64 v[99:100], v[99:100], v[89:90]
	v_fma_f64 v[99:100], v[101:102], v[97:98], v[99:100]
	s_waitcnt vmcnt(2)
	v_add_f64 v[73:74], v[73:74], -v[103:104]
	s_waitcnt vmcnt(0)
	v_add_f64 v[75:76], v[75:76], -v[99:100]
	buffer_store_dword v73, off, s[20:23], 0 offset:16 ; 4-byte Folded Spill
	s_nop 0
	buffer_store_dword v74, off, s[20:23], 0 offset:20 ; 4-byte Folded Spill
	buffer_store_dword v75, off, s[20:23], 0 offset:24 ; 4-byte Folded Spill
	;; [unrolled: 1-line block ×3, first 2 shown]
	ds_read2_b64 v[99:102], v125 offset0:48 offset1:49
	buffer_load_dword v69, off, s[20:23], 0 ; 4-byte Folded Reload
	buffer_load_dword v70, off, s[20:23], 0 offset:4 ; 4-byte Folded Reload
	buffer_load_dword v71, off, s[20:23], 0 offset:8 ; 4-byte Folded Reload
	;; [unrolled: 1-line block ×3, first 2 shown]
	s_waitcnt lgkmcnt(0)
	v_mul_f64 v[103:104], v[101:102], v[89:90]
	v_fma_f64 v[103:104], v[99:100], v[97:98], -v[103:104]
	v_mul_f64 v[99:100], v[99:100], v[89:90]
	v_fma_f64 v[99:100], v[101:102], v[97:98], v[99:100]
	s_waitcnt vmcnt(2)
	v_add_f64 v[69:70], v[69:70], -v[103:104]
	s_waitcnt vmcnt(0)
	v_add_f64 v[71:72], v[71:72], -v[99:100]
	buffer_store_dword v69, off, s[20:23], 0 ; 4-byte Folded Spill
	s_nop 0
	buffer_store_dword v70, off, s[20:23], 0 offset:4 ; 4-byte Folded Spill
	buffer_store_dword v71, off, s[20:23], 0 offset:8 ; 4-byte Folded Spill
	;; [unrolled: 1-line block ×3, first 2 shown]
	ds_read2_b64 v[99:102], v125 offset0:50 offset1:51
	s_waitcnt lgkmcnt(0)
	v_mul_f64 v[103:104], v[101:102], v[89:90]
	v_fma_f64 v[103:104], v[99:100], v[97:98], -v[103:104]
	v_mul_f64 v[99:100], v[99:100], v[89:90]
	v_add_f64 v[65:66], v[65:66], -v[103:104]
	v_fma_f64 v[99:100], v[101:102], v[97:98], v[99:100]
	v_add_f64 v[67:68], v[67:68], -v[99:100]
	ds_read2_b64 v[99:102], v125 offset0:52 offset1:53
	s_waitcnt lgkmcnt(0)
	v_mul_f64 v[103:104], v[101:102], v[89:90]
	v_fma_f64 v[103:104], v[99:100], v[97:98], -v[103:104]
	v_mul_f64 v[99:100], v[99:100], v[89:90]
	v_add_f64 v[61:62], v[61:62], -v[103:104]
	v_fma_f64 v[99:100], v[101:102], v[97:98], v[99:100]
	v_add_f64 v[63:64], v[63:64], -v[99:100]
	;; [unrolled: 8-line block ×17, first 2 shown]
	ds_read2_b64 v[99:102], v125 offset0:84 offset1:85
	s_waitcnt lgkmcnt(0)
	v_mul_f64 v[103:104], v[101:102], v[89:90]
	v_fma_f64 v[103:104], v[99:100], v[97:98], -v[103:104]
	v_mul_f64 v[99:100], v[99:100], v[89:90]
	buffer_store_dword v87, off, s[20:23], 0 offset:192 ; 4-byte Folded Spill
	s_nop 0
	buffer_store_dword v88, off, s[20:23], 0 offset:196 ; 4-byte Folded Spill
	buffer_store_dword v89, off, s[20:23], 0 offset:200 ; 4-byte Folded Spill
	;; [unrolled: 1-line block ×3, first 2 shown]
	v_add_f64 v[121:122], v[121:122], -v[103:104]
	v_fma_f64 v[99:100], v[101:102], v[97:98], v[99:100]
	v_add_f64 v[123:124], v[123:124], -v[99:100]
.LBB85_82:
	s_or_b64 exec, exec, s[2:3]
	v_cmp_eq_u32_e32 vcc, 9, v0
	s_waitcnt vmcnt(0)
	s_barrier
	s_and_saveexec_b64 s[4:5], vcc
	s_cbranch_execz .LBB85_89
; %bb.83:
	buffer_load_dword v81, off, s[20:23], 0 offset:176 ; 4-byte Folded Reload
	buffer_load_dword v82, off, s[20:23], 0 offset:180 ; 4-byte Folded Reload
	;; [unrolled: 1-line block ×4, first 2 shown]
	s_waitcnt vmcnt(0)
	ds_write2_b64 v127, v[81:82], v[83:84] offset1:1
	buffer_load_dword v81, off, s[20:23], 0 offset:160 ; 4-byte Folded Reload
	buffer_load_dword v82, off, s[20:23], 0 offset:164 ; 4-byte Folded Reload
	buffer_load_dword v83, off, s[20:23], 0 offset:168 ; 4-byte Folded Reload
	buffer_load_dword v84, off, s[20:23], 0 offset:172 ; 4-byte Folded Reload
	s_waitcnt vmcnt(0)
	ds_write2_b64 v125, v[81:82], v[83:84] offset0:20 offset1:21
	buffer_load_dword v81, off, s[20:23], 0 offset:144 ; 4-byte Folded Reload
	buffer_load_dword v82, off, s[20:23], 0 offset:148 ; 4-byte Folded Reload
	buffer_load_dword v83, off, s[20:23], 0 offset:152 ; 4-byte Folded Reload
	buffer_load_dword v84, off, s[20:23], 0 offset:156 ; 4-byte Folded Reload
	s_waitcnt vmcnt(0)
	ds_write2_b64 v125, v[81:82], v[83:84] offset0:22 offset1:23
	;; [unrolled: 6-line block ×7, first 2 shown]
	ds_write2_b64 v125, v[117:118], v[119:120] offset0:34 offset1:35
	ds_write2_b64 v125, v[113:114], v[115:116] offset0:36 offset1:37
	buffer_load_dword v81, off, s[20:23], 0 offset:48 ; 4-byte Folded Reload
	buffer_load_dword v82, off, s[20:23], 0 offset:52 ; 4-byte Folded Reload
	;; [unrolled: 1-line block ×4, first 2 shown]
	s_waitcnt vmcnt(0)
	ds_write2_b64 v125, v[81:82], v[83:84] offset0:38 offset1:39
	ds_write2_b64 v125, v[77:78], v[79:80] offset0:40 offset1:41
	;; [unrolled: 1-line block ×3, first 2 shown]
	buffer_load_dword v85, off, s[20:23], 0 offset:32 ; 4-byte Folded Reload
	buffer_load_dword v86, off, s[20:23], 0 offset:36 ; 4-byte Folded Reload
	;; [unrolled: 1-line block ×4, first 2 shown]
	s_waitcnt vmcnt(0)
	ds_write2_b64 v125, v[85:86], v[87:88] offset0:44 offset1:45
	buffer_load_dword v73, off, s[20:23], 0 offset:16 ; 4-byte Folded Reload
	buffer_load_dword v74, off, s[20:23], 0 offset:20 ; 4-byte Folded Reload
	;; [unrolled: 1-line block ×4, first 2 shown]
	s_waitcnt vmcnt(0)
	ds_write2_b64 v125, v[73:74], v[75:76] offset0:46 offset1:47
	buffer_load_dword v69, off, s[20:23], 0 ; 4-byte Folded Reload
	buffer_load_dword v70, off, s[20:23], 0 offset:4 ; 4-byte Folded Reload
	buffer_load_dword v71, off, s[20:23], 0 offset:8 ; 4-byte Folded Reload
	;; [unrolled: 1-line block ×3, first 2 shown]
	s_waitcnt vmcnt(0)
	ds_write2_b64 v125, v[69:70], v[71:72] offset0:48 offset1:49
	ds_write2_b64 v125, v[65:66], v[67:68] offset0:50 offset1:51
	;; [unrolled: 1-line block ×19, first 2 shown]
	ds_read2_b64 v[97:100], v127 offset1:1
	s_waitcnt lgkmcnt(0)
	v_cmp_neq_f64_e32 vcc, 0, v[97:98]
	v_cmp_neq_f64_e64 s[2:3], 0, v[99:100]
	s_or_b64 s[2:3], vcc, s[2:3]
	s_and_b64 exec, exec, s[2:3]
	s_cbranch_execz .LBB85_89
; %bb.84:
	v_cmp_ngt_f64_e64 s[2:3], |v[97:98]|, |v[99:100]|
                                        ; implicit-def: $vgpr101_vgpr102
	s_and_saveexec_b64 s[6:7], s[2:3]
	s_xor_b64 s[2:3], exec, s[6:7]
                                        ; implicit-def: $vgpr103_vgpr104
	s_cbranch_execz .LBB85_86
; %bb.85:
	v_div_scale_f64 v[101:102], s[6:7], v[99:100], v[99:100], v[97:98]
	v_rcp_f64_e32 v[103:104], v[101:102]
	v_fma_f64 v[105:106], -v[101:102], v[103:104], 1.0
	v_fma_f64 v[103:104], v[103:104], v[105:106], v[103:104]
	v_div_scale_f64 v[105:106], vcc, v[97:98], v[99:100], v[97:98]
	v_fma_f64 v[107:108], -v[101:102], v[103:104], 1.0
	v_fma_f64 v[103:104], v[103:104], v[107:108], v[103:104]
	v_mul_f64 v[107:108], v[105:106], v[103:104]
	v_fma_f64 v[101:102], -v[101:102], v[107:108], v[105:106]
	v_div_fmas_f64 v[101:102], v[101:102], v[103:104], v[107:108]
	v_div_fixup_f64 v[101:102], v[101:102], v[99:100], v[97:98]
	v_fma_f64 v[97:98], v[97:98], v[101:102], v[99:100]
	v_div_scale_f64 v[99:100], s[6:7], v[97:98], v[97:98], 1.0
	v_div_scale_f64 v[107:108], vcc, 1.0, v[97:98], 1.0
	v_rcp_f64_e32 v[103:104], v[99:100]
	v_fma_f64 v[105:106], -v[99:100], v[103:104], 1.0
	v_fma_f64 v[103:104], v[103:104], v[105:106], v[103:104]
	v_fma_f64 v[105:106], -v[99:100], v[103:104], 1.0
	v_fma_f64 v[103:104], v[103:104], v[105:106], v[103:104]
	v_mul_f64 v[105:106], v[107:108], v[103:104]
	v_fma_f64 v[99:100], -v[99:100], v[105:106], v[107:108]
	v_div_fmas_f64 v[99:100], v[99:100], v[103:104], v[105:106]
	v_div_fixup_f64 v[103:104], v[99:100], v[97:98], 1.0
                                        ; implicit-def: $vgpr97_vgpr98
	v_mul_f64 v[101:102], v[101:102], v[103:104]
	v_xor_b32_e32 v104, 0x80000000, v104
.LBB85_86:
	s_andn2_saveexec_b64 s[2:3], s[2:3]
	s_cbranch_execz .LBB85_88
; %bb.87:
	v_div_scale_f64 v[101:102], s[6:7], v[97:98], v[97:98], v[99:100]
	v_rcp_f64_e32 v[103:104], v[101:102]
	v_fma_f64 v[105:106], -v[101:102], v[103:104], 1.0
	v_fma_f64 v[103:104], v[103:104], v[105:106], v[103:104]
	v_div_scale_f64 v[105:106], vcc, v[99:100], v[97:98], v[99:100]
	v_fma_f64 v[107:108], -v[101:102], v[103:104], 1.0
	v_fma_f64 v[103:104], v[103:104], v[107:108], v[103:104]
	v_mul_f64 v[107:108], v[105:106], v[103:104]
	v_fma_f64 v[101:102], -v[101:102], v[107:108], v[105:106]
	v_div_fmas_f64 v[101:102], v[101:102], v[103:104], v[107:108]
	v_div_fixup_f64 v[103:104], v[101:102], v[97:98], v[99:100]
	v_fma_f64 v[97:98], v[99:100], v[103:104], v[97:98]
	v_div_scale_f64 v[99:100], s[6:7], v[97:98], v[97:98], 1.0
	v_div_scale_f64 v[107:108], vcc, 1.0, v[97:98], 1.0
	v_rcp_f64_e32 v[101:102], v[99:100]
	v_fma_f64 v[105:106], -v[99:100], v[101:102], 1.0
	v_fma_f64 v[101:102], v[101:102], v[105:106], v[101:102]
	v_fma_f64 v[105:106], -v[99:100], v[101:102], 1.0
	v_fma_f64 v[101:102], v[101:102], v[105:106], v[101:102]
	v_mul_f64 v[105:106], v[107:108], v[101:102]
	v_fma_f64 v[99:100], -v[99:100], v[105:106], v[107:108]
	v_div_fmas_f64 v[99:100], v[99:100], v[101:102], v[105:106]
	v_div_fixup_f64 v[101:102], v[99:100], v[97:98], 1.0
	v_mul_f64 v[103:104], v[103:104], -v[101:102]
.LBB85_88:
	s_or_b64 exec, exec, s[2:3]
	ds_write2_b64 v127, v[101:102], v[103:104] offset1:1
.LBB85_89:
	s_or_b64 exec, exec, s[4:5]
	s_waitcnt lgkmcnt(0)
	s_barrier
	ds_read2_b64 v[81:84], v127 offset1:1
	v_cmp_lt_u32_e32 vcc, 9, v0
	s_waitcnt lgkmcnt(0)
	buffer_store_dword v81, off, s[20:23], 0 offset:848 ; 4-byte Folded Spill
	s_nop 0
	buffer_store_dword v82, off, s[20:23], 0 offset:852 ; 4-byte Folded Spill
	buffer_store_dword v83, off, s[20:23], 0 offset:856 ; 4-byte Folded Spill
	;; [unrolled: 1-line block ×3, first 2 shown]
	s_and_saveexec_b64 s[2:3], vcc
	s_cbranch_execz .LBB85_91
; %bb.90:
	buffer_load_dword v87, off, s[20:23], 0 offset:176 ; 4-byte Folded Reload
	buffer_load_dword v88, off, s[20:23], 0 offset:180 ; 4-byte Folded Reload
	;; [unrolled: 1-line block ×8, first 2 shown]
	s_waitcnt vmcnt(2)
	v_mul_f64 v[99:100], v[81:82], v[89:90]
	s_waitcnt vmcnt(0)
	v_mul_f64 v[97:98], v[83:84], v[89:90]
	v_fma_f64 v[89:90], v[83:84], v[87:88], v[99:100]
	ds_read2_b64 v[99:102], v125 offset0:20 offset1:21
	v_fma_f64 v[97:98], v[81:82], v[87:88], -v[97:98]
	buffer_load_dword v81, off, s[20:23], 0 offset:160 ; 4-byte Folded Reload
	buffer_load_dword v82, off, s[20:23], 0 offset:164 ; 4-byte Folded Reload
	buffer_load_dword v83, off, s[20:23], 0 offset:168 ; 4-byte Folded Reload
	buffer_load_dword v84, off, s[20:23], 0 offset:172 ; 4-byte Folded Reload
	s_waitcnt lgkmcnt(0)
	v_mul_f64 v[103:104], v[101:102], v[89:90]
	v_fma_f64 v[103:104], v[99:100], v[97:98], -v[103:104]
	v_mul_f64 v[99:100], v[99:100], v[89:90]
	v_fma_f64 v[99:100], v[101:102], v[97:98], v[99:100]
	s_waitcnt vmcnt(2)
	v_add_f64 v[81:82], v[81:82], -v[103:104]
	s_waitcnt vmcnt(0)
	v_add_f64 v[83:84], v[83:84], -v[99:100]
	buffer_store_dword v81, off, s[20:23], 0 offset:160 ; 4-byte Folded Spill
	s_nop 0
	buffer_store_dword v82, off, s[20:23], 0 offset:164 ; 4-byte Folded Spill
	buffer_store_dword v83, off, s[20:23], 0 offset:168 ; 4-byte Folded Spill
	buffer_store_dword v84, off, s[20:23], 0 offset:172 ; 4-byte Folded Spill
	ds_read2_b64 v[99:102], v125 offset0:22 offset1:23
	buffer_load_dword v81, off, s[20:23], 0 offset:144 ; 4-byte Folded Reload
	buffer_load_dword v82, off, s[20:23], 0 offset:148 ; 4-byte Folded Reload
	buffer_load_dword v83, off, s[20:23], 0 offset:152 ; 4-byte Folded Reload
	buffer_load_dword v84, off, s[20:23], 0 offset:156 ; 4-byte Folded Reload
	s_waitcnt lgkmcnt(0)
	v_mul_f64 v[103:104], v[101:102], v[89:90]
	v_fma_f64 v[103:104], v[99:100], v[97:98], -v[103:104]
	v_mul_f64 v[99:100], v[99:100], v[89:90]
	v_fma_f64 v[99:100], v[101:102], v[97:98], v[99:100]
	s_waitcnt vmcnt(2)
	v_add_f64 v[81:82], v[81:82], -v[103:104]
	s_waitcnt vmcnt(0)
	v_add_f64 v[83:84], v[83:84], -v[99:100]
	buffer_store_dword v81, off, s[20:23], 0 offset:144 ; 4-byte Folded Spill
	s_nop 0
	buffer_store_dword v82, off, s[20:23], 0 offset:148 ; 4-byte Folded Spill
	buffer_store_dword v83, off, s[20:23], 0 offset:152 ; 4-byte Folded Spill
	buffer_store_dword v84, off, s[20:23], 0 offset:156 ; 4-byte Folded Spill
	ds_read2_b64 v[99:102], v125 offset0:24 offset1:25
	;; [unrolled: 19-line block ×7, first 2 shown]
	s_waitcnt lgkmcnt(0)
	v_mul_f64 v[103:104], v[101:102], v[89:90]
	v_fma_f64 v[103:104], v[99:100], v[97:98], -v[103:104]
	v_mul_f64 v[99:100], v[99:100], v[89:90]
	v_add_f64 v[117:118], v[117:118], -v[103:104]
	v_fma_f64 v[99:100], v[101:102], v[97:98], v[99:100]
	v_add_f64 v[119:120], v[119:120], -v[99:100]
	ds_read2_b64 v[99:102], v125 offset0:36 offset1:37
	s_waitcnt lgkmcnt(0)
	v_mul_f64 v[103:104], v[101:102], v[89:90]
	v_fma_f64 v[103:104], v[99:100], v[97:98], -v[103:104]
	v_mul_f64 v[99:100], v[99:100], v[89:90]
	v_add_f64 v[113:114], v[113:114], -v[103:104]
	v_fma_f64 v[99:100], v[101:102], v[97:98], v[99:100]
	v_add_f64 v[115:116], v[115:116], -v[99:100]
	ds_read2_b64 v[99:102], v125 offset0:38 offset1:39
	buffer_load_dword v81, off, s[20:23], 0 offset:48 ; 4-byte Folded Reload
	buffer_load_dword v82, off, s[20:23], 0 offset:52 ; 4-byte Folded Reload
	;; [unrolled: 1-line block ×4, first 2 shown]
	s_waitcnt lgkmcnt(0)
	v_mul_f64 v[103:104], v[101:102], v[89:90]
	v_fma_f64 v[103:104], v[99:100], v[97:98], -v[103:104]
	v_mul_f64 v[99:100], v[99:100], v[89:90]
	v_fma_f64 v[99:100], v[101:102], v[97:98], v[99:100]
	s_waitcnt vmcnt(2)
	v_add_f64 v[81:82], v[81:82], -v[103:104]
	s_waitcnt vmcnt(0)
	v_add_f64 v[83:84], v[83:84], -v[99:100]
	buffer_store_dword v81, off, s[20:23], 0 offset:48 ; 4-byte Folded Spill
	s_nop 0
	buffer_store_dword v82, off, s[20:23], 0 offset:52 ; 4-byte Folded Spill
	buffer_store_dword v83, off, s[20:23], 0 offset:56 ; 4-byte Folded Spill
	;; [unrolled: 1-line block ×3, first 2 shown]
	ds_read2_b64 v[99:102], v125 offset0:40 offset1:41
	s_waitcnt lgkmcnt(0)
	v_mul_f64 v[103:104], v[101:102], v[89:90]
	v_fma_f64 v[103:104], v[99:100], v[97:98], -v[103:104]
	v_mul_f64 v[99:100], v[99:100], v[89:90]
	v_add_f64 v[77:78], v[77:78], -v[103:104]
	v_fma_f64 v[99:100], v[101:102], v[97:98], v[99:100]
	v_add_f64 v[79:80], v[79:80], -v[99:100]
	ds_read2_b64 v[99:102], v125 offset0:42 offset1:43
	s_waitcnt lgkmcnt(0)
	v_mul_f64 v[103:104], v[101:102], v[89:90]
	v_fma_f64 v[103:104], v[99:100], v[97:98], -v[103:104]
	v_mul_f64 v[99:100], v[99:100], v[89:90]
	v_add_f64 v[93:94], v[93:94], -v[103:104]
	v_fma_f64 v[99:100], v[101:102], v[97:98], v[99:100]
	v_add_f64 v[95:96], v[95:96], -v[99:100]
	ds_read2_b64 v[99:102], v125 offset0:44 offset1:45
	buffer_load_dword v85, off, s[20:23], 0 offset:32 ; 4-byte Folded Reload
	buffer_load_dword v86, off, s[20:23], 0 offset:36 ; 4-byte Folded Reload
	;; [unrolled: 1-line block ×4, first 2 shown]
	s_waitcnt lgkmcnt(0)
	v_mul_f64 v[103:104], v[101:102], v[89:90]
	v_fma_f64 v[103:104], v[99:100], v[97:98], -v[103:104]
	v_mul_f64 v[99:100], v[99:100], v[89:90]
	v_fma_f64 v[99:100], v[101:102], v[97:98], v[99:100]
	s_waitcnt vmcnt(2)
	v_add_f64 v[85:86], v[85:86], -v[103:104]
	s_waitcnt vmcnt(0)
	v_add_f64 v[87:88], v[87:88], -v[99:100]
	buffer_store_dword v85, off, s[20:23], 0 offset:32 ; 4-byte Folded Spill
	s_nop 0
	buffer_store_dword v86, off, s[20:23], 0 offset:36 ; 4-byte Folded Spill
	buffer_store_dword v87, off, s[20:23], 0 offset:40 ; 4-byte Folded Spill
	;; [unrolled: 1-line block ×3, first 2 shown]
	ds_read2_b64 v[99:102], v125 offset0:46 offset1:47
	buffer_load_dword v73, off, s[20:23], 0 offset:16 ; 4-byte Folded Reload
	buffer_load_dword v74, off, s[20:23], 0 offset:20 ; 4-byte Folded Reload
	;; [unrolled: 1-line block ×4, first 2 shown]
	v_mov_b32_e32 v87, v97
	v_mov_b32_e32 v88, v98
	s_waitcnt lgkmcnt(0)
	v_mul_f64 v[103:104], v[101:102], v[89:90]
	v_fma_f64 v[103:104], v[99:100], v[97:98], -v[103:104]
	v_mul_f64 v[99:100], v[99:100], v[89:90]
	v_fma_f64 v[99:100], v[101:102], v[97:98], v[99:100]
	s_waitcnt vmcnt(2)
	v_add_f64 v[73:74], v[73:74], -v[103:104]
	s_waitcnt vmcnt(0)
	v_add_f64 v[75:76], v[75:76], -v[99:100]
	buffer_store_dword v73, off, s[20:23], 0 offset:16 ; 4-byte Folded Spill
	s_nop 0
	buffer_store_dword v74, off, s[20:23], 0 offset:20 ; 4-byte Folded Spill
	buffer_store_dword v75, off, s[20:23], 0 offset:24 ; 4-byte Folded Spill
	;; [unrolled: 1-line block ×3, first 2 shown]
	ds_read2_b64 v[99:102], v125 offset0:48 offset1:49
	buffer_load_dword v69, off, s[20:23], 0 ; 4-byte Folded Reload
	buffer_load_dword v70, off, s[20:23], 0 offset:4 ; 4-byte Folded Reload
	buffer_load_dword v71, off, s[20:23], 0 offset:8 ; 4-byte Folded Reload
	;; [unrolled: 1-line block ×3, first 2 shown]
	s_waitcnt lgkmcnt(0)
	v_mul_f64 v[103:104], v[101:102], v[89:90]
	v_fma_f64 v[103:104], v[99:100], v[97:98], -v[103:104]
	v_mul_f64 v[99:100], v[99:100], v[89:90]
	v_fma_f64 v[99:100], v[101:102], v[97:98], v[99:100]
	s_waitcnt vmcnt(2)
	v_add_f64 v[69:70], v[69:70], -v[103:104]
	s_waitcnt vmcnt(0)
	v_add_f64 v[71:72], v[71:72], -v[99:100]
	buffer_store_dword v69, off, s[20:23], 0 ; 4-byte Folded Spill
	s_nop 0
	buffer_store_dword v70, off, s[20:23], 0 offset:4 ; 4-byte Folded Spill
	buffer_store_dword v71, off, s[20:23], 0 offset:8 ; 4-byte Folded Spill
	;; [unrolled: 1-line block ×3, first 2 shown]
	ds_read2_b64 v[99:102], v125 offset0:50 offset1:51
	s_waitcnt lgkmcnt(0)
	v_mul_f64 v[103:104], v[101:102], v[89:90]
	v_fma_f64 v[103:104], v[99:100], v[97:98], -v[103:104]
	v_mul_f64 v[99:100], v[99:100], v[89:90]
	v_add_f64 v[65:66], v[65:66], -v[103:104]
	v_fma_f64 v[99:100], v[101:102], v[97:98], v[99:100]
	v_add_f64 v[67:68], v[67:68], -v[99:100]
	ds_read2_b64 v[99:102], v125 offset0:52 offset1:53
	s_waitcnt lgkmcnt(0)
	v_mul_f64 v[103:104], v[101:102], v[89:90]
	v_fma_f64 v[103:104], v[99:100], v[97:98], -v[103:104]
	v_mul_f64 v[99:100], v[99:100], v[89:90]
	v_add_f64 v[61:62], v[61:62], -v[103:104]
	v_fma_f64 v[99:100], v[101:102], v[97:98], v[99:100]
	v_add_f64 v[63:64], v[63:64], -v[99:100]
	;; [unrolled: 8-line block ×17, first 2 shown]
	ds_read2_b64 v[99:102], v125 offset0:84 offset1:85
	s_waitcnt lgkmcnt(0)
	v_mul_f64 v[103:104], v[101:102], v[89:90]
	v_fma_f64 v[103:104], v[99:100], v[97:98], -v[103:104]
	v_mul_f64 v[99:100], v[99:100], v[89:90]
	buffer_store_dword v87, off, s[20:23], 0 offset:176 ; 4-byte Folded Spill
	s_nop 0
	buffer_store_dword v88, off, s[20:23], 0 offset:180 ; 4-byte Folded Spill
	buffer_store_dword v89, off, s[20:23], 0 offset:184 ; 4-byte Folded Spill
	;; [unrolled: 1-line block ×3, first 2 shown]
	v_add_f64 v[121:122], v[121:122], -v[103:104]
	v_fma_f64 v[99:100], v[101:102], v[97:98], v[99:100]
	v_add_f64 v[123:124], v[123:124], -v[99:100]
.LBB85_91:
	s_or_b64 exec, exec, s[2:3]
	v_cmp_eq_u32_e32 vcc, 10, v0
	s_waitcnt vmcnt(0)
	s_barrier
	s_and_saveexec_b64 s[4:5], vcc
	s_cbranch_execz .LBB85_98
; %bb.92:
	buffer_load_dword v81, off, s[20:23], 0 offset:160 ; 4-byte Folded Reload
	buffer_load_dword v82, off, s[20:23], 0 offset:164 ; 4-byte Folded Reload
	;; [unrolled: 1-line block ×4, first 2 shown]
	s_waitcnt vmcnt(0)
	ds_write2_b64 v127, v[81:82], v[83:84] offset1:1
	buffer_load_dword v81, off, s[20:23], 0 offset:144 ; 4-byte Folded Reload
	buffer_load_dword v82, off, s[20:23], 0 offset:148 ; 4-byte Folded Reload
	buffer_load_dword v83, off, s[20:23], 0 offset:152 ; 4-byte Folded Reload
	buffer_load_dword v84, off, s[20:23], 0 offset:156 ; 4-byte Folded Reload
	s_waitcnt vmcnt(0)
	ds_write2_b64 v125, v[81:82], v[83:84] offset0:22 offset1:23
	buffer_load_dword v81, off, s[20:23], 0 offset:128 ; 4-byte Folded Reload
	buffer_load_dword v82, off, s[20:23], 0 offset:132 ; 4-byte Folded Reload
	buffer_load_dword v83, off, s[20:23], 0 offset:136 ; 4-byte Folded Reload
	buffer_load_dword v84, off, s[20:23], 0 offset:140 ; 4-byte Folded Reload
	s_waitcnt vmcnt(0)
	ds_write2_b64 v125, v[81:82], v[83:84] offset0:24 offset1:25
	;; [unrolled: 6-line block ×6, first 2 shown]
	ds_write2_b64 v125, v[117:118], v[119:120] offset0:34 offset1:35
	ds_write2_b64 v125, v[113:114], v[115:116] offset0:36 offset1:37
	buffer_load_dword v81, off, s[20:23], 0 offset:48 ; 4-byte Folded Reload
	buffer_load_dword v82, off, s[20:23], 0 offset:52 ; 4-byte Folded Reload
	;; [unrolled: 1-line block ×4, first 2 shown]
	s_waitcnt vmcnt(0)
	ds_write2_b64 v125, v[81:82], v[83:84] offset0:38 offset1:39
	ds_write2_b64 v125, v[77:78], v[79:80] offset0:40 offset1:41
	;; [unrolled: 1-line block ×3, first 2 shown]
	buffer_load_dword v85, off, s[20:23], 0 offset:32 ; 4-byte Folded Reload
	buffer_load_dword v86, off, s[20:23], 0 offset:36 ; 4-byte Folded Reload
	;; [unrolled: 1-line block ×4, first 2 shown]
	s_waitcnt vmcnt(0)
	ds_write2_b64 v125, v[85:86], v[87:88] offset0:44 offset1:45
	buffer_load_dword v73, off, s[20:23], 0 offset:16 ; 4-byte Folded Reload
	buffer_load_dword v74, off, s[20:23], 0 offset:20 ; 4-byte Folded Reload
	;; [unrolled: 1-line block ×4, first 2 shown]
	s_waitcnt vmcnt(0)
	ds_write2_b64 v125, v[73:74], v[75:76] offset0:46 offset1:47
	buffer_load_dword v69, off, s[20:23], 0 ; 4-byte Folded Reload
	buffer_load_dword v70, off, s[20:23], 0 offset:4 ; 4-byte Folded Reload
	buffer_load_dword v71, off, s[20:23], 0 offset:8 ; 4-byte Folded Reload
	;; [unrolled: 1-line block ×3, first 2 shown]
	s_waitcnt vmcnt(0)
	ds_write2_b64 v125, v[69:70], v[71:72] offset0:48 offset1:49
	ds_write2_b64 v125, v[65:66], v[67:68] offset0:50 offset1:51
	;; [unrolled: 1-line block ×19, first 2 shown]
	ds_read2_b64 v[97:100], v127 offset1:1
	s_waitcnt lgkmcnt(0)
	v_cmp_neq_f64_e32 vcc, 0, v[97:98]
	v_cmp_neq_f64_e64 s[2:3], 0, v[99:100]
	s_or_b64 s[2:3], vcc, s[2:3]
	s_and_b64 exec, exec, s[2:3]
	s_cbranch_execz .LBB85_98
; %bb.93:
	v_cmp_ngt_f64_e64 s[2:3], |v[97:98]|, |v[99:100]|
                                        ; implicit-def: $vgpr101_vgpr102
	s_and_saveexec_b64 s[6:7], s[2:3]
	s_xor_b64 s[2:3], exec, s[6:7]
                                        ; implicit-def: $vgpr103_vgpr104
	s_cbranch_execz .LBB85_95
; %bb.94:
	v_div_scale_f64 v[101:102], s[6:7], v[99:100], v[99:100], v[97:98]
	v_rcp_f64_e32 v[103:104], v[101:102]
	v_fma_f64 v[105:106], -v[101:102], v[103:104], 1.0
	v_fma_f64 v[103:104], v[103:104], v[105:106], v[103:104]
	v_div_scale_f64 v[105:106], vcc, v[97:98], v[99:100], v[97:98]
	v_fma_f64 v[107:108], -v[101:102], v[103:104], 1.0
	v_fma_f64 v[103:104], v[103:104], v[107:108], v[103:104]
	v_mul_f64 v[107:108], v[105:106], v[103:104]
	v_fma_f64 v[101:102], -v[101:102], v[107:108], v[105:106]
	v_div_fmas_f64 v[101:102], v[101:102], v[103:104], v[107:108]
	v_div_fixup_f64 v[101:102], v[101:102], v[99:100], v[97:98]
	v_fma_f64 v[97:98], v[97:98], v[101:102], v[99:100]
	v_div_scale_f64 v[99:100], s[6:7], v[97:98], v[97:98], 1.0
	v_div_scale_f64 v[107:108], vcc, 1.0, v[97:98], 1.0
	v_rcp_f64_e32 v[103:104], v[99:100]
	v_fma_f64 v[105:106], -v[99:100], v[103:104], 1.0
	v_fma_f64 v[103:104], v[103:104], v[105:106], v[103:104]
	v_fma_f64 v[105:106], -v[99:100], v[103:104], 1.0
	v_fma_f64 v[103:104], v[103:104], v[105:106], v[103:104]
	v_mul_f64 v[105:106], v[107:108], v[103:104]
	v_fma_f64 v[99:100], -v[99:100], v[105:106], v[107:108]
	v_div_fmas_f64 v[99:100], v[99:100], v[103:104], v[105:106]
	v_div_fixup_f64 v[103:104], v[99:100], v[97:98], 1.0
                                        ; implicit-def: $vgpr97_vgpr98
	v_mul_f64 v[101:102], v[101:102], v[103:104]
	v_xor_b32_e32 v104, 0x80000000, v104
.LBB85_95:
	s_andn2_saveexec_b64 s[2:3], s[2:3]
	s_cbranch_execz .LBB85_97
; %bb.96:
	v_div_scale_f64 v[101:102], s[6:7], v[97:98], v[97:98], v[99:100]
	v_rcp_f64_e32 v[103:104], v[101:102]
	v_fma_f64 v[105:106], -v[101:102], v[103:104], 1.0
	v_fma_f64 v[103:104], v[103:104], v[105:106], v[103:104]
	v_div_scale_f64 v[105:106], vcc, v[99:100], v[97:98], v[99:100]
	v_fma_f64 v[107:108], -v[101:102], v[103:104], 1.0
	v_fma_f64 v[103:104], v[103:104], v[107:108], v[103:104]
	v_mul_f64 v[107:108], v[105:106], v[103:104]
	v_fma_f64 v[101:102], -v[101:102], v[107:108], v[105:106]
	v_div_fmas_f64 v[101:102], v[101:102], v[103:104], v[107:108]
	v_div_fixup_f64 v[103:104], v[101:102], v[97:98], v[99:100]
	v_fma_f64 v[97:98], v[99:100], v[103:104], v[97:98]
	v_div_scale_f64 v[99:100], s[6:7], v[97:98], v[97:98], 1.0
	v_div_scale_f64 v[107:108], vcc, 1.0, v[97:98], 1.0
	v_rcp_f64_e32 v[101:102], v[99:100]
	v_fma_f64 v[105:106], -v[99:100], v[101:102], 1.0
	v_fma_f64 v[101:102], v[101:102], v[105:106], v[101:102]
	v_fma_f64 v[105:106], -v[99:100], v[101:102], 1.0
	v_fma_f64 v[101:102], v[101:102], v[105:106], v[101:102]
	v_mul_f64 v[105:106], v[107:108], v[101:102]
	v_fma_f64 v[99:100], -v[99:100], v[105:106], v[107:108]
	v_div_fmas_f64 v[99:100], v[99:100], v[101:102], v[105:106]
	v_div_fixup_f64 v[101:102], v[99:100], v[97:98], 1.0
	v_mul_f64 v[103:104], v[103:104], -v[101:102]
.LBB85_97:
	s_or_b64 exec, exec, s[2:3]
	ds_write2_b64 v127, v[101:102], v[103:104] offset1:1
.LBB85_98:
	s_or_b64 exec, exec, s[4:5]
	s_waitcnt lgkmcnt(0)
	s_barrier
	ds_read2_b64 v[81:84], v127 offset1:1
	v_cmp_lt_u32_e32 vcc, 10, v0
	s_waitcnt lgkmcnt(0)
	buffer_store_dword v81, off, s[20:23], 0 offset:864 ; 4-byte Folded Spill
	s_nop 0
	buffer_store_dword v82, off, s[20:23], 0 offset:868 ; 4-byte Folded Spill
	buffer_store_dword v83, off, s[20:23], 0 offset:872 ; 4-byte Folded Spill
	;; [unrolled: 1-line block ×3, first 2 shown]
	s_and_saveexec_b64 s[2:3], vcc
	s_cbranch_execz .LBB85_100
; %bb.99:
	buffer_load_dword v87, off, s[20:23], 0 offset:160 ; 4-byte Folded Reload
	buffer_load_dword v88, off, s[20:23], 0 offset:164 ; 4-byte Folded Reload
	;; [unrolled: 1-line block ×8, first 2 shown]
	s_waitcnt vmcnt(2)
	v_mul_f64 v[99:100], v[81:82], v[89:90]
	s_waitcnt vmcnt(0)
	v_mul_f64 v[97:98], v[83:84], v[89:90]
	v_fma_f64 v[89:90], v[83:84], v[87:88], v[99:100]
	ds_read2_b64 v[99:102], v125 offset0:22 offset1:23
	v_fma_f64 v[97:98], v[81:82], v[87:88], -v[97:98]
	buffer_load_dword v81, off, s[20:23], 0 offset:144 ; 4-byte Folded Reload
	buffer_load_dword v82, off, s[20:23], 0 offset:148 ; 4-byte Folded Reload
	buffer_load_dword v83, off, s[20:23], 0 offset:152 ; 4-byte Folded Reload
	buffer_load_dword v84, off, s[20:23], 0 offset:156 ; 4-byte Folded Reload
	s_waitcnt lgkmcnt(0)
	v_mul_f64 v[103:104], v[101:102], v[89:90]
	v_fma_f64 v[103:104], v[99:100], v[97:98], -v[103:104]
	v_mul_f64 v[99:100], v[99:100], v[89:90]
	v_fma_f64 v[99:100], v[101:102], v[97:98], v[99:100]
	s_waitcnt vmcnt(2)
	v_add_f64 v[81:82], v[81:82], -v[103:104]
	s_waitcnt vmcnt(0)
	v_add_f64 v[83:84], v[83:84], -v[99:100]
	buffer_store_dword v81, off, s[20:23], 0 offset:144 ; 4-byte Folded Spill
	s_nop 0
	buffer_store_dword v82, off, s[20:23], 0 offset:148 ; 4-byte Folded Spill
	buffer_store_dword v83, off, s[20:23], 0 offset:152 ; 4-byte Folded Spill
	buffer_store_dword v84, off, s[20:23], 0 offset:156 ; 4-byte Folded Spill
	ds_read2_b64 v[99:102], v125 offset0:24 offset1:25
	buffer_load_dword v81, off, s[20:23], 0 offset:128 ; 4-byte Folded Reload
	buffer_load_dword v82, off, s[20:23], 0 offset:132 ; 4-byte Folded Reload
	buffer_load_dword v83, off, s[20:23], 0 offset:136 ; 4-byte Folded Reload
	buffer_load_dword v84, off, s[20:23], 0 offset:140 ; 4-byte Folded Reload
	s_waitcnt lgkmcnt(0)
	v_mul_f64 v[103:104], v[101:102], v[89:90]
	v_fma_f64 v[103:104], v[99:100], v[97:98], -v[103:104]
	v_mul_f64 v[99:100], v[99:100], v[89:90]
	v_fma_f64 v[99:100], v[101:102], v[97:98], v[99:100]
	s_waitcnt vmcnt(2)
	v_add_f64 v[81:82], v[81:82], -v[103:104]
	s_waitcnt vmcnt(0)
	v_add_f64 v[83:84], v[83:84], -v[99:100]
	buffer_store_dword v81, off, s[20:23], 0 offset:128 ; 4-byte Folded Spill
	s_nop 0
	buffer_store_dword v82, off, s[20:23], 0 offset:132 ; 4-byte Folded Spill
	buffer_store_dword v83, off, s[20:23], 0 offset:136 ; 4-byte Folded Spill
	buffer_store_dword v84, off, s[20:23], 0 offset:140 ; 4-byte Folded Spill
	ds_read2_b64 v[99:102], v125 offset0:26 offset1:27
	;; [unrolled: 19-line block ×6, first 2 shown]
	s_waitcnt lgkmcnt(0)
	v_mul_f64 v[103:104], v[101:102], v[89:90]
	v_fma_f64 v[103:104], v[99:100], v[97:98], -v[103:104]
	v_mul_f64 v[99:100], v[99:100], v[89:90]
	v_add_f64 v[117:118], v[117:118], -v[103:104]
	v_fma_f64 v[99:100], v[101:102], v[97:98], v[99:100]
	v_add_f64 v[119:120], v[119:120], -v[99:100]
	ds_read2_b64 v[99:102], v125 offset0:36 offset1:37
	s_waitcnt lgkmcnt(0)
	v_mul_f64 v[103:104], v[101:102], v[89:90]
	v_fma_f64 v[103:104], v[99:100], v[97:98], -v[103:104]
	v_mul_f64 v[99:100], v[99:100], v[89:90]
	v_add_f64 v[113:114], v[113:114], -v[103:104]
	v_fma_f64 v[99:100], v[101:102], v[97:98], v[99:100]
	v_add_f64 v[115:116], v[115:116], -v[99:100]
	ds_read2_b64 v[99:102], v125 offset0:38 offset1:39
	buffer_load_dword v81, off, s[20:23], 0 offset:48 ; 4-byte Folded Reload
	buffer_load_dword v82, off, s[20:23], 0 offset:52 ; 4-byte Folded Reload
	;; [unrolled: 1-line block ×4, first 2 shown]
	s_waitcnt lgkmcnt(0)
	v_mul_f64 v[103:104], v[101:102], v[89:90]
	v_fma_f64 v[103:104], v[99:100], v[97:98], -v[103:104]
	v_mul_f64 v[99:100], v[99:100], v[89:90]
	v_fma_f64 v[99:100], v[101:102], v[97:98], v[99:100]
	s_waitcnt vmcnt(2)
	v_add_f64 v[81:82], v[81:82], -v[103:104]
	s_waitcnt vmcnt(0)
	v_add_f64 v[83:84], v[83:84], -v[99:100]
	buffer_store_dword v81, off, s[20:23], 0 offset:48 ; 4-byte Folded Spill
	s_nop 0
	buffer_store_dword v82, off, s[20:23], 0 offset:52 ; 4-byte Folded Spill
	buffer_store_dword v83, off, s[20:23], 0 offset:56 ; 4-byte Folded Spill
	;; [unrolled: 1-line block ×3, first 2 shown]
	ds_read2_b64 v[99:102], v125 offset0:40 offset1:41
	s_waitcnt lgkmcnt(0)
	v_mul_f64 v[103:104], v[101:102], v[89:90]
	v_fma_f64 v[103:104], v[99:100], v[97:98], -v[103:104]
	v_mul_f64 v[99:100], v[99:100], v[89:90]
	v_add_f64 v[77:78], v[77:78], -v[103:104]
	v_fma_f64 v[99:100], v[101:102], v[97:98], v[99:100]
	v_add_f64 v[79:80], v[79:80], -v[99:100]
	ds_read2_b64 v[99:102], v125 offset0:42 offset1:43
	s_waitcnt lgkmcnt(0)
	v_mul_f64 v[103:104], v[101:102], v[89:90]
	v_fma_f64 v[103:104], v[99:100], v[97:98], -v[103:104]
	v_mul_f64 v[99:100], v[99:100], v[89:90]
	v_add_f64 v[93:94], v[93:94], -v[103:104]
	v_fma_f64 v[99:100], v[101:102], v[97:98], v[99:100]
	v_add_f64 v[95:96], v[95:96], -v[99:100]
	ds_read2_b64 v[99:102], v125 offset0:44 offset1:45
	buffer_load_dword v85, off, s[20:23], 0 offset:32 ; 4-byte Folded Reload
	buffer_load_dword v86, off, s[20:23], 0 offset:36 ; 4-byte Folded Reload
	;; [unrolled: 1-line block ×4, first 2 shown]
	s_waitcnt lgkmcnt(0)
	v_mul_f64 v[103:104], v[101:102], v[89:90]
	v_fma_f64 v[103:104], v[99:100], v[97:98], -v[103:104]
	v_mul_f64 v[99:100], v[99:100], v[89:90]
	v_fma_f64 v[99:100], v[101:102], v[97:98], v[99:100]
	s_waitcnt vmcnt(2)
	v_add_f64 v[85:86], v[85:86], -v[103:104]
	s_waitcnt vmcnt(0)
	v_add_f64 v[87:88], v[87:88], -v[99:100]
	buffer_store_dword v85, off, s[20:23], 0 offset:32 ; 4-byte Folded Spill
	s_nop 0
	buffer_store_dword v86, off, s[20:23], 0 offset:36 ; 4-byte Folded Spill
	buffer_store_dword v87, off, s[20:23], 0 offset:40 ; 4-byte Folded Spill
	;; [unrolled: 1-line block ×3, first 2 shown]
	ds_read2_b64 v[99:102], v125 offset0:46 offset1:47
	buffer_load_dword v73, off, s[20:23], 0 offset:16 ; 4-byte Folded Reload
	buffer_load_dword v74, off, s[20:23], 0 offset:20 ; 4-byte Folded Reload
	buffer_load_dword v75, off, s[20:23], 0 offset:24 ; 4-byte Folded Reload
	buffer_load_dword v76, off, s[20:23], 0 offset:28 ; 4-byte Folded Reload
	v_mov_b32_e32 v87, v97
	v_mov_b32_e32 v88, v98
	s_waitcnt lgkmcnt(0)
	v_mul_f64 v[103:104], v[101:102], v[89:90]
	v_fma_f64 v[103:104], v[99:100], v[97:98], -v[103:104]
	v_mul_f64 v[99:100], v[99:100], v[89:90]
	v_fma_f64 v[99:100], v[101:102], v[97:98], v[99:100]
	s_waitcnt vmcnt(2)
	v_add_f64 v[73:74], v[73:74], -v[103:104]
	s_waitcnt vmcnt(0)
	v_add_f64 v[75:76], v[75:76], -v[99:100]
	buffer_store_dword v73, off, s[20:23], 0 offset:16 ; 4-byte Folded Spill
	s_nop 0
	buffer_store_dword v74, off, s[20:23], 0 offset:20 ; 4-byte Folded Spill
	buffer_store_dword v75, off, s[20:23], 0 offset:24 ; 4-byte Folded Spill
	;; [unrolled: 1-line block ×3, first 2 shown]
	ds_read2_b64 v[99:102], v125 offset0:48 offset1:49
	buffer_load_dword v69, off, s[20:23], 0 ; 4-byte Folded Reload
	buffer_load_dword v70, off, s[20:23], 0 offset:4 ; 4-byte Folded Reload
	buffer_load_dword v71, off, s[20:23], 0 offset:8 ; 4-byte Folded Reload
	;; [unrolled: 1-line block ×3, first 2 shown]
	s_waitcnt lgkmcnt(0)
	v_mul_f64 v[103:104], v[101:102], v[89:90]
	v_fma_f64 v[103:104], v[99:100], v[97:98], -v[103:104]
	v_mul_f64 v[99:100], v[99:100], v[89:90]
	v_fma_f64 v[99:100], v[101:102], v[97:98], v[99:100]
	s_waitcnt vmcnt(2)
	v_add_f64 v[69:70], v[69:70], -v[103:104]
	s_waitcnt vmcnt(0)
	v_add_f64 v[71:72], v[71:72], -v[99:100]
	buffer_store_dword v69, off, s[20:23], 0 ; 4-byte Folded Spill
	s_nop 0
	buffer_store_dword v70, off, s[20:23], 0 offset:4 ; 4-byte Folded Spill
	buffer_store_dword v71, off, s[20:23], 0 offset:8 ; 4-byte Folded Spill
	;; [unrolled: 1-line block ×3, first 2 shown]
	ds_read2_b64 v[99:102], v125 offset0:50 offset1:51
	s_waitcnt lgkmcnt(0)
	v_mul_f64 v[103:104], v[101:102], v[89:90]
	v_fma_f64 v[103:104], v[99:100], v[97:98], -v[103:104]
	v_mul_f64 v[99:100], v[99:100], v[89:90]
	v_add_f64 v[65:66], v[65:66], -v[103:104]
	v_fma_f64 v[99:100], v[101:102], v[97:98], v[99:100]
	v_add_f64 v[67:68], v[67:68], -v[99:100]
	ds_read2_b64 v[99:102], v125 offset0:52 offset1:53
	s_waitcnt lgkmcnt(0)
	v_mul_f64 v[103:104], v[101:102], v[89:90]
	v_fma_f64 v[103:104], v[99:100], v[97:98], -v[103:104]
	v_mul_f64 v[99:100], v[99:100], v[89:90]
	v_add_f64 v[61:62], v[61:62], -v[103:104]
	v_fma_f64 v[99:100], v[101:102], v[97:98], v[99:100]
	v_add_f64 v[63:64], v[63:64], -v[99:100]
	;; [unrolled: 8-line block ×17, first 2 shown]
	ds_read2_b64 v[99:102], v125 offset0:84 offset1:85
	s_waitcnt lgkmcnt(0)
	v_mul_f64 v[103:104], v[101:102], v[89:90]
	v_fma_f64 v[103:104], v[99:100], v[97:98], -v[103:104]
	v_mul_f64 v[99:100], v[99:100], v[89:90]
	buffer_store_dword v87, off, s[20:23], 0 offset:160 ; 4-byte Folded Spill
	s_nop 0
	buffer_store_dword v88, off, s[20:23], 0 offset:164 ; 4-byte Folded Spill
	buffer_store_dword v89, off, s[20:23], 0 offset:168 ; 4-byte Folded Spill
	;; [unrolled: 1-line block ×3, first 2 shown]
	v_add_f64 v[121:122], v[121:122], -v[103:104]
	v_fma_f64 v[99:100], v[101:102], v[97:98], v[99:100]
	v_add_f64 v[123:124], v[123:124], -v[99:100]
.LBB85_100:
	s_or_b64 exec, exec, s[2:3]
	v_cmp_eq_u32_e32 vcc, 11, v0
	s_waitcnt vmcnt(0)
	s_barrier
	s_and_saveexec_b64 s[4:5], vcc
	s_cbranch_execz .LBB85_107
; %bb.101:
	buffer_load_dword v81, off, s[20:23], 0 offset:144 ; 4-byte Folded Reload
	buffer_load_dword v82, off, s[20:23], 0 offset:148 ; 4-byte Folded Reload
	;; [unrolled: 1-line block ×4, first 2 shown]
	s_waitcnt vmcnt(0)
	ds_write2_b64 v127, v[81:82], v[83:84] offset1:1
	buffer_load_dword v81, off, s[20:23], 0 offset:128 ; 4-byte Folded Reload
	buffer_load_dword v82, off, s[20:23], 0 offset:132 ; 4-byte Folded Reload
	buffer_load_dword v83, off, s[20:23], 0 offset:136 ; 4-byte Folded Reload
	buffer_load_dword v84, off, s[20:23], 0 offset:140 ; 4-byte Folded Reload
	s_waitcnt vmcnt(0)
	ds_write2_b64 v125, v[81:82], v[83:84] offset0:24 offset1:25
	buffer_load_dword v81, off, s[20:23], 0 offset:112 ; 4-byte Folded Reload
	buffer_load_dword v82, off, s[20:23], 0 offset:116 ; 4-byte Folded Reload
	buffer_load_dword v83, off, s[20:23], 0 offset:120 ; 4-byte Folded Reload
	buffer_load_dword v84, off, s[20:23], 0 offset:124 ; 4-byte Folded Reload
	s_waitcnt vmcnt(0)
	ds_write2_b64 v125, v[81:82], v[83:84] offset0:26 offset1:27
	;; [unrolled: 6-line block ×5, first 2 shown]
	ds_write2_b64 v125, v[117:118], v[119:120] offset0:34 offset1:35
	ds_write2_b64 v125, v[113:114], v[115:116] offset0:36 offset1:37
	buffer_load_dword v81, off, s[20:23], 0 offset:48 ; 4-byte Folded Reload
	buffer_load_dword v82, off, s[20:23], 0 offset:52 ; 4-byte Folded Reload
	;; [unrolled: 1-line block ×4, first 2 shown]
	s_waitcnt vmcnt(0)
	ds_write2_b64 v125, v[81:82], v[83:84] offset0:38 offset1:39
	ds_write2_b64 v125, v[77:78], v[79:80] offset0:40 offset1:41
	;; [unrolled: 1-line block ×3, first 2 shown]
	buffer_load_dword v85, off, s[20:23], 0 offset:32 ; 4-byte Folded Reload
	buffer_load_dword v86, off, s[20:23], 0 offset:36 ; 4-byte Folded Reload
	;; [unrolled: 1-line block ×4, first 2 shown]
	s_waitcnt vmcnt(0)
	ds_write2_b64 v125, v[85:86], v[87:88] offset0:44 offset1:45
	buffer_load_dword v73, off, s[20:23], 0 offset:16 ; 4-byte Folded Reload
	buffer_load_dword v74, off, s[20:23], 0 offset:20 ; 4-byte Folded Reload
	;; [unrolled: 1-line block ×4, first 2 shown]
	s_waitcnt vmcnt(0)
	ds_write2_b64 v125, v[73:74], v[75:76] offset0:46 offset1:47
	buffer_load_dword v69, off, s[20:23], 0 ; 4-byte Folded Reload
	buffer_load_dword v70, off, s[20:23], 0 offset:4 ; 4-byte Folded Reload
	buffer_load_dword v71, off, s[20:23], 0 offset:8 ; 4-byte Folded Reload
	;; [unrolled: 1-line block ×3, first 2 shown]
	s_waitcnt vmcnt(0)
	ds_write2_b64 v125, v[69:70], v[71:72] offset0:48 offset1:49
	ds_write2_b64 v125, v[65:66], v[67:68] offset0:50 offset1:51
	ds_write2_b64 v125, v[61:62], v[63:64] offset0:52 offset1:53
	ds_write2_b64 v125, v[57:58], v[59:60] offset0:54 offset1:55
	ds_write2_b64 v125, v[53:54], v[55:56] offset0:56 offset1:57
	ds_write2_b64 v125, v[49:50], v[51:52] offset0:58 offset1:59
	ds_write2_b64 v125, v[45:46], v[47:48] offset0:60 offset1:61
	ds_write2_b64 v125, v[41:42], v[43:44] offset0:62 offset1:63
	ds_write2_b64 v125, v[37:38], v[39:40] offset0:64 offset1:65
	ds_write2_b64 v125, v[33:34], v[35:36] offset0:66 offset1:67
	ds_write2_b64 v125, v[29:30], v[31:32] offset0:68 offset1:69
	ds_write2_b64 v125, v[25:26], v[27:28] offset0:70 offset1:71
	ds_write2_b64 v125, v[21:22], v[23:24] offset0:72 offset1:73
	ds_write2_b64 v125, v[17:18], v[19:20] offset0:74 offset1:75
	ds_write2_b64 v125, v[13:14], v[15:16] offset0:76 offset1:77
	ds_write2_b64 v125, v[9:10], v[11:12] offset0:78 offset1:79
	ds_write2_b64 v125, v[5:6], v[7:8] offset0:80 offset1:81
	ds_write2_b64 v125, v[1:2], v[3:4] offset0:82 offset1:83
	ds_write2_b64 v125, v[121:122], v[123:124] offset0:84 offset1:85
	ds_read2_b64 v[97:100], v127 offset1:1
	s_waitcnt lgkmcnt(0)
	v_cmp_neq_f64_e32 vcc, 0, v[97:98]
	v_cmp_neq_f64_e64 s[2:3], 0, v[99:100]
	s_or_b64 s[2:3], vcc, s[2:3]
	s_and_b64 exec, exec, s[2:3]
	s_cbranch_execz .LBB85_107
; %bb.102:
	v_cmp_ngt_f64_e64 s[2:3], |v[97:98]|, |v[99:100]|
                                        ; implicit-def: $vgpr101_vgpr102
	s_and_saveexec_b64 s[6:7], s[2:3]
	s_xor_b64 s[2:3], exec, s[6:7]
                                        ; implicit-def: $vgpr103_vgpr104
	s_cbranch_execz .LBB85_104
; %bb.103:
	v_div_scale_f64 v[101:102], s[6:7], v[99:100], v[99:100], v[97:98]
	v_rcp_f64_e32 v[103:104], v[101:102]
	v_fma_f64 v[105:106], -v[101:102], v[103:104], 1.0
	v_fma_f64 v[103:104], v[103:104], v[105:106], v[103:104]
	v_div_scale_f64 v[105:106], vcc, v[97:98], v[99:100], v[97:98]
	v_fma_f64 v[107:108], -v[101:102], v[103:104], 1.0
	v_fma_f64 v[103:104], v[103:104], v[107:108], v[103:104]
	v_mul_f64 v[107:108], v[105:106], v[103:104]
	v_fma_f64 v[101:102], -v[101:102], v[107:108], v[105:106]
	v_div_fmas_f64 v[101:102], v[101:102], v[103:104], v[107:108]
	v_div_fixup_f64 v[101:102], v[101:102], v[99:100], v[97:98]
	v_fma_f64 v[97:98], v[97:98], v[101:102], v[99:100]
	v_div_scale_f64 v[99:100], s[6:7], v[97:98], v[97:98], 1.0
	v_div_scale_f64 v[107:108], vcc, 1.0, v[97:98], 1.0
	v_rcp_f64_e32 v[103:104], v[99:100]
	v_fma_f64 v[105:106], -v[99:100], v[103:104], 1.0
	v_fma_f64 v[103:104], v[103:104], v[105:106], v[103:104]
	v_fma_f64 v[105:106], -v[99:100], v[103:104], 1.0
	v_fma_f64 v[103:104], v[103:104], v[105:106], v[103:104]
	v_mul_f64 v[105:106], v[107:108], v[103:104]
	v_fma_f64 v[99:100], -v[99:100], v[105:106], v[107:108]
	v_div_fmas_f64 v[99:100], v[99:100], v[103:104], v[105:106]
	v_div_fixup_f64 v[103:104], v[99:100], v[97:98], 1.0
                                        ; implicit-def: $vgpr97_vgpr98
	v_mul_f64 v[101:102], v[101:102], v[103:104]
	v_xor_b32_e32 v104, 0x80000000, v104
.LBB85_104:
	s_andn2_saveexec_b64 s[2:3], s[2:3]
	s_cbranch_execz .LBB85_106
; %bb.105:
	v_div_scale_f64 v[101:102], s[6:7], v[97:98], v[97:98], v[99:100]
	v_rcp_f64_e32 v[103:104], v[101:102]
	v_fma_f64 v[105:106], -v[101:102], v[103:104], 1.0
	v_fma_f64 v[103:104], v[103:104], v[105:106], v[103:104]
	v_div_scale_f64 v[105:106], vcc, v[99:100], v[97:98], v[99:100]
	v_fma_f64 v[107:108], -v[101:102], v[103:104], 1.0
	v_fma_f64 v[103:104], v[103:104], v[107:108], v[103:104]
	v_mul_f64 v[107:108], v[105:106], v[103:104]
	v_fma_f64 v[101:102], -v[101:102], v[107:108], v[105:106]
	v_div_fmas_f64 v[101:102], v[101:102], v[103:104], v[107:108]
	v_div_fixup_f64 v[103:104], v[101:102], v[97:98], v[99:100]
	v_fma_f64 v[97:98], v[99:100], v[103:104], v[97:98]
	v_div_scale_f64 v[99:100], s[6:7], v[97:98], v[97:98], 1.0
	v_div_scale_f64 v[107:108], vcc, 1.0, v[97:98], 1.0
	v_rcp_f64_e32 v[101:102], v[99:100]
	v_fma_f64 v[105:106], -v[99:100], v[101:102], 1.0
	v_fma_f64 v[101:102], v[101:102], v[105:106], v[101:102]
	v_fma_f64 v[105:106], -v[99:100], v[101:102], 1.0
	v_fma_f64 v[101:102], v[101:102], v[105:106], v[101:102]
	v_mul_f64 v[105:106], v[107:108], v[101:102]
	v_fma_f64 v[99:100], -v[99:100], v[105:106], v[107:108]
	v_div_fmas_f64 v[99:100], v[99:100], v[101:102], v[105:106]
	v_div_fixup_f64 v[101:102], v[99:100], v[97:98], 1.0
	v_mul_f64 v[103:104], v[103:104], -v[101:102]
.LBB85_106:
	s_or_b64 exec, exec, s[2:3]
	ds_write2_b64 v127, v[101:102], v[103:104] offset1:1
.LBB85_107:
	s_or_b64 exec, exec, s[4:5]
	s_waitcnt lgkmcnt(0)
	s_barrier
	ds_read2_b64 v[81:84], v127 offset1:1
	v_cmp_lt_u32_e32 vcc, 11, v0
	s_waitcnt lgkmcnt(0)
	buffer_store_dword v81, off, s[20:23], 0 offset:880 ; 4-byte Folded Spill
	s_nop 0
	buffer_store_dword v82, off, s[20:23], 0 offset:884 ; 4-byte Folded Spill
	buffer_store_dword v83, off, s[20:23], 0 offset:888 ; 4-byte Folded Spill
	;; [unrolled: 1-line block ×3, first 2 shown]
	s_and_saveexec_b64 s[2:3], vcc
	s_cbranch_execz .LBB85_109
; %bb.108:
	buffer_load_dword v87, off, s[20:23], 0 offset:144 ; 4-byte Folded Reload
	buffer_load_dword v88, off, s[20:23], 0 offset:148 ; 4-byte Folded Reload
	;; [unrolled: 1-line block ×8, first 2 shown]
	s_waitcnt vmcnt(2)
	v_mul_f64 v[99:100], v[81:82], v[89:90]
	s_waitcnt vmcnt(0)
	v_mul_f64 v[97:98], v[83:84], v[89:90]
	v_fma_f64 v[89:90], v[83:84], v[87:88], v[99:100]
	ds_read2_b64 v[99:102], v125 offset0:24 offset1:25
	v_fma_f64 v[97:98], v[81:82], v[87:88], -v[97:98]
	buffer_load_dword v81, off, s[20:23], 0 offset:128 ; 4-byte Folded Reload
	buffer_load_dword v82, off, s[20:23], 0 offset:132 ; 4-byte Folded Reload
	buffer_load_dword v83, off, s[20:23], 0 offset:136 ; 4-byte Folded Reload
	buffer_load_dword v84, off, s[20:23], 0 offset:140 ; 4-byte Folded Reload
	s_waitcnt lgkmcnt(0)
	v_mul_f64 v[103:104], v[101:102], v[89:90]
	v_fma_f64 v[103:104], v[99:100], v[97:98], -v[103:104]
	v_mul_f64 v[99:100], v[99:100], v[89:90]
	v_fma_f64 v[99:100], v[101:102], v[97:98], v[99:100]
	s_waitcnt vmcnt(2)
	v_add_f64 v[81:82], v[81:82], -v[103:104]
	s_waitcnt vmcnt(0)
	v_add_f64 v[83:84], v[83:84], -v[99:100]
	buffer_store_dword v81, off, s[20:23], 0 offset:128 ; 4-byte Folded Spill
	s_nop 0
	buffer_store_dword v82, off, s[20:23], 0 offset:132 ; 4-byte Folded Spill
	buffer_store_dword v83, off, s[20:23], 0 offset:136 ; 4-byte Folded Spill
	buffer_store_dword v84, off, s[20:23], 0 offset:140 ; 4-byte Folded Spill
	ds_read2_b64 v[99:102], v125 offset0:26 offset1:27
	buffer_load_dword v81, off, s[20:23], 0 offset:112 ; 4-byte Folded Reload
	buffer_load_dword v82, off, s[20:23], 0 offset:116 ; 4-byte Folded Reload
	buffer_load_dword v83, off, s[20:23], 0 offset:120 ; 4-byte Folded Reload
	buffer_load_dword v84, off, s[20:23], 0 offset:124 ; 4-byte Folded Reload
	s_waitcnt lgkmcnt(0)
	v_mul_f64 v[103:104], v[101:102], v[89:90]
	v_fma_f64 v[103:104], v[99:100], v[97:98], -v[103:104]
	v_mul_f64 v[99:100], v[99:100], v[89:90]
	v_fma_f64 v[99:100], v[101:102], v[97:98], v[99:100]
	s_waitcnt vmcnt(2)
	v_add_f64 v[81:82], v[81:82], -v[103:104]
	s_waitcnt vmcnt(0)
	v_add_f64 v[83:84], v[83:84], -v[99:100]
	buffer_store_dword v81, off, s[20:23], 0 offset:112 ; 4-byte Folded Spill
	s_nop 0
	buffer_store_dword v82, off, s[20:23], 0 offset:116 ; 4-byte Folded Spill
	buffer_store_dword v83, off, s[20:23], 0 offset:120 ; 4-byte Folded Spill
	buffer_store_dword v84, off, s[20:23], 0 offset:124 ; 4-byte Folded Spill
	ds_read2_b64 v[99:102], v125 offset0:28 offset1:29
	;; [unrolled: 19-line block ×5, first 2 shown]
	s_waitcnt lgkmcnt(0)
	v_mul_f64 v[103:104], v[101:102], v[89:90]
	v_fma_f64 v[103:104], v[99:100], v[97:98], -v[103:104]
	v_mul_f64 v[99:100], v[99:100], v[89:90]
	v_add_f64 v[117:118], v[117:118], -v[103:104]
	v_fma_f64 v[99:100], v[101:102], v[97:98], v[99:100]
	v_add_f64 v[119:120], v[119:120], -v[99:100]
	ds_read2_b64 v[99:102], v125 offset0:36 offset1:37
	s_waitcnt lgkmcnt(0)
	v_mul_f64 v[103:104], v[101:102], v[89:90]
	v_fma_f64 v[103:104], v[99:100], v[97:98], -v[103:104]
	v_mul_f64 v[99:100], v[99:100], v[89:90]
	v_add_f64 v[113:114], v[113:114], -v[103:104]
	v_fma_f64 v[99:100], v[101:102], v[97:98], v[99:100]
	v_add_f64 v[115:116], v[115:116], -v[99:100]
	ds_read2_b64 v[99:102], v125 offset0:38 offset1:39
	buffer_load_dword v81, off, s[20:23], 0 offset:48 ; 4-byte Folded Reload
	buffer_load_dword v82, off, s[20:23], 0 offset:52 ; 4-byte Folded Reload
	;; [unrolled: 1-line block ×4, first 2 shown]
	s_waitcnt lgkmcnt(0)
	v_mul_f64 v[103:104], v[101:102], v[89:90]
	v_fma_f64 v[103:104], v[99:100], v[97:98], -v[103:104]
	v_mul_f64 v[99:100], v[99:100], v[89:90]
	v_fma_f64 v[99:100], v[101:102], v[97:98], v[99:100]
	s_waitcnt vmcnt(2)
	v_add_f64 v[81:82], v[81:82], -v[103:104]
	s_waitcnt vmcnt(0)
	v_add_f64 v[83:84], v[83:84], -v[99:100]
	buffer_store_dword v81, off, s[20:23], 0 offset:48 ; 4-byte Folded Spill
	s_nop 0
	buffer_store_dword v82, off, s[20:23], 0 offset:52 ; 4-byte Folded Spill
	buffer_store_dword v83, off, s[20:23], 0 offset:56 ; 4-byte Folded Spill
	buffer_store_dword v84, off, s[20:23], 0 offset:60 ; 4-byte Folded Spill
	ds_read2_b64 v[99:102], v125 offset0:40 offset1:41
	s_waitcnt lgkmcnt(0)
	v_mul_f64 v[103:104], v[101:102], v[89:90]
	v_fma_f64 v[103:104], v[99:100], v[97:98], -v[103:104]
	v_mul_f64 v[99:100], v[99:100], v[89:90]
	v_add_f64 v[77:78], v[77:78], -v[103:104]
	v_fma_f64 v[99:100], v[101:102], v[97:98], v[99:100]
	v_add_f64 v[79:80], v[79:80], -v[99:100]
	ds_read2_b64 v[99:102], v125 offset0:42 offset1:43
	s_waitcnt lgkmcnt(0)
	v_mul_f64 v[103:104], v[101:102], v[89:90]
	v_fma_f64 v[103:104], v[99:100], v[97:98], -v[103:104]
	v_mul_f64 v[99:100], v[99:100], v[89:90]
	v_add_f64 v[93:94], v[93:94], -v[103:104]
	v_fma_f64 v[99:100], v[101:102], v[97:98], v[99:100]
	v_add_f64 v[95:96], v[95:96], -v[99:100]
	ds_read2_b64 v[99:102], v125 offset0:44 offset1:45
	buffer_load_dword v85, off, s[20:23], 0 offset:32 ; 4-byte Folded Reload
	buffer_load_dword v86, off, s[20:23], 0 offset:36 ; 4-byte Folded Reload
	;; [unrolled: 1-line block ×4, first 2 shown]
	s_waitcnt lgkmcnt(0)
	v_mul_f64 v[103:104], v[101:102], v[89:90]
	v_fma_f64 v[103:104], v[99:100], v[97:98], -v[103:104]
	v_mul_f64 v[99:100], v[99:100], v[89:90]
	v_fma_f64 v[99:100], v[101:102], v[97:98], v[99:100]
	s_waitcnt vmcnt(2)
	v_add_f64 v[85:86], v[85:86], -v[103:104]
	s_waitcnt vmcnt(0)
	v_add_f64 v[87:88], v[87:88], -v[99:100]
	buffer_store_dword v85, off, s[20:23], 0 offset:32 ; 4-byte Folded Spill
	s_nop 0
	buffer_store_dword v86, off, s[20:23], 0 offset:36 ; 4-byte Folded Spill
	buffer_store_dword v87, off, s[20:23], 0 offset:40 ; 4-byte Folded Spill
	;; [unrolled: 1-line block ×3, first 2 shown]
	ds_read2_b64 v[99:102], v125 offset0:46 offset1:47
	buffer_load_dword v73, off, s[20:23], 0 offset:16 ; 4-byte Folded Reload
	buffer_load_dword v74, off, s[20:23], 0 offset:20 ; 4-byte Folded Reload
	;; [unrolled: 1-line block ×4, first 2 shown]
	v_mov_b32_e32 v87, v97
	v_mov_b32_e32 v88, v98
	s_waitcnt lgkmcnt(0)
	v_mul_f64 v[103:104], v[101:102], v[89:90]
	v_fma_f64 v[103:104], v[99:100], v[97:98], -v[103:104]
	v_mul_f64 v[99:100], v[99:100], v[89:90]
	v_fma_f64 v[99:100], v[101:102], v[97:98], v[99:100]
	s_waitcnt vmcnt(2)
	v_add_f64 v[73:74], v[73:74], -v[103:104]
	s_waitcnt vmcnt(0)
	v_add_f64 v[75:76], v[75:76], -v[99:100]
	buffer_store_dword v73, off, s[20:23], 0 offset:16 ; 4-byte Folded Spill
	s_nop 0
	buffer_store_dword v74, off, s[20:23], 0 offset:20 ; 4-byte Folded Spill
	buffer_store_dword v75, off, s[20:23], 0 offset:24 ; 4-byte Folded Spill
	;; [unrolled: 1-line block ×3, first 2 shown]
	ds_read2_b64 v[99:102], v125 offset0:48 offset1:49
	buffer_load_dword v69, off, s[20:23], 0 ; 4-byte Folded Reload
	buffer_load_dword v70, off, s[20:23], 0 offset:4 ; 4-byte Folded Reload
	buffer_load_dword v71, off, s[20:23], 0 offset:8 ; 4-byte Folded Reload
	;; [unrolled: 1-line block ×3, first 2 shown]
	s_waitcnt lgkmcnt(0)
	v_mul_f64 v[103:104], v[101:102], v[89:90]
	v_fma_f64 v[103:104], v[99:100], v[97:98], -v[103:104]
	v_mul_f64 v[99:100], v[99:100], v[89:90]
	v_fma_f64 v[99:100], v[101:102], v[97:98], v[99:100]
	s_waitcnt vmcnt(2)
	v_add_f64 v[69:70], v[69:70], -v[103:104]
	s_waitcnt vmcnt(0)
	v_add_f64 v[71:72], v[71:72], -v[99:100]
	buffer_store_dword v69, off, s[20:23], 0 ; 4-byte Folded Spill
	s_nop 0
	buffer_store_dword v70, off, s[20:23], 0 offset:4 ; 4-byte Folded Spill
	buffer_store_dword v71, off, s[20:23], 0 offset:8 ; 4-byte Folded Spill
	;; [unrolled: 1-line block ×3, first 2 shown]
	ds_read2_b64 v[99:102], v125 offset0:50 offset1:51
	s_waitcnt lgkmcnt(0)
	v_mul_f64 v[103:104], v[101:102], v[89:90]
	v_fma_f64 v[103:104], v[99:100], v[97:98], -v[103:104]
	v_mul_f64 v[99:100], v[99:100], v[89:90]
	v_add_f64 v[65:66], v[65:66], -v[103:104]
	v_fma_f64 v[99:100], v[101:102], v[97:98], v[99:100]
	v_add_f64 v[67:68], v[67:68], -v[99:100]
	ds_read2_b64 v[99:102], v125 offset0:52 offset1:53
	s_waitcnt lgkmcnt(0)
	v_mul_f64 v[103:104], v[101:102], v[89:90]
	v_fma_f64 v[103:104], v[99:100], v[97:98], -v[103:104]
	v_mul_f64 v[99:100], v[99:100], v[89:90]
	v_add_f64 v[61:62], v[61:62], -v[103:104]
	v_fma_f64 v[99:100], v[101:102], v[97:98], v[99:100]
	v_add_f64 v[63:64], v[63:64], -v[99:100]
	;; [unrolled: 8-line block ×17, first 2 shown]
	ds_read2_b64 v[99:102], v125 offset0:84 offset1:85
	s_waitcnt lgkmcnt(0)
	v_mul_f64 v[103:104], v[101:102], v[89:90]
	v_fma_f64 v[103:104], v[99:100], v[97:98], -v[103:104]
	v_mul_f64 v[99:100], v[99:100], v[89:90]
	buffer_store_dword v87, off, s[20:23], 0 offset:144 ; 4-byte Folded Spill
	s_nop 0
	buffer_store_dword v88, off, s[20:23], 0 offset:148 ; 4-byte Folded Spill
	buffer_store_dword v89, off, s[20:23], 0 offset:152 ; 4-byte Folded Spill
	;; [unrolled: 1-line block ×3, first 2 shown]
	v_add_f64 v[121:122], v[121:122], -v[103:104]
	v_fma_f64 v[99:100], v[101:102], v[97:98], v[99:100]
	v_add_f64 v[123:124], v[123:124], -v[99:100]
.LBB85_109:
	s_or_b64 exec, exec, s[2:3]
	v_cmp_eq_u32_e32 vcc, 12, v0
	s_waitcnt vmcnt(0)
	s_barrier
	s_and_saveexec_b64 s[4:5], vcc
	s_cbranch_execz .LBB85_116
; %bb.110:
	buffer_load_dword v81, off, s[20:23], 0 offset:128 ; 4-byte Folded Reload
	buffer_load_dword v82, off, s[20:23], 0 offset:132 ; 4-byte Folded Reload
	;; [unrolled: 1-line block ×4, first 2 shown]
	s_waitcnt vmcnt(0)
	ds_write2_b64 v127, v[81:82], v[83:84] offset1:1
	buffer_load_dword v81, off, s[20:23], 0 offset:112 ; 4-byte Folded Reload
	buffer_load_dword v82, off, s[20:23], 0 offset:116 ; 4-byte Folded Reload
	buffer_load_dword v83, off, s[20:23], 0 offset:120 ; 4-byte Folded Reload
	buffer_load_dword v84, off, s[20:23], 0 offset:124 ; 4-byte Folded Reload
	s_waitcnt vmcnt(0)
	ds_write2_b64 v125, v[81:82], v[83:84] offset0:26 offset1:27
	buffer_load_dword v81, off, s[20:23], 0 offset:96 ; 4-byte Folded Reload
	buffer_load_dword v82, off, s[20:23], 0 offset:100 ; 4-byte Folded Reload
	buffer_load_dword v83, off, s[20:23], 0 offset:104 ; 4-byte Folded Reload
	buffer_load_dword v84, off, s[20:23], 0 offset:108 ; 4-byte Folded Reload
	s_waitcnt vmcnt(0)
	ds_write2_b64 v125, v[81:82], v[83:84] offset0:28 offset1:29
	;; [unrolled: 6-line block ×4, first 2 shown]
	ds_write2_b64 v125, v[117:118], v[119:120] offset0:34 offset1:35
	ds_write2_b64 v125, v[113:114], v[115:116] offset0:36 offset1:37
	buffer_load_dword v81, off, s[20:23], 0 offset:48 ; 4-byte Folded Reload
	buffer_load_dword v82, off, s[20:23], 0 offset:52 ; 4-byte Folded Reload
	buffer_load_dword v83, off, s[20:23], 0 offset:56 ; 4-byte Folded Reload
	buffer_load_dword v84, off, s[20:23], 0 offset:60 ; 4-byte Folded Reload
	s_waitcnt vmcnt(0)
	ds_write2_b64 v125, v[81:82], v[83:84] offset0:38 offset1:39
	ds_write2_b64 v125, v[77:78], v[79:80] offset0:40 offset1:41
	;; [unrolled: 1-line block ×3, first 2 shown]
	buffer_load_dword v85, off, s[20:23], 0 offset:32 ; 4-byte Folded Reload
	buffer_load_dword v86, off, s[20:23], 0 offset:36 ; 4-byte Folded Reload
	;; [unrolled: 1-line block ×4, first 2 shown]
	s_waitcnt vmcnt(0)
	ds_write2_b64 v125, v[85:86], v[87:88] offset0:44 offset1:45
	buffer_load_dword v73, off, s[20:23], 0 offset:16 ; 4-byte Folded Reload
	buffer_load_dword v74, off, s[20:23], 0 offset:20 ; 4-byte Folded Reload
	;; [unrolled: 1-line block ×4, first 2 shown]
	s_waitcnt vmcnt(0)
	ds_write2_b64 v125, v[73:74], v[75:76] offset0:46 offset1:47
	buffer_load_dword v69, off, s[20:23], 0 ; 4-byte Folded Reload
	buffer_load_dword v70, off, s[20:23], 0 offset:4 ; 4-byte Folded Reload
	buffer_load_dword v71, off, s[20:23], 0 offset:8 ; 4-byte Folded Reload
	;; [unrolled: 1-line block ×3, first 2 shown]
	s_waitcnt vmcnt(0)
	ds_write2_b64 v125, v[69:70], v[71:72] offset0:48 offset1:49
	ds_write2_b64 v125, v[65:66], v[67:68] offset0:50 offset1:51
	;; [unrolled: 1-line block ×19, first 2 shown]
	ds_read2_b64 v[97:100], v127 offset1:1
	s_waitcnt lgkmcnt(0)
	v_cmp_neq_f64_e32 vcc, 0, v[97:98]
	v_cmp_neq_f64_e64 s[2:3], 0, v[99:100]
	s_or_b64 s[2:3], vcc, s[2:3]
	s_and_b64 exec, exec, s[2:3]
	s_cbranch_execz .LBB85_116
; %bb.111:
	v_cmp_ngt_f64_e64 s[2:3], |v[97:98]|, |v[99:100]|
                                        ; implicit-def: $vgpr101_vgpr102
	s_and_saveexec_b64 s[6:7], s[2:3]
	s_xor_b64 s[2:3], exec, s[6:7]
                                        ; implicit-def: $vgpr103_vgpr104
	s_cbranch_execz .LBB85_113
; %bb.112:
	v_div_scale_f64 v[101:102], s[6:7], v[99:100], v[99:100], v[97:98]
	v_rcp_f64_e32 v[103:104], v[101:102]
	v_fma_f64 v[105:106], -v[101:102], v[103:104], 1.0
	v_fma_f64 v[103:104], v[103:104], v[105:106], v[103:104]
	v_div_scale_f64 v[105:106], vcc, v[97:98], v[99:100], v[97:98]
	v_fma_f64 v[107:108], -v[101:102], v[103:104], 1.0
	v_fma_f64 v[103:104], v[103:104], v[107:108], v[103:104]
	v_mul_f64 v[107:108], v[105:106], v[103:104]
	v_fma_f64 v[101:102], -v[101:102], v[107:108], v[105:106]
	v_div_fmas_f64 v[101:102], v[101:102], v[103:104], v[107:108]
	v_div_fixup_f64 v[101:102], v[101:102], v[99:100], v[97:98]
	v_fma_f64 v[97:98], v[97:98], v[101:102], v[99:100]
	v_div_scale_f64 v[99:100], s[6:7], v[97:98], v[97:98], 1.0
	v_div_scale_f64 v[107:108], vcc, 1.0, v[97:98], 1.0
	v_rcp_f64_e32 v[103:104], v[99:100]
	v_fma_f64 v[105:106], -v[99:100], v[103:104], 1.0
	v_fma_f64 v[103:104], v[103:104], v[105:106], v[103:104]
	v_fma_f64 v[105:106], -v[99:100], v[103:104], 1.0
	v_fma_f64 v[103:104], v[103:104], v[105:106], v[103:104]
	v_mul_f64 v[105:106], v[107:108], v[103:104]
	v_fma_f64 v[99:100], -v[99:100], v[105:106], v[107:108]
	v_div_fmas_f64 v[99:100], v[99:100], v[103:104], v[105:106]
	v_div_fixup_f64 v[103:104], v[99:100], v[97:98], 1.0
                                        ; implicit-def: $vgpr97_vgpr98
	v_mul_f64 v[101:102], v[101:102], v[103:104]
	v_xor_b32_e32 v104, 0x80000000, v104
.LBB85_113:
	s_andn2_saveexec_b64 s[2:3], s[2:3]
	s_cbranch_execz .LBB85_115
; %bb.114:
	v_div_scale_f64 v[101:102], s[6:7], v[97:98], v[97:98], v[99:100]
	v_rcp_f64_e32 v[103:104], v[101:102]
	v_fma_f64 v[105:106], -v[101:102], v[103:104], 1.0
	v_fma_f64 v[103:104], v[103:104], v[105:106], v[103:104]
	v_div_scale_f64 v[105:106], vcc, v[99:100], v[97:98], v[99:100]
	v_fma_f64 v[107:108], -v[101:102], v[103:104], 1.0
	v_fma_f64 v[103:104], v[103:104], v[107:108], v[103:104]
	v_mul_f64 v[107:108], v[105:106], v[103:104]
	v_fma_f64 v[101:102], -v[101:102], v[107:108], v[105:106]
	v_div_fmas_f64 v[101:102], v[101:102], v[103:104], v[107:108]
	v_div_fixup_f64 v[103:104], v[101:102], v[97:98], v[99:100]
	v_fma_f64 v[97:98], v[99:100], v[103:104], v[97:98]
	v_div_scale_f64 v[99:100], s[6:7], v[97:98], v[97:98], 1.0
	v_div_scale_f64 v[107:108], vcc, 1.0, v[97:98], 1.0
	v_rcp_f64_e32 v[101:102], v[99:100]
	v_fma_f64 v[105:106], -v[99:100], v[101:102], 1.0
	v_fma_f64 v[101:102], v[101:102], v[105:106], v[101:102]
	v_fma_f64 v[105:106], -v[99:100], v[101:102], 1.0
	v_fma_f64 v[101:102], v[101:102], v[105:106], v[101:102]
	v_mul_f64 v[105:106], v[107:108], v[101:102]
	v_fma_f64 v[99:100], -v[99:100], v[105:106], v[107:108]
	v_div_fmas_f64 v[99:100], v[99:100], v[101:102], v[105:106]
	v_div_fixup_f64 v[101:102], v[99:100], v[97:98], 1.0
	v_mul_f64 v[103:104], v[103:104], -v[101:102]
.LBB85_115:
	s_or_b64 exec, exec, s[2:3]
	ds_write2_b64 v127, v[101:102], v[103:104] offset1:1
.LBB85_116:
	s_or_b64 exec, exec, s[4:5]
	s_waitcnt lgkmcnt(0)
	s_barrier
	ds_read2_b64 v[81:84], v127 offset1:1
	v_cmp_lt_u32_e32 vcc, 12, v0
	s_waitcnt lgkmcnt(0)
	buffer_store_dword v81, off, s[20:23], 0 offset:896 ; 4-byte Folded Spill
	s_nop 0
	buffer_store_dword v82, off, s[20:23], 0 offset:900 ; 4-byte Folded Spill
	buffer_store_dword v83, off, s[20:23], 0 offset:904 ; 4-byte Folded Spill
	;; [unrolled: 1-line block ×3, first 2 shown]
	s_and_saveexec_b64 s[2:3], vcc
	s_cbranch_execz .LBB85_118
; %bb.117:
	buffer_load_dword v87, off, s[20:23], 0 offset:128 ; 4-byte Folded Reload
	buffer_load_dword v88, off, s[20:23], 0 offset:132 ; 4-byte Folded Reload
	;; [unrolled: 1-line block ×8, first 2 shown]
	s_waitcnt vmcnt(2)
	v_mul_f64 v[99:100], v[81:82], v[89:90]
	s_waitcnt vmcnt(0)
	v_mul_f64 v[97:98], v[83:84], v[89:90]
	v_fma_f64 v[89:90], v[83:84], v[87:88], v[99:100]
	ds_read2_b64 v[99:102], v125 offset0:26 offset1:27
	v_fma_f64 v[97:98], v[81:82], v[87:88], -v[97:98]
	buffer_load_dword v81, off, s[20:23], 0 offset:112 ; 4-byte Folded Reload
	buffer_load_dword v82, off, s[20:23], 0 offset:116 ; 4-byte Folded Reload
	buffer_load_dword v83, off, s[20:23], 0 offset:120 ; 4-byte Folded Reload
	buffer_load_dword v84, off, s[20:23], 0 offset:124 ; 4-byte Folded Reload
	s_waitcnt lgkmcnt(0)
	v_mul_f64 v[103:104], v[101:102], v[89:90]
	v_fma_f64 v[103:104], v[99:100], v[97:98], -v[103:104]
	v_mul_f64 v[99:100], v[99:100], v[89:90]
	v_fma_f64 v[99:100], v[101:102], v[97:98], v[99:100]
	s_waitcnt vmcnt(2)
	v_add_f64 v[81:82], v[81:82], -v[103:104]
	s_waitcnt vmcnt(0)
	v_add_f64 v[83:84], v[83:84], -v[99:100]
	buffer_store_dword v81, off, s[20:23], 0 offset:112 ; 4-byte Folded Spill
	s_nop 0
	buffer_store_dword v82, off, s[20:23], 0 offset:116 ; 4-byte Folded Spill
	buffer_store_dword v83, off, s[20:23], 0 offset:120 ; 4-byte Folded Spill
	buffer_store_dword v84, off, s[20:23], 0 offset:124 ; 4-byte Folded Spill
	ds_read2_b64 v[99:102], v125 offset0:28 offset1:29
	buffer_load_dword v81, off, s[20:23], 0 offset:96 ; 4-byte Folded Reload
	buffer_load_dword v82, off, s[20:23], 0 offset:100 ; 4-byte Folded Reload
	buffer_load_dword v83, off, s[20:23], 0 offset:104 ; 4-byte Folded Reload
	buffer_load_dword v84, off, s[20:23], 0 offset:108 ; 4-byte Folded Reload
	s_waitcnt lgkmcnt(0)
	v_mul_f64 v[103:104], v[101:102], v[89:90]
	v_fma_f64 v[103:104], v[99:100], v[97:98], -v[103:104]
	v_mul_f64 v[99:100], v[99:100], v[89:90]
	v_fma_f64 v[99:100], v[101:102], v[97:98], v[99:100]
	s_waitcnt vmcnt(2)
	v_add_f64 v[81:82], v[81:82], -v[103:104]
	s_waitcnt vmcnt(0)
	v_add_f64 v[83:84], v[83:84], -v[99:100]
	buffer_store_dword v81, off, s[20:23], 0 offset:96 ; 4-byte Folded Spill
	s_nop 0
	buffer_store_dword v82, off, s[20:23], 0 offset:100 ; 4-byte Folded Spill
	buffer_store_dword v83, off, s[20:23], 0 offset:104 ; 4-byte Folded Spill
	buffer_store_dword v84, off, s[20:23], 0 offset:108 ; 4-byte Folded Spill
	ds_read2_b64 v[99:102], v125 offset0:30 offset1:31
	;; [unrolled: 19-line block ×4, first 2 shown]
	s_waitcnt lgkmcnt(0)
	v_mul_f64 v[103:104], v[101:102], v[89:90]
	v_fma_f64 v[103:104], v[99:100], v[97:98], -v[103:104]
	v_mul_f64 v[99:100], v[99:100], v[89:90]
	v_add_f64 v[117:118], v[117:118], -v[103:104]
	v_fma_f64 v[99:100], v[101:102], v[97:98], v[99:100]
	v_add_f64 v[119:120], v[119:120], -v[99:100]
	ds_read2_b64 v[99:102], v125 offset0:36 offset1:37
	s_waitcnt lgkmcnt(0)
	v_mul_f64 v[103:104], v[101:102], v[89:90]
	v_fma_f64 v[103:104], v[99:100], v[97:98], -v[103:104]
	v_mul_f64 v[99:100], v[99:100], v[89:90]
	v_add_f64 v[113:114], v[113:114], -v[103:104]
	v_fma_f64 v[99:100], v[101:102], v[97:98], v[99:100]
	v_add_f64 v[115:116], v[115:116], -v[99:100]
	ds_read2_b64 v[99:102], v125 offset0:38 offset1:39
	buffer_load_dword v81, off, s[20:23], 0 offset:48 ; 4-byte Folded Reload
	buffer_load_dword v82, off, s[20:23], 0 offset:52 ; 4-byte Folded Reload
	;; [unrolled: 1-line block ×4, first 2 shown]
	s_waitcnt lgkmcnt(0)
	v_mul_f64 v[103:104], v[101:102], v[89:90]
	v_fma_f64 v[103:104], v[99:100], v[97:98], -v[103:104]
	v_mul_f64 v[99:100], v[99:100], v[89:90]
	v_fma_f64 v[99:100], v[101:102], v[97:98], v[99:100]
	s_waitcnt vmcnt(2)
	v_add_f64 v[81:82], v[81:82], -v[103:104]
	s_waitcnt vmcnt(0)
	v_add_f64 v[83:84], v[83:84], -v[99:100]
	buffer_store_dword v81, off, s[20:23], 0 offset:48 ; 4-byte Folded Spill
	s_nop 0
	buffer_store_dword v82, off, s[20:23], 0 offset:52 ; 4-byte Folded Spill
	buffer_store_dword v83, off, s[20:23], 0 offset:56 ; 4-byte Folded Spill
	;; [unrolled: 1-line block ×3, first 2 shown]
	ds_read2_b64 v[99:102], v125 offset0:40 offset1:41
	s_waitcnt lgkmcnt(0)
	v_mul_f64 v[103:104], v[101:102], v[89:90]
	v_fma_f64 v[103:104], v[99:100], v[97:98], -v[103:104]
	v_mul_f64 v[99:100], v[99:100], v[89:90]
	v_add_f64 v[77:78], v[77:78], -v[103:104]
	v_fma_f64 v[99:100], v[101:102], v[97:98], v[99:100]
	v_add_f64 v[79:80], v[79:80], -v[99:100]
	ds_read2_b64 v[99:102], v125 offset0:42 offset1:43
	s_waitcnt lgkmcnt(0)
	v_mul_f64 v[103:104], v[101:102], v[89:90]
	v_fma_f64 v[103:104], v[99:100], v[97:98], -v[103:104]
	v_mul_f64 v[99:100], v[99:100], v[89:90]
	v_add_f64 v[93:94], v[93:94], -v[103:104]
	v_fma_f64 v[99:100], v[101:102], v[97:98], v[99:100]
	v_add_f64 v[95:96], v[95:96], -v[99:100]
	ds_read2_b64 v[99:102], v125 offset0:44 offset1:45
	buffer_load_dword v85, off, s[20:23], 0 offset:32 ; 4-byte Folded Reload
	buffer_load_dword v86, off, s[20:23], 0 offset:36 ; 4-byte Folded Reload
	;; [unrolled: 1-line block ×4, first 2 shown]
	s_waitcnt lgkmcnt(0)
	v_mul_f64 v[103:104], v[101:102], v[89:90]
	v_fma_f64 v[103:104], v[99:100], v[97:98], -v[103:104]
	v_mul_f64 v[99:100], v[99:100], v[89:90]
	v_fma_f64 v[99:100], v[101:102], v[97:98], v[99:100]
	s_waitcnt vmcnt(2)
	v_add_f64 v[85:86], v[85:86], -v[103:104]
	s_waitcnt vmcnt(0)
	v_add_f64 v[87:88], v[87:88], -v[99:100]
	buffer_store_dword v85, off, s[20:23], 0 offset:32 ; 4-byte Folded Spill
	s_nop 0
	buffer_store_dword v86, off, s[20:23], 0 offset:36 ; 4-byte Folded Spill
	buffer_store_dword v87, off, s[20:23], 0 offset:40 ; 4-byte Folded Spill
	;; [unrolled: 1-line block ×3, first 2 shown]
	ds_read2_b64 v[99:102], v125 offset0:46 offset1:47
	buffer_load_dword v73, off, s[20:23], 0 offset:16 ; 4-byte Folded Reload
	buffer_load_dword v74, off, s[20:23], 0 offset:20 ; 4-byte Folded Reload
	;; [unrolled: 1-line block ×4, first 2 shown]
	v_mov_b32_e32 v87, v97
	v_mov_b32_e32 v88, v98
	s_waitcnt lgkmcnt(0)
	v_mul_f64 v[103:104], v[101:102], v[89:90]
	v_fma_f64 v[103:104], v[99:100], v[97:98], -v[103:104]
	v_mul_f64 v[99:100], v[99:100], v[89:90]
	v_fma_f64 v[99:100], v[101:102], v[97:98], v[99:100]
	s_waitcnt vmcnt(2)
	v_add_f64 v[73:74], v[73:74], -v[103:104]
	s_waitcnt vmcnt(0)
	v_add_f64 v[75:76], v[75:76], -v[99:100]
	buffer_store_dword v73, off, s[20:23], 0 offset:16 ; 4-byte Folded Spill
	s_nop 0
	buffer_store_dword v74, off, s[20:23], 0 offset:20 ; 4-byte Folded Spill
	buffer_store_dword v75, off, s[20:23], 0 offset:24 ; 4-byte Folded Spill
	;; [unrolled: 1-line block ×3, first 2 shown]
	ds_read2_b64 v[99:102], v125 offset0:48 offset1:49
	buffer_load_dword v69, off, s[20:23], 0 ; 4-byte Folded Reload
	buffer_load_dword v70, off, s[20:23], 0 offset:4 ; 4-byte Folded Reload
	buffer_load_dword v71, off, s[20:23], 0 offset:8 ; 4-byte Folded Reload
	;; [unrolled: 1-line block ×3, first 2 shown]
	s_waitcnt lgkmcnt(0)
	v_mul_f64 v[103:104], v[101:102], v[89:90]
	v_fma_f64 v[103:104], v[99:100], v[97:98], -v[103:104]
	v_mul_f64 v[99:100], v[99:100], v[89:90]
	v_fma_f64 v[99:100], v[101:102], v[97:98], v[99:100]
	s_waitcnt vmcnt(2)
	v_add_f64 v[69:70], v[69:70], -v[103:104]
	s_waitcnt vmcnt(0)
	v_add_f64 v[71:72], v[71:72], -v[99:100]
	buffer_store_dword v69, off, s[20:23], 0 ; 4-byte Folded Spill
	s_nop 0
	buffer_store_dword v70, off, s[20:23], 0 offset:4 ; 4-byte Folded Spill
	buffer_store_dword v71, off, s[20:23], 0 offset:8 ; 4-byte Folded Spill
	;; [unrolled: 1-line block ×3, first 2 shown]
	ds_read2_b64 v[99:102], v125 offset0:50 offset1:51
	s_waitcnt lgkmcnt(0)
	v_mul_f64 v[103:104], v[101:102], v[89:90]
	v_fma_f64 v[103:104], v[99:100], v[97:98], -v[103:104]
	v_mul_f64 v[99:100], v[99:100], v[89:90]
	v_add_f64 v[65:66], v[65:66], -v[103:104]
	v_fma_f64 v[99:100], v[101:102], v[97:98], v[99:100]
	v_add_f64 v[67:68], v[67:68], -v[99:100]
	ds_read2_b64 v[99:102], v125 offset0:52 offset1:53
	s_waitcnt lgkmcnt(0)
	v_mul_f64 v[103:104], v[101:102], v[89:90]
	v_fma_f64 v[103:104], v[99:100], v[97:98], -v[103:104]
	v_mul_f64 v[99:100], v[99:100], v[89:90]
	v_add_f64 v[61:62], v[61:62], -v[103:104]
	v_fma_f64 v[99:100], v[101:102], v[97:98], v[99:100]
	v_add_f64 v[63:64], v[63:64], -v[99:100]
	;; [unrolled: 8-line block ×17, first 2 shown]
	ds_read2_b64 v[99:102], v125 offset0:84 offset1:85
	s_waitcnt lgkmcnt(0)
	v_mul_f64 v[103:104], v[101:102], v[89:90]
	v_fma_f64 v[103:104], v[99:100], v[97:98], -v[103:104]
	v_mul_f64 v[99:100], v[99:100], v[89:90]
	buffer_store_dword v87, off, s[20:23], 0 offset:128 ; 4-byte Folded Spill
	s_nop 0
	buffer_store_dword v88, off, s[20:23], 0 offset:132 ; 4-byte Folded Spill
	buffer_store_dword v89, off, s[20:23], 0 offset:136 ; 4-byte Folded Spill
	;; [unrolled: 1-line block ×3, first 2 shown]
	v_add_f64 v[121:122], v[121:122], -v[103:104]
	v_fma_f64 v[99:100], v[101:102], v[97:98], v[99:100]
	v_add_f64 v[123:124], v[123:124], -v[99:100]
.LBB85_118:
	s_or_b64 exec, exec, s[2:3]
	v_cmp_eq_u32_e32 vcc, 13, v0
	s_waitcnt vmcnt(0)
	s_barrier
	s_and_saveexec_b64 s[4:5], vcc
	s_cbranch_execz .LBB85_125
; %bb.119:
	buffer_load_dword v81, off, s[20:23], 0 offset:112 ; 4-byte Folded Reload
	buffer_load_dword v82, off, s[20:23], 0 offset:116 ; 4-byte Folded Reload
	;; [unrolled: 1-line block ×4, first 2 shown]
	s_waitcnt vmcnt(0)
	ds_write2_b64 v127, v[81:82], v[83:84] offset1:1
	buffer_load_dword v81, off, s[20:23], 0 offset:96 ; 4-byte Folded Reload
	buffer_load_dword v82, off, s[20:23], 0 offset:100 ; 4-byte Folded Reload
	buffer_load_dword v83, off, s[20:23], 0 offset:104 ; 4-byte Folded Reload
	buffer_load_dword v84, off, s[20:23], 0 offset:108 ; 4-byte Folded Reload
	s_waitcnt vmcnt(0)
	ds_write2_b64 v125, v[81:82], v[83:84] offset0:28 offset1:29
	buffer_load_dword v81, off, s[20:23], 0 offset:80 ; 4-byte Folded Reload
	buffer_load_dword v82, off, s[20:23], 0 offset:84 ; 4-byte Folded Reload
	buffer_load_dword v83, off, s[20:23], 0 offset:88 ; 4-byte Folded Reload
	buffer_load_dword v84, off, s[20:23], 0 offset:92 ; 4-byte Folded Reload
	s_waitcnt vmcnt(0)
	ds_write2_b64 v125, v[81:82], v[83:84] offset0:30 offset1:31
	;; [unrolled: 6-line block ×3, first 2 shown]
	ds_write2_b64 v125, v[117:118], v[119:120] offset0:34 offset1:35
	ds_write2_b64 v125, v[113:114], v[115:116] offset0:36 offset1:37
	buffer_load_dword v81, off, s[20:23], 0 offset:48 ; 4-byte Folded Reload
	buffer_load_dword v82, off, s[20:23], 0 offset:52 ; 4-byte Folded Reload
	;; [unrolled: 1-line block ×4, first 2 shown]
	s_waitcnt vmcnt(0)
	ds_write2_b64 v125, v[81:82], v[83:84] offset0:38 offset1:39
	ds_write2_b64 v125, v[77:78], v[79:80] offset0:40 offset1:41
	;; [unrolled: 1-line block ×3, first 2 shown]
	buffer_load_dword v85, off, s[20:23], 0 offset:32 ; 4-byte Folded Reload
	buffer_load_dword v86, off, s[20:23], 0 offset:36 ; 4-byte Folded Reload
	;; [unrolled: 1-line block ×4, first 2 shown]
	s_waitcnt vmcnt(0)
	ds_write2_b64 v125, v[85:86], v[87:88] offset0:44 offset1:45
	buffer_load_dword v73, off, s[20:23], 0 offset:16 ; 4-byte Folded Reload
	buffer_load_dword v74, off, s[20:23], 0 offset:20 ; 4-byte Folded Reload
	;; [unrolled: 1-line block ×4, first 2 shown]
	s_waitcnt vmcnt(0)
	ds_write2_b64 v125, v[73:74], v[75:76] offset0:46 offset1:47
	buffer_load_dword v69, off, s[20:23], 0 ; 4-byte Folded Reload
	buffer_load_dword v70, off, s[20:23], 0 offset:4 ; 4-byte Folded Reload
	buffer_load_dword v71, off, s[20:23], 0 offset:8 ; 4-byte Folded Reload
	;; [unrolled: 1-line block ×3, first 2 shown]
	s_waitcnt vmcnt(0)
	ds_write2_b64 v125, v[69:70], v[71:72] offset0:48 offset1:49
	ds_write2_b64 v125, v[65:66], v[67:68] offset0:50 offset1:51
	ds_write2_b64 v125, v[61:62], v[63:64] offset0:52 offset1:53
	ds_write2_b64 v125, v[57:58], v[59:60] offset0:54 offset1:55
	ds_write2_b64 v125, v[53:54], v[55:56] offset0:56 offset1:57
	ds_write2_b64 v125, v[49:50], v[51:52] offset0:58 offset1:59
	ds_write2_b64 v125, v[45:46], v[47:48] offset0:60 offset1:61
	ds_write2_b64 v125, v[41:42], v[43:44] offset0:62 offset1:63
	ds_write2_b64 v125, v[37:38], v[39:40] offset0:64 offset1:65
	ds_write2_b64 v125, v[33:34], v[35:36] offset0:66 offset1:67
	ds_write2_b64 v125, v[29:30], v[31:32] offset0:68 offset1:69
	ds_write2_b64 v125, v[25:26], v[27:28] offset0:70 offset1:71
	ds_write2_b64 v125, v[21:22], v[23:24] offset0:72 offset1:73
	ds_write2_b64 v125, v[17:18], v[19:20] offset0:74 offset1:75
	ds_write2_b64 v125, v[13:14], v[15:16] offset0:76 offset1:77
	ds_write2_b64 v125, v[9:10], v[11:12] offset0:78 offset1:79
	ds_write2_b64 v125, v[5:6], v[7:8] offset0:80 offset1:81
	ds_write2_b64 v125, v[1:2], v[3:4] offset0:82 offset1:83
	ds_write2_b64 v125, v[121:122], v[123:124] offset0:84 offset1:85
	ds_read2_b64 v[97:100], v127 offset1:1
	s_waitcnt lgkmcnt(0)
	v_cmp_neq_f64_e32 vcc, 0, v[97:98]
	v_cmp_neq_f64_e64 s[2:3], 0, v[99:100]
	s_or_b64 s[2:3], vcc, s[2:3]
	s_and_b64 exec, exec, s[2:3]
	s_cbranch_execz .LBB85_125
; %bb.120:
	v_cmp_ngt_f64_e64 s[2:3], |v[97:98]|, |v[99:100]|
                                        ; implicit-def: $vgpr101_vgpr102
	s_and_saveexec_b64 s[6:7], s[2:3]
	s_xor_b64 s[2:3], exec, s[6:7]
                                        ; implicit-def: $vgpr103_vgpr104
	s_cbranch_execz .LBB85_122
; %bb.121:
	v_div_scale_f64 v[101:102], s[6:7], v[99:100], v[99:100], v[97:98]
	v_rcp_f64_e32 v[103:104], v[101:102]
	v_fma_f64 v[105:106], -v[101:102], v[103:104], 1.0
	v_fma_f64 v[103:104], v[103:104], v[105:106], v[103:104]
	v_div_scale_f64 v[105:106], vcc, v[97:98], v[99:100], v[97:98]
	v_fma_f64 v[107:108], -v[101:102], v[103:104], 1.0
	v_fma_f64 v[103:104], v[103:104], v[107:108], v[103:104]
	v_mul_f64 v[107:108], v[105:106], v[103:104]
	v_fma_f64 v[101:102], -v[101:102], v[107:108], v[105:106]
	v_div_fmas_f64 v[101:102], v[101:102], v[103:104], v[107:108]
	v_div_fixup_f64 v[101:102], v[101:102], v[99:100], v[97:98]
	v_fma_f64 v[97:98], v[97:98], v[101:102], v[99:100]
	v_div_scale_f64 v[99:100], s[6:7], v[97:98], v[97:98], 1.0
	v_div_scale_f64 v[107:108], vcc, 1.0, v[97:98], 1.0
	v_rcp_f64_e32 v[103:104], v[99:100]
	v_fma_f64 v[105:106], -v[99:100], v[103:104], 1.0
	v_fma_f64 v[103:104], v[103:104], v[105:106], v[103:104]
	v_fma_f64 v[105:106], -v[99:100], v[103:104], 1.0
	v_fma_f64 v[103:104], v[103:104], v[105:106], v[103:104]
	v_mul_f64 v[105:106], v[107:108], v[103:104]
	v_fma_f64 v[99:100], -v[99:100], v[105:106], v[107:108]
	v_div_fmas_f64 v[99:100], v[99:100], v[103:104], v[105:106]
	v_div_fixup_f64 v[103:104], v[99:100], v[97:98], 1.0
                                        ; implicit-def: $vgpr97_vgpr98
	v_mul_f64 v[101:102], v[101:102], v[103:104]
	v_xor_b32_e32 v104, 0x80000000, v104
.LBB85_122:
	s_andn2_saveexec_b64 s[2:3], s[2:3]
	s_cbranch_execz .LBB85_124
; %bb.123:
	v_div_scale_f64 v[101:102], s[6:7], v[97:98], v[97:98], v[99:100]
	v_rcp_f64_e32 v[103:104], v[101:102]
	v_fma_f64 v[105:106], -v[101:102], v[103:104], 1.0
	v_fma_f64 v[103:104], v[103:104], v[105:106], v[103:104]
	v_div_scale_f64 v[105:106], vcc, v[99:100], v[97:98], v[99:100]
	v_fma_f64 v[107:108], -v[101:102], v[103:104], 1.0
	v_fma_f64 v[103:104], v[103:104], v[107:108], v[103:104]
	v_mul_f64 v[107:108], v[105:106], v[103:104]
	v_fma_f64 v[101:102], -v[101:102], v[107:108], v[105:106]
	v_div_fmas_f64 v[101:102], v[101:102], v[103:104], v[107:108]
	v_div_fixup_f64 v[103:104], v[101:102], v[97:98], v[99:100]
	v_fma_f64 v[97:98], v[99:100], v[103:104], v[97:98]
	v_div_scale_f64 v[99:100], s[6:7], v[97:98], v[97:98], 1.0
	v_div_scale_f64 v[107:108], vcc, 1.0, v[97:98], 1.0
	v_rcp_f64_e32 v[101:102], v[99:100]
	v_fma_f64 v[105:106], -v[99:100], v[101:102], 1.0
	v_fma_f64 v[101:102], v[101:102], v[105:106], v[101:102]
	v_fma_f64 v[105:106], -v[99:100], v[101:102], 1.0
	v_fma_f64 v[101:102], v[101:102], v[105:106], v[101:102]
	v_mul_f64 v[105:106], v[107:108], v[101:102]
	v_fma_f64 v[99:100], -v[99:100], v[105:106], v[107:108]
	v_div_fmas_f64 v[99:100], v[99:100], v[101:102], v[105:106]
	v_div_fixup_f64 v[101:102], v[99:100], v[97:98], 1.0
	v_mul_f64 v[103:104], v[103:104], -v[101:102]
.LBB85_124:
	s_or_b64 exec, exec, s[2:3]
	ds_write2_b64 v127, v[101:102], v[103:104] offset1:1
.LBB85_125:
	s_or_b64 exec, exec, s[4:5]
	s_waitcnt lgkmcnt(0)
	s_barrier
	ds_read2_b64 v[81:84], v127 offset1:1
	v_cmp_lt_u32_e32 vcc, 13, v0
	s_waitcnt lgkmcnt(0)
	buffer_store_dword v81, off, s[20:23], 0 offset:912 ; 4-byte Folded Spill
	s_nop 0
	buffer_store_dword v82, off, s[20:23], 0 offset:916 ; 4-byte Folded Spill
	buffer_store_dword v83, off, s[20:23], 0 offset:920 ; 4-byte Folded Spill
	;; [unrolled: 1-line block ×3, first 2 shown]
	s_and_saveexec_b64 s[2:3], vcc
	s_cbranch_execz .LBB85_127
; %bb.126:
	buffer_load_dword v87, off, s[20:23], 0 offset:112 ; 4-byte Folded Reload
	buffer_load_dword v88, off, s[20:23], 0 offset:116 ; 4-byte Folded Reload
	;; [unrolled: 1-line block ×8, first 2 shown]
	s_waitcnt vmcnt(2)
	v_mul_f64 v[99:100], v[81:82], v[89:90]
	s_waitcnt vmcnt(0)
	v_mul_f64 v[97:98], v[83:84], v[89:90]
	v_fma_f64 v[89:90], v[83:84], v[87:88], v[99:100]
	ds_read2_b64 v[99:102], v125 offset0:28 offset1:29
	v_fma_f64 v[97:98], v[81:82], v[87:88], -v[97:98]
	buffer_load_dword v81, off, s[20:23], 0 offset:96 ; 4-byte Folded Reload
	buffer_load_dword v82, off, s[20:23], 0 offset:100 ; 4-byte Folded Reload
	buffer_load_dword v83, off, s[20:23], 0 offset:104 ; 4-byte Folded Reload
	buffer_load_dword v84, off, s[20:23], 0 offset:108 ; 4-byte Folded Reload
	s_waitcnt lgkmcnt(0)
	v_mul_f64 v[103:104], v[101:102], v[89:90]
	v_fma_f64 v[103:104], v[99:100], v[97:98], -v[103:104]
	v_mul_f64 v[99:100], v[99:100], v[89:90]
	v_fma_f64 v[99:100], v[101:102], v[97:98], v[99:100]
	s_waitcnt vmcnt(2)
	v_add_f64 v[81:82], v[81:82], -v[103:104]
	s_waitcnt vmcnt(0)
	v_add_f64 v[83:84], v[83:84], -v[99:100]
	buffer_store_dword v81, off, s[20:23], 0 offset:96 ; 4-byte Folded Spill
	s_nop 0
	buffer_store_dword v82, off, s[20:23], 0 offset:100 ; 4-byte Folded Spill
	buffer_store_dword v83, off, s[20:23], 0 offset:104 ; 4-byte Folded Spill
	buffer_store_dword v84, off, s[20:23], 0 offset:108 ; 4-byte Folded Spill
	ds_read2_b64 v[99:102], v125 offset0:30 offset1:31
	buffer_load_dword v81, off, s[20:23], 0 offset:80 ; 4-byte Folded Reload
	buffer_load_dword v82, off, s[20:23], 0 offset:84 ; 4-byte Folded Reload
	buffer_load_dword v83, off, s[20:23], 0 offset:88 ; 4-byte Folded Reload
	buffer_load_dword v84, off, s[20:23], 0 offset:92 ; 4-byte Folded Reload
	s_waitcnt lgkmcnt(0)
	v_mul_f64 v[103:104], v[101:102], v[89:90]
	v_fma_f64 v[103:104], v[99:100], v[97:98], -v[103:104]
	v_mul_f64 v[99:100], v[99:100], v[89:90]
	v_fma_f64 v[99:100], v[101:102], v[97:98], v[99:100]
	s_waitcnt vmcnt(2)
	v_add_f64 v[81:82], v[81:82], -v[103:104]
	s_waitcnt vmcnt(0)
	v_add_f64 v[83:84], v[83:84], -v[99:100]
	buffer_store_dword v81, off, s[20:23], 0 offset:80 ; 4-byte Folded Spill
	s_nop 0
	buffer_store_dword v82, off, s[20:23], 0 offset:84 ; 4-byte Folded Spill
	buffer_store_dword v83, off, s[20:23], 0 offset:88 ; 4-byte Folded Spill
	buffer_store_dword v84, off, s[20:23], 0 offset:92 ; 4-byte Folded Spill
	ds_read2_b64 v[99:102], v125 offset0:32 offset1:33
	;; [unrolled: 19-line block ×3, first 2 shown]
	s_waitcnt lgkmcnt(0)
	v_mul_f64 v[103:104], v[101:102], v[89:90]
	v_fma_f64 v[103:104], v[99:100], v[97:98], -v[103:104]
	v_mul_f64 v[99:100], v[99:100], v[89:90]
	v_add_f64 v[117:118], v[117:118], -v[103:104]
	v_fma_f64 v[99:100], v[101:102], v[97:98], v[99:100]
	v_add_f64 v[119:120], v[119:120], -v[99:100]
	ds_read2_b64 v[99:102], v125 offset0:36 offset1:37
	s_waitcnt lgkmcnt(0)
	v_mul_f64 v[103:104], v[101:102], v[89:90]
	v_fma_f64 v[103:104], v[99:100], v[97:98], -v[103:104]
	v_mul_f64 v[99:100], v[99:100], v[89:90]
	v_add_f64 v[113:114], v[113:114], -v[103:104]
	v_fma_f64 v[99:100], v[101:102], v[97:98], v[99:100]
	v_add_f64 v[115:116], v[115:116], -v[99:100]
	ds_read2_b64 v[99:102], v125 offset0:38 offset1:39
	buffer_load_dword v81, off, s[20:23], 0 offset:48 ; 4-byte Folded Reload
	buffer_load_dword v82, off, s[20:23], 0 offset:52 ; 4-byte Folded Reload
	;; [unrolled: 1-line block ×4, first 2 shown]
	s_waitcnt lgkmcnt(0)
	v_mul_f64 v[103:104], v[101:102], v[89:90]
	v_fma_f64 v[103:104], v[99:100], v[97:98], -v[103:104]
	v_mul_f64 v[99:100], v[99:100], v[89:90]
	v_fma_f64 v[99:100], v[101:102], v[97:98], v[99:100]
	s_waitcnt vmcnt(2)
	v_add_f64 v[81:82], v[81:82], -v[103:104]
	s_waitcnt vmcnt(0)
	v_add_f64 v[83:84], v[83:84], -v[99:100]
	buffer_store_dword v81, off, s[20:23], 0 offset:48 ; 4-byte Folded Spill
	s_nop 0
	buffer_store_dword v82, off, s[20:23], 0 offset:52 ; 4-byte Folded Spill
	buffer_store_dword v83, off, s[20:23], 0 offset:56 ; 4-byte Folded Spill
	;; [unrolled: 1-line block ×3, first 2 shown]
	ds_read2_b64 v[99:102], v125 offset0:40 offset1:41
	s_waitcnt lgkmcnt(0)
	v_mul_f64 v[103:104], v[101:102], v[89:90]
	v_fma_f64 v[103:104], v[99:100], v[97:98], -v[103:104]
	v_mul_f64 v[99:100], v[99:100], v[89:90]
	v_add_f64 v[77:78], v[77:78], -v[103:104]
	v_fma_f64 v[99:100], v[101:102], v[97:98], v[99:100]
	v_add_f64 v[79:80], v[79:80], -v[99:100]
	ds_read2_b64 v[99:102], v125 offset0:42 offset1:43
	s_waitcnt lgkmcnt(0)
	v_mul_f64 v[103:104], v[101:102], v[89:90]
	v_fma_f64 v[103:104], v[99:100], v[97:98], -v[103:104]
	v_mul_f64 v[99:100], v[99:100], v[89:90]
	v_add_f64 v[93:94], v[93:94], -v[103:104]
	v_fma_f64 v[99:100], v[101:102], v[97:98], v[99:100]
	v_add_f64 v[95:96], v[95:96], -v[99:100]
	ds_read2_b64 v[99:102], v125 offset0:44 offset1:45
	buffer_load_dword v85, off, s[20:23], 0 offset:32 ; 4-byte Folded Reload
	buffer_load_dword v86, off, s[20:23], 0 offset:36 ; 4-byte Folded Reload
	;; [unrolled: 1-line block ×4, first 2 shown]
	s_waitcnt lgkmcnt(0)
	v_mul_f64 v[103:104], v[101:102], v[89:90]
	v_fma_f64 v[103:104], v[99:100], v[97:98], -v[103:104]
	v_mul_f64 v[99:100], v[99:100], v[89:90]
	v_fma_f64 v[99:100], v[101:102], v[97:98], v[99:100]
	s_waitcnt vmcnt(2)
	v_add_f64 v[85:86], v[85:86], -v[103:104]
	s_waitcnt vmcnt(0)
	v_add_f64 v[87:88], v[87:88], -v[99:100]
	buffer_store_dword v85, off, s[20:23], 0 offset:32 ; 4-byte Folded Spill
	s_nop 0
	buffer_store_dword v86, off, s[20:23], 0 offset:36 ; 4-byte Folded Spill
	buffer_store_dword v87, off, s[20:23], 0 offset:40 ; 4-byte Folded Spill
	;; [unrolled: 1-line block ×3, first 2 shown]
	ds_read2_b64 v[99:102], v125 offset0:46 offset1:47
	buffer_load_dword v73, off, s[20:23], 0 offset:16 ; 4-byte Folded Reload
	buffer_load_dword v74, off, s[20:23], 0 offset:20 ; 4-byte Folded Reload
	;; [unrolled: 1-line block ×4, first 2 shown]
	v_mov_b32_e32 v87, v97
	v_mov_b32_e32 v88, v98
	s_waitcnt lgkmcnt(0)
	v_mul_f64 v[103:104], v[101:102], v[89:90]
	v_fma_f64 v[103:104], v[99:100], v[97:98], -v[103:104]
	v_mul_f64 v[99:100], v[99:100], v[89:90]
	v_fma_f64 v[99:100], v[101:102], v[97:98], v[99:100]
	s_waitcnt vmcnt(2)
	v_add_f64 v[73:74], v[73:74], -v[103:104]
	s_waitcnt vmcnt(0)
	v_add_f64 v[75:76], v[75:76], -v[99:100]
	buffer_store_dword v73, off, s[20:23], 0 offset:16 ; 4-byte Folded Spill
	s_nop 0
	buffer_store_dword v74, off, s[20:23], 0 offset:20 ; 4-byte Folded Spill
	buffer_store_dword v75, off, s[20:23], 0 offset:24 ; 4-byte Folded Spill
	buffer_store_dword v76, off, s[20:23], 0 offset:28 ; 4-byte Folded Spill
	ds_read2_b64 v[99:102], v125 offset0:48 offset1:49
	buffer_load_dword v69, off, s[20:23], 0 ; 4-byte Folded Reload
	buffer_load_dword v70, off, s[20:23], 0 offset:4 ; 4-byte Folded Reload
	buffer_load_dword v71, off, s[20:23], 0 offset:8 ; 4-byte Folded Reload
	;; [unrolled: 1-line block ×3, first 2 shown]
	s_waitcnt lgkmcnt(0)
	v_mul_f64 v[103:104], v[101:102], v[89:90]
	v_fma_f64 v[103:104], v[99:100], v[97:98], -v[103:104]
	v_mul_f64 v[99:100], v[99:100], v[89:90]
	v_fma_f64 v[99:100], v[101:102], v[97:98], v[99:100]
	s_waitcnt vmcnt(2)
	v_add_f64 v[69:70], v[69:70], -v[103:104]
	s_waitcnt vmcnt(0)
	v_add_f64 v[71:72], v[71:72], -v[99:100]
	buffer_store_dword v69, off, s[20:23], 0 ; 4-byte Folded Spill
	s_nop 0
	buffer_store_dword v70, off, s[20:23], 0 offset:4 ; 4-byte Folded Spill
	buffer_store_dword v71, off, s[20:23], 0 offset:8 ; 4-byte Folded Spill
	;; [unrolled: 1-line block ×3, first 2 shown]
	ds_read2_b64 v[99:102], v125 offset0:50 offset1:51
	s_waitcnt lgkmcnt(0)
	v_mul_f64 v[103:104], v[101:102], v[89:90]
	v_fma_f64 v[103:104], v[99:100], v[97:98], -v[103:104]
	v_mul_f64 v[99:100], v[99:100], v[89:90]
	v_add_f64 v[65:66], v[65:66], -v[103:104]
	v_fma_f64 v[99:100], v[101:102], v[97:98], v[99:100]
	v_add_f64 v[67:68], v[67:68], -v[99:100]
	ds_read2_b64 v[99:102], v125 offset0:52 offset1:53
	s_waitcnt lgkmcnt(0)
	v_mul_f64 v[103:104], v[101:102], v[89:90]
	v_fma_f64 v[103:104], v[99:100], v[97:98], -v[103:104]
	v_mul_f64 v[99:100], v[99:100], v[89:90]
	v_add_f64 v[61:62], v[61:62], -v[103:104]
	v_fma_f64 v[99:100], v[101:102], v[97:98], v[99:100]
	v_add_f64 v[63:64], v[63:64], -v[99:100]
	;; [unrolled: 8-line block ×17, first 2 shown]
	ds_read2_b64 v[99:102], v125 offset0:84 offset1:85
	s_waitcnt lgkmcnt(0)
	v_mul_f64 v[103:104], v[101:102], v[89:90]
	v_fma_f64 v[103:104], v[99:100], v[97:98], -v[103:104]
	v_mul_f64 v[99:100], v[99:100], v[89:90]
	buffer_store_dword v87, off, s[20:23], 0 offset:112 ; 4-byte Folded Spill
	s_nop 0
	buffer_store_dword v88, off, s[20:23], 0 offset:116 ; 4-byte Folded Spill
	buffer_store_dword v89, off, s[20:23], 0 offset:120 ; 4-byte Folded Spill
	;; [unrolled: 1-line block ×3, first 2 shown]
	v_add_f64 v[121:122], v[121:122], -v[103:104]
	v_fma_f64 v[99:100], v[101:102], v[97:98], v[99:100]
	v_add_f64 v[123:124], v[123:124], -v[99:100]
.LBB85_127:
	s_or_b64 exec, exec, s[2:3]
	v_cmp_eq_u32_e32 vcc, 14, v0
	s_waitcnt vmcnt(0)
	s_barrier
	s_and_saveexec_b64 s[4:5], vcc
	s_cbranch_execz .LBB85_134
; %bb.128:
	buffer_load_dword v81, off, s[20:23], 0 offset:96 ; 4-byte Folded Reload
	buffer_load_dword v82, off, s[20:23], 0 offset:100 ; 4-byte Folded Reload
	;; [unrolled: 1-line block ×4, first 2 shown]
	s_waitcnt vmcnt(0)
	ds_write2_b64 v127, v[81:82], v[83:84] offset1:1
	buffer_load_dword v81, off, s[20:23], 0 offset:80 ; 4-byte Folded Reload
	buffer_load_dword v82, off, s[20:23], 0 offset:84 ; 4-byte Folded Reload
	;; [unrolled: 1-line block ×4, first 2 shown]
	s_waitcnt vmcnt(0)
	ds_write2_b64 v125, v[81:82], v[83:84] offset0:30 offset1:31
	buffer_load_dword v81, off, s[20:23], 0 offset:64 ; 4-byte Folded Reload
	buffer_load_dword v82, off, s[20:23], 0 offset:68 ; 4-byte Folded Reload
	;; [unrolled: 1-line block ×4, first 2 shown]
	s_waitcnt vmcnt(0)
	ds_write2_b64 v125, v[81:82], v[83:84] offset0:32 offset1:33
	ds_write2_b64 v125, v[117:118], v[119:120] offset0:34 offset1:35
	;; [unrolled: 1-line block ×3, first 2 shown]
	buffer_load_dword v81, off, s[20:23], 0 offset:48 ; 4-byte Folded Reload
	buffer_load_dword v82, off, s[20:23], 0 offset:52 ; 4-byte Folded Reload
	;; [unrolled: 1-line block ×4, first 2 shown]
	s_waitcnt vmcnt(0)
	ds_write2_b64 v125, v[81:82], v[83:84] offset0:38 offset1:39
	ds_write2_b64 v125, v[77:78], v[79:80] offset0:40 offset1:41
	;; [unrolled: 1-line block ×3, first 2 shown]
	buffer_load_dword v85, off, s[20:23], 0 offset:32 ; 4-byte Folded Reload
	buffer_load_dword v86, off, s[20:23], 0 offset:36 ; 4-byte Folded Reload
	;; [unrolled: 1-line block ×4, first 2 shown]
	s_waitcnt vmcnt(0)
	ds_write2_b64 v125, v[85:86], v[87:88] offset0:44 offset1:45
	buffer_load_dword v73, off, s[20:23], 0 offset:16 ; 4-byte Folded Reload
	buffer_load_dword v74, off, s[20:23], 0 offset:20 ; 4-byte Folded Reload
	buffer_load_dword v75, off, s[20:23], 0 offset:24 ; 4-byte Folded Reload
	buffer_load_dword v76, off, s[20:23], 0 offset:28 ; 4-byte Folded Reload
	s_waitcnt vmcnt(0)
	ds_write2_b64 v125, v[73:74], v[75:76] offset0:46 offset1:47
	buffer_load_dword v69, off, s[20:23], 0 ; 4-byte Folded Reload
	buffer_load_dword v70, off, s[20:23], 0 offset:4 ; 4-byte Folded Reload
	buffer_load_dword v71, off, s[20:23], 0 offset:8 ; 4-byte Folded Reload
	;; [unrolled: 1-line block ×3, first 2 shown]
	s_waitcnt vmcnt(0)
	ds_write2_b64 v125, v[69:70], v[71:72] offset0:48 offset1:49
	ds_write2_b64 v125, v[65:66], v[67:68] offset0:50 offset1:51
	;; [unrolled: 1-line block ×19, first 2 shown]
	ds_read2_b64 v[97:100], v127 offset1:1
	s_waitcnt lgkmcnt(0)
	v_cmp_neq_f64_e32 vcc, 0, v[97:98]
	v_cmp_neq_f64_e64 s[2:3], 0, v[99:100]
	s_or_b64 s[2:3], vcc, s[2:3]
	s_and_b64 exec, exec, s[2:3]
	s_cbranch_execz .LBB85_134
; %bb.129:
	v_cmp_ngt_f64_e64 s[2:3], |v[97:98]|, |v[99:100]|
                                        ; implicit-def: $vgpr101_vgpr102
	s_and_saveexec_b64 s[6:7], s[2:3]
	s_xor_b64 s[2:3], exec, s[6:7]
                                        ; implicit-def: $vgpr103_vgpr104
	s_cbranch_execz .LBB85_131
; %bb.130:
	v_div_scale_f64 v[101:102], s[6:7], v[99:100], v[99:100], v[97:98]
	v_rcp_f64_e32 v[103:104], v[101:102]
	v_fma_f64 v[105:106], -v[101:102], v[103:104], 1.0
	v_fma_f64 v[103:104], v[103:104], v[105:106], v[103:104]
	v_div_scale_f64 v[105:106], vcc, v[97:98], v[99:100], v[97:98]
	v_fma_f64 v[107:108], -v[101:102], v[103:104], 1.0
	v_fma_f64 v[103:104], v[103:104], v[107:108], v[103:104]
	v_mul_f64 v[107:108], v[105:106], v[103:104]
	v_fma_f64 v[101:102], -v[101:102], v[107:108], v[105:106]
	v_div_fmas_f64 v[101:102], v[101:102], v[103:104], v[107:108]
	v_div_fixup_f64 v[101:102], v[101:102], v[99:100], v[97:98]
	v_fma_f64 v[97:98], v[97:98], v[101:102], v[99:100]
	v_div_scale_f64 v[99:100], s[6:7], v[97:98], v[97:98], 1.0
	v_div_scale_f64 v[107:108], vcc, 1.0, v[97:98], 1.0
	v_rcp_f64_e32 v[103:104], v[99:100]
	v_fma_f64 v[105:106], -v[99:100], v[103:104], 1.0
	v_fma_f64 v[103:104], v[103:104], v[105:106], v[103:104]
	v_fma_f64 v[105:106], -v[99:100], v[103:104], 1.0
	v_fma_f64 v[103:104], v[103:104], v[105:106], v[103:104]
	v_mul_f64 v[105:106], v[107:108], v[103:104]
	v_fma_f64 v[99:100], -v[99:100], v[105:106], v[107:108]
	v_div_fmas_f64 v[99:100], v[99:100], v[103:104], v[105:106]
	v_div_fixup_f64 v[103:104], v[99:100], v[97:98], 1.0
                                        ; implicit-def: $vgpr97_vgpr98
	v_mul_f64 v[101:102], v[101:102], v[103:104]
	v_xor_b32_e32 v104, 0x80000000, v104
.LBB85_131:
	s_andn2_saveexec_b64 s[2:3], s[2:3]
	s_cbranch_execz .LBB85_133
; %bb.132:
	v_div_scale_f64 v[101:102], s[6:7], v[97:98], v[97:98], v[99:100]
	v_rcp_f64_e32 v[103:104], v[101:102]
	v_fma_f64 v[105:106], -v[101:102], v[103:104], 1.0
	v_fma_f64 v[103:104], v[103:104], v[105:106], v[103:104]
	v_div_scale_f64 v[105:106], vcc, v[99:100], v[97:98], v[99:100]
	v_fma_f64 v[107:108], -v[101:102], v[103:104], 1.0
	v_fma_f64 v[103:104], v[103:104], v[107:108], v[103:104]
	v_mul_f64 v[107:108], v[105:106], v[103:104]
	v_fma_f64 v[101:102], -v[101:102], v[107:108], v[105:106]
	v_div_fmas_f64 v[101:102], v[101:102], v[103:104], v[107:108]
	v_div_fixup_f64 v[103:104], v[101:102], v[97:98], v[99:100]
	v_fma_f64 v[97:98], v[99:100], v[103:104], v[97:98]
	v_div_scale_f64 v[99:100], s[6:7], v[97:98], v[97:98], 1.0
	v_div_scale_f64 v[107:108], vcc, 1.0, v[97:98], 1.0
	v_rcp_f64_e32 v[101:102], v[99:100]
	v_fma_f64 v[105:106], -v[99:100], v[101:102], 1.0
	v_fma_f64 v[101:102], v[101:102], v[105:106], v[101:102]
	v_fma_f64 v[105:106], -v[99:100], v[101:102], 1.0
	v_fma_f64 v[101:102], v[101:102], v[105:106], v[101:102]
	v_mul_f64 v[105:106], v[107:108], v[101:102]
	v_fma_f64 v[99:100], -v[99:100], v[105:106], v[107:108]
	v_div_fmas_f64 v[99:100], v[99:100], v[101:102], v[105:106]
	v_div_fixup_f64 v[101:102], v[99:100], v[97:98], 1.0
	v_mul_f64 v[103:104], v[103:104], -v[101:102]
.LBB85_133:
	s_or_b64 exec, exec, s[2:3]
	ds_write2_b64 v127, v[101:102], v[103:104] offset1:1
.LBB85_134:
	s_or_b64 exec, exec, s[4:5]
	s_waitcnt lgkmcnt(0)
	s_barrier
	ds_read2_b64 v[81:84], v127 offset1:1
	v_cmp_lt_u32_e32 vcc, 14, v0
	s_waitcnt lgkmcnt(0)
	buffer_store_dword v81, off, s[20:23], 0 offset:928 ; 4-byte Folded Spill
	s_nop 0
	buffer_store_dword v82, off, s[20:23], 0 offset:932 ; 4-byte Folded Spill
	buffer_store_dword v83, off, s[20:23], 0 offset:936 ; 4-byte Folded Spill
	;; [unrolled: 1-line block ×3, first 2 shown]
	s_and_saveexec_b64 s[2:3], vcc
	s_cbranch_execz .LBB85_136
; %bb.135:
	buffer_load_dword v87, off, s[20:23], 0 offset:96 ; 4-byte Folded Reload
	buffer_load_dword v88, off, s[20:23], 0 offset:100 ; 4-byte Folded Reload
	;; [unrolled: 1-line block ×8, first 2 shown]
	s_waitcnt vmcnt(2)
	v_mul_f64 v[99:100], v[81:82], v[89:90]
	s_waitcnt vmcnt(0)
	v_mul_f64 v[97:98], v[83:84], v[89:90]
	v_fma_f64 v[89:90], v[83:84], v[87:88], v[99:100]
	ds_read2_b64 v[99:102], v125 offset0:30 offset1:31
	v_fma_f64 v[97:98], v[81:82], v[87:88], -v[97:98]
	buffer_load_dword v81, off, s[20:23], 0 offset:80 ; 4-byte Folded Reload
	buffer_load_dword v82, off, s[20:23], 0 offset:84 ; 4-byte Folded Reload
	buffer_load_dword v83, off, s[20:23], 0 offset:88 ; 4-byte Folded Reload
	buffer_load_dword v84, off, s[20:23], 0 offset:92 ; 4-byte Folded Reload
	s_waitcnt lgkmcnt(0)
	v_mul_f64 v[103:104], v[101:102], v[89:90]
	v_fma_f64 v[103:104], v[99:100], v[97:98], -v[103:104]
	v_mul_f64 v[99:100], v[99:100], v[89:90]
	v_fma_f64 v[99:100], v[101:102], v[97:98], v[99:100]
	s_waitcnt vmcnt(2)
	v_add_f64 v[81:82], v[81:82], -v[103:104]
	s_waitcnt vmcnt(0)
	v_add_f64 v[83:84], v[83:84], -v[99:100]
	buffer_store_dword v81, off, s[20:23], 0 offset:80 ; 4-byte Folded Spill
	s_nop 0
	buffer_store_dword v82, off, s[20:23], 0 offset:84 ; 4-byte Folded Spill
	buffer_store_dword v83, off, s[20:23], 0 offset:88 ; 4-byte Folded Spill
	;; [unrolled: 1-line block ×3, first 2 shown]
	ds_read2_b64 v[99:102], v125 offset0:32 offset1:33
	buffer_load_dword v81, off, s[20:23], 0 offset:64 ; 4-byte Folded Reload
	buffer_load_dword v82, off, s[20:23], 0 offset:68 ; 4-byte Folded Reload
	;; [unrolled: 1-line block ×4, first 2 shown]
	s_waitcnt lgkmcnt(0)
	v_mul_f64 v[103:104], v[101:102], v[89:90]
	v_fma_f64 v[103:104], v[99:100], v[97:98], -v[103:104]
	v_mul_f64 v[99:100], v[99:100], v[89:90]
	v_fma_f64 v[99:100], v[101:102], v[97:98], v[99:100]
	s_waitcnt vmcnt(2)
	v_add_f64 v[81:82], v[81:82], -v[103:104]
	s_waitcnt vmcnt(0)
	v_add_f64 v[83:84], v[83:84], -v[99:100]
	buffer_store_dword v81, off, s[20:23], 0 offset:64 ; 4-byte Folded Spill
	s_nop 0
	buffer_store_dword v82, off, s[20:23], 0 offset:68 ; 4-byte Folded Spill
	buffer_store_dword v83, off, s[20:23], 0 offset:72 ; 4-byte Folded Spill
	;; [unrolled: 1-line block ×3, first 2 shown]
	ds_read2_b64 v[99:102], v125 offset0:34 offset1:35
	s_waitcnt lgkmcnt(0)
	v_mul_f64 v[103:104], v[101:102], v[89:90]
	v_fma_f64 v[103:104], v[99:100], v[97:98], -v[103:104]
	v_mul_f64 v[99:100], v[99:100], v[89:90]
	v_add_f64 v[117:118], v[117:118], -v[103:104]
	v_fma_f64 v[99:100], v[101:102], v[97:98], v[99:100]
	v_add_f64 v[119:120], v[119:120], -v[99:100]
	ds_read2_b64 v[99:102], v125 offset0:36 offset1:37
	s_waitcnt lgkmcnt(0)
	v_mul_f64 v[103:104], v[101:102], v[89:90]
	v_fma_f64 v[103:104], v[99:100], v[97:98], -v[103:104]
	v_mul_f64 v[99:100], v[99:100], v[89:90]
	v_add_f64 v[113:114], v[113:114], -v[103:104]
	v_fma_f64 v[99:100], v[101:102], v[97:98], v[99:100]
	v_add_f64 v[115:116], v[115:116], -v[99:100]
	ds_read2_b64 v[99:102], v125 offset0:38 offset1:39
	buffer_load_dword v81, off, s[20:23], 0 offset:48 ; 4-byte Folded Reload
	buffer_load_dword v82, off, s[20:23], 0 offset:52 ; 4-byte Folded Reload
	;; [unrolled: 1-line block ×4, first 2 shown]
	s_waitcnt lgkmcnt(0)
	v_mul_f64 v[103:104], v[101:102], v[89:90]
	v_fma_f64 v[103:104], v[99:100], v[97:98], -v[103:104]
	v_mul_f64 v[99:100], v[99:100], v[89:90]
	v_fma_f64 v[99:100], v[101:102], v[97:98], v[99:100]
	s_waitcnt vmcnt(2)
	v_add_f64 v[81:82], v[81:82], -v[103:104]
	s_waitcnt vmcnt(0)
	v_add_f64 v[83:84], v[83:84], -v[99:100]
	buffer_store_dword v81, off, s[20:23], 0 offset:48 ; 4-byte Folded Spill
	s_nop 0
	buffer_store_dword v82, off, s[20:23], 0 offset:52 ; 4-byte Folded Spill
	buffer_store_dword v83, off, s[20:23], 0 offset:56 ; 4-byte Folded Spill
	;; [unrolled: 1-line block ×3, first 2 shown]
	ds_read2_b64 v[99:102], v125 offset0:40 offset1:41
	s_waitcnt lgkmcnt(0)
	v_mul_f64 v[103:104], v[101:102], v[89:90]
	v_fma_f64 v[103:104], v[99:100], v[97:98], -v[103:104]
	v_mul_f64 v[99:100], v[99:100], v[89:90]
	v_add_f64 v[77:78], v[77:78], -v[103:104]
	v_fma_f64 v[99:100], v[101:102], v[97:98], v[99:100]
	v_add_f64 v[79:80], v[79:80], -v[99:100]
	ds_read2_b64 v[99:102], v125 offset0:42 offset1:43
	s_waitcnt lgkmcnt(0)
	v_mul_f64 v[103:104], v[101:102], v[89:90]
	v_fma_f64 v[103:104], v[99:100], v[97:98], -v[103:104]
	v_mul_f64 v[99:100], v[99:100], v[89:90]
	v_add_f64 v[93:94], v[93:94], -v[103:104]
	v_fma_f64 v[99:100], v[101:102], v[97:98], v[99:100]
	v_add_f64 v[95:96], v[95:96], -v[99:100]
	ds_read2_b64 v[99:102], v125 offset0:44 offset1:45
	buffer_load_dword v85, off, s[20:23], 0 offset:32 ; 4-byte Folded Reload
	buffer_load_dword v86, off, s[20:23], 0 offset:36 ; 4-byte Folded Reload
	;; [unrolled: 1-line block ×4, first 2 shown]
	s_waitcnt lgkmcnt(0)
	v_mul_f64 v[103:104], v[101:102], v[89:90]
	v_fma_f64 v[103:104], v[99:100], v[97:98], -v[103:104]
	v_mul_f64 v[99:100], v[99:100], v[89:90]
	v_fma_f64 v[99:100], v[101:102], v[97:98], v[99:100]
	s_waitcnt vmcnt(2)
	v_add_f64 v[85:86], v[85:86], -v[103:104]
	s_waitcnt vmcnt(0)
	v_add_f64 v[87:88], v[87:88], -v[99:100]
	buffer_store_dword v85, off, s[20:23], 0 offset:32 ; 4-byte Folded Spill
	s_nop 0
	buffer_store_dword v86, off, s[20:23], 0 offset:36 ; 4-byte Folded Spill
	buffer_store_dword v87, off, s[20:23], 0 offset:40 ; 4-byte Folded Spill
	;; [unrolled: 1-line block ×3, first 2 shown]
	ds_read2_b64 v[99:102], v125 offset0:46 offset1:47
	buffer_load_dword v73, off, s[20:23], 0 offset:16 ; 4-byte Folded Reload
	buffer_load_dword v74, off, s[20:23], 0 offset:20 ; 4-byte Folded Reload
	buffer_load_dword v75, off, s[20:23], 0 offset:24 ; 4-byte Folded Reload
	buffer_load_dword v76, off, s[20:23], 0 offset:28 ; 4-byte Folded Reload
	v_mov_b32_e32 v87, v97
	v_mov_b32_e32 v88, v98
	s_waitcnt lgkmcnt(0)
	v_mul_f64 v[103:104], v[101:102], v[89:90]
	v_fma_f64 v[103:104], v[99:100], v[97:98], -v[103:104]
	v_mul_f64 v[99:100], v[99:100], v[89:90]
	v_fma_f64 v[99:100], v[101:102], v[97:98], v[99:100]
	s_waitcnt vmcnt(2)
	v_add_f64 v[73:74], v[73:74], -v[103:104]
	s_waitcnt vmcnt(0)
	v_add_f64 v[75:76], v[75:76], -v[99:100]
	buffer_store_dword v73, off, s[20:23], 0 offset:16 ; 4-byte Folded Spill
	s_nop 0
	buffer_store_dword v74, off, s[20:23], 0 offset:20 ; 4-byte Folded Spill
	buffer_store_dword v75, off, s[20:23], 0 offset:24 ; 4-byte Folded Spill
	buffer_store_dword v76, off, s[20:23], 0 offset:28 ; 4-byte Folded Spill
	ds_read2_b64 v[99:102], v125 offset0:48 offset1:49
	buffer_load_dword v69, off, s[20:23], 0 ; 4-byte Folded Reload
	buffer_load_dword v70, off, s[20:23], 0 offset:4 ; 4-byte Folded Reload
	buffer_load_dword v71, off, s[20:23], 0 offset:8 ; 4-byte Folded Reload
	;; [unrolled: 1-line block ×3, first 2 shown]
	s_waitcnt lgkmcnt(0)
	v_mul_f64 v[103:104], v[101:102], v[89:90]
	v_fma_f64 v[103:104], v[99:100], v[97:98], -v[103:104]
	v_mul_f64 v[99:100], v[99:100], v[89:90]
	v_fma_f64 v[99:100], v[101:102], v[97:98], v[99:100]
	s_waitcnt vmcnt(2)
	v_add_f64 v[69:70], v[69:70], -v[103:104]
	s_waitcnt vmcnt(0)
	v_add_f64 v[71:72], v[71:72], -v[99:100]
	buffer_store_dword v69, off, s[20:23], 0 ; 4-byte Folded Spill
	s_nop 0
	buffer_store_dword v70, off, s[20:23], 0 offset:4 ; 4-byte Folded Spill
	buffer_store_dword v71, off, s[20:23], 0 offset:8 ; 4-byte Folded Spill
	;; [unrolled: 1-line block ×3, first 2 shown]
	ds_read2_b64 v[99:102], v125 offset0:50 offset1:51
	s_waitcnt lgkmcnt(0)
	v_mul_f64 v[103:104], v[101:102], v[89:90]
	v_fma_f64 v[103:104], v[99:100], v[97:98], -v[103:104]
	v_mul_f64 v[99:100], v[99:100], v[89:90]
	v_add_f64 v[65:66], v[65:66], -v[103:104]
	v_fma_f64 v[99:100], v[101:102], v[97:98], v[99:100]
	v_add_f64 v[67:68], v[67:68], -v[99:100]
	ds_read2_b64 v[99:102], v125 offset0:52 offset1:53
	s_waitcnt lgkmcnt(0)
	v_mul_f64 v[103:104], v[101:102], v[89:90]
	v_fma_f64 v[103:104], v[99:100], v[97:98], -v[103:104]
	v_mul_f64 v[99:100], v[99:100], v[89:90]
	v_add_f64 v[61:62], v[61:62], -v[103:104]
	v_fma_f64 v[99:100], v[101:102], v[97:98], v[99:100]
	v_add_f64 v[63:64], v[63:64], -v[99:100]
	;; [unrolled: 8-line block ×17, first 2 shown]
	ds_read2_b64 v[99:102], v125 offset0:84 offset1:85
	s_waitcnt lgkmcnt(0)
	v_mul_f64 v[103:104], v[101:102], v[89:90]
	v_fma_f64 v[103:104], v[99:100], v[97:98], -v[103:104]
	v_mul_f64 v[99:100], v[99:100], v[89:90]
	buffer_store_dword v87, off, s[20:23], 0 offset:96 ; 4-byte Folded Spill
	s_nop 0
	buffer_store_dword v88, off, s[20:23], 0 offset:100 ; 4-byte Folded Spill
	buffer_store_dword v89, off, s[20:23], 0 offset:104 ; 4-byte Folded Spill
	;; [unrolled: 1-line block ×3, first 2 shown]
	v_add_f64 v[121:122], v[121:122], -v[103:104]
	v_fma_f64 v[99:100], v[101:102], v[97:98], v[99:100]
	v_add_f64 v[123:124], v[123:124], -v[99:100]
.LBB85_136:
	s_or_b64 exec, exec, s[2:3]
	v_cmp_eq_u32_e32 vcc, 15, v0
	s_waitcnt vmcnt(0)
	s_barrier
	s_and_saveexec_b64 s[4:5], vcc
	s_cbranch_execz .LBB85_143
; %bb.137:
	buffer_load_dword v81, off, s[20:23], 0 offset:80 ; 4-byte Folded Reload
	buffer_load_dword v82, off, s[20:23], 0 offset:84 ; 4-byte Folded Reload
	;; [unrolled: 1-line block ×4, first 2 shown]
	s_waitcnt vmcnt(0)
	ds_write2_b64 v127, v[81:82], v[83:84] offset1:1
	buffer_load_dword v81, off, s[20:23], 0 offset:64 ; 4-byte Folded Reload
	buffer_load_dword v82, off, s[20:23], 0 offset:68 ; 4-byte Folded Reload
	;; [unrolled: 1-line block ×4, first 2 shown]
	s_waitcnt vmcnt(0)
	ds_write2_b64 v125, v[81:82], v[83:84] offset0:32 offset1:33
	ds_write2_b64 v125, v[117:118], v[119:120] offset0:34 offset1:35
	;; [unrolled: 1-line block ×3, first 2 shown]
	buffer_load_dword v81, off, s[20:23], 0 offset:48 ; 4-byte Folded Reload
	buffer_load_dword v82, off, s[20:23], 0 offset:52 ; 4-byte Folded Reload
	;; [unrolled: 1-line block ×4, first 2 shown]
	s_waitcnt vmcnt(0)
	ds_write2_b64 v125, v[81:82], v[83:84] offset0:38 offset1:39
	ds_write2_b64 v125, v[77:78], v[79:80] offset0:40 offset1:41
	;; [unrolled: 1-line block ×3, first 2 shown]
	buffer_load_dword v85, off, s[20:23], 0 offset:32 ; 4-byte Folded Reload
	buffer_load_dword v86, off, s[20:23], 0 offset:36 ; 4-byte Folded Reload
	;; [unrolled: 1-line block ×4, first 2 shown]
	s_waitcnt vmcnt(0)
	ds_write2_b64 v125, v[85:86], v[87:88] offset0:44 offset1:45
	buffer_load_dword v73, off, s[20:23], 0 offset:16 ; 4-byte Folded Reload
	buffer_load_dword v74, off, s[20:23], 0 offset:20 ; 4-byte Folded Reload
	;; [unrolled: 1-line block ×4, first 2 shown]
	s_waitcnt vmcnt(0)
	ds_write2_b64 v125, v[73:74], v[75:76] offset0:46 offset1:47
	buffer_load_dword v69, off, s[20:23], 0 ; 4-byte Folded Reload
	buffer_load_dword v70, off, s[20:23], 0 offset:4 ; 4-byte Folded Reload
	buffer_load_dword v71, off, s[20:23], 0 offset:8 ; 4-byte Folded Reload
	;; [unrolled: 1-line block ×3, first 2 shown]
	s_waitcnt vmcnt(0)
	ds_write2_b64 v125, v[69:70], v[71:72] offset0:48 offset1:49
	ds_write2_b64 v125, v[65:66], v[67:68] offset0:50 offset1:51
	;; [unrolled: 1-line block ×19, first 2 shown]
	ds_read2_b64 v[97:100], v127 offset1:1
	s_waitcnt lgkmcnt(0)
	v_cmp_neq_f64_e32 vcc, 0, v[97:98]
	v_cmp_neq_f64_e64 s[2:3], 0, v[99:100]
	s_or_b64 s[2:3], vcc, s[2:3]
	s_and_b64 exec, exec, s[2:3]
	s_cbranch_execz .LBB85_143
; %bb.138:
	v_cmp_ngt_f64_e64 s[2:3], |v[97:98]|, |v[99:100]|
                                        ; implicit-def: $vgpr101_vgpr102
	s_and_saveexec_b64 s[6:7], s[2:3]
	s_xor_b64 s[2:3], exec, s[6:7]
                                        ; implicit-def: $vgpr103_vgpr104
	s_cbranch_execz .LBB85_140
; %bb.139:
	v_div_scale_f64 v[101:102], s[6:7], v[99:100], v[99:100], v[97:98]
	v_rcp_f64_e32 v[103:104], v[101:102]
	v_fma_f64 v[105:106], -v[101:102], v[103:104], 1.0
	v_fma_f64 v[103:104], v[103:104], v[105:106], v[103:104]
	v_div_scale_f64 v[105:106], vcc, v[97:98], v[99:100], v[97:98]
	v_fma_f64 v[107:108], -v[101:102], v[103:104], 1.0
	v_fma_f64 v[103:104], v[103:104], v[107:108], v[103:104]
	v_mul_f64 v[107:108], v[105:106], v[103:104]
	v_fma_f64 v[101:102], -v[101:102], v[107:108], v[105:106]
	v_div_fmas_f64 v[101:102], v[101:102], v[103:104], v[107:108]
	v_div_fixup_f64 v[101:102], v[101:102], v[99:100], v[97:98]
	v_fma_f64 v[97:98], v[97:98], v[101:102], v[99:100]
	v_div_scale_f64 v[99:100], s[6:7], v[97:98], v[97:98], 1.0
	v_div_scale_f64 v[107:108], vcc, 1.0, v[97:98], 1.0
	v_rcp_f64_e32 v[103:104], v[99:100]
	v_fma_f64 v[105:106], -v[99:100], v[103:104], 1.0
	v_fma_f64 v[103:104], v[103:104], v[105:106], v[103:104]
	v_fma_f64 v[105:106], -v[99:100], v[103:104], 1.0
	v_fma_f64 v[103:104], v[103:104], v[105:106], v[103:104]
	v_mul_f64 v[105:106], v[107:108], v[103:104]
	v_fma_f64 v[99:100], -v[99:100], v[105:106], v[107:108]
	v_div_fmas_f64 v[99:100], v[99:100], v[103:104], v[105:106]
	v_div_fixup_f64 v[103:104], v[99:100], v[97:98], 1.0
                                        ; implicit-def: $vgpr97_vgpr98
	v_mul_f64 v[101:102], v[101:102], v[103:104]
	v_xor_b32_e32 v104, 0x80000000, v104
.LBB85_140:
	s_andn2_saveexec_b64 s[2:3], s[2:3]
	s_cbranch_execz .LBB85_142
; %bb.141:
	v_div_scale_f64 v[101:102], s[6:7], v[97:98], v[97:98], v[99:100]
	v_rcp_f64_e32 v[103:104], v[101:102]
	v_fma_f64 v[105:106], -v[101:102], v[103:104], 1.0
	v_fma_f64 v[103:104], v[103:104], v[105:106], v[103:104]
	v_div_scale_f64 v[105:106], vcc, v[99:100], v[97:98], v[99:100]
	v_fma_f64 v[107:108], -v[101:102], v[103:104], 1.0
	v_fma_f64 v[103:104], v[103:104], v[107:108], v[103:104]
	v_mul_f64 v[107:108], v[105:106], v[103:104]
	v_fma_f64 v[101:102], -v[101:102], v[107:108], v[105:106]
	v_div_fmas_f64 v[101:102], v[101:102], v[103:104], v[107:108]
	v_div_fixup_f64 v[103:104], v[101:102], v[97:98], v[99:100]
	v_fma_f64 v[97:98], v[99:100], v[103:104], v[97:98]
	v_div_scale_f64 v[99:100], s[6:7], v[97:98], v[97:98], 1.0
	v_div_scale_f64 v[107:108], vcc, 1.0, v[97:98], 1.0
	v_rcp_f64_e32 v[101:102], v[99:100]
	v_fma_f64 v[105:106], -v[99:100], v[101:102], 1.0
	v_fma_f64 v[101:102], v[101:102], v[105:106], v[101:102]
	v_fma_f64 v[105:106], -v[99:100], v[101:102], 1.0
	v_fma_f64 v[101:102], v[101:102], v[105:106], v[101:102]
	v_mul_f64 v[105:106], v[107:108], v[101:102]
	v_fma_f64 v[99:100], -v[99:100], v[105:106], v[107:108]
	v_div_fmas_f64 v[99:100], v[99:100], v[101:102], v[105:106]
	v_div_fixup_f64 v[101:102], v[99:100], v[97:98], 1.0
	v_mul_f64 v[103:104], v[103:104], -v[101:102]
.LBB85_142:
	s_or_b64 exec, exec, s[2:3]
	ds_write2_b64 v127, v[101:102], v[103:104] offset1:1
.LBB85_143:
	s_or_b64 exec, exec, s[4:5]
	s_waitcnt lgkmcnt(0)
	s_barrier
	ds_read2_b64 v[81:84], v127 offset1:1
	v_cmp_lt_u32_e32 vcc, 15, v0
	s_waitcnt lgkmcnt(0)
	buffer_store_dword v81, off, s[20:23], 0 offset:944 ; 4-byte Folded Spill
	s_nop 0
	buffer_store_dword v82, off, s[20:23], 0 offset:948 ; 4-byte Folded Spill
	buffer_store_dword v83, off, s[20:23], 0 offset:952 ; 4-byte Folded Spill
	buffer_store_dword v84, off, s[20:23], 0 offset:956 ; 4-byte Folded Spill
	s_and_saveexec_b64 s[2:3], vcc
	s_cbranch_execz .LBB85_145
; %bb.144:
	buffer_load_dword v87, off, s[20:23], 0 offset:80 ; 4-byte Folded Reload
	buffer_load_dword v88, off, s[20:23], 0 offset:84 ; 4-byte Folded Reload
	;; [unrolled: 1-line block ×8, first 2 shown]
	s_waitcnt vmcnt(2)
	v_mul_f64 v[99:100], v[81:82], v[89:90]
	s_waitcnt vmcnt(0)
	v_mul_f64 v[97:98], v[83:84], v[89:90]
	v_fma_f64 v[89:90], v[83:84], v[87:88], v[99:100]
	ds_read2_b64 v[99:102], v125 offset0:32 offset1:33
	v_fma_f64 v[97:98], v[81:82], v[87:88], -v[97:98]
	buffer_load_dword v81, off, s[20:23], 0 offset:64 ; 4-byte Folded Reload
	buffer_load_dword v82, off, s[20:23], 0 offset:68 ; 4-byte Folded Reload
	;; [unrolled: 1-line block ×4, first 2 shown]
	s_waitcnt lgkmcnt(0)
	v_mul_f64 v[103:104], v[101:102], v[89:90]
	v_fma_f64 v[103:104], v[99:100], v[97:98], -v[103:104]
	v_mul_f64 v[99:100], v[99:100], v[89:90]
	v_fma_f64 v[99:100], v[101:102], v[97:98], v[99:100]
	s_waitcnt vmcnt(2)
	v_add_f64 v[81:82], v[81:82], -v[103:104]
	s_waitcnt vmcnt(0)
	v_add_f64 v[83:84], v[83:84], -v[99:100]
	buffer_store_dword v81, off, s[20:23], 0 offset:64 ; 4-byte Folded Spill
	s_nop 0
	buffer_store_dword v82, off, s[20:23], 0 offset:68 ; 4-byte Folded Spill
	buffer_store_dword v83, off, s[20:23], 0 offset:72 ; 4-byte Folded Spill
	;; [unrolled: 1-line block ×3, first 2 shown]
	ds_read2_b64 v[99:102], v125 offset0:34 offset1:35
	s_waitcnt lgkmcnt(0)
	v_mul_f64 v[103:104], v[101:102], v[89:90]
	v_fma_f64 v[103:104], v[99:100], v[97:98], -v[103:104]
	v_mul_f64 v[99:100], v[99:100], v[89:90]
	v_add_f64 v[117:118], v[117:118], -v[103:104]
	v_fma_f64 v[99:100], v[101:102], v[97:98], v[99:100]
	v_add_f64 v[119:120], v[119:120], -v[99:100]
	ds_read2_b64 v[99:102], v125 offset0:36 offset1:37
	s_waitcnt lgkmcnt(0)
	v_mul_f64 v[103:104], v[101:102], v[89:90]
	v_fma_f64 v[103:104], v[99:100], v[97:98], -v[103:104]
	v_mul_f64 v[99:100], v[99:100], v[89:90]
	v_add_f64 v[113:114], v[113:114], -v[103:104]
	v_fma_f64 v[99:100], v[101:102], v[97:98], v[99:100]
	v_add_f64 v[115:116], v[115:116], -v[99:100]
	ds_read2_b64 v[99:102], v125 offset0:38 offset1:39
	buffer_load_dword v81, off, s[20:23], 0 offset:48 ; 4-byte Folded Reload
	buffer_load_dword v82, off, s[20:23], 0 offset:52 ; 4-byte Folded Reload
	;; [unrolled: 1-line block ×4, first 2 shown]
	s_waitcnt lgkmcnt(0)
	v_mul_f64 v[103:104], v[101:102], v[89:90]
	v_fma_f64 v[103:104], v[99:100], v[97:98], -v[103:104]
	v_mul_f64 v[99:100], v[99:100], v[89:90]
	v_fma_f64 v[99:100], v[101:102], v[97:98], v[99:100]
	s_waitcnt vmcnt(2)
	v_add_f64 v[81:82], v[81:82], -v[103:104]
	s_waitcnt vmcnt(0)
	v_add_f64 v[83:84], v[83:84], -v[99:100]
	buffer_store_dword v81, off, s[20:23], 0 offset:48 ; 4-byte Folded Spill
	s_nop 0
	buffer_store_dword v82, off, s[20:23], 0 offset:52 ; 4-byte Folded Spill
	buffer_store_dword v83, off, s[20:23], 0 offset:56 ; 4-byte Folded Spill
	;; [unrolled: 1-line block ×3, first 2 shown]
	ds_read2_b64 v[99:102], v125 offset0:40 offset1:41
	s_waitcnt lgkmcnt(0)
	v_mul_f64 v[103:104], v[101:102], v[89:90]
	v_fma_f64 v[103:104], v[99:100], v[97:98], -v[103:104]
	v_mul_f64 v[99:100], v[99:100], v[89:90]
	v_add_f64 v[77:78], v[77:78], -v[103:104]
	v_fma_f64 v[99:100], v[101:102], v[97:98], v[99:100]
	v_add_f64 v[79:80], v[79:80], -v[99:100]
	ds_read2_b64 v[99:102], v125 offset0:42 offset1:43
	s_waitcnt lgkmcnt(0)
	v_mul_f64 v[103:104], v[101:102], v[89:90]
	v_fma_f64 v[103:104], v[99:100], v[97:98], -v[103:104]
	v_mul_f64 v[99:100], v[99:100], v[89:90]
	v_add_f64 v[93:94], v[93:94], -v[103:104]
	v_fma_f64 v[99:100], v[101:102], v[97:98], v[99:100]
	v_add_f64 v[95:96], v[95:96], -v[99:100]
	ds_read2_b64 v[99:102], v125 offset0:44 offset1:45
	buffer_load_dword v85, off, s[20:23], 0 offset:32 ; 4-byte Folded Reload
	buffer_load_dword v86, off, s[20:23], 0 offset:36 ; 4-byte Folded Reload
	;; [unrolled: 1-line block ×4, first 2 shown]
	s_waitcnt lgkmcnt(0)
	v_mul_f64 v[103:104], v[101:102], v[89:90]
	v_fma_f64 v[103:104], v[99:100], v[97:98], -v[103:104]
	v_mul_f64 v[99:100], v[99:100], v[89:90]
	v_fma_f64 v[99:100], v[101:102], v[97:98], v[99:100]
	s_waitcnt vmcnt(2)
	v_add_f64 v[85:86], v[85:86], -v[103:104]
	s_waitcnt vmcnt(0)
	v_add_f64 v[87:88], v[87:88], -v[99:100]
	buffer_store_dword v85, off, s[20:23], 0 offset:32 ; 4-byte Folded Spill
	s_nop 0
	buffer_store_dword v86, off, s[20:23], 0 offset:36 ; 4-byte Folded Spill
	buffer_store_dword v87, off, s[20:23], 0 offset:40 ; 4-byte Folded Spill
	buffer_store_dword v88, off, s[20:23], 0 offset:44 ; 4-byte Folded Spill
	ds_read2_b64 v[99:102], v125 offset0:46 offset1:47
	buffer_load_dword v73, off, s[20:23], 0 offset:16 ; 4-byte Folded Reload
	buffer_load_dword v74, off, s[20:23], 0 offset:20 ; 4-byte Folded Reload
	;; [unrolled: 1-line block ×4, first 2 shown]
	v_mov_b32_e32 v87, v97
	v_mov_b32_e32 v88, v98
	s_waitcnt lgkmcnt(0)
	v_mul_f64 v[103:104], v[101:102], v[89:90]
	v_fma_f64 v[103:104], v[99:100], v[97:98], -v[103:104]
	v_mul_f64 v[99:100], v[99:100], v[89:90]
	v_fma_f64 v[99:100], v[101:102], v[97:98], v[99:100]
	s_waitcnt vmcnt(2)
	v_add_f64 v[73:74], v[73:74], -v[103:104]
	s_waitcnt vmcnt(0)
	v_add_f64 v[75:76], v[75:76], -v[99:100]
	buffer_store_dword v73, off, s[20:23], 0 offset:16 ; 4-byte Folded Spill
	s_nop 0
	buffer_store_dword v74, off, s[20:23], 0 offset:20 ; 4-byte Folded Spill
	buffer_store_dword v75, off, s[20:23], 0 offset:24 ; 4-byte Folded Spill
	;; [unrolled: 1-line block ×3, first 2 shown]
	ds_read2_b64 v[99:102], v125 offset0:48 offset1:49
	buffer_load_dword v69, off, s[20:23], 0 ; 4-byte Folded Reload
	buffer_load_dword v70, off, s[20:23], 0 offset:4 ; 4-byte Folded Reload
	buffer_load_dword v71, off, s[20:23], 0 offset:8 ; 4-byte Folded Reload
	;; [unrolled: 1-line block ×3, first 2 shown]
	s_waitcnt lgkmcnt(0)
	v_mul_f64 v[103:104], v[101:102], v[89:90]
	v_fma_f64 v[103:104], v[99:100], v[97:98], -v[103:104]
	v_mul_f64 v[99:100], v[99:100], v[89:90]
	v_fma_f64 v[99:100], v[101:102], v[97:98], v[99:100]
	s_waitcnt vmcnt(2)
	v_add_f64 v[69:70], v[69:70], -v[103:104]
	s_waitcnt vmcnt(0)
	v_add_f64 v[71:72], v[71:72], -v[99:100]
	buffer_store_dword v69, off, s[20:23], 0 ; 4-byte Folded Spill
	s_nop 0
	buffer_store_dword v70, off, s[20:23], 0 offset:4 ; 4-byte Folded Spill
	buffer_store_dword v71, off, s[20:23], 0 offset:8 ; 4-byte Folded Spill
	;; [unrolled: 1-line block ×3, first 2 shown]
	ds_read2_b64 v[99:102], v125 offset0:50 offset1:51
	s_waitcnt lgkmcnt(0)
	v_mul_f64 v[103:104], v[101:102], v[89:90]
	v_fma_f64 v[103:104], v[99:100], v[97:98], -v[103:104]
	v_mul_f64 v[99:100], v[99:100], v[89:90]
	v_add_f64 v[65:66], v[65:66], -v[103:104]
	v_fma_f64 v[99:100], v[101:102], v[97:98], v[99:100]
	v_add_f64 v[67:68], v[67:68], -v[99:100]
	ds_read2_b64 v[99:102], v125 offset0:52 offset1:53
	s_waitcnt lgkmcnt(0)
	v_mul_f64 v[103:104], v[101:102], v[89:90]
	v_fma_f64 v[103:104], v[99:100], v[97:98], -v[103:104]
	v_mul_f64 v[99:100], v[99:100], v[89:90]
	v_add_f64 v[61:62], v[61:62], -v[103:104]
	v_fma_f64 v[99:100], v[101:102], v[97:98], v[99:100]
	v_add_f64 v[63:64], v[63:64], -v[99:100]
	;; [unrolled: 8-line block ×17, first 2 shown]
	ds_read2_b64 v[99:102], v125 offset0:84 offset1:85
	s_waitcnt lgkmcnt(0)
	v_mul_f64 v[103:104], v[101:102], v[89:90]
	v_fma_f64 v[103:104], v[99:100], v[97:98], -v[103:104]
	v_mul_f64 v[99:100], v[99:100], v[89:90]
	buffer_store_dword v87, off, s[20:23], 0 offset:80 ; 4-byte Folded Spill
	s_nop 0
	buffer_store_dword v88, off, s[20:23], 0 offset:84 ; 4-byte Folded Spill
	buffer_store_dword v89, off, s[20:23], 0 offset:88 ; 4-byte Folded Spill
	;; [unrolled: 1-line block ×3, first 2 shown]
	v_add_f64 v[121:122], v[121:122], -v[103:104]
	v_fma_f64 v[99:100], v[101:102], v[97:98], v[99:100]
	v_add_f64 v[123:124], v[123:124], -v[99:100]
.LBB85_145:
	s_or_b64 exec, exec, s[2:3]
	v_cmp_eq_u32_e32 vcc, 16, v0
	s_waitcnt vmcnt(0)
	s_barrier
	s_and_saveexec_b64 s[4:5], vcc
	s_cbranch_execz .LBB85_152
; %bb.146:
	buffer_load_dword v81, off, s[20:23], 0 offset:64 ; 4-byte Folded Reload
	buffer_load_dword v82, off, s[20:23], 0 offset:68 ; 4-byte Folded Reload
	;; [unrolled: 1-line block ×4, first 2 shown]
	s_waitcnt vmcnt(0)
	ds_write2_b64 v127, v[81:82], v[83:84] offset1:1
	ds_write2_b64 v125, v[117:118], v[119:120] offset0:34 offset1:35
	ds_write2_b64 v125, v[113:114], v[115:116] offset0:36 offset1:37
	buffer_load_dword v81, off, s[20:23], 0 offset:48 ; 4-byte Folded Reload
	buffer_load_dword v82, off, s[20:23], 0 offset:52 ; 4-byte Folded Reload
	;; [unrolled: 1-line block ×4, first 2 shown]
	s_waitcnt vmcnt(0)
	ds_write2_b64 v125, v[81:82], v[83:84] offset0:38 offset1:39
	ds_write2_b64 v125, v[77:78], v[79:80] offset0:40 offset1:41
	;; [unrolled: 1-line block ×3, first 2 shown]
	buffer_load_dword v85, off, s[20:23], 0 offset:32 ; 4-byte Folded Reload
	buffer_load_dword v86, off, s[20:23], 0 offset:36 ; 4-byte Folded Reload
	;; [unrolled: 1-line block ×4, first 2 shown]
	s_waitcnt vmcnt(0)
	ds_write2_b64 v125, v[85:86], v[87:88] offset0:44 offset1:45
	buffer_load_dword v73, off, s[20:23], 0 offset:16 ; 4-byte Folded Reload
	buffer_load_dword v74, off, s[20:23], 0 offset:20 ; 4-byte Folded Reload
	;; [unrolled: 1-line block ×4, first 2 shown]
	s_waitcnt vmcnt(0)
	ds_write2_b64 v125, v[73:74], v[75:76] offset0:46 offset1:47
	buffer_load_dword v69, off, s[20:23], 0 ; 4-byte Folded Reload
	buffer_load_dword v70, off, s[20:23], 0 offset:4 ; 4-byte Folded Reload
	buffer_load_dword v71, off, s[20:23], 0 offset:8 ; 4-byte Folded Reload
	;; [unrolled: 1-line block ×3, first 2 shown]
	s_waitcnt vmcnt(0)
	ds_write2_b64 v125, v[69:70], v[71:72] offset0:48 offset1:49
	ds_write2_b64 v125, v[65:66], v[67:68] offset0:50 offset1:51
	;; [unrolled: 1-line block ×19, first 2 shown]
	ds_read2_b64 v[97:100], v127 offset1:1
	s_waitcnt lgkmcnt(0)
	v_cmp_neq_f64_e32 vcc, 0, v[97:98]
	v_cmp_neq_f64_e64 s[2:3], 0, v[99:100]
	s_or_b64 s[2:3], vcc, s[2:3]
	s_and_b64 exec, exec, s[2:3]
	s_cbranch_execz .LBB85_152
; %bb.147:
	v_cmp_ngt_f64_e64 s[2:3], |v[97:98]|, |v[99:100]|
                                        ; implicit-def: $vgpr101_vgpr102
	s_and_saveexec_b64 s[6:7], s[2:3]
	s_xor_b64 s[2:3], exec, s[6:7]
                                        ; implicit-def: $vgpr103_vgpr104
	s_cbranch_execz .LBB85_149
; %bb.148:
	v_div_scale_f64 v[101:102], s[6:7], v[99:100], v[99:100], v[97:98]
	v_rcp_f64_e32 v[103:104], v[101:102]
	v_fma_f64 v[105:106], -v[101:102], v[103:104], 1.0
	v_fma_f64 v[103:104], v[103:104], v[105:106], v[103:104]
	v_div_scale_f64 v[105:106], vcc, v[97:98], v[99:100], v[97:98]
	v_fma_f64 v[107:108], -v[101:102], v[103:104], 1.0
	v_fma_f64 v[103:104], v[103:104], v[107:108], v[103:104]
	v_mul_f64 v[107:108], v[105:106], v[103:104]
	v_fma_f64 v[101:102], -v[101:102], v[107:108], v[105:106]
	v_div_fmas_f64 v[101:102], v[101:102], v[103:104], v[107:108]
	v_div_fixup_f64 v[101:102], v[101:102], v[99:100], v[97:98]
	v_fma_f64 v[97:98], v[97:98], v[101:102], v[99:100]
	v_div_scale_f64 v[99:100], s[6:7], v[97:98], v[97:98], 1.0
	v_div_scale_f64 v[107:108], vcc, 1.0, v[97:98], 1.0
	v_rcp_f64_e32 v[103:104], v[99:100]
	v_fma_f64 v[105:106], -v[99:100], v[103:104], 1.0
	v_fma_f64 v[103:104], v[103:104], v[105:106], v[103:104]
	v_fma_f64 v[105:106], -v[99:100], v[103:104], 1.0
	v_fma_f64 v[103:104], v[103:104], v[105:106], v[103:104]
	v_mul_f64 v[105:106], v[107:108], v[103:104]
	v_fma_f64 v[99:100], -v[99:100], v[105:106], v[107:108]
	v_div_fmas_f64 v[99:100], v[99:100], v[103:104], v[105:106]
	v_div_fixup_f64 v[103:104], v[99:100], v[97:98], 1.0
                                        ; implicit-def: $vgpr97_vgpr98
	v_mul_f64 v[101:102], v[101:102], v[103:104]
	v_xor_b32_e32 v104, 0x80000000, v104
.LBB85_149:
	s_andn2_saveexec_b64 s[2:3], s[2:3]
	s_cbranch_execz .LBB85_151
; %bb.150:
	v_div_scale_f64 v[101:102], s[6:7], v[97:98], v[97:98], v[99:100]
	v_rcp_f64_e32 v[103:104], v[101:102]
	v_fma_f64 v[105:106], -v[101:102], v[103:104], 1.0
	v_fma_f64 v[103:104], v[103:104], v[105:106], v[103:104]
	v_div_scale_f64 v[105:106], vcc, v[99:100], v[97:98], v[99:100]
	v_fma_f64 v[107:108], -v[101:102], v[103:104], 1.0
	v_fma_f64 v[103:104], v[103:104], v[107:108], v[103:104]
	v_mul_f64 v[107:108], v[105:106], v[103:104]
	v_fma_f64 v[101:102], -v[101:102], v[107:108], v[105:106]
	v_div_fmas_f64 v[101:102], v[101:102], v[103:104], v[107:108]
	v_div_fixup_f64 v[103:104], v[101:102], v[97:98], v[99:100]
	v_fma_f64 v[97:98], v[99:100], v[103:104], v[97:98]
	v_div_scale_f64 v[99:100], s[6:7], v[97:98], v[97:98], 1.0
	v_div_scale_f64 v[107:108], vcc, 1.0, v[97:98], 1.0
	v_rcp_f64_e32 v[101:102], v[99:100]
	v_fma_f64 v[105:106], -v[99:100], v[101:102], 1.0
	v_fma_f64 v[101:102], v[101:102], v[105:106], v[101:102]
	v_fma_f64 v[105:106], -v[99:100], v[101:102], 1.0
	v_fma_f64 v[101:102], v[101:102], v[105:106], v[101:102]
	v_mul_f64 v[105:106], v[107:108], v[101:102]
	v_fma_f64 v[99:100], -v[99:100], v[105:106], v[107:108]
	v_div_fmas_f64 v[99:100], v[99:100], v[101:102], v[105:106]
	v_div_fixup_f64 v[101:102], v[99:100], v[97:98], 1.0
	v_mul_f64 v[103:104], v[103:104], -v[101:102]
.LBB85_151:
	s_or_b64 exec, exec, s[2:3]
	ds_write2_b64 v127, v[101:102], v[103:104] offset1:1
.LBB85_152:
	s_or_b64 exec, exec, s[4:5]
	s_waitcnt lgkmcnt(0)
	s_barrier
	ds_read2_b64 v[81:84], v127 offset1:1
	v_cmp_lt_u32_e32 vcc, 16, v0
	s_waitcnt lgkmcnt(0)
	buffer_store_dword v81, off, s[20:23], 0 offset:960 ; 4-byte Folded Spill
	s_nop 0
	buffer_store_dword v82, off, s[20:23], 0 offset:964 ; 4-byte Folded Spill
	buffer_store_dword v83, off, s[20:23], 0 offset:968 ; 4-byte Folded Spill
	;; [unrolled: 1-line block ×3, first 2 shown]
	s_and_saveexec_b64 s[2:3], vcc
	s_cbranch_execz .LBB85_154
; %bb.153:
	buffer_load_dword v87, off, s[20:23], 0 offset:64 ; 4-byte Folded Reload
	buffer_load_dword v88, off, s[20:23], 0 offset:68 ; 4-byte Folded Reload
	;; [unrolled: 1-line block ×8, first 2 shown]
	s_waitcnt vmcnt(2)
	v_mul_f64 v[99:100], v[81:82], v[89:90]
	s_waitcnt vmcnt(0)
	v_mul_f64 v[97:98], v[83:84], v[89:90]
	v_fma_f64 v[89:90], v[83:84], v[87:88], v[99:100]
	ds_read2_b64 v[99:102], v125 offset0:34 offset1:35
	v_fma_f64 v[97:98], v[81:82], v[87:88], -v[97:98]
	s_waitcnt lgkmcnt(0)
	v_mul_f64 v[103:104], v[101:102], v[89:90]
	v_fma_f64 v[103:104], v[99:100], v[97:98], -v[103:104]
	v_mul_f64 v[99:100], v[99:100], v[89:90]
	v_add_f64 v[117:118], v[117:118], -v[103:104]
	v_fma_f64 v[99:100], v[101:102], v[97:98], v[99:100]
	v_add_f64 v[119:120], v[119:120], -v[99:100]
	ds_read2_b64 v[99:102], v125 offset0:36 offset1:37
	s_waitcnt lgkmcnt(0)
	v_mul_f64 v[103:104], v[101:102], v[89:90]
	v_fma_f64 v[103:104], v[99:100], v[97:98], -v[103:104]
	v_mul_f64 v[99:100], v[99:100], v[89:90]
	v_add_f64 v[113:114], v[113:114], -v[103:104]
	v_fma_f64 v[99:100], v[101:102], v[97:98], v[99:100]
	v_add_f64 v[115:116], v[115:116], -v[99:100]
	ds_read2_b64 v[99:102], v125 offset0:38 offset1:39
	buffer_load_dword v81, off, s[20:23], 0 offset:48 ; 4-byte Folded Reload
	buffer_load_dword v82, off, s[20:23], 0 offset:52 ; 4-byte Folded Reload
	;; [unrolled: 1-line block ×4, first 2 shown]
	s_waitcnt lgkmcnt(0)
	v_mul_f64 v[103:104], v[101:102], v[89:90]
	v_fma_f64 v[103:104], v[99:100], v[97:98], -v[103:104]
	v_mul_f64 v[99:100], v[99:100], v[89:90]
	v_fma_f64 v[99:100], v[101:102], v[97:98], v[99:100]
	s_waitcnt vmcnt(2)
	v_add_f64 v[81:82], v[81:82], -v[103:104]
	s_waitcnt vmcnt(0)
	v_add_f64 v[83:84], v[83:84], -v[99:100]
	buffer_store_dword v81, off, s[20:23], 0 offset:48 ; 4-byte Folded Spill
	s_nop 0
	buffer_store_dword v82, off, s[20:23], 0 offset:52 ; 4-byte Folded Spill
	buffer_store_dword v83, off, s[20:23], 0 offset:56 ; 4-byte Folded Spill
	;; [unrolled: 1-line block ×3, first 2 shown]
	ds_read2_b64 v[99:102], v125 offset0:40 offset1:41
	s_waitcnt lgkmcnt(0)
	v_mul_f64 v[103:104], v[101:102], v[89:90]
	v_fma_f64 v[103:104], v[99:100], v[97:98], -v[103:104]
	v_mul_f64 v[99:100], v[99:100], v[89:90]
	v_add_f64 v[77:78], v[77:78], -v[103:104]
	v_fma_f64 v[99:100], v[101:102], v[97:98], v[99:100]
	v_add_f64 v[79:80], v[79:80], -v[99:100]
	ds_read2_b64 v[99:102], v125 offset0:42 offset1:43
	s_waitcnt lgkmcnt(0)
	v_mul_f64 v[103:104], v[101:102], v[89:90]
	v_fma_f64 v[103:104], v[99:100], v[97:98], -v[103:104]
	v_mul_f64 v[99:100], v[99:100], v[89:90]
	v_add_f64 v[93:94], v[93:94], -v[103:104]
	v_fma_f64 v[99:100], v[101:102], v[97:98], v[99:100]
	v_add_f64 v[95:96], v[95:96], -v[99:100]
	ds_read2_b64 v[99:102], v125 offset0:44 offset1:45
	buffer_load_dword v85, off, s[20:23], 0 offset:32 ; 4-byte Folded Reload
	buffer_load_dword v86, off, s[20:23], 0 offset:36 ; 4-byte Folded Reload
	;; [unrolled: 1-line block ×4, first 2 shown]
	s_waitcnt lgkmcnt(0)
	v_mul_f64 v[103:104], v[101:102], v[89:90]
	v_fma_f64 v[103:104], v[99:100], v[97:98], -v[103:104]
	v_mul_f64 v[99:100], v[99:100], v[89:90]
	v_fma_f64 v[99:100], v[101:102], v[97:98], v[99:100]
	s_waitcnt vmcnt(2)
	v_add_f64 v[85:86], v[85:86], -v[103:104]
	s_waitcnt vmcnt(0)
	v_add_f64 v[87:88], v[87:88], -v[99:100]
	buffer_store_dword v85, off, s[20:23], 0 offset:32 ; 4-byte Folded Spill
	s_nop 0
	buffer_store_dword v86, off, s[20:23], 0 offset:36 ; 4-byte Folded Spill
	buffer_store_dword v87, off, s[20:23], 0 offset:40 ; 4-byte Folded Spill
	;; [unrolled: 1-line block ×3, first 2 shown]
	ds_read2_b64 v[99:102], v125 offset0:46 offset1:47
	buffer_load_dword v73, off, s[20:23], 0 offset:16 ; 4-byte Folded Reload
	buffer_load_dword v74, off, s[20:23], 0 offset:20 ; 4-byte Folded Reload
	;; [unrolled: 1-line block ×4, first 2 shown]
	v_mov_b32_e32 v87, v97
	v_mov_b32_e32 v88, v98
	s_waitcnt lgkmcnt(0)
	v_mul_f64 v[103:104], v[101:102], v[89:90]
	v_fma_f64 v[103:104], v[99:100], v[97:98], -v[103:104]
	v_mul_f64 v[99:100], v[99:100], v[89:90]
	v_fma_f64 v[99:100], v[101:102], v[97:98], v[99:100]
	s_waitcnt vmcnt(2)
	v_add_f64 v[73:74], v[73:74], -v[103:104]
	s_waitcnt vmcnt(0)
	v_add_f64 v[75:76], v[75:76], -v[99:100]
	buffer_store_dword v73, off, s[20:23], 0 offset:16 ; 4-byte Folded Spill
	s_nop 0
	buffer_store_dword v74, off, s[20:23], 0 offset:20 ; 4-byte Folded Spill
	buffer_store_dword v75, off, s[20:23], 0 offset:24 ; 4-byte Folded Spill
	;; [unrolled: 1-line block ×3, first 2 shown]
	ds_read2_b64 v[99:102], v125 offset0:48 offset1:49
	buffer_load_dword v69, off, s[20:23], 0 ; 4-byte Folded Reload
	buffer_load_dword v70, off, s[20:23], 0 offset:4 ; 4-byte Folded Reload
	buffer_load_dword v71, off, s[20:23], 0 offset:8 ; 4-byte Folded Reload
	;; [unrolled: 1-line block ×3, first 2 shown]
	s_waitcnt lgkmcnt(0)
	v_mul_f64 v[103:104], v[101:102], v[89:90]
	v_fma_f64 v[103:104], v[99:100], v[97:98], -v[103:104]
	v_mul_f64 v[99:100], v[99:100], v[89:90]
	v_fma_f64 v[99:100], v[101:102], v[97:98], v[99:100]
	s_waitcnt vmcnt(2)
	v_add_f64 v[69:70], v[69:70], -v[103:104]
	s_waitcnt vmcnt(0)
	v_add_f64 v[71:72], v[71:72], -v[99:100]
	buffer_store_dword v69, off, s[20:23], 0 ; 4-byte Folded Spill
	s_nop 0
	buffer_store_dword v70, off, s[20:23], 0 offset:4 ; 4-byte Folded Spill
	buffer_store_dword v71, off, s[20:23], 0 offset:8 ; 4-byte Folded Spill
	;; [unrolled: 1-line block ×3, first 2 shown]
	ds_read2_b64 v[99:102], v125 offset0:50 offset1:51
	s_waitcnt lgkmcnt(0)
	v_mul_f64 v[103:104], v[101:102], v[89:90]
	v_fma_f64 v[103:104], v[99:100], v[97:98], -v[103:104]
	v_mul_f64 v[99:100], v[99:100], v[89:90]
	v_add_f64 v[65:66], v[65:66], -v[103:104]
	v_fma_f64 v[99:100], v[101:102], v[97:98], v[99:100]
	v_add_f64 v[67:68], v[67:68], -v[99:100]
	ds_read2_b64 v[99:102], v125 offset0:52 offset1:53
	s_waitcnt lgkmcnt(0)
	v_mul_f64 v[103:104], v[101:102], v[89:90]
	v_fma_f64 v[103:104], v[99:100], v[97:98], -v[103:104]
	v_mul_f64 v[99:100], v[99:100], v[89:90]
	v_add_f64 v[61:62], v[61:62], -v[103:104]
	v_fma_f64 v[99:100], v[101:102], v[97:98], v[99:100]
	v_add_f64 v[63:64], v[63:64], -v[99:100]
	ds_read2_b64 v[99:102], v125 offset0:54 offset1:55
	s_waitcnt lgkmcnt(0)
	v_mul_f64 v[103:104], v[101:102], v[89:90]
	v_fma_f64 v[103:104], v[99:100], v[97:98], -v[103:104]
	v_mul_f64 v[99:100], v[99:100], v[89:90]
	v_add_f64 v[57:58], v[57:58], -v[103:104]
	v_fma_f64 v[99:100], v[101:102], v[97:98], v[99:100]
	v_add_f64 v[59:60], v[59:60], -v[99:100]
	ds_read2_b64 v[99:102], v125 offset0:56 offset1:57
	s_waitcnt lgkmcnt(0)
	v_mul_f64 v[103:104], v[101:102], v[89:90]
	v_fma_f64 v[103:104], v[99:100], v[97:98], -v[103:104]
	v_mul_f64 v[99:100], v[99:100], v[89:90]
	v_add_f64 v[53:54], v[53:54], -v[103:104]
	v_fma_f64 v[99:100], v[101:102], v[97:98], v[99:100]
	v_add_f64 v[55:56], v[55:56], -v[99:100]
	ds_read2_b64 v[99:102], v125 offset0:58 offset1:59
	s_waitcnt lgkmcnt(0)
	v_mul_f64 v[103:104], v[101:102], v[89:90]
	v_fma_f64 v[103:104], v[99:100], v[97:98], -v[103:104]
	v_mul_f64 v[99:100], v[99:100], v[89:90]
	v_add_f64 v[49:50], v[49:50], -v[103:104]
	v_fma_f64 v[99:100], v[101:102], v[97:98], v[99:100]
	v_add_f64 v[51:52], v[51:52], -v[99:100]
	ds_read2_b64 v[99:102], v125 offset0:60 offset1:61
	s_waitcnt lgkmcnt(0)
	v_mul_f64 v[103:104], v[101:102], v[89:90]
	v_fma_f64 v[103:104], v[99:100], v[97:98], -v[103:104]
	v_mul_f64 v[99:100], v[99:100], v[89:90]
	v_add_f64 v[45:46], v[45:46], -v[103:104]
	v_fma_f64 v[99:100], v[101:102], v[97:98], v[99:100]
	v_add_f64 v[47:48], v[47:48], -v[99:100]
	ds_read2_b64 v[99:102], v125 offset0:62 offset1:63
	s_waitcnt lgkmcnt(0)
	v_mul_f64 v[103:104], v[101:102], v[89:90]
	v_fma_f64 v[103:104], v[99:100], v[97:98], -v[103:104]
	v_mul_f64 v[99:100], v[99:100], v[89:90]
	v_add_f64 v[41:42], v[41:42], -v[103:104]
	v_fma_f64 v[99:100], v[101:102], v[97:98], v[99:100]
	v_add_f64 v[43:44], v[43:44], -v[99:100]
	ds_read2_b64 v[99:102], v125 offset0:64 offset1:65
	s_waitcnt lgkmcnt(0)
	v_mul_f64 v[103:104], v[101:102], v[89:90]
	v_fma_f64 v[103:104], v[99:100], v[97:98], -v[103:104]
	v_mul_f64 v[99:100], v[99:100], v[89:90]
	v_add_f64 v[37:38], v[37:38], -v[103:104]
	v_fma_f64 v[99:100], v[101:102], v[97:98], v[99:100]
	v_add_f64 v[39:40], v[39:40], -v[99:100]
	ds_read2_b64 v[99:102], v125 offset0:66 offset1:67
	s_waitcnt lgkmcnt(0)
	v_mul_f64 v[103:104], v[101:102], v[89:90]
	v_fma_f64 v[103:104], v[99:100], v[97:98], -v[103:104]
	v_mul_f64 v[99:100], v[99:100], v[89:90]
	v_add_f64 v[33:34], v[33:34], -v[103:104]
	v_fma_f64 v[99:100], v[101:102], v[97:98], v[99:100]
	v_add_f64 v[35:36], v[35:36], -v[99:100]
	ds_read2_b64 v[99:102], v125 offset0:68 offset1:69
	s_waitcnt lgkmcnt(0)
	v_mul_f64 v[103:104], v[101:102], v[89:90]
	v_fma_f64 v[103:104], v[99:100], v[97:98], -v[103:104]
	v_mul_f64 v[99:100], v[99:100], v[89:90]
	v_add_f64 v[29:30], v[29:30], -v[103:104]
	v_fma_f64 v[99:100], v[101:102], v[97:98], v[99:100]
	v_add_f64 v[31:32], v[31:32], -v[99:100]
	ds_read2_b64 v[99:102], v125 offset0:70 offset1:71
	s_waitcnt lgkmcnt(0)
	v_mul_f64 v[103:104], v[101:102], v[89:90]
	v_fma_f64 v[103:104], v[99:100], v[97:98], -v[103:104]
	v_mul_f64 v[99:100], v[99:100], v[89:90]
	v_add_f64 v[25:26], v[25:26], -v[103:104]
	v_fma_f64 v[99:100], v[101:102], v[97:98], v[99:100]
	v_add_f64 v[27:28], v[27:28], -v[99:100]
	ds_read2_b64 v[99:102], v125 offset0:72 offset1:73
	s_waitcnt lgkmcnt(0)
	v_mul_f64 v[103:104], v[101:102], v[89:90]
	v_fma_f64 v[103:104], v[99:100], v[97:98], -v[103:104]
	v_mul_f64 v[99:100], v[99:100], v[89:90]
	v_add_f64 v[21:22], v[21:22], -v[103:104]
	v_fma_f64 v[99:100], v[101:102], v[97:98], v[99:100]
	v_add_f64 v[23:24], v[23:24], -v[99:100]
	ds_read2_b64 v[99:102], v125 offset0:74 offset1:75
	s_waitcnt lgkmcnt(0)
	v_mul_f64 v[103:104], v[101:102], v[89:90]
	v_fma_f64 v[103:104], v[99:100], v[97:98], -v[103:104]
	v_mul_f64 v[99:100], v[99:100], v[89:90]
	v_add_f64 v[17:18], v[17:18], -v[103:104]
	v_fma_f64 v[99:100], v[101:102], v[97:98], v[99:100]
	v_add_f64 v[19:20], v[19:20], -v[99:100]
	ds_read2_b64 v[99:102], v125 offset0:76 offset1:77
	s_waitcnt lgkmcnt(0)
	v_mul_f64 v[103:104], v[101:102], v[89:90]
	v_fma_f64 v[103:104], v[99:100], v[97:98], -v[103:104]
	v_mul_f64 v[99:100], v[99:100], v[89:90]
	v_add_f64 v[13:14], v[13:14], -v[103:104]
	v_fma_f64 v[99:100], v[101:102], v[97:98], v[99:100]
	v_add_f64 v[15:16], v[15:16], -v[99:100]
	ds_read2_b64 v[99:102], v125 offset0:78 offset1:79
	s_waitcnt lgkmcnt(0)
	v_mul_f64 v[103:104], v[101:102], v[89:90]
	v_fma_f64 v[103:104], v[99:100], v[97:98], -v[103:104]
	v_mul_f64 v[99:100], v[99:100], v[89:90]
	v_add_f64 v[9:10], v[9:10], -v[103:104]
	v_fma_f64 v[99:100], v[101:102], v[97:98], v[99:100]
	v_add_f64 v[11:12], v[11:12], -v[99:100]
	ds_read2_b64 v[99:102], v125 offset0:80 offset1:81
	s_waitcnt lgkmcnt(0)
	v_mul_f64 v[103:104], v[101:102], v[89:90]
	v_fma_f64 v[103:104], v[99:100], v[97:98], -v[103:104]
	v_mul_f64 v[99:100], v[99:100], v[89:90]
	v_add_f64 v[5:6], v[5:6], -v[103:104]
	v_fma_f64 v[99:100], v[101:102], v[97:98], v[99:100]
	v_add_f64 v[7:8], v[7:8], -v[99:100]
	ds_read2_b64 v[99:102], v125 offset0:82 offset1:83
	s_waitcnt lgkmcnt(0)
	v_mul_f64 v[103:104], v[101:102], v[89:90]
	v_fma_f64 v[103:104], v[99:100], v[97:98], -v[103:104]
	v_mul_f64 v[99:100], v[99:100], v[89:90]
	v_add_f64 v[1:2], v[1:2], -v[103:104]
	v_fma_f64 v[99:100], v[101:102], v[97:98], v[99:100]
	v_add_f64 v[3:4], v[3:4], -v[99:100]
	ds_read2_b64 v[99:102], v125 offset0:84 offset1:85
	s_waitcnt lgkmcnt(0)
	v_mul_f64 v[103:104], v[101:102], v[89:90]
	v_fma_f64 v[103:104], v[99:100], v[97:98], -v[103:104]
	v_mul_f64 v[99:100], v[99:100], v[89:90]
	buffer_store_dword v87, off, s[20:23], 0 offset:64 ; 4-byte Folded Spill
	s_nop 0
	buffer_store_dword v88, off, s[20:23], 0 offset:68 ; 4-byte Folded Spill
	buffer_store_dword v89, off, s[20:23], 0 offset:72 ; 4-byte Folded Spill
	;; [unrolled: 1-line block ×3, first 2 shown]
	v_add_f64 v[121:122], v[121:122], -v[103:104]
	v_fma_f64 v[99:100], v[101:102], v[97:98], v[99:100]
	v_add_f64 v[123:124], v[123:124], -v[99:100]
.LBB85_154:
	s_or_b64 exec, exec, s[2:3]
	v_cmp_eq_u32_e32 vcc, 17, v0
	s_waitcnt vmcnt(0)
	s_barrier
	s_and_saveexec_b64 s[4:5], vcc
	s_cbranch_execz .LBB85_161
; %bb.155:
	ds_write2_b64 v127, v[117:118], v[119:120] offset1:1
	ds_write2_b64 v125, v[113:114], v[115:116] offset0:36 offset1:37
	buffer_load_dword v81, off, s[20:23], 0 offset:48 ; 4-byte Folded Reload
	buffer_load_dword v82, off, s[20:23], 0 offset:52 ; 4-byte Folded Reload
	buffer_load_dword v83, off, s[20:23], 0 offset:56 ; 4-byte Folded Reload
	buffer_load_dword v84, off, s[20:23], 0 offset:60 ; 4-byte Folded Reload
	s_waitcnt vmcnt(0)
	ds_write2_b64 v125, v[81:82], v[83:84] offset0:38 offset1:39
	ds_write2_b64 v125, v[77:78], v[79:80] offset0:40 offset1:41
	;; [unrolled: 1-line block ×3, first 2 shown]
	buffer_load_dword v85, off, s[20:23], 0 offset:32 ; 4-byte Folded Reload
	buffer_load_dword v86, off, s[20:23], 0 offset:36 ; 4-byte Folded Reload
	buffer_load_dword v87, off, s[20:23], 0 offset:40 ; 4-byte Folded Reload
	buffer_load_dword v88, off, s[20:23], 0 offset:44 ; 4-byte Folded Reload
	s_waitcnt vmcnt(0)
	ds_write2_b64 v125, v[85:86], v[87:88] offset0:44 offset1:45
	buffer_load_dword v73, off, s[20:23], 0 offset:16 ; 4-byte Folded Reload
	buffer_load_dword v74, off, s[20:23], 0 offset:20 ; 4-byte Folded Reload
	;; [unrolled: 1-line block ×4, first 2 shown]
	s_waitcnt vmcnt(0)
	ds_write2_b64 v125, v[73:74], v[75:76] offset0:46 offset1:47
	buffer_load_dword v69, off, s[20:23], 0 ; 4-byte Folded Reload
	buffer_load_dword v70, off, s[20:23], 0 offset:4 ; 4-byte Folded Reload
	buffer_load_dword v71, off, s[20:23], 0 offset:8 ; 4-byte Folded Reload
	;; [unrolled: 1-line block ×3, first 2 shown]
	s_waitcnt vmcnt(0)
	ds_write2_b64 v125, v[69:70], v[71:72] offset0:48 offset1:49
	ds_write2_b64 v125, v[65:66], v[67:68] offset0:50 offset1:51
	;; [unrolled: 1-line block ×19, first 2 shown]
	ds_read2_b64 v[97:100], v127 offset1:1
	s_waitcnt lgkmcnt(0)
	v_cmp_neq_f64_e32 vcc, 0, v[97:98]
	v_cmp_neq_f64_e64 s[2:3], 0, v[99:100]
	s_or_b64 s[2:3], vcc, s[2:3]
	s_and_b64 exec, exec, s[2:3]
	s_cbranch_execz .LBB85_161
; %bb.156:
	v_cmp_ngt_f64_e64 s[2:3], |v[97:98]|, |v[99:100]|
                                        ; implicit-def: $vgpr101_vgpr102
	s_and_saveexec_b64 s[6:7], s[2:3]
	s_xor_b64 s[2:3], exec, s[6:7]
                                        ; implicit-def: $vgpr103_vgpr104
	s_cbranch_execz .LBB85_158
; %bb.157:
	v_div_scale_f64 v[101:102], s[6:7], v[99:100], v[99:100], v[97:98]
	v_rcp_f64_e32 v[103:104], v[101:102]
	v_fma_f64 v[105:106], -v[101:102], v[103:104], 1.0
	v_fma_f64 v[103:104], v[103:104], v[105:106], v[103:104]
	v_div_scale_f64 v[105:106], vcc, v[97:98], v[99:100], v[97:98]
	v_fma_f64 v[107:108], -v[101:102], v[103:104], 1.0
	v_fma_f64 v[103:104], v[103:104], v[107:108], v[103:104]
	v_mul_f64 v[107:108], v[105:106], v[103:104]
	v_fma_f64 v[101:102], -v[101:102], v[107:108], v[105:106]
	v_div_fmas_f64 v[101:102], v[101:102], v[103:104], v[107:108]
	v_div_fixup_f64 v[101:102], v[101:102], v[99:100], v[97:98]
	v_fma_f64 v[97:98], v[97:98], v[101:102], v[99:100]
	v_div_scale_f64 v[99:100], s[6:7], v[97:98], v[97:98], 1.0
	v_div_scale_f64 v[107:108], vcc, 1.0, v[97:98], 1.0
	v_rcp_f64_e32 v[103:104], v[99:100]
	v_fma_f64 v[105:106], -v[99:100], v[103:104], 1.0
	v_fma_f64 v[103:104], v[103:104], v[105:106], v[103:104]
	v_fma_f64 v[105:106], -v[99:100], v[103:104], 1.0
	v_fma_f64 v[103:104], v[103:104], v[105:106], v[103:104]
	v_mul_f64 v[105:106], v[107:108], v[103:104]
	v_fma_f64 v[99:100], -v[99:100], v[105:106], v[107:108]
	v_div_fmas_f64 v[99:100], v[99:100], v[103:104], v[105:106]
	v_div_fixup_f64 v[103:104], v[99:100], v[97:98], 1.0
                                        ; implicit-def: $vgpr97_vgpr98
	v_mul_f64 v[101:102], v[101:102], v[103:104]
	v_xor_b32_e32 v104, 0x80000000, v104
.LBB85_158:
	s_andn2_saveexec_b64 s[2:3], s[2:3]
	s_cbranch_execz .LBB85_160
; %bb.159:
	v_div_scale_f64 v[101:102], s[6:7], v[97:98], v[97:98], v[99:100]
	v_rcp_f64_e32 v[103:104], v[101:102]
	v_fma_f64 v[105:106], -v[101:102], v[103:104], 1.0
	v_fma_f64 v[103:104], v[103:104], v[105:106], v[103:104]
	v_div_scale_f64 v[105:106], vcc, v[99:100], v[97:98], v[99:100]
	v_fma_f64 v[107:108], -v[101:102], v[103:104], 1.0
	v_fma_f64 v[103:104], v[103:104], v[107:108], v[103:104]
	v_mul_f64 v[107:108], v[105:106], v[103:104]
	v_fma_f64 v[101:102], -v[101:102], v[107:108], v[105:106]
	v_div_fmas_f64 v[101:102], v[101:102], v[103:104], v[107:108]
	v_div_fixup_f64 v[103:104], v[101:102], v[97:98], v[99:100]
	v_fma_f64 v[97:98], v[99:100], v[103:104], v[97:98]
	v_div_scale_f64 v[99:100], s[6:7], v[97:98], v[97:98], 1.0
	v_div_scale_f64 v[107:108], vcc, 1.0, v[97:98], 1.0
	v_rcp_f64_e32 v[101:102], v[99:100]
	v_fma_f64 v[105:106], -v[99:100], v[101:102], 1.0
	v_fma_f64 v[101:102], v[101:102], v[105:106], v[101:102]
	v_fma_f64 v[105:106], -v[99:100], v[101:102], 1.0
	v_fma_f64 v[101:102], v[101:102], v[105:106], v[101:102]
	v_mul_f64 v[105:106], v[107:108], v[101:102]
	v_fma_f64 v[99:100], -v[99:100], v[105:106], v[107:108]
	v_div_fmas_f64 v[99:100], v[99:100], v[101:102], v[105:106]
	v_div_fixup_f64 v[101:102], v[99:100], v[97:98], 1.0
	v_mul_f64 v[103:104], v[103:104], -v[101:102]
.LBB85_160:
	s_or_b64 exec, exec, s[2:3]
	ds_write2_b64 v127, v[101:102], v[103:104] offset1:1
.LBB85_161:
	s_or_b64 exec, exec, s[4:5]
	s_waitcnt lgkmcnt(0)
	s_barrier
	ds_read2_b64 v[81:84], v127 offset1:1
	v_cmp_lt_u32_e32 vcc, 17, v0
	s_waitcnt lgkmcnt(0)
	buffer_store_dword v81, off, s[20:23], 0 offset:976 ; 4-byte Folded Spill
	s_nop 0
	buffer_store_dword v82, off, s[20:23], 0 offset:980 ; 4-byte Folded Spill
	buffer_store_dword v83, off, s[20:23], 0 offset:984 ; 4-byte Folded Spill
	buffer_store_dword v84, off, s[20:23], 0 offset:988 ; 4-byte Folded Spill
	s_and_saveexec_b64 s[2:3], vcc
	s_cbranch_execz .LBB85_163
; %bb.162:
	buffer_load_dword v81, off, s[20:23], 0 offset:976 ; 4-byte Folded Reload
	buffer_load_dword v82, off, s[20:23], 0 offset:980 ; 4-byte Folded Reload
	;; [unrolled: 1-line block ×4, first 2 shown]
	s_waitcnt vmcnt(2)
	v_mul_f64 v[99:100], v[81:82], v[119:120]
	s_waitcnt vmcnt(0)
	v_mul_f64 v[97:98], v[83:84], v[119:120]
	v_fma_f64 v[119:120], v[83:84], v[117:118], v[99:100]
	ds_read2_b64 v[99:102], v125 offset0:36 offset1:37
	v_fma_f64 v[97:98], v[81:82], v[117:118], -v[97:98]
	s_waitcnt lgkmcnt(0)
	v_mul_f64 v[103:104], v[101:102], v[119:120]
	v_mov_b32_e32 v118, v98
	v_mov_b32_e32 v117, v97
	v_fma_f64 v[103:104], v[99:100], v[97:98], -v[103:104]
	v_mul_f64 v[99:100], v[99:100], v[119:120]
	v_add_f64 v[113:114], v[113:114], -v[103:104]
	v_fma_f64 v[99:100], v[101:102], v[97:98], v[99:100]
	v_add_f64 v[115:116], v[115:116], -v[99:100]
	ds_read2_b64 v[99:102], v125 offset0:38 offset1:39
	buffer_load_dword v81, off, s[20:23], 0 offset:48 ; 4-byte Folded Reload
	buffer_load_dword v82, off, s[20:23], 0 offset:52 ; 4-byte Folded Reload
	;; [unrolled: 1-line block ×4, first 2 shown]
	s_waitcnt lgkmcnt(0)
	v_mul_f64 v[103:104], v[101:102], v[119:120]
	v_fma_f64 v[103:104], v[99:100], v[97:98], -v[103:104]
	v_mul_f64 v[99:100], v[99:100], v[119:120]
	v_fma_f64 v[99:100], v[101:102], v[97:98], v[99:100]
	s_waitcnt vmcnt(2)
	v_add_f64 v[81:82], v[81:82], -v[103:104]
	s_waitcnt vmcnt(0)
	v_add_f64 v[83:84], v[83:84], -v[99:100]
	buffer_store_dword v81, off, s[20:23], 0 offset:48 ; 4-byte Folded Spill
	s_nop 0
	buffer_store_dword v82, off, s[20:23], 0 offset:52 ; 4-byte Folded Spill
	buffer_store_dword v83, off, s[20:23], 0 offset:56 ; 4-byte Folded Spill
	;; [unrolled: 1-line block ×3, first 2 shown]
	ds_read2_b64 v[99:102], v125 offset0:40 offset1:41
	s_waitcnt lgkmcnt(0)
	v_mul_f64 v[103:104], v[101:102], v[119:120]
	v_fma_f64 v[103:104], v[99:100], v[97:98], -v[103:104]
	v_mul_f64 v[99:100], v[99:100], v[119:120]
	v_add_f64 v[77:78], v[77:78], -v[103:104]
	v_fma_f64 v[99:100], v[101:102], v[97:98], v[99:100]
	v_add_f64 v[79:80], v[79:80], -v[99:100]
	ds_read2_b64 v[99:102], v125 offset0:42 offset1:43
	s_waitcnt lgkmcnt(0)
	v_mul_f64 v[103:104], v[101:102], v[119:120]
	v_fma_f64 v[103:104], v[99:100], v[97:98], -v[103:104]
	v_mul_f64 v[99:100], v[99:100], v[119:120]
	v_add_f64 v[93:94], v[93:94], -v[103:104]
	v_fma_f64 v[99:100], v[101:102], v[97:98], v[99:100]
	v_add_f64 v[95:96], v[95:96], -v[99:100]
	ds_read2_b64 v[99:102], v125 offset0:44 offset1:45
	buffer_load_dword v85, off, s[20:23], 0 offset:32 ; 4-byte Folded Reload
	buffer_load_dword v86, off, s[20:23], 0 offset:36 ; 4-byte Folded Reload
	;; [unrolled: 1-line block ×4, first 2 shown]
	s_waitcnt lgkmcnt(0)
	v_mul_f64 v[103:104], v[101:102], v[119:120]
	v_fma_f64 v[103:104], v[99:100], v[97:98], -v[103:104]
	v_mul_f64 v[99:100], v[99:100], v[119:120]
	v_fma_f64 v[99:100], v[101:102], v[97:98], v[99:100]
	s_waitcnt vmcnt(2)
	v_add_f64 v[85:86], v[85:86], -v[103:104]
	s_waitcnt vmcnt(0)
	v_add_f64 v[87:88], v[87:88], -v[99:100]
	buffer_store_dword v85, off, s[20:23], 0 offset:32 ; 4-byte Folded Spill
	s_nop 0
	buffer_store_dword v86, off, s[20:23], 0 offset:36 ; 4-byte Folded Spill
	buffer_store_dword v87, off, s[20:23], 0 offset:40 ; 4-byte Folded Spill
	;; [unrolled: 1-line block ×3, first 2 shown]
	ds_read2_b64 v[99:102], v125 offset0:46 offset1:47
	buffer_load_dword v73, off, s[20:23], 0 offset:16 ; 4-byte Folded Reload
	buffer_load_dword v74, off, s[20:23], 0 offset:20 ; 4-byte Folded Reload
	;; [unrolled: 1-line block ×4, first 2 shown]
	s_waitcnt lgkmcnt(0)
	v_mul_f64 v[103:104], v[101:102], v[119:120]
	v_fma_f64 v[103:104], v[99:100], v[97:98], -v[103:104]
	v_mul_f64 v[99:100], v[99:100], v[119:120]
	v_fma_f64 v[99:100], v[101:102], v[97:98], v[99:100]
	s_waitcnt vmcnt(2)
	v_add_f64 v[73:74], v[73:74], -v[103:104]
	s_waitcnt vmcnt(0)
	v_add_f64 v[75:76], v[75:76], -v[99:100]
	buffer_store_dword v73, off, s[20:23], 0 offset:16 ; 4-byte Folded Spill
	s_nop 0
	buffer_store_dword v74, off, s[20:23], 0 offset:20 ; 4-byte Folded Spill
	buffer_store_dword v75, off, s[20:23], 0 offset:24 ; 4-byte Folded Spill
	;; [unrolled: 1-line block ×3, first 2 shown]
	ds_read2_b64 v[99:102], v125 offset0:48 offset1:49
	buffer_load_dword v69, off, s[20:23], 0 ; 4-byte Folded Reload
	buffer_load_dword v70, off, s[20:23], 0 offset:4 ; 4-byte Folded Reload
	buffer_load_dword v71, off, s[20:23], 0 offset:8 ; 4-byte Folded Reload
	;; [unrolled: 1-line block ×3, first 2 shown]
	s_waitcnt lgkmcnt(0)
	v_mul_f64 v[103:104], v[101:102], v[119:120]
	v_fma_f64 v[103:104], v[99:100], v[97:98], -v[103:104]
	v_mul_f64 v[99:100], v[99:100], v[119:120]
	v_fma_f64 v[99:100], v[101:102], v[97:98], v[99:100]
	s_waitcnt vmcnt(2)
	v_add_f64 v[69:70], v[69:70], -v[103:104]
	s_waitcnt vmcnt(0)
	v_add_f64 v[71:72], v[71:72], -v[99:100]
	buffer_store_dword v69, off, s[20:23], 0 ; 4-byte Folded Spill
	s_nop 0
	buffer_store_dword v70, off, s[20:23], 0 offset:4 ; 4-byte Folded Spill
	buffer_store_dword v71, off, s[20:23], 0 offset:8 ; 4-byte Folded Spill
	;; [unrolled: 1-line block ×3, first 2 shown]
	ds_read2_b64 v[99:102], v125 offset0:50 offset1:51
	s_waitcnt lgkmcnt(0)
	v_mul_f64 v[103:104], v[101:102], v[119:120]
	v_fma_f64 v[103:104], v[99:100], v[97:98], -v[103:104]
	v_mul_f64 v[99:100], v[99:100], v[119:120]
	v_add_f64 v[65:66], v[65:66], -v[103:104]
	v_fma_f64 v[99:100], v[101:102], v[97:98], v[99:100]
	v_add_f64 v[67:68], v[67:68], -v[99:100]
	ds_read2_b64 v[99:102], v125 offset0:52 offset1:53
	s_waitcnt lgkmcnt(0)
	v_mul_f64 v[103:104], v[101:102], v[119:120]
	v_fma_f64 v[103:104], v[99:100], v[97:98], -v[103:104]
	v_mul_f64 v[99:100], v[99:100], v[119:120]
	v_add_f64 v[61:62], v[61:62], -v[103:104]
	v_fma_f64 v[99:100], v[101:102], v[97:98], v[99:100]
	v_add_f64 v[63:64], v[63:64], -v[99:100]
	;; [unrolled: 8-line block ×18, first 2 shown]
.LBB85_163:
	s_or_b64 exec, exec, s[2:3]
	v_cmp_eq_u32_e32 vcc, 18, v0
	s_waitcnt vmcnt(0)
	s_barrier
	s_and_saveexec_b64 s[4:5], vcc
	s_cbranch_execz .LBB85_170
; %bb.164:
	ds_write2_b64 v127, v[113:114], v[115:116] offset1:1
	buffer_load_dword v81, off, s[20:23], 0 offset:48 ; 4-byte Folded Reload
	buffer_load_dword v82, off, s[20:23], 0 offset:52 ; 4-byte Folded Reload
	;; [unrolled: 1-line block ×4, first 2 shown]
	s_waitcnt vmcnt(0)
	ds_write2_b64 v125, v[81:82], v[83:84] offset0:38 offset1:39
	ds_write2_b64 v125, v[77:78], v[79:80] offset0:40 offset1:41
	;; [unrolled: 1-line block ×3, first 2 shown]
	buffer_load_dword v85, off, s[20:23], 0 offset:32 ; 4-byte Folded Reload
	buffer_load_dword v86, off, s[20:23], 0 offset:36 ; 4-byte Folded Reload
	;; [unrolled: 1-line block ×4, first 2 shown]
	s_waitcnt vmcnt(0)
	ds_write2_b64 v125, v[85:86], v[87:88] offset0:44 offset1:45
	buffer_load_dword v73, off, s[20:23], 0 offset:16 ; 4-byte Folded Reload
	buffer_load_dword v74, off, s[20:23], 0 offset:20 ; 4-byte Folded Reload
	buffer_load_dword v75, off, s[20:23], 0 offset:24 ; 4-byte Folded Reload
	buffer_load_dword v76, off, s[20:23], 0 offset:28 ; 4-byte Folded Reload
	s_waitcnt vmcnt(0)
	ds_write2_b64 v125, v[73:74], v[75:76] offset0:46 offset1:47
	buffer_load_dword v69, off, s[20:23], 0 ; 4-byte Folded Reload
	buffer_load_dword v70, off, s[20:23], 0 offset:4 ; 4-byte Folded Reload
	buffer_load_dword v71, off, s[20:23], 0 offset:8 ; 4-byte Folded Reload
	;; [unrolled: 1-line block ×3, first 2 shown]
	s_waitcnt vmcnt(0)
	ds_write2_b64 v125, v[69:70], v[71:72] offset0:48 offset1:49
	ds_write2_b64 v125, v[65:66], v[67:68] offset0:50 offset1:51
	;; [unrolled: 1-line block ×19, first 2 shown]
	ds_read2_b64 v[97:100], v127 offset1:1
	s_waitcnt lgkmcnt(0)
	v_cmp_neq_f64_e32 vcc, 0, v[97:98]
	v_cmp_neq_f64_e64 s[2:3], 0, v[99:100]
	s_or_b64 s[2:3], vcc, s[2:3]
	s_and_b64 exec, exec, s[2:3]
	s_cbranch_execz .LBB85_170
; %bb.165:
	v_cmp_ngt_f64_e64 s[2:3], |v[97:98]|, |v[99:100]|
                                        ; implicit-def: $vgpr101_vgpr102
	s_and_saveexec_b64 s[6:7], s[2:3]
	s_xor_b64 s[2:3], exec, s[6:7]
                                        ; implicit-def: $vgpr103_vgpr104
	s_cbranch_execz .LBB85_167
; %bb.166:
	v_div_scale_f64 v[101:102], s[6:7], v[99:100], v[99:100], v[97:98]
	v_rcp_f64_e32 v[103:104], v[101:102]
	v_fma_f64 v[105:106], -v[101:102], v[103:104], 1.0
	v_fma_f64 v[103:104], v[103:104], v[105:106], v[103:104]
	v_div_scale_f64 v[105:106], vcc, v[97:98], v[99:100], v[97:98]
	v_fma_f64 v[107:108], -v[101:102], v[103:104], 1.0
	v_fma_f64 v[103:104], v[103:104], v[107:108], v[103:104]
	v_mul_f64 v[107:108], v[105:106], v[103:104]
	v_fma_f64 v[101:102], -v[101:102], v[107:108], v[105:106]
	v_div_fmas_f64 v[101:102], v[101:102], v[103:104], v[107:108]
	v_div_fixup_f64 v[101:102], v[101:102], v[99:100], v[97:98]
	v_fma_f64 v[97:98], v[97:98], v[101:102], v[99:100]
	v_div_scale_f64 v[99:100], s[6:7], v[97:98], v[97:98], 1.0
	v_div_scale_f64 v[107:108], vcc, 1.0, v[97:98], 1.0
	v_rcp_f64_e32 v[103:104], v[99:100]
	v_fma_f64 v[105:106], -v[99:100], v[103:104], 1.0
	v_fma_f64 v[103:104], v[103:104], v[105:106], v[103:104]
	v_fma_f64 v[105:106], -v[99:100], v[103:104], 1.0
	v_fma_f64 v[103:104], v[103:104], v[105:106], v[103:104]
	v_mul_f64 v[105:106], v[107:108], v[103:104]
	v_fma_f64 v[99:100], -v[99:100], v[105:106], v[107:108]
	v_div_fmas_f64 v[99:100], v[99:100], v[103:104], v[105:106]
	v_div_fixup_f64 v[103:104], v[99:100], v[97:98], 1.0
                                        ; implicit-def: $vgpr97_vgpr98
	v_mul_f64 v[101:102], v[101:102], v[103:104]
	v_xor_b32_e32 v104, 0x80000000, v104
.LBB85_167:
	s_andn2_saveexec_b64 s[2:3], s[2:3]
	s_cbranch_execz .LBB85_169
; %bb.168:
	v_div_scale_f64 v[101:102], s[6:7], v[97:98], v[97:98], v[99:100]
	v_rcp_f64_e32 v[103:104], v[101:102]
	v_fma_f64 v[105:106], -v[101:102], v[103:104], 1.0
	v_fma_f64 v[103:104], v[103:104], v[105:106], v[103:104]
	v_div_scale_f64 v[105:106], vcc, v[99:100], v[97:98], v[99:100]
	v_fma_f64 v[107:108], -v[101:102], v[103:104], 1.0
	v_fma_f64 v[103:104], v[103:104], v[107:108], v[103:104]
	v_mul_f64 v[107:108], v[105:106], v[103:104]
	v_fma_f64 v[101:102], -v[101:102], v[107:108], v[105:106]
	v_div_fmas_f64 v[101:102], v[101:102], v[103:104], v[107:108]
	v_div_fixup_f64 v[103:104], v[101:102], v[97:98], v[99:100]
	v_fma_f64 v[97:98], v[99:100], v[103:104], v[97:98]
	v_div_scale_f64 v[99:100], s[6:7], v[97:98], v[97:98], 1.0
	v_div_scale_f64 v[107:108], vcc, 1.0, v[97:98], 1.0
	v_rcp_f64_e32 v[101:102], v[99:100]
	v_fma_f64 v[105:106], -v[99:100], v[101:102], 1.0
	v_fma_f64 v[101:102], v[101:102], v[105:106], v[101:102]
	v_fma_f64 v[105:106], -v[99:100], v[101:102], 1.0
	v_fma_f64 v[101:102], v[101:102], v[105:106], v[101:102]
	v_mul_f64 v[105:106], v[107:108], v[101:102]
	v_fma_f64 v[99:100], -v[99:100], v[105:106], v[107:108]
	v_div_fmas_f64 v[99:100], v[99:100], v[101:102], v[105:106]
	v_div_fixup_f64 v[101:102], v[99:100], v[97:98], 1.0
	v_mul_f64 v[103:104], v[103:104], -v[101:102]
.LBB85_169:
	s_or_b64 exec, exec, s[2:3]
	ds_write2_b64 v127, v[101:102], v[103:104] offset1:1
.LBB85_170:
	s_or_b64 exec, exec, s[4:5]
	s_waitcnt lgkmcnt(0)
	s_barrier
	ds_read2_b64 v[81:84], v127 offset1:1
	v_cmp_lt_u32_e32 vcc, 18, v0
	s_waitcnt lgkmcnt(0)
	buffer_store_dword v81, off, s[20:23], 0 offset:992 ; 4-byte Folded Spill
	s_nop 0
	buffer_store_dword v82, off, s[20:23], 0 offset:996 ; 4-byte Folded Spill
	buffer_store_dword v83, off, s[20:23], 0 offset:1000 ; 4-byte Folded Spill
	;; [unrolled: 1-line block ×3, first 2 shown]
	s_and_saveexec_b64 s[2:3], vcc
	s_cbranch_execz .LBB85_172
; %bb.171:
	buffer_load_dword v81, off, s[20:23], 0 offset:992 ; 4-byte Folded Reload
	buffer_load_dword v82, off, s[20:23], 0 offset:996 ; 4-byte Folded Reload
	;; [unrolled: 1-line block ×4, first 2 shown]
	v_mov_b32_e32 v106, v96
	v_mov_b32_e32 v105, v95
	;; [unrolled: 1-line block ×4, first 2 shown]
	ds_read2_b64 v[99:102], v125 offset0:38 offset1:39
	s_waitcnt vmcnt(2)
	v_mul_f64 v[95:96], v[81:82], v[115:116]
	s_waitcnt vmcnt(0)
	v_mul_f64 v[97:98], v[83:84], v[115:116]
	v_fma_f64 v[115:116], v[83:84], v[113:114], v[95:96]
	v_fma_f64 v[97:98], v[81:82], v[113:114], -v[97:98]
	buffer_load_dword v81, off, s[20:23], 0 offset:48 ; 4-byte Folded Reload
	buffer_load_dword v82, off, s[20:23], 0 offset:52 ; 4-byte Folded Reload
	;; [unrolled: 1-line block ×4, first 2 shown]
	s_waitcnt lgkmcnt(0)
	v_mul_f64 v[93:94], v[101:102], v[115:116]
	v_mov_b32_e32 v114, v98
	v_mov_b32_e32 v113, v97
	v_fma_f64 v[93:94], v[99:100], v[97:98], -v[93:94]
	v_mul_f64 v[99:100], v[99:100], v[115:116]
	v_fma_f64 v[99:100], v[101:102], v[97:98], v[99:100]
	s_waitcnt vmcnt(2)
	v_add_f64 v[81:82], v[81:82], -v[93:94]
	s_waitcnt vmcnt(0)
	v_add_f64 v[83:84], v[83:84], -v[99:100]
	buffer_store_dword v81, off, s[20:23], 0 offset:48 ; 4-byte Folded Spill
	s_nop 0
	buffer_store_dword v82, off, s[20:23], 0 offset:52 ; 4-byte Folded Spill
	buffer_store_dword v83, off, s[20:23], 0 offset:56 ; 4-byte Folded Spill
	buffer_store_dword v84, off, s[20:23], 0 offset:60 ; 4-byte Folded Spill
	ds_read2_b64 v[99:102], v125 offset0:40 offset1:41
	s_waitcnt lgkmcnt(0)
	v_mul_f64 v[93:94], v[101:102], v[115:116]
	v_fma_f64 v[93:94], v[99:100], v[97:98], -v[93:94]
	v_mul_f64 v[99:100], v[99:100], v[115:116]
	v_add_f64 v[77:78], v[77:78], -v[93:94]
	v_fma_f64 v[99:100], v[101:102], v[97:98], v[99:100]
	v_add_f64 v[79:80], v[79:80], -v[99:100]
	ds_read2_b64 v[99:102], v125 offset0:42 offset1:43
	s_waitcnt lgkmcnt(0)
	v_mul_f64 v[93:94], v[101:102], v[115:116]
	v_fma_f64 v[93:94], v[99:100], v[97:98], -v[93:94]
	v_mul_f64 v[99:100], v[99:100], v[115:116]
	v_add_f64 v[103:104], v[103:104], -v[93:94]
	v_fma_f64 v[99:100], v[101:102], v[97:98], v[99:100]
	v_add_f64 v[105:106], v[105:106], -v[99:100]
	ds_read2_b64 v[99:102], v125 offset0:44 offset1:45
	buffer_load_dword v85, off, s[20:23], 0 offset:32 ; 4-byte Folded Reload
	buffer_load_dword v86, off, s[20:23], 0 offset:36 ; 4-byte Folded Reload
	;; [unrolled: 1-line block ×4, first 2 shown]
	s_waitcnt lgkmcnt(0)
	v_mul_f64 v[93:94], v[101:102], v[115:116]
	v_fma_f64 v[93:94], v[99:100], v[97:98], -v[93:94]
	v_mul_f64 v[99:100], v[99:100], v[115:116]
	v_fma_f64 v[99:100], v[101:102], v[97:98], v[99:100]
	s_waitcnt vmcnt(2)
	v_add_f64 v[85:86], v[85:86], -v[93:94]
	s_waitcnt vmcnt(0)
	v_add_f64 v[87:88], v[87:88], -v[99:100]
	buffer_store_dword v85, off, s[20:23], 0 offset:32 ; 4-byte Folded Spill
	s_nop 0
	buffer_store_dword v86, off, s[20:23], 0 offset:36 ; 4-byte Folded Spill
	buffer_store_dword v87, off, s[20:23], 0 offset:40 ; 4-byte Folded Spill
	;; [unrolled: 1-line block ×3, first 2 shown]
	ds_read2_b64 v[99:102], v125 offset0:46 offset1:47
	buffer_load_dword v73, off, s[20:23], 0 offset:16 ; 4-byte Folded Reload
	buffer_load_dword v74, off, s[20:23], 0 offset:20 ; 4-byte Folded Reload
	buffer_load_dword v75, off, s[20:23], 0 offset:24 ; 4-byte Folded Reload
	buffer_load_dword v76, off, s[20:23], 0 offset:28 ; 4-byte Folded Reload
	s_waitcnt lgkmcnt(0)
	v_mul_f64 v[93:94], v[101:102], v[115:116]
	v_fma_f64 v[93:94], v[99:100], v[97:98], -v[93:94]
	v_mul_f64 v[99:100], v[99:100], v[115:116]
	v_fma_f64 v[99:100], v[101:102], v[97:98], v[99:100]
	s_waitcnt vmcnt(2)
	v_add_f64 v[73:74], v[73:74], -v[93:94]
	s_waitcnt vmcnt(0)
	v_add_f64 v[75:76], v[75:76], -v[99:100]
	buffer_store_dword v73, off, s[20:23], 0 offset:16 ; 4-byte Folded Spill
	s_nop 0
	buffer_store_dword v74, off, s[20:23], 0 offset:20 ; 4-byte Folded Spill
	buffer_store_dword v75, off, s[20:23], 0 offset:24 ; 4-byte Folded Spill
	buffer_store_dword v76, off, s[20:23], 0 offset:28 ; 4-byte Folded Spill
	ds_read2_b64 v[99:102], v125 offset0:48 offset1:49
	buffer_load_dword v69, off, s[20:23], 0 ; 4-byte Folded Reload
	buffer_load_dword v70, off, s[20:23], 0 offset:4 ; 4-byte Folded Reload
	buffer_load_dword v71, off, s[20:23], 0 offset:8 ; 4-byte Folded Reload
	;; [unrolled: 1-line block ×3, first 2 shown]
	s_waitcnt lgkmcnt(0)
	v_mul_f64 v[93:94], v[101:102], v[115:116]
	v_fma_f64 v[93:94], v[99:100], v[97:98], -v[93:94]
	v_mul_f64 v[99:100], v[99:100], v[115:116]
	v_fma_f64 v[99:100], v[101:102], v[97:98], v[99:100]
	s_waitcnt vmcnt(2)
	v_add_f64 v[69:70], v[69:70], -v[93:94]
	s_waitcnt vmcnt(0)
	v_add_f64 v[71:72], v[71:72], -v[99:100]
	buffer_store_dword v69, off, s[20:23], 0 ; 4-byte Folded Spill
	s_nop 0
	buffer_store_dword v70, off, s[20:23], 0 offset:4 ; 4-byte Folded Spill
	buffer_store_dword v71, off, s[20:23], 0 offset:8 ; 4-byte Folded Spill
	;; [unrolled: 1-line block ×3, first 2 shown]
	ds_read2_b64 v[99:102], v125 offset0:50 offset1:51
	s_waitcnt lgkmcnt(0)
	v_mul_f64 v[93:94], v[101:102], v[115:116]
	v_fma_f64 v[93:94], v[99:100], v[97:98], -v[93:94]
	v_mul_f64 v[99:100], v[99:100], v[115:116]
	v_add_f64 v[65:66], v[65:66], -v[93:94]
	v_fma_f64 v[99:100], v[101:102], v[97:98], v[99:100]
	v_add_f64 v[67:68], v[67:68], -v[99:100]
	ds_read2_b64 v[99:102], v125 offset0:52 offset1:53
	s_waitcnt lgkmcnt(0)
	v_mul_f64 v[93:94], v[101:102], v[115:116]
	v_fma_f64 v[93:94], v[99:100], v[97:98], -v[93:94]
	v_mul_f64 v[99:100], v[99:100], v[115:116]
	v_add_f64 v[61:62], v[61:62], -v[93:94]
	v_fma_f64 v[99:100], v[101:102], v[97:98], v[99:100]
	v_add_f64 v[63:64], v[63:64], -v[99:100]
	;; [unrolled: 8-line block ×17, first 2 shown]
	ds_read2_b64 v[99:102], v125 offset0:84 offset1:85
	s_waitcnt lgkmcnt(0)
	v_mul_f64 v[93:94], v[101:102], v[115:116]
	v_fma_f64 v[93:94], v[99:100], v[97:98], -v[93:94]
	v_mul_f64 v[99:100], v[99:100], v[115:116]
	v_add_f64 v[121:122], v[121:122], -v[93:94]
	v_fma_f64 v[99:100], v[101:102], v[97:98], v[99:100]
	v_mov_b32_e32 v93, v103
	v_mov_b32_e32 v94, v104
	;; [unrolled: 1-line block ×4, first 2 shown]
	v_add_f64 v[123:124], v[123:124], -v[99:100]
.LBB85_172:
	s_or_b64 exec, exec, s[2:3]
	v_cmp_eq_u32_e32 vcc, 19, v0
	s_waitcnt vmcnt(0)
	s_barrier
	s_and_saveexec_b64 s[4:5], vcc
	s_cbranch_execz .LBB85_179
; %bb.173:
	buffer_load_dword v81, off, s[20:23], 0 offset:48 ; 4-byte Folded Reload
	buffer_load_dword v82, off, s[20:23], 0 offset:52 ; 4-byte Folded Reload
	;; [unrolled: 1-line block ×4, first 2 shown]
	s_waitcnt vmcnt(0)
	ds_write2_b64 v127, v[81:82], v[83:84] offset1:1
	ds_write2_b64 v125, v[77:78], v[79:80] offset0:40 offset1:41
	ds_write2_b64 v125, v[93:94], v[95:96] offset0:42 offset1:43
	buffer_load_dword v85, off, s[20:23], 0 offset:32 ; 4-byte Folded Reload
	buffer_load_dword v86, off, s[20:23], 0 offset:36 ; 4-byte Folded Reload
	;; [unrolled: 1-line block ×4, first 2 shown]
	s_waitcnt vmcnt(0)
	ds_write2_b64 v125, v[85:86], v[87:88] offset0:44 offset1:45
	buffer_load_dword v73, off, s[20:23], 0 offset:16 ; 4-byte Folded Reload
	buffer_load_dword v74, off, s[20:23], 0 offset:20 ; 4-byte Folded Reload
	;; [unrolled: 1-line block ×4, first 2 shown]
	s_waitcnt vmcnt(0)
	ds_write2_b64 v125, v[73:74], v[75:76] offset0:46 offset1:47
	buffer_load_dword v69, off, s[20:23], 0 ; 4-byte Folded Reload
	buffer_load_dword v70, off, s[20:23], 0 offset:4 ; 4-byte Folded Reload
	buffer_load_dword v71, off, s[20:23], 0 offset:8 ; 4-byte Folded Reload
	;; [unrolled: 1-line block ×3, first 2 shown]
	s_waitcnt vmcnt(0)
	ds_write2_b64 v125, v[69:70], v[71:72] offset0:48 offset1:49
	ds_write2_b64 v125, v[65:66], v[67:68] offset0:50 offset1:51
	;; [unrolled: 1-line block ×19, first 2 shown]
	ds_read2_b64 v[97:100], v127 offset1:1
	s_waitcnt lgkmcnt(0)
	v_cmp_neq_f64_e32 vcc, 0, v[97:98]
	v_cmp_neq_f64_e64 s[2:3], 0, v[99:100]
	s_or_b64 s[2:3], vcc, s[2:3]
	s_and_b64 exec, exec, s[2:3]
	s_cbranch_execz .LBB85_179
; %bb.174:
	v_cmp_ngt_f64_e64 s[2:3], |v[97:98]|, |v[99:100]|
                                        ; implicit-def: $vgpr101_vgpr102
	s_and_saveexec_b64 s[6:7], s[2:3]
	s_xor_b64 s[2:3], exec, s[6:7]
                                        ; implicit-def: $vgpr103_vgpr104
	s_cbranch_execz .LBB85_176
; %bb.175:
	v_div_scale_f64 v[101:102], s[6:7], v[99:100], v[99:100], v[97:98]
	v_rcp_f64_e32 v[103:104], v[101:102]
	v_fma_f64 v[105:106], -v[101:102], v[103:104], 1.0
	v_fma_f64 v[103:104], v[103:104], v[105:106], v[103:104]
	v_div_scale_f64 v[105:106], vcc, v[97:98], v[99:100], v[97:98]
	v_fma_f64 v[107:108], -v[101:102], v[103:104], 1.0
	v_fma_f64 v[103:104], v[103:104], v[107:108], v[103:104]
	v_mul_f64 v[107:108], v[105:106], v[103:104]
	v_fma_f64 v[101:102], -v[101:102], v[107:108], v[105:106]
	v_div_fmas_f64 v[101:102], v[101:102], v[103:104], v[107:108]
	v_div_fixup_f64 v[101:102], v[101:102], v[99:100], v[97:98]
	v_fma_f64 v[97:98], v[97:98], v[101:102], v[99:100]
	v_div_scale_f64 v[99:100], s[6:7], v[97:98], v[97:98], 1.0
	v_div_scale_f64 v[107:108], vcc, 1.0, v[97:98], 1.0
	v_rcp_f64_e32 v[103:104], v[99:100]
	v_fma_f64 v[105:106], -v[99:100], v[103:104], 1.0
	v_fma_f64 v[103:104], v[103:104], v[105:106], v[103:104]
	v_fma_f64 v[105:106], -v[99:100], v[103:104], 1.0
	v_fma_f64 v[103:104], v[103:104], v[105:106], v[103:104]
	v_mul_f64 v[105:106], v[107:108], v[103:104]
	v_fma_f64 v[99:100], -v[99:100], v[105:106], v[107:108]
	v_div_fmas_f64 v[99:100], v[99:100], v[103:104], v[105:106]
	v_div_fixup_f64 v[103:104], v[99:100], v[97:98], 1.0
                                        ; implicit-def: $vgpr97_vgpr98
	v_mul_f64 v[101:102], v[101:102], v[103:104]
	v_xor_b32_e32 v104, 0x80000000, v104
.LBB85_176:
	s_andn2_saveexec_b64 s[2:3], s[2:3]
	s_cbranch_execz .LBB85_178
; %bb.177:
	v_div_scale_f64 v[101:102], s[6:7], v[97:98], v[97:98], v[99:100]
	v_rcp_f64_e32 v[103:104], v[101:102]
	v_fma_f64 v[105:106], -v[101:102], v[103:104], 1.0
	v_fma_f64 v[103:104], v[103:104], v[105:106], v[103:104]
	v_div_scale_f64 v[105:106], vcc, v[99:100], v[97:98], v[99:100]
	v_fma_f64 v[107:108], -v[101:102], v[103:104], 1.0
	v_fma_f64 v[103:104], v[103:104], v[107:108], v[103:104]
	v_mul_f64 v[107:108], v[105:106], v[103:104]
	v_fma_f64 v[101:102], -v[101:102], v[107:108], v[105:106]
	v_div_fmas_f64 v[101:102], v[101:102], v[103:104], v[107:108]
	v_div_fixup_f64 v[103:104], v[101:102], v[97:98], v[99:100]
	v_fma_f64 v[97:98], v[99:100], v[103:104], v[97:98]
	v_div_scale_f64 v[99:100], s[6:7], v[97:98], v[97:98], 1.0
	v_div_scale_f64 v[107:108], vcc, 1.0, v[97:98], 1.0
	v_rcp_f64_e32 v[101:102], v[99:100]
	v_fma_f64 v[105:106], -v[99:100], v[101:102], 1.0
	v_fma_f64 v[101:102], v[101:102], v[105:106], v[101:102]
	v_fma_f64 v[105:106], -v[99:100], v[101:102], 1.0
	v_fma_f64 v[101:102], v[101:102], v[105:106], v[101:102]
	v_mul_f64 v[105:106], v[107:108], v[101:102]
	v_fma_f64 v[99:100], -v[99:100], v[105:106], v[107:108]
	v_div_fmas_f64 v[99:100], v[99:100], v[101:102], v[105:106]
	v_div_fixup_f64 v[101:102], v[99:100], v[97:98], 1.0
	v_mul_f64 v[103:104], v[103:104], -v[101:102]
.LBB85_178:
	s_or_b64 exec, exec, s[2:3]
	ds_write2_b64 v127, v[101:102], v[103:104] offset1:1
.LBB85_179:
	s_or_b64 exec, exec, s[4:5]
	s_waitcnt lgkmcnt(0)
	s_barrier
	ds_read2_b64 v[81:84], v127 offset1:1
	v_cmp_lt_u32_e32 vcc, 19, v0
	s_waitcnt lgkmcnt(0)
	buffer_store_dword v81, off, s[20:23], 0 offset:1008 ; 4-byte Folded Spill
	s_nop 0
	buffer_store_dword v82, off, s[20:23], 0 offset:1012 ; 4-byte Folded Spill
	buffer_store_dword v83, off, s[20:23], 0 offset:1016 ; 4-byte Folded Spill
	buffer_store_dword v84, off, s[20:23], 0 offset:1020 ; 4-byte Folded Spill
	s_and_saveexec_b64 s[2:3], vcc
	s_cbranch_execz .LBB85_181
; %bb.180:
	buffer_load_dword v81, off, s[20:23], 0 offset:48 ; 4-byte Folded Reload
	buffer_load_dword v82, off, s[20:23], 0 offset:52 ; 4-byte Folded Reload
	;; [unrolled: 1-line block ×8, first 2 shown]
	v_mov_b32_e32 v89, v91
	v_mov_b32_e32 v90, v92
	ds_read2_b64 v[99:102], v125 offset0:40 offset1:41
	s_waitcnt vmcnt(2)
	v_mul_f64 v[91:92], v[85:86], v[83:84]
	s_waitcnt vmcnt(0)
	v_mul_f64 v[97:98], v[87:88], v[83:84]
	v_fma_f64 v[83:84], v[87:88], v[81:82], v[91:92]
	v_mov_b32_e32 v92, v90
	v_fma_f64 v[97:98], v[85:86], v[81:82], -v[97:98]
	v_mov_b32_e32 v91, v89
	s_waitcnt lgkmcnt(0)
	v_mul_f64 v[89:90], v[101:102], v[83:84]
	v_mov_b32_e32 v81, v97
	v_mov_b32_e32 v82, v98
	v_fma_f64 v[89:90], v[99:100], v[97:98], -v[89:90]
	v_mul_f64 v[99:100], v[99:100], v[83:84]
	v_add_f64 v[77:78], v[77:78], -v[89:90]
	v_fma_f64 v[99:100], v[101:102], v[97:98], v[99:100]
	v_add_f64 v[79:80], v[79:80], -v[99:100]
	ds_read2_b64 v[99:102], v125 offset0:42 offset1:43
	s_waitcnt lgkmcnt(0)
	v_mul_f64 v[89:90], v[101:102], v[83:84]
	v_fma_f64 v[89:90], v[99:100], v[97:98], -v[89:90]
	v_mul_f64 v[99:100], v[99:100], v[83:84]
	v_add_f64 v[93:94], v[93:94], -v[89:90]
	v_fma_f64 v[99:100], v[101:102], v[97:98], v[99:100]
	v_add_f64 v[95:96], v[95:96], -v[99:100]
	ds_read2_b64 v[99:102], v125 offset0:44 offset1:45
	buffer_load_dword v85, off, s[20:23], 0 offset:32 ; 4-byte Folded Reload
	buffer_load_dword v86, off, s[20:23], 0 offset:36 ; 4-byte Folded Reload
	;; [unrolled: 1-line block ×4, first 2 shown]
	s_waitcnt lgkmcnt(0)
	v_mul_f64 v[89:90], v[101:102], v[83:84]
	v_fma_f64 v[89:90], v[99:100], v[97:98], -v[89:90]
	v_mul_f64 v[99:100], v[99:100], v[83:84]
	v_fma_f64 v[99:100], v[101:102], v[97:98], v[99:100]
	s_waitcnt vmcnt(2)
	v_add_f64 v[85:86], v[85:86], -v[89:90]
	s_waitcnt vmcnt(0)
	v_add_f64 v[87:88], v[87:88], -v[99:100]
	buffer_store_dword v85, off, s[20:23], 0 offset:32 ; 4-byte Folded Spill
	s_nop 0
	buffer_store_dword v86, off, s[20:23], 0 offset:36 ; 4-byte Folded Spill
	buffer_store_dword v87, off, s[20:23], 0 offset:40 ; 4-byte Folded Spill
	;; [unrolled: 1-line block ×3, first 2 shown]
	ds_read2_b64 v[99:102], v125 offset0:46 offset1:47
	buffer_load_dword v73, off, s[20:23], 0 offset:16 ; 4-byte Folded Reload
	buffer_load_dword v74, off, s[20:23], 0 offset:20 ; 4-byte Folded Reload
	;; [unrolled: 1-line block ×4, first 2 shown]
	s_waitcnt lgkmcnt(0)
	v_mul_f64 v[89:90], v[101:102], v[83:84]
	v_fma_f64 v[89:90], v[99:100], v[97:98], -v[89:90]
	v_mul_f64 v[99:100], v[99:100], v[83:84]
	v_fma_f64 v[99:100], v[101:102], v[97:98], v[99:100]
	s_waitcnt vmcnt(2)
	v_add_f64 v[73:74], v[73:74], -v[89:90]
	s_waitcnt vmcnt(0)
	v_add_f64 v[75:76], v[75:76], -v[99:100]
	buffer_store_dword v73, off, s[20:23], 0 offset:16 ; 4-byte Folded Spill
	s_nop 0
	buffer_store_dword v74, off, s[20:23], 0 offset:20 ; 4-byte Folded Spill
	buffer_store_dword v75, off, s[20:23], 0 offset:24 ; 4-byte Folded Spill
	;; [unrolled: 1-line block ×3, first 2 shown]
	ds_read2_b64 v[99:102], v125 offset0:48 offset1:49
	buffer_load_dword v69, off, s[20:23], 0 ; 4-byte Folded Reload
	buffer_load_dword v70, off, s[20:23], 0 offset:4 ; 4-byte Folded Reload
	buffer_load_dword v71, off, s[20:23], 0 offset:8 ; 4-byte Folded Reload
	;; [unrolled: 1-line block ×3, first 2 shown]
	s_waitcnt lgkmcnt(0)
	v_mul_f64 v[89:90], v[101:102], v[83:84]
	v_fma_f64 v[89:90], v[99:100], v[97:98], -v[89:90]
	v_mul_f64 v[99:100], v[99:100], v[83:84]
	v_fma_f64 v[99:100], v[101:102], v[97:98], v[99:100]
	s_waitcnt vmcnt(2)
	v_add_f64 v[69:70], v[69:70], -v[89:90]
	s_waitcnt vmcnt(0)
	v_add_f64 v[71:72], v[71:72], -v[99:100]
	buffer_store_dword v69, off, s[20:23], 0 ; 4-byte Folded Spill
	s_nop 0
	buffer_store_dword v70, off, s[20:23], 0 offset:4 ; 4-byte Folded Spill
	buffer_store_dword v71, off, s[20:23], 0 offset:8 ; 4-byte Folded Spill
	;; [unrolled: 1-line block ×3, first 2 shown]
	ds_read2_b64 v[99:102], v125 offset0:50 offset1:51
	s_waitcnt lgkmcnt(0)
	v_mul_f64 v[89:90], v[101:102], v[83:84]
	v_fma_f64 v[89:90], v[99:100], v[97:98], -v[89:90]
	v_mul_f64 v[99:100], v[99:100], v[83:84]
	v_add_f64 v[65:66], v[65:66], -v[89:90]
	v_fma_f64 v[99:100], v[101:102], v[97:98], v[99:100]
	v_add_f64 v[67:68], v[67:68], -v[99:100]
	ds_read2_b64 v[99:102], v125 offset0:52 offset1:53
	s_waitcnt lgkmcnt(0)
	v_mul_f64 v[89:90], v[101:102], v[83:84]
	v_fma_f64 v[89:90], v[99:100], v[97:98], -v[89:90]
	v_mul_f64 v[99:100], v[99:100], v[83:84]
	v_add_f64 v[61:62], v[61:62], -v[89:90]
	v_fma_f64 v[99:100], v[101:102], v[97:98], v[99:100]
	v_add_f64 v[63:64], v[63:64], -v[99:100]
	;; [unrolled: 8-line block ×17, first 2 shown]
	ds_read2_b64 v[99:102], v125 offset0:84 offset1:85
	s_waitcnt lgkmcnt(0)
	v_mul_f64 v[89:90], v[101:102], v[83:84]
	v_fma_f64 v[89:90], v[99:100], v[97:98], -v[89:90]
	v_mul_f64 v[99:100], v[99:100], v[83:84]
	buffer_store_dword v81, off, s[20:23], 0 offset:48 ; 4-byte Folded Spill
	s_nop 0
	buffer_store_dword v82, off, s[20:23], 0 offset:52 ; 4-byte Folded Spill
	buffer_store_dword v83, off, s[20:23], 0 offset:56 ; 4-byte Folded Spill
	;; [unrolled: 1-line block ×3, first 2 shown]
	v_add_f64 v[121:122], v[121:122], -v[89:90]
	v_fma_f64 v[99:100], v[101:102], v[97:98], v[99:100]
	v_add_f64 v[123:124], v[123:124], -v[99:100]
.LBB85_181:
	s_or_b64 exec, exec, s[2:3]
	v_cmp_eq_u32_e32 vcc, 20, v0
	s_waitcnt vmcnt(0)
	s_barrier
	s_and_saveexec_b64 s[4:5], vcc
	s_cbranch_execz .LBB85_188
; %bb.182:
	ds_write2_b64 v127, v[77:78], v[79:80] offset1:1
	ds_write2_b64 v125, v[93:94], v[95:96] offset0:42 offset1:43
	buffer_load_dword v85, off, s[20:23], 0 offset:32 ; 4-byte Folded Reload
	buffer_load_dword v86, off, s[20:23], 0 offset:36 ; 4-byte Folded Reload
	buffer_load_dword v87, off, s[20:23], 0 offset:40 ; 4-byte Folded Reload
	buffer_load_dword v88, off, s[20:23], 0 offset:44 ; 4-byte Folded Reload
	s_waitcnt vmcnt(0)
	ds_write2_b64 v125, v[85:86], v[87:88] offset0:44 offset1:45
	buffer_load_dword v73, off, s[20:23], 0 offset:16 ; 4-byte Folded Reload
	buffer_load_dword v74, off, s[20:23], 0 offset:20 ; 4-byte Folded Reload
	;; [unrolled: 1-line block ×4, first 2 shown]
	s_waitcnt vmcnt(0)
	ds_write2_b64 v125, v[73:74], v[75:76] offset0:46 offset1:47
	buffer_load_dword v69, off, s[20:23], 0 ; 4-byte Folded Reload
	buffer_load_dword v70, off, s[20:23], 0 offset:4 ; 4-byte Folded Reload
	buffer_load_dword v71, off, s[20:23], 0 offset:8 ; 4-byte Folded Reload
	;; [unrolled: 1-line block ×3, first 2 shown]
	s_waitcnt vmcnt(0)
	ds_write2_b64 v125, v[69:70], v[71:72] offset0:48 offset1:49
	ds_write2_b64 v125, v[65:66], v[67:68] offset0:50 offset1:51
	;; [unrolled: 1-line block ×19, first 2 shown]
	ds_read2_b64 v[97:100], v127 offset1:1
	s_waitcnt lgkmcnt(0)
	v_cmp_neq_f64_e32 vcc, 0, v[97:98]
	v_cmp_neq_f64_e64 s[2:3], 0, v[99:100]
	s_or_b64 s[2:3], vcc, s[2:3]
	s_and_b64 exec, exec, s[2:3]
	s_cbranch_execz .LBB85_188
; %bb.183:
	v_cmp_ngt_f64_e64 s[2:3], |v[97:98]|, |v[99:100]|
                                        ; implicit-def: $vgpr101_vgpr102
	s_and_saveexec_b64 s[6:7], s[2:3]
	s_xor_b64 s[2:3], exec, s[6:7]
                                        ; implicit-def: $vgpr103_vgpr104
	s_cbranch_execz .LBB85_185
; %bb.184:
	v_div_scale_f64 v[101:102], s[6:7], v[99:100], v[99:100], v[97:98]
	v_rcp_f64_e32 v[103:104], v[101:102]
	v_fma_f64 v[105:106], -v[101:102], v[103:104], 1.0
	v_fma_f64 v[103:104], v[103:104], v[105:106], v[103:104]
	v_div_scale_f64 v[105:106], vcc, v[97:98], v[99:100], v[97:98]
	v_fma_f64 v[107:108], -v[101:102], v[103:104], 1.0
	v_fma_f64 v[103:104], v[103:104], v[107:108], v[103:104]
	v_mul_f64 v[107:108], v[105:106], v[103:104]
	v_fma_f64 v[101:102], -v[101:102], v[107:108], v[105:106]
	v_div_fmas_f64 v[101:102], v[101:102], v[103:104], v[107:108]
	v_div_fixup_f64 v[101:102], v[101:102], v[99:100], v[97:98]
	v_fma_f64 v[97:98], v[97:98], v[101:102], v[99:100]
	v_div_scale_f64 v[99:100], s[6:7], v[97:98], v[97:98], 1.0
	v_div_scale_f64 v[107:108], vcc, 1.0, v[97:98], 1.0
	v_rcp_f64_e32 v[103:104], v[99:100]
	v_fma_f64 v[105:106], -v[99:100], v[103:104], 1.0
	v_fma_f64 v[103:104], v[103:104], v[105:106], v[103:104]
	v_fma_f64 v[105:106], -v[99:100], v[103:104], 1.0
	v_fma_f64 v[103:104], v[103:104], v[105:106], v[103:104]
	v_mul_f64 v[105:106], v[107:108], v[103:104]
	v_fma_f64 v[99:100], -v[99:100], v[105:106], v[107:108]
	v_div_fmas_f64 v[99:100], v[99:100], v[103:104], v[105:106]
	v_div_fixup_f64 v[103:104], v[99:100], v[97:98], 1.0
                                        ; implicit-def: $vgpr97_vgpr98
	v_mul_f64 v[101:102], v[101:102], v[103:104]
	v_xor_b32_e32 v104, 0x80000000, v104
.LBB85_185:
	s_andn2_saveexec_b64 s[2:3], s[2:3]
	s_cbranch_execz .LBB85_187
; %bb.186:
	v_div_scale_f64 v[101:102], s[6:7], v[97:98], v[97:98], v[99:100]
	v_rcp_f64_e32 v[103:104], v[101:102]
	v_fma_f64 v[105:106], -v[101:102], v[103:104], 1.0
	v_fma_f64 v[103:104], v[103:104], v[105:106], v[103:104]
	v_div_scale_f64 v[105:106], vcc, v[99:100], v[97:98], v[99:100]
	v_fma_f64 v[107:108], -v[101:102], v[103:104], 1.0
	v_fma_f64 v[103:104], v[103:104], v[107:108], v[103:104]
	v_mul_f64 v[107:108], v[105:106], v[103:104]
	v_fma_f64 v[101:102], -v[101:102], v[107:108], v[105:106]
	v_div_fmas_f64 v[101:102], v[101:102], v[103:104], v[107:108]
	v_div_fixup_f64 v[103:104], v[101:102], v[97:98], v[99:100]
	v_fma_f64 v[97:98], v[99:100], v[103:104], v[97:98]
	v_div_scale_f64 v[99:100], s[6:7], v[97:98], v[97:98], 1.0
	v_div_scale_f64 v[107:108], vcc, 1.0, v[97:98], 1.0
	v_rcp_f64_e32 v[101:102], v[99:100]
	v_fma_f64 v[105:106], -v[99:100], v[101:102], 1.0
	v_fma_f64 v[101:102], v[101:102], v[105:106], v[101:102]
	v_fma_f64 v[105:106], -v[99:100], v[101:102], 1.0
	v_fma_f64 v[101:102], v[101:102], v[105:106], v[101:102]
	v_mul_f64 v[105:106], v[107:108], v[101:102]
	v_fma_f64 v[99:100], -v[99:100], v[105:106], v[107:108]
	v_div_fmas_f64 v[99:100], v[99:100], v[101:102], v[105:106]
	v_div_fixup_f64 v[101:102], v[99:100], v[97:98], 1.0
	v_mul_f64 v[103:104], v[103:104], -v[101:102]
.LBB85_187:
	s_or_b64 exec, exec, s[2:3]
	ds_write2_b64 v127, v[101:102], v[103:104] offset1:1
.LBB85_188:
	s_or_b64 exec, exec, s[4:5]
	s_waitcnt lgkmcnt(0)
	s_barrier
	ds_read2_b64 v[81:84], v127 offset1:1
	v_cmp_lt_u32_e32 vcc, 20, v0
	s_and_saveexec_b64 s[2:3], vcc
	s_cbranch_execz .LBB85_190
; %bb.189:
	s_waitcnt lgkmcnt(0)
	v_mul_f64 v[87:88], v[81:82], v[79:80]
	v_mul_f64 v[97:98], v[83:84], v[79:80]
	ds_read2_b64 v[99:102], v125 offset0:42 offset1:43
	v_fma_f64 v[79:80], v[83:84], v[77:78], v[87:88]
	v_fma_f64 v[97:98], v[81:82], v[77:78], -v[97:98]
	s_waitcnt lgkmcnt(0)
	v_mul_f64 v[85:86], v[101:102], v[79:80]
	v_mov_b32_e32 v77, v97
	v_mov_b32_e32 v78, v98
	v_fma_f64 v[85:86], v[99:100], v[97:98], -v[85:86]
	v_mul_f64 v[99:100], v[99:100], v[79:80]
	v_add_f64 v[93:94], v[93:94], -v[85:86]
	v_fma_f64 v[99:100], v[101:102], v[97:98], v[99:100]
	v_add_f64 v[95:96], v[95:96], -v[99:100]
	ds_read2_b64 v[99:102], v125 offset0:44 offset1:45
	buffer_load_dword v87, off, s[20:23], 0 offset:32 ; 4-byte Folded Reload
	buffer_load_dword v88, off, s[20:23], 0 offset:36 ; 4-byte Folded Reload
	buffer_load_dword v89, off, s[20:23], 0 offset:40 ; 4-byte Folded Reload
	buffer_load_dword v90, off, s[20:23], 0 offset:44 ; 4-byte Folded Reload
	s_waitcnt lgkmcnt(0)
	v_mul_f64 v[85:86], v[101:102], v[79:80]
	v_fma_f64 v[85:86], v[99:100], v[97:98], -v[85:86]
	v_mul_f64 v[99:100], v[99:100], v[79:80]
	v_fma_f64 v[99:100], v[101:102], v[97:98], v[99:100]
	s_waitcnt vmcnt(2)
	v_add_f64 v[87:88], v[87:88], -v[85:86]
	s_waitcnt vmcnt(0)
	v_add_f64 v[89:90], v[89:90], -v[99:100]
	buffer_store_dword v87, off, s[20:23], 0 offset:32 ; 4-byte Folded Spill
	s_nop 0
	buffer_store_dword v88, off, s[20:23], 0 offset:36 ; 4-byte Folded Spill
	buffer_store_dword v89, off, s[20:23], 0 offset:40 ; 4-byte Folded Spill
	buffer_store_dword v90, off, s[20:23], 0 offset:44 ; 4-byte Folded Spill
	ds_read2_b64 v[99:102], v125 offset0:46 offset1:47
	buffer_load_dword v73, off, s[20:23], 0 offset:16 ; 4-byte Folded Reload
	buffer_load_dword v74, off, s[20:23], 0 offset:20 ; 4-byte Folded Reload
	;; [unrolled: 1-line block ×4, first 2 shown]
	s_waitcnt lgkmcnt(0)
	v_mul_f64 v[85:86], v[101:102], v[79:80]
	v_fma_f64 v[85:86], v[99:100], v[97:98], -v[85:86]
	v_mul_f64 v[99:100], v[99:100], v[79:80]
	v_fma_f64 v[99:100], v[101:102], v[97:98], v[99:100]
	s_waitcnt vmcnt(2)
	v_add_f64 v[73:74], v[73:74], -v[85:86]
	s_waitcnt vmcnt(0)
	v_add_f64 v[75:76], v[75:76], -v[99:100]
	buffer_store_dword v73, off, s[20:23], 0 offset:16 ; 4-byte Folded Spill
	s_nop 0
	buffer_store_dword v74, off, s[20:23], 0 offset:20 ; 4-byte Folded Spill
	buffer_store_dword v75, off, s[20:23], 0 offset:24 ; 4-byte Folded Spill
	;; [unrolled: 1-line block ×3, first 2 shown]
	ds_read2_b64 v[99:102], v125 offset0:48 offset1:49
	buffer_load_dword v69, off, s[20:23], 0 ; 4-byte Folded Reload
	buffer_load_dword v70, off, s[20:23], 0 offset:4 ; 4-byte Folded Reload
	buffer_load_dword v71, off, s[20:23], 0 offset:8 ; 4-byte Folded Reload
	;; [unrolled: 1-line block ×3, first 2 shown]
	s_waitcnt lgkmcnt(0)
	v_mul_f64 v[85:86], v[101:102], v[79:80]
	v_fma_f64 v[85:86], v[99:100], v[97:98], -v[85:86]
	v_mul_f64 v[99:100], v[99:100], v[79:80]
	v_fma_f64 v[99:100], v[101:102], v[97:98], v[99:100]
	s_waitcnt vmcnt(2)
	v_add_f64 v[69:70], v[69:70], -v[85:86]
	s_waitcnt vmcnt(0)
	v_add_f64 v[71:72], v[71:72], -v[99:100]
	buffer_store_dword v69, off, s[20:23], 0 ; 4-byte Folded Spill
	s_nop 0
	buffer_store_dword v70, off, s[20:23], 0 offset:4 ; 4-byte Folded Spill
	buffer_store_dword v71, off, s[20:23], 0 offset:8 ; 4-byte Folded Spill
	;; [unrolled: 1-line block ×3, first 2 shown]
	ds_read2_b64 v[99:102], v125 offset0:50 offset1:51
	s_waitcnt lgkmcnt(0)
	v_mul_f64 v[85:86], v[101:102], v[79:80]
	v_fma_f64 v[85:86], v[99:100], v[97:98], -v[85:86]
	v_mul_f64 v[99:100], v[99:100], v[79:80]
	v_add_f64 v[65:66], v[65:66], -v[85:86]
	v_fma_f64 v[99:100], v[101:102], v[97:98], v[99:100]
	v_add_f64 v[67:68], v[67:68], -v[99:100]
	ds_read2_b64 v[99:102], v125 offset0:52 offset1:53
	s_waitcnt lgkmcnt(0)
	v_mul_f64 v[85:86], v[101:102], v[79:80]
	v_fma_f64 v[85:86], v[99:100], v[97:98], -v[85:86]
	v_mul_f64 v[99:100], v[99:100], v[79:80]
	v_add_f64 v[61:62], v[61:62], -v[85:86]
	v_fma_f64 v[99:100], v[101:102], v[97:98], v[99:100]
	v_add_f64 v[63:64], v[63:64], -v[99:100]
	;; [unrolled: 8-line block ×18, first 2 shown]
.LBB85_190:
	s_or_b64 exec, exec, s[2:3]
	v_cmp_eq_u32_e32 vcc, 21, v0
	s_waitcnt vmcnt(0) lgkmcnt(0)
	s_barrier
	s_and_saveexec_b64 s[4:5], vcc
	s_cbranch_execz .LBB85_197
; %bb.191:
	ds_write2_b64 v127, v[93:94], v[95:96] offset1:1
	buffer_load_dword v85, off, s[20:23], 0 offset:32 ; 4-byte Folded Reload
	buffer_load_dword v86, off, s[20:23], 0 offset:36 ; 4-byte Folded Reload
	;; [unrolled: 1-line block ×4, first 2 shown]
	s_waitcnt vmcnt(0)
	ds_write2_b64 v125, v[85:86], v[87:88] offset0:44 offset1:45
	buffer_load_dword v73, off, s[20:23], 0 offset:16 ; 4-byte Folded Reload
	buffer_load_dword v74, off, s[20:23], 0 offset:20 ; 4-byte Folded Reload
	;; [unrolled: 1-line block ×4, first 2 shown]
	s_waitcnt vmcnt(0)
	ds_write2_b64 v125, v[73:74], v[75:76] offset0:46 offset1:47
	buffer_load_dword v69, off, s[20:23], 0 ; 4-byte Folded Reload
	buffer_load_dword v70, off, s[20:23], 0 offset:4 ; 4-byte Folded Reload
	buffer_load_dword v71, off, s[20:23], 0 offset:8 ; 4-byte Folded Reload
	;; [unrolled: 1-line block ×3, first 2 shown]
	s_waitcnt vmcnt(0)
	ds_write2_b64 v125, v[69:70], v[71:72] offset0:48 offset1:49
	ds_write2_b64 v125, v[65:66], v[67:68] offset0:50 offset1:51
	;; [unrolled: 1-line block ×19, first 2 shown]
	ds_read2_b64 v[97:100], v127 offset1:1
	s_waitcnt lgkmcnt(0)
	v_cmp_neq_f64_e32 vcc, 0, v[97:98]
	v_cmp_neq_f64_e64 s[2:3], 0, v[99:100]
	s_or_b64 s[2:3], vcc, s[2:3]
	s_and_b64 exec, exec, s[2:3]
	s_cbranch_execz .LBB85_197
; %bb.192:
	v_cmp_ngt_f64_e64 s[2:3], |v[97:98]|, |v[99:100]|
                                        ; implicit-def: $vgpr101_vgpr102
	s_and_saveexec_b64 s[6:7], s[2:3]
	s_xor_b64 s[2:3], exec, s[6:7]
                                        ; implicit-def: $vgpr103_vgpr104
	s_cbranch_execz .LBB85_194
; %bb.193:
	v_div_scale_f64 v[101:102], s[6:7], v[99:100], v[99:100], v[97:98]
	v_rcp_f64_e32 v[103:104], v[101:102]
	v_fma_f64 v[105:106], -v[101:102], v[103:104], 1.0
	v_fma_f64 v[103:104], v[103:104], v[105:106], v[103:104]
	v_div_scale_f64 v[105:106], vcc, v[97:98], v[99:100], v[97:98]
	v_fma_f64 v[107:108], -v[101:102], v[103:104], 1.0
	v_fma_f64 v[103:104], v[103:104], v[107:108], v[103:104]
	v_mul_f64 v[107:108], v[105:106], v[103:104]
	v_fma_f64 v[101:102], -v[101:102], v[107:108], v[105:106]
	v_div_fmas_f64 v[101:102], v[101:102], v[103:104], v[107:108]
	v_div_fixup_f64 v[101:102], v[101:102], v[99:100], v[97:98]
	v_fma_f64 v[97:98], v[97:98], v[101:102], v[99:100]
	v_div_scale_f64 v[99:100], s[6:7], v[97:98], v[97:98], 1.0
	v_div_scale_f64 v[107:108], vcc, 1.0, v[97:98], 1.0
	v_rcp_f64_e32 v[103:104], v[99:100]
	v_fma_f64 v[105:106], -v[99:100], v[103:104], 1.0
	v_fma_f64 v[103:104], v[103:104], v[105:106], v[103:104]
	v_fma_f64 v[105:106], -v[99:100], v[103:104], 1.0
	v_fma_f64 v[103:104], v[103:104], v[105:106], v[103:104]
	v_mul_f64 v[105:106], v[107:108], v[103:104]
	v_fma_f64 v[99:100], -v[99:100], v[105:106], v[107:108]
	v_div_fmas_f64 v[99:100], v[99:100], v[103:104], v[105:106]
	v_div_fixup_f64 v[103:104], v[99:100], v[97:98], 1.0
                                        ; implicit-def: $vgpr97_vgpr98
	v_mul_f64 v[101:102], v[101:102], v[103:104]
	v_xor_b32_e32 v104, 0x80000000, v104
.LBB85_194:
	s_andn2_saveexec_b64 s[2:3], s[2:3]
	s_cbranch_execz .LBB85_196
; %bb.195:
	v_div_scale_f64 v[101:102], s[6:7], v[97:98], v[97:98], v[99:100]
	v_rcp_f64_e32 v[103:104], v[101:102]
	v_fma_f64 v[105:106], -v[101:102], v[103:104], 1.0
	v_fma_f64 v[103:104], v[103:104], v[105:106], v[103:104]
	v_div_scale_f64 v[105:106], vcc, v[99:100], v[97:98], v[99:100]
	v_fma_f64 v[107:108], -v[101:102], v[103:104], 1.0
	v_fma_f64 v[103:104], v[103:104], v[107:108], v[103:104]
	v_mul_f64 v[107:108], v[105:106], v[103:104]
	v_fma_f64 v[101:102], -v[101:102], v[107:108], v[105:106]
	v_div_fmas_f64 v[101:102], v[101:102], v[103:104], v[107:108]
	v_div_fixup_f64 v[103:104], v[101:102], v[97:98], v[99:100]
	v_fma_f64 v[97:98], v[99:100], v[103:104], v[97:98]
	v_div_scale_f64 v[99:100], s[6:7], v[97:98], v[97:98], 1.0
	v_div_scale_f64 v[107:108], vcc, 1.0, v[97:98], 1.0
	v_rcp_f64_e32 v[101:102], v[99:100]
	v_fma_f64 v[105:106], -v[99:100], v[101:102], 1.0
	v_fma_f64 v[101:102], v[101:102], v[105:106], v[101:102]
	v_fma_f64 v[105:106], -v[99:100], v[101:102], 1.0
	v_fma_f64 v[101:102], v[101:102], v[105:106], v[101:102]
	v_mul_f64 v[105:106], v[107:108], v[101:102]
	v_fma_f64 v[99:100], -v[99:100], v[105:106], v[107:108]
	v_div_fmas_f64 v[99:100], v[99:100], v[101:102], v[105:106]
	v_div_fixup_f64 v[101:102], v[99:100], v[97:98], 1.0
	v_mul_f64 v[103:104], v[103:104], -v[101:102]
.LBB85_196:
	s_or_b64 exec, exec, s[2:3]
	ds_write2_b64 v127, v[101:102], v[103:104] offset1:1
.LBB85_197:
	s_or_b64 exec, exec, s[4:5]
	s_waitcnt lgkmcnt(0)
	s_barrier
	ds_read2_b64 v[109:112], v127 offset1:1
	v_cmp_lt_u32_e32 vcc, 21, v0
	s_and_saveexec_b64 s[2:3], vcc
	s_cbranch_execz .LBB85_199
; %bb.198:
	v_mov_b32_e32 v90, v84
	v_mov_b32_e32 v89, v83
	;; [unrolled: 1-line block ×4, first 2 shown]
	s_waitcnt lgkmcnt(0)
	v_mul_f64 v[83:84], v[109:110], v[95:96]
	v_mul_f64 v[97:98], v[111:112], v[95:96]
	ds_read2_b64 v[99:102], v125 offset0:44 offset1:45
	v_fma_f64 v[95:96], v[111:112], v[93:94], v[83:84]
	buffer_load_dword v83, off, s[20:23], 0 offset:32 ; 4-byte Folded Reload
	buffer_load_dword v84, off, s[20:23], 0 offset:36 ; 4-byte Folded Reload
	;; [unrolled: 1-line block ×4, first 2 shown]
	v_fma_f64 v[97:98], v[109:110], v[93:94], -v[97:98]
	s_waitcnt lgkmcnt(0)
	v_mul_f64 v[81:82], v[101:102], v[95:96]
	v_mov_b32_e32 v93, v97
	v_mov_b32_e32 v94, v98
	v_fma_f64 v[81:82], v[99:100], v[97:98], -v[81:82]
	v_mul_f64 v[99:100], v[99:100], v[95:96]
	v_fma_f64 v[99:100], v[101:102], v[97:98], v[99:100]
	s_waitcnt vmcnt(2)
	v_add_f64 v[83:84], v[83:84], -v[81:82]
	s_waitcnt vmcnt(0)
	v_add_f64 v[85:86], v[85:86], -v[99:100]
	buffer_store_dword v83, off, s[20:23], 0 offset:32 ; 4-byte Folded Spill
	s_nop 0
	buffer_store_dword v84, off, s[20:23], 0 offset:36 ; 4-byte Folded Spill
	buffer_store_dword v85, off, s[20:23], 0 offset:40 ; 4-byte Folded Spill
	;; [unrolled: 1-line block ×3, first 2 shown]
	ds_read2_b64 v[99:102], v125 offset0:46 offset1:47
	buffer_load_dword v73, off, s[20:23], 0 offset:16 ; 4-byte Folded Reload
	buffer_load_dword v74, off, s[20:23], 0 offset:20 ; 4-byte Folded Reload
	;; [unrolled: 1-line block ×4, first 2 shown]
	s_waitcnt lgkmcnt(0)
	v_mul_f64 v[81:82], v[101:102], v[95:96]
	v_fma_f64 v[81:82], v[99:100], v[97:98], -v[81:82]
	v_mul_f64 v[99:100], v[99:100], v[95:96]
	v_fma_f64 v[99:100], v[101:102], v[97:98], v[99:100]
	s_waitcnt vmcnt(2)
	v_add_f64 v[73:74], v[73:74], -v[81:82]
	s_waitcnt vmcnt(0)
	v_add_f64 v[75:76], v[75:76], -v[99:100]
	buffer_store_dword v73, off, s[20:23], 0 offset:16 ; 4-byte Folded Spill
	s_nop 0
	buffer_store_dword v74, off, s[20:23], 0 offset:20 ; 4-byte Folded Spill
	buffer_store_dword v75, off, s[20:23], 0 offset:24 ; 4-byte Folded Spill
	;; [unrolled: 1-line block ×3, first 2 shown]
	ds_read2_b64 v[99:102], v125 offset0:48 offset1:49
	buffer_load_dword v69, off, s[20:23], 0 ; 4-byte Folded Reload
	buffer_load_dword v70, off, s[20:23], 0 offset:4 ; 4-byte Folded Reload
	buffer_load_dword v71, off, s[20:23], 0 offset:8 ; 4-byte Folded Reload
	;; [unrolled: 1-line block ×3, first 2 shown]
	s_waitcnt lgkmcnt(0)
	v_mul_f64 v[81:82], v[101:102], v[95:96]
	v_fma_f64 v[81:82], v[99:100], v[97:98], -v[81:82]
	v_mul_f64 v[99:100], v[99:100], v[95:96]
	v_fma_f64 v[99:100], v[101:102], v[97:98], v[99:100]
	s_waitcnt vmcnt(2)
	v_add_f64 v[69:70], v[69:70], -v[81:82]
	s_waitcnt vmcnt(0)
	v_add_f64 v[71:72], v[71:72], -v[99:100]
	buffer_store_dword v69, off, s[20:23], 0 ; 4-byte Folded Spill
	s_nop 0
	buffer_store_dword v70, off, s[20:23], 0 offset:4 ; 4-byte Folded Spill
	buffer_store_dword v71, off, s[20:23], 0 offset:8 ; 4-byte Folded Spill
	;; [unrolled: 1-line block ×3, first 2 shown]
	ds_read2_b64 v[99:102], v125 offset0:50 offset1:51
	s_waitcnt lgkmcnt(0)
	v_mul_f64 v[81:82], v[101:102], v[95:96]
	v_fma_f64 v[81:82], v[99:100], v[97:98], -v[81:82]
	v_mul_f64 v[99:100], v[99:100], v[95:96]
	v_add_f64 v[65:66], v[65:66], -v[81:82]
	v_fma_f64 v[99:100], v[101:102], v[97:98], v[99:100]
	v_add_f64 v[67:68], v[67:68], -v[99:100]
	ds_read2_b64 v[99:102], v125 offset0:52 offset1:53
	s_waitcnt lgkmcnt(0)
	v_mul_f64 v[81:82], v[101:102], v[95:96]
	v_fma_f64 v[81:82], v[99:100], v[97:98], -v[81:82]
	v_mul_f64 v[99:100], v[99:100], v[95:96]
	v_add_f64 v[61:62], v[61:62], -v[81:82]
	v_fma_f64 v[99:100], v[101:102], v[97:98], v[99:100]
	v_add_f64 v[63:64], v[63:64], -v[99:100]
	;; [unrolled: 8-line block ×17, first 2 shown]
	ds_read2_b64 v[99:102], v125 offset0:84 offset1:85
	s_waitcnt lgkmcnt(0)
	v_mul_f64 v[81:82], v[101:102], v[95:96]
	v_fma_f64 v[81:82], v[99:100], v[97:98], -v[81:82]
	v_mul_f64 v[99:100], v[99:100], v[95:96]
	v_add_f64 v[121:122], v[121:122], -v[81:82]
	v_fma_f64 v[99:100], v[101:102], v[97:98], v[99:100]
	v_mov_b32_e32 v81, v87
	v_mov_b32_e32 v82, v88
	;; [unrolled: 1-line block ×4, first 2 shown]
	v_add_f64 v[123:124], v[123:124], -v[99:100]
.LBB85_199:
	s_or_b64 exec, exec, s[2:3]
	v_cmp_eq_u32_e32 vcc, 22, v0
	s_waitcnt vmcnt(0) lgkmcnt(0)
	s_barrier
	s_and_saveexec_b64 s[4:5], vcc
	s_cbranch_execz .LBB85_206
; %bb.200:
	buffer_load_dword v85, off, s[20:23], 0 offset:32 ; 4-byte Folded Reload
	buffer_load_dword v86, off, s[20:23], 0 offset:36 ; 4-byte Folded Reload
	;; [unrolled: 1-line block ×4, first 2 shown]
	s_waitcnt vmcnt(0)
	ds_write2_b64 v127, v[85:86], v[87:88] offset1:1
	buffer_load_dword v73, off, s[20:23], 0 offset:16 ; 4-byte Folded Reload
	buffer_load_dword v74, off, s[20:23], 0 offset:20 ; 4-byte Folded Reload
	;; [unrolled: 1-line block ×4, first 2 shown]
	s_waitcnt vmcnt(0)
	ds_write2_b64 v125, v[73:74], v[75:76] offset0:46 offset1:47
	buffer_load_dword v69, off, s[20:23], 0 ; 4-byte Folded Reload
	buffer_load_dword v70, off, s[20:23], 0 offset:4 ; 4-byte Folded Reload
	buffer_load_dword v71, off, s[20:23], 0 offset:8 ; 4-byte Folded Reload
	;; [unrolled: 1-line block ×3, first 2 shown]
	s_waitcnt vmcnt(0)
	ds_write2_b64 v125, v[69:70], v[71:72] offset0:48 offset1:49
	ds_write2_b64 v125, v[65:66], v[67:68] offset0:50 offset1:51
	;; [unrolled: 1-line block ×19, first 2 shown]
	ds_read2_b64 v[97:100], v127 offset1:1
	s_waitcnt lgkmcnt(0)
	v_cmp_neq_f64_e32 vcc, 0, v[97:98]
	v_cmp_neq_f64_e64 s[2:3], 0, v[99:100]
	s_or_b64 s[2:3], vcc, s[2:3]
	s_and_b64 exec, exec, s[2:3]
	s_cbranch_execz .LBB85_206
; %bb.201:
	v_cmp_ngt_f64_e64 s[2:3], |v[97:98]|, |v[99:100]|
                                        ; implicit-def: $vgpr101_vgpr102
	s_and_saveexec_b64 s[6:7], s[2:3]
	s_xor_b64 s[2:3], exec, s[6:7]
                                        ; implicit-def: $vgpr103_vgpr104
	s_cbranch_execz .LBB85_203
; %bb.202:
	v_div_scale_f64 v[101:102], s[6:7], v[99:100], v[99:100], v[97:98]
	v_rcp_f64_e32 v[103:104], v[101:102]
	v_fma_f64 v[105:106], -v[101:102], v[103:104], 1.0
	v_fma_f64 v[103:104], v[103:104], v[105:106], v[103:104]
	v_div_scale_f64 v[105:106], vcc, v[97:98], v[99:100], v[97:98]
	v_fma_f64 v[107:108], -v[101:102], v[103:104], 1.0
	v_fma_f64 v[103:104], v[103:104], v[107:108], v[103:104]
	v_mul_f64 v[107:108], v[105:106], v[103:104]
	v_fma_f64 v[101:102], -v[101:102], v[107:108], v[105:106]
	v_div_fmas_f64 v[101:102], v[101:102], v[103:104], v[107:108]
	v_div_fixup_f64 v[101:102], v[101:102], v[99:100], v[97:98]
	v_fma_f64 v[97:98], v[97:98], v[101:102], v[99:100]
	v_div_scale_f64 v[99:100], s[6:7], v[97:98], v[97:98], 1.0
	v_div_scale_f64 v[107:108], vcc, 1.0, v[97:98], 1.0
	v_rcp_f64_e32 v[103:104], v[99:100]
	v_fma_f64 v[105:106], -v[99:100], v[103:104], 1.0
	v_fma_f64 v[103:104], v[103:104], v[105:106], v[103:104]
	v_fma_f64 v[105:106], -v[99:100], v[103:104], 1.0
	v_fma_f64 v[103:104], v[103:104], v[105:106], v[103:104]
	v_mul_f64 v[105:106], v[107:108], v[103:104]
	v_fma_f64 v[99:100], -v[99:100], v[105:106], v[107:108]
	v_div_fmas_f64 v[99:100], v[99:100], v[103:104], v[105:106]
	v_div_fixup_f64 v[103:104], v[99:100], v[97:98], 1.0
                                        ; implicit-def: $vgpr97_vgpr98
	v_mul_f64 v[101:102], v[101:102], v[103:104]
	v_xor_b32_e32 v104, 0x80000000, v104
.LBB85_203:
	s_andn2_saveexec_b64 s[2:3], s[2:3]
	s_cbranch_execz .LBB85_205
; %bb.204:
	v_div_scale_f64 v[101:102], s[6:7], v[97:98], v[97:98], v[99:100]
	v_rcp_f64_e32 v[103:104], v[101:102]
	v_fma_f64 v[105:106], -v[101:102], v[103:104], 1.0
	v_fma_f64 v[103:104], v[103:104], v[105:106], v[103:104]
	v_div_scale_f64 v[105:106], vcc, v[99:100], v[97:98], v[99:100]
	v_fma_f64 v[107:108], -v[101:102], v[103:104], 1.0
	v_fma_f64 v[103:104], v[103:104], v[107:108], v[103:104]
	v_mul_f64 v[107:108], v[105:106], v[103:104]
	v_fma_f64 v[101:102], -v[101:102], v[107:108], v[105:106]
	v_div_fmas_f64 v[101:102], v[101:102], v[103:104], v[107:108]
	v_div_fixup_f64 v[103:104], v[101:102], v[97:98], v[99:100]
	v_fma_f64 v[97:98], v[99:100], v[103:104], v[97:98]
	v_div_scale_f64 v[99:100], s[6:7], v[97:98], v[97:98], 1.0
	v_div_scale_f64 v[107:108], vcc, 1.0, v[97:98], 1.0
	v_rcp_f64_e32 v[101:102], v[99:100]
	v_fma_f64 v[105:106], -v[99:100], v[101:102], 1.0
	v_fma_f64 v[101:102], v[101:102], v[105:106], v[101:102]
	v_fma_f64 v[105:106], -v[99:100], v[101:102], 1.0
	v_fma_f64 v[101:102], v[101:102], v[105:106], v[101:102]
	v_mul_f64 v[105:106], v[107:108], v[101:102]
	v_fma_f64 v[99:100], -v[99:100], v[105:106], v[107:108]
	v_div_fmas_f64 v[99:100], v[99:100], v[101:102], v[105:106]
	v_div_fixup_f64 v[101:102], v[99:100], v[97:98], 1.0
	v_mul_f64 v[103:104], v[103:104], -v[101:102]
.LBB85_205:
	s_or_b64 exec, exec, s[2:3]
	ds_write2_b64 v127, v[101:102], v[103:104] offset1:1
.LBB85_206:
	s_or_b64 exec, exec, s[4:5]
	s_waitcnt lgkmcnt(0)
	s_barrier
	ds_read2_b64 v[69:72], v127 offset1:1
	v_cmp_lt_u32_e32 vcc, 22, v0
	s_waitcnt lgkmcnt(0)
	buffer_store_dword v69, off, s[20:23], 0 offset:1024 ; 4-byte Folded Spill
	s_nop 0
	buffer_store_dword v70, off, s[20:23], 0 offset:1028 ; 4-byte Folded Spill
	buffer_store_dword v71, off, s[20:23], 0 offset:1032 ; 4-byte Folded Spill
	;; [unrolled: 1-line block ×3, first 2 shown]
	s_mov_b64 s[2:3], exec
	s_and_b64 s[4:5], s[2:3], vcc
	buffer_store_dword v77, off, s[20:23], 0 offset:336 ; 4-byte Folded Spill
	s_nop 0
	buffer_store_dword v78, off, s[20:23], 0 offset:340 ; 4-byte Folded Spill
	buffer_store_dword v79, off, s[20:23], 0 offset:344 ; 4-byte Folded Spill
	;; [unrolled: 1-line block ×3, first 2 shown]
	s_mov_b64 exec, s[4:5]
	s_cbranch_execz .LBB85_208
; %bb.207:
	buffer_load_dword v85, off, s[20:23], 0 offset:32 ; 4-byte Folded Reload
	buffer_load_dword v86, off, s[20:23], 0 offset:36 ; 4-byte Folded Reload
	;; [unrolled: 1-line block ×8, first 2 shown]
	ds_read2_b64 v[99:102], v125 offset0:46 offset1:47
	buffer_load_dword v73, off, s[20:23], 0 offset:16 ; 4-byte Folded Reload
	buffer_load_dword v74, off, s[20:23], 0 offset:20 ; 4-byte Folded Reload
	;; [unrolled: 1-line block ×4, first 2 shown]
	s_waitcnt vmcnt(6)
	v_mul_f64 v[79:80], v[69:70], v[87:88]
	s_waitcnt vmcnt(4)
	v_mul_f64 v[97:98], v[71:72], v[87:88]
	v_fma_f64 v[87:88], v[71:72], v[85:86], v[79:80]
	v_fma_f64 v[97:98], v[69:70], v[85:86], -v[97:98]
	s_waitcnt lgkmcnt(0)
	v_mul_f64 v[77:78], v[101:102], v[87:88]
	v_mov_b32_e32 v85, v97
	v_mov_b32_e32 v86, v98
	v_fma_f64 v[77:78], v[99:100], v[97:98], -v[77:78]
	v_mul_f64 v[99:100], v[99:100], v[87:88]
	s_waitcnt vmcnt(2)
	v_add_f64 v[73:74], v[73:74], -v[77:78]
	v_fma_f64 v[99:100], v[101:102], v[97:98], v[99:100]
	s_waitcnt vmcnt(0)
	v_add_f64 v[75:76], v[75:76], -v[99:100]
	buffer_store_dword v73, off, s[20:23], 0 offset:16 ; 4-byte Folded Spill
	s_nop 0
	buffer_store_dword v74, off, s[20:23], 0 offset:20 ; 4-byte Folded Spill
	buffer_store_dword v75, off, s[20:23], 0 offset:24 ; 4-byte Folded Spill
	;; [unrolled: 1-line block ×3, first 2 shown]
	ds_read2_b64 v[99:102], v125 offset0:48 offset1:49
	buffer_load_dword v69, off, s[20:23], 0 ; 4-byte Folded Reload
	buffer_load_dword v70, off, s[20:23], 0 offset:4 ; 4-byte Folded Reload
	buffer_load_dword v71, off, s[20:23], 0 offset:8 ; 4-byte Folded Reload
	;; [unrolled: 1-line block ×3, first 2 shown]
	s_waitcnt lgkmcnt(0)
	v_mul_f64 v[77:78], v[101:102], v[87:88]
	v_fma_f64 v[77:78], v[99:100], v[97:98], -v[77:78]
	v_mul_f64 v[99:100], v[99:100], v[87:88]
	v_fma_f64 v[99:100], v[101:102], v[97:98], v[99:100]
	s_waitcnt vmcnt(2)
	v_add_f64 v[69:70], v[69:70], -v[77:78]
	s_waitcnt vmcnt(0)
	v_add_f64 v[71:72], v[71:72], -v[99:100]
	buffer_store_dword v69, off, s[20:23], 0 ; 4-byte Folded Spill
	s_nop 0
	buffer_store_dword v70, off, s[20:23], 0 offset:4 ; 4-byte Folded Spill
	buffer_store_dword v71, off, s[20:23], 0 offset:8 ; 4-byte Folded Spill
	;; [unrolled: 1-line block ×3, first 2 shown]
	ds_read2_b64 v[99:102], v125 offset0:50 offset1:51
	s_waitcnt lgkmcnt(0)
	v_mul_f64 v[77:78], v[101:102], v[87:88]
	v_fma_f64 v[77:78], v[99:100], v[97:98], -v[77:78]
	v_mul_f64 v[99:100], v[99:100], v[87:88]
	v_add_f64 v[65:66], v[65:66], -v[77:78]
	v_fma_f64 v[99:100], v[101:102], v[97:98], v[99:100]
	v_add_f64 v[67:68], v[67:68], -v[99:100]
	ds_read2_b64 v[99:102], v125 offset0:52 offset1:53
	s_waitcnt lgkmcnt(0)
	v_mul_f64 v[77:78], v[101:102], v[87:88]
	v_fma_f64 v[77:78], v[99:100], v[97:98], -v[77:78]
	v_mul_f64 v[99:100], v[99:100], v[87:88]
	v_add_f64 v[61:62], v[61:62], -v[77:78]
	v_fma_f64 v[99:100], v[101:102], v[97:98], v[99:100]
	v_add_f64 v[63:64], v[63:64], -v[99:100]
	;; [unrolled: 8-line block ×17, first 2 shown]
	ds_read2_b64 v[99:102], v125 offset0:84 offset1:85
	s_waitcnt lgkmcnt(0)
	v_mul_f64 v[77:78], v[101:102], v[87:88]
	v_fma_f64 v[77:78], v[99:100], v[97:98], -v[77:78]
	v_mul_f64 v[99:100], v[99:100], v[87:88]
	v_add_f64 v[121:122], v[121:122], -v[77:78]
	buffer_load_dword v77, off, s[20:23], 0 offset:336 ; 4-byte Folded Reload
	buffer_load_dword v78, off, s[20:23], 0 offset:340 ; 4-byte Folded Reload
	;; [unrolled: 1-line block ×4, first 2 shown]
	v_fma_f64 v[99:100], v[101:102], v[97:98], v[99:100]
	buffer_store_dword v85, off, s[20:23], 0 offset:32 ; 4-byte Folded Spill
	s_nop 0
	buffer_store_dword v86, off, s[20:23], 0 offset:36 ; 4-byte Folded Spill
	buffer_store_dword v87, off, s[20:23], 0 offset:40 ; 4-byte Folded Spill
	;; [unrolled: 1-line block ×3, first 2 shown]
	v_add_f64 v[123:124], v[123:124], -v[99:100]
.LBB85_208:
	s_or_b64 exec, exec, s[2:3]
	v_cmp_eq_u32_e32 vcc, 23, v0
	s_waitcnt vmcnt(0)
	s_barrier
	s_and_saveexec_b64 s[4:5], vcc
	s_cbranch_execz .LBB85_215
; %bb.209:
	buffer_load_dword v73, off, s[20:23], 0 offset:16 ; 4-byte Folded Reload
	buffer_load_dword v74, off, s[20:23], 0 offset:20 ; 4-byte Folded Reload
	;; [unrolled: 1-line block ×4, first 2 shown]
	s_waitcnt vmcnt(0)
	ds_write2_b64 v127, v[73:74], v[75:76] offset1:1
	buffer_load_dword v69, off, s[20:23], 0 ; 4-byte Folded Reload
	buffer_load_dword v70, off, s[20:23], 0 offset:4 ; 4-byte Folded Reload
	buffer_load_dword v71, off, s[20:23], 0 offset:8 ; 4-byte Folded Reload
	;; [unrolled: 1-line block ×3, first 2 shown]
	s_waitcnt vmcnt(0)
	ds_write2_b64 v125, v[69:70], v[71:72] offset0:48 offset1:49
	ds_write2_b64 v125, v[65:66], v[67:68] offset0:50 offset1:51
	;; [unrolled: 1-line block ×19, first 2 shown]
	ds_read2_b64 v[97:100], v127 offset1:1
	s_waitcnt lgkmcnt(0)
	v_cmp_neq_f64_e32 vcc, 0, v[97:98]
	v_cmp_neq_f64_e64 s[2:3], 0, v[99:100]
	s_or_b64 s[2:3], vcc, s[2:3]
	s_and_b64 exec, exec, s[2:3]
	s_cbranch_execz .LBB85_215
; %bb.210:
	v_cmp_ngt_f64_e64 s[2:3], |v[97:98]|, |v[99:100]|
                                        ; implicit-def: $vgpr101_vgpr102
	s_and_saveexec_b64 s[6:7], s[2:3]
	s_xor_b64 s[2:3], exec, s[6:7]
                                        ; implicit-def: $vgpr103_vgpr104
	s_cbranch_execz .LBB85_212
; %bb.211:
	v_div_scale_f64 v[101:102], s[6:7], v[99:100], v[99:100], v[97:98]
	v_rcp_f64_e32 v[103:104], v[101:102]
	v_fma_f64 v[105:106], -v[101:102], v[103:104], 1.0
	v_fma_f64 v[103:104], v[103:104], v[105:106], v[103:104]
	v_div_scale_f64 v[105:106], vcc, v[97:98], v[99:100], v[97:98]
	v_fma_f64 v[107:108], -v[101:102], v[103:104], 1.0
	v_fma_f64 v[103:104], v[103:104], v[107:108], v[103:104]
	v_mul_f64 v[107:108], v[105:106], v[103:104]
	v_fma_f64 v[101:102], -v[101:102], v[107:108], v[105:106]
	v_div_fmas_f64 v[101:102], v[101:102], v[103:104], v[107:108]
	v_div_fixup_f64 v[101:102], v[101:102], v[99:100], v[97:98]
	v_fma_f64 v[97:98], v[97:98], v[101:102], v[99:100]
	v_div_scale_f64 v[99:100], s[6:7], v[97:98], v[97:98], 1.0
	v_div_scale_f64 v[107:108], vcc, 1.0, v[97:98], 1.0
	v_rcp_f64_e32 v[103:104], v[99:100]
	v_fma_f64 v[105:106], -v[99:100], v[103:104], 1.0
	v_fma_f64 v[103:104], v[103:104], v[105:106], v[103:104]
	v_fma_f64 v[105:106], -v[99:100], v[103:104], 1.0
	v_fma_f64 v[103:104], v[103:104], v[105:106], v[103:104]
	v_mul_f64 v[105:106], v[107:108], v[103:104]
	v_fma_f64 v[99:100], -v[99:100], v[105:106], v[107:108]
	v_div_fmas_f64 v[99:100], v[99:100], v[103:104], v[105:106]
	v_div_fixup_f64 v[103:104], v[99:100], v[97:98], 1.0
                                        ; implicit-def: $vgpr97_vgpr98
	v_mul_f64 v[101:102], v[101:102], v[103:104]
	v_xor_b32_e32 v104, 0x80000000, v104
.LBB85_212:
	s_andn2_saveexec_b64 s[2:3], s[2:3]
	s_cbranch_execz .LBB85_214
; %bb.213:
	v_div_scale_f64 v[101:102], s[6:7], v[97:98], v[97:98], v[99:100]
	v_rcp_f64_e32 v[103:104], v[101:102]
	v_fma_f64 v[105:106], -v[101:102], v[103:104], 1.0
	v_fma_f64 v[103:104], v[103:104], v[105:106], v[103:104]
	v_div_scale_f64 v[105:106], vcc, v[99:100], v[97:98], v[99:100]
	v_fma_f64 v[107:108], -v[101:102], v[103:104], 1.0
	v_fma_f64 v[103:104], v[103:104], v[107:108], v[103:104]
	v_mul_f64 v[107:108], v[105:106], v[103:104]
	v_fma_f64 v[101:102], -v[101:102], v[107:108], v[105:106]
	v_div_fmas_f64 v[101:102], v[101:102], v[103:104], v[107:108]
	v_div_fixup_f64 v[103:104], v[101:102], v[97:98], v[99:100]
	v_fma_f64 v[97:98], v[99:100], v[103:104], v[97:98]
	v_div_scale_f64 v[99:100], s[6:7], v[97:98], v[97:98], 1.0
	v_div_scale_f64 v[107:108], vcc, 1.0, v[97:98], 1.0
	v_rcp_f64_e32 v[101:102], v[99:100]
	v_fma_f64 v[105:106], -v[99:100], v[101:102], 1.0
	v_fma_f64 v[101:102], v[101:102], v[105:106], v[101:102]
	v_fma_f64 v[105:106], -v[99:100], v[101:102], 1.0
	v_fma_f64 v[101:102], v[101:102], v[105:106], v[101:102]
	v_mul_f64 v[105:106], v[107:108], v[101:102]
	v_fma_f64 v[99:100], -v[99:100], v[105:106], v[107:108]
	v_div_fmas_f64 v[99:100], v[99:100], v[101:102], v[105:106]
	v_div_fixup_f64 v[101:102], v[99:100], v[97:98], 1.0
	v_mul_f64 v[103:104], v[103:104], -v[101:102]
.LBB85_214:
	s_or_b64 exec, exec, s[2:3]
	ds_write2_b64 v127, v[101:102], v[103:104] offset1:1
.LBB85_215:
	s_or_b64 exec, exec, s[4:5]
	s_waitcnt lgkmcnt(0)
	s_barrier
	ds_read2_b64 v[85:88], v127 offset1:1
	v_cmp_lt_u32_e32 vcc, 23, v0
	s_and_saveexec_b64 s[2:3], vcc
	s_cbranch_execz .LBB85_217
; %bb.216:
	buffer_load_dword v73, off, s[20:23], 0 offset:16 ; 4-byte Folded Reload
	buffer_load_dword v74, off, s[20:23], 0 offset:20 ; 4-byte Folded Reload
	;; [unrolled: 1-line block ×4, first 2 shown]
	ds_read2_b64 v[99:102], v125 offset0:48 offset1:49
	buffer_load_dword v69, off, s[20:23], 0 ; 4-byte Folded Reload
	buffer_load_dword v70, off, s[20:23], 0 offset:4 ; 4-byte Folded Reload
	buffer_load_dword v71, off, s[20:23], 0 offset:8 ; 4-byte Folded Reload
	;; [unrolled: 1-line block ×3, first 2 shown]
	s_waitcnt vmcnt(4) lgkmcnt(1)
	v_mul_f64 v[97:98], v[87:88], v[75:76]
	v_mul_f64 v[75:76], v[85:86], v[75:76]
	v_fma_f64 v[97:98], v[85:86], v[73:74], -v[97:98]
	v_fma_f64 v[75:76], v[87:88], v[73:74], v[75:76]
	s_waitcnt lgkmcnt(0)
	v_mul_f64 v[73:74], v[101:102], v[75:76]
	v_fma_f64 v[73:74], v[99:100], v[97:98], -v[73:74]
	v_mul_f64 v[99:100], v[99:100], v[75:76]
	s_waitcnt vmcnt(2)
	v_add_f64 v[69:70], v[69:70], -v[73:74]
	v_fma_f64 v[99:100], v[101:102], v[97:98], v[99:100]
	s_waitcnt vmcnt(0)
	v_add_f64 v[71:72], v[71:72], -v[99:100]
	buffer_store_dword v69, off, s[20:23], 0 ; 4-byte Folded Spill
	s_nop 0
	buffer_store_dword v70, off, s[20:23], 0 offset:4 ; 4-byte Folded Spill
	buffer_store_dword v71, off, s[20:23], 0 offset:8 ; 4-byte Folded Spill
	;; [unrolled: 1-line block ×3, first 2 shown]
	ds_read2_b64 v[99:102], v125 offset0:50 offset1:51
	s_waitcnt lgkmcnt(0)
	v_mul_f64 v[73:74], v[101:102], v[75:76]
	v_fma_f64 v[73:74], v[99:100], v[97:98], -v[73:74]
	v_mul_f64 v[99:100], v[99:100], v[75:76]
	v_add_f64 v[65:66], v[65:66], -v[73:74]
	v_fma_f64 v[99:100], v[101:102], v[97:98], v[99:100]
	v_add_f64 v[67:68], v[67:68], -v[99:100]
	ds_read2_b64 v[99:102], v125 offset0:52 offset1:53
	s_waitcnt lgkmcnt(0)
	v_mul_f64 v[73:74], v[101:102], v[75:76]
	v_fma_f64 v[73:74], v[99:100], v[97:98], -v[73:74]
	v_mul_f64 v[99:100], v[99:100], v[75:76]
	v_add_f64 v[61:62], v[61:62], -v[73:74]
	v_fma_f64 v[99:100], v[101:102], v[97:98], v[99:100]
	v_add_f64 v[63:64], v[63:64], -v[99:100]
	;; [unrolled: 8-line block ×17, first 2 shown]
	ds_read2_b64 v[99:102], v125 offset0:84 offset1:85
	s_waitcnt lgkmcnt(0)
	v_mul_f64 v[73:74], v[101:102], v[75:76]
	v_fma_f64 v[73:74], v[99:100], v[97:98], -v[73:74]
	v_mul_f64 v[99:100], v[99:100], v[75:76]
	v_add_f64 v[121:122], v[121:122], -v[73:74]
	v_fma_f64 v[99:100], v[101:102], v[97:98], v[99:100]
	v_mov_b32_e32 v73, v97
	v_mov_b32_e32 v74, v98
	buffer_store_dword v73, off, s[20:23], 0 offset:16 ; 4-byte Folded Spill
	s_nop 0
	buffer_store_dword v74, off, s[20:23], 0 offset:20 ; 4-byte Folded Spill
	buffer_store_dword v75, off, s[20:23], 0 offset:24 ; 4-byte Folded Spill
	;; [unrolled: 1-line block ×3, first 2 shown]
	v_add_f64 v[123:124], v[123:124], -v[99:100]
.LBB85_217:
	s_or_b64 exec, exec, s[2:3]
	v_cmp_eq_u32_e32 vcc, 24, v0
	s_waitcnt vmcnt(0) lgkmcnt(0)
	s_barrier
	s_and_saveexec_b64 s[4:5], vcc
	s_cbranch_execz .LBB85_224
; %bb.218:
	buffer_load_dword v69, off, s[20:23], 0 ; 4-byte Folded Reload
	buffer_load_dword v70, off, s[20:23], 0 offset:4 ; 4-byte Folded Reload
	buffer_load_dword v71, off, s[20:23], 0 offset:8 ; 4-byte Folded Reload
	;; [unrolled: 1-line block ×3, first 2 shown]
	s_waitcnt vmcnt(0)
	ds_write2_b64 v127, v[69:70], v[71:72] offset1:1
	ds_write2_b64 v125, v[65:66], v[67:68] offset0:50 offset1:51
	ds_write2_b64 v125, v[61:62], v[63:64] offset0:52 offset1:53
	ds_write2_b64 v125, v[57:58], v[59:60] offset0:54 offset1:55
	ds_write2_b64 v125, v[53:54], v[55:56] offset0:56 offset1:57
	ds_write2_b64 v125, v[49:50], v[51:52] offset0:58 offset1:59
	ds_write2_b64 v125, v[45:46], v[47:48] offset0:60 offset1:61
	ds_write2_b64 v125, v[41:42], v[43:44] offset0:62 offset1:63
	ds_write2_b64 v125, v[37:38], v[39:40] offset0:64 offset1:65
	ds_write2_b64 v125, v[33:34], v[35:36] offset0:66 offset1:67
	ds_write2_b64 v125, v[29:30], v[31:32] offset0:68 offset1:69
	ds_write2_b64 v125, v[25:26], v[27:28] offset0:70 offset1:71
	ds_write2_b64 v125, v[21:22], v[23:24] offset0:72 offset1:73
	ds_write2_b64 v125, v[17:18], v[19:20] offset0:74 offset1:75
	ds_write2_b64 v125, v[13:14], v[15:16] offset0:76 offset1:77
	ds_write2_b64 v125, v[9:10], v[11:12] offset0:78 offset1:79
	ds_write2_b64 v125, v[5:6], v[7:8] offset0:80 offset1:81
	ds_write2_b64 v125, v[1:2], v[3:4] offset0:82 offset1:83
	ds_write2_b64 v125, v[121:122], v[123:124] offset0:84 offset1:85
	ds_read2_b64 v[97:100], v127 offset1:1
	s_waitcnt lgkmcnt(0)
	v_cmp_neq_f64_e32 vcc, 0, v[97:98]
	v_cmp_neq_f64_e64 s[2:3], 0, v[99:100]
	s_or_b64 s[2:3], vcc, s[2:3]
	s_and_b64 exec, exec, s[2:3]
	s_cbranch_execz .LBB85_224
; %bb.219:
	v_cmp_ngt_f64_e64 s[2:3], |v[97:98]|, |v[99:100]|
                                        ; implicit-def: $vgpr101_vgpr102
	s_and_saveexec_b64 s[6:7], s[2:3]
	s_xor_b64 s[2:3], exec, s[6:7]
                                        ; implicit-def: $vgpr103_vgpr104
	s_cbranch_execz .LBB85_221
; %bb.220:
	v_div_scale_f64 v[101:102], s[6:7], v[99:100], v[99:100], v[97:98]
	v_rcp_f64_e32 v[103:104], v[101:102]
	v_fma_f64 v[105:106], -v[101:102], v[103:104], 1.0
	v_fma_f64 v[103:104], v[103:104], v[105:106], v[103:104]
	v_div_scale_f64 v[105:106], vcc, v[97:98], v[99:100], v[97:98]
	v_fma_f64 v[107:108], -v[101:102], v[103:104], 1.0
	v_fma_f64 v[103:104], v[103:104], v[107:108], v[103:104]
	v_mul_f64 v[107:108], v[105:106], v[103:104]
	v_fma_f64 v[101:102], -v[101:102], v[107:108], v[105:106]
	v_div_fmas_f64 v[101:102], v[101:102], v[103:104], v[107:108]
	v_div_fixup_f64 v[101:102], v[101:102], v[99:100], v[97:98]
	v_fma_f64 v[97:98], v[97:98], v[101:102], v[99:100]
	v_div_scale_f64 v[99:100], s[6:7], v[97:98], v[97:98], 1.0
	v_div_scale_f64 v[107:108], vcc, 1.0, v[97:98], 1.0
	v_rcp_f64_e32 v[103:104], v[99:100]
	v_fma_f64 v[105:106], -v[99:100], v[103:104], 1.0
	v_fma_f64 v[103:104], v[103:104], v[105:106], v[103:104]
	v_fma_f64 v[105:106], -v[99:100], v[103:104], 1.0
	v_fma_f64 v[103:104], v[103:104], v[105:106], v[103:104]
	v_mul_f64 v[105:106], v[107:108], v[103:104]
	v_fma_f64 v[99:100], -v[99:100], v[105:106], v[107:108]
	v_div_fmas_f64 v[99:100], v[99:100], v[103:104], v[105:106]
	v_div_fixup_f64 v[103:104], v[99:100], v[97:98], 1.0
                                        ; implicit-def: $vgpr97_vgpr98
	v_mul_f64 v[101:102], v[101:102], v[103:104]
	v_xor_b32_e32 v104, 0x80000000, v104
.LBB85_221:
	s_andn2_saveexec_b64 s[2:3], s[2:3]
	s_cbranch_execz .LBB85_223
; %bb.222:
	v_div_scale_f64 v[101:102], s[6:7], v[97:98], v[97:98], v[99:100]
	v_rcp_f64_e32 v[103:104], v[101:102]
	v_fma_f64 v[105:106], -v[101:102], v[103:104], 1.0
	v_fma_f64 v[103:104], v[103:104], v[105:106], v[103:104]
	v_div_scale_f64 v[105:106], vcc, v[99:100], v[97:98], v[99:100]
	v_fma_f64 v[107:108], -v[101:102], v[103:104], 1.0
	v_fma_f64 v[103:104], v[103:104], v[107:108], v[103:104]
	v_mul_f64 v[107:108], v[105:106], v[103:104]
	v_fma_f64 v[101:102], -v[101:102], v[107:108], v[105:106]
	v_div_fmas_f64 v[101:102], v[101:102], v[103:104], v[107:108]
	v_div_fixup_f64 v[103:104], v[101:102], v[97:98], v[99:100]
	v_fma_f64 v[97:98], v[99:100], v[103:104], v[97:98]
	v_div_scale_f64 v[99:100], s[6:7], v[97:98], v[97:98], 1.0
	v_div_scale_f64 v[107:108], vcc, 1.0, v[97:98], 1.0
	v_rcp_f64_e32 v[101:102], v[99:100]
	v_fma_f64 v[105:106], -v[99:100], v[101:102], 1.0
	v_fma_f64 v[101:102], v[101:102], v[105:106], v[101:102]
	v_fma_f64 v[105:106], -v[99:100], v[101:102], 1.0
	v_fma_f64 v[101:102], v[101:102], v[105:106], v[101:102]
	v_mul_f64 v[105:106], v[107:108], v[101:102]
	v_fma_f64 v[99:100], -v[99:100], v[105:106], v[107:108]
	v_div_fmas_f64 v[99:100], v[99:100], v[101:102], v[105:106]
	v_div_fixup_f64 v[101:102], v[99:100], v[97:98], 1.0
	v_mul_f64 v[103:104], v[103:104], -v[101:102]
.LBB85_223:
	s_or_b64 exec, exec, s[2:3]
	ds_write2_b64 v127, v[101:102], v[103:104] offset1:1
.LBB85_224:
	s_or_b64 exec, exec, s[4:5]
	s_waitcnt lgkmcnt(0)
	s_barrier
	ds_read2_b64 v[73:76], v127 offset1:1
	v_cmp_lt_u32_e32 vcc, 24, v0
	s_and_saveexec_b64 s[2:3], vcc
	s_cbranch_execz .LBB85_226
; %bb.225:
	buffer_load_dword v69, off, s[20:23], 0 ; 4-byte Folded Reload
	buffer_load_dword v70, off, s[20:23], 0 offset:4 ; 4-byte Folded Reload
	buffer_load_dword v71, off, s[20:23], 0 offset:8 ; 4-byte Folded Reload
	;; [unrolled: 1-line block ×3, first 2 shown]
	ds_read2_b64 v[99:102], v125 offset0:50 offset1:51
	s_waitcnt vmcnt(0) lgkmcnt(1)
	v_mul_f64 v[97:98], v[75:76], v[71:72]
	v_mul_f64 v[71:72], v[73:74], v[71:72]
	v_fma_f64 v[97:98], v[73:74], v[69:70], -v[97:98]
	v_fma_f64 v[71:72], v[75:76], v[69:70], v[71:72]
	s_waitcnt lgkmcnt(0)
	v_mul_f64 v[69:70], v[101:102], v[71:72]
	v_fma_f64 v[69:70], v[99:100], v[97:98], -v[69:70]
	v_mul_f64 v[99:100], v[99:100], v[71:72]
	v_add_f64 v[65:66], v[65:66], -v[69:70]
	v_fma_f64 v[99:100], v[101:102], v[97:98], v[99:100]
	v_add_f64 v[67:68], v[67:68], -v[99:100]
	ds_read2_b64 v[99:102], v125 offset0:52 offset1:53
	s_waitcnt lgkmcnt(0)
	v_mul_f64 v[69:70], v[101:102], v[71:72]
	v_fma_f64 v[69:70], v[99:100], v[97:98], -v[69:70]
	v_mul_f64 v[99:100], v[99:100], v[71:72]
	v_add_f64 v[61:62], v[61:62], -v[69:70]
	v_fma_f64 v[99:100], v[101:102], v[97:98], v[99:100]
	v_add_f64 v[63:64], v[63:64], -v[99:100]
	ds_read2_b64 v[99:102], v125 offset0:54 offset1:55
	;; [unrolled: 8-line block ×17, first 2 shown]
	s_waitcnt lgkmcnt(0)
	v_mul_f64 v[69:70], v[101:102], v[71:72]
	v_fma_f64 v[69:70], v[99:100], v[97:98], -v[69:70]
	v_mul_f64 v[99:100], v[99:100], v[71:72]
	v_add_f64 v[121:122], v[121:122], -v[69:70]
	v_fma_f64 v[99:100], v[101:102], v[97:98], v[99:100]
	v_mov_b32_e32 v69, v97
	v_mov_b32_e32 v70, v98
	buffer_store_dword v69, off, s[20:23], 0 ; 4-byte Folded Spill
	s_nop 0
	buffer_store_dword v70, off, s[20:23], 0 offset:4 ; 4-byte Folded Spill
	buffer_store_dword v71, off, s[20:23], 0 offset:8 ; 4-byte Folded Spill
	;; [unrolled: 1-line block ×3, first 2 shown]
	v_add_f64 v[123:124], v[123:124], -v[99:100]
.LBB85_226:
	s_or_b64 exec, exec, s[2:3]
	v_cmp_eq_u32_e32 vcc, 25, v0
	s_waitcnt vmcnt(0) lgkmcnt(0)
	s_barrier
	s_and_saveexec_b64 s[4:5], vcc
	s_cbranch_execz .LBB85_233
; %bb.227:
	ds_write2_b64 v127, v[65:66], v[67:68] offset1:1
	ds_write2_b64 v125, v[61:62], v[63:64] offset0:52 offset1:53
	ds_write2_b64 v125, v[57:58], v[59:60] offset0:54 offset1:55
	;; [unrolled: 1-line block ×17, first 2 shown]
	ds_read2_b64 v[97:100], v127 offset1:1
	s_waitcnt lgkmcnt(0)
	v_cmp_neq_f64_e32 vcc, 0, v[97:98]
	v_cmp_neq_f64_e64 s[2:3], 0, v[99:100]
	s_or_b64 s[2:3], vcc, s[2:3]
	s_and_b64 exec, exec, s[2:3]
	s_cbranch_execz .LBB85_233
; %bb.228:
	v_cmp_ngt_f64_e64 s[2:3], |v[97:98]|, |v[99:100]|
                                        ; implicit-def: $vgpr101_vgpr102
	s_and_saveexec_b64 s[6:7], s[2:3]
	s_xor_b64 s[2:3], exec, s[6:7]
                                        ; implicit-def: $vgpr103_vgpr104
	s_cbranch_execz .LBB85_230
; %bb.229:
	v_div_scale_f64 v[101:102], s[6:7], v[99:100], v[99:100], v[97:98]
	v_rcp_f64_e32 v[103:104], v[101:102]
	v_fma_f64 v[105:106], -v[101:102], v[103:104], 1.0
	v_fma_f64 v[103:104], v[103:104], v[105:106], v[103:104]
	v_div_scale_f64 v[105:106], vcc, v[97:98], v[99:100], v[97:98]
	v_fma_f64 v[107:108], -v[101:102], v[103:104], 1.0
	v_fma_f64 v[103:104], v[103:104], v[107:108], v[103:104]
	v_mul_f64 v[107:108], v[105:106], v[103:104]
	v_fma_f64 v[101:102], -v[101:102], v[107:108], v[105:106]
	v_div_fmas_f64 v[101:102], v[101:102], v[103:104], v[107:108]
	v_div_fixup_f64 v[101:102], v[101:102], v[99:100], v[97:98]
	v_fma_f64 v[97:98], v[97:98], v[101:102], v[99:100]
	v_div_scale_f64 v[99:100], s[6:7], v[97:98], v[97:98], 1.0
	v_div_scale_f64 v[107:108], vcc, 1.0, v[97:98], 1.0
	v_rcp_f64_e32 v[103:104], v[99:100]
	v_fma_f64 v[105:106], -v[99:100], v[103:104], 1.0
	v_fma_f64 v[103:104], v[103:104], v[105:106], v[103:104]
	v_fma_f64 v[105:106], -v[99:100], v[103:104], 1.0
	v_fma_f64 v[103:104], v[103:104], v[105:106], v[103:104]
	v_mul_f64 v[105:106], v[107:108], v[103:104]
	v_fma_f64 v[99:100], -v[99:100], v[105:106], v[107:108]
	v_div_fmas_f64 v[99:100], v[99:100], v[103:104], v[105:106]
	v_div_fixup_f64 v[103:104], v[99:100], v[97:98], 1.0
                                        ; implicit-def: $vgpr97_vgpr98
	v_mul_f64 v[101:102], v[101:102], v[103:104]
	v_xor_b32_e32 v104, 0x80000000, v104
.LBB85_230:
	s_andn2_saveexec_b64 s[2:3], s[2:3]
	s_cbranch_execz .LBB85_232
; %bb.231:
	v_div_scale_f64 v[101:102], s[6:7], v[97:98], v[97:98], v[99:100]
	v_rcp_f64_e32 v[103:104], v[101:102]
	v_fma_f64 v[105:106], -v[101:102], v[103:104], 1.0
	v_fma_f64 v[103:104], v[103:104], v[105:106], v[103:104]
	v_div_scale_f64 v[105:106], vcc, v[99:100], v[97:98], v[99:100]
	v_fma_f64 v[107:108], -v[101:102], v[103:104], 1.0
	v_fma_f64 v[103:104], v[103:104], v[107:108], v[103:104]
	v_mul_f64 v[107:108], v[105:106], v[103:104]
	v_fma_f64 v[101:102], -v[101:102], v[107:108], v[105:106]
	v_div_fmas_f64 v[101:102], v[101:102], v[103:104], v[107:108]
	v_div_fixup_f64 v[103:104], v[101:102], v[97:98], v[99:100]
	v_fma_f64 v[97:98], v[99:100], v[103:104], v[97:98]
	v_div_scale_f64 v[99:100], s[6:7], v[97:98], v[97:98], 1.0
	v_div_scale_f64 v[107:108], vcc, 1.0, v[97:98], 1.0
	v_rcp_f64_e32 v[101:102], v[99:100]
	v_fma_f64 v[105:106], -v[99:100], v[101:102], 1.0
	v_fma_f64 v[101:102], v[101:102], v[105:106], v[101:102]
	v_fma_f64 v[105:106], -v[99:100], v[101:102], 1.0
	v_fma_f64 v[101:102], v[101:102], v[105:106], v[101:102]
	v_mul_f64 v[105:106], v[107:108], v[101:102]
	v_fma_f64 v[99:100], -v[99:100], v[105:106], v[107:108]
	v_div_fmas_f64 v[99:100], v[99:100], v[101:102], v[105:106]
	v_div_fixup_f64 v[101:102], v[99:100], v[97:98], 1.0
	v_mul_f64 v[103:104], v[103:104], -v[101:102]
.LBB85_232:
	s_or_b64 exec, exec, s[2:3]
	ds_write2_b64 v127, v[101:102], v[103:104] offset1:1
.LBB85_233:
	s_or_b64 exec, exec, s[4:5]
	s_waitcnt lgkmcnt(0)
	s_barrier
	ds_read2_b64 v[69:72], v127 offset1:1
	v_cmp_lt_u32_e32 vcc, 25, v0
	s_and_saveexec_b64 s[2:3], vcc
	s_cbranch_execz .LBB85_235
; %bb.234:
	s_waitcnt lgkmcnt(0)
	v_mul_f64 v[97:98], v[71:72], v[67:68]
	v_mul_f64 v[67:68], v[69:70], v[67:68]
	ds_read2_b64 v[99:102], v125 offset0:52 offset1:53
	v_fma_f64 v[97:98], v[69:70], v[65:66], -v[97:98]
	v_fma_f64 v[67:68], v[71:72], v[65:66], v[67:68]
	s_waitcnt lgkmcnt(0)
	v_mul_f64 v[65:66], v[101:102], v[67:68]
	v_fma_f64 v[65:66], v[99:100], v[97:98], -v[65:66]
	v_mul_f64 v[99:100], v[99:100], v[67:68]
	v_add_f64 v[61:62], v[61:62], -v[65:66]
	v_fma_f64 v[99:100], v[101:102], v[97:98], v[99:100]
	v_add_f64 v[63:64], v[63:64], -v[99:100]
	ds_read2_b64 v[99:102], v125 offset0:54 offset1:55
	s_waitcnt lgkmcnt(0)
	v_mul_f64 v[65:66], v[101:102], v[67:68]
	v_fma_f64 v[65:66], v[99:100], v[97:98], -v[65:66]
	v_mul_f64 v[99:100], v[99:100], v[67:68]
	v_add_f64 v[57:58], v[57:58], -v[65:66]
	v_fma_f64 v[99:100], v[101:102], v[97:98], v[99:100]
	v_add_f64 v[59:60], v[59:60], -v[99:100]
	ds_read2_b64 v[99:102], v125 offset0:56 offset1:57
	;; [unrolled: 8-line block ×16, first 2 shown]
	s_waitcnt lgkmcnt(0)
	v_mul_f64 v[65:66], v[101:102], v[67:68]
	v_fma_f64 v[65:66], v[99:100], v[97:98], -v[65:66]
	v_mul_f64 v[99:100], v[99:100], v[67:68]
	v_add_f64 v[121:122], v[121:122], -v[65:66]
	v_fma_f64 v[99:100], v[101:102], v[97:98], v[99:100]
	v_mov_b32_e32 v65, v97
	v_mov_b32_e32 v66, v98
	v_add_f64 v[123:124], v[123:124], -v[99:100]
.LBB85_235:
	s_or_b64 exec, exec, s[2:3]
	v_cmp_eq_u32_e32 vcc, 26, v0
	s_waitcnt lgkmcnt(0)
	s_barrier
	s_and_saveexec_b64 s[4:5], vcc
	s_cbranch_execz .LBB85_242
; %bb.236:
	ds_write2_b64 v127, v[61:62], v[63:64] offset1:1
	ds_write2_b64 v125, v[57:58], v[59:60] offset0:54 offset1:55
	ds_write2_b64 v125, v[53:54], v[55:56] offset0:56 offset1:57
	;; [unrolled: 1-line block ×16, first 2 shown]
	ds_read2_b64 v[97:100], v127 offset1:1
	s_waitcnt lgkmcnt(0)
	v_cmp_neq_f64_e32 vcc, 0, v[97:98]
	v_cmp_neq_f64_e64 s[2:3], 0, v[99:100]
	s_or_b64 s[2:3], vcc, s[2:3]
	s_and_b64 exec, exec, s[2:3]
	s_cbranch_execz .LBB85_242
; %bb.237:
	v_cmp_ngt_f64_e64 s[2:3], |v[97:98]|, |v[99:100]|
                                        ; implicit-def: $vgpr101_vgpr102
	s_and_saveexec_b64 s[6:7], s[2:3]
	s_xor_b64 s[2:3], exec, s[6:7]
                                        ; implicit-def: $vgpr103_vgpr104
	s_cbranch_execz .LBB85_239
; %bb.238:
	v_div_scale_f64 v[101:102], s[6:7], v[99:100], v[99:100], v[97:98]
	v_rcp_f64_e32 v[103:104], v[101:102]
	v_fma_f64 v[105:106], -v[101:102], v[103:104], 1.0
	v_fma_f64 v[103:104], v[103:104], v[105:106], v[103:104]
	v_div_scale_f64 v[105:106], vcc, v[97:98], v[99:100], v[97:98]
	v_fma_f64 v[107:108], -v[101:102], v[103:104], 1.0
	v_fma_f64 v[103:104], v[103:104], v[107:108], v[103:104]
	v_mul_f64 v[107:108], v[105:106], v[103:104]
	v_fma_f64 v[101:102], -v[101:102], v[107:108], v[105:106]
	v_div_fmas_f64 v[101:102], v[101:102], v[103:104], v[107:108]
	v_div_fixup_f64 v[101:102], v[101:102], v[99:100], v[97:98]
	v_fma_f64 v[97:98], v[97:98], v[101:102], v[99:100]
	v_div_scale_f64 v[99:100], s[6:7], v[97:98], v[97:98], 1.0
	v_div_scale_f64 v[107:108], vcc, 1.0, v[97:98], 1.0
	v_rcp_f64_e32 v[103:104], v[99:100]
	v_fma_f64 v[105:106], -v[99:100], v[103:104], 1.0
	v_fma_f64 v[103:104], v[103:104], v[105:106], v[103:104]
	v_fma_f64 v[105:106], -v[99:100], v[103:104], 1.0
	v_fma_f64 v[103:104], v[103:104], v[105:106], v[103:104]
	v_mul_f64 v[105:106], v[107:108], v[103:104]
	v_fma_f64 v[99:100], -v[99:100], v[105:106], v[107:108]
	v_div_fmas_f64 v[99:100], v[99:100], v[103:104], v[105:106]
	v_div_fixup_f64 v[103:104], v[99:100], v[97:98], 1.0
                                        ; implicit-def: $vgpr97_vgpr98
	v_mul_f64 v[101:102], v[101:102], v[103:104]
	v_xor_b32_e32 v104, 0x80000000, v104
.LBB85_239:
	s_andn2_saveexec_b64 s[2:3], s[2:3]
	s_cbranch_execz .LBB85_241
; %bb.240:
	v_div_scale_f64 v[101:102], s[6:7], v[97:98], v[97:98], v[99:100]
	v_rcp_f64_e32 v[103:104], v[101:102]
	v_fma_f64 v[105:106], -v[101:102], v[103:104], 1.0
	v_fma_f64 v[103:104], v[103:104], v[105:106], v[103:104]
	v_div_scale_f64 v[105:106], vcc, v[99:100], v[97:98], v[99:100]
	v_fma_f64 v[107:108], -v[101:102], v[103:104], 1.0
	v_fma_f64 v[103:104], v[103:104], v[107:108], v[103:104]
	v_mul_f64 v[107:108], v[105:106], v[103:104]
	v_fma_f64 v[101:102], -v[101:102], v[107:108], v[105:106]
	v_div_fmas_f64 v[101:102], v[101:102], v[103:104], v[107:108]
	v_div_fixup_f64 v[103:104], v[101:102], v[97:98], v[99:100]
	v_fma_f64 v[97:98], v[99:100], v[103:104], v[97:98]
	v_div_scale_f64 v[99:100], s[6:7], v[97:98], v[97:98], 1.0
	v_div_scale_f64 v[107:108], vcc, 1.0, v[97:98], 1.0
	v_rcp_f64_e32 v[101:102], v[99:100]
	v_fma_f64 v[105:106], -v[99:100], v[101:102], 1.0
	v_fma_f64 v[101:102], v[101:102], v[105:106], v[101:102]
	v_fma_f64 v[105:106], -v[99:100], v[101:102], 1.0
	v_fma_f64 v[101:102], v[101:102], v[105:106], v[101:102]
	v_mul_f64 v[105:106], v[107:108], v[101:102]
	v_fma_f64 v[99:100], -v[99:100], v[105:106], v[107:108]
	v_div_fmas_f64 v[99:100], v[99:100], v[101:102], v[105:106]
	v_div_fixup_f64 v[101:102], v[99:100], v[97:98], 1.0
	v_mul_f64 v[103:104], v[103:104], -v[101:102]
.LBB85_241:
	s_or_b64 exec, exec, s[2:3]
	ds_write2_b64 v127, v[101:102], v[103:104] offset1:1
.LBB85_242:
	s_or_b64 exec, exec, s[4:5]
	s_waitcnt lgkmcnt(0)
	s_barrier
	ds_read2_b64 v[97:100], v127 offset1:1
	v_cmp_lt_u32_e32 vcc, 26, v0
	s_waitcnt lgkmcnt(0)
	buffer_store_dword v97, off, s[20:23], 0 offset:1040 ; 4-byte Folded Spill
	s_nop 0
	buffer_store_dword v98, off, s[20:23], 0 offset:1044 ; 4-byte Folded Spill
	buffer_store_dword v99, off, s[20:23], 0 offset:1048 ; 4-byte Folded Spill
	;; [unrolled: 1-line block ×3, first 2 shown]
	s_and_saveexec_b64 s[2:3], vcc
	s_cbranch_execz .LBB85_244
; %bb.243:
	buffer_load_dword v99, off, s[20:23], 0 offset:1040 ; 4-byte Folded Reload
	buffer_load_dword v100, off, s[20:23], 0 offset:1044 ; 4-byte Folded Reload
	;; [unrolled: 1-line block ×4, first 2 shown]
	s_waitcnt vmcnt(2)
	v_mul_f64 v[97:98], v[99:100], v[63:64]
	s_waitcnt vmcnt(0)
	v_mul_f64 v[63:64], v[101:102], v[63:64]
	v_fma_f64 v[97:98], v[101:102], v[61:62], v[97:98]
	v_fma_f64 v[61:62], v[99:100], v[61:62], -v[63:64]
	ds_read2_b64 v[99:102], v125 offset0:54 offset1:55
	s_waitcnt lgkmcnt(0)
	v_mul_f64 v[63:64], v[101:102], v[97:98]
	v_fma_f64 v[63:64], v[99:100], v[61:62], -v[63:64]
	v_mul_f64 v[99:100], v[99:100], v[97:98]
	v_add_f64 v[57:58], v[57:58], -v[63:64]
	v_fma_f64 v[99:100], v[101:102], v[61:62], v[99:100]
	v_add_f64 v[59:60], v[59:60], -v[99:100]
	ds_read2_b64 v[99:102], v125 offset0:56 offset1:57
	s_waitcnt lgkmcnt(0)
	v_mul_f64 v[63:64], v[101:102], v[97:98]
	v_fma_f64 v[63:64], v[99:100], v[61:62], -v[63:64]
	v_mul_f64 v[99:100], v[99:100], v[97:98]
	v_add_f64 v[53:54], v[53:54], -v[63:64]
	v_fma_f64 v[99:100], v[101:102], v[61:62], v[99:100]
	v_add_f64 v[55:56], v[55:56], -v[99:100]
	;; [unrolled: 8-line block ×15, first 2 shown]
	ds_read2_b64 v[99:102], v125 offset0:84 offset1:85
	s_waitcnt lgkmcnt(0)
	v_mul_f64 v[63:64], v[101:102], v[97:98]
	v_fma_f64 v[63:64], v[99:100], v[61:62], -v[63:64]
	v_mul_f64 v[99:100], v[99:100], v[97:98]
	v_add_f64 v[121:122], v[121:122], -v[63:64]
	v_fma_f64 v[99:100], v[101:102], v[61:62], v[99:100]
	v_mov_b32_e32 v63, v97
	v_mov_b32_e32 v64, v98
	v_add_f64 v[123:124], v[123:124], -v[99:100]
.LBB85_244:
	s_or_b64 exec, exec, s[2:3]
	v_cmp_eq_u32_e32 vcc, 27, v0
	s_waitcnt vmcnt(0)
	s_barrier
	s_and_saveexec_b64 s[4:5], vcc
	s_cbranch_execz .LBB85_251
; %bb.245:
	ds_write2_b64 v127, v[57:58], v[59:60] offset1:1
	ds_write2_b64 v125, v[53:54], v[55:56] offset0:56 offset1:57
	ds_write2_b64 v125, v[49:50], v[51:52] offset0:58 offset1:59
	;; [unrolled: 1-line block ×15, first 2 shown]
	ds_read2_b64 v[97:100], v127 offset1:1
	s_waitcnt lgkmcnt(0)
	v_cmp_neq_f64_e32 vcc, 0, v[97:98]
	v_cmp_neq_f64_e64 s[2:3], 0, v[99:100]
	s_or_b64 s[2:3], vcc, s[2:3]
	s_and_b64 exec, exec, s[2:3]
	s_cbranch_execz .LBB85_251
; %bb.246:
	v_cmp_ngt_f64_e64 s[2:3], |v[97:98]|, |v[99:100]|
                                        ; implicit-def: $vgpr101_vgpr102
	s_and_saveexec_b64 s[6:7], s[2:3]
	s_xor_b64 s[2:3], exec, s[6:7]
                                        ; implicit-def: $vgpr103_vgpr104
	s_cbranch_execz .LBB85_248
; %bb.247:
	v_div_scale_f64 v[101:102], s[6:7], v[99:100], v[99:100], v[97:98]
	v_rcp_f64_e32 v[103:104], v[101:102]
	v_fma_f64 v[105:106], -v[101:102], v[103:104], 1.0
	v_fma_f64 v[103:104], v[103:104], v[105:106], v[103:104]
	v_div_scale_f64 v[105:106], vcc, v[97:98], v[99:100], v[97:98]
	v_fma_f64 v[107:108], -v[101:102], v[103:104], 1.0
	v_fma_f64 v[103:104], v[103:104], v[107:108], v[103:104]
	v_mul_f64 v[107:108], v[105:106], v[103:104]
	v_fma_f64 v[101:102], -v[101:102], v[107:108], v[105:106]
	v_div_fmas_f64 v[101:102], v[101:102], v[103:104], v[107:108]
	v_div_fixup_f64 v[101:102], v[101:102], v[99:100], v[97:98]
	v_fma_f64 v[97:98], v[97:98], v[101:102], v[99:100]
	v_div_scale_f64 v[99:100], s[6:7], v[97:98], v[97:98], 1.0
	v_div_scale_f64 v[107:108], vcc, 1.0, v[97:98], 1.0
	v_rcp_f64_e32 v[103:104], v[99:100]
	v_fma_f64 v[105:106], -v[99:100], v[103:104], 1.0
	v_fma_f64 v[103:104], v[103:104], v[105:106], v[103:104]
	v_fma_f64 v[105:106], -v[99:100], v[103:104], 1.0
	v_fma_f64 v[103:104], v[103:104], v[105:106], v[103:104]
	v_mul_f64 v[105:106], v[107:108], v[103:104]
	v_fma_f64 v[99:100], -v[99:100], v[105:106], v[107:108]
	v_div_fmas_f64 v[99:100], v[99:100], v[103:104], v[105:106]
	v_div_fixup_f64 v[103:104], v[99:100], v[97:98], 1.0
                                        ; implicit-def: $vgpr97_vgpr98
	v_mul_f64 v[101:102], v[101:102], v[103:104]
	v_xor_b32_e32 v104, 0x80000000, v104
.LBB85_248:
	s_andn2_saveexec_b64 s[2:3], s[2:3]
	s_cbranch_execz .LBB85_250
; %bb.249:
	v_div_scale_f64 v[101:102], s[6:7], v[97:98], v[97:98], v[99:100]
	v_rcp_f64_e32 v[103:104], v[101:102]
	v_fma_f64 v[105:106], -v[101:102], v[103:104], 1.0
	v_fma_f64 v[103:104], v[103:104], v[105:106], v[103:104]
	v_div_scale_f64 v[105:106], vcc, v[99:100], v[97:98], v[99:100]
	v_fma_f64 v[107:108], -v[101:102], v[103:104], 1.0
	v_fma_f64 v[103:104], v[103:104], v[107:108], v[103:104]
	v_mul_f64 v[107:108], v[105:106], v[103:104]
	v_fma_f64 v[101:102], -v[101:102], v[107:108], v[105:106]
	v_div_fmas_f64 v[101:102], v[101:102], v[103:104], v[107:108]
	v_div_fixup_f64 v[103:104], v[101:102], v[97:98], v[99:100]
	v_fma_f64 v[97:98], v[99:100], v[103:104], v[97:98]
	v_div_scale_f64 v[99:100], s[6:7], v[97:98], v[97:98], 1.0
	v_div_scale_f64 v[107:108], vcc, 1.0, v[97:98], 1.0
	v_rcp_f64_e32 v[101:102], v[99:100]
	v_fma_f64 v[105:106], -v[99:100], v[101:102], 1.0
	v_fma_f64 v[101:102], v[101:102], v[105:106], v[101:102]
	v_fma_f64 v[105:106], -v[99:100], v[101:102], 1.0
	v_fma_f64 v[101:102], v[101:102], v[105:106], v[101:102]
	v_mul_f64 v[105:106], v[107:108], v[101:102]
	v_fma_f64 v[99:100], -v[99:100], v[105:106], v[107:108]
	v_div_fmas_f64 v[99:100], v[99:100], v[101:102], v[105:106]
	v_div_fixup_f64 v[101:102], v[99:100], v[97:98], 1.0
	v_mul_f64 v[103:104], v[103:104], -v[101:102]
.LBB85_250:
	s_or_b64 exec, exec, s[2:3]
	ds_write2_b64 v127, v[101:102], v[103:104] offset1:1
.LBB85_251:
	s_or_b64 exec, exec, s[4:5]
	s_waitcnt lgkmcnt(0)
	s_barrier
	ds_read2_b64 v[97:100], v127 offset1:1
	v_cmp_lt_u32_e32 vcc, 27, v0
	s_waitcnt lgkmcnt(0)
	buffer_store_dword v97, off, s[20:23], 0 offset:1056 ; 4-byte Folded Spill
	s_nop 0
	buffer_store_dword v98, off, s[20:23], 0 offset:1060 ; 4-byte Folded Spill
	buffer_store_dword v99, off, s[20:23], 0 offset:1064 ; 4-byte Folded Spill
	;; [unrolled: 1-line block ×3, first 2 shown]
	s_and_saveexec_b64 s[2:3], vcc
	s_cbranch_execz .LBB85_253
; %bb.252:
	buffer_load_dword v99, off, s[20:23], 0 offset:1056 ; 4-byte Folded Reload
	buffer_load_dword v100, off, s[20:23], 0 offset:1060 ; 4-byte Folded Reload
	;; [unrolled: 1-line block ×4, first 2 shown]
	s_waitcnt vmcnt(2)
	v_mul_f64 v[97:98], v[99:100], v[59:60]
	s_waitcnt vmcnt(0)
	v_mul_f64 v[59:60], v[101:102], v[59:60]
	v_fma_f64 v[97:98], v[101:102], v[57:58], v[97:98]
	v_fma_f64 v[57:58], v[99:100], v[57:58], -v[59:60]
	ds_read2_b64 v[99:102], v125 offset0:56 offset1:57
	s_waitcnt lgkmcnt(0)
	v_mul_f64 v[59:60], v[101:102], v[97:98]
	v_fma_f64 v[59:60], v[99:100], v[57:58], -v[59:60]
	v_mul_f64 v[99:100], v[99:100], v[97:98]
	v_add_f64 v[53:54], v[53:54], -v[59:60]
	v_fma_f64 v[99:100], v[101:102], v[57:58], v[99:100]
	v_add_f64 v[55:56], v[55:56], -v[99:100]
	ds_read2_b64 v[99:102], v125 offset0:58 offset1:59
	s_waitcnt lgkmcnt(0)
	v_mul_f64 v[59:60], v[101:102], v[97:98]
	v_fma_f64 v[59:60], v[99:100], v[57:58], -v[59:60]
	v_mul_f64 v[99:100], v[99:100], v[97:98]
	v_add_f64 v[49:50], v[49:50], -v[59:60]
	v_fma_f64 v[99:100], v[101:102], v[57:58], v[99:100]
	v_add_f64 v[51:52], v[51:52], -v[99:100]
	;; [unrolled: 8-line block ×14, first 2 shown]
	ds_read2_b64 v[99:102], v125 offset0:84 offset1:85
	s_waitcnt lgkmcnt(0)
	v_mul_f64 v[59:60], v[101:102], v[97:98]
	v_fma_f64 v[59:60], v[99:100], v[57:58], -v[59:60]
	v_mul_f64 v[99:100], v[99:100], v[97:98]
	v_add_f64 v[121:122], v[121:122], -v[59:60]
	v_fma_f64 v[99:100], v[101:102], v[57:58], v[99:100]
	v_mov_b32_e32 v59, v97
	v_mov_b32_e32 v60, v98
	v_add_f64 v[123:124], v[123:124], -v[99:100]
.LBB85_253:
	s_or_b64 exec, exec, s[2:3]
	v_cmp_eq_u32_e32 vcc, 28, v0
	s_waitcnt vmcnt(0)
	s_barrier
	s_and_saveexec_b64 s[4:5], vcc
	s_cbranch_execz .LBB85_260
; %bb.254:
	ds_write2_b64 v127, v[53:54], v[55:56] offset1:1
	ds_write2_b64 v125, v[49:50], v[51:52] offset0:58 offset1:59
	ds_write2_b64 v125, v[45:46], v[47:48] offset0:60 offset1:61
	;; [unrolled: 1-line block ×14, first 2 shown]
	ds_read2_b64 v[97:100], v127 offset1:1
	s_waitcnt lgkmcnt(0)
	v_cmp_neq_f64_e32 vcc, 0, v[97:98]
	v_cmp_neq_f64_e64 s[2:3], 0, v[99:100]
	s_or_b64 s[2:3], vcc, s[2:3]
	s_and_b64 exec, exec, s[2:3]
	s_cbranch_execz .LBB85_260
; %bb.255:
	v_cmp_ngt_f64_e64 s[2:3], |v[97:98]|, |v[99:100]|
                                        ; implicit-def: $vgpr101_vgpr102
	s_and_saveexec_b64 s[6:7], s[2:3]
	s_xor_b64 s[2:3], exec, s[6:7]
                                        ; implicit-def: $vgpr103_vgpr104
	s_cbranch_execz .LBB85_257
; %bb.256:
	v_div_scale_f64 v[101:102], s[6:7], v[99:100], v[99:100], v[97:98]
	v_rcp_f64_e32 v[103:104], v[101:102]
	v_fma_f64 v[105:106], -v[101:102], v[103:104], 1.0
	v_fma_f64 v[103:104], v[103:104], v[105:106], v[103:104]
	v_div_scale_f64 v[105:106], vcc, v[97:98], v[99:100], v[97:98]
	v_fma_f64 v[107:108], -v[101:102], v[103:104], 1.0
	v_fma_f64 v[103:104], v[103:104], v[107:108], v[103:104]
	v_mul_f64 v[107:108], v[105:106], v[103:104]
	v_fma_f64 v[101:102], -v[101:102], v[107:108], v[105:106]
	v_div_fmas_f64 v[101:102], v[101:102], v[103:104], v[107:108]
	v_div_fixup_f64 v[101:102], v[101:102], v[99:100], v[97:98]
	v_fma_f64 v[97:98], v[97:98], v[101:102], v[99:100]
	v_div_scale_f64 v[99:100], s[6:7], v[97:98], v[97:98], 1.0
	v_div_scale_f64 v[107:108], vcc, 1.0, v[97:98], 1.0
	v_rcp_f64_e32 v[103:104], v[99:100]
	v_fma_f64 v[105:106], -v[99:100], v[103:104], 1.0
	v_fma_f64 v[103:104], v[103:104], v[105:106], v[103:104]
	v_fma_f64 v[105:106], -v[99:100], v[103:104], 1.0
	v_fma_f64 v[103:104], v[103:104], v[105:106], v[103:104]
	v_mul_f64 v[105:106], v[107:108], v[103:104]
	v_fma_f64 v[99:100], -v[99:100], v[105:106], v[107:108]
	v_div_fmas_f64 v[99:100], v[99:100], v[103:104], v[105:106]
	v_div_fixup_f64 v[103:104], v[99:100], v[97:98], 1.0
                                        ; implicit-def: $vgpr97_vgpr98
	v_mul_f64 v[101:102], v[101:102], v[103:104]
	v_xor_b32_e32 v104, 0x80000000, v104
.LBB85_257:
	s_andn2_saveexec_b64 s[2:3], s[2:3]
	s_cbranch_execz .LBB85_259
; %bb.258:
	v_div_scale_f64 v[101:102], s[6:7], v[97:98], v[97:98], v[99:100]
	v_rcp_f64_e32 v[103:104], v[101:102]
	v_fma_f64 v[105:106], -v[101:102], v[103:104], 1.0
	v_fma_f64 v[103:104], v[103:104], v[105:106], v[103:104]
	v_div_scale_f64 v[105:106], vcc, v[99:100], v[97:98], v[99:100]
	v_fma_f64 v[107:108], -v[101:102], v[103:104], 1.0
	v_fma_f64 v[103:104], v[103:104], v[107:108], v[103:104]
	v_mul_f64 v[107:108], v[105:106], v[103:104]
	v_fma_f64 v[101:102], -v[101:102], v[107:108], v[105:106]
	v_div_fmas_f64 v[101:102], v[101:102], v[103:104], v[107:108]
	v_div_fixup_f64 v[103:104], v[101:102], v[97:98], v[99:100]
	v_fma_f64 v[97:98], v[99:100], v[103:104], v[97:98]
	v_div_scale_f64 v[99:100], s[6:7], v[97:98], v[97:98], 1.0
	v_div_scale_f64 v[107:108], vcc, 1.0, v[97:98], 1.0
	v_rcp_f64_e32 v[101:102], v[99:100]
	v_fma_f64 v[105:106], -v[99:100], v[101:102], 1.0
	v_fma_f64 v[101:102], v[101:102], v[105:106], v[101:102]
	v_fma_f64 v[105:106], -v[99:100], v[101:102], 1.0
	v_fma_f64 v[101:102], v[101:102], v[105:106], v[101:102]
	v_mul_f64 v[105:106], v[107:108], v[101:102]
	v_fma_f64 v[99:100], -v[99:100], v[105:106], v[107:108]
	v_div_fmas_f64 v[99:100], v[99:100], v[101:102], v[105:106]
	v_div_fixup_f64 v[101:102], v[99:100], v[97:98], 1.0
	v_mul_f64 v[103:104], v[103:104], -v[101:102]
.LBB85_259:
	s_or_b64 exec, exec, s[2:3]
	ds_write2_b64 v127, v[101:102], v[103:104] offset1:1
.LBB85_260:
	s_or_b64 exec, exec, s[4:5]
	s_waitcnt lgkmcnt(0)
	s_barrier
	ds_read2_b64 v[97:100], v127 offset1:1
	v_cmp_lt_u32_e32 vcc, 28, v0
	s_waitcnt lgkmcnt(0)
	buffer_store_dword v97, off, s[20:23], 0 offset:1072 ; 4-byte Folded Spill
	s_nop 0
	buffer_store_dword v98, off, s[20:23], 0 offset:1076 ; 4-byte Folded Spill
	buffer_store_dword v99, off, s[20:23], 0 offset:1080 ; 4-byte Folded Spill
	;; [unrolled: 1-line block ×3, first 2 shown]
	s_and_saveexec_b64 s[2:3], vcc
	s_cbranch_execz .LBB85_262
; %bb.261:
	buffer_load_dword v99, off, s[20:23], 0 offset:1072 ; 4-byte Folded Reload
	buffer_load_dword v100, off, s[20:23], 0 offset:1076 ; 4-byte Folded Reload
	;; [unrolled: 1-line block ×4, first 2 shown]
	s_waitcnt vmcnt(2)
	v_mul_f64 v[97:98], v[99:100], v[55:56]
	s_waitcnt vmcnt(0)
	v_mul_f64 v[55:56], v[101:102], v[55:56]
	v_fma_f64 v[97:98], v[101:102], v[53:54], v[97:98]
	v_fma_f64 v[53:54], v[99:100], v[53:54], -v[55:56]
	ds_read2_b64 v[99:102], v125 offset0:58 offset1:59
	s_waitcnt lgkmcnt(0)
	v_mul_f64 v[55:56], v[101:102], v[97:98]
	v_fma_f64 v[55:56], v[99:100], v[53:54], -v[55:56]
	v_mul_f64 v[99:100], v[99:100], v[97:98]
	v_add_f64 v[49:50], v[49:50], -v[55:56]
	v_fma_f64 v[99:100], v[101:102], v[53:54], v[99:100]
	v_add_f64 v[51:52], v[51:52], -v[99:100]
	ds_read2_b64 v[99:102], v125 offset0:60 offset1:61
	s_waitcnt lgkmcnt(0)
	v_mul_f64 v[55:56], v[101:102], v[97:98]
	v_fma_f64 v[55:56], v[99:100], v[53:54], -v[55:56]
	v_mul_f64 v[99:100], v[99:100], v[97:98]
	v_add_f64 v[45:46], v[45:46], -v[55:56]
	v_fma_f64 v[99:100], v[101:102], v[53:54], v[99:100]
	v_add_f64 v[47:48], v[47:48], -v[99:100]
	;; [unrolled: 8-line block ×13, first 2 shown]
	ds_read2_b64 v[99:102], v125 offset0:84 offset1:85
	s_waitcnt lgkmcnt(0)
	v_mul_f64 v[55:56], v[101:102], v[97:98]
	v_fma_f64 v[55:56], v[99:100], v[53:54], -v[55:56]
	v_mul_f64 v[99:100], v[99:100], v[97:98]
	v_add_f64 v[121:122], v[121:122], -v[55:56]
	v_fma_f64 v[99:100], v[101:102], v[53:54], v[99:100]
	v_mov_b32_e32 v55, v97
	v_mov_b32_e32 v56, v98
	v_add_f64 v[123:124], v[123:124], -v[99:100]
.LBB85_262:
	s_or_b64 exec, exec, s[2:3]
	v_cmp_eq_u32_e32 vcc, 29, v0
	s_waitcnt vmcnt(0)
	s_barrier
	s_and_saveexec_b64 s[4:5], vcc
	s_cbranch_execz .LBB85_269
; %bb.263:
	ds_write2_b64 v127, v[49:50], v[51:52] offset1:1
	ds_write2_b64 v125, v[45:46], v[47:48] offset0:60 offset1:61
	ds_write2_b64 v125, v[41:42], v[43:44] offset0:62 offset1:63
	;; [unrolled: 1-line block ×13, first 2 shown]
	ds_read2_b64 v[97:100], v127 offset1:1
	s_waitcnt lgkmcnt(0)
	v_cmp_neq_f64_e32 vcc, 0, v[97:98]
	v_cmp_neq_f64_e64 s[2:3], 0, v[99:100]
	s_or_b64 s[2:3], vcc, s[2:3]
	s_and_b64 exec, exec, s[2:3]
	s_cbranch_execz .LBB85_269
; %bb.264:
	v_cmp_ngt_f64_e64 s[2:3], |v[97:98]|, |v[99:100]|
                                        ; implicit-def: $vgpr101_vgpr102
	s_and_saveexec_b64 s[6:7], s[2:3]
	s_xor_b64 s[2:3], exec, s[6:7]
                                        ; implicit-def: $vgpr103_vgpr104
	s_cbranch_execz .LBB85_266
; %bb.265:
	v_div_scale_f64 v[101:102], s[6:7], v[99:100], v[99:100], v[97:98]
	v_rcp_f64_e32 v[103:104], v[101:102]
	v_fma_f64 v[105:106], -v[101:102], v[103:104], 1.0
	v_fma_f64 v[103:104], v[103:104], v[105:106], v[103:104]
	v_div_scale_f64 v[105:106], vcc, v[97:98], v[99:100], v[97:98]
	v_fma_f64 v[107:108], -v[101:102], v[103:104], 1.0
	v_fma_f64 v[103:104], v[103:104], v[107:108], v[103:104]
	v_mul_f64 v[107:108], v[105:106], v[103:104]
	v_fma_f64 v[101:102], -v[101:102], v[107:108], v[105:106]
	v_div_fmas_f64 v[101:102], v[101:102], v[103:104], v[107:108]
	v_div_fixup_f64 v[101:102], v[101:102], v[99:100], v[97:98]
	v_fma_f64 v[97:98], v[97:98], v[101:102], v[99:100]
	v_div_scale_f64 v[99:100], s[6:7], v[97:98], v[97:98], 1.0
	v_div_scale_f64 v[107:108], vcc, 1.0, v[97:98], 1.0
	v_rcp_f64_e32 v[103:104], v[99:100]
	v_fma_f64 v[105:106], -v[99:100], v[103:104], 1.0
	v_fma_f64 v[103:104], v[103:104], v[105:106], v[103:104]
	v_fma_f64 v[105:106], -v[99:100], v[103:104], 1.0
	v_fma_f64 v[103:104], v[103:104], v[105:106], v[103:104]
	v_mul_f64 v[105:106], v[107:108], v[103:104]
	v_fma_f64 v[99:100], -v[99:100], v[105:106], v[107:108]
	v_div_fmas_f64 v[99:100], v[99:100], v[103:104], v[105:106]
	v_div_fixup_f64 v[103:104], v[99:100], v[97:98], 1.0
                                        ; implicit-def: $vgpr97_vgpr98
	v_mul_f64 v[101:102], v[101:102], v[103:104]
	v_xor_b32_e32 v104, 0x80000000, v104
.LBB85_266:
	s_andn2_saveexec_b64 s[2:3], s[2:3]
	s_cbranch_execz .LBB85_268
; %bb.267:
	v_div_scale_f64 v[101:102], s[6:7], v[97:98], v[97:98], v[99:100]
	v_rcp_f64_e32 v[103:104], v[101:102]
	v_fma_f64 v[105:106], -v[101:102], v[103:104], 1.0
	v_fma_f64 v[103:104], v[103:104], v[105:106], v[103:104]
	v_div_scale_f64 v[105:106], vcc, v[99:100], v[97:98], v[99:100]
	v_fma_f64 v[107:108], -v[101:102], v[103:104], 1.0
	v_fma_f64 v[103:104], v[103:104], v[107:108], v[103:104]
	v_mul_f64 v[107:108], v[105:106], v[103:104]
	v_fma_f64 v[101:102], -v[101:102], v[107:108], v[105:106]
	v_div_fmas_f64 v[101:102], v[101:102], v[103:104], v[107:108]
	v_div_fixup_f64 v[103:104], v[101:102], v[97:98], v[99:100]
	v_fma_f64 v[97:98], v[99:100], v[103:104], v[97:98]
	v_div_scale_f64 v[99:100], s[6:7], v[97:98], v[97:98], 1.0
	v_div_scale_f64 v[107:108], vcc, 1.0, v[97:98], 1.0
	v_rcp_f64_e32 v[101:102], v[99:100]
	v_fma_f64 v[105:106], -v[99:100], v[101:102], 1.0
	v_fma_f64 v[101:102], v[101:102], v[105:106], v[101:102]
	v_fma_f64 v[105:106], -v[99:100], v[101:102], 1.0
	v_fma_f64 v[101:102], v[101:102], v[105:106], v[101:102]
	v_mul_f64 v[105:106], v[107:108], v[101:102]
	v_fma_f64 v[99:100], -v[99:100], v[105:106], v[107:108]
	v_div_fmas_f64 v[99:100], v[99:100], v[101:102], v[105:106]
	v_div_fixup_f64 v[101:102], v[99:100], v[97:98], 1.0
	v_mul_f64 v[103:104], v[103:104], -v[101:102]
.LBB85_268:
	s_or_b64 exec, exec, s[2:3]
	ds_write2_b64 v127, v[101:102], v[103:104] offset1:1
.LBB85_269:
	s_or_b64 exec, exec, s[4:5]
	s_waitcnt lgkmcnt(0)
	s_barrier
	ds_read2_b64 v[97:100], v127 offset1:1
	v_cmp_lt_u32_e32 vcc, 29, v0
	s_waitcnt lgkmcnt(0)
	buffer_store_dword v97, off, s[20:23], 0 offset:1088 ; 4-byte Folded Spill
	s_nop 0
	buffer_store_dword v98, off, s[20:23], 0 offset:1092 ; 4-byte Folded Spill
	buffer_store_dword v99, off, s[20:23], 0 offset:1096 ; 4-byte Folded Spill
	;; [unrolled: 1-line block ×3, first 2 shown]
	s_and_saveexec_b64 s[2:3], vcc
	s_cbranch_execz .LBB85_271
; %bb.270:
	buffer_load_dword v99, off, s[20:23], 0 offset:1088 ; 4-byte Folded Reload
	buffer_load_dword v100, off, s[20:23], 0 offset:1092 ; 4-byte Folded Reload
	;; [unrolled: 1-line block ×4, first 2 shown]
	s_waitcnt vmcnt(2)
	v_mul_f64 v[97:98], v[99:100], v[51:52]
	s_waitcnt vmcnt(0)
	v_mul_f64 v[51:52], v[101:102], v[51:52]
	v_fma_f64 v[97:98], v[101:102], v[49:50], v[97:98]
	v_fma_f64 v[49:50], v[99:100], v[49:50], -v[51:52]
	ds_read2_b64 v[99:102], v125 offset0:60 offset1:61
	s_waitcnt lgkmcnt(0)
	v_mul_f64 v[51:52], v[101:102], v[97:98]
	v_fma_f64 v[51:52], v[99:100], v[49:50], -v[51:52]
	v_mul_f64 v[99:100], v[99:100], v[97:98]
	v_add_f64 v[45:46], v[45:46], -v[51:52]
	v_fma_f64 v[99:100], v[101:102], v[49:50], v[99:100]
	v_add_f64 v[47:48], v[47:48], -v[99:100]
	ds_read2_b64 v[99:102], v125 offset0:62 offset1:63
	s_waitcnt lgkmcnt(0)
	v_mul_f64 v[51:52], v[101:102], v[97:98]
	v_fma_f64 v[51:52], v[99:100], v[49:50], -v[51:52]
	v_mul_f64 v[99:100], v[99:100], v[97:98]
	v_add_f64 v[41:42], v[41:42], -v[51:52]
	v_fma_f64 v[99:100], v[101:102], v[49:50], v[99:100]
	v_add_f64 v[43:44], v[43:44], -v[99:100]
	;; [unrolled: 8-line block ×12, first 2 shown]
	ds_read2_b64 v[99:102], v125 offset0:84 offset1:85
	s_waitcnt lgkmcnt(0)
	v_mul_f64 v[51:52], v[101:102], v[97:98]
	v_fma_f64 v[51:52], v[99:100], v[49:50], -v[51:52]
	v_mul_f64 v[99:100], v[99:100], v[97:98]
	v_add_f64 v[121:122], v[121:122], -v[51:52]
	v_fma_f64 v[99:100], v[101:102], v[49:50], v[99:100]
	v_mov_b32_e32 v51, v97
	v_mov_b32_e32 v52, v98
	v_add_f64 v[123:124], v[123:124], -v[99:100]
.LBB85_271:
	s_or_b64 exec, exec, s[2:3]
	v_cmp_eq_u32_e32 vcc, 30, v0
	s_waitcnt vmcnt(0)
	s_barrier
	s_and_saveexec_b64 s[4:5], vcc
	s_cbranch_execz .LBB85_278
; %bb.272:
	ds_write2_b64 v127, v[45:46], v[47:48] offset1:1
	ds_write2_b64 v125, v[41:42], v[43:44] offset0:62 offset1:63
	ds_write2_b64 v125, v[37:38], v[39:40] offset0:64 offset1:65
	;; [unrolled: 1-line block ×12, first 2 shown]
	ds_read2_b64 v[97:100], v127 offset1:1
	s_waitcnt lgkmcnt(0)
	v_cmp_neq_f64_e32 vcc, 0, v[97:98]
	v_cmp_neq_f64_e64 s[2:3], 0, v[99:100]
	s_or_b64 s[2:3], vcc, s[2:3]
	s_and_b64 exec, exec, s[2:3]
	s_cbranch_execz .LBB85_278
; %bb.273:
	v_cmp_ngt_f64_e64 s[2:3], |v[97:98]|, |v[99:100]|
                                        ; implicit-def: $vgpr101_vgpr102
	s_and_saveexec_b64 s[6:7], s[2:3]
	s_xor_b64 s[2:3], exec, s[6:7]
                                        ; implicit-def: $vgpr103_vgpr104
	s_cbranch_execz .LBB85_275
; %bb.274:
	v_div_scale_f64 v[101:102], s[6:7], v[99:100], v[99:100], v[97:98]
	v_rcp_f64_e32 v[103:104], v[101:102]
	v_fma_f64 v[105:106], -v[101:102], v[103:104], 1.0
	v_fma_f64 v[103:104], v[103:104], v[105:106], v[103:104]
	v_div_scale_f64 v[105:106], vcc, v[97:98], v[99:100], v[97:98]
	v_fma_f64 v[107:108], -v[101:102], v[103:104], 1.0
	v_fma_f64 v[103:104], v[103:104], v[107:108], v[103:104]
	v_mul_f64 v[107:108], v[105:106], v[103:104]
	v_fma_f64 v[101:102], -v[101:102], v[107:108], v[105:106]
	v_div_fmas_f64 v[101:102], v[101:102], v[103:104], v[107:108]
	v_div_fixup_f64 v[101:102], v[101:102], v[99:100], v[97:98]
	v_fma_f64 v[97:98], v[97:98], v[101:102], v[99:100]
	v_div_scale_f64 v[99:100], s[6:7], v[97:98], v[97:98], 1.0
	v_div_scale_f64 v[107:108], vcc, 1.0, v[97:98], 1.0
	v_rcp_f64_e32 v[103:104], v[99:100]
	v_fma_f64 v[105:106], -v[99:100], v[103:104], 1.0
	v_fma_f64 v[103:104], v[103:104], v[105:106], v[103:104]
	v_fma_f64 v[105:106], -v[99:100], v[103:104], 1.0
	v_fma_f64 v[103:104], v[103:104], v[105:106], v[103:104]
	v_mul_f64 v[105:106], v[107:108], v[103:104]
	v_fma_f64 v[99:100], -v[99:100], v[105:106], v[107:108]
	v_div_fmas_f64 v[99:100], v[99:100], v[103:104], v[105:106]
	v_div_fixup_f64 v[103:104], v[99:100], v[97:98], 1.0
                                        ; implicit-def: $vgpr97_vgpr98
	v_mul_f64 v[101:102], v[101:102], v[103:104]
	v_xor_b32_e32 v104, 0x80000000, v104
.LBB85_275:
	s_andn2_saveexec_b64 s[2:3], s[2:3]
	s_cbranch_execz .LBB85_277
; %bb.276:
	v_div_scale_f64 v[101:102], s[6:7], v[97:98], v[97:98], v[99:100]
	v_rcp_f64_e32 v[103:104], v[101:102]
	v_fma_f64 v[105:106], -v[101:102], v[103:104], 1.0
	v_fma_f64 v[103:104], v[103:104], v[105:106], v[103:104]
	v_div_scale_f64 v[105:106], vcc, v[99:100], v[97:98], v[99:100]
	v_fma_f64 v[107:108], -v[101:102], v[103:104], 1.0
	v_fma_f64 v[103:104], v[103:104], v[107:108], v[103:104]
	v_mul_f64 v[107:108], v[105:106], v[103:104]
	v_fma_f64 v[101:102], -v[101:102], v[107:108], v[105:106]
	v_div_fmas_f64 v[101:102], v[101:102], v[103:104], v[107:108]
	v_div_fixup_f64 v[103:104], v[101:102], v[97:98], v[99:100]
	v_fma_f64 v[97:98], v[99:100], v[103:104], v[97:98]
	v_div_scale_f64 v[99:100], s[6:7], v[97:98], v[97:98], 1.0
	v_div_scale_f64 v[107:108], vcc, 1.0, v[97:98], 1.0
	v_rcp_f64_e32 v[101:102], v[99:100]
	v_fma_f64 v[105:106], -v[99:100], v[101:102], 1.0
	v_fma_f64 v[101:102], v[101:102], v[105:106], v[101:102]
	v_fma_f64 v[105:106], -v[99:100], v[101:102], 1.0
	v_fma_f64 v[101:102], v[101:102], v[105:106], v[101:102]
	v_mul_f64 v[105:106], v[107:108], v[101:102]
	v_fma_f64 v[99:100], -v[99:100], v[105:106], v[107:108]
	v_div_fmas_f64 v[99:100], v[99:100], v[101:102], v[105:106]
	v_div_fixup_f64 v[101:102], v[99:100], v[97:98], 1.0
	v_mul_f64 v[103:104], v[103:104], -v[101:102]
.LBB85_277:
	s_or_b64 exec, exec, s[2:3]
	ds_write2_b64 v127, v[101:102], v[103:104] offset1:1
.LBB85_278:
	s_or_b64 exec, exec, s[4:5]
	s_waitcnt lgkmcnt(0)
	s_barrier
	ds_read2_b64 v[97:100], v127 offset1:1
	v_cmp_lt_u32_e32 vcc, 30, v0
	s_waitcnt lgkmcnt(0)
	buffer_store_dword v97, off, s[20:23], 0 offset:1104 ; 4-byte Folded Spill
	s_nop 0
	buffer_store_dword v98, off, s[20:23], 0 offset:1108 ; 4-byte Folded Spill
	buffer_store_dword v99, off, s[20:23], 0 offset:1112 ; 4-byte Folded Spill
	;; [unrolled: 1-line block ×3, first 2 shown]
	s_and_saveexec_b64 s[2:3], vcc
	s_cbranch_execz .LBB85_280
; %bb.279:
	buffer_load_dword v99, off, s[20:23], 0 offset:1104 ; 4-byte Folded Reload
	buffer_load_dword v100, off, s[20:23], 0 offset:1108 ; 4-byte Folded Reload
	;; [unrolled: 1-line block ×4, first 2 shown]
	s_waitcnt vmcnt(2)
	v_mul_f64 v[97:98], v[99:100], v[47:48]
	s_waitcnt vmcnt(0)
	v_mul_f64 v[47:48], v[101:102], v[47:48]
	v_fma_f64 v[97:98], v[101:102], v[45:46], v[97:98]
	v_fma_f64 v[45:46], v[99:100], v[45:46], -v[47:48]
	ds_read2_b64 v[99:102], v125 offset0:62 offset1:63
	s_waitcnt lgkmcnt(0)
	v_mul_f64 v[47:48], v[101:102], v[97:98]
	v_fma_f64 v[47:48], v[99:100], v[45:46], -v[47:48]
	v_mul_f64 v[99:100], v[99:100], v[97:98]
	v_add_f64 v[41:42], v[41:42], -v[47:48]
	v_fma_f64 v[99:100], v[101:102], v[45:46], v[99:100]
	v_add_f64 v[43:44], v[43:44], -v[99:100]
	ds_read2_b64 v[99:102], v125 offset0:64 offset1:65
	s_waitcnt lgkmcnt(0)
	v_mul_f64 v[47:48], v[101:102], v[97:98]
	v_fma_f64 v[47:48], v[99:100], v[45:46], -v[47:48]
	v_mul_f64 v[99:100], v[99:100], v[97:98]
	v_add_f64 v[37:38], v[37:38], -v[47:48]
	v_fma_f64 v[99:100], v[101:102], v[45:46], v[99:100]
	v_add_f64 v[39:40], v[39:40], -v[99:100]
	;; [unrolled: 8-line block ×11, first 2 shown]
	ds_read2_b64 v[99:102], v125 offset0:84 offset1:85
	s_waitcnt lgkmcnt(0)
	v_mul_f64 v[47:48], v[101:102], v[97:98]
	v_fma_f64 v[47:48], v[99:100], v[45:46], -v[47:48]
	v_mul_f64 v[99:100], v[99:100], v[97:98]
	v_add_f64 v[121:122], v[121:122], -v[47:48]
	v_fma_f64 v[99:100], v[101:102], v[45:46], v[99:100]
	v_mov_b32_e32 v47, v97
	v_mov_b32_e32 v48, v98
	v_add_f64 v[123:124], v[123:124], -v[99:100]
.LBB85_280:
	s_or_b64 exec, exec, s[2:3]
	v_cmp_eq_u32_e32 vcc, 31, v0
	s_waitcnt vmcnt(0)
	s_barrier
	s_and_saveexec_b64 s[4:5], vcc
	s_cbranch_execz .LBB85_287
; %bb.281:
	ds_write2_b64 v127, v[41:42], v[43:44] offset1:1
	ds_write2_b64 v125, v[37:38], v[39:40] offset0:64 offset1:65
	ds_write2_b64 v125, v[33:34], v[35:36] offset0:66 offset1:67
	;; [unrolled: 1-line block ×11, first 2 shown]
	ds_read2_b64 v[97:100], v127 offset1:1
	s_waitcnt lgkmcnt(0)
	v_cmp_neq_f64_e32 vcc, 0, v[97:98]
	v_cmp_neq_f64_e64 s[2:3], 0, v[99:100]
	s_or_b64 s[2:3], vcc, s[2:3]
	s_and_b64 exec, exec, s[2:3]
	s_cbranch_execz .LBB85_287
; %bb.282:
	v_cmp_ngt_f64_e64 s[2:3], |v[97:98]|, |v[99:100]|
                                        ; implicit-def: $vgpr101_vgpr102
	s_and_saveexec_b64 s[6:7], s[2:3]
	s_xor_b64 s[2:3], exec, s[6:7]
                                        ; implicit-def: $vgpr103_vgpr104
	s_cbranch_execz .LBB85_284
; %bb.283:
	v_div_scale_f64 v[101:102], s[6:7], v[99:100], v[99:100], v[97:98]
	v_rcp_f64_e32 v[103:104], v[101:102]
	v_fma_f64 v[105:106], -v[101:102], v[103:104], 1.0
	v_fma_f64 v[103:104], v[103:104], v[105:106], v[103:104]
	v_div_scale_f64 v[105:106], vcc, v[97:98], v[99:100], v[97:98]
	v_fma_f64 v[107:108], -v[101:102], v[103:104], 1.0
	v_fma_f64 v[103:104], v[103:104], v[107:108], v[103:104]
	v_mul_f64 v[107:108], v[105:106], v[103:104]
	v_fma_f64 v[101:102], -v[101:102], v[107:108], v[105:106]
	v_div_fmas_f64 v[101:102], v[101:102], v[103:104], v[107:108]
	v_div_fixup_f64 v[101:102], v[101:102], v[99:100], v[97:98]
	v_fma_f64 v[97:98], v[97:98], v[101:102], v[99:100]
	v_div_scale_f64 v[99:100], s[6:7], v[97:98], v[97:98], 1.0
	v_div_scale_f64 v[107:108], vcc, 1.0, v[97:98], 1.0
	v_rcp_f64_e32 v[103:104], v[99:100]
	v_fma_f64 v[105:106], -v[99:100], v[103:104], 1.0
	v_fma_f64 v[103:104], v[103:104], v[105:106], v[103:104]
	v_fma_f64 v[105:106], -v[99:100], v[103:104], 1.0
	v_fma_f64 v[103:104], v[103:104], v[105:106], v[103:104]
	v_mul_f64 v[105:106], v[107:108], v[103:104]
	v_fma_f64 v[99:100], -v[99:100], v[105:106], v[107:108]
	v_div_fmas_f64 v[99:100], v[99:100], v[103:104], v[105:106]
	v_div_fixup_f64 v[103:104], v[99:100], v[97:98], 1.0
                                        ; implicit-def: $vgpr97_vgpr98
	v_mul_f64 v[101:102], v[101:102], v[103:104]
	v_xor_b32_e32 v104, 0x80000000, v104
.LBB85_284:
	s_andn2_saveexec_b64 s[2:3], s[2:3]
	s_cbranch_execz .LBB85_286
; %bb.285:
	v_div_scale_f64 v[101:102], s[6:7], v[97:98], v[97:98], v[99:100]
	v_rcp_f64_e32 v[103:104], v[101:102]
	v_fma_f64 v[105:106], -v[101:102], v[103:104], 1.0
	v_fma_f64 v[103:104], v[103:104], v[105:106], v[103:104]
	v_div_scale_f64 v[105:106], vcc, v[99:100], v[97:98], v[99:100]
	v_fma_f64 v[107:108], -v[101:102], v[103:104], 1.0
	v_fma_f64 v[103:104], v[103:104], v[107:108], v[103:104]
	v_mul_f64 v[107:108], v[105:106], v[103:104]
	v_fma_f64 v[101:102], -v[101:102], v[107:108], v[105:106]
	v_div_fmas_f64 v[101:102], v[101:102], v[103:104], v[107:108]
	v_div_fixup_f64 v[103:104], v[101:102], v[97:98], v[99:100]
	v_fma_f64 v[97:98], v[99:100], v[103:104], v[97:98]
	v_div_scale_f64 v[99:100], s[6:7], v[97:98], v[97:98], 1.0
	v_div_scale_f64 v[107:108], vcc, 1.0, v[97:98], 1.0
	v_rcp_f64_e32 v[101:102], v[99:100]
	v_fma_f64 v[105:106], -v[99:100], v[101:102], 1.0
	v_fma_f64 v[101:102], v[101:102], v[105:106], v[101:102]
	v_fma_f64 v[105:106], -v[99:100], v[101:102], 1.0
	v_fma_f64 v[101:102], v[101:102], v[105:106], v[101:102]
	v_mul_f64 v[105:106], v[107:108], v[101:102]
	v_fma_f64 v[99:100], -v[99:100], v[105:106], v[107:108]
	v_div_fmas_f64 v[99:100], v[99:100], v[101:102], v[105:106]
	v_div_fixup_f64 v[101:102], v[99:100], v[97:98], 1.0
	v_mul_f64 v[103:104], v[103:104], -v[101:102]
.LBB85_286:
	s_or_b64 exec, exec, s[2:3]
	ds_write2_b64 v127, v[101:102], v[103:104] offset1:1
.LBB85_287:
	s_or_b64 exec, exec, s[4:5]
	s_waitcnt lgkmcnt(0)
	s_barrier
	ds_read2_b64 v[97:100], v127 offset1:1
	v_cmp_lt_u32_e32 vcc, 31, v0
	s_waitcnt lgkmcnt(0)
	buffer_store_dword v97, off, s[20:23], 0 offset:1120 ; 4-byte Folded Spill
	s_nop 0
	buffer_store_dword v98, off, s[20:23], 0 offset:1124 ; 4-byte Folded Spill
	buffer_store_dword v99, off, s[20:23], 0 offset:1128 ; 4-byte Folded Spill
	;; [unrolled: 1-line block ×3, first 2 shown]
	s_and_saveexec_b64 s[2:3], vcc
	s_cbranch_execz .LBB85_289
; %bb.288:
	buffer_load_dword v99, off, s[20:23], 0 offset:1120 ; 4-byte Folded Reload
	buffer_load_dword v100, off, s[20:23], 0 offset:1124 ; 4-byte Folded Reload
	;; [unrolled: 1-line block ×4, first 2 shown]
	s_waitcnt vmcnt(2)
	v_mul_f64 v[97:98], v[99:100], v[43:44]
	s_waitcnt vmcnt(0)
	v_mul_f64 v[43:44], v[101:102], v[43:44]
	v_fma_f64 v[97:98], v[101:102], v[41:42], v[97:98]
	v_fma_f64 v[41:42], v[99:100], v[41:42], -v[43:44]
	ds_read2_b64 v[99:102], v125 offset0:64 offset1:65
	s_waitcnt lgkmcnt(0)
	v_mul_f64 v[43:44], v[101:102], v[97:98]
	v_fma_f64 v[43:44], v[99:100], v[41:42], -v[43:44]
	v_mul_f64 v[99:100], v[99:100], v[97:98]
	v_add_f64 v[37:38], v[37:38], -v[43:44]
	v_fma_f64 v[99:100], v[101:102], v[41:42], v[99:100]
	v_add_f64 v[39:40], v[39:40], -v[99:100]
	ds_read2_b64 v[99:102], v125 offset0:66 offset1:67
	s_waitcnt lgkmcnt(0)
	v_mul_f64 v[43:44], v[101:102], v[97:98]
	v_fma_f64 v[43:44], v[99:100], v[41:42], -v[43:44]
	v_mul_f64 v[99:100], v[99:100], v[97:98]
	v_add_f64 v[33:34], v[33:34], -v[43:44]
	v_fma_f64 v[99:100], v[101:102], v[41:42], v[99:100]
	v_add_f64 v[35:36], v[35:36], -v[99:100]
	;; [unrolled: 8-line block ×10, first 2 shown]
	ds_read2_b64 v[99:102], v125 offset0:84 offset1:85
	s_waitcnt lgkmcnt(0)
	v_mul_f64 v[43:44], v[101:102], v[97:98]
	v_fma_f64 v[43:44], v[99:100], v[41:42], -v[43:44]
	v_mul_f64 v[99:100], v[99:100], v[97:98]
	v_add_f64 v[121:122], v[121:122], -v[43:44]
	v_fma_f64 v[99:100], v[101:102], v[41:42], v[99:100]
	v_mov_b32_e32 v43, v97
	v_mov_b32_e32 v44, v98
	v_add_f64 v[123:124], v[123:124], -v[99:100]
.LBB85_289:
	s_or_b64 exec, exec, s[2:3]
	v_cmp_eq_u32_e32 vcc, 32, v0
	s_waitcnt vmcnt(0)
	s_barrier
	s_and_saveexec_b64 s[4:5], vcc
	s_cbranch_execz .LBB85_296
; %bb.290:
	ds_write2_b64 v127, v[37:38], v[39:40] offset1:1
	ds_write2_b64 v125, v[33:34], v[35:36] offset0:66 offset1:67
	ds_write2_b64 v125, v[29:30], v[31:32] offset0:68 offset1:69
	;; [unrolled: 1-line block ×10, first 2 shown]
	ds_read2_b64 v[97:100], v127 offset1:1
	s_waitcnt lgkmcnt(0)
	v_cmp_neq_f64_e32 vcc, 0, v[97:98]
	v_cmp_neq_f64_e64 s[2:3], 0, v[99:100]
	s_or_b64 s[2:3], vcc, s[2:3]
	s_and_b64 exec, exec, s[2:3]
	s_cbranch_execz .LBB85_296
; %bb.291:
	v_cmp_ngt_f64_e64 s[2:3], |v[97:98]|, |v[99:100]|
                                        ; implicit-def: $vgpr101_vgpr102
	s_and_saveexec_b64 s[6:7], s[2:3]
	s_xor_b64 s[2:3], exec, s[6:7]
                                        ; implicit-def: $vgpr103_vgpr104
	s_cbranch_execz .LBB85_293
; %bb.292:
	v_div_scale_f64 v[101:102], s[6:7], v[99:100], v[99:100], v[97:98]
	v_rcp_f64_e32 v[103:104], v[101:102]
	v_fma_f64 v[105:106], -v[101:102], v[103:104], 1.0
	v_fma_f64 v[103:104], v[103:104], v[105:106], v[103:104]
	v_div_scale_f64 v[105:106], vcc, v[97:98], v[99:100], v[97:98]
	v_fma_f64 v[107:108], -v[101:102], v[103:104], 1.0
	v_fma_f64 v[103:104], v[103:104], v[107:108], v[103:104]
	v_mul_f64 v[107:108], v[105:106], v[103:104]
	v_fma_f64 v[101:102], -v[101:102], v[107:108], v[105:106]
	v_div_fmas_f64 v[101:102], v[101:102], v[103:104], v[107:108]
	v_div_fixup_f64 v[101:102], v[101:102], v[99:100], v[97:98]
	v_fma_f64 v[97:98], v[97:98], v[101:102], v[99:100]
	v_div_scale_f64 v[99:100], s[6:7], v[97:98], v[97:98], 1.0
	v_div_scale_f64 v[107:108], vcc, 1.0, v[97:98], 1.0
	v_rcp_f64_e32 v[103:104], v[99:100]
	v_fma_f64 v[105:106], -v[99:100], v[103:104], 1.0
	v_fma_f64 v[103:104], v[103:104], v[105:106], v[103:104]
	v_fma_f64 v[105:106], -v[99:100], v[103:104], 1.0
	v_fma_f64 v[103:104], v[103:104], v[105:106], v[103:104]
	v_mul_f64 v[105:106], v[107:108], v[103:104]
	v_fma_f64 v[99:100], -v[99:100], v[105:106], v[107:108]
	v_div_fmas_f64 v[99:100], v[99:100], v[103:104], v[105:106]
	v_div_fixup_f64 v[103:104], v[99:100], v[97:98], 1.0
                                        ; implicit-def: $vgpr97_vgpr98
	v_mul_f64 v[101:102], v[101:102], v[103:104]
	v_xor_b32_e32 v104, 0x80000000, v104
.LBB85_293:
	s_andn2_saveexec_b64 s[2:3], s[2:3]
	s_cbranch_execz .LBB85_295
; %bb.294:
	v_div_scale_f64 v[101:102], s[6:7], v[97:98], v[97:98], v[99:100]
	v_rcp_f64_e32 v[103:104], v[101:102]
	v_fma_f64 v[105:106], -v[101:102], v[103:104], 1.0
	v_fma_f64 v[103:104], v[103:104], v[105:106], v[103:104]
	v_div_scale_f64 v[105:106], vcc, v[99:100], v[97:98], v[99:100]
	v_fma_f64 v[107:108], -v[101:102], v[103:104], 1.0
	v_fma_f64 v[103:104], v[103:104], v[107:108], v[103:104]
	v_mul_f64 v[107:108], v[105:106], v[103:104]
	v_fma_f64 v[101:102], -v[101:102], v[107:108], v[105:106]
	v_div_fmas_f64 v[101:102], v[101:102], v[103:104], v[107:108]
	v_div_fixup_f64 v[103:104], v[101:102], v[97:98], v[99:100]
	v_fma_f64 v[97:98], v[99:100], v[103:104], v[97:98]
	v_div_scale_f64 v[99:100], s[6:7], v[97:98], v[97:98], 1.0
	v_div_scale_f64 v[107:108], vcc, 1.0, v[97:98], 1.0
	v_rcp_f64_e32 v[101:102], v[99:100]
	v_fma_f64 v[105:106], -v[99:100], v[101:102], 1.0
	v_fma_f64 v[101:102], v[101:102], v[105:106], v[101:102]
	v_fma_f64 v[105:106], -v[99:100], v[101:102], 1.0
	v_fma_f64 v[101:102], v[101:102], v[105:106], v[101:102]
	v_mul_f64 v[105:106], v[107:108], v[101:102]
	v_fma_f64 v[99:100], -v[99:100], v[105:106], v[107:108]
	v_div_fmas_f64 v[99:100], v[99:100], v[101:102], v[105:106]
	v_div_fixup_f64 v[101:102], v[99:100], v[97:98], 1.0
	v_mul_f64 v[103:104], v[103:104], -v[101:102]
.LBB85_295:
	s_or_b64 exec, exec, s[2:3]
	ds_write2_b64 v127, v[101:102], v[103:104] offset1:1
.LBB85_296:
	s_or_b64 exec, exec, s[4:5]
	s_waitcnt lgkmcnt(0)
	s_barrier
	ds_read2_b64 v[97:100], v127 offset1:1
	v_cmp_lt_u32_e32 vcc, 32, v0
	s_waitcnt lgkmcnt(0)
	buffer_store_dword v97, off, s[20:23], 0 offset:1136 ; 4-byte Folded Spill
	s_nop 0
	buffer_store_dword v98, off, s[20:23], 0 offset:1140 ; 4-byte Folded Spill
	buffer_store_dword v99, off, s[20:23], 0 offset:1144 ; 4-byte Folded Spill
	;; [unrolled: 1-line block ×3, first 2 shown]
	s_and_saveexec_b64 s[2:3], vcc
	s_cbranch_execz .LBB85_298
; %bb.297:
	buffer_load_dword v99, off, s[20:23], 0 offset:1136 ; 4-byte Folded Reload
	buffer_load_dword v100, off, s[20:23], 0 offset:1140 ; 4-byte Folded Reload
	;; [unrolled: 1-line block ×4, first 2 shown]
	s_waitcnt vmcnt(2)
	v_mul_f64 v[97:98], v[99:100], v[39:40]
	s_waitcnt vmcnt(0)
	v_mul_f64 v[39:40], v[101:102], v[39:40]
	v_fma_f64 v[97:98], v[101:102], v[37:38], v[97:98]
	v_fma_f64 v[37:38], v[99:100], v[37:38], -v[39:40]
	ds_read2_b64 v[99:102], v125 offset0:66 offset1:67
	s_waitcnt lgkmcnt(0)
	v_mul_f64 v[39:40], v[101:102], v[97:98]
	v_fma_f64 v[39:40], v[99:100], v[37:38], -v[39:40]
	v_mul_f64 v[99:100], v[99:100], v[97:98]
	v_add_f64 v[33:34], v[33:34], -v[39:40]
	v_fma_f64 v[99:100], v[101:102], v[37:38], v[99:100]
	v_add_f64 v[35:36], v[35:36], -v[99:100]
	ds_read2_b64 v[99:102], v125 offset0:68 offset1:69
	s_waitcnt lgkmcnt(0)
	v_mul_f64 v[39:40], v[101:102], v[97:98]
	v_fma_f64 v[39:40], v[99:100], v[37:38], -v[39:40]
	v_mul_f64 v[99:100], v[99:100], v[97:98]
	v_add_f64 v[29:30], v[29:30], -v[39:40]
	v_fma_f64 v[99:100], v[101:102], v[37:38], v[99:100]
	v_add_f64 v[31:32], v[31:32], -v[99:100]
	ds_read2_b64 v[99:102], v125 offset0:70 offset1:71
	s_waitcnt lgkmcnt(0)
	v_mul_f64 v[39:40], v[101:102], v[97:98]
	v_fma_f64 v[39:40], v[99:100], v[37:38], -v[39:40]
	v_mul_f64 v[99:100], v[99:100], v[97:98]
	v_add_f64 v[25:26], v[25:26], -v[39:40]
	v_fma_f64 v[99:100], v[101:102], v[37:38], v[99:100]
	v_add_f64 v[27:28], v[27:28], -v[99:100]
	ds_read2_b64 v[99:102], v125 offset0:72 offset1:73
	s_waitcnt lgkmcnt(0)
	v_mul_f64 v[39:40], v[101:102], v[97:98]
	v_fma_f64 v[39:40], v[99:100], v[37:38], -v[39:40]
	v_mul_f64 v[99:100], v[99:100], v[97:98]
	v_add_f64 v[21:22], v[21:22], -v[39:40]
	v_fma_f64 v[99:100], v[101:102], v[37:38], v[99:100]
	v_add_f64 v[23:24], v[23:24], -v[99:100]
	ds_read2_b64 v[99:102], v125 offset0:74 offset1:75
	s_waitcnt lgkmcnt(0)
	v_mul_f64 v[39:40], v[101:102], v[97:98]
	v_fma_f64 v[39:40], v[99:100], v[37:38], -v[39:40]
	v_mul_f64 v[99:100], v[99:100], v[97:98]
	v_add_f64 v[17:18], v[17:18], -v[39:40]
	v_fma_f64 v[99:100], v[101:102], v[37:38], v[99:100]
	v_add_f64 v[19:20], v[19:20], -v[99:100]
	ds_read2_b64 v[99:102], v125 offset0:76 offset1:77
	s_waitcnt lgkmcnt(0)
	v_mul_f64 v[39:40], v[101:102], v[97:98]
	v_fma_f64 v[39:40], v[99:100], v[37:38], -v[39:40]
	v_mul_f64 v[99:100], v[99:100], v[97:98]
	v_add_f64 v[13:14], v[13:14], -v[39:40]
	v_fma_f64 v[99:100], v[101:102], v[37:38], v[99:100]
	v_add_f64 v[15:16], v[15:16], -v[99:100]
	ds_read2_b64 v[99:102], v125 offset0:78 offset1:79
	s_waitcnt lgkmcnt(0)
	v_mul_f64 v[39:40], v[101:102], v[97:98]
	v_fma_f64 v[39:40], v[99:100], v[37:38], -v[39:40]
	v_mul_f64 v[99:100], v[99:100], v[97:98]
	v_add_f64 v[9:10], v[9:10], -v[39:40]
	v_fma_f64 v[99:100], v[101:102], v[37:38], v[99:100]
	v_add_f64 v[11:12], v[11:12], -v[99:100]
	ds_read2_b64 v[99:102], v125 offset0:80 offset1:81
	s_waitcnt lgkmcnt(0)
	v_mul_f64 v[39:40], v[101:102], v[97:98]
	v_fma_f64 v[39:40], v[99:100], v[37:38], -v[39:40]
	v_mul_f64 v[99:100], v[99:100], v[97:98]
	v_add_f64 v[5:6], v[5:6], -v[39:40]
	v_fma_f64 v[99:100], v[101:102], v[37:38], v[99:100]
	v_add_f64 v[7:8], v[7:8], -v[99:100]
	ds_read2_b64 v[99:102], v125 offset0:82 offset1:83
	s_waitcnt lgkmcnt(0)
	v_mul_f64 v[39:40], v[101:102], v[97:98]
	v_fma_f64 v[39:40], v[99:100], v[37:38], -v[39:40]
	v_mul_f64 v[99:100], v[99:100], v[97:98]
	v_add_f64 v[1:2], v[1:2], -v[39:40]
	v_fma_f64 v[99:100], v[101:102], v[37:38], v[99:100]
	v_add_f64 v[3:4], v[3:4], -v[99:100]
	ds_read2_b64 v[99:102], v125 offset0:84 offset1:85
	s_waitcnt lgkmcnt(0)
	v_mul_f64 v[39:40], v[101:102], v[97:98]
	v_fma_f64 v[39:40], v[99:100], v[37:38], -v[39:40]
	v_mul_f64 v[99:100], v[99:100], v[97:98]
	v_add_f64 v[121:122], v[121:122], -v[39:40]
	v_fma_f64 v[99:100], v[101:102], v[37:38], v[99:100]
	v_mov_b32_e32 v39, v97
	v_mov_b32_e32 v40, v98
	v_add_f64 v[123:124], v[123:124], -v[99:100]
.LBB85_298:
	s_or_b64 exec, exec, s[2:3]
	v_cmp_eq_u32_e32 vcc, 33, v0
	s_waitcnt vmcnt(0)
	s_barrier
	s_and_saveexec_b64 s[4:5], vcc
	s_cbranch_execz .LBB85_305
; %bb.299:
	ds_write2_b64 v127, v[33:34], v[35:36] offset1:1
	ds_write2_b64 v125, v[29:30], v[31:32] offset0:68 offset1:69
	ds_write2_b64 v125, v[25:26], v[27:28] offset0:70 offset1:71
	;; [unrolled: 1-line block ×9, first 2 shown]
	ds_read2_b64 v[97:100], v127 offset1:1
	s_waitcnt lgkmcnt(0)
	v_cmp_neq_f64_e32 vcc, 0, v[97:98]
	v_cmp_neq_f64_e64 s[2:3], 0, v[99:100]
	s_or_b64 s[2:3], vcc, s[2:3]
	s_and_b64 exec, exec, s[2:3]
	s_cbranch_execz .LBB85_305
; %bb.300:
	v_cmp_ngt_f64_e64 s[2:3], |v[97:98]|, |v[99:100]|
                                        ; implicit-def: $vgpr101_vgpr102
	s_and_saveexec_b64 s[6:7], s[2:3]
	s_xor_b64 s[2:3], exec, s[6:7]
                                        ; implicit-def: $vgpr103_vgpr104
	s_cbranch_execz .LBB85_302
; %bb.301:
	v_div_scale_f64 v[101:102], s[6:7], v[99:100], v[99:100], v[97:98]
	v_rcp_f64_e32 v[103:104], v[101:102]
	v_fma_f64 v[105:106], -v[101:102], v[103:104], 1.0
	v_fma_f64 v[103:104], v[103:104], v[105:106], v[103:104]
	v_div_scale_f64 v[105:106], vcc, v[97:98], v[99:100], v[97:98]
	v_fma_f64 v[107:108], -v[101:102], v[103:104], 1.0
	v_fma_f64 v[103:104], v[103:104], v[107:108], v[103:104]
	v_mul_f64 v[107:108], v[105:106], v[103:104]
	v_fma_f64 v[101:102], -v[101:102], v[107:108], v[105:106]
	v_div_fmas_f64 v[101:102], v[101:102], v[103:104], v[107:108]
	v_div_fixup_f64 v[101:102], v[101:102], v[99:100], v[97:98]
	v_fma_f64 v[97:98], v[97:98], v[101:102], v[99:100]
	v_div_scale_f64 v[99:100], s[6:7], v[97:98], v[97:98], 1.0
	v_div_scale_f64 v[107:108], vcc, 1.0, v[97:98], 1.0
	v_rcp_f64_e32 v[103:104], v[99:100]
	v_fma_f64 v[105:106], -v[99:100], v[103:104], 1.0
	v_fma_f64 v[103:104], v[103:104], v[105:106], v[103:104]
	v_fma_f64 v[105:106], -v[99:100], v[103:104], 1.0
	v_fma_f64 v[103:104], v[103:104], v[105:106], v[103:104]
	v_mul_f64 v[105:106], v[107:108], v[103:104]
	v_fma_f64 v[99:100], -v[99:100], v[105:106], v[107:108]
	v_div_fmas_f64 v[99:100], v[99:100], v[103:104], v[105:106]
	v_div_fixup_f64 v[103:104], v[99:100], v[97:98], 1.0
                                        ; implicit-def: $vgpr97_vgpr98
	v_mul_f64 v[101:102], v[101:102], v[103:104]
	v_xor_b32_e32 v104, 0x80000000, v104
.LBB85_302:
	s_andn2_saveexec_b64 s[2:3], s[2:3]
	s_cbranch_execz .LBB85_304
; %bb.303:
	v_div_scale_f64 v[101:102], s[6:7], v[97:98], v[97:98], v[99:100]
	v_rcp_f64_e32 v[103:104], v[101:102]
	v_fma_f64 v[105:106], -v[101:102], v[103:104], 1.0
	v_fma_f64 v[103:104], v[103:104], v[105:106], v[103:104]
	v_div_scale_f64 v[105:106], vcc, v[99:100], v[97:98], v[99:100]
	v_fma_f64 v[107:108], -v[101:102], v[103:104], 1.0
	v_fma_f64 v[103:104], v[103:104], v[107:108], v[103:104]
	v_mul_f64 v[107:108], v[105:106], v[103:104]
	v_fma_f64 v[101:102], -v[101:102], v[107:108], v[105:106]
	v_div_fmas_f64 v[101:102], v[101:102], v[103:104], v[107:108]
	v_div_fixup_f64 v[103:104], v[101:102], v[97:98], v[99:100]
	v_fma_f64 v[97:98], v[99:100], v[103:104], v[97:98]
	v_div_scale_f64 v[99:100], s[6:7], v[97:98], v[97:98], 1.0
	v_div_scale_f64 v[107:108], vcc, 1.0, v[97:98], 1.0
	v_rcp_f64_e32 v[101:102], v[99:100]
	v_fma_f64 v[105:106], -v[99:100], v[101:102], 1.0
	v_fma_f64 v[101:102], v[101:102], v[105:106], v[101:102]
	v_fma_f64 v[105:106], -v[99:100], v[101:102], 1.0
	v_fma_f64 v[101:102], v[101:102], v[105:106], v[101:102]
	v_mul_f64 v[105:106], v[107:108], v[101:102]
	v_fma_f64 v[99:100], -v[99:100], v[105:106], v[107:108]
	v_div_fmas_f64 v[99:100], v[99:100], v[101:102], v[105:106]
	v_div_fixup_f64 v[101:102], v[99:100], v[97:98], 1.0
	v_mul_f64 v[103:104], v[103:104], -v[101:102]
.LBB85_304:
	s_or_b64 exec, exec, s[2:3]
	ds_write2_b64 v127, v[101:102], v[103:104] offset1:1
.LBB85_305:
	s_or_b64 exec, exec, s[4:5]
	s_waitcnt lgkmcnt(0)
	s_barrier
	ds_read2_b64 v[97:100], v127 offset1:1
	v_cmp_lt_u32_e32 vcc, 33, v0
	s_waitcnt lgkmcnt(0)
	buffer_store_dword v97, off, s[20:23], 0 offset:1152 ; 4-byte Folded Spill
	s_nop 0
	buffer_store_dword v98, off, s[20:23], 0 offset:1156 ; 4-byte Folded Spill
	buffer_store_dword v99, off, s[20:23], 0 offset:1160 ; 4-byte Folded Spill
	;; [unrolled: 1-line block ×3, first 2 shown]
	s_and_saveexec_b64 s[2:3], vcc
	s_cbranch_execz .LBB85_307
; %bb.306:
	buffer_load_dword v99, off, s[20:23], 0 offset:1152 ; 4-byte Folded Reload
	buffer_load_dword v100, off, s[20:23], 0 offset:1156 ; 4-byte Folded Reload
	;; [unrolled: 1-line block ×4, first 2 shown]
	s_waitcnt vmcnt(2)
	v_mul_f64 v[97:98], v[99:100], v[35:36]
	s_waitcnt vmcnt(0)
	v_mul_f64 v[35:36], v[101:102], v[35:36]
	v_fma_f64 v[97:98], v[101:102], v[33:34], v[97:98]
	v_fma_f64 v[33:34], v[99:100], v[33:34], -v[35:36]
	ds_read2_b64 v[99:102], v125 offset0:68 offset1:69
	s_waitcnt lgkmcnt(0)
	v_mul_f64 v[35:36], v[101:102], v[97:98]
	v_fma_f64 v[35:36], v[99:100], v[33:34], -v[35:36]
	v_mul_f64 v[99:100], v[99:100], v[97:98]
	v_add_f64 v[29:30], v[29:30], -v[35:36]
	v_fma_f64 v[99:100], v[101:102], v[33:34], v[99:100]
	v_add_f64 v[31:32], v[31:32], -v[99:100]
	ds_read2_b64 v[99:102], v125 offset0:70 offset1:71
	s_waitcnt lgkmcnt(0)
	v_mul_f64 v[35:36], v[101:102], v[97:98]
	v_fma_f64 v[35:36], v[99:100], v[33:34], -v[35:36]
	v_mul_f64 v[99:100], v[99:100], v[97:98]
	v_add_f64 v[25:26], v[25:26], -v[35:36]
	v_fma_f64 v[99:100], v[101:102], v[33:34], v[99:100]
	v_add_f64 v[27:28], v[27:28], -v[99:100]
	;; [unrolled: 8-line block ×8, first 2 shown]
	ds_read2_b64 v[99:102], v125 offset0:84 offset1:85
	s_waitcnt lgkmcnt(0)
	v_mul_f64 v[35:36], v[101:102], v[97:98]
	v_fma_f64 v[35:36], v[99:100], v[33:34], -v[35:36]
	v_mul_f64 v[99:100], v[99:100], v[97:98]
	v_add_f64 v[121:122], v[121:122], -v[35:36]
	v_fma_f64 v[99:100], v[101:102], v[33:34], v[99:100]
	v_mov_b32_e32 v35, v97
	v_mov_b32_e32 v36, v98
	v_add_f64 v[123:124], v[123:124], -v[99:100]
.LBB85_307:
	s_or_b64 exec, exec, s[2:3]
	v_cmp_eq_u32_e32 vcc, 34, v0
	s_waitcnt vmcnt(0)
	s_barrier
	s_and_saveexec_b64 s[4:5], vcc
	s_cbranch_execz .LBB85_314
; %bb.308:
	ds_write2_b64 v127, v[29:30], v[31:32] offset1:1
	ds_write2_b64 v125, v[25:26], v[27:28] offset0:70 offset1:71
	ds_write2_b64 v125, v[21:22], v[23:24] offset0:72 offset1:73
	;; [unrolled: 1-line block ×8, first 2 shown]
	ds_read2_b64 v[97:100], v127 offset1:1
	s_waitcnt lgkmcnt(0)
	v_cmp_neq_f64_e32 vcc, 0, v[97:98]
	v_cmp_neq_f64_e64 s[2:3], 0, v[99:100]
	s_or_b64 s[2:3], vcc, s[2:3]
	s_and_b64 exec, exec, s[2:3]
	s_cbranch_execz .LBB85_314
; %bb.309:
	v_cmp_ngt_f64_e64 s[2:3], |v[97:98]|, |v[99:100]|
                                        ; implicit-def: $vgpr101_vgpr102
	s_and_saveexec_b64 s[6:7], s[2:3]
	s_xor_b64 s[2:3], exec, s[6:7]
                                        ; implicit-def: $vgpr103_vgpr104
	s_cbranch_execz .LBB85_311
; %bb.310:
	v_div_scale_f64 v[101:102], s[6:7], v[99:100], v[99:100], v[97:98]
	v_rcp_f64_e32 v[103:104], v[101:102]
	v_fma_f64 v[105:106], -v[101:102], v[103:104], 1.0
	v_fma_f64 v[103:104], v[103:104], v[105:106], v[103:104]
	v_div_scale_f64 v[105:106], vcc, v[97:98], v[99:100], v[97:98]
	v_fma_f64 v[107:108], -v[101:102], v[103:104], 1.0
	v_fma_f64 v[103:104], v[103:104], v[107:108], v[103:104]
	v_mul_f64 v[107:108], v[105:106], v[103:104]
	v_fma_f64 v[101:102], -v[101:102], v[107:108], v[105:106]
	v_div_fmas_f64 v[101:102], v[101:102], v[103:104], v[107:108]
	v_div_fixup_f64 v[101:102], v[101:102], v[99:100], v[97:98]
	v_fma_f64 v[97:98], v[97:98], v[101:102], v[99:100]
	v_div_scale_f64 v[99:100], s[6:7], v[97:98], v[97:98], 1.0
	v_div_scale_f64 v[107:108], vcc, 1.0, v[97:98], 1.0
	v_rcp_f64_e32 v[103:104], v[99:100]
	v_fma_f64 v[105:106], -v[99:100], v[103:104], 1.0
	v_fma_f64 v[103:104], v[103:104], v[105:106], v[103:104]
	v_fma_f64 v[105:106], -v[99:100], v[103:104], 1.0
	v_fma_f64 v[103:104], v[103:104], v[105:106], v[103:104]
	v_mul_f64 v[105:106], v[107:108], v[103:104]
	v_fma_f64 v[99:100], -v[99:100], v[105:106], v[107:108]
	v_div_fmas_f64 v[99:100], v[99:100], v[103:104], v[105:106]
	v_div_fixup_f64 v[103:104], v[99:100], v[97:98], 1.0
                                        ; implicit-def: $vgpr97_vgpr98
	v_mul_f64 v[101:102], v[101:102], v[103:104]
	v_xor_b32_e32 v104, 0x80000000, v104
.LBB85_311:
	s_andn2_saveexec_b64 s[2:3], s[2:3]
	s_cbranch_execz .LBB85_313
; %bb.312:
	v_div_scale_f64 v[101:102], s[6:7], v[97:98], v[97:98], v[99:100]
	v_rcp_f64_e32 v[103:104], v[101:102]
	v_fma_f64 v[105:106], -v[101:102], v[103:104], 1.0
	v_fma_f64 v[103:104], v[103:104], v[105:106], v[103:104]
	v_div_scale_f64 v[105:106], vcc, v[99:100], v[97:98], v[99:100]
	v_fma_f64 v[107:108], -v[101:102], v[103:104], 1.0
	v_fma_f64 v[103:104], v[103:104], v[107:108], v[103:104]
	v_mul_f64 v[107:108], v[105:106], v[103:104]
	v_fma_f64 v[101:102], -v[101:102], v[107:108], v[105:106]
	v_div_fmas_f64 v[101:102], v[101:102], v[103:104], v[107:108]
	v_div_fixup_f64 v[103:104], v[101:102], v[97:98], v[99:100]
	v_fma_f64 v[97:98], v[99:100], v[103:104], v[97:98]
	v_div_scale_f64 v[99:100], s[6:7], v[97:98], v[97:98], 1.0
	v_div_scale_f64 v[107:108], vcc, 1.0, v[97:98], 1.0
	v_rcp_f64_e32 v[101:102], v[99:100]
	v_fma_f64 v[105:106], -v[99:100], v[101:102], 1.0
	v_fma_f64 v[101:102], v[101:102], v[105:106], v[101:102]
	v_fma_f64 v[105:106], -v[99:100], v[101:102], 1.0
	v_fma_f64 v[101:102], v[101:102], v[105:106], v[101:102]
	v_mul_f64 v[105:106], v[107:108], v[101:102]
	v_fma_f64 v[99:100], -v[99:100], v[105:106], v[107:108]
	v_div_fmas_f64 v[99:100], v[99:100], v[101:102], v[105:106]
	v_div_fixup_f64 v[101:102], v[99:100], v[97:98], 1.0
	v_mul_f64 v[103:104], v[103:104], -v[101:102]
.LBB85_313:
	s_or_b64 exec, exec, s[2:3]
	ds_write2_b64 v127, v[101:102], v[103:104] offset1:1
.LBB85_314:
	s_or_b64 exec, exec, s[4:5]
	s_waitcnt lgkmcnt(0)
	s_barrier
	ds_read2_b64 v[97:100], v127 offset1:1
	v_cmp_lt_u32_e32 vcc, 34, v0
	s_waitcnt lgkmcnt(0)
	buffer_store_dword v97, off, s[20:23], 0 offset:1168 ; 4-byte Folded Spill
	s_nop 0
	buffer_store_dword v98, off, s[20:23], 0 offset:1172 ; 4-byte Folded Spill
	buffer_store_dword v99, off, s[20:23], 0 offset:1176 ; 4-byte Folded Spill
	;; [unrolled: 1-line block ×3, first 2 shown]
	s_and_saveexec_b64 s[2:3], vcc
	s_cbranch_execz .LBB85_316
; %bb.315:
	buffer_load_dword v99, off, s[20:23], 0 offset:1168 ; 4-byte Folded Reload
	buffer_load_dword v100, off, s[20:23], 0 offset:1172 ; 4-byte Folded Reload
	;; [unrolled: 1-line block ×4, first 2 shown]
	s_waitcnt vmcnt(2)
	v_mul_f64 v[97:98], v[99:100], v[31:32]
	s_waitcnt vmcnt(0)
	v_mul_f64 v[31:32], v[101:102], v[31:32]
	v_fma_f64 v[97:98], v[101:102], v[29:30], v[97:98]
	v_fma_f64 v[29:30], v[99:100], v[29:30], -v[31:32]
	ds_read2_b64 v[99:102], v125 offset0:70 offset1:71
	s_waitcnt lgkmcnt(0)
	v_mul_f64 v[31:32], v[101:102], v[97:98]
	v_fma_f64 v[31:32], v[99:100], v[29:30], -v[31:32]
	v_mul_f64 v[99:100], v[99:100], v[97:98]
	v_add_f64 v[25:26], v[25:26], -v[31:32]
	v_fma_f64 v[99:100], v[101:102], v[29:30], v[99:100]
	v_add_f64 v[27:28], v[27:28], -v[99:100]
	ds_read2_b64 v[99:102], v125 offset0:72 offset1:73
	s_waitcnt lgkmcnt(0)
	v_mul_f64 v[31:32], v[101:102], v[97:98]
	v_fma_f64 v[31:32], v[99:100], v[29:30], -v[31:32]
	v_mul_f64 v[99:100], v[99:100], v[97:98]
	v_add_f64 v[21:22], v[21:22], -v[31:32]
	v_fma_f64 v[99:100], v[101:102], v[29:30], v[99:100]
	v_add_f64 v[23:24], v[23:24], -v[99:100]
	;; [unrolled: 8-line block ×7, first 2 shown]
	ds_read2_b64 v[99:102], v125 offset0:84 offset1:85
	s_waitcnt lgkmcnt(0)
	v_mul_f64 v[31:32], v[101:102], v[97:98]
	v_fma_f64 v[31:32], v[99:100], v[29:30], -v[31:32]
	v_mul_f64 v[99:100], v[99:100], v[97:98]
	v_add_f64 v[121:122], v[121:122], -v[31:32]
	v_fma_f64 v[99:100], v[101:102], v[29:30], v[99:100]
	v_mov_b32_e32 v31, v97
	v_mov_b32_e32 v32, v98
	v_add_f64 v[123:124], v[123:124], -v[99:100]
.LBB85_316:
	s_or_b64 exec, exec, s[2:3]
	v_cmp_eq_u32_e32 vcc, 35, v0
	s_waitcnt vmcnt(0)
	s_barrier
	s_and_saveexec_b64 s[4:5], vcc
	s_cbranch_execz .LBB85_323
; %bb.317:
	ds_write2_b64 v127, v[25:26], v[27:28] offset1:1
	ds_write2_b64 v125, v[21:22], v[23:24] offset0:72 offset1:73
	ds_write2_b64 v125, v[17:18], v[19:20] offset0:74 offset1:75
	;; [unrolled: 1-line block ×7, first 2 shown]
	ds_read2_b64 v[97:100], v127 offset1:1
	s_waitcnt lgkmcnt(0)
	v_cmp_neq_f64_e32 vcc, 0, v[97:98]
	v_cmp_neq_f64_e64 s[2:3], 0, v[99:100]
	s_or_b64 s[2:3], vcc, s[2:3]
	s_and_b64 exec, exec, s[2:3]
	s_cbranch_execz .LBB85_323
; %bb.318:
	v_cmp_ngt_f64_e64 s[2:3], |v[97:98]|, |v[99:100]|
                                        ; implicit-def: $vgpr101_vgpr102
	s_and_saveexec_b64 s[6:7], s[2:3]
	s_xor_b64 s[2:3], exec, s[6:7]
                                        ; implicit-def: $vgpr103_vgpr104
	s_cbranch_execz .LBB85_320
; %bb.319:
	v_div_scale_f64 v[101:102], s[6:7], v[99:100], v[99:100], v[97:98]
	v_rcp_f64_e32 v[103:104], v[101:102]
	v_fma_f64 v[105:106], -v[101:102], v[103:104], 1.0
	v_fma_f64 v[103:104], v[103:104], v[105:106], v[103:104]
	v_div_scale_f64 v[105:106], vcc, v[97:98], v[99:100], v[97:98]
	v_fma_f64 v[107:108], -v[101:102], v[103:104], 1.0
	v_fma_f64 v[103:104], v[103:104], v[107:108], v[103:104]
	v_mul_f64 v[107:108], v[105:106], v[103:104]
	v_fma_f64 v[101:102], -v[101:102], v[107:108], v[105:106]
	v_div_fmas_f64 v[101:102], v[101:102], v[103:104], v[107:108]
	v_div_fixup_f64 v[101:102], v[101:102], v[99:100], v[97:98]
	v_fma_f64 v[97:98], v[97:98], v[101:102], v[99:100]
	v_div_scale_f64 v[99:100], s[6:7], v[97:98], v[97:98], 1.0
	v_div_scale_f64 v[107:108], vcc, 1.0, v[97:98], 1.0
	v_rcp_f64_e32 v[103:104], v[99:100]
	v_fma_f64 v[105:106], -v[99:100], v[103:104], 1.0
	v_fma_f64 v[103:104], v[103:104], v[105:106], v[103:104]
	v_fma_f64 v[105:106], -v[99:100], v[103:104], 1.0
	v_fma_f64 v[103:104], v[103:104], v[105:106], v[103:104]
	v_mul_f64 v[105:106], v[107:108], v[103:104]
	v_fma_f64 v[99:100], -v[99:100], v[105:106], v[107:108]
	v_div_fmas_f64 v[99:100], v[99:100], v[103:104], v[105:106]
	v_div_fixup_f64 v[103:104], v[99:100], v[97:98], 1.0
                                        ; implicit-def: $vgpr97_vgpr98
	v_mul_f64 v[101:102], v[101:102], v[103:104]
	v_xor_b32_e32 v104, 0x80000000, v104
.LBB85_320:
	s_andn2_saveexec_b64 s[2:3], s[2:3]
	s_cbranch_execz .LBB85_322
; %bb.321:
	v_div_scale_f64 v[101:102], s[6:7], v[97:98], v[97:98], v[99:100]
	v_rcp_f64_e32 v[103:104], v[101:102]
	v_fma_f64 v[105:106], -v[101:102], v[103:104], 1.0
	v_fma_f64 v[103:104], v[103:104], v[105:106], v[103:104]
	v_div_scale_f64 v[105:106], vcc, v[99:100], v[97:98], v[99:100]
	v_fma_f64 v[107:108], -v[101:102], v[103:104], 1.0
	v_fma_f64 v[103:104], v[103:104], v[107:108], v[103:104]
	v_mul_f64 v[107:108], v[105:106], v[103:104]
	v_fma_f64 v[101:102], -v[101:102], v[107:108], v[105:106]
	v_div_fmas_f64 v[101:102], v[101:102], v[103:104], v[107:108]
	v_div_fixup_f64 v[103:104], v[101:102], v[97:98], v[99:100]
	v_fma_f64 v[97:98], v[99:100], v[103:104], v[97:98]
	v_div_scale_f64 v[99:100], s[6:7], v[97:98], v[97:98], 1.0
	v_div_scale_f64 v[107:108], vcc, 1.0, v[97:98], 1.0
	v_rcp_f64_e32 v[101:102], v[99:100]
	v_fma_f64 v[105:106], -v[99:100], v[101:102], 1.0
	v_fma_f64 v[101:102], v[101:102], v[105:106], v[101:102]
	v_fma_f64 v[105:106], -v[99:100], v[101:102], 1.0
	v_fma_f64 v[101:102], v[101:102], v[105:106], v[101:102]
	v_mul_f64 v[105:106], v[107:108], v[101:102]
	v_fma_f64 v[99:100], -v[99:100], v[105:106], v[107:108]
	v_div_fmas_f64 v[99:100], v[99:100], v[101:102], v[105:106]
	v_div_fixup_f64 v[101:102], v[99:100], v[97:98], 1.0
	v_mul_f64 v[103:104], v[103:104], -v[101:102]
.LBB85_322:
	s_or_b64 exec, exec, s[2:3]
	ds_write2_b64 v127, v[101:102], v[103:104] offset1:1
.LBB85_323:
	s_or_b64 exec, exec, s[4:5]
	s_waitcnt lgkmcnt(0)
	s_barrier
	ds_read2_b64 v[97:100], v127 offset1:1
	v_cmp_lt_u32_e32 vcc, 35, v0
	s_waitcnt lgkmcnt(0)
	buffer_store_dword v97, off, s[20:23], 0 offset:1184 ; 4-byte Folded Spill
	s_nop 0
	buffer_store_dword v98, off, s[20:23], 0 offset:1188 ; 4-byte Folded Spill
	buffer_store_dword v99, off, s[20:23], 0 offset:1192 ; 4-byte Folded Spill
	;; [unrolled: 1-line block ×3, first 2 shown]
	s_and_saveexec_b64 s[2:3], vcc
	s_cbranch_execz .LBB85_325
; %bb.324:
	buffer_load_dword v99, off, s[20:23], 0 offset:1184 ; 4-byte Folded Reload
	buffer_load_dword v100, off, s[20:23], 0 offset:1188 ; 4-byte Folded Reload
	buffer_load_dword v101, off, s[20:23], 0 offset:1192 ; 4-byte Folded Reload
	buffer_load_dword v102, off, s[20:23], 0 offset:1196 ; 4-byte Folded Reload
	s_waitcnt vmcnt(2)
	v_mul_f64 v[97:98], v[99:100], v[27:28]
	s_waitcnt vmcnt(0)
	v_mul_f64 v[27:28], v[101:102], v[27:28]
	v_fma_f64 v[97:98], v[101:102], v[25:26], v[97:98]
	v_fma_f64 v[25:26], v[99:100], v[25:26], -v[27:28]
	ds_read2_b64 v[99:102], v125 offset0:72 offset1:73
	s_waitcnt lgkmcnt(0)
	v_mul_f64 v[27:28], v[101:102], v[97:98]
	v_fma_f64 v[27:28], v[99:100], v[25:26], -v[27:28]
	v_mul_f64 v[99:100], v[99:100], v[97:98]
	v_add_f64 v[21:22], v[21:22], -v[27:28]
	v_fma_f64 v[99:100], v[101:102], v[25:26], v[99:100]
	v_add_f64 v[23:24], v[23:24], -v[99:100]
	ds_read2_b64 v[99:102], v125 offset0:74 offset1:75
	s_waitcnt lgkmcnt(0)
	v_mul_f64 v[27:28], v[101:102], v[97:98]
	v_fma_f64 v[27:28], v[99:100], v[25:26], -v[27:28]
	v_mul_f64 v[99:100], v[99:100], v[97:98]
	v_add_f64 v[17:18], v[17:18], -v[27:28]
	v_fma_f64 v[99:100], v[101:102], v[25:26], v[99:100]
	v_add_f64 v[19:20], v[19:20], -v[99:100]
	ds_read2_b64 v[99:102], v125 offset0:76 offset1:77
	s_waitcnt lgkmcnt(0)
	v_mul_f64 v[27:28], v[101:102], v[97:98]
	v_fma_f64 v[27:28], v[99:100], v[25:26], -v[27:28]
	v_mul_f64 v[99:100], v[99:100], v[97:98]
	v_add_f64 v[13:14], v[13:14], -v[27:28]
	v_fma_f64 v[99:100], v[101:102], v[25:26], v[99:100]
	v_add_f64 v[15:16], v[15:16], -v[99:100]
	ds_read2_b64 v[99:102], v125 offset0:78 offset1:79
	s_waitcnt lgkmcnt(0)
	v_mul_f64 v[27:28], v[101:102], v[97:98]
	v_fma_f64 v[27:28], v[99:100], v[25:26], -v[27:28]
	v_mul_f64 v[99:100], v[99:100], v[97:98]
	v_add_f64 v[9:10], v[9:10], -v[27:28]
	v_fma_f64 v[99:100], v[101:102], v[25:26], v[99:100]
	v_add_f64 v[11:12], v[11:12], -v[99:100]
	ds_read2_b64 v[99:102], v125 offset0:80 offset1:81
	s_waitcnt lgkmcnt(0)
	v_mul_f64 v[27:28], v[101:102], v[97:98]
	v_fma_f64 v[27:28], v[99:100], v[25:26], -v[27:28]
	v_mul_f64 v[99:100], v[99:100], v[97:98]
	v_add_f64 v[5:6], v[5:6], -v[27:28]
	v_fma_f64 v[99:100], v[101:102], v[25:26], v[99:100]
	v_add_f64 v[7:8], v[7:8], -v[99:100]
	ds_read2_b64 v[99:102], v125 offset0:82 offset1:83
	s_waitcnt lgkmcnt(0)
	v_mul_f64 v[27:28], v[101:102], v[97:98]
	v_fma_f64 v[27:28], v[99:100], v[25:26], -v[27:28]
	v_mul_f64 v[99:100], v[99:100], v[97:98]
	v_add_f64 v[1:2], v[1:2], -v[27:28]
	v_fma_f64 v[99:100], v[101:102], v[25:26], v[99:100]
	v_add_f64 v[3:4], v[3:4], -v[99:100]
	ds_read2_b64 v[99:102], v125 offset0:84 offset1:85
	s_waitcnt lgkmcnt(0)
	v_mul_f64 v[27:28], v[101:102], v[97:98]
	v_fma_f64 v[27:28], v[99:100], v[25:26], -v[27:28]
	v_mul_f64 v[99:100], v[99:100], v[97:98]
	v_add_f64 v[121:122], v[121:122], -v[27:28]
	v_fma_f64 v[99:100], v[101:102], v[25:26], v[99:100]
	v_mov_b32_e32 v27, v97
	v_mov_b32_e32 v28, v98
	v_add_f64 v[123:124], v[123:124], -v[99:100]
.LBB85_325:
	s_or_b64 exec, exec, s[2:3]
	v_cmp_eq_u32_e32 vcc, 36, v0
	s_waitcnt vmcnt(0)
	s_barrier
	s_and_saveexec_b64 s[4:5], vcc
	s_cbranch_execz .LBB85_332
; %bb.326:
	ds_write2_b64 v127, v[21:22], v[23:24] offset1:1
	ds_write2_b64 v125, v[17:18], v[19:20] offset0:74 offset1:75
	ds_write2_b64 v125, v[13:14], v[15:16] offset0:76 offset1:77
	;; [unrolled: 1-line block ×6, first 2 shown]
	ds_read2_b64 v[97:100], v127 offset1:1
	s_waitcnt lgkmcnt(0)
	v_cmp_neq_f64_e32 vcc, 0, v[97:98]
	v_cmp_neq_f64_e64 s[2:3], 0, v[99:100]
	s_or_b64 s[2:3], vcc, s[2:3]
	s_and_b64 exec, exec, s[2:3]
	s_cbranch_execz .LBB85_332
; %bb.327:
	v_cmp_ngt_f64_e64 s[2:3], |v[97:98]|, |v[99:100]|
                                        ; implicit-def: $vgpr101_vgpr102
	s_and_saveexec_b64 s[6:7], s[2:3]
	s_xor_b64 s[2:3], exec, s[6:7]
                                        ; implicit-def: $vgpr103_vgpr104
	s_cbranch_execz .LBB85_329
; %bb.328:
	v_div_scale_f64 v[101:102], s[6:7], v[99:100], v[99:100], v[97:98]
	v_rcp_f64_e32 v[103:104], v[101:102]
	v_fma_f64 v[105:106], -v[101:102], v[103:104], 1.0
	v_fma_f64 v[103:104], v[103:104], v[105:106], v[103:104]
	v_div_scale_f64 v[105:106], vcc, v[97:98], v[99:100], v[97:98]
	v_fma_f64 v[107:108], -v[101:102], v[103:104], 1.0
	v_fma_f64 v[103:104], v[103:104], v[107:108], v[103:104]
	v_mul_f64 v[107:108], v[105:106], v[103:104]
	v_fma_f64 v[101:102], -v[101:102], v[107:108], v[105:106]
	v_div_fmas_f64 v[101:102], v[101:102], v[103:104], v[107:108]
	v_div_fixup_f64 v[101:102], v[101:102], v[99:100], v[97:98]
	v_fma_f64 v[97:98], v[97:98], v[101:102], v[99:100]
	v_div_scale_f64 v[99:100], s[6:7], v[97:98], v[97:98], 1.0
	v_div_scale_f64 v[107:108], vcc, 1.0, v[97:98], 1.0
	v_rcp_f64_e32 v[103:104], v[99:100]
	v_fma_f64 v[105:106], -v[99:100], v[103:104], 1.0
	v_fma_f64 v[103:104], v[103:104], v[105:106], v[103:104]
	v_fma_f64 v[105:106], -v[99:100], v[103:104], 1.0
	v_fma_f64 v[103:104], v[103:104], v[105:106], v[103:104]
	v_mul_f64 v[105:106], v[107:108], v[103:104]
	v_fma_f64 v[99:100], -v[99:100], v[105:106], v[107:108]
	v_div_fmas_f64 v[99:100], v[99:100], v[103:104], v[105:106]
	v_div_fixup_f64 v[103:104], v[99:100], v[97:98], 1.0
                                        ; implicit-def: $vgpr97_vgpr98
	v_mul_f64 v[101:102], v[101:102], v[103:104]
	v_xor_b32_e32 v104, 0x80000000, v104
.LBB85_329:
	s_andn2_saveexec_b64 s[2:3], s[2:3]
	s_cbranch_execz .LBB85_331
; %bb.330:
	v_div_scale_f64 v[101:102], s[6:7], v[97:98], v[97:98], v[99:100]
	v_rcp_f64_e32 v[103:104], v[101:102]
	v_fma_f64 v[105:106], -v[101:102], v[103:104], 1.0
	v_fma_f64 v[103:104], v[103:104], v[105:106], v[103:104]
	v_div_scale_f64 v[105:106], vcc, v[99:100], v[97:98], v[99:100]
	v_fma_f64 v[107:108], -v[101:102], v[103:104], 1.0
	v_fma_f64 v[103:104], v[103:104], v[107:108], v[103:104]
	v_mul_f64 v[107:108], v[105:106], v[103:104]
	v_fma_f64 v[101:102], -v[101:102], v[107:108], v[105:106]
	v_div_fmas_f64 v[101:102], v[101:102], v[103:104], v[107:108]
	v_div_fixup_f64 v[103:104], v[101:102], v[97:98], v[99:100]
	v_fma_f64 v[97:98], v[99:100], v[103:104], v[97:98]
	v_div_scale_f64 v[99:100], s[6:7], v[97:98], v[97:98], 1.0
	v_div_scale_f64 v[107:108], vcc, 1.0, v[97:98], 1.0
	v_rcp_f64_e32 v[101:102], v[99:100]
	v_fma_f64 v[105:106], -v[99:100], v[101:102], 1.0
	v_fma_f64 v[101:102], v[101:102], v[105:106], v[101:102]
	v_fma_f64 v[105:106], -v[99:100], v[101:102], 1.0
	v_fma_f64 v[101:102], v[101:102], v[105:106], v[101:102]
	v_mul_f64 v[105:106], v[107:108], v[101:102]
	v_fma_f64 v[99:100], -v[99:100], v[105:106], v[107:108]
	v_div_fmas_f64 v[99:100], v[99:100], v[101:102], v[105:106]
	v_div_fixup_f64 v[101:102], v[99:100], v[97:98], 1.0
	v_mul_f64 v[103:104], v[103:104], -v[101:102]
.LBB85_331:
	s_or_b64 exec, exec, s[2:3]
	ds_write2_b64 v127, v[101:102], v[103:104] offset1:1
.LBB85_332:
	s_or_b64 exec, exec, s[4:5]
	s_waitcnt lgkmcnt(0)
	s_barrier
	ds_read2_b64 v[97:100], v127 offset1:1
	v_cmp_lt_u32_e32 vcc, 36, v0
	s_waitcnt lgkmcnt(0)
	buffer_store_dword v97, off, s[20:23], 0 offset:1200 ; 4-byte Folded Spill
	s_nop 0
	buffer_store_dword v98, off, s[20:23], 0 offset:1204 ; 4-byte Folded Spill
	buffer_store_dword v99, off, s[20:23], 0 offset:1208 ; 4-byte Folded Spill
	buffer_store_dword v100, off, s[20:23], 0 offset:1212 ; 4-byte Folded Spill
	s_and_saveexec_b64 s[2:3], vcc
	s_cbranch_execz .LBB85_334
; %bb.333:
	buffer_load_dword v99, off, s[20:23], 0 offset:1200 ; 4-byte Folded Reload
	buffer_load_dword v100, off, s[20:23], 0 offset:1204 ; 4-byte Folded Reload
	;; [unrolled: 1-line block ×4, first 2 shown]
	s_waitcnt vmcnt(2)
	v_mul_f64 v[97:98], v[99:100], v[23:24]
	s_waitcnt vmcnt(0)
	v_mul_f64 v[23:24], v[101:102], v[23:24]
	v_fma_f64 v[97:98], v[101:102], v[21:22], v[97:98]
	v_fma_f64 v[21:22], v[99:100], v[21:22], -v[23:24]
	ds_read2_b64 v[99:102], v125 offset0:74 offset1:75
	s_waitcnt lgkmcnt(0)
	v_mul_f64 v[23:24], v[101:102], v[97:98]
	v_fma_f64 v[23:24], v[99:100], v[21:22], -v[23:24]
	v_mul_f64 v[99:100], v[99:100], v[97:98]
	v_add_f64 v[17:18], v[17:18], -v[23:24]
	v_fma_f64 v[99:100], v[101:102], v[21:22], v[99:100]
	v_add_f64 v[19:20], v[19:20], -v[99:100]
	ds_read2_b64 v[99:102], v125 offset0:76 offset1:77
	s_waitcnt lgkmcnt(0)
	v_mul_f64 v[23:24], v[101:102], v[97:98]
	v_fma_f64 v[23:24], v[99:100], v[21:22], -v[23:24]
	v_mul_f64 v[99:100], v[99:100], v[97:98]
	v_add_f64 v[13:14], v[13:14], -v[23:24]
	v_fma_f64 v[99:100], v[101:102], v[21:22], v[99:100]
	v_add_f64 v[15:16], v[15:16], -v[99:100]
	;; [unrolled: 8-line block ×5, first 2 shown]
	ds_read2_b64 v[99:102], v125 offset0:84 offset1:85
	s_waitcnt lgkmcnt(0)
	v_mul_f64 v[23:24], v[101:102], v[97:98]
	v_fma_f64 v[23:24], v[99:100], v[21:22], -v[23:24]
	v_mul_f64 v[99:100], v[99:100], v[97:98]
	v_add_f64 v[121:122], v[121:122], -v[23:24]
	v_fma_f64 v[99:100], v[101:102], v[21:22], v[99:100]
	v_mov_b32_e32 v23, v97
	v_mov_b32_e32 v24, v98
	v_add_f64 v[123:124], v[123:124], -v[99:100]
.LBB85_334:
	s_or_b64 exec, exec, s[2:3]
	v_cmp_eq_u32_e32 vcc, 37, v0
	s_waitcnt vmcnt(0)
	s_barrier
	s_and_saveexec_b64 s[4:5], vcc
	s_cbranch_execz .LBB85_341
; %bb.335:
	ds_write2_b64 v127, v[17:18], v[19:20] offset1:1
	ds_write2_b64 v125, v[13:14], v[15:16] offset0:76 offset1:77
	ds_write2_b64 v125, v[9:10], v[11:12] offset0:78 offset1:79
	ds_write2_b64 v125, v[5:6], v[7:8] offset0:80 offset1:81
	ds_write2_b64 v125, v[1:2], v[3:4] offset0:82 offset1:83
	ds_write2_b64 v125, v[121:122], v[123:124] offset0:84 offset1:85
	ds_read2_b64 v[97:100], v127 offset1:1
	s_waitcnt lgkmcnt(0)
	v_cmp_neq_f64_e32 vcc, 0, v[97:98]
	v_cmp_neq_f64_e64 s[2:3], 0, v[99:100]
	s_or_b64 s[2:3], vcc, s[2:3]
	s_and_b64 exec, exec, s[2:3]
	s_cbranch_execz .LBB85_341
; %bb.336:
	v_cmp_ngt_f64_e64 s[2:3], |v[97:98]|, |v[99:100]|
                                        ; implicit-def: $vgpr101_vgpr102
	s_and_saveexec_b64 s[6:7], s[2:3]
	s_xor_b64 s[2:3], exec, s[6:7]
                                        ; implicit-def: $vgpr103_vgpr104
	s_cbranch_execz .LBB85_338
; %bb.337:
	v_div_scale_f64 v[101:102], s[6:7], v[99:100], v[99:100], v[97:98]
	v_rcp_f64_e32 v[103:104], v[101:102]
	v_fma_f64 v[105:106], -v[101:102], v[103:104], 1.0
	v_fma_f64 v[103:104], v[103:104], v[105:106], v[103:104]
	v_div_scale_f64 v[105:106], vcc, v[97:98], v[99:100], v[97:98]
	v_fma_f64 v[107:108], -v[101:102], v[103:104], 1.0
	v_fma_f64 v[103:104], v[103:104], v[107:108], v[103:104]
	v_mul_f64 v[107:108], v[105:106], v[103:104]
	v_fma_f64 v[101:102], -v[101:102], v[107:108], v[105:106]
	v_div_fmas_f64 v[101:102], v[101:102], v[103:104], v[107:108]
	v_div_fixup_f64 v[101:102], v[101:102], v[99:100], v[97:98]
	v_fma_f64 v[97:98], v[97:98], v[101:102], v[99:100]
	v_div_scale_f64 v[99:100], s[6:7], v[97:98], v[97:98], 1.0
	v_div_scale_f64 v[107:108], vcc, 1.0, v[97:98], 1.0
	v_rcp_f64_e32 v[103:104], v[99:100]
	v_fma_f64 v[105:106], -v[99:100], v[103:104], 1.0
	v_fma_f64 v[103:104], v[103:104], v[105:106], v[103:104]
	v_fma_f64 v[105:106], -v[99:100], v[103:104], 1.0
	v_fma_f64 v[103:104], v[103:104], v[105:106], v[103:104]
	v_mul_f64 v[105:106], v[107:108], v[103:104]
	v_fma_f64 v[99:100], -v[99:100], v[105:106], v[107:108]
	v_div_fmas_f64 v[99:100], v[99:100], v[103:104], v[105:106]
	v_div_fixup_f64 v[103:104], v[99:100], v[97:98], 1.0
                                        ; implicit-def: $vgpr97_vgpr98
	v_mul_f64 v[101:102], v[101:102], v[103:104]
	v_xor_b32_e32 v104, 0x80000000, v104
.LBB85_338:
	s_andn2_saveexec_b64 s[2:3], s[2:3]
	s_cbranch_execz .LBB85_340
; %bb.339:
	v_div_scale_f64 v[101:102], s[6:7], v[97:98], v[97:98], v[99:100]
	v_rcp_f64_e32 v[103:104], v[101:102]
	v_fma_f64 v[105:106], -v[101:102], v[103:104], 1.0
	v_fma_f64 v[103:104], v[103:104], v[105:106], v[103:104]
	v_div_scale_f64 v[105:106], vcc, v[99:100], v[97:98], v[99:100]
	v_fma_f64 v[107:108], -v[101:102], v[103:104], 1.0
	v_fma_f64 v[103:104], v[103:104], v[107:108], v[103:104]
	v_mul_f64 v[107:108], v[105:106], v[103:104]
	v_fma_f64 v[101:102], -v[101:102], v[107:108], v[105:106]
	v_div_fmas_f64 v[101:102], v[101:102], v[103:104], v[107:108]
	v_div_fixup_f64 v[103:104], v[101:102], v[97:98], v[99:100]
	v_fma_f64 v[97:98], v[99:100], v[103:104], v[97:98]
	v_div_scale_f64 v[99:100], s[6:7], v[97:98], v[97:98], 1.0
	v_div_scale_f64 v[107:108], vcc, 1.0, v[97:98], 1.0
	v_rcp_f64_e32 v[101:102], v[99:100]
	v_fma_f64 v[105:106], -v[99:100], v[101:102], 1.0
	v_fma_f64 v[101:102], v[101:102], v[105:106], v[101:102]
	v_fma_f64 v[105:106], -v[99:100], v[101:102], 1.0
	v_fma_f64 v[101:102], v[101:102], v[105:106], v[101:102]
	v_mul_f64 v[105:106], v[107:108], v[101:102]
	v_fma_f64 v[99:100], -v[99:100], v[105:106], v[107:108]
	v_div_fmas_f64 v[99:100], v[99:100], v[101:102], v[105:106]
	v_div_fixup_f64 v[101:102], v[99:100], v[97:98], 1.0
	v_mul_f64 v[103:104], v[103:104], -v[101:102]
.LBB85_340:
	s_or_b64 exec, exec, s[2:3]
	ds_write2_b64 v127, v[101:102], v[103:104] offset1:1
.LBB85_341:
	s_or_b64 exec, exec, s[4:5]
	s_waitcnt lgkmcnt(0)
	s_barrier
	ds_read2_b64 v[97:100], v127 offset1:1
	v_cmp_lt_u32_e32 vcc, 37, v0
	s_waitcnt lgkmcnt(0)
	buffer_store_dword v97, off, s[20:23], 0 offset:1216 ; 4-byte Folded Spill
	s_nop 0
	buffer_store_dword v98, off, s[20:23], 0 offset:1220 ; 4-byte Folded Spill
	buffer_store_dword v99, off, s[20:23], 0 offset:1224 ; 4-byte Folded Spill
	;; [unrolled: 1-line block ×3, first 2 shown]
	s_and_saveexec_b64 s[2:3], vcc
	s_cbranch_execz .LBB85_343
; %bb.342:
	buffer_load_dword v103, off, s[20:23], 0 offset:1216 ; 4-byte Folded Reload
	buffer_load_dword v104, off, s[20:23], 0 offset:1220 ; 4-byte Folded Reload
	;; [unrolled: 1-line block ×4, first 2 shown]
	s_waitcnt vmcnt(2)
	v_mul_f64 v[97:98], v[103:104], v[19:20]
	s_waitcnt vmcnt(0)
	v_mul_f64 v[19:20], v[105:106], v[19:20]
	v_fma_f64 v[101:102], v[105:106], v[17:18], v[97:98]
	ds_read2_b64 v[97:100], v125 offset0:76 offset1:77
	v_fma_f64 v[17:18], v[103:104], v[17:18], -v[19:20]
	s_waitcnt lgkmcnt(0)
	v_mul_f64 v[19:20], v[99:100], v[101:102]
	v_fma_f64 v[19:20], v[97:98], v[17:18], -v[19:20]
	v_mul_f64 v[97:98], v[97:98], v[101:102]
	v_add_f64 v[13:14], v[13:14], -v[19:20]
	v_fma_f64 v[97:98], v[99:100], v[17:18], v[97:98]
	v_add_f64 v[15:16], v[15:16], -v[97:98]
	ds_read2_b64 v[97:100], v125 offset0:78 offset1:79
	s_waitcnt lgkmcnt(0)
	v_mul_f64 v[19:20], v[99:100], v[101:102]
	v_fma_f64 v[19:20], v[97:98], v[17:18], -v[19:20]
	v_mul_f64 v[97:98], v[97:98], v[101:102]
	v_add_f64 v[9:10], v[9:10], -v[19:20]
	v_fma_f64 v[97:98], v[99:100], v[17:18], v[97:98]
	v_add_f64 v[11:12], v[11:12], -v[97:98]
	ds_read2_b64 v[97:100], v125 offset0:80 offset1:81
	;; [unrolled: 8-line block ×4, first 2 shown]
	s_waitcnt lgkmcnt(0)
	v_mul_f64 v[19:20], v[99:100], v[101:102]
	v_fma_f64 v[19:20], v[97:98], v[17:18], -v[19:20]
	v_mul_f64 v[97:98], v[97:98], v[101:102]
	v_add_f64 v[121:122], v[121:122], -v[19:20]
	v_fma_f64 v[97:98], v[99:100], v[17:18], v[97:98]
	v_mov_b32_e32 v19, v101
	v_mov_b32_e32 v20, v102
	v_add_f64 v[123:124], v[123:124], -v[97:98]
.LBB85_343:
	s_or_b64 exec, exec, s[2:3]
	v_cmp_eq_u32_e32 vcc, 38, v0
	s_waitcnt vmcnt(0)
	s_barrier
	s_and_saveexec_b64 s[4:5], vcc
	s_cbranch_execz .LBB85_350
; %bb.344:
	ds_write2_b64 v127, v[13:14], v[15:16] offset1:1
	ds_write2_b64 v125, v[9:10], v[11:12] offset0:78 offset1:79
	ds_write2_b64 v125, v[5:6], v[7:8] offset0:80 offset1:81
	;; [unrolled: 1-line block ×4, first 2 shown]
	ds_read2_b64 v[97:100], v127 offset1:1
	s_waitcnt lgkmcnt(0)
	v_cmp_neq_f64_e32 vcc, 0, v[97:98]
	v_cmp_neq_f64_e64 s[2:3], 0, v[99:100]
	s_or_b64 s[2:3], vcc, s[2:3]
	s_and_b64 exec, exec, s[2:3]
	s_cbranch_execz .LBB85_350
; %bb.345:
	v_cmp_ngt_f64_e64 s[2:3], |v[97:98]|, |v[99:100]|
                                        ; implicit-def: $vgpr101_vgpr102
	s_and_saveexec_b64 s[6:7], s[2:3]
	s_xor_b64 s[2:3], exec, s[6:7]
                                        ; implicit-def: $vgpr103_vgpr104
	s_cbranch_execz .LBB85_347
; %bb.346:
	v_div_scale_f64 v[101:102], s[6:7], v[99:100], v[99:100], v[97:98]
	v_rcp_f64_e32 v[103:104], v[101:102]
	v_fma_f64 v[105:106], -v[101:102], v[103:104], 1.0
	v_fma_f64 v[103:104], v[103:104], v[105:106], v[103:104]
	v_div_scale_f64 v[105:106], vcc, v[97:98], v[99:100], v[97:98]
	v_fma_f64 v[107:108], -v[101:102], v[103:104], 1.0
	v_fma_f64 v[103:104], v[103:104], v[107:108], v[103:104]
	v_mul_f64 v[107:108], v[105:106], v[103:104]
	v_fma_f64 v[101:102], -v[101:102], v[107:108], v[105:106]
	v_div_fmas_f64 v[101:102], v[101:102], v[103:104], v[107:108]
	v_div_fixup_f64 v[101:102], v[101:102], v[99:100], v[97:98]
	v_fma_f64 v[97:98], v[97:98], v[101:102], v[99:100]
	v_div_scale_f64 v[99:100], s[6:7], v[97:98], v[97:98], 1.0
	v_div_scale_f64 v[107:108], vcc, 1.0, v[97:98], 1.0
	v_rcp_f64_e32 v[103:104], v[99:100]
	v_fma_f64 v[105:106], -v[99:100], v[103:104], 1.0
	v_fma_f64 v[103:104], v[103:104], v[105:106], v[103:104]
	v_fma_f64 v[105:106], -v[99:100], v[103:104], 1.0
	v_fma_f64 v[103:104], v[103:104], v[105:106], v[103:104]
	v_mul_f64 v[105:106], v[107:108], v[103:104]
	v_fma_f64 v[99:100], -v[99:100], v[105:106], v[107:108]
	v_div_fmas_f64 v[99:100], v[99:100], v[103:104], v[105:106]
	v_div_fixup_f64 v[103:104], v[99:100], v[97:98], 1.0
                                        ; implicit-def: $vgpr97_vgpr98
	v_mul_f64 v[101:102], v[101:102], v[103:104]
	v_xor_b32_e32 v104, 0x80000000, v104
.LBB85_347:
	s_andn2_saveexec_b64 s[2:3], s[2:3]
	s_cbranch_execz .LBB85_349
; %bb.348:
	v_div_scale_f64 v[101:102], s[6:7], v[97:98], v[97:98], v[99:100]
	v_rcp_f64_e32 v[103:104], v[101:102]
	v_fma_f64 v[105:106], -v[101:102], v[103:104], 1.0
	v_fma_f64 v[103:104], v[103:104], v[105:106], v[103:104]
	v_div_scale_f64 v[105:106], vcc, v[99:100], v[97:98], v[99:100]
	v_fma_f64 v[107:108], -v[101:102], v[103:104], 1.0
	v_fma_f64 v[103:104], v[103:104], v[107:108], v[103:104]
	v_mul_f64 v[107:108], v[105:106], v[103:104]
	v_fma_f64 v[101:102], -v[101:102], v[107:108], v[105:106]
	v_div_fmas_f64 v[101:102], v[101:102], v[103:104], v[107:108]
	v_div_fixup_f64 v[103:104], v[101:102], v[97:98], v[99:100]
	v_fma_f64 v[97:98], v[99:100], v[103:104], v[97:98]
	v_div_scale_f64 v[99:100], s[6:7], v[97:98], v[97:98], 1.0
	v_div_scale_f64 v[107:108], vcc, 1.0, v[97:98], 1.0
	v_rcp_f64_e32 v[101:102], v[99:100]
	v_fma_f64 v[105:106], -v[99:100], v[101:102], 1.0
	v_fma_f64 v[101:102], v[101:102], v[105:106], v[101:102]
	v_fma_f64 v[105:106], -v[99:100], v[101:102], 1.0
	v_fma_f64 v[101:102], v[101:102], v[105:106], v[101:102]
	v_mul_f64 v[105:106], v[107:108], v[101:102]
	v_fma_f64 v[99:100], -v[99:100], v[105:106], v[107:108]
	v_div_fmas_f64 v[99:100], v[99:100], v[101:102], v[105:106]
	v_div_fixup_f64 v[101:102], v[99:100], v[97:98], 1.0
	v_mul_f64 v[103:104], v[103:104], -v[101:102]
.LBB85_349:
	s_or_b64 exec, exec, s[2:3]
	ds_write2_b64 v127, v[101:102], v[103:104] offset1:1
.LBB85_350:
	s_or_b64 exec, exec, s[4:5]
	s_waitcnt lgkmcnt(0)
	s_barrier
	ds_read2_b64 v[97:100], v127 offset1:1
	v_cmp_lt_u32_e32 vcc, 38, v0
	s_waitcnt lgkmcnt(0)
	buffer_store_dword v97, off, s[20:23], 0 offset:1232 ; 4-byte Folded Spill
	s_nop 0
	buffer_store_dword v98, off, s[20:23], 0 offset:1236 ; 4-byte Folded Spill
	buffer_store_dword v99, off, s[20:23], 0 offset:1240 ; 4-byte Folded Spill
	;; [unrolled: 1-line block ×3, first 2 shown]
	s_and_saveexec_b64 s[2:3], vcc
	s_cbranch_execz .LBB85_352
; %bb.351:
	buffer_load_dword v103, off, s[20:23], 0 offset:1232 ; 4-byte Folded Reload
	buffer_load_dword v104, off, s[20:23], 0 offset:1236 ; 4-byte Folded Reload
	;; [unrolled: 1-line block ×4, first 2 shown]
	s_waitcnt vmcnt(2)
	v_mul_f64 v[97:98], v[103:104], v[15:16]
	s_waitcnt vmcnt(0)
	v_mul_f64 v[15:16], v[105:106], v[15:16]
	v_fma_f64 v[101:102], v[105:106], v[13:14], v[97:98]
	ds_read2_b64 v[97:100], v125 offset0:78 offset1:79
	v_fma_f64 v[13:14], v[103:104], v[13:14], -v[15:16]
	s_waitcnt lgkmcnt(0)
	v_mul_f64 v[15:16], v[99:100], v[101:102]
	v_fma_f64 v[15:16], v[97:98], v[13:14], -v[15:16]
	v_mul_f64 v[97:98], v[97:98], v[101:102]
	v_add_f64 v[9:10], v[9:10], -v[15:16]
	v_fma_f64 v[97:98], v[99:100], v[13:14], v[97:98]
	v_add_f64 v[11:12], v[11:12], -v[97:98]
	ds_read2_b64 v[97:100], v125 offset0:80 offset1:81
	s_waitcnt lgkmcnt(0)
	v_mul_f64 v[15:16], v[99:100], v[101:102]
	v_fma_f64 v[15:16], v[97:98], v[13:14], -v[15:16]
	v_mul_f64 v[97:98], v[97:98], v[101:102]
	v_add_f64 v[5:6], v[5:6], -v[15:16]
	v_fma_f64 v[97:98], v[99:100], v[13:14], v[97:98]
	v_add_f64 v[7:8], v[7:8], -v[97:98]
	ds_read2_b64 v[97:100], v125 offset0:82 offset1:83
	;; [unrolled: 8-line block ×3, first 2 shown]
	s_waitcnt lgkmcnt(0)
	v_mul_f64 v[15:16], v[99:100], v[101:102]
	v_fma_f64 v[15:16], v[97:98], v[13:14], -v[15:16]
	v_mul_f64 v[97:98], v[97:98], v[101:102]
	v_add_f64 v[121:122], v[121:122], -v[15:16]
	v_fma_f64 v[97:98], v[99:100], v[13:14], v[97:98]
	v_mov_b32_e32 v15, v101
	v_mov_b32_e32 v16, v102
	v_add_f64 v[123:124], v[123:124], -v[97:98]
.LBB85_352:
	s_or_b64 exec, exec, s[2:3]
	v_cmp_eq_u32_e32 vcc, 39, v0
	s_waitcnt vmcnt(0)
	s_barrier
	s_and_saveexec_b64 s[4:5], vcc
	s_cbranch_execz .LBB85_359
; %bb.353:
	ds_write2_b64 v127, v[9:10], v[11:12] offset1:1
	ds_write2_b64 v125, v[5:6], v[7:8] offset0:80 offset1:81
	ds_write2_b64 v125, v[1:2], v[3:4] offset0:82 offset1:83
	;; [unrolled: 1-line block ×3, first 2 shown]
	ds_read2_b64 v[97:100], v127 offset1:1
	s_waitcnt lgkmcnt(0)
	v_cmp_neq_f64_e32 vcc, 0, v[97:98]
	v_cmp_neq_f64_e64 s[2:3], 0, v[99:100]
	s_or_b64 s[2:3], vcc, s[2:3]
	s_and_b64 exec, exec, s[2:3]
	s_cbranch_execz .LBB85_359
; %bb.354:
	v_cmp_ngt_f64_e64 s[2:3], |v[97:98]|, |v[99:100]|
                                        ; implicit-def: $vgpr101_vgpr102
	s_and_saveexec_b64 s[6:7], s[2:3]
	s_xor_b64 s[2:3], exec, s[6:7]
                                        ; implicit-def: $vgpr103_vgpr104
	s_cbranch_execz .LBB85_356
; %bb.355:
	v_div_scale_f64 v[101:102], s[6:7], v[99:100], v[99:100], v[97:98]
	v_rcp_f64_e32 v[103:104], v[101:102]
	v_fma_f64 v[105:106], -v[101:102], v[103:104], 1.0
	v_fma_f64 v[103:104], v[103:104], v[105:106], v[103:104]
	v_div_scale_f64 v[105:106], vcc, v[97:98], v[99:100], v[97:98]
	v_fma_f64 v[107:108], -v[101:102], v[103:104], 1.0
	v_fma_f64 v[103:104], v[103:104], v[107:108], v[103:104]
	v_mul_f64 v[107:108], v[105:106], v[103:104]
	v_fma_f64 v[101:102], -v[101:102], v[107:108], v[105:106]
	v_div_fmas_f64 v[101:102], v[101:102], v[103:104], v[107:108]
	v_div_fixup_f64 v[101:102], v[101:102], v[99:100], v[97:98]
	v_fma_f64 v[97:98], v[97:98], v[101:102], v[99:100]
	v_div_scale_f64 v[99:100], s[6:7], v[97:98], v[97:98], 1.0
	v_div_scale_f64 v[107:108], vcc, 1.0, v[97:98], 1.0
	v_rcp_f64_e32 v[103:104], v[99:100]
	v_fma_f64 v[105:106], -v[99:100], v[103:104], 1.0
	v_fma_f64 v[103:104], v[103:104], v[105:106], v[103:104]
	v_fma_f64 v[105:106], -v[99:100], v[103:104], 1.0
	v_fma_f64 v[103:104], v[103:104], v[105:106], v[103:104]
	v_mul_f64 v[105:106], v[107:108], v[103:104]
	v_fma_f64 v[99:100], -v[99:100], v[105:106], v[107:108]
	v_div_fmas_f64 v[99:100], v[99:100], v[103:104], v[105:106]
	v_div_fixup_f64 v[103:104], v[99:100], v[97:98], 1.0
                                        ; implicit-def: $vgpr97_vgpr98
	v_mul_f64 v[101:102], v[101:102], v[103:104]
	v_xor_b32_e32 v104, 0x80000000, v104
.LBB85_356:
	s_andn2_saveexec_b64 s[2:3], s[2:3]
	s_cbranch_execz .LBB85_358
; %bb.357:
	v_div_scale_f64 v[101:102], s[6:7], v[97:98], v[97:98], v[99:100]
	v_rcp_f64_e32 v[103:104], v[101:102]
	v_fma_f64 v[105:106], -v[101:102], v[103:104], 1.0
	v_fma_f64 v[103:104], v[103:104], v[105:106], v[103:104]
	v_div_scale_f64 v[105:106], vcc, v[99:100], v[97:98], v[99:100]
	v_fma_f64 v[107:108], -v[101:102], v[103:104], 1.0
	v_fma_f64 v[103:104], v[103:104], v[107:108], v[103:104]
	v_mul_f64 v[107:108], v[105:106], v[103:104]
	v_fma_f64 v[101:102], -v[101:102], v[107:108], v[105:106]
	v_div_fmas_f64 v[101:102], v[101:102], v[103:104], v[107:108]
	v_div_fixup_f64 v[103:104], v[101:102], v[97:98], v[99:100]
	v_fma_f64 v[97:98], v[99:100], v[103:104], v[97:98]
	v_div_scale_f64 v[99:100], s[6:7], v[97:98], v[97:98], 1.0
	v_div_scale_f64 v[107:108], vcc, 1.0, v[97:98], 1.0
	v_rcp_f64_e32 v[101:102], v[99:100]
	v_fma_f64 v[105:106], -v[99:100], v[101:102], 1.0
	v_fma_f64 v[101:102], v[101:102], v[105:106], v[101:102]
	v_fma_f64 v[105:106], -v[99:100], v[101:102], 1.0
	v_fma_f64 v[101:102], v[101:102], v[105:106], v[101:102]
	v_mul_f64 v[105:106], v[107:108], v[101:102]
	v_fma_f64 v[99:100], -v[99:100], v[105:106], v[107:108]
	v_div_fmas_f64 v[99:100], v[99:100], v[101:102], v[105:106]
	v_div_fixup_f64 v[101:102], v[99:100], v[97:98], 1.0
	v_mul_f64 v[103:104], v[103:104], -v[101:102]
.LBB85_358:
	s_or_b64 exec, exec, s[2:3]
	ds_write2_b64 v127, v[101:102], v[103:104] offset1:1
.LBB85_359:
	s_or_b64 exec, exec, s[4:5]
	s_waitcnt lgkmcnt(0)
	s_barrier
	ds_read2_b64 v[97:100], v127 offset1:1
	v_cmp_lt_u32_e32 vcc, 39, v0
	s_waitcnt lgkmcnt(0)
	buffer_store_dword v97, off, s[20:23], 0 offset:1248 ; 4-byte Folded Spill
	s_nop 0
	buffer_store_dword v98, off, s[20:23], 0 offset:1252 ; 4-byte Folded Spill
	buffer_store_dword v99, off, s[20:23], 0 offset:1256 ; 4-byte Folded Spill
	;; [unrolled: 1-line block ×3, first 2 shown]
	s_and_saveexec_b64 s[2:3], vcc
	s_cbranch_execz .LBB85_361
; %bb.360:
	buffer_load_dword v103, off, s[20:23], 0 offset:1248 ; 4-byte Folded Reload
	buffer_load_dword v104, off, s[20:23], 0 offset:1252 ; 4-byte Folded Reload
	;; [unrolled: 1-line block ×4, first 2 shown]
	s_waitcnt vmcnt(2)
	v_mul_f64 v[97:98], v[103:104], v[11:12]
	s_waitcnt vmcnt(0)
	v_mul_f64 v[11:12], v[105:106], v[11:12]
	v_fma_f64 v[101:102], v[105:106], v[9:10], v[97:98]
	ds_read2_b64 v[97:100], v125 offset0:80 offset1:81
	v_fma_f64 v[9:10], v[103:104], v[9:10], -v[11:12]
	s_waitcnt lgkmcnt(0)
	v_mul_f64 v[11:12], v[99:100], v[101:102]
	v_fma_f64 v[11:12], v[97:98], v[9:10], -v[11:12]
	v_mul_f64 v[97:98], v[97:98], v[101:102]
	v_add_f64 v[5:6], v[5:6], -v[11:12]
	v_fma_f64 v[97:98], v[99:100], v[9:10], v[97:98]
	v_add_f64 v[7:8], v[7:8], -v[97:98]
	ds_read2_b64 v[97:100], v125 offset0:82 offset1:83
	s_waitcnt lgkmcnt(0)
	v_mul_f64 v[11:12], v[99:100], v[101:102]
	v_fma_f64 v[11:12], v[97:98], v[9:10], -v[11:12]
	v_mul_f64 v[97:98], v[97:98], v[101:102]
	v_add_f64 v[1:2], v[1:2], -v[11:12]
	v_fma_f64 v[97:98], v[99:100], v[9:10], v[97:98]
	v_add_f64 v[3:4], v[3:4], -v[97:98]
	ds_read2_b64 v[97:100], v125 offset0:84 offset1:85
	s_waitcnt lgkmcnt(0)
	v_mul_f64 v[11:12], v[99:100], v[101:102]
	v_fma_f64 v[11:12], v[97:98], v[9:10], -v[11:12]
	v_mul_f64 v[97:98], v[97:98], v[101:102]
	v_add_f64 v[121:122], v[121:122], -v[11:12]
	v_fma_f64 v[97:98], v[99:100], v[9:10], v[97:98]
	v_mov_b32_e32 v11, v101
	v_mov_b32_e32 v12, v102
	v_add_f64 v[123:124], v[123:124], -v[97:98]
.LBB85_361:
	s_or_b64 exec, exec, s[2:3]
	v_cmp_eq_u32_e32 vcc, 40, v0
	s_waitcnt vmcnt(0)
	s_barrier
	s_and_saveexec_b64 s[4:5], vcc
	s_cbranch_execz .LBB85_368
; %bb.362:
	ds_write2_b64 v127, v[5:6], v[7:8] offset1:1
	ds_write2_b64 v125, v[1:2], v[3:4] offset0:82 offset1:83
	ds_write2_b64 v125, v[121:122], v[123:124] offset0:84 offset1:85
	ds_read2_b64 v[97:100], v127 offset1:1
	s_waitcnt lgkmcnt(0)
	v_cmp_neq_f64_e32 vcc, 0, v[97:98]
	v_cmp_neq_f64_e64 s[2:3], 0, v[99:100]
	s_or_b64 s[2:3], vcc, s[2:3]
	s_and_b64 exec, exec, s[2:3]
	s_cbranch_execz .LBB85_368
; %bb.363:
	v_cmp_ngt_f64_e64 s[2:3], |v[97:98]|, |v[99:100]|
                                        ; implicit-def: $vgpr101_vgpr102
	s_and_saveexec_b64 s[6:7], s[2:3]
	s_xor_b64 s[2:3], exec, s[6:7]
                                        ; implicit-def: $vgpr103_vgpr104
	s_cbranch_execz .LBB85_365
; %bb.364:
	v_div_scale_f64 v[101:102], s[6:7], v[99:100], v[99:100], v[97:98]
	v_rcp_f64_e32 v[103:104], v[101:102]
	v_fma_f64 v[105:106], -v[101:102], v[103:104], 1.0
	v_fma_f64 v[103:104], v[103:104], v[105:106], v[103:104]
	v_div_scale_f64 v[105:106], vcc, v[97:98], v[99:100], v[97:98]
	v_fma_f64 v[107:108], -v[101:102], v[103:104], 1.0
	v_fma_f64 v[103:104], v[103:104], v[107:108], v[103:104]
	v_mul_f64 v[107:108], v[105:106], v[103:104]
	v_fma_f64 v[101:102], -v[101:102], v[107:108], v[105:106]
	v_div_fmas_f64 v[101:102], v[101:102], v[103:104], v[107:108]
	v_div_fixup_f64 v[101:102], v[101:102], v[99:100], v[97:98]
	v_fma_f64 v[97:98], v[97:98], v[101:102], v[99:100]
	v_div_scale_f64 v[99:100], s[6:7], v[97:98], v[97:98], 1.0
	v_div_scale_f64 v[107:108], vcc, 1.0, v[97:98], 1.0
	v_rcp_f64_e32 v[103:104], v[99:100]
	v_fma_f64 v[105:106], -v[99:100], v[103:104], 1.0
	v_fma_f64 v[103:104], v[103:104], v[105:106], v[103:104]
	v_fma_f64 v[105:106], -v[99:100], v[103:104], 1.0
	v_fma_f64 v[103:104], v[103:104], v[105:106], v[103:104]
	v_mul_f64 v[105:106], v[107:108], v[103:104]
	v_fma_f64 v[99:100], -v[99:100], v[105:106], v[107:108]
	v_div_fmas_f64 v[99:100], v[99:100], v[103:104], v[105:106]
	v_div_fixup_f64 v[103:104], v[99:100], v[97:98], 1.0
                                        ; implicit-def: $vgpr97_vgpr98
	v_mul_f64 v[101:102], v[101:102], v[103:104]
	v_xor_b32_e32 v104, 0x80000000, v104
.LBB85_365:
	s_andn2_saveexec_b64 s[2:3], s[2:3]
	s_cbranch_execz .LBB85_367
; %bb.366:
	v_div_scale_f64 v[101:102], s[6:7], v[97:98], v[97:98], v[99:100]
	v_rcp_f64_e32 v[103:104], v[101:102]
	v_fma_f64 v[105:106], -v[101:102], v[103:104], 1.0
	v_fma_f64 v[103:104], v[103:104], v[105:106], v[103:104]
	v_div_scale_f64 v[105:106], vcc, v[99:100], v[97:98], v[99:100]
	v_fma_f64 v[107:108], -v[101:102], v[103:104], 1.0
	v_fma_f64 v[103:104], v[103:104], v[107:108], v[103:104]
	v_mul_f64 v[107:108], v[105:106], v[103:104]
	v_fma_f64 v[101:102], -v[101:102], v[107:108], v[105:106]
	v_div_fmas_f64 v[101:102], v[101:102], v[103:104], v[107:108]
	v_div_fixup_f64 v[103:104], v[101:102], v[97:98], v[99:100]
	v_fma_f64 v[97:98], v[99:100], v[103:104], v[97:98]
	v_div_scale_f64 v[99:100], s[6:7], v[97:98], v[97:98], 1.0
	v_div_scale_f64 v[107:108], vcc, 1.0, v[97:98], 1.0
	v_rcp_f64_e32 v[101:102], v[99:100]
	v_fma_f64 v[105:106], -v[99:100], v[101:102], 1.0
	v_fma_f64 v[101:102], v[101:102], v[105:106], v[101:102]
	v_fma_f64 v[105:106], -v[99:100], v[101:102], 1.0
	v_fma_f64 v[101:102], v[101:102], v[105:106], v[101:102]
	v_mul_f64 v[105:106], v[107:108], v[101:102]
	v_fma_f64 v[99:100], -v[99:100], v[105:106], v[107:108]
	v_div_fmas_f64 v[99:100], v[99:100], v[101:102], v[105:106]
	v_div_fixup_f64 v[101:102], v[99:100], v[97:98], 1.0
	v_mul_f64 v[103:104], v[103:104], -v[101:102]
.LBB85_367:
	s_or_b64 exec, exec, s[2:3]
	ds_write2_b64 v127, v[101:102], v[103:104] offset1:1
.LBB85_368:
	s_or_b64 exec, exec, s[4:5]
	s_waitcnt lgkmcnt(0)
	s_barrier
	ds_read2_b64 v[101:104], v127 offset1:1
	v_cmp_lt_u32_e32 vcc, 40, v0
	s_and_saveexec_b64 s[2:3], vcc
	s_cbranch_execz .LBB85_370
; %bb.369:
	s_waitcnt lgkmcnt(0)
	v_mul_f64 v[97:98], v[101:102], v[7:8]
	v_mul_f64 v[7:8], v[103:104], v[7:8]
	v_fma_f64 v[105:106], v[103:104], v[5:6], v[97:98]
	ds_read2_b64 v[97:100], v125 offset0:82 offset1:83
	v_fma_f64 v[5:6], v[101:102], v[5:6], -v[7:8]
	s_waitcnt lgkmcnt(0)
	v_mul_f64 v[7:8], v[99:100], v[105:106]
	v_fma_f64 v[7:8], v[97:98], v[5:6], -v[7:8]
	v_mul_f64 v[97:98], v[97:98], v[105:106]
	v_add_f64 v[1:2], v[1:2], -v[7:8]
	v_fma_f64 v[97:98], v[99:100], v[5:6], v[97:98]
	v_add_f64 v[3:4], v[3:4], -v[97:98]
	ds_read2_b64 v[97:100], v125 offset0:84 offset1:85
	s_waitcnt lgkmcnt(0)
	v_mul_f64 v[7:8], v[99:100], v[105:106]
	v_fma_f64 v[7:8], v[97:98], v[5:6], -v[7:8]
	v_mul_f64 v[97:98], v[97:98], v[105:106]
	v_add_f64 v[121:122], v[121:122], -v[7:8]
	v_fma_f64 v[97:98], v[99:100], v[5:6], v[97:98]
	v_mov_b32_e32 v7, v105
	v_mov_b32_e32 v8, v106
	v_add_f64 v[123:124], v[123:124], -v[97:98]
.LBB85_370:
	s_or_b64 exec, exec, s[2:3]
	v_cmp_eq_u32_e32 vcc, 41, v0
	s_waitcnt lgkmcnt(0)
	s_barrier
	s_and_saveexec_b64 s[4:5], vcc
	s_cbranch_execz .LBB85_377
; %bb.371:
	ds_write2_b64 v127, v[1:2], v[3:4] offset1:1
	ds_write2_b64 v125, v[121:122], v[123:124] offset0:84 offset1:85
	ds_read2_b64 v[97:100], v127 offset1:1
	s_waitcnt lgkmcnt(0)
	v_cmp_neq_f64_e32 vcc, 0, v[97:98]
	v_cmp_neq_f64_e64 s[2:3], 0, v[99:100]
	s_or_b64 s[2:3], vcc, s[2:3]
	s_and_b64 exec, exec, s[2:3]
	s_cbranch_execz .LBB85_377
; %bb.372:
	v_cmp_ngt_f64_e64 s[2:3], |v[97:98]|, |v[99:100]|
                                        ; implicit-def: $vgpr105_vgpr106
	s_and_saveexec_b64 s[6:7], s[2:3]
	s_xor_b64 s[2:3], exec, s[6:7]
                                        ; implicit-def: $vgpr107_vgpr108
	s_cbranch_execz .LBB85_374
; %bb.373:
	v_div_scale_f64 v[105:106], s[6:7], v[99:100], v[99:100], v[97:98]
	v_mov_b32_e32 v77, v93
	v_mov_b32_e32 v78, v94
	;; [unrolled: 1-line block ×4, first 2 shown]
	v_div_scale_f64 v[95:96], vcc, v[97:98], v[99:100], v[97:98]
	v_rcp_f64_e32 v[107:108], v[105:106]
	v_fma_f64 v[93:94], -v[105:106], v[107:108], 1.0
	v_fma_f64 v[93:94], v[107:108], v[93:94], v[107:108]
	v_fma_f64 v[107:108], -v[105:106], v[93:94], 1.0
	v_fma_f64 v[93:94], v[93:94], v[107:108], v[93:94]
	v_mul_f64 v[107:108], v[95:96], v[93:94]
	v_fma_f64 v[95:96], -v[105:106], v[107:108], v[95:96]
	v_div_fmas_f64 v[93:94], v[95:96], v[93:94], v[107:108]
	v_div_fixup_f64 v[93:94], v[93:94], v[99:100], v[97:98]
	v_fma_f64 v[95:96], v[97:98], v[93:94], v[99:100]
	v_div_scale_f64 v[97:98], s[6:7], v[95:96], v[95:96], 1.0
	v_div_scale_f64 v[107:108], vcc, 1.0, v[95:96], 1.0
	v_rcp_f64_e32 v[99:100], v[97:98]
	v_fma_f64 v[105:106], -v[97:98], v[99:100], 1.0
	v_fma_f64 v[99:100], v[99:100], v[105:106], v[99:100]
	v_fma_f64 v[105:106], -v[97:98], v[99:100], 1.0
	v_fma_f64 v[99:100], v[99:100], v[105:106], v[99:100]
	v_mul_f64 v[105:106], v[107:108], v[99:100]
	v_fma_f64 v[97:98], -v[97:98], v[105:106], v[107:108]
	v_div_fmas_f64 v[97:98], v[97:98], v[99:100], v[105:106]
	v_div_fixup_f64 v[107:108], v[97:98], v[95:96], 1.0
                                        ; implicit-def: $vgpr97_vgpr98
	v_mul_f64 v[105:106], v[93:94], v[107:108]
	v_mov_b32_e32 v96, v80
	v_mov_b32_e32 v95, v79
	;; [unrolled: 1-line block ×4, first 2 shown]
	buffer_load_dword v77, off, s[20:23], 0 offset:336 ; 4-byte Folded Reload
	buffer_load_dword v78, off, s[20:23], 0 offset:340 ; 4-byte Folded Reload
	;; [unrolled: 1-line block ×4, first 2 shown]
	v_xor_b32_e32 v108, 0x80000000, v108
.LBB85_374:
	s_andn2_saveexec_b64 s[2:3], s[2:3]
	s_cbranch_execz .LBB85_376
; %bb.375:
	s_waitcnt vmcnt(0)
	v_mov_b32_e32 v77, v117
	v_mov_b32_e32 v78, v118
	;; [unrolled: 1-line block ×8, first 2 shown]
	v_div_scale_f64 v[93:94], s[6:7], v[97:98], v[97:98], v[99:100]
	v_rcp_f64_e32 v[95:96], v[93:94]
	v_fma_f64 v[105:106], -v[93:94], v[95:96], 1.0
	v_fma_f64 v[95:96], v[95:96], v[105:106], v[95:96]
	v_div_scale_f64 v[105:106], vcc, v[99:100], v[97:98], v[99:100]
	v_fma_f64 v[107:108], -v[93:94], v[95:96], 1.0
	v_fma_f64 v[95:96], v[95:96], v[107:108], v[95:96]
	v_mul_f64 v[107:108], v[105:106], v[95:96]
	v_fma_f64 v[93:94], -v[93:94], v[107:108], v[105:106]
	v_div_fmas_f64 v[93:94], v[93:94], v[95:96], v[107:108]
	v_div_fixup_f64 v[93:94], v[93:94], v[97:98], v[99:100]
	v_fma_f64 v[95:96], v[99:100], v[93:94], v[97:98]
	v_div_scale_f64 v[97:98], s[6:7], v[95:96], v[95:96], 1.0
	v_div_scale_f64 v[107:108], vcc, 1.0, v[95:96], 1.0
	v_rcp_f64_e32 v[99:100], v[97:98]
	v_fma_f64 v[105:106], -v[97:98], v[99:100], 1.0
	v_fma_f64 v[99:100], v[99:100], v[105:106], v[99:100]
	v_fma_f64 v[105:106], -v[97:98], v[99:100], 1.0
	v_fma_f64 v[99:100], v[99:100], v[105:106], v[99:100]
	v_mul_f64 v[105:106], v[107:108], v[99:100]
	v_fma_f64 v[97:98], -v[97:98], v[105:106], v[107:108]
	v_div_fmas_f64 v[97:98], v[97:98], v[99:100], v[105:106]
	v_div_fixup_f64 v[105:106], v[97:98], v[95:96], 1.0
	v_mul_f64 v[107:108], v[93:94], -v[105:106]
	v_mov_b32_e32 v93, v117
	v_mov_b32_e32 v94, v118
	;; [unrolled: 1-line block ×8, first 2 shown]
	buffer_load_dword v77, off, s[20:23], 0 offset:336 ; 4-byte Folded Reload
	buffer_load_dword v78, off, s[20:23], 0 offset:340 ; 4-byte Folded Reload
	;; [unrolled: 1-line block ×4, first 2 shown]
.LBB85_376:
	s_or_b64 exec, exec, s[2:3]
	ds_write2_b64 v127, v[105:106], v[107:108] offset1:1
.LBB85_377:
	s_or_b64 exec, exec, s[4:5]
	s_waitcnt vmcnt(0) lgkmcnt(0)
	s_barrier
	ds_read2_b64 v[97:100], v127 offset1:1
	v_cmp_lt_u32_e32 vcc, 41, v0
	s_and_saveexec_b64 s[2:3], vcc
	s_cbranch_execz .LBB85_379
; %bb.378:
	v_mov_b32_e32 v77, v117
	v_mov_b32_e32 v78, v118
	;; [unrolled: 1-line block ×8, first 2 shown]
	s_waitcnt lgkmcnt(0)
	v_mul_f64 v[93:94], v[97:98], v[3:4]
	v_mul_f64 v[3:4], v[99:100], v[3:4]
	ds_read2_b64 v[105:108], v125 offset0:84 offset1:85
	v_fma_f64 v[93:94], v[99:100], v[1:2], v[93:94]
	v_fma_f64 v[1:2], v[97:98], v[1:2], -v[3:4]
	s_waitcnt lgkmcnt(0)
	v_mul_f64 v[3:4], v[107:108], v[93:94]
	v_mul_f64 v[95:96], v[105:106], v[93:94]
	v_fma_f64 v[3:4], v[105:106], v[1:2], -v[3:4]
	v_fma_f64 v[95:96], v[107:108], v[1:2], v[95:96]
	v_add_f64 v[121:122], v[121:122], -v[3:4]
	v_mov_b32_e32 v3, v93
	v_add_f64 v[123:124], v[123:124], -v[95:96]
	v_mov_b32_e32 v4, v94
	v_mov_b32_e32 v93, v117
	;; [unrolled: 1-line block ×9, first 2 shown]
	buffer_load_dword v77, off, s[20:23], 0 offset:336 ; 4-byte Folded Reload
	buffer_load_dword v78, off, s[20:23], 0 offset:340 ; 4-byte Folded Reload
	;; [unrolled: 1-line block ×4, first 2 shown]
.LBB85_379:
	s_or_b64 exec, exec, s[2:3]
	v_cmp_eq_u32_e32 vcc, 42, v0
	s_waitcnt vmcnt(0) lgkmcnt(0)
	s_barrier
	s_and_saveexec_b64 s[4:5], vcc
	s_cbranch_execz .LBB85_386
; %bb.380:
	v_cmp_neq_f64_e32 vcc, 0, v[121:122]
	v_cmp_neq_f64_e64 s[2:3], 0, v[123:124]
	ds_write2_b64 v127, v[121:122], v[123:124] offset1:1
	s_or_b64 s[2:3], vcc, s[2:3]
	s_and_b64 exec, exec, s[2:3]
	s_cbranch_execz .LBB85_386
; %bb.381:
	v_cmp_ngt_f64_e64 s[2:3], |v[121:122]|, |v[123:124]|
                                        ; implicit-def: $vgpr105_vgpr106
	s_and_saveexec_b64 s[6:7], s[2:3]
	s_xor_b64 s[2:3], exec, s[6:7]
                                        ; implicit-def: $vgpr107_vgpr108
	s_cbranch_execz .LBB85_383
; %bb.382:
	v_mov_b32_e32 v77, v93
	v_mov_b32_e32 v78, v94
	;; [unrolled: 1-line block ×4, first 2 shown]
	v_div_scale_f64 v[93:94], s[6:7], v[123:124], v[123:124], v[121:122]
	buffer_store_dword v97, off, s[20:23], 0 offset:1272 ; 4-byte Folded Spill
	s_nop 0
	buffer_store_dword v98, off, s[20:23], 0 offset:1276 ; 4-byte Folded Spill
	buffer_store_dword v99, off, s[20:23], 0 offset:1280 ; 4-byte Folded Spill
	;; [unrolled: 1-line block ×3, first 2 shown]
	v_mov_b32_e32 v97, v101
	v_mov_b32_e32 v98, v102
	;; [unrolled: 1-line block ×8, first 2 shown]
	v_rcp_f64_e32 v[95:96], v[93:94]
	v_fma_f64 v[105:106], -v[93:94], v[95:96], 1.0
	v_fma_f64 v[95:96], v[95:96], v[105:106], v[95:96]
	v_div_scale_f64 v[105:106], vcc, v[121:122], v[123:124], v[121:122]
	v_fma_f64 v[107:108], -v[93:94], v[95:96], 1.0
	v_fma_f64 v[95:96], v[95:96], v[107:108], v[95:96]
	v_mul_f64 v[107:108], v[105:106], v[95:96]
	v_fma_f64 v[93:94], -v[93:94], v[107:108], v[105:106]
	v_div_fmas_f64 v[93:94], v[93:94], v[95:96], v[107:108]
	v_div_fixup_f64 v[93:94], v[93:94], v[123:124], v[121:122]
	v_fma_f64 v[95:96], v[121:122], v[93:94], v[123:124]
	v_mov_b32_e32 v124, v72
	v_mov_b32_e32 v123, v71
	;; [unrolled: 1-line block ×7, first 2 shown]
	v_div_scale_f64 v[105:106], s[6:7], v[95:96], v[95:96], 1.0
	v_mov_b32_e32 v72, v76
	v_mov_b32_e32 v73, v109
	;; [unrolled: 1-line block ×14, first 2 shown]
	v_rcp_f64_e32 v[107:108], v[105:106]
	v_mov_b32_e32 v6, v10
	v_mov_b32_e32 v7, v11
	;; [unrolled: 1-line block ×15, first 2 shown]
	v_fma_f64 v[125:126], -v[105:106], v[107:108], 1.0
	v_mov_b32_e32 v21, v25
	v_mov_b32_e32 v22, v26
	;; [unrolled: 1-line block ×7, first 2 shown]
	v_fma_f64 v[107:108], v[107:108], v[125:126], v[107:108]
	v_mov_b32_e32 v28, v32
	v_mov_b32_e32 v29, v33
	;; [unrolled: 1-line block ×22, first 2 shown]
	v_fma_f64 v[125:126], -v[105:106], v[107:108], 1.0
	v_div_scale_f64 v[89:90], vcc, 1.0, v[95:96], 1.0
	v_mov_b32_e32 v115, v43
	v_mov_b32_e32 v114, v42
	;; [unrolled: 1-line block ×33, first 2 shown]
	v_fma_f64 v[91:92], v[107:108], v[125:126], v[107:108]
	v_mul_f64 v[107:108], v[89:90], v[91:92]
	v_fma_f64 v[89:90], -v[105:106], v[107:108], v[89:90]
	v_div_fmas_f64 v[89:90], v[89:90], v[91:92], v[107:108]
	v_mov_b32_e32 v92, v86
	v_mov_b32_e32 v91, v85
	v_mov_b32_e32 v88, v68
	v_mov_b32_e32 v87, v67
	v_mov_b32_e32 v86, v66
	v_mov_b32_e32 v85, v65
	v_mov_b32_e32 v68, v64
	v_mov_b32_e32 v67, v63
	v_mov_b32_e32 v66, v62
	v_mov_b32_e32 v65, v61
	v_mov_b32_e32 v64, v60
	v_mov_b32_e32 v63, v59
	v_mov_b32_e32 v62, v58
	v_mov_b32_e32 v61, v57
	v_mov_b32_e32 v60, v56
	v_mov_b32_e32 v59, v55
	v_mov_b32_e32 v58, v54
	v_mov_b32_e32 v57, v53
	v_mov_b32_e32 v56, v52
	v_mov_b32_e32 v55, v51
	v_mov_b32_e32 v54, v50
	v_mov_b32_e32 v53, v49
	v_mov_b32_e32 v52, v48
	v_mov_b32_e32 v51, v47
	v_mov_b32_e32 v50, v46
	v_mov_b32_e32 v49, v45
	v_mov_b32_e32 v48, v44
	v_mov_b32_e32 v47, v43
	v_mov_b32_e32 v46, v42
	v_mov_b32_e32 v45, v41
	v_mov_b32_e32 v41, v113
	v_mov_b32_e32 v42, v114
	v_mov_b32_e32 v43, v115
	v_mov_b32_e32 v44, v116
	v_mov_b32_e32 v116, v40
	v_mov_b32_e32 v115, v39
	v_mov_b32_e32 v114, v38
	v_mov_b32_e32 v113, v37
	v_mov_b32_e32 v37, v117
	v_mov_b32_e32 v38, v118
	v_mov_b32_e32 v39, v119
	v_mov_b32_e32 v40, v120
	v_mov_b32_e32 v120, v84
	v_mov_b32_e32 v119, v83
	v_mov_b32_e32 v118, v82
	v_mov_b32_e32 v117, v81
	v_mov_b32_e32 v84, v36
	v_mov_b32_e32 v83, v35
	v_mov_b32_e32 v82, v34
	v_mov_b32_e32 v81, v33
	v_mov_b32_e32 v36, v32
	v_mov_b32_e32 v35, v31
	v_mov_b32_e32 v34, v30
	v_mov_b32_e32 v33, v29
	v_mov_b32_e32 v32, v28
	v_mov_b32_e32 v31, v27
	v_mov_b32_e32 v30, v26
	v_mov_b32_e32 v29, v25
	v_mov_b32_e32 v28, v24
	v_mov_b32_e32 v27, v23
	v_mov_b32_e32 v26, v22
	v_mov_b32_e32 v25, v21
	v_mov_b32_e32 v24, v20
	v_mov_b32_e32 v23, v19
	v_mov_b32_e32 v22, v18
	v_mov_b32_e32 v21, v17
	v_mov_b32_e32 v20, v16
	v_mov_b32_e32 v19, v15
	v_mov_b32_e32 v18, v14
	v_mov_b32_e32 v17, v13
	v_mov_b32_e32 v16, v12
	v_div_fixup_f64 v[107:108], v[89:90], v[95:96], 1.0
	v_mov_b32_e32 v15, v11
	v_mov_b32_e32 v14, v10
	;; [unrolled: 1-line block ×32, first 2 shown]
	v_mul_f64 v[105:106], v[93:94], v[107:108]
	v_mov_b32_e32 v96, v80
	v_mov_b32_e32 v103, v99
	;; [unrolled: 1-line block ×4, first 2 shown]
	buffer_load_dword v97, off, s[20:23], 0 offset:1272 ; 4-byte Folded Reload
	buffer_load_dword v98, off, s[20:23], 0 offset:1276 ; 4-byte Folded Reload
	;; [unrolled: 1-line block ×4, first 2 shown]
	v_mov_b32_e32 v95, v79
	v_mov_b32_e32 v94, v78
	v_mov_b32_e32 v93, v77
	buffer_load_dword v77, off, s[20:23], 0 offset:336 ; 4-byte Folded Reload
	buffer_load_dword v78, off, s[20:23], 0 offset:340 ; 4-byte Folded Reload
	buffer_load_dword v79, off, s[20:23], 0 offset:344 ; 4-byte Folded Reload
	buffer_load_dword v80, off, s[20:23], 0 offset:348 ; 4-byte Folded Reload
	v_xor_b32_e32 v108, 0x80000000, v108
.LBB85_383:
	s_andn2_saveexec_b64 s[2:3], s[2:3]
	s_cbranch_execz .LBB85_385
; %bb.384:
	v_div_scale_f64 v[89:90], s[6:7], v[121:122], v[121:122], v[123:124]
	v_mov_b32_e32 v126, v92
	v_mov_b32_e32 v125, v91
	s_waitcnt vmcnt(0)
	v_mov_b32_e32 v77, v93
	v_mov_b32_e32 v78, v94
	;; [unrolled: 1-line block ×4, first 2 shown]
	v_rcp_f64_e32 v[91:92], v[89:90]
	v_fma_f64 v[93:94], -v[89:90], v[91:92], 1.0
	v_fma_f64 v[91:92], v[91:92], v[93:94], v[91:92]
	v_div_scale_f64 v[93:94], vcc, v[123:124], v[121:122], v[123:124]
	v_fma_f64 v[95:96], -v[89:90], v[91:92], 1.0
	v_fma_f64 v[91:92], v[91:92], v[95:96], v[91:92]
	v_mul_f64 v[95:96], v[93:94], v[91:92]
	v_fma_f64 v[89:90], -v[89:90], v[95:96], v[93:94]
	v_div_fmas_f64 v[89:90], v[89:90], v[91:92], v[95:96]
	v_div_fixup_f64 v[89:90], v[89:90], v[121:122], v[123:124]
	v_fma_f64 v[91:92], v[123:124], v[89:90], v[121:122]
	v_div_scale_f64 v[93:94], s[6:7], v[91:92], v[91:92], 1.0
	v_div_scale_f64 v[107:108], vcc, 1.0, v[91:92], 1.0
	v_rcp_f64_e32 v[95:96], v[93:94]
	v_fma_f64 v[105:106], -v[93:94], v[95:96], 1.0
	v_fma_f64 v[95:96], v[95:96], v[105:106], v[95:96]
	v_fma_f64 v[105:106], -v[93:94], v[95:96], 1.0
	v_fma_f64 v[95:96], v[95:96], v[105:106], v[95:96]
	v_mul_f64 v[105:106], v[107:108], v[95:96]
	v_fma_f64 v[93:94], -v[93:94], v[105:106], v[107:108]
	v_div_fmas_f64 v[93:94], v[93:94], v[95:96], v[105:106]
	v_div_fixup_f64 v[105:106], v[93:94], v[91:92], 1.0
	v_mov_b32_e32 v96, v80
	v_mov_b32_e32 v95, v79
	;; [unrolled: 1-line block ×4, first 2 shown]
	buffer_load_dword v77, off, s[20:23], 0 offset:336 ; 4-byte Folded Reload
	buffer_load_dword v78, off, s[20:23], 0 offset:340 ; 4-byte Folded Reload
	;; [unrolled: 1-line block ×4, first 2 shown]
	v_mov_b32_e32 v91, v125
	v_mov_b32_e32 v92, v126
	v_mul_f64 v[107:108], v[89:90], -v[105:106]
.LBB85_385:
	s_or_b64 exec, exec, s[2:3]
	ds_write2_b64 v127, v[105:106], v[107:108] offset1:1
.LBB85_386:
	s_or_b64 exec, exec, s[4:5]
	buffer_store_dword v37, off, s[20:23], 0 offset:672 ; 4-byte Folded Spill
	s_nop 0
	buffer_store_dword v38, off, s[20:23], 0 offset:676 ; 4-byte Folded Spill
	buffer_store_dword v39, off, s[20:23], 0 offset:680 ; 4-byte Folded Spill
	;; [unrolled: 1-line block ×3, first 2 shown]
	s_waitcnt vmcnt(0) lgkmcnt(0)
	s_barrier
	ds_read2_b64 v[105:108], v127 offset1:1
	s_waitcnt lgkmcnt(0)
	s_barrier
	s_and_saveexec_b64 s[2:3], s[0:1]
	s_cbranch_execz .LBB85_389
; %bb.387:
	buffer_load_dword v37, off, s[20:23], 0 offset:704 ; 4-byte Folded Reload
	buffer_load_dword v38, off, s[20:23], 0 offset:708 ; 4-byte Folded Reload
	;; [unrolled: 1-line block ×4, first 2 shown]
	s_waitcnt vmcnt(2)
	v_cmp_eq_f64_e32 vcc, 0, v[37:38]
	s_waitcnt vmcnt(0)
	v_cmp_eq_f64_e64 s[0:1], 0, v[39:40]
	buffer_load_dword v37, off, s[20:23], 0 offset:720 ; 4-byte Folded Reload
	buffer_load_dword v38, off, s[20:23], 0 offset:724 ; 4-byte Folded Reload
	buffer_load_dword v39, off, s[20:23], 0 offset:728 ; 4-byte Folded Reload
	buffer_load_dword v40, off, s[20:23], 0 offset:732 ; 4-byte Folded Reload
	s_and_b64 s[4:5], vcc, s[0:1]
	v_cndmask_b32_e64 v89, 0, 1, s[4:5]
	s_waitcnt vmcnt(2)
	v_cmp_neq_f64_e32 vcc, 0, v[37:38]
	s_waitcnt vmcnt(0)
	v_cmp_neq_f64_e64 s[0:1], 0, v[39:40]
	buffer_load_dword v37, off, s[20:23], 0 offset:736 ; 4-byte Folded Reload
	buffer_load_dword v38, off, s[20:23], 0 offset:740 ; 4-byte Folded Reload
	buffer_load_dword v39, off, s[20:23], 0 offset:744 ; 4-byte Folded Reload
	buffer_load_dword v40, off, s[20:23], 0 offset:748 ; 4-byte Folded Reload
	s_or_b64 s[0:1], vcc, s[0:1]
	s_or_b64 vcc, s[0:1], s[4:5]
	v_cndmask_b32_e32 v89, 2, v89, vcc
	s_waitcnt vmcnt(2)
	v_cmp_eq_f64_e32 vcc, 0, v[37:38]
	s_waitcnt vmcnt(0)
	v_cmp_eq_f64_e64 s[0:1], 0, v[39:40]
	buffer_load_dword v37, off, s[20:23], 0 offset:752 ; 4-byte Folded Reload
	buffer_load_dword v38, off, s[20:23], 0 offset:756 ; 4-byte Folded Reload
	buffer_load_dword v39, off, s[20:23], 0 offset:760 ; 4-byte Folded Reload
	buffer_load_dword v40, off, s[20:23], 0 offset:764 ; 4-byte Folded Reload
	s_and_b64 s[0:1], vcc, s[0:1]
	v_cmp_eq_u32_e32 vcc, 0, v89
	s_and_b64 s[0:1], s[0:1], vcc
	v_cndmask_b32_e64 v89, v89, 3, s[0:1]
	s_waitcnt vmcnt(2)
	v_cmp_eq_f64_e32 vcc, 0, v[37:38]
	s_waitcnt vmcnt(0)
	v_cmp_eq_f64_e64 s[0:1], 0, v[39:40]
	buffer_load_dword v37, off, s[20:23], 0 offset:768 ; 4-byte Folded Reload
	buffer_load_dword v38, off, s[20:23], 0 offset:772 ; 4-byte Folded Reload
	buffer_load_dword v39, off, s[20:23], 0 offset:776 ; 4-byte Folded Reload
	buffer_load_dword v40, off, s[20:23], 0 offset:780 ; 4-byte Folded Reload
	s_and_b64 s[0:1], vcc, s[0:1]
	v_cmp_eq_u32_e32 vcc, 0, v89
	s_and_b64 s[0:1], s[0:1], vcc
	v_cndmask_b32_e64 v89, v89, 4, s[0:1]
	;; [unrolled: 12-line block ×18, first 2 shown]
	v_cmp_eq_f64_e32 vcc, 0, v[81:82]
	v_cmp_eq_f64_e64 s[0:1], 0, v[83:84]
	s_and_b64 s[0:1], vcc, s[0:1]
	v_cmp_eq_u32_e32 vcc, 0, v89
	s_and_b64 s[0:1], s[0:1], vcc
	v_cndmask_b32_e64 v89, v89, 21, s[0:1]
	v_cmp_eq_f64_e32 vcc, 0, v[109:110]
	v_cmp_eq_f64_e64 s[0:1], 0, v[111:112]
	s_and_b64 s[0:1], vcc, s[0:1]
	v_cmp_eq_u32_e32 vcc, 0, v89
	s_and_b64 s[0:1], s[0:1], vcc
	v_cndmask_b32_e64 v89, v89, 22, s[0:1]
	s_waitcnt vmcnt(2)
	v_cmp_eq_f64_e32 vcc, 0, v[37:38]
	s_waitcnt vmcnt(0)
	v_cmp_eq_f64_e64 s[0:1], 0, v[39:40]
	buffer_load_dword v37, off, s[20:23], 0 offset:1040 ; 4-byte Folded Reload
	buffer_load_dword v38, off, s[20:23], 0 offset:1044 ; 4-byte Folded Reload
	buffer_load_dword v39, off, s[20:23], 0 offset:1048 ; 4-byte Folded Reload
	buffer_load_dword v40, off, s[20:23], 0 offset:1052 ; 4-byte Folded Reload
	s_and_b64 s[0:1], vcc, s[0:1]
	v_cmp_eq_u32_e32 vcc, 0, v89
	s_and_b64 s[0:1], s[0:1], vcc
	v_cndmask_b32_e64 v89, v89, 23, s[0:1]
	v_cmp_eq_f64_e32 vcc, 0, v[85:86]
	v_cmp_eq_f64_e64 s[0:1], 0, v[87:88]
	s_and_b64 s[0:1], vcc, s[0:1]
	v_cmp_eq_u32_e32 vcc, 0, v89
	s_and_b64 s[0:1], s[0:1], vcc
	v_cndmask_b32_e64 v89, v89, 24, s[0:1]
	v_cmp_eq_f64_e32 vcc, 0, v[73:74]
	v_cmp_eq_f64_e64 s[0:1], 0, v[75:76]
	;; [unrolled: 6-line block ×3, first 2 shown]
	s_and_b64 s[0:1], vcc, s[0:1]
	v_cmp_eq_u32_e32 vcc, 0, v89
	s_and_b64 s[0:1], s[0:1], vcc
	v_cndmask_b32_e64 v89, v89, 26, s[0:1]
	s_waitcnt vmcnt(2)
	v_cmp_eq_f64_e32 vcc, 0, v[37:38]
	s_waitcnt vmcnt(0)
	v_cmp_eq_f64_e64 s[0:1], 0, v[39:40]
	buffer_load_dword v37, off, s[20:23], 0 offset:1056 ; 4-byte Folded Reload
	buffer_load_dword v38, off, s[20:23], 0 offset:1060 ; 4-byte Folded Reload
	buffer_load_dword v39, off, s[20:23], 0 offset:1064 ; 4-byte Folded Reload
	buffer_load_dword v40, off, s[20:23], 0 offset:1068 ; 4-byte Folded Reload
	s_and_b64 s[0:1], vcc, s[0:1]
	v_cmp_eq_u32_e32 vcc, 0, v89
	s_and_b64 s[0:1], s[0:1], vcc
	v_cndmask_b32_e64 v89, v89, 27, s[0:1]
	s_waitcnt vmcnt(2)
	v_cmp_eq_f64_e32 vcc, 0, v[37:38]
	s_waitcnt vmcnt(0)
	v_cmp_eq_f64_e64 s[0:1], 0, v[39:40]
	buffer_load_dword v37, off, s[20:23], 0 offset:1072 ; 4-byte Folded Reload
	buffer_load_dword v38, off, s[20:23], 0 offset:1076 ; 4-byte Folded Reload
	buffer_load_dword v39, off, s[20:23], 0 offset:1080 ; 4-byte Folded Reload
	buffer_load_dword v40, off, s[20:23], 0 offset:1084 ; 4-byte Folded Reload
	;; [unrolled: 12-line block ×13, first 2 shown]
	s_and_b64 s[0:1], vcc, s[0:1]
	v_cmp_eq_u32_e32 vcc, 0, v89
	s_and_b64 s[0:1], s[0:1], vcc
	v_cndmask_b32_e64 v89, v89, 39, s[0:1]
	s_waitcnt vmcnt(2)
	v_cmp_eq_f64_e32 vcc, 0, v[37:38]
	buffer_load_dword v37, off, s[20:23], 0 offset:1264 ; 4-byte Folded Reload
	buffer_load_dword v38, off, s[20:23], 0 offset:1268 ; 4-byte Folded Reload
	s_waitcnt vmcnt(2)
	v_cmp_eq_f64_e64 s[0:1], 0, v[39:40]
	s_and_b64 s[0:1], vcc, s[0:1]
	v_cmp_eq_u32_e32 vcc, 0, v89
	s_and_b64 s[0:1], s[0:1], vcc
	v_cndmask_b32_e64 v89, v89, 40, s[0:1]
	v_cmp_eq_f64_e32 vcc, 0, v[101:102]
	v_cmp_eq_f64_e64 s[0:1], 0, v[103:104]
	s_and_b64 s[0:1], vcc, s[0:1]
	v_cmp_eq_u32_e32 vcc, 0, v89
	s_and_b64 s[0:1], s[0:1], vcc
	v_cndmask_b32_e64 v89, v89, 41, s[0:1]
	v_cmp_eq_f64_e32 vcc, 0, v[97:98]
	;; [unrolled: 6-line block ×3, first 2 shown]
	v_cmp_eq_f64_e64 s[0:1], 0, v[107:108]
	s_and_b64 s[0:1], vcc, s[0:1]
	v_cmp_eq_u32_e32 vcc, 0, v89
	s_and_b64 s[0:1], s[0:1], vcc
	v_cndmask_b32_e64 v99, v89, 43, s[0:1]
	v_cmp_ne_u32_e64 s[0:1], 0, v99
	s_waitcnt vmcnt(0)
	v_lshlrev_b64 v[89:90], 2, v[37:38]
	v_add_co_u32_e32 v97, vcc, s10, v89
	v_mov_b32_e32 v89, s11
	v_addc_co_u32_e32 v98, vcc, v89, v90, vcc
	global_load_dword v89, v[97:98], off
	s_waitcnt vmcnt(0)
	v_cmp_eq_u32_e32 vcc, 0, v89
	s_and_b64 s[0:1], vcc, s[0:1]
	s_and_b64 exec, exec, s[0:1]
	s_cbranch_execz .LBB85_389
; %bb.388:
	v_add_u32_e32 v89, s13, v99
	global_store_dword v[97:98], v89, off
.LBB85_389:
	s_or_b64 exec, exec, s[2:3]
	buffer_load_dword v37, off, s[20:23], 0 offset:688 ; 4-byte Folded Reload
	buffer_load_dword v38, off, s[20:23], 0 offset:692 ; 4-byte Folded Reload
	;; [unrolled: 1-line block ×6, first 2 shown]
	v_cmp_lt_u32_e32 vcc, 42, v0
	v_mul_f64 v[89:90], v[105:106], v[123:124]
	v_fma_f64 v[89:90], v[107:108], v[121:122], v[89:90]
	v_cndmask_b32_e32 v100, v124, v90, vcc
	v_cndmask_b32_e32 v99, v123, v89, vcc
	s_waitcnt vmcnt(0)
	global_store_dwordx4 v[37:38], v[81:84], off
	buffer_load_dword v37, off, s[20:23], 0 offset:696 ; 4-byte Folded Reload
	s_nop 0
	buffer_load_dword v38, off, s[20:23], 0 offset:700 ; 4-byte Folded Reload
	buffer_load_dword v81, off, s[20:23], 0 offset:304 ; 4-byte Folded Reload
	;; [unrolled: 1-line block ×5, first 2 shown]
	s_waitcnt vmcnt(0)
	global_store_dwordx4 v[37:38], v[81:84], off
	buffer_load_dword v37, off, s[20:23], 0 offset:288 ; 4-byte Folded Reload
	s_nop 0
	buffer_load_dword v38, off, s[20:23], 0 offset:292 ; 4-byte Folded Reload
	buffer_load_dword v39, off, s[20:23], 0 offset:296 ; 4-byte Folded Reload
	;; [unrolled: 1-line block ×3, first 2 shown]
	s_waitcnt vmcnt(0)
	global_store_dwordx4 v[91:92], v[37:40], off
	buffer_load_dword v87, off, s[20:23], 0 offset:352 ; 4-byte Folded Reload
	buffer_load_dword v88, off, s[20:23], 0 offset:356 ; 4-byte Folded Reload
	s_nop 0
	buffer_load_dword v37, off, s[20:23], 0 offset:272 ; 4-byte Folded Reload
	buffer_load_dword v38, off, s[20:23], 0 offset:276 ; 4-byte Folded Reload
	;; [unrolled: 1-line block ×4, first 2 shown]
	v_mul_f64 v[91:92], v[107:108], v[123:124]
	v_fma_f64 v[91:92], v[105:106], v[121:122], -v[91:92]
	v_cndmask_b32_e32 v98, v122, v92, vcc
	v_cndmask_b32_e32 v97, v121, v91, vcc
	s_waitcnt vmcnt(0)
	global_store_dwordx4 v[87:88], v[37:40], off
	buffer_load_dword v37, off, s[20:23], 0 offset:664 ; 4-byte Folded Reload
	s_nop 0
	buffer_load_dword v38, off, s[20:23], 0 offset:668 ; 4-byte Folded Reload
	buffer_load_dword v81, off, s[20:23], 0 offset:256 ; 4-byte Folded Reload
	;; [unrolled: 1-line block ×5, first 2 shown]
	s_waitcnt vmcnt(0)
	global_store_dwordx4 v[37:38], v[81:84], off
	buffer_load_dword v85, off, s[20:23], 0 offset:360 ; 4-byte Folded Reload
	buffer_load_dword v86, off, s[20:23], 0 offset:364 ; 4-byte Folded Reload
	s_nop 0
	buffer_load_dword v37, off, s[20:23], 0 offset:240 ; 4-byte Folded Reload
	buffer_load_dword v38, off, s[20:23], 0 offset:244 ; 4-byte Folded Reload
	buffer_load_dword v39, off, s[20:23], 0 offset:248 ; 4-byte Folded Reload
	buffer_load_dword v40, off, s[20:23], 0 offset:252 ; 4-byte Folded Reload
	s_waitcnt vmcnt(0)
	global_store_dwordx4 v[85:86], v[37:40], off
	buffer_load_dword v85, off, s[20:23], 0 offset:368 ; 4-byte Folded Reload
	s_nop 0
	buffer_load_dword v86, off, s[20:23], 0 offset:372 ; 4-byte Folded Reload
	buffer_load_dword v37, off, s[20:23], 0 offset:224 ; 4-byte Folded Reload
	buffer_load_dword v38, off, s[20:23], 0 offset:228 ; 4-byte Folded Reload
	buffer_load_dword v39, off, s[20:23], 0 offset:232 ; 4-byte Folded Reload
	buffer_load_dword v40, off, s[20:23], 0 offset:236 ; 4-byte Folded Reload
	s_waitcnt vmcnt(0)
	global_store_dwordx4 v[85:86], v[37:40], off
	buffer_load_dword v85, off, s[20:23], 0 offset:376 ; 4-byte Folded Reload
	s_nop 0
	buffer_load_dword v86, off, s[20:23], 0 offset:380 ; 4-byte Folded Reload
	;; [unrolled: 9-line block ×12, first 2 shown]
	s_waitcnt vmcnt(0)
	global_store_dwordx4 v[85:86], v[117:120], off
	buffer_load_dword v85, off, s[20:23], 0 offset:464 ; 4-byte Folded Reload
	s_nop 0
	buffer_load_dword v86, off, s[20:23], 0 offset:468 ; 4-byte Folded Reload
	s_waitcnt vmcnt(0)
	global_store_dwordx4 v[85:86], v[113:116], off
	buffer_load_dword v85, off, s[20:23], 0 offset:472 ; 4-byte Folded Reload
	s_nop 0
	buffer_load_dword v86, off, s[20:23], 0 offset:476 ; 4-byte Folded Reload
	buffer_load_dword v37, off, s[20:23], 0 offset:48 ; 4-byte Folded Reload
	;; [unrolled: 1-line block ×5, first 2 shown]
	s_waitcnt vmcnt(0)
	global_store_dwordx4 v[85:86], v[37:40], off
	buffer_load_dword v85, off, s[20:23], 0 offset:480 ; 4-byte Folded Reload
	s_nop 0
	buffer_load_dword v86, off, s[20:23], 0 offset:484 ; 4-byte Folded Reload
	s_waitcnt vmcnt(0)
	global_store_dwordx4 v[85:86], v[77:80], off
	buffer_load_dword v85, off, s[20:23], 0 offset:488 ; 4-byte Folded Reload
	s_nop 0
	buffer_load_dword v86, off, s[20:23], 0 offset:492 ; 4-byte Folded Reload
	s_waitcnt vmcnt(0)
	global_store_dwordx4 v[85:86], v[93:96], off
	buffer_load_dword v81, off, s[20:23], 0 offset:496 ; 4-byte Folded Reload
	buffer_load_dword v82, off, s[20:23], 0 offset:500 ; 4-byte Folded Reload
	;; [unrolled: 1-line block ×6, first 2 shown]
	s_waitcnt vmcnt(0)
	global_store_dwordx4 v[81:82], v[37:40], off
	buffer_load_dword v77, off, s[20:23], 0 offset:648 ; 4-byte Folded Reload
	buffer_load_dword v78, off, s[20:23], 0 offset:652 ; 4-byte Folded Reload
	s_nop 0
	buffer_load_dword v37, off, s[20:23], 0 offset:16 ; 4-byte Folded Reload
	buffer_load_dword v38, off, s[20:23], 0 offset:20 ; 4-byte Folded Reload
	;; [unrolled: 1-line block ×4, first 2 shown]
	s_waitcnt vmcnt(0)
	global_store_dwordx4 v[77:78], v[37:40], off
	buffer_load_dword v73, off, s[20:23], 0 offset:640 ; 4-byte Folded Reload
	buffer_load_dword v74, off, s[20:23], 0 offset:644 ; 4-byte Folded Reload
	s_nop 0
	buffer_load_dword v37, off, s[20:23], 0 ; 4-byte Folded Reload
	buffer_load_dword v38, off, s[20:23], 0 offset:4 ; 4-byte Folded Reload
	buffer_load_dword v39, off, s[20:23], 0 offset:8 ; 4-byte Folded Reload
	;; [unrolled: 1-line block ×3, first 2 shown]
	s_waitcnt vmcnt(0)
	global_store_dwordx4 v[73:74], v[37:40], off
	buffer_load_dword v69, off, s[20:23], 0 offset:656 ; 4-byte Folded Reload
	buffer_load_dword v70, off, s[20:23], 0 offset:660 ; 4-byte Folded Reload
	s_waitcnt vmcnt(0)
	global_store_dwordx4 v[69:70], v[65:68], off
	buffer_load_dword v65, off, s[20:23], 0 offset:504 ; 4-byte Folded Reload
	s_nop 0
	buffer_load_dword v66, off, s[20:23], 0 offset:508 ; 4-byte Folded Reload
	s_waitcnt vmcnt(0)
	global_store_dwordx4 v[65:66], v[61:64], off
	buffer_load_dword v61, off, s[20:23], 0 offset:512 ; 4-byte Folded Reload
	s_nop 0
	;; [unrolled: 5-line block ×7, first 2 shown]
	buffer_load_dword v42, off, s[20:23], 0 offset:556 ; 4-byte Folded Reload
	buffer_load_dword v37, off, s[20:23], 0 offset:672 ; 4-byte Folded Reload
	;; [unrolled: 1-line block ×5, first 2 shown]
	s_waitcnt vmcnt(0)
	global_store_dwordx4 v[41:42], v[37:40], off
	buffer_load_dword v37, off, s[20:23], 0 offset:560 ; 4-byte Folded Reload
	s_nop 0
	buffer_load_dword v38, off, s[20:23], 0 offset:564 ; 4-byte Folded Reload
	s_waitcnt vmcnt(0)
	global_store_dwordx4 v[37:38], v[33:36], off
	buffer_load_dword v33, off, s[20:23], 0 offset:568 ; 4-byte Folded Reload
	s_nop 0
	buffer_load_dword v34, off, s[20:23], 0 offset:572 ; 4-byte Folded Reload
	;; [unrolled: 5-line block ×10, first 2 shown]
	s_waitcnt vmcnt(0)
	global_store_dwordx4 v[0:1], v[97:100], off
.LBB85_390:
	s_endpgm
	.section	.rodata,"a",@progbits
	.p2align	6, 0x0
	.amdhsa_kernel _ZN9rocsolver6v33100L23getf2_npvt_small_kernelILi43E19rocblas_complex_numIdEiiPS3_EEvT1_T3_lS5_lPT2_S5_S5_
		.amdhsa_group_segment_fixed_size 0
		.amdhsa_private_segment_fixed_size 1292
		.amdhsa_kernarg_size 312
		.amdhsa_user_sgpr_count 6
		.amdhsa_user_sgpr_private_segment_buffer 1
		.amdhsa_user_sgpr_dispatch_ptr 0
		.amdhsa_user_sgpr_queue_ptr 0
		.amdhsa_user_sgpr_kernarg_segment_ptr 1
		.amdhsa_user_sgpr_dispatch_id 0
		.amdhsa_user_sgpr_flat_scratch_init 0
		.amdhsa_user_sgpr_private_segment_size 0
		.amdhsa_uses_dynamic_stack 0
		.amdhsa_system_sgpr_private_segment_wavefront_offset 1
		.amdhsa_system_sgpr_workgroup_id_x 1
		.amdhsa_system_sgpr_workgroup_id_y 1
		.amdhsa_system_sgpr_workgroup_id_z 0
		.amdhsa_system_sgpr_workgroup_info 0
		.amdhsa_system_vgpr_workitem_id 1
		.amdhsa_next_free_vgpr 128
		.amdhsa_next_free_sgpr 24
		.amdhsa_reserve_vcc 1
		.amdhsa_reserve_flat_scratch 0
		.amdhsa_float_round_mode_32 0
		.amdhsa_float_round_mode_16_64 0
		.amdhsa_float_denorm_mode_32 3
		.amdhsa_float_denorm_mode_16_64 3
		.amdhsa_dx10_clamp 1
		.amdhsa_ieee_mode 1
		.amdhsa_fp16_overflow 0
		.amdhsa_exception_fp_ieee_invalid_op 0
		.amdhsa_exception_fp_denorm_src 0
		.amdhsa_exception_fp_ieee_div_zero 0
		.amdhsa_exception_fp_ieee_overflow 0
		.amdhsa_exception_fp_ieee_underflow 0
		.amdhsa_exception_fp_ieee_inexact 0
		.amdhsa_exception_int_div_zero 0
	.end_amdhsa_kernel
	.section	.text._ZN9rocsolver6v33100L23getf2_npvt_small_kernelILi43E19rocblas_complex_numIdEiiPS3_EEvT1_T3_lS5_lPT2_S5_S5_,"axG",@progbits,_ZN9rocsolver6v33100L23getf2_npvt_small_kernelILi43E19rocblas_complex_numIdEiiPS3_EEvT1_T3_lS5_lPT2_S5_S5_,comdat
.Lfunc_end85:
	.size	_ZN9rocsolver6v33100L23getf2_npvt_small_kernelILi43E19rocblas_complex_numIdEiiPS3_EEvT1_T3_lS5_lPT2_S5_S5_, .Lfunc_end85-_ZN9rocsolver6v33100L23getf2_npvt_small_kernelILi43E19rocblas_complex_numIdEiiPS3_EEvT1_T3_lS5_lPT2_S5_S5_
                                        ; -- End function
	.set _ZN9rocsolver6v33100L23getf2_npvt_small_kernelILi43E19rocblas_complex_numIdEiiPS3_EEvT1_T3_lS5_lPT2_S5_S5_.num_vgpr, 128
	.set _ZN9rocsolver6v33100L23getf2_npvt_small_kernelILi43E19rocblas_complex_numIdEiiPS3_EEvT1_T3_lS5_lPT2_S5_S5_.num_agpr, 0
	.set _ZN9rocsolver6v33100L23getf2_npvt_small_kernelILi43E19rocblas_complex_numIdEiiPS3_EEvT1_T3_lS5_lPT2_S5_S5_.numbered_sgpr, 24
	.set _ZN9rocsolver6v33100L23getf2_npvt_small_kernelILi43E19rocblas_complex_numIdEiiPS3_EEvT1_T3_lS5_lPT2_S5_S5_.num_named_barrier, 0
	.set _ZN9rocsolver6v33100L23getf2_npvt_small_kernelILi43E19rocblas_complex_numIdEiiPS3_EEvT1_T3_lS5_lPT2_S5_S5_.private_seg_size, 1292
	.set _ZN9rocsolver6v33100L23getf2_npvt_small_kernelILi43E19rocblas_complex_numIdEiiPS3_EEvT1_T3_lS5_lPT2_S5_S5_.uses_vcc, 1
	.set _ZN9rocsolver6v33100L23getf2_npvt_small_kernelILi43E19rocblas_complex_numIdEiiPS3_EEvT1_T3_lS5_lPT2_S5_S5_.uses_flat_scratch, 0
	.set _ZN9rocsolver6v33100L23getf2_npvt_small_kernelILi43E19rocblas_complex_numIdEiiPS3_EEvT1_T3_lS5_lPT2_S5_S5_.has_dyn_sized_stack, 0
	.set _ZN9rocsolver6v33100L23getf2_npvt_small_kernelILi43E19rocblas_complex_numIdEiiPS3_EEvT1_T3_lS5_lPT2_S5_S5_.has_recursion, 0
	.set _ZN9rocsolver6v33100L23getf2_npvt_small_kernelILi43E19rocblas_complex_numIdEiiPS3_EEvT1_T3_lS5_lPT2_S5_S5_.has_indirect_call, 0
	.section	.AMDGPU.csdata,"",@progbits
; Kernel info:
; codeLenInByte = 125212
; TotalNumSgprs: 28
; NumVgprs: 128
; ScratchSize: 1292
; MemoryBound: 1
; FloatMode: 240
; IeeeMode: 1
; LDSByteSize: 0 bytes/workgroup (compile time only)
; SGPRBlocks: 3
; VGPRBlocks: 31
; NumSGPRsForWavesPerEU: 28
; NumVGPRsForWavesPerEU: 128
; Occupancy: 2
; WaveLimiterHint : 0
; COMPUTE_PGM_RSRC2:SCRATCH_EN: 1
; COMPUTE_PGM_RSRC2:USER_SGPR: 6
; COMPUTE_PGM_RSRC2:TRAP_HANDLER: 0
; COMPUTE_PGM_RSRC2:TGID_X_EN: 1
; COMPUTE_PGM_RSRC2:TGID_Y_EN: 1
; COMPUTE_PGM_RSRC2:TGID_Z_EN: 0
; COMPUTE_PGM_RSRC2:TIDIG_COMP_CNT: 1
	.section	.text._ZN9rocsolver6v33100L18getf2_small_kernelILi44E19rocblas_complex_numIdEiiPS3_EEvT1_T3_lS5_lPS5_llPT2_S5_S5_S7_l,"axG",@progbits,_ZN9rocsolver6v33100L18getf2_small_kernelILi44E19rocblas_complex_numIdEiiPS3_EEvT1_T3_lS5_lPS5_llPT2_S5_S5_S7_l,comdat
	.globl	_ZN9rocsolver6v33100L18getf2_small_kernelILi44E19rocblas_complex_numIdEiiPS3_EEvT1_T3_lS5_lPS5_llPT2_S5_S5_S7_l ; -- Begin function _ZN9rocsolver6v33100L18getf2_small_kernelILi44E19rocblas_complex_numIdEiiPS3_EEvT1_T3_lS5_lPS5_llPT2_S5_S5_S7_l
	.p2align	8
	.type	_ZN9rocsolver6v33100L18getf2_small_kernelILi44E19rocblas_complex_numIdEiiPS3_EEvT1_T3_lS5_lPS5_llPT2_S5_S5_S7_l,@function
_ZN9rocsolver6v33100L18getf2_small_kernelILi44E19rocblas_complex_numIdEiiPS3_EEvT1_T3_lS5_lPS5_llPT2_S5_S5_S7_l: ; @_ZN9rocsolver6v33100L18getf2_small_kernelILi44E19rocblas_complex_numIdEiiPS3_EEvT1_T3_lS5_lPS5_llPT2_S5_S5_S7_l
; %bb.0:
	s_mov_b64 s[26:27], s[2:3]
	s_mov_b64 s[24:25], s[0:1]
	s_load_dword s0, s[4:5], 0x6c
	s_load_dwordx2 s[16:17], s[4:5], 0x48
	s_add_u32 s24, s24, s8
	s_addc_u32 s25, s25, 0
	s_waitcnt lgkmcnt(0)
	s_lshr_b32 s0, s0, 16
	s_mul_i32 s7, s7, s0
	v_add_u32_e32 v6, s7, v1
	v_cmp_gt_i32_e32 vcc, s16, v6
	s_and_saveexec_b64 s[0:1], vcc
	s_cbranch_execnz .LBB86_1
; %bb.926:
	s_getpc_b64 s[28:29]
.Lpost_getpc0:
	s_add_u32 s28, s28, (.LBB86_925-.Lpost_getpc0)&4294967295
	s_addc_u32 s29, s29, (.LBB86_925-.Lpost_getpc0)>>32
	s_setpc_b64 s[28:29]
.LBB86_1:
	s_load_dwordx4 s[0:3], s[4:5], 0x50
	v_mov_b32_e32 v91, 0
	v_ashrrev_i32_e32 v7, 31, v6
	v_mov_b32_e32 v92, 0
	s_waitcnt lgkmcnt(0)
	s_cmp_eq_u64 s[0:1], 0
	s_cselect_b64 s[6:7], -1, 0
	s_and_b64 vcc, exec, s[6:7]
	s_cbranch_vccnz .LBB86_3
; %bb.2:
	v_mul_lo_u32 v4, s3, v6
	v_mul_lo_u32 v5, s2, v7
	v_mad_u64_u32 v[2:3], s[2:3], s2, v6, 0
	v_add3_u32 v3, v3, v5, v4
	v_lshlrev_b64 v[2:3], 2, v[2:3]
	v_mov_b32_e32 v4, s1
	v_add_co_u32_e32 v91, vcc, s0, v2
	v_addc_co_u32_e32 v92, vcc, v4, v3, vcc
.LBB86_3:
	s_load_dwordx8 s[8:15], s[4:5], 0x20
	s_load_dwordx4 s[20:23], s[4:5], 0x8
	s_load_dword s2, s[4:5], 0x18
	v_mov_b32_e32 v90, v7
	v_mov_b32_e32 v89, v6
	s_waitcnt lgkmcnt(0)
	v_mul_lo_u32 v4, s9, v6
	v_mul_lo_u32 v5, s8, v7
	v_mad_u64_u32 v[2:3], s[0:1], s8, v6, 0
	v_mov_b32_e32 v6, s21
	s_lshl_b64 s[0:1], s[22:23], 4
	v_add3_u32 v3, v3, v5, v4
	v_lshlrev_b64 v[2:3], 4, v[2:3]
	v_mov_b32_e32 v4, s1
	v_add_co_u32_e32 v2, vcc, s20, v2
	v_addc_co_u32_e32 v3, vcc, v6, v3, vcc
	v_add_co_u32_e32 v127, vcc, s0, v2
	s_add_i32 s16, s2, s2
	v_addc_co_u32_e32 v93, vcc, v3, v4, vcc
	v_add_u32_e32 v4, s16, v0
	v_ashrrev_i32_e32 v5, 31, v4
	v_lshlrev_b64 v[2:3], 4, v[4:5]
	v_add_u32_e32 v6, s2, v4
	v_ashrrev_i32_e32 v7, 31, v6
	v_add_co_u32_e32 v2, vcc, v127, v2
	v_lshlrev_b64 v[4:5], 4, v[6:7]
	v_add_u32_e32 v8, s2, v6
	v_addc_co_u32_e32 v3, vcc, v93, v3, vcc
	v_ashrrev_i32_e32 v9, 31, v8
	v_add_co_u32_e32 v4, vcc, v127, v4
	v_lshlrev_b64 v[6:7], 4, v[8:9]
	v_add_u32_e32 v10, s2, v8
	v_addc_co_u32_e32 v5, vcc, v93, v5, vcc
	v_ashrrev_i32_e32 v11, 31, v10
	v_add_co_u32_e32 v6, vcc, v127, v6
	v_lshlrev_b64 v[8:9], 4, v[10:11]
	v_add_u32_e32 v12, s2, v10
	v_addc_co_u32_e32 v7, vcc, v93, v7, vcc
	v_ashrrev_i32_e32 v13, 31, v12
	v_add_co_u32_e32 v8, vcc, v127, v8
	v_lshlrev_b64 v[10:11], 4, v[12:13]
	v_add_u32_e32 v14, s2, v12
	v_addc_co_u32_e32 v9, vcc, v93, v9, vcc
	v_ashrrev_i32_e32 v15, 31, v14
	v_add_co_u32_e32 v10, vcc, v127, v10
	v_lshlrev_b64 v[12:13], 4, v[14:15]
	v_add_u32_e32 v16, s2, v14
	v_addc_co_u32_e32 v11, vcc, v93, v11, vcc
	v_ashrrev_i32_e32 v17, 31, v16
	v_add_co_u32_e32 v12, vcc, v127, v12
	v_lshlrev_b64 v[14:15], 4, v[16:17]
	v_add_u32_e32 v18, s2, v16
	v_addc_co_u32_e32 v13, vcc, v93, v13, vcc
	v_ashrrev_i32_e32 v19, 31, v18
	v_add_co_u32_e32 v14, vcc, v127, v14
	v_lshlrev_b64 v[16:17], 4, v[18:19]
	v_add_u32_e32 v20, s2, v18
	v_addc_co_u32_e32 v15, vcc, v93, v15, vcc
	v_ashrrev_i32_e32 v21, 31, v20
	v_add_co_u32_e32 v16, vcc, v127, v16
	v_lshlrev_b64 v[18:19], 4, v[20:21]
	v_add_u32_e32 v22, s2, v20
	v_addc_co_u32_e32 v17, vcc, v93, v17, vcc
	v_ashrrev_i32_e32 v23, 31, v22
	v_add_co_u32_e32 v18, vcc, v127, v18
	v_lshlrev_b64 v[20:21], 4, v[22:23]
	v_add_u32_e32 v24, s2, v22
	v_addc_co_u32_e32 v19, vcc, v93, v19, vcc
	v_ashrrev_i32_e32 v25, 31, v24
	v_add_co_u32_e32 v20, vcc, v127, v20
	v_lshlrev_b64 v[22:23], 4, v[24:25]
	v_add_u32_e32 v26, s2, v24
	v_addc_co_u32_e32 v21, vcc, v93, v21, vcc
	v_ashrrev_i32_e32 v27, 31, v26
	v_add_co_u32_e32 v22, vcc, v127, v22
	v_lshlrev_b64 v[24:25], 4, v[26:27]
	v_add_u32_e32 v28, s2, v26
	v_addc_co_u32_e32 v23, vcc, v93, v23, vcc
	v_ashrrev_i32_e32 v29, 31, v28
	v_add_co_u32_e32 v24, vcc, v127, v24
	v_lshlrev_b64 v[26:27], 4, v[28:29]
	v_add_u32_e32 v30, s2, v28
	v_addc_co_u32_e32 v25, vcc, v93, v25, vcc
	v_ashrrev_i32_e32 v31, 31, v30
	v_add_co_u32_e32 v26, vcc, v127, v26
	v_lshlrev_b64 v[28:29], 4, v[30:31]
	v_add_u32_e32 v32, s2, v30
	v_addc_co_u32_e32 v27, vcc, v93, v27, vcc
	v_ashrrev_i32_e32 v33, 31, v32
	v_add_co_u32_e32 v28, vcc, v127, v28
	v_lshlrev_b64 v[30:31], 4, v[32:33]
	v_add_u32_e32 v34, s2, v32
	v_addc_co_u32_e32 v29, vcc, v93, v29, vcc
	v_ashrrev_i32_e32 v35, 31, v34
	v_add_co_u32_e32 v30, vcc, v127, v30
	v_lshlrev_b64 v[32:33], 4, v[34:35]
	v_add_u32_e32 v36, s2, v34
	v_addc_co_u32_e32 v31, vcc, v93, v31, vcc
	v_ashrrev_i32_e32 v37, 31, v36
	v_add_co_u32_e32 v32, vcc, v127, v32
	v_lshlrev_b64 v[34:35], 4, v[36:37]
	v_add_u32_e32 v38, s2, v36
	v_addc_co_u32_e32 v33, vcc, v93, v33, vcc
	v_ashrrev_i32_e32 v39, 31, v38
	v_add_co_u32_e32 v34, vcc, v127, v34
	v_lshlrev_b64 v[36:37], 4, v[38:39]
	v_add_u32_e32 v40, s2, v38
	v_addc_co_u32_e32 v35, vcc, v93, v35, vcc
	v_ashrrev_i32_e32 v41, 31, v40
	v_add_co_u32_e32 v36, vcc, v127, v36
	v_lshlrev_b64 v[38:39], 4, v[40:41]
	v_add_u32_e32 v42, s2, v40
	v_addc_co_u32_e32 v37, vcc, v93, v37, vcc
	v_ashrrev_i32_e32 v43, 31, v42
	v_add_co_u32_e32 v38, vcc, v127, v38
	v_lshlrev_b64 v[40:41], 4, v[42:43]
	v_add_u32_e32 v44, s2, v42
	v_addc_co_u32_e32 v39, vcc, v93, v39, vcc
	v_ashrrev_i32_e32 v45, 31, v44
	v_add_co_u32_e32 v40, vcc, v127, v40
	v_lshlrev_b64 v[42:43], 4, v[44:45]
	v_add_u32_e32 v46, s2, v44
	v_addc_co_u32_e32 v41, vcc, v93, v41, vcc
	v_ashrrev_i32_e32 v47, 31, v46
	v_add_co_u32_e32 v42, vcc, v127, v42
	v_lshlrev_b64 v[44:45], 4, v[46:47]
	v_add_u32_e32 v48, s2, v46
	v_addc_co_u32_e32 v43, vcc, v93, v43, vcc
	v_ashrrev_i32_e32 v49, 31, v48
	v_add_co_u32_e32 v44, vcc, v127, v44
	v_lshlrev_b64 v[46:47], 4, v[48:49]
	v_add_u32_e32 v50, s2, v48
	v_addc_co_u32_e32 v45, vcc, v93, v45, vcc
	v_ashrrev_i32_e32 v51, 31, v50
	v_add_co_u32_e32 v46, vcc, v127, v46
	v_lshlrev_b64 v[48:49], 4, v[50:51]
	v_add_u32_e32 v52, s2, v50
	v_addc_co_u32_e32 v47, vcc, v93, v47, vcc
	v_ashrrev_i32_e32 v53, 31, v52
	v_add_co_u32_e32 v48, vcc, v127, v48
	v_lshlrev_b64 v[50:51], 4, v[52:53]
	v_add_u32_e32 v54, s2, v52
	v_addc_co_u32_e32 v49, vcc, v93, v49, vcc
	v_ashrrev_i32_e32 v55, 31, v54
	v_add_co_u32_e32 v50, vcc, v127, v50
	v_lshlrev_b64 v[52:53], 4, v[54:55]
	v_add_u32_e32 v56, s2, v54
	v_addc_co_u32_e32 v51, vcc, v93, v51, vcc
	v_ashrrev_i32_e32 v57, 31, v56
	v_add_co_u32_e32 v52, vcc, v127, v52
	v_lshlrev_b64 v[54:55], 4, v[56:57]
	v_add_u32_e32 v56, s2, v56
	v_addc_co_u32_e32 v53, vcc, v93, v53, vcc
	v_ashrrev_i32_e32 v57, 31, v56
	v_add_co_u32_e32 v54, vcc, v127, v54
	v_lshlrev_b64 v[57:58], 4, v[56:57]
	v_addc_co_u32_e32 v55, vcc, v93, v55, vcc
	v_add_u32_e32 v56, s2, v56
	v_add_co_u32_e32 v117, vcc, v127, v57
	v_ashrrev_i32_e32 v57, 31, v56
	v_addc_co_u32_e32 v118, vcc, v93, v58, vcc
	v_lshlrev_b64 v[57:58], 4, v[56:57]
	v_add_u32_e32 v56, s2, v56
	v_add_co_u32_e32 v119, vcc, v127, v57
	v_ashrrev_i32_e32 v57, 31, v56
	v_addc_co_u32_e32 v120, vcc, v93, v58, vcc
	v_lshlrev_b64 v[57:58], 4, v[56:57]
	;; [unrolled: 5-line block ×12, first 2 shown]
	v_add_u32_e32 v56, s2, v56
	s_ashr_i32 s3, s2, 31
	v_add_co_u32_e32 v103, vcc, v127, v57
	v_ashrrev_i32_e32 v57, 31, v56
	s_lshl_b64 s[8:9], s[2:3], 4
	s_load_dword s3, s[4:5], 0x0
	v_addc_co_u32_e32 v104, vcc, v93, v58, vcc
	v_lshlrev_b64 v[57:58], 4, v[56:57]
	v_add_u32_e32 v56, s2, v56
	v_add_co_u32_e32 v97, vcc, v127, v57
	v_ashrrev_i32_e32 v57, 31, v56
	v_lshlrev_b64 v[56:57], 4, v[56:57]
	v_addc_co_u32_e32 v98, vcc, v93, v58, vcc
	s_waitcnt lgkmcnt(0)
	s_max_i32 s0, s3, 44
	v_add_co_u32_e32 v99, vcc, v127, v56
	v_mul_lo_u32 v95, s0, v1
	v_addc_co_u32_e32 v100, vcc, v93, v57, vcc
	v_lshlrev_b32_e32 v60, 4, v0
	v_add_co_u32_e32 v58, vcc, v127, v60
	v_addc_co_u32_e32 v59, vcc, 0, v93, vcc
	v_mov_b32_e32 v57, s9
	v_add_co_u32_e32 v56, vcc, s8, v58
	v_lshl_add_u32 v94, v95, 4, 0
	v_addc_co_u32_e32 v57, vcc, v59, v57, vcc
	v_add_u32_e32 v1, v94, v60
	global_load_dwordx4 v[58:61], v[58:59], off
	s_nop 0
	global_load_dwordx4 v[62:65], v[56:57], off
	s_waitcnt vmcnt(0)
	buffer_store_dword v62, off, s[24:27], 0 offset:304 ; 4-byte Folded Spill
	s_nop 0
	buffer_store_dword v63, off, s[24:27], 0 offset:308 ; 4-byte Folded Spill
	buffer_store_dword v64, off, s[24:27], 0 offset:312 ; 4-byte Folded Spill
	;; [unrolled: 1-line block ×4, first 2 shown]
	s_nop 0
	buffer_store_dword v59, off, s[24:27], 0 offset:324 ; 4-byte Folded Spill
	buffer_store_dword v60, off, s[24:27], 0 offset:328 ; 4-byte Folded Spill
	;; [unrolled: 1-line block ×3, first 2 shown]
	s_load_dwordx2 s[4:5], s[4:5], 0x40
	s_cmp_lt_i32 s3, 2
	ds_write2_b64 v1, v[58:59], v[60:61] offset1:1
	global_load_dwordx4 v[56:59], v[2:3], off
	s_waitcnt vmcnt(0)
	buffer_store_dword v56, off, s[24:27], 0 offset:288 ; 4-byte Folded Spill
	s_nop 0
	buffer_store_dword v57, off, s[24:27], 0 offset:292 ; 4-byte Folded Spill
	buffer_store_dword v58, off, s[24:27], 0 offset:296 ; 4-byte Folded Spill
	buffer_store_dword v59, off, s[24:27], 0 offset:300 ; 4-byte Folded Spill
	global_load_dwordx4 v[1:4], v[4:5], off
	s_waitcnt vmcnt(0)
	buffer_store_dword v1, off, s[24:27], 0 offset:272 ; 4-byte Folded Spill
	s_nop 0
	buffer_store_dword v2, off, s[24:27], 0 offset:276 ; 4-byte Folded Spill
	buffer_store_dword v3, off, s[24:27], 0 offset:280 ; 4-byte Folded Spill
	buffer_store_dword v4, off, s[24:27], 0 offset:284 ; 4-byte Folded Spill
	;; [unrolled: 7-line block ×18, first 2 shown]
	global_load_dwordx4 v[1:4], v[38:39], off
	s_waitcnt vmcnt(0)
	buffer_store_dword v1, off, s[24:27], 0 ; 4-byte Folded Spill
	s_nop 0
	buffer_store_dword v2, off, s[24:27], 0 offset:4 ; 4-byte Folded Spill
	buffer_store_dword v3, off, s[24:27], 0 offset:8 ; 4-byte Folded Spill
	;; [unrolled: 1-line block ×3, first 2 shown]
	global_load_dwordx4 v[85:88], v[40:41], off
	global_load_dwordx4 v[81:84], v[42:43], off
	;; [unrolled: 1-line block ×8, first 2 shown]
	s_nop 0
	global_load_dwordx4 v[53:56], v[117:118], off
	global_load_dwordx4 v[49:52], v[119:120], off
	;; [unrolled: 1-line block ×15, first 2 shown]
	s_waitcnt vmcnt(0) lgkmcnt(0)
	s_barrier
	ds_read2_b64 v[117:120], v94 offset1:1
	v_lshlrev_b32_e32 v99, 4, v95
	v_mov_b32_e32 v97, 0
	s_cbranch_scc1 .LBB86_6
; %bb.4:
	v_add3_u32 v95, v99, 0, 16
	s_mov_b32 s0, 1
	v_mov_b32_e32 v97, 0
.LBB86_5:                               ; =>This Inner Loop Header: Depth=1
	s_waitcnt lgkmcnt(0)
	v_cmp_gt_f64_e32 vcc, 0, v[117:118]
	v_xor_b32_e32 v96, 0x80000000, v118
	ds_read2_b64 v[100:103], v95 offset1:1
	v_mov_b32_e32 v104, v117
	v_mov_b32_e32 v106, v119
	v_add_u32_e32 v95, 16, v95
	s_waitcnt lgkmcnt(0)
	v_mov_b32_e32 v108, v102
	v_cndmask_b32_e32 v105, v118, v96, vcc
	v_cmp_gt_f64_e32 vcc, 0, v[119:120]
	v_xor_b32_e32 v96, 0x80000000, v120
	v_cndmask_b32_e32 v107, v120, v96, vcc
	v_cmp_gt_f64_e32 vcc, 0, v[100:101]
	v_xor_b32_e32 v96, 0x80000000, v101
	v_add_f64 v[104:105], v[104:105], v[106:107]
	v_mov_b32_e32 v106, v100
	v_cndmask_b32_e32 v107, v101, v96, vcc
	v_cmp_gt_f64_e32 vcc, 0, v[102:103]
	v_xor_b32_e32 v96, 0x80000000, v103
	v_cndmask_b32_e32 v109, v103, v96, vcc
	v_add_f64 v[106:107], v[106:107], v[108:109]
	v_mov_b32_e32 v96, s0
	s_add_i32 s0, s0, 1
	s_cmp_eq_u32 s3, s0
	v_cmp_lt_f64_e32 vcc, v[104:105], v[106:107]
	v_cndmask_b32_e32 v118, v118, v101, vcc
	v_cndmask_b32_e32 v117, v117, v100, vcc
	;; [unrolled: 1-line block ×5, first 2 shown]
	s_cbranch_scc0 .LBB86_5
.LBB86_6:
	s_waitcnt lgkmcnt(0)
	v_cmp_neq_f64_e32 vcc, 0, v[117:118]
	v_cmp_neq_f64_e64 s[0:1], 0, v[119:120]
	v_mov_b32_e32 v114, v90
	v_mov_b32_e32 v113, v89
	;; [unrolled: 1-line block ×4, first 2 shown]
	s_or_b64 s[18:19], vcc, s[0:1]
	s_and_saveexec_b64 s[0:1], s[18:19]
	s_cbranch_execz .LBB86_12
; %bb.7:
	v_cmp_ngt_f64_e64 s[18:19], |v[117:118]|, |v[119:120]|
	s_and_saveexec_b64 s[20:21], s[18:19]
	s_xor_b64 s[18:19], exec, s[20:21]
	s_cbranch_execz .LBB86_9
; %bb.8:
	v_div_scale_f64 v[95:96], s[20:21], v[119:120], v[119:120], v[117:118]
	v_rcp_f64_e32 v[100:101], v[95:96]
	v_fma_f64 v[102:103], -v[95:96], v[100:101], 1.0
	v_fma_f64 v[100:101], v[100:101], v[102:103], v[100:101]
	v_div_scale_f64 v[102:103], vcc, v[117:118], v[119:120], v[117:118]
	v_fma_f64 v[104:105], -v[95:96], v[100:101], 1.0
	v_fma_f64 v[100:101], v[100:101], v[104:105], v[100:101]
	v_mul_f64 v[104:105], v[102:103], v[100:101]
	v_fma_f64 v[95:96], -v[95:96], v[104:105], v[102:103]
	v_div_fmas_f64 v[95:96], v[95:96], v[100:101], v[104:105]
	v_div_fixup_f64 v[95:96], v[95:96], v[119:120], v[117:118]
	v_fma_f64 v[100:101], v[117:118], v[95:96], v[119:120]
	v_div_scale_f64 v[102:103], s[20:21], v[100:101], v[100:101], 1.0
	v_div_scale_f64 v[108:109], vcc, 1.0, v[100:101], 1.0
	v_rcp_f64_e32 v[104:105], v[102:103]
	v_fma_f64 v[106:107], -v[102:103], v[104:105], 1.0
	v_fma_f64 v[104:105], v[104:105], v[106:107], v[104:105]
	v_fma_f64 v[106:107], -v[102:103], v[104:105], 1.0
	v_fma_f64 v[104:105], v[104:105], v[106:107], v[104:105]
	v_mul_f64 v[106:107], v[108:109], v[104:105]
	v_fma_f64 v[102:103], -v[102:103], v[106:107], v[108:109]
	v_div_fmas_f64 v[102:103], v[102:103], v[104:105], v[106:107]
	v_div_fixup_f64 v[119:120], v[102:103], v[100:101], 1.0
	v_mul_f64 v[117:118], v[95:96], v[119:120]
	v_xor_b32_e32 v120, 0x80000000, v120
.LBB86_9:
	s_andn2_saveexec_b64 s[18:19], s[18:19]
	s_cbranch_execz .LBB86_11
; %bb.10:
	v_div_scale_f64 v[95:96], s[20:21], v[117:118], v[117:118], v[119:120]
	v_rcp_f64_e32 v[100:101], v[95:96]
	v_fma_f64 v[102:103], -v[95:96], v[100:101], 1.0
	v_fma_f64 v[100:101], v[100:101], v[102:103], v[100:101]
	v_div_scale_f64 v[102:103], vcc, v[119:120], v[117:118], v[119:120]
	v_fma_f64 v[104:105], -v[95:96], v[100:101], 1.0
	v_fma_f64 v[100:101], v[100:101], v[104:105], v[100:101]
	v_mul_f64 v[104:105], v[102:103], v[100:101]
	v_fma_f64 v[95:96], -v[95:96], v[104:105], v[102:103]
	v_div_fmas_f64 v[95:96], v[95:96], v[100:101], v[104:105]
	v_div_fixup_f64 v[95:96], v[95:96], v[117:118], v[119:120]
	v_fma_f64 v[100:101], v[119:120], v[95:96], v[117:118]
	v_div_scale_f64 v[102:103], s[20:21], v[100:101], v[100:101], 1.0
	v_div_scale_f64 v[108:109], vcc, 1.0, v[100:101], 1.0
	v_rcp_f64_e32 v[104:105], v[102:103]
	v_fma_f64 v[106:107], -v[102:103], v[104:105], 1.0
	v_fma_f64 v[104:105], v[104:105], v[106:107], v[104:105]
	v_fma_f64 v[106:107], -v[102:103], v[104:105], 1.0
	v_fma_f64 v[104:105], v[104:105], v[106:107], v[104:105]
	v_mul_f64 v[106:107], v[108:109], v[104:105]
	v_fma_f64 v[102:103], -v[102:103], v[106:107], v[108:109]
	v_div_fmas_f64 v[102:103], v[102:103], v[104:105], v[106:107]
	v_div_fixup_f64 v[117:118], v[102:103], v[100:101], 1.0
	v_mul_f64 v[119:120], v[95:96], -v[117:118]
.LBB86_11:
	s_or_b64 exec, exec, s[18:19]
	v_mov_b32_e32 v100, 0
	v_mov_b32_e32 v95, 2
.LBB86_12:
	s_or_b64 exec, exec, s[0:1]
	v_cmp_ne_u32_e32 vcc, v0, v97
	s_and_saveexec_b64 s[0:1], vcc
	s_xor_b64 s[0:1], exec, s[0:1]
	s_cbranch_execz .LBB86_18
; %bb.13:
	v_cmp_eq_u32_e32 vcc, 0, v0
	s_and_saveexec_b64 s[18:19], vcc
	s_cbranch_execz .LBB86_17
; %bb.14:
	v_cmp_ne_u32_e32 vcc, 0, v97
	s_xor_b64 s[20:21], s[6:7], -1
	s_and_b64 s[22:23], s[20:21], vcc
	s_and_saveexec_b64 s[20:21], s[22:23]
	s_cbranch_execz .LBB86_16
; %bb.15:
	v_ashrrev_i32_e32 v98, 31, v97
	v_lshlrev_b64 v[101:102], 2, v[97:98]
	v_add_co_u32_e32 v101, vcc, v91, v101
	v_addc_co_u32_e32 v102, vcc, v92, v102, vcc
	global_load_dword v0, v[101:102], off
	global_load_dword v96, v[91:92], off
	s_waitcnt vmcnt(1)
	global_store_dword v[91:92], v0, off
	s_waitcnt vmcnt(1)
	global_store_dword v[101:102], v96, off
.LBB86_16:
	s_or_b64 exec, exec, s[20:21]
	v_mov_b32_e32 v0, v97
.LBB86_17:
	s_or_b64 exec, exec, s[18:19]
.LBB86_18:
	s_or_saveexec_b64 s[0:1], s[0:1]
	v_mov_b32_e32 v96, v0
	s_xor_b64 exec, exec, s[0:1]
	s_cbranch_execz .LBB86_20
; %bb.19:
	buffer_load_dword v101, off, s[24:27], 0 offset:304 ; 4-byte Folded Reload
	buffer_load_dword v102, off, s[24:27], 0 offset:308 ; 4-byte Folded Reload
	;; [unrolled: 1-line block ×4, first 2 shown]
	v_mov_b32_e32 v96, 0
	s_waitcnt vmcnt(0)
	ds_write2_b64 v94, v[101:102], v[103:104] offset0:2 offset1:3
	buffer_load_dword v101, off, s[24:27], 0 offset:288 ; 4-byte Folded Reload
	buffer_load_dword v102, off, s[24:27], 0 offset:292 ; 4-byte Folded Reload
	buffer_load_dword v103, off, s[24:27], 0 offset:296 ; 4-byte Folded Reload
	buffer_load_dword v104, off, s[24:27], 0 offset:300 ; 4-byte Folded Reload
	s_waitcnt vmcnt(0)
	ds_write2_b64 v94, v[101:102], v[103:104] offset0:4 offset1:5
	buffer_load_dword v101, off, s[24:27], 0 offset:272 ; 4-byte Folded Reload
	buffer_load_dword v102, off, s[24:27], 0 offset:276 ; 4-byte Folded Reload
	buffer_load_dword v103, off, s[24:27], 0 offset:280 ; 4-byte Folded Reload
	buffer_load_dword v104, off, s[24:27], 0 offset:284 ; 4-byte Folded Reload
	;; [unrolled: 6-line block ×18, first 2 shown]
	s_waitcnt vmcnt(0)
	ds_write2_b64 v94, v[101:102], v[103:104] offset0:38 offset1:39
	buffer_load_dword v101, off, s[24:27], 0 ; 4-byte Folded Reload
	buffer_load_dword v102, off, s[24:27], 0 offset:4 ; 4-byte Folded Reload
	buffer_load_dword v103, off, s[24:27], 0 offset:8 ; 4-byte Folded Reload
	;; [unrolled: 1-line block ×3, first 2 shown]
	s_waitcnt vmcnt(0)
	ds_write2_b64 v94, v[101:102], v[103:104] offset0:40 offset1:41
	ds_write2_b64 v94, v[85:86], v[87:88] offset0:42 offset1:43
	;; [unrolled: 1-line block ×24, first 2 shown]
.LBB86_20:
	s_or_b64 exec, exec, s[0:1]
	v_cmp_lt_i32_e32 vcc, 0, v96
	s_waitcnt vmcnt(0) lgkmcnt(0)
	s_barrier
	s_and_saveexec_b64 s[0:1], vcc
	s_cbranch_execz .LBB86_22
; %bb.21:
	buffer_load_dword v105, off, s[24:27], 0 offset:320 ; 4-byte Folded Reload
	buffer_load_dword v106, off, s[24:27], 0 offset:324 ; 4-byte Folded Reload
	;; [unrolled: 1-line block ×4, first 2 shown]
	ds_read2_b64 v[101:104], v94 offset0:2 offset1:3
	s_waitcnt vmcnt(0)
	v_mul_f64 v[97:98], v[119:120], v[107:108]
	v_fma_f64 v[125:126], v[117:118], v[105:106], -v[97:98]
	v_mul_f64 v[97:98], v[117:118], v[107:108]
	v_fma_f64 v[107:108], v[119:120], v[105:106], v[97:98]
	s_waitcnt lgkmcnt(0)
	v_mul_f64 v[97:98], v[103:104], v[107:108]
	v_fma_f64 v[97:98], v[101:102], v[125:126], -v[97:98]
	v_mul_f64 v[101:102], v[101:102], v[107:108]
	v_fma_f64 v[101:102], v[103:104], v[125:126], v[101:102]
	buffer_load_dword v103, off, s[24:27], 0 offset:304 ; 4-byte Folded Reload
	buffer_load_dword v104, off, s[24:27], 0 offset:308 ; 4-byte Folded Reload
	buffer_load_dword v105, off, s[24:27], 0 offset:312 ; 4-byte Folded Reload
	buffer_load_dword v106, off, s[24:27], 0 offset:316 ; 4-byte Folded Reload
	s_waitcnt vmcnt(2)
	v_add_f64 v[103:104], v[103:104], -v[97:98]
	s_waitcnt vmcnt(0)
	v_add_f64 v[105:106], v[105:106], -v[101:102]
	buffer_store_dword v103, off, s[24:27], 0 offset:304 ; 4-byte Folded Spill
	s_nop 0
	buffer_store_dword v104, off, s[24:27], 0 offset:308 ; 4-byte Folded Spill
	buffer_store_dword v105, off, s[24:27], 0 offset:312 ; 4-byte Folded Spill
	buffer_store_dword v106, off, s[24:27], 0 offset:316 ; 4-byte Folded Spill
	ds_read2_b64 v[101:104], v94 offset0:4 offset1:5
	s_waitcnt lgkmcnt(0)
	v_mul_f64 v[97:98], v[103:104], v[107:108]
	v_fma_f64 v[97:98], v[101:102], v[125:126], -v[97:98]
	v_mul_f64 v[101:102], v[101:102], v[107:108]
	v_fma_f64 v[101:102], v[103:104], v[125:126], v[101:102]
	buffer_load_dword v103, off, s[24:27], 0 offset:288 ; 4-byte Folded Reload
	buffer_load_dword v104, off, s[24:27], 0 offset:292 ; 4-byte Folded Reload
	buffer_load_dword v105, off, s[24:27], 0 offset:296 ; 4-byte Folded Reload
	buffer_load_dword v106, off, s[24:27], 0 offset:300 ; 4-byte Folded Reload
	s_waitcnt vmcnt(2)
	v_add_f64 v[103:104], v[103:104], -v[97:98]
	s_waitcnt vmcnt(0)
	v_add_f64 v[105:106], v[105:106], -v[101:102]
	buffer_store_dword v103, off, s[24:27], 0 offset:288 ; 4-byte Folded Spill
	s_nop 0
	buffer_store_dword v104, off, s[24:27], 0 offset:292 ; 4-byte Folded Spill
	buffer_store_dword v105, off, s[24:27], 0 offset:296 ; 4-byte Folded Spill
	buffer_store_dword v106, off, s[24:27], 0 offset:300 ; 4-byte Folded Spill
	ds_read2_b64 v[101:104], v94 offset0:6 offset1:7
	;; [unrolled: 19-line block ×19, first 2 shown]
	s_waitcnt lgkmcnt(0)
	v_mul_f64 v[97:98], v[103:104], v[107:108]
	v_fma_f64 v[97:98], v[101:102], v[125:126], -v[97:98]
	v_mul_f64 v[101:102], v[101:102], v[107:108]
	v_fma_f64 v[101:102], v[103:104], v[125:126], v[101:102]
	buffer_load_dword v103, off, s[24:27], 0 ; 4-byte Folded Reload
	buffer_load_dword v104, off, s[24:27], 0 offset:4 ; 4-byte Folded Reload
	buffer_load_dword v105, off, s[24:27], 0 offset:8 ; 4-byte Folded Reload
	;; [unrolled: 1-line block ×3, first 2 shown]
	s_waitcnt vmcnt(2)
	v_add_f64 v[103:104], v[103:104], -v[97:98]
	s_waitcnt vmcnt(0)
	v_add_f64 v[105:106], v[105:106], -v[101:102]
	buffer_store_dword v103, off, s[24:27], 0 ; 4-byte Folded Spill
	s_nop 0
	buffer_store_dword v104, off, s[24:27], 0 offset:4 ; 4-byte Folded Spill
	buffer_store_dword v105, off, s[24:27], 0 offset:8 ; 4-byte Folded Spill
	buffer_store_dword v106, off, s[24:27], 0 offset:12 ; 4-byte Folded Spill
	ds_read2_b64 v[101:104], v94 offset0:42 offset1:43
	v_mov_b32_e32 v105, v125
	v_mov_b32_e32 v106, v126
	s_waitcnt lgkmcnt(0)
	v_mul_f64 v[97:98], v[103:104], v[107:108]
	v_fma_f64 v[97:98], v[101:102], v[125:126], -v[97:98]
	v_mul_f64 v[101:102], v[101:102], v[107:108]
	v_add_f64 v[85:86], v[85:86], -v[97:98]
	v_fma_f64 v[101:102], v[103:104], v[125:126], v[101:102]
	v_add_f64 v[87:88], v[87:88], -v[101:102]
	ds_read2_b64 v[101:104], v94 offset0:44 offset1:45
	s_waitcnt lgkmcnt(0)
	v_mul_f64 v[97:98], v[103:104], v[107:108]
	v_fma_f64 v[97:98], v[101:102], v[125:126], -v[97:98]
	v_mul_f64 v[101:102], v[101:102], v[107:108]
	v_add_f64 v[81:82], v[81:82], -v[97:98]
	v_fma_f64 v[101:102], v[103:104], v[125:126], v[101:102]
	v_add_f64 v[83:84], v[83:84], -v[101:102]
	ds_read2_b64 v[101:104], v94 offset0:46 offset1:47
	;; [unrolled: 8-line block ×22, first 2 shown]
	s_waitcnt lgkmcnt(0)
	v_mul_f64 v[97:98], v[103:104], v[107:108]
	v_fma_f64 v[97:98], v[101:102], v[125:126], -v[97:98]
	v_mul_f64 v[101:102], v[101:102], v[107:108]
	buffer_store_dword v105, off, s[24:27], 0 offset:320 ; 4-byte Folded Spill
	s_nop 0
	buffer_store_dword v106, off, s[24:27], 0 offset:324 ; 4-byte Folded Spill
	buffer_store_dword v107, off, s[24:27], 0 offset:328 ; 4-byte Folded Spill
	;; [unrolled: 1-line block ×3, first 2 shown]
	v_add_f64 v[121:122], v[121:122], -v[97:98]
	v_fma_f64 v[101:102], v[103:104], v[125:126], v[101:102]
	v_add_f64 v[123:124], v[123:124], -v[101:102]
.LBB86_22:
	s_or_b64 exec, exec, s[0:1]
	s_waitcnt vmcnt(0)
	s_barrier
	buffer_load_dword v101, off, s[24:27], 0 offset:304 ; 4-byte Folded Reload
	buffer_load_dword v102, off, s[24:27], 0 offset:308 ; 4-byte Folded Reload
	;; [unrolled: 1-line block ×4, first 2 shown]
	v_lshl_add_u32 v97, v96, 4, v94
	s_cmp_lt_i32 s3, 3
	s_waitcnt vmcnt(0)
	ds_write2_b64 v97, v[101:102], v[103:104] offset1:1
	s_waitcnt lgkmcnt(0)
	s_barrier
	ds_read2_b64 v[117:120], v94 offset0:2 offset1:3
	v_mov_b32_e32 v97, 1
	s_cbranch_scc1 .LBB86_25
; %bb.23:
	v_add3_u32 v98, v99, 0, 32
	s_mov_b32 s0, 2
	v_mov_b32_e32 v97, 1
.LBB86_24:                              ; =>This Inner Loop Header: Depth=1
	s_waitcnt lgkmcnt(0)
	v_cmp_gt_f64_e32 vcc, 0, v[117:118]
	v_xor_b32_e32 v105, 0x80000000, v118
	ds_read2_b64 v[101:104], v98 offset1:1
	v_xor_b32_e32 v107, 0x80000000, v120
	v_add_u32_e32 v98, 16, v98
	s_waitcnt lgkmcnt(0)
	v_xor_b32_e32 v109, 0x80000000, v104
	v_cndmask_b32_e32 v106, v118, v105, vcc
	v_cmp_gt_f64_e32 vcc, 0, v[119:120]
	v_mov_b32_e32 v105, v117
	v_cndmask_b32_e32 v108, v120, v107, vcc
	v_cmp_gt_f64_e32 vcc, 0, v[101:102]
	v_mov_b32_e32 v107, v119
	v_add_f64 v[105:106], v[105:106], v[107:108]
	v_xor_b32_e32 v107, 0x80000000, v102
	v_cndmask_b32_e32 v108, v102, v107, vcc
	v_cmp_gt_f64_e32 vcc, 0, v[103:104]
	v_mov_b32_e32 v107, v101
	v_cndmask_b32_e32 v110, v104, v109, vcc
	v_mov_b32_e32 v109, v103
	v_add_f64 v[107:108], v[107:108], v[109:110]
	v_cmp_lt_f64_e32 vcc, v[105:106], v[107:108]
	v_cndmask_b32_e32 v117, v117, v101, vcc
	v_mov_b32_e32 v101, s0
	s_add_i32 s0, s0, 1
	v_cndmask_b32_e32 v118, v118, v102, vcc
	v_cndmask_b32_e32 v120, v120, v104, vcc
	v_cndmask_b32_e32 v119, v119, v103, vcc
	v_cndmask_b32_e32 v97, v97, v101, vcc
	s_cmp_lg_u32 s3, s0
	s_cbranch_scc1 .LBB86_24
.LBB86_25:
	s_waitcnt lgkmcnt(0)
	v_cmp_neq_f64_e32 vcc, 0, v[117:118]
	v_cmp_neq_f64_e64 s[0:1], 0, v[119:120]
	s_or_b64 s[18:19], vcc, s[0:1]
	s_and_saveexec_b64 s[0:1], s[18:19]
	s_cbranch_execz .LBB86_31
; %bb.26:
	v_cmp_ngt_f64_e64 s[18:19], |v[117:118]|, |v[119:120]|
	s_and_saveexec_b64 s[20:21], s[18:19]
	s_xor_b64 s[18:19], exec, s[20:21]
	s_cbranch_execz .LBB86_28
; %bb.27:
	v_div_scale_f64 v[101:102], s[20:21], v[119:120], v[119:120], v[117:118]
	v_rcp_f64_e32 v[103:104], v[101:102]
	v_fma_f64 v[105:106], -v[101:102], v[103:104], 1.0
	v_fma_f64 v[103:104], v[103:104], v[105:106], v[103:104]
	v_div_scale_f64 v[105:106], vcc, v[117:118], v[119:120], v[117:118]
	v_fma_f64 v[107:108], -v[101:102], v[103:104], 1.0
	v_fma_f64 v[103:104], v[103:104], v[107:108], v[103:104]
	v_mul_f64 v[107:108], v[105:106], v[103:104]
	v_fma_f64 v[101:102], -v[101:102], v[107:108], v[105:106]
	v_div_fmas_f64 v[101:102], v[101:102], v[103:104], v[107:108]
	v_div_fixup_f64 v[101:102], v[101:102], v[119:120], v[117:118]
	v_fma_f64 v[103:104], v[117:118], v[101:102], v[119:120]
	v_div_scale_f64 v[105:106], s[20:21], v[103:104], v[103:104], 1.0
	v_div_scale_f64 v[111:112], vcc, 1.0, v[103:104], 1.0
	v_rcp_f64_e32 v[107:108], v[105:106]
	v_fma_f64 v[109:110], -v[105:106], v[107:108], 1.0
	v_fma_f64 v[107:108], v[107:108], v[109:110], v[107:108]
	v_fma_f64 v[109:110], -v[105:106], v[107:108], 1.0
	v_fma_f64 v[107:108], v[107:108], v[109:110], v[107:108]
	v_mul_f64 v[109:110], v[111:112], v[107:108]
	v_fma_f64 v[105:106], -v[105:106], v[109:110], v[111:112]
	v_div_fmas_f64 v[105:106], v[105:106], v[107:108], v[109:110]
	v_div_fixup_f64 v[119:120], v[105:106], v[103:104], 1.0
	v_mul_f64 v[117:118], v[101:102], v[119:120]
	v_xor_b32_e32 v120, 0x80000000, v120
.LBB86_28:
	s_andn2_saveexec_b64 s[18:19], s[18:19]
	s_cbranch_execz .LBB86_30
; %bb.29:
	v_div_scale_f64 v[101:102], s[20:21], v[117:118], v[117:118], v[119:120]
	v_rcp_f64_e32 v[103:104], v[101:102]
	v_fma_f64 v[105:106], -v[101:102], v[103:104], 1.0
	v_fma_f64 v[103:104], v[103:104], v[105:106], v[103:104]
	v_div_scale_f64 v[105:106], vcc, v[119:120], v[117:118], v[119:120]
	v_fma_f64 v[107:108], -v[101:102], v[103:104], 1.0
	v_fma_f64 v[103:104], v[103:104], v[107:108], v[103:104]
	v_mul_f64 v[107:108], v[105:106], v[103:104]
	v_fma_f64 v[101:102], -v[101:102], v[107:108], v[105:106]
	v_div_fmas_f64 v[101:102], v[101:102], v[103:104], v[107:108]
	v_div_fixup_f64 v[101:102], v[101:102], v[117:118], v[119:120]
	v_fma_f64 v[103:104], v[119:120], v[101:102], v[117:118]
	v_div_scale_f64 v[105:106], s[20:21], v[103:104], v[103:104], 1.0
	v_div_scale_f64 v[111:112], vcc, 1.0, v[103:104], 1.0
	v_rcp_f64_e32 v[107:108], v[105:106]
	v_fma_f64 v[109:110], -v[105:106], v[107:108], 1.0
	v_fma_f64 v[107:108], v[107:108], v[109:110], v[107:108]
	v_fma_f64 v[109:110], -v[105:106], v[107:108], 1.0
	v_fma_f64 v[107:108], v[107:108], v[109:110], v[107:108]
	v_mul_f64 v[109:110], v[111:112], v[107:108]
	v_fma_f64 v[105:106], -v[105:106], v[109:110], v[111:112]
	v_div_fmas_f64 v[105:106], v[105:106], v[107:108], v[109:110]
	v_div_fixup_f64 v[117:118], v[105:106], v[103:104], 1.0
	v_mul_f64 v[119:120], v[101:102], -v[117:118]
.LBB86_30:
	s_or_b64 exec, exec, s[18:19]
	v_mov_b32_e32 v95, v100
.LBB86_31:
	s_or_b64 exec, exec, s[0:1]
	v_cmp_ne_u32_e32 vcc, v96, v97
	s_and_saveexec_b64 s[0:1], vcc
	s_xor_b64 s[0:1], exec, s[0:1]
	s_cbranch_execz .LBB86_37
; %bb.32:
	v_cmp_eq_u32_e32 vcc, 1, v96
	s_and_saveexec_b64 s[18:19], vcc
	s_cbranch_execz .LBB86_36
; %bb.33:
	v_cmp_ne_u32_e32 vcc, 1, v97
	s_xor_b64 s[20:21], s[6:7], -1
	s_and_b64 s[22:23], s[20:21], vcc
	s_and_saveexec_b64 s[20:21], s[22:23]
	s_cbranch_execz .LBB86_35
; %bb.34:
	v_ashrrev_i32_e32 v98, 31, v97
	v_lshlrev_b64 v[100:101], 2, v[97:98]
	v_add_co_u32_e32 v100, vcc, v91, v100
	v_addc_co_u32_e32 v101, vcc, v92, v101, vcc
	global_load_dword v0, v[100:101], off
	global_load_dword v96, v[91:92], off offset:4
	s_waitcnt vmcnt(1)
	global_store_dword v[91:92], v0, off offset:4
	s_waitcnt vmcnt(1)
	global_store_dword v[100:101], v96, off
.LBB86_35:
	s_or_b64 exec, exec, s[20:21]
	v_mov_b32_e32 v96, v97
	v_mov_b32_e32 v0, v97
.LBB86_36:
	s_or_b64 exec, exec, s[18:19]
.LBB86_37:
	s_andn2_saveexec_b64 s[0:1], s[0:1]
	s_cbranch_execz .LBB86_39
; %bb.38:
	buffer_load_dword v100, off, s[24:27], 0 offset:288 ; 4-byte Folded Reload
	buffer_load_dword v101, off, s[24:27], 0 offset:292 ; 4-byte Folded Reload
	;; [unrolled: 1-line block ×4, first 2 shown]
	v_mov_b32_e32 v96, 1
	s_waitcnt vmcnt(0)
	ds_write2_b64 v94, v[100:101], v[102:103] offset0:4 offset1:5
	buffer_load_dword v100, off, s[24:27], 0 offset:272 ; 4-byte Folded Reload
	buffer_load_dword v101, off, s[24:27], 0 offset:276 ; 4-byte Folded Reload
	buffer_load_dword v102, off, s[24:27], 0 offset:280 ; 4-byte Folded Reload
	buffer_load_dword v103, off, s[24:27], 0 offset:284 ; 4-byte Folded Reload
	s_waitcnt vmcnt(0)
	ds_write2_b64 v94, v[100:101], v[102:103] offset0:6 offset1:7
	buffer_load_dword v100, off, s[24:27], 0 offset:256 ; 4-byte Folded Reload
	buffer_load_dword v101, off, s[24:27], 0 offset:260 ; 4-byte Folded Reload
	buffer_load_dword v102, off, s[24:27], 0 offset:264 ; 4-byte Folded Reload
	buffer_load_dword v103, off, s[24:27], 0 offset:268 ; 4-byte Folded Reload
	;; [unrolled: 6-line block ×17, first 2 shown]
	s_waitcnt vmcnt(0)
	ds_write2_b64 v94, v[100:101], v[102:103] offset0:38 offset1:39
	buffer_load_dword v100, off, s[24:27], 0 ; 4-byte Folded Reload
	buffer_load_dword v101, off, s[24:27], 0 offset:4 ; 4-byte Folded Reload
	buffer_load_dword v102, off, s[24:27], 0 offset:8 ; 4-byte Folded Reload
	;; [unrolled: 1-line block ×3, first 2 shown]
	s_waitcnt vmcnt(0)
	ds_write2_b64 v94, v[100:101], v[102:103] offset0:40 offset1:41
	ds_write2_b64 v94, v[85:86], v[87:88] offset0:42 offset1:43
	ds_write2_b64 v94, v[81:82], v[83:84] offset0:44 offset1:45
	ds_write2_b64 v94, v[77:78], v[79:80] offset0:46 offset1:47
	ds_write2_b64 v94, v[73:74], v[75:76] offset0:48 offset1:49
	ds_write2_b64 v94, v[69:70], v[71:72] offset0:50 offset1:51
	ds_write2_b64 v94, v[65:66], v[67:68] offset0:52 offset1:53
	ds_write2_b64 v94, v[61:62], v[63:64] offset0:54 offset1:55
	ds_write2_b64 v94, v[57:58], v[59:60] offset0:56 offset1:57
	ds_write2_b64 v94, v[53:54], v[55:56] offset0:58 offset1:59
	ds_write2_b64 v94, v[49:50], v[51:52] offset0:60 offset1:61
	ds_write2_b64 v94, v[45:46], v[47:48] offset0:62 offset1:63
	ds_write2_b64 v94, v[41:42], v[43:44] offset0:64 offset1:65
	ds_write2_b64 v94, v[37:38], v[39:40] offset0:66 offset1:67
	ds_write2_b64 v94, v[33:34], v[35:36] offset0:68 offset1:69
	ds_write2_b64 v94, v[29:30], v[31:32] offset0:70 offset1:71
	ds_write2_b64 v94, v[25:26], v[27:28] offset0:72 offset1:73
	ds_write2_b64 v94, v[21:22], v[23:24] offset0:74 offset1:75
	ds_write2_b64 v94, v[17:18], v[19:20] offset0:76 offset1:77
	ds_write2_b64 v94, v[13:14], v[15:16] offset0:78 offset1:79
	ds_write2_b64 v94, v[9:10], v[11:12] offset0:80 offset1:81
	ds_write2_b64 v94, v[5:6], v[7:8] offset0:82 offset1:83
	ds_write2_b64 v94, v[1:2], v[3:4] offset0:84 offset1:85
	ds_write2_b64 v94, v[121:122], v[123:124] offset0:86 offset1:87
.LBB86_39:
	s_or_b64 exec, exec, s[0:1]
	v_cmp_lt_i32_e32 vcc, 1, v96
	s_waitcnt vmcnt(0) lgkmcnt(0)
	s_barrier
	s_and_saveexec_b64 s[0:1], vcc
	s_cbranch_execz .LBB86_41
; %bb.40:
	buffer_load_dword v104, off, s[24:27], 0 offset:304 ; 4-byte Folded Reload
	buffer_load_dword v105, off, s[24:27], 0 offset:308 ; 4-byte Folded Reload
	;; [unrolled: 1-line block ×4, first 2 shown]
	ds_read2_b64 v[100:103], v94 offset0:4 offset1:5
	s_waitcnt vmcnt(0)
	v_mul_f64 v[97:98], v[119:120], v[106:107]
	v_fma_f64 v[125:126], v[117:118], v[104:105], -v[97:98]
	v_mul_f64 v[97:98], v[117:118], v[106:107]
	v_fma_f64 v[106:107], v[119:120], v[104:105], v[97:98]
	s_waitcnt lgkmcnt(0)
	v_mul_f64 v[97:98], v[102:103], v[106:107]
	v_fma_f64 v[97:98], v[100:101], v[125:126], -v[97:98]
	v_mul_f64 v[100:101], v[100:101], v[106:107]
	v_fma_f64 v[100:101], v[102:103], v[125:126], v[100:101]
	buffer_load_dword v102, off, s[24:27], 0 offset:288 ; 4-byte Folded Reload
	buffer_load_dword v103, off, s[24:27], 0 offset:292 ; 4-byte Folded Reload
	buffer_load_dword v104, off, s[24:27], 0 offset:296 ; 4-byte Folded Reload
	buffer_load_dword v105, off, s[24:27], 0 offset:300 ; 4-byte Folded Reload
	s_waitcnt vmcnt(2)
	v_add_f64 v[102:103], v[102:103], -v[97:98]
	s_waitcnt vmcnt(0)
	v_add_f64 v[104:105], v[104:105], -v[100:101]
	buffer_store_dword v102, off, s[24:27], 0 offset:288 ; 4-byte Folded Spill
	s_nop 0
	buffer_store_dword v103, off, s[24:27], 0 offset:292 ; 4-byte Folded Spill
	buffer_store_dword v104, off, s[24:27], 0 offset:296 ; 4-byte Folded Spill
	buffer_store_dword v105, off, s[24:27], 0 offset:300 ; 4-byte Folded Spill
	ds_read2_b64 v[100:103], v94 offset0:6 offset1:7
	s_waitcnt lgkmcnt(0)
	v_mul_f64 v[97:98], v[102:103], v[106:107]
	v_fma_f64 v[97:98], v[100:101], v[125:126], -v[97:98]
	v_mul_f64 v[100:101], v[100:101], v[106:107]
	v_fma_f64 v[100:101], v[102:103], v[125:126], v[100:101]
	buffer_load_dword v102, off, s[24:27], 0 offset:272 ; 4-byte Folded Reload
	buffer_load_dword v103, off, s[24:27], 0 offset:276 ; 4-byte Folded Reload
	buffer_load_dword v104, off, s[24:27], 0 offset:280 ; 4-byte Folded Reload
	buffer_load_dword v105, off, s[24:27], 0 offset:284 ; 4-byte Folded Reload
	s_waitcnt vmcnt(2)
	v_add_f64 v[102:103], v[102:103], -v[97:98]
	s_waitcnt vmcnt(0)
	v_add_f64 v[104:105], v[104:105], -v[100:101]
	buffer_store_dword v102, off, s[24:27], 0 offset:272 ; 4-byte Folded Spill
	s_nop 0
	buffer_store_dword v103, off, s[24:27], 0 offset:276 ; 4-byte Folded Spill
	buffer_store_dword v104, off, s[24:27], 0 offset:280 ; 4-byte Folded Spill
	buffer_store_dword v105, off, s[24:27], 0 offset:284 ; 4-byte Folded Spill
	ds_read2_b64 v[100:103], v94 offset0:8 offset1:9
	;; [unrolled: 19-line block ×18, first 2 shown]
	s_waitcnt lgkmcnt(0)
	v_mul_f64 v[97:98], v[102:103], v[106:107]
	v_fma_f64 v[97:98], v[100:101], v[125:126], -v[97:98]
	v_mul_f64 v[100:101], v[100:101], v[106:107]
	v_fma_f64 v[100:101], v[102:103], v[125:126], v[100:101]
	buffer_load_dword v102, off, s[24:27], 0 ; 4-byte Folded Reload
	buffer_load_dword v103, off, s[24:27], 0 offset:4 ; 4-byte Folded Reload
	buffer_load_dword v104, off, s[24:27], 0 offset:8 ; 4-byte Folded Reload
	;; [unrolled: 1-line block ×3, first 2 shown]
	s_waitcnt vmcnt(2)
	v_add_f64 v[102:103], v[102:103], -v[97:98]
	s_waitcnt vmcnt(0)
	v_add_f64 v[104:105], v[104:105], -v[100:101]
	buffer_store_dword v102, off, s[24:27], 0 ; 4-byte Folded Spill
	s_nop 0
	buffer_store_dword v103, off, s[24:27], 0 offset:4 ; 4-byte Folded Spill
	buffer_store_dword v104, off, s[24:27], 0 offset:8 ; 4-byte Folded Spill
	;; [unrolled: 1-line block ×3, first 2 shown]
	ds_read2_b64 v[100:103], v94 offset0:42 offset1:43
	v_mov_b32_e32 v104, v125
	v_mov_b32_e32 v105, v126
	s_waitcnt lgkmcnt(0)
	v_mul_f64 v[97:98], v[102:103], v[106:107]
	v_fma_f64 v[97:98], v[100:101], v[125:126], -v[97:98]
	v_mul_f64 v[100:101], v[100:101], v[106:107]
	v_add_f64 v[85:86], v[85:86], -v[97:98]
	v_fma_f64 v[100:101], v[102:103], v[125:126], v[100:101]
	v_add_f64 v[87:88], v[87:88], -v[100:101]
	ds_read2_b64 v[100:103], v94 offset0:44 offset1:45
	s_waitcnt lgkmcnt(0)
	v_mul_f64 v[97:98], v[102:103], v[106:107]
	v_fma_f64 v[97:98], v[100:101], v[125:126], -v[97:98]
	v_mul_f64 v[100:101], v[100:101], v[106:107]
	v_add_f64 v[81:82], v[81:82], -v[97:98]
	v_fma_f64 v[100:101], v[102:103], v[125:126], v[100:101]
	v_add_f64 v[83:84], v[83:84], -v[100:101]
	ds_read2_b64 v[100:103], v94 offset0:46 offset1:47
	;; [unrolled: 8-line block ×22, first 2 shown]
	s_waitcnt lgkmcnt(0)
	v_mul_f64 v[97:98], v[102:103], v[106:107]
	v_fma_f64 v[97:98], v[100:101], v[125:126], -v[97:98]
	v_mul_f64 v[100:101], v[100:101], v[106:107]
	buffer_store_dword v104, off, s[24:27], 0 offset:304 ; 4-byte Folded Spill
	s_nop 0
	buffer_store_dword v105, off, s[24:27], 0 offset:308 ; 4-byte Folded Spill
	buffer_store_dword v106, off, s[24:27], 0 offset:312 ; 4-byte Folded Spill
	;; [unrolled: 1-line block ×3, first 2 shown]
	v_add_f64 v[121:122], v[121:122], -v[97:98]
	v_fma_f64 v[100:101], v[102:103], v[125:126], v[100:101]
	v_add_f64 v[123:124], v[123:124], -v[100:101]
.LBB86_41:
	s_or_b64 exec, exec, s[0:1]
	s_waitcnt vmcnt(0)
	s_barrier
	buffer_load_dword v100, off, s[24:27], 0 offset:288 ; 4-byte Folded Reload
	buffer_load_dword v101, off, s[24:27], 0 offset:292 ; 4-byte Folded Reload
	;; [unrolled: 1-line block ×4, first 2 shown]
	v_lshl_add_u32 v97, v96, 4, v94
	s_cmp_lt_i32 s3, 4
	s_waitcnt vmcnt(0)
	ds_write2_b64 v97, v[100:101], v[102:103] offset1:1
	s_waitcnt lgkmcnt(0)
	s_barrier
	ds_read2_b64 v[117:120], v94 offset0:4 offset1:5
	v_mov_b32_e32 v97, 2
	s_cbranch_scc1 .LBB86_44
; %bb.42:
	v_add3_u32 v98, v99, 0, 48
	s_mov_b32 s0, 3
	v_mov_b32_e32 v97, 2
.LBB86_43:                              ; =>This Inner Loop Header: Depth=1
	s_waitcnt lgkmcnt(0)
	v_cmp_gt_f64_e32 vcc, 0, v[117:118]
	v_xor_b32_e32 v104, 0x80000000, v118
	ds_read2_b64 v[100:103], v98 offset1:1
	v_xor_b32_e32 v106, 0x80000000, v120
	v_add_u32_e32 v98, 16, v98
	s_waitcnt lgkmcnt(0)
	v_xor_b32_e32 v108, 0x80000000, v103
	v_cndmask_b32_e32 v105, v118, v104, vcc
	v_cmp_gt_f64_e32 vcc, 0, v[119:120]
	v_mov_b32_e32 v104, v117
	v_cndmask_b32_e32 v107, v120, v106, vcc
	v_cmp_gt_f64_e32 vcc, 0, v[100:101]
	v_mov_b32_e32 v106, v119
	v_add_f64 v[104:105], v[104:105], v[106:107]
	v_xor_b32_e32 v106, 0x80000000, v101
	v_cndmask_b32_e32 v107, v101, v106, vcc
	v_cmp_gt_f64_e32 vcc, 0, v[102:103]
	v_mov_b32_e32 v106, v100
	v_cndmask_b32_e32 v109, v103, v108, vcc
	v_mov_b32_e32 v108, v102
	v_add_f64 v[106:107], v[106:107], v[108:109]
	v_cmp_lt_f64_e32 vcc, v[104:105], v[106:107]
	v_cndmask_b32_e32 v117, v117, v100, vcc
	v_mov_b32_e32 v100, s0
	s_add_i32 s0, s0, 1
	v_cndmask_b32_e32 v118, v118, v101, vcc
	v_cndmask_b32_e32 v120, v120, v103, vcc
	;; [unrolled: 1-line block ×4, first 2 shown]
	s_cmp_lg_u32 s3, s0
	s_cbranch_scc1 .LBB86_43
.LBB86_44:
	s_waitcnt lgkmcnt(0)
	v_cmp_eq_f64_e32 vcc, 0, v[117:118]
	v_cmp_eq_f64_e64 s[0:1], 0, v[119:120]
	s_and_b64 s[0:1], vcc, s[0:1]
	s_and_saveexec_b64 s[18:19], s[0:1]
	s_xor_b64 s[0:1], exec, s[18:19]
; %bb.45:
	v_cmp_ne_u32_e32 vcc, 0, v95
	v_cndmask_b32_e32 v95, 3, v95, vcc
; %bb.46:
	s_andn2_saveexec_b64 s[0:1], s[0:1]
	s_cbranch_execz .LBB86_52
; %bb.47:
	v_cmp_ngt_f64_e64 s[18:19], |v[117:118]|, |v[119:120]|
	s_and_saveexec_b64 s[20:21], s[18:19]
	s_xor_b64 s[18:19], exec, s[20:21]
	s_cbranch_execz .LBB86_49
; %bb.48:
	v_div_scale_f64 v[100:101], s[20:21], v[119:120], v[119:120], v[117:118]
	v_rcp_f64_e32 v[102:103], v[100:101]
	v_fma_f64 v[104:105], -v[100:101], v[102:103], 1.0
	v_fma_f64 v[102:103], v[102:103], v[104:105], v[102:103]
	v_div_scale_f64 v[104:105], vcc, v[117:118], v[119:120], v[117:118]
	v_fma_f64 v[106:107], -v[100:101], v[102:103], 1.0
	v_fma_f64 v[102:103], v[102:103], v[106:107], v[102:103]
	v_mul_f64 v[106:107], v[104:105], v[102:103]
	v_fma_f64 v[100:101], -v[100:101], v[106:107], v[104:105]
	v_div_fmas_f64 v[100:101], v[100:101], v[102:103], v[106:107]
	v_div_fixup_f64 v[100:101], v[100:101], v[119:120], v[117:118]
	v_fma_f64 v[102:103], v[117:118], v[100:101], v[119:120]
	v_div_scale_f64 v[104:105], s[20:21], v[102:103], v[102:103], 1.0
	v_div_scale_f64 v[110:111], vcc, 1.0, v[102:103], 1.0
	v_rcp_f64_e32 v[106:107], v[104:105]
	v_fma_f64 v[108:109], -v[104:105], v[106:107], 1.0
	v_fma_f64 v[106:107], v[106:107], v[108:109], v[106:107]
	v_fma_f64 v[108:109], -v[104:105], v[106:107], 1.0
	v_fma_f64 v[106:107], v[106:107], v[108:109], v[106:107]
	v_mul_f64 v[108:109], v[110:111], v[106:107]
	v_fma_f64 v[104:105], -v[104:105], v[108:109], v[110:111]
	v_div_fmas_f64 v[104:105], v[104:105], v[106:107], v[108:109]
	v_div_fixup_f64 v[119:120], v[104:105], v[102:103], 1.0
	v_mul_f64 v[117:118], v[100:101], v[119:120]
	v_xor_b32_e32 v120, 0x80000000, v120
.LBB86_49:
	s_andn2_saveexec_b64 s[18:19], s[18:19]
	s_cbranch_execz .LBB86_51
; %bb.50:
	v_div_scale_f64 v[100:101], s[20:21], v[117:118], v[117:118], v[119:120]
	v_rcp_f64_e32 v[102:103], v[100:101]
	v_fma_f64 v[104:105], -v[100:101], v[102:103], 1.0
	v_fma_f64 v[102:103], v[102:103], v[104:105], v[102:103]
	v_div_scale_f64 v[104:105], vcc, v[119:120], v[117:118], v[119:120]
	v_fma_f64 v[106:107], -v[100:101], v[102:103], 1.0
	v_fma_f64 v[102:103], v[102:103], v[106:107], v[102:103]
	v_mul_f64 v[106:107], v[104:105], v[102:103]
	v_fma_f64 v[100:101], -v[100:101], v[106:107], v[104:105]
	v_div_fmas_f64 v[100:101], v[100:101], v[102:103], v[106:107]
	v_div_fixup_f64 v[100:101], v[100:101], v[117:118], v[119:120]
	v_fma_f64 v[102:103], v[119:120], v[100:101], v[117:118]
	v_div_scale_f64 v[104:105], s[20:21], v[102:103], v[102:103], 1.0
	v_div_scale_f64 v[110:111], vcc, 1.0, v[102:103], 1.0
	v_rcp_f64_e32 v[106:107], v[104:105]
	v_fma_f64 v[108:109], -v[104:105], v[106:107], 1.0
	v_fma_f64 v[106:107], v[106:107], v[108:109], v[106:107]
	v_fma_f64 v[108:109], -v[104:105], v[106:107], 1.0
	v_fma_f64 v[106:107], v[106:107], v[108:109], v[106:107]
	v_mul_f64 v[108:109], v[110:111], v[106:107]
	v_fma_f64 v[104:105], -v[104:105], v[108:109], v[110:111]
	v_div_fmas_f64 v[104:105], v[104:105], v[106:107], v[108:109]
	v_div_fixup_f64 v[117:118], v[104:105], v[102:103], 1.0
	v_mul_f64 v[119:120], v[100:101], -v[117:118]
.LBB86_51:
	s_or_b64 exec, exec, s[18:19]
.LBB86_52:
	s_or_b64 exec, exec, s[0:1]
	v_cmp_ne_u32_e32 vcc, v96, v97
	s_and_saveexec_b64 s[0:1], vcc
	s_xor_b64 s[0:1], exec, s[0:1]
	s_cbranch_execz .LBB86_58
; %bb.53:
	v_cmp_eq_u32_e32 vcc, 2, v96
	s_and_saveexec_b64 s[18:19], vcc
	s_cbranch_execz .LBB86_57
; %bb.54:
	v_cmp_ne_u32_e32 vcc, 2, v97
	s_xor_b64 s[20:21], s[6:7], -1
	s_and_b64 s[22:23], s[20:21], vcc
	s_and_saveexec_b64 s[20:21], s[22:23]
	s_cbranch_execz .LBB86_56
; %bb.55:
	v_ashrrev_i32_e32 v98, 31, v97
	v_lshlrev_b64 v[100:101], 2, v[97:98]
	v_add_co_u32_e32 v100, vcc, v91, v100
	v_addc_co_u32_e32 v101, vcc, v92, v101, vcc
	global_load_dword v0, v[100:101], off
	global_load_dword v96, v[91:92], off offset:8
	s_waitcnt vmcnt(1)
	global_store_dword v[91:92], v0, off offset:8
	s_waitcnt vmcnt(1)
	global_store_dword v[100:101], v96, off
.LBB86_56:
	s_or_b64 exec, exec, s[20:21]
	v_mov_b32_e32 v96, v97
	v_mov_b32_e32 v0, v97
.LBB86_57:
	s_or_b64 exec, exec, s[18:19]
.LBB86_58:
	s_andn2_saveexec_b64 s[0:1], s[0:1]
	s_cbranch_execz .LBB86_60
; %bb.59:
	buffer_load_dword v100, off, s[24:27], 0 offset:272 ; 4-byte Folded Reload
	buffer_load_dword v101, off, s[24:27], 0 offset:276 ; 4-byte Folded Reload
	;; [unrolled: 1-line block ×4, first 2 shown]
	v_mov_b32_e32 v96, 2
	s_waitcnt vmcnt(0)
	ds_write2_b64 v94, v[100:101], v[102:103] offset0:6 offset1:7
	buffer_load_dword v100, off, s[24:27], 0 offset:256 ; 4-byte Folded Reload
	buffer_load_dword v101, off, s[24:27], 0 offset:260 ; 4-byte Folded Reload
	buffer_load_dword v102, off, s[24:27], 0 offset:264 ; 4-byte Folded Reload
	buffer_load_dword v103, off, s[24:27], 0 offset:268 ; 4-byte Folded Reload
	s_waitcnt vmcnt(0)
	ds_write2_b64 v94, v[100:101], v[102:103] offset0:8 offset1:9
	buffer_load_dword v100, off, s[24:27], 0 offset:240 ; 4-byte Folded Reload
	buffer_load_dword v101, off, s[24:27], 0 offset:244 ; 4-byte Folded Reload
	buffer_load_dword v102, off, s[24:27], 0 offset:248 ; 4-byte Folded Reload
	buffer_load_dword v103, off, s[24:27], 0 offset:252 ; 4-byte Folded Reload
	;; [unrolled: 6-line block ×16, first 2 shown]
	s_waitcnt vmcnt(0)
	ds_write2_b64 v94, v[100:101], v[102:103] offset0:38 offset1:39
	buffer_load_dword v100, off, s[24:27], 0 ; 4-byte Folded Reload
	buffer_load_dword v101, off, s[24:27], 0 offset:4 ; 4-byte Folded Reload
	buffer_load_dword v102, off, s[24:27], 0 offset:8 ; 4-byte Folded Reload
	;; [unrolled: 1-line block ×3, first 2 shown]
	s_waitcnt vmcnt(0)
	ds_write2_b64 v94, v[100:101], v[102:103] offset0:40 offset1:41
	ds_write2_b64 v94, v[85:86], v[87:88] offset0:42 offset1:43
	;; [unrolled: 1-line block ×24, first 2 shown]
.LBB86_60:
	s_or_b64 exec, exec, s[0:1]
	v_cmp_lt_i32_e32 vcc, 2, v96
	s_waitcnt vmcnt(0) lgkmcnt(0)
	s_barrier
	s_and_saveexec_b64 s[0:1], vcc
	s_cbranch_execz .LBB86_62
; %bb.61:
	buffer_load_dword v104, off, s[24:27], 0 offset:288 ; 4-byte Folded Reload
	buffer_load_dword v105, off, s[24:27], 0 offset:292 ; 4-byte Folded Reload
	;; [unrolled: 1-line block ×4, first 2 shown]
	ds_read2_b64 v[100:103], v94 offset0:6 offset1:7
	s_waitcnt vmcnt(0)
	v_mul_f64 v[97:98], v[119:120], v[106:107]
	v_fma_f64 v[125:126], v[117:118], v[104:105], -v[97:98]
	v_mul_f64 v[97:98], v[117:118], v[106:107]
	v_fma_f64 v[106:107], v[119:120], v[104:105], v[97:98]
	s_waitcnt lgkmcnt(0)
	v_mul_f64 v[97:98], v[102:103], v[106:107]
	v_fma_f64 v[97:98], v[100:101], v[125:126], -v[97:98]
	v_mul_f64 v[100:101], v[100:101], v[106:107]
	v_fma_f64 v[100:101], v[102:103], v[125:126], v[100:101]
	buffer_load_dword v102, off, s[24:27], 0 offset:272 ; 4-byte Folded Reload
	buffer_load_dword v103, off, s[24:27], 0 offset:276 ; 4-byte Folded Reload
	buffer_load_dword v104, off, s[24:27], 0 offset:280 ; 4-byte Folded Reload
	buffer_load_dword v105, off, s[24:27], 0 offset:284 ; 4-byte Folded Reload
	s_waitcnt vmcnt(2)
	v_add_f64 v[102:103], v[102:103], -v[97:98]
	s_waitcnt vmcnt(0)
	v_add_f64 v[104:105], v[104:105], -v[100:101]
	buffer_store_dword v102, off, s[24:27], 0 offset:272 ; 4-byte Folded Spill
	s_nop 0
	buffer_store_dword v103, off, s[24:27], 0 offset:276 ; 4-byte Folded Spill
	buffer_store_dword v104, off, s[24:27], 0 offset:280 ; 4-byte Folded Spill
	buffer_store_dword v105, off, s[24:27], 0 offset:284 ; 4-byte Folded Spill
	ds_read2_b64 v[100:103], v94 offset0:8 offset1:9
	s_waitcnt lgkmcnt(0)
	v_mul_f64 v[97:98], v[102:103], v[106:107]
	v_fma_f64 v[97:98], v[100:101], v[125:126], -v[97:98]
	v_mul_f64 v[100:101], v[100:101], v[106:107]
	v_fma_f64 v[100:101], v[102:103], v[125:126], v[100:101]
	buffer_load_dword v102, off, s[24:27], 0 offset:256 ; 4-byte Folded Reload
	buffer_load_dword v103, off, s[24:27], 0 offset:260 ; 4-byte Folded Reload
	buffer_load_dword v104, off, s[24:27], 0 offset:264 ; 4-byte Folded Reload
	buffer_load_dword v105, off, s[24:27], 0 offset:268 ; 4-byte Folded Reload
	s_waitcnt vmcnt(2)
	v_add_f64 v[102:103], v[102:103], -v[97:98]
	s_waitcnt vmcnt(0)
	v_add_f64 v[104:105], v[104:105], -v[100:101]
	buffer_store_dword v102, off, s[24:27], 0 offset:256 ; 4-byte Folded Spill
	s_nop 0
	buffer_store_dword v103, off, s[24:27], 0 offset:260 ; 4-byte Folded Spill
	buffer_store_dword v104, off, s[24:27], 0 offset:264 ; 4-byte Folded Spill
	buffer_store_dword v105, off, s[24:27], 0 offset:268 ; 4-byte Folded Spill
	ds_read2_b64 v[100:103], v94 offset0:10 offset1:11
	;; [unrolled: 19-line block ×17, first 2 shown]
	s_waitcnt lgkmcnt(0)
	v_mul_f64 v[97:98], v[102:103], v[106:107]
	v_fma_f64 v[97:98], v[100:101], v[125:126], -v[97:98]
	v_mul_f64 v[100:101], v[100:101], v[106:107]
	v_fma_f64 v[100:101], v[102:103], v[125:126], v[100:101]
	buffer_load_dword v102, off, s[24:27], 0 ; 4-byte Folded Reload
	buffer_load_dword v103, off, s[24:27], 0 offset:4 ; 4-byte Folded Reload
	buffer_load_dword v104, off, s[24:27], 0 offset:8 ; 4-byte Folded Reload
	;; [unrolled: 1-line block ×3, first 2 shown]
	s_waitcnt vmcnt(2)
	v_add_f64 v[102:103], v[102:103], -v[97:98]
	s_waitcnt vmcnt(0)
	v_add_f64 v[104:105], v[104:105], -v[100:101]
	buffer_store_dword v102, off, s[24:27], 0 ; 4-byte Folded Spill
	s_nop 0
	buffer_store_dword v103, off, s[24:27], 0 offset:4 ; 4-byte Folded Spill
	buffer_store_dword v104, off, s[24:27], 0 offset:8 ; 4-byte Folded Spill
	;; [unrolled: 1-line block ×3, first 2 shown]
	ds_read2_b64 v[100:103], v94 offset0:42 offset1:43
	v_mov_b32_e32 v104, v125
	v_mov_b32_e32 v105, v126
	s_waitcnt lgkmcnt(0)
	v_mul_f64 v[97:98], v[102:103], v[106:107]
	v_fma_f64 v[97:98], v[100:101], v[125:126], -v[97:98]
	v_mul_f64 v[100:101], v[100:101], v[106:107]
	v_add_f64 v[85:86], v[85:86], -v[97:98]
	v_fma_f64 v[100:101], v[102:103], v[125:126], v[100:101]
	v_add_f64 v[87:88], v[87:88], -v[100:101]
	ds_read2_b64 v[100:103], v94 offset0:44 offset1:45
	s_waitcnt lgkmcnt(0)
	v_mul_f64 v[97:98], v[102:103], v[106:107]
	v_fma_f64 v[97:98], v[100:101], v[125:126], -v[97:98]
	v_mul_f64 v[100:101], v[100:101], v[106:107]
	v_add_f64 v[81:82], v[81:82], -v[97:98]
	v_fma_f64 v[100:101], v[102:103], v[125:126], v[100:101]
	v_add_f64 v[83:84], v[83:84], -v[100:101]
	ds_read2_b64 v[100:103], v94 offset0:46 offset1:47
	;; [unrolled: 8-line block ×22, first 2 shown]
	s_waitcnt lgkmcnt(0)
	v_mul_f64 v[97:98], v[102:103], v[106:107]
	v_fma_f64 v[97:98], v[100:101], v[125:126], -v[97:98]
	v_mul_f64 v[100:101], v[100:101], v[106:107]
	buffer_store_dword v104, off, s[24:27], 0 offset:288 ; 4-byte Folded Spill
	s_nop 0
	buffer_store_dword v105, off, s[24:27], 0 offset:292 ; 4-byte Folded Spill
	buffer_store_dword v106, off, s[24:27], 0 offset:296 ; 4-byte Folded Spill
	;; [unrolled: 1-line block ×3, first 2 shown]
	v_add_f64 v[121:122], v[121:122], -v[97:98]
	v_fma_f64 v[100:101], v[102:103], v[125:126], v[100:101]
	v_add_f64 v[123:124], v[123:124], -v[100:101]
.LBB86_62:
	s_or_b64 exec, exec, s[0:1]
	s_waitcnt vmcnt(0)
	s_barrier
	buffer_load_dword v100, off, s[24:27], 0 offset:272 ; 4-byte Folded Reload
	buffer_load_dword v101, off, s[24:27], 0 offset:276 ; 4-byte Folded Reload
	;; [unrolled: 1-line block ×4, first 2 shown]
	v_lshl_add_u32 v97, v96, 4, v94
	s_mov_b32 s0, 4
	s_cmp_lt_i32 s3, 5
	s_waitcnt vmcnt(0)
	ds_write2_b64 v97, v[100:101], v[102:103] offset1:1
	s_waitcnt lgkmcnt(0)
	s_barrier
	ds_read2_b64 v[117:120], v94 offset0:6 offset1:7
	v_mov_b32_e32 v97, 3
	s_cbranch_scc1 .LBB86_65
; %bb.63:
	v_add3_u32 v98, v99, 0, 64
	v_mov_b32_e32 v97, 3
.LBB86_64:                              ; =>This Inner Loop Header: Depth=1
	s_waitcnt lgkmcnt(0)
	v_cmp_gt_f64_e32 vcc, 0, v[117:118]
	v_xor_b32_e32 v103, 0x80000000, v118
	ds_read2_b64 v[99:102], v98 offset1:1
	v_xor_b32_e32 v105, 0x80000000, v120
	v_add_u32_e32 v98, 16, v98
	s_waitcnt lgkmcnt(0)
	v_xor_b32_e32 v107, 0x80000000, v102
	v_cndmask_b32_e32 v104, v118, v103, vcc
	v_cmp_gt_f64_e32 vcc, 0, v[119:120]
	v_mov_b32_e32 v103, v117
	v_cndmask_b32_e32 v106, v120, v105, vcc
	v_cmp_gt_f64_e32 vcc, 0, v[99:100]
	v_mov_b32_e32 v105, v119
	v_add_f64 v[103:104], v[103:104], v[105:106]
	v_xor_b32_e32 v105, 0x80000000, v100
	v_cndmask_b32_e32 v106, v100, v105, vcc
	v_cmp_gt_f64_e32 vcc, 0, v[101:102]
	v_mov_b32_e32 v105, v99
	v_cndmask_b32_e32 v108, v102, v107, vcc
	v_mov_b32_e32 v107, v101
	v_add_f64 v[105:106], v[105:106], v[107:108]
	v_cmp_lt_f64_e32 vcc, v[103:104], v[105:106]
	v_cndmask_b32_e32 v117, v117, v99, vcc
	v_mov_b32_e32 v99, s0
	s_add_i32 s0, s0, 1
	v_cndmask_b32_e32 v118, v118, v100, vcc
	v_cndmask_b32_e32 v120, v120, v102, vcc
	;; [unrolled: 1-line block ×4, first 2 shown]
	s_cmp_lg_u32 s3, s0
	s_cbranch_scc1 .LBB86_64
.LBB86_65:
	s_waitcnt lgkmcnt(0)
	v_cmp_eq_f64_e32 vcc, 0, v[117:118]
	v_cmp_eq_f64_e64 s[0:1], 0, v[119:120]
	s_and_b64 s[0:1], vcc, s[0:1]
	s_and_saveexec_b64 s[18:19], s[0:1]
	s_xor_b64 s[0:1], exec, s[18:19]
; %bb.66:
	v_cmp_ne_u32_e32 vcc, 0, v95
	v_cndmask_b32_e32 v95, 4, v95, vcc
; %bb.67:
	s_andn2_saveexec_b64 s[0:1], s[0:1]
	s_cbranch_execz .LBB86_73
; %bb.68:
	v_cmp_ngt_f64_e64 s[18:19], |v[117:118]|, |v[119:120]|
	s_and_saveexec_b64 s[20:21], s[18:19]
	s_xor_b64 s[18:19], exec, s[20:21]
	s_cbranch_execz .LBB86_70
; %bb.69:
	v_div_scale_f64 v[98:99], s[20:21], v[119:120], v[119:120], v[117:118]
	v_rcp_f64_e32 v[100:101], v[98:99]
	v_fma_f64 v[102:103], -v[98:99], v[100:101], 1.0
	v_fma_f64 v[100:101], v[100:101], v[102:103], v[100:101]
	v_div_scale_f64 v[102:103], vcc, v[117:118], v[119:120], v[117:118]
	v_fma_f64 v[104:105], -v[98:99], v[100:101], 1.0
	v_fma_f64 v[100:101], v[100:101], v[104:105], v[100:101]
	v_mul_f64 v[104:105], v[102:103], v[100:101]
	v_fma_f64 v[98:99], -v[98:99], v[104:105], v[102:103]
	v_div_fmas_f64 v[98:99], v[98:99], v[100:101], v[104:105]
	v_div_fixup_f64 v[98:99], v[98:99], v[119:120], v[117:118]
	v_fma_f64 v[100:101], v[117:118], v[98:99], v[119:120]
	v_div_scale_f64 v[102:103], s[20:21], v[100:101], v[100:101], 1.0
	v_div_scale_f64 v[108:109], vcc, 1.0, v[100:101], 1.0
	v_rcp_f64_e32 v[104:105], v[102:103]
	v_fma_f64 v[106:107], -v[102:103], v[104:105], 1.0
	v_fma_f64 v[104:105], v[104:105], v[106:107], v[104:105]
	v_fma_f64 v[106:107], -v[102:103], v[104:105], 1.0
	v_fma_f64 v[104:105], v[104:105], v[106:107], v[104:105]
	v_mul_f64 v[106:107], v[108:109], v[104:105]
	v_fma_f64 v[102:103], -v[102:103], v[106:107], v[108:109]
	v_div_fmas_f64 v[102:103], v[102:103], v[104:105], v[106:107]
	v_div_fixup_f64 v[119:120], v[102:103], v[100:101], 1.0
	v_mul_f64 v[117:118], v[98:99], v[119:120]
	v_xor_b32_e32 v120, 0x80000000, v120
.LBB86_70:
	s_andn2_saveexec_b64 s[18:19], s[18:19]
	s_cbranch_execz .LBB86_72
; %bb.71:
	v_div_scale_f64 v[98:99], s[20:21], v[117:118], v[117:118], v[119:120]
	v_rcp_f64_e32 v[100:101], v[98:99]
	v_fma_f64 v[102:103], -v[98:99], v[100:101], 1.0
	v_fma_f64 v[100:101], v[100:101], v[102:103], v[100:101]
	v_div_scale_f64 v[102:103], vcc, v[119:120], v[117:118], v[119:120]
	v_fma_f64 v[104:105], -v[98:99], v[100:101], 1.0
	v_fma_f64 v[100:101], v[100:101], v[104:105], v[100:101]
	v_mul_f64 v[104:105], v[102:103], v[100:101]
	v_fma_f64 v[98:99], -v[98:99], v[104:105], v[102:103]
	v_div_fmas_f64 v[98:99], v[98:99], v[100:101], v[104:105]
	v_div_fixup_f64 v[98:99], v[98:99], v[117:118], v[119:120]
	v_fma_f64 v[100:101], v[119:120], v[98:99], v[117:118]
	v_div_scale_f64 v[102:103], s[20:21], v[100:101], v[100:101], 1.0
	v_div_scale_f64 v[108:109], vcc, 1.0, v[100:101], 1.0
	v_rcp_f64_e32 v[104:105], v[102:103]
	v_fma_f64 v[106:107], -v[102:103], v[104:105], 1.0
	v_fma_f64 v[104:105], v[104:105], v[106:107], v[104:105]
	v_fma_f64 v[106:107], -v[102:103], v[104:105], 1.0
	v_fma_f64 v[104:105], v[104:105], v[106:107], v[104:105]
	v_mul_f64 v[106:107], v[108:109], v[104:105]
	v_fma_f64 v[102:103], -v[102:103], v[106:107], v[108:109]
	v_div_fmas_f64 v[102:103], v[102:103], v[104:105], v[106:107]
	v_div_fixup_f64 v[117:118], v[102:103], v[100:101], 1.0
	v_mul_f64 v[119:120], v[98:99], -v[117:118]
.LBB86_72:
	s_or_b64 exec, exec, s[18:19]
.LBB86_73:
	s_or_b64 exec, exec, s[0:1]
	v_cmp_ne_u32_e32 vcc, v96, v97
	s_and_saveexec_b64 s[0:1], vcc
	s_xor_b64 s[0:1], exec, s[0:1]
	s_cbranch_execz .LBB86_79
; %bb.74:
	v_cmp_eq_u32_e32 vcc, 3, v96
	s_and_saveexec_b64 s[18:19], vcc
	s_cbranch_execz .LBB86_78
; %bb.75:
	v_cmp_ne_u32_e32 vcc, 3, v97
	s_xor_b64 s[20:21], s[6:7], -1
	s_and_b64 s[22:23], s[20:21], vcc
	s_and_saveexec_b64 s[20:21], s[22:23]
	s_cbranch_execz .LBB86_77
; %bb.76:
	v_ashrrev_i32_e32 v98, 31, v97
	v_lshlrev_b64 v[98:99], 2, v[97:98]
	v_add_co_u32_e32 v98, vcc, v91, v98
	v_addc_co_u32_e32 v99, vcc, v92, v99, vcc
	global_load_dword v0, v[98:99], off
	global_load_dword v96, v[91:92], off offset:12
	s_waitcnt vmcnt(1)
	global_store_dword v[91:92], v0, off offset:12
	s_waitcnt vmcnt(1)
	global_store_dword v[98:99], v96, off
.LBB86_77:
	s_or_b64 exec, exec, s[20:21]
	v_mov_b32_e32 v96, v97
	v_mov_b32_e32 v0, v97
.LBB86_78:
	s_or_b64 exec, exec, s[18:19]
.LBB86_79:
	s_andn2_saveexec_b64 s[0:1], s[0:1]
	s_cbranch_execz .LBB86_81
; %bb.80:
	buffer_load_dword v96, off, s[24:27], 0 offset:256 ; 4-byte Folded Reload
	buffer_load_dword v97, off, s[24:27], 0 offset:260 ; 4-byte Folded Reload
	buffer_load_dword v98, off, s[24:27], 0 offset:264 ; 4-byte Folded Reload
	buffer_load_dword v99, off, s[24:27], 0 offset:268 ; 4-byte Folded Reload
	s_waitcnt vmcnt(0)
	ds_write2_b64 v94, v[96:97], v[98:99] offset0:8 offset1:9
	buffer_load_dword v96, off, s[24:27], 0 offset:240 ; 4-byte Folded Reload
	buffer_load_dword v97, off, s[24:27], 0 offset:244 ; 4-byte Folded Reload
	buffer_load_dword v98, off, s[24:27], 0 offset:248 ; 4-byte Folded Reload
	buffer_load_dword v99, off, s[24:27], 0 offset:252 ; 4-byte Folded Reload
	s_waitcnt vmcnt(0)
	ds_write2_b64 v94, v[96:97], v[98:99] offset0:10 offset1:11
	;; [unrolled: 6-line block ×16, first 2 shown]
	buffer_load_dword v96, off, s[24:27], 0 ; 4-byte Folded Reload
	buffer_load_dword v97, off, s[24:27], 0 offset:4 ; 4-byte Folded Reload
	buffer_load_dword v98, off, s[24:27], 0 offset:8 ; 4-byte Folded Reload
	;; [unrolled: 1-line block ×3, first 2 shown]
	s_waitcnt vmcnt(0)
	ds_write2_b64 v94, v[96:97], v[98:99] offset0:40 offset1:41
	ds_write2_b64 v94, v[85:86], v[87:88] offset0:42 offset1:43
	;; [unrolled: 1-line block ×24, first 2 shown]
	v_mov_b32_e32 v96, 3
.LBB86_81:
	s_or_b64 exec, exec, s[0:1]
	v_cmp_lt_i32_e32 vcc, 3, v96
	s_waitcnt vmcnt(0) lgkmcnt(0)
	s_barrier
	s_and_saveexec_b64 s[0:1], vcc
	s_cbranch_execz .LBB86_83
; %bb.82:
	buffer_load_dword v105, off, s[24:27], 0 offset:272 ; 4-byte Folded Reload
	buffer_load_dword v106, off, s[24:27], 0 offset:276 ; 4-byte Folded Reload
	;; [unrolled: 1-line block ×4, first 2 shown]
	s_waitcnt vmcnt(0)
	v_mul_f64 v[97:98], v[119:120], v[107:108]
	v_fma_f64 v[125:126], v[117:118], v[105:106], -v[97:98]
	v_mul_f64 v[97:98], v[117:118], v[107:108]
	v_fma_f64 v[107:108], v[119:120], v[105:106], v[97:98]
	ds_read2_b64 v[97:100], v94 offset0:8 offset1:9
	buffer_load_dword v103, off, s[24:27], 0 offset:256 ; 4-byte Folded Reload
	buffer_load_dword v104, off, s[24:27], 0 offset:260 ; 4-byte Folded Reload
	buffer_load_dword v105, off, s[24:27], 0 offset:264 ; 4-byte Folded Reload
	buffer_load_dword v106, off, s[24:27], 0 offset:268 ; 4-byte Folded Reload
	s_waitcnt lgkmcnt(0)
	v_mul_f64 v[101:102], v[99:100], v[107:108]
	v_fma_f64 v[101:102], v[97:98], v[125:126], -v[101:102]
	v_mul_f64 v[97:98], v[97:98], v[107:108]
	v_fma_f64 v[97:98], v[99:100], v[125:126], v[97:98]
	s_waitcnt vmcnt(2)
	v_add_f64 v[103:104], v[103:104], -v[101:102]
	s_waitcnt vmcnt(0)
	v_add_f64 v[105:106], v[105:106], -v[97:98]
	buffer_store_dword v103, off, s[24:27], 0 offset:256 ; 4-byte Folded Spill
	s_nop 0
	buffer_store_dword v104, off, s[24:27], 0 offset:260 ; 4-byte Folded Spill
	buffer_store_dword v105, off, s[24:27], 0 offset:264 ; 4-byte Folded Spill
	buffer_store_dword v106, off, s[24:27], 0 offset:268 ; 4-byte Folded Spill
	ds_read2_b64 v[97:100], v94 offset0:10 offset1:11
	buffer_load_dword v103, off, s[24:27], 0 offset:240 ; 4-byte Folded Reload
	buffer_load_dword v104, off, s[24:27], 0 offset:244 ; 4-byte Folded Reload
	buffer_load_dword v105, off, s[24:27], 0 offset:248 ; 4-byte Folded Reload
	buffer_load_dword v106, off, s[24:27], 0 offset:252 ; 4-byte Folded Reload
	s_waitcnt lgkmcnt(0)
	v_mul_f64 v[101:102], v[99:100], v[107:108]
	v_fma_f64 v[101:102], v[97:98], v[125:126], -v[101:102]
	v_mul_f64 v[97:98], v[97:98], v[107:108]
	v_fma_f64 v[97:98], v[99:100], v[125:126], v[97:98]
	s_waitcnt vmcnt(2)
	v_add_f64 v[103:104], v[103:104], -v[101:102]
	s_waitcnt vmcnt(0)
	v_add_f64 v[105:106], v[105:106], -v[97:98]
	buffer_store_dword v103, off, s[24:27], 0 offset:240 ; 4-byte Folded Spill
	s_nop 0
	buffer_store_dword v104, off, s[24:27], 0 offset:244 ; 4-byte Folded Spill
	buffer_store_dword v105, off, s[24:27], 0 offset:248 ; 4-byte Folded Spill
	buffer_store_dword v106, off, s[24:27], 0 offset:252 ; 4-byte Folded Spill
	;; [unrolled: 19-line block ×16, first 2 shown]
	ds_read2_b64 v[97:100], v94 offset0:40 offset1:41
	buffer_load_dword v103, off, s[24:27], 0 ; 4-byte Folded Reload
	buffer_load_dword v104, off, s[24:27], 0 offset:4 ; 4-byte Folded Reload
	buffer_load_dword v105, off, s[24:27], 0 offset:8 ; 4-byte Folded Reload
	;; [unrolled: 1-line block ×3, first 2 shown]
	s_waitcnt lgkmcnt(0)
	v_mul_f64 v[101:102], v[99:100], v[107:108]
	v_fma_f64 v[101:102], v[97:98], v[125:126], -v[101:102]
	v_mul_f64 v[97:98], v[97:98], v[107:108]
	v_fma_f64 v[97:98], v[99:100], v[125:126], v[97:98]
	s_waitcnt vmcnt(2)
	v_add_f64 v[103:104], v[103:104], -v[101:102]
	s_waitcnt vmcnt(0)
	v_add_f64 v[105:106], v[105:106], -v[97:98]
	buffer_store_dword v103, off, s[24:27], 0 ; 4-byte Folded Spill
	s_nop 0
	buffer_store_dword v104, off, s[24:27], 0 offset:4 ; 4-byte Folded Spill
	buffer_store_dword v105, off, s[24:27], 0 offset:8 ; 4-byte Folded Spill
	;; [unrolled: 1-line block ×3, first 2 shown]
	ds_read2_b64 v[97:100], v94 offset0:42 offset1:43
	v_mov_b32_e32 v105, v125
	v_mov_b32_e32 v106, v126
	s_waitcnt lgkmcnt(0)
	v_mul_f64 v[101:102], v[99:100], v[107:108]
	v_fma_f64 v[101:102], v[97:98], v[125:126], -v[101:102]
	v_mul_f64 v[97:98], v[97:98], v[107:108]
	v_add_f64 v[85:86], v[85:86], -v[101:102]
	v_fma_f64 v[97:98], v[99:100], v[125:126], v[97:98]
	v_add_f64 v[87:88], v[87:88], -v[97:98]
	ds_read2_b64 v[97:100], v94 offset0:44 offset1:45
	s_waitcnt lgkmcnt(0)
	v_mul_f64 v[101:102], v[99:100], v[107:108]
	v_fma_f64 v[101:102], v[97:98], v[125:126], -v[101:102]
	v_mul_f64 v[97:98], v[97:98], v[107:108]
	v_add_f64 v[81:82], v[81:82], -v[101:102]
	v_fma_f64 v[97:98], v[99:100], v[125:126], v[97:98]
	v_add_f64 v[83:84], v[83:84], -v[97:98]
	ds_read2_b64 v[97:100], v94 offset0:46 offset1:47
	;; [unrolled: 8-line block ×22, first 2 shown]
	s_waitcnt lgkmcnt(0)
	v_mul_f64 v[101:102], v[99:100], v[107:108]
	v_fma_f64 v[101:102], v[97:98], v[125:126], -v[101:102]
	v_mul_f64 v[97:98], v[97:98], v[107:108]
	buffer_store_dword v105, off, s[24:27], 0 offset:272 ; 4-byte Folded Spill
	s_nop 0
	buffer_store_dword v106, off, s[24:27], 0 offset:276 ; 4-byte Folded Spill
	buffer_store_dword v107, off, s[24:27], 0 offset:280 ; 4-byte Folded Spill
	;; [unrolled: 1-line block ×3, first 2 shown]
	v_add_f64 v[121:122], v[121:122], -v[101:102]
	v_fma_f64 v[97:98], v[99:100], v[125:126], v[97:98]
	v_add_f64 v[123:124], v[123:124], -v[97:98]
.LBB86_83:
	s_or_b64 exec, exec, s[0:1]
	s_waitcnt vmcnt(0)
	s_barrier
	buffer_load_dword v98, off, s[24:27], 0 offset:256 ; 4-byte Folded Reload
	buffer_load_dword v99, off, s[24:27], 0 offset:260 ; 4-byte Folded Reload
	;; [unrolled: 1-line block ×4, first 2 shown]
	v_lshl_add_u32 v97, v96, 4, v94
	s_cmp_lt_i32 s3, 6
	s_waitcnt vmcnt(0)
	ds_write2_b64 v97, v[98:99], v[100:101] offset1:1
	s_waitcnt lgkmcnt(0)
	s_barrier
	ds_read2_b64 v[117:120], v94 offset0:8 offset1:9
	v_mov_b32_e32 v97, 4
	s_cbranch_scc1 .LBB86_86
; %bb.84:
	v_mov_b32_e32 v97, 4
	v_add_u32_e32 v98, 0x50, v94
	s_mov_b32 s0, 5
.LBB86_85:                              ; =>This Inner Loop Header: Depth=1
	s_waitcnt lgkmcnt(0)
	v_cmp_gt_f64_e32 vcc, 0, v[117:118]
	v_xor_b32_e32 v103, 0x80000000, v118
	ds_read2_b64 v[99:102], v98 offset1:1
	v_xor_b32_e32 v105, 0x80000000, v120
	v_add_u32_e32 v98, 16, v98
	s_waitcnt lgkmcnt(0)
	v_xor_b32_e32 v107, 0x80000000, v102
	v_cndmask_b32_e32 v104, v118, v103, vcc
	v_cmp_gt_f64_e32 vcc, 0, v[119:120]
	v_mov_b32_e32 v103, v117
	v_cndmask_b32_e32 v106, v120, v105, vcc
	v_cmp_gt_f64_e32 vcc, 0, v[99:100]
	v_mov_b32_e32 v105, v119
	v_add_f64 v[103:104], v[103:104], v[105:106]
	v_xor_b32_e32 v105, 0x80000000, v100
	v_cndmask_b32_e32 v106, v100, v105, vcc
	v_cmp_gt_f64_e32 vcc, 0, v[101:102]
	v_mov_b32_e32 v105, v99
	v_cndmask_b32_e32 v108, v102, v107, vcc
	v_mov_b32_e32 v107, v101
	v_add_f64 v[105:106], v[105:106], v[107:108]
	v_cmp_lt_f64_e32 vcc, v[103:104], v[105:106]
	v_cndmask_b32_e32 v117, v117, v99, vcc
	v_mov_b32_e32 v99, s0
	s_add_i32 s0, s0, 1
	v_cndmask_b32_e32 v118, v118, v100, vcc
	v_cndmask_b32_e32 v120, v120, v102, vcc
	;; [unrolled: 1-line block ×4, first 2 shown]
	s_cmp_lg_u32 s3, s0
	s_cbranch_scc1 .LBB86_85
.LBB86_86:
	s_waitcnt lgkmcnt(0)
	v_cmp_eq_f64_e32 vcc, 0, v[117:118]
	v_cmp_eq_f64_e64 s[0:1], 0, v[119:120]
	s_and_b64 s[0:1], vcc, s[0:1]
	s_and_saveexec_b64 s[18:19], s[0:1]
	s_xor_b64 s[0:1], exec, s[18:19]
; %bb.87:
	v_cmp_ne_u32_e32 vcc, 0, v95
	v_cndmask_b32_e32 v95, 5, v95, vcc
; %bb.88:
	s_andn2_saveexec_b64 s[0:1], s[0:1]
	s_cbranch_execz .LBB86_94
; %bb.89:
	v_cmp_ngt_f64_e64 s[18:19], |v[117:118]|, |v[119:120]|
	s_and_saveexec_b64 s[20:21], s[18:19]
	s_xor_b64 s[18:19], exec, s[20:21]
	s_cbranch_execz .LBB86_91
; %bb.90:
	v_div_scale_f64 v[98:99], s[20:21], v[119:120], v[119:120], v[117:118]
	v_rcp_f64_e32 v[100:101], v[98:99]
	v_fma_f64 v[102:103], -v[98:99], v[100:101], 1.0
	v_fma_f64 v[100:101], v[100:101], v[102:103], v[100:101]
	v_div_scale_f64 v[102:103], vcc, v[117:118], v[119:120], v[117:118]
	v_fma_f64 v[104:105], -v[98:99], v[100:101], 1.0
	v_fma_f64 v[100:101], v[100:101], v[104:105], v[100:101]
	v_mul_f64 v[104:105], v[102:103], v[100:101]
	v_fma_f64 v[98:99], -v[98:99], v[104:105], v[102:103]
	v_div_fmas_f64 v[98:99], v[98:99], v[100:101], v[104:105]
	v_div_fixup_f64 v[98:99], v[98:99], v[119:120], v[117:118]
	v_fma_f64 v[100:101], v[117:118], v[98:99], v[119:120]
	v_div_scale_f64 v[102:103], s[20:21], v[100:101], v[100:101], 1.0
	v_div_scale_f64 v[108:109], vcc, 1.0, v[100:101], 1.0
	v_rcp_f64_e32 v[104:105], v[102:103]
	v_fma_f64 v[106:107], -v[102:103], v[104:105], 1.0
	v_fma_f64 v[104:105], v[104:105], v[106:107], v[104:105]
	v_fma_f64 v[106:107], -v[102:103], v[104:105], 1.0
	v_fma_f64 v[104:105], v[104:105], v[106:107], v[104:105]
	v_mul_f64 v[106:107], v[108:109], v[104:105]
	v_fma_f64 v[102:103], -v[102:103], v[106:107], v[108:109]
	v_div_fmas_f64 v[102:103], v[102:103], v[104:105], v[106:107]
	v_div_fixup_f64 v[119:120], v[102:103], v[100:101], 1.0
	v_mul_f64 v[117:118], v[98:99], v[119:120]
	v_xor_b32_e32 v120, 0x80000000, v120
.LBB86_91:
	s_andn2_saveexec_b64 s[18:19], s[18:19]
	s_cbranch_execz .LBB86_93
; %bb.92:
	v_div_scale_f64 v[98:99], s[20:21], v[117:118], v[117:118], v[119:120]
	v_rcp_f64_e32 v[100:101], v[98:99]
	v_fma_f64 v[102:103], -v[98:99], v[100:101], 1.0
	v_fma_f64 v[100:101], v[100:101], v[102:103], v[100:101]
	v_div_scale_f64 v[102:103], vcc, v[119:120], v[117:118], v[119:120]
	v_fma_f64 v[104:105], -v[98:99], v[100:101], 1.0
	v_fma_f64 v[100:101], v[100:101], v[104:105], v[100:101]
	v_mul_f64 v[104:105], v[102:103], v[100:101]
	v_fma_f64 v[98:99], -v[98:99], v[104:105], v[102:103]
	v_div_fmas_f64 v[98:99], v[98:99], v[100:101], v[104:105]
	v_div_fixup_f64 v[98:99], v[98:99], v[117:118], v[119:120]
	v_fma_f64 v[100:101], v[119:120], v[98:99], v[117:118]
	v_div_scale_f64 v[102:103], s[20:21], v[100:101], v[100:101], 1.0
	v_div_scale_f64 v[108:109], vcc, 1.0, v[100:101], 1.0
	v_rcp_f64_e32 v[104:105], v[102:103]
	v_fma_f64 v[106:107], -v[102:103], v[104:105], 1.0
	v_fma_f64 v[104:105], v[104:105], v[106:107], v[104:105]
	v_fma_f64 v[106:107], -v[102:103], v[104:105], 1.0
	v_fma_f64 v[104:105], v[104:105], v[106:107], v[104:105]
	v_mul_f64 v[106:107], v[108:109], v[104:105]
	v_fma_f64 v[102:103], -v[102:103], v[106:107], v[108:109]
	v_div_fmas_f64 v[102:103], v[102:103], v[104:105], v[106:107]
	v_div_fixup_f64 v[117:118], v[102:103], v[100:101], 1.0
	v_mul_f64 v[119:120], v[98:99], -v[117:118]
.LBB86_93:
	s_or_b64 exec, exec, s[18:19]
.LBB86_94:
	s_or_b64 exec, exec, s[0:1]
	v_cmp_ne_u32_e32 vcc, v96, v97
	s_and_saveexec_b64 s[0:1], vcc
	s_xor_b64 s[0:1], exec, s[0:1]
	s_cbranch_execz .LBB86_100
; %bb.95:
	v_cmp_eq_u32_e32 vcc, 4, v96
	s_and_saveexec_b64 s[18:19], vcc
	s_cbranch_execz .LBB86_99
; %bb.96:
	v_cmp_ne_u32_e32 vcc, 4, v97
	s_xor_b64 s[20:21], s[6:7], -1
	s_and_b64 s[22:23], s[20:21], vcc
	s_and_saveexec_b64 s[20:21], s[22:23]
	s_cbranch_execz .LBB86_98
; %bb.97:
	v_ashrrev_i32_e32 v98, 31, v97
	v_lshlrev_b64 v[98:99], 2, v[97:98]
	v_add_co_u32_e32 v98, vcc, v91, v98
	v_addc_co_u32_e32 v99, vcc, v92, v99, vcc
	global_load_dword v0, v[98:99], off
	global_load_dword v96, v[91:92], off offset:16
	s_waitcnt vmcnt(1)
	global_store_dword v[91:92], v0, off offset:16
	s_waitcnt vmcnt(1)
	global_store_dword v[98:99], v96, off
.LBB86_98:
	s_or_b64 exec, exec, s[20:21]
	v_mov_b32_e32 v96, v97
	v_mov_b32_e32 v0, v97
.LBB86_99:
	s_or_b64 exec, exec, s[18:19]
.LBB86_100:
	s_andn2_saveexec_b64 s[0:1], s[0:1]
	s_cbranch_execz .LBB86_102
; %bb.101:
	buffer_load_dword v96, off, s[24:27], 0 offset:240 ; 4-byte Folded Reload
	buffer_load_dword v97, off, s[24:27], 0 offset:244 ; 4-byte Folded Reload
	buffer_load_dword v98, off, s[24:27], 0 offset:248 ; 4-byte Folded Reload
	buffer_load_dword v99, off, s[24:27], 0 offset:252 ; 4-byte Folded Reload
	s_waitcnt vmcnt(0)
	ds_write2_b64 v94, v[96:97], v[98:99] offset0:10 offset1:11
	buffer_load_dword v96, off, s[24:27], 0 offset:224 ; 4-byte Folded Reload
	buffer_load_dword v97, off, s[24:27], 0 offset:228 ; 4-byte Folded Reload
	buffer_load_dword v98, off, s[24:27], 0 offset:232 ; 4-byte Folded Reload
	buffer_load_dword v99, off, s[24:27], 0 offset:236 ; 4-byte Folded Reload
	s_waitcnt vmcnt(0)
	ds_write2_b64 v94, v[96:97], v[98:99] offset0:12 offset1:13
	;; [unrolled: 6-line block ×15, first 2 shown]
	buffer_load_dword v96, off, s[24:27], 0 ; 4-byte Folded Reload
	buffer_load_dword v97, off, s[24:27], 0 offset:4 ; 4-byte Folded Reload
	buffer_load_dword v98, off, s[24:27], 0 offset:8 ; 4-byte Folded Reload
	;; [unrolled: 1-line block ×3, first 2 shown]
	s_waitcnt vmcnt(0)
	ds_write2_b64 v94, v[96:97], v[98:99] offset0:40 offset1:41
	ds_write2_b64 v94, v[85:86], v[87:88] offset0:42 offset1:43
	;; [unrolled: 1-line block ×24, first 2 shown]
	v_mov_b32_e32 v96, 4
.LBB86_102:
	s_or_b64 exec, exec, s[0:1]
	v_cmp_lt_i32_e32 vcc, 4, v96
	s_waitcnt vmcnt(0) lgkmcnt(0)
	s_barrier
	s_and_saveexec_b64 s[0:1], vcc
	s_cbranch_execz .LBB86_104
; %bb.103:
	buffer_load_dword v105, off, s[24:27], 0 offset:256 ; 4-byte Folded Reload
	buffer_load_dword v106, off, s[24:27], 0 offset:260 ; 4-byte Folded Reload
	;; [unrolled: 1-line block ×4, first 2 shown]
	s_waitcnt vmcnt(0)
	v_mul_f64 v[97:98], v[119:120], v[107:108]
	v_fma_f64 v[125:126], v[117:118], v[105:106], -v[97:98]
	v_mul_f64 v[97:98], v[117:118], v[107:108]
	v_fma_f64 v[107:108], v[119:120], v[105:106], v[97:98]
	ds_read2_b64 v[97:100], v94 offset0:10 offset1:11
	buffer_load_dword v103, off, s[24:27], 0 offset:240 ; 4-byte Folded Reload
	buffer_load_dword v104, off, s[24:27], 0 offset:244 ; 4-byte Folded Reload
	buffer_load_dword v105, off, s[24:27], 0 offset:248 ; 4-byte Folded Reload
	buffer_load_dword v106, off, s[24:27], 0 offset:252 ; 4-byte Folded Reload
	s_waitcnt lgkmcnt(0)
	v_mul_f64 v[101:102], v[99:100], v[107:108]
	v_fma_f64 v[101:102], v[97:98], v[125:126], -v[101:102]
	v_mul_f64 v[97:98], v[97:98], v[107:108]
	v_fma_f64 v[97:98], v[99:100], v[125:126], v[97:98]
	s_waitcnt vmcnt(2)
	v_add_f64 v[103:104], v[103:104], -v[101:102]
	s_waitcnt vmcnt(0)
	v_add_f64 v[105:106], v[105:106], -v[97:98]
	buffer_store_dword v103, off, s[24:27], 0 offset:240 ; 4-byte Folded Spill
	s_nop 0
	buffer_store_dword v104, off, s[24:27], 0 offset:244 ; 4-byte Folded Spill
	buffer_store_dword v105, off, s[24:27], 0 offset:248 ; 4-byte Folded Spill
	buffer_store_dword v106, off, s[24:27], 0 offset:252 ; 4-byte Folded Spill
	ds_read2_b64 v[97:100], v94 offset0:12 offset1:13
	buffer_load_dword v103, off, s[24:27], 0 offset:224 ; 4-byte Folded Reload
	buffer_load_dword v104, off, s[24:27], 0 offset:228 ; 4-byte Folded Reload
	buffer_load_dword v105, off, s[24:27], 0 offset:232 ; 4-byte Folded Reload
	buffer_load_dword v106, off, s[24:27], 0 offset:236 ; 4-byte Folded Reload
	s_waitcnt lgkmcnt(0)
	v_mul_f64 v[101:102], v[99:100], v[107:108]
	v_fma_f64 v[101:102], v[97:98], v[125:126], -v[101:102]
	v_mul_f64 v[97:98], v[97:98], v[107:108]
	v_fma_f64 v[97:98], v[99:100], v[125:126], v[97:98]
	s_waitcnt vmcnt(2)
	v_add_f64 v[103:104], v[103:104], -v[101:102]
	s_waitcnt vmcnt(0)
	v_add_f64 v[105:106], v[105:106], -v[97:98]
	buffer_store_dword v103, off, s[24:27], 0 offset:224 ; 4-byte Folded Spill
	s_nop 0
	buffer_store_dword v104, off, s[24:27], 0 offset:228 ; 4-byte Folded Spill
	buffer_store_dword v105, off, s[24:27], 0 offset:232 ; 4-byte Folded Spill
	buffer_store_dword v106, off, s[24:27], 0 offset:236 ; 4-byte Folded Spill
	;; [unrolled: 19-line block ×15, first 2 shown]
	ds_read2_b64 v[97:100], v94 offset0:40 offset1:41
	buffer_load_dword v103, off, s[24:27], 0 ; 4-byte Folded Reload
	buffer_load_dword v104, off, s[24:27], 0 offset:4 ; 4-byte Folded Reload
	buffer_load_dword v105, off, s[24:27], 0 offset:8 ; 4-byte Folded Reload
	;; [unrolled: 1-line block ×3, first 2 shown]
	s_waitcnt lgkmcnt(0)
	v_mul_f64 v[101:102], v[99:100], v[107:108]
	v_fma_f64 v[101:102], v[97:98], v[125:126], -v[101:102]
	v_mul_f64 v[97:98], v[97:98], v[107:108]
	v_fma_f64 v[97:98], v[99:100], v[125:126], v[97:98]
	s_waitcnt vmcnt(2)
	v_add_f64 v[103:104], v[103:104], -v[101:102]
	s_waitcnt vmcnt(0)
	v_add_f64 v[105:106], v[105:106], -v[97:98]
	buffer_store_dword v103, off, s[24:27], 0 ; 4-byte Folded Spill
	s_nop 0
	buffer_store_dword v104, off, s[24:27], 0 offset:4 ; 4-byte Folded Spill
	buffer_store_dword v105, off, s[24:27], 0 offset:8 ; 4-byte Folded Spill
	;; [unrolled: 1-line block ×3, first 2 shown]
	ds_read2_b64 v[97:100], v94 offset0:42 offset1:43
	v_mov_b32_e32 v105, v125
	v_mov_b32_e32 v106, v126
	s_waitcnt lgkmcnt(0)
	v_mul_f64 v[101:102], v[99:100], v[107:108]
	v_fma_f64 v[101:102], v[97:98], v[125:126], -v[101:102]
	v_mul_f64 v[97:98], v[97:98], v[107:108]
	v_add_f64 v[85:86], v[85:86], -v[101:102]
	v_fma_f64 v[97:98], v[99:100], v[125:126], v[97:98]
	v_add_f64 v[87:88], v[87:88], -v[97:98]
	ds_read2_b64 v[97:100], v94 offset0:44 offset1:45
	s_waitcnt lgkmcnt(0)
	v_mul_f64 v[101:102], v[99:100], v[107:108]
	v_fma_f64 v[101:102], v[97:98], v[125:126], -v[101:102]
	v_mul_f64 v[97:98], v[97:98], v[107:108]
	v_add_f64 v[81:82], v[81:82], -v[101:102]
	v_fma_f64 v[97:98], v[99:100], v[125:126], v[97:98]
	v_add_f64 v[83:84], v[83:84], -v[97:98]
	ds_read2_b64 v[97:100], v94 offset0:46 offset1:47
	;; [unrolled: 8-line block ×22, first 2 shown]
	s_waitcnt lgkmcnt(0)
	v_mul_f64 v[101:102], v[99:100], v[107:108]
	v_fma_f64 v[101:102], v[97:98], v[125:126], -v[101:102]
	v_mul_f64 v[97:98], v[97:98], v[107:108]
	buffer_store_dword v105, off, s[24:27], 0 offset:256 ; 4-byte Folded Spill
	s_nop 0
	buffer_store_dword v106, off, s[24:27], 0 offset:260 ; 4-byte Folded Spill
	buffer_store_dword v107, off, s[24:27], 0 offset:264 ; 4-byte Folded Spill
	;; [unrolled: 1-line block ×3, first 2 shown]
	v_add_f64 v[121:122], v[121:122], -v[101:102]
	v_fma_f64 v[97:98], v[99:100], v[125:126], v[97:98]
	v_add_f64 v[123:124], v[123:124], -v[97:98]
.LBB86_104:
	s_or_b64 exec, exec, s[0:1]
	s_waitcnt vmcnt(0)
	s_barrier
	buffer_load_dword v98, off, s[24:27], 0 offset:240 ; 4-byte Folded Reload
	buffer_load_dword v99, off, s[24:27], 0 offset:244 ; 4-byte Folded Reload
	;; [unrolled: 1-line block ×4, first 2 shown]
	v_lshl_add_u32 v97, v96, 4, v94
	s_cmp_lt_i32 s3, 7
	s_waitcnt vmcnt(0)
	ds_write2_b64 v97, v[98:99], v[100:101] offset1:1
	s_waitcnt lgkmcnt(0)
	s_barrier
	ds_read2_b64 v[117:120], v94 offset0:10 offset1:11
	v_mov_b32_e32 v97, 5
	s_cbranch_scc1 .LBB86_107
; %bb.105:
	v_add_u32_e32 v98, 0x60, v94
	s_mov_b32 s0, 6
	v_mov_b32_e32 v97, 5
.LBB86_106:                             ; =>This Inner Loop Header: Depth=1
	s_waitcnt lgkmcnt(0)
	v_cmp_gt_f64_e32 vcc, 0, v[117:118]
	v_xor_b32_e32 v103, 0x80000000, v118
	ds_read2_b64 v[99:102], v98 offset1:1
	v_xor_b32_e32 v105, 0x80000000, v120
	v_add_u32_e32 v98, 16, v98
	s_waitcnt lgkmcnt(0)
	v_xor_b32_e32 v107, 0x80000000, v102
	v_cndmask_b32_e32 v104, v118, v103, vcc
	v_cmp_gt_f64_e32 vcc, 0, v[119:120]
	v_mov_b32_e32 v103, v117
	v_cndmask_b32_e32 v106, v120, v105, vcc
	v_cmp_gt_f64_e32 vcc, 0, v[99:100]
	v_mov_b32_e32 v105, v119
	v_add_f64 v[103:104], v[103:104], v[105:106]
	v_xor_b32_e32 v105, 0x80000000, v100
	v_cndmask_b32_e32 v106, v100, v105, vcc
	v_cmp_gt_f64_e32 vcc, 0, v[101:102]
	v_mov_b32_e32 v105, v99
	v_cndmask_b32_e32 v108, v102, v107, vcc
	v_mov_b32_e32 v107, v101
	v_add_f64 v[105:106], v[105:106], v[107:108]
	v_cmp_lt_f64_e32 vcc, v[103:104], v[105:106]
	v_cndmask_b32_e32 v117, v117, v99, vcc
	v_mov_b32_e32 v99, s0
	s_add_i32 s0, s0, 1
	v_cndmask_b32_e32 v118, v118, v100, vcc
	v_cndmask_b32_e32 v120, v120, v102, vcc
	;; [unrolled: 1-line block ×4, first 2 shown]
	s_cmp_lg_u32 s3, s0
	s_cbranch_scc1 .LBB86_106
.LBB86_107:
	s_waitcnt lgkmcnt(0)
	v_cmp_eq_f64_e32 vcc, 0, v[117:118]
	v_cmp_eq_f64_e64 s[0:1], 0, v[119:120]
	s_and_b64 s[0:1], vcc, s[0:1]
	s_and_saveexec_b64 s[18:19], s[0:1]
	s_xor_b64 s[0:1], exec, s[18:19]
; %bb.108:
	v_cmp_ne_u32_e32 vcc, 0, v95
	v_cndmask_b32_e32 v95, 6, v95, vcc
; %bb.109:
	s_andn2_saveexec_b64 s[0:1], s[0:1]
	s_cbranch_execz .LBB86_115
; %bb.110:
	v_cmp_ngt_f64_e64 s[18:19], |v[117:118]|, |v[119:120]|
	s_and_saveexec_b64 s[20:21], s[18:19]
	s_xor_b64 s[18:19], exec, s[20:21]
	s_cbranch_execz .LBB86_112
; %bb.111:
	v_div_scale_f64 v[98:99], s[20:21], v[119:120], v[119:120], v[117:118]
	v_rcp_f64_e32 v[100:101], v[98:99]
	v_fma_f64 v[102:103], -v[98:99], v[100:101], 1.0
	v_fma_f64 v[100:101], v[100:101], v[102:103], v[100:101]
	v_div_scale_f64 v[102:103], vcc, v[117:118], v[119:120], v[117:118]
	v_fma_f64 v[104:105], -v[98:99], v[100:101], 1.0
	v_fma_f64 v[100:101], v[100:101], v[104:105], v[100:101]
	v_mul_f64 v[104:105], v[102:103], v[100:101]
	v_fma_f64 v[98:99], -v[98:99], v[104:105], v[102:103]
	v_div_fmas_f64 v[98:99], v[98:99], v[100:101], v[104:105]
	v_div_fixup_f64 v[98:99], v[98:99], v[119:120], v[117:118]
	v_fma_f64 v[100:101], v[117:118], v[98:99], v[119:120]
	v_div_scale_f64 v[102:103], s[20:21], v[100:101], v[100:101], 1.0
	v_div_scale_f64 v[108:109], vcc, 1.0, v[100:101], 1.0
	v_rcp_f64_e32 v[104:105], v[102:103]
	v_fma_f64 v[106:107], -v[102:103], v[104:105], 1.0
	v_fma_f64 v[104:105], v[104:105], v[106:107], v[104:105]
	v_fma_f64 v[106:107], -v[102:103], v[104:105], 1.0
	v_fma_f64 v[104:105], v[104:105], v[106:107], v[104:105]
	v_mul_f64 v[106:107], v[108:109], v[104:105]
	v_fma_f64 v[102:103], -v[102:103], v[106:107], v[108:109]
	v_div_fmas_f64 v[102:103], v[102:103], v[104:105], v[106:107]
	v_div_fixup_f64 v[119:120], v[102:103], v[100:101], 1.0
	v_mul_f64 v[117:118], v[98:99], v[119:120]
	v_xor_b32_e32 v120, 0x80000000, v120
.LBB86_112:
	s_andn2_saveexec_b64 s[18:19], s[18:19]
	s_cbranch_execz .LBB86_114
; %bb.113:
	v_div_scale_f64 v[98:99], s[20:21], v[117:118], v[117:118], v[119:120]
	v_rcp_f64_e32 v[100:101], v[98:99]
	v_fma_f64 v[102:103], -v[98:99], v[100:101], 1.0
	v_fma_f64 v[100:101], v[100:101], v[102:103], v[100:101]
	v_div_scale_f64 v[102:103], vcc, v[119:120], v[117:118], v[119:120]
	v_fma_f64 v[104:105], -v[98:99], v[100:101], 1.0
	v_fma_f64 v[100:101], v[100:101], v[104:105], v[100:101]
	v_mul_f64 v[104:105], v[102:103], v[100:101]
	v_fma_f64 v[98:99], -v[98:99], v[104:105], v[102:103]
	v_div_fmas_f64 v[98:99], v[98:99], v[100:101], v[104:105]
	v_div_fixup_f64 v[98:99], v[98:99], v[117:118], v[119:120]
	v_fma_f64 v[100:101], v[119:120], v[98:99], v[117:118]
	v_div_scale_f64 v[102:103], s[20:21], v[100:101], v[100:101], 1.0
	v_div_scale_f64 v[108:109], vcc, 1.0, v[100:101], 1.0
	v_rcp_f64_e32 v[104:105], v[102:103]
	v_fma_f64 v[106:107], -v[102:103], v[104:105], 1.0
	v_fma_f64 v[104:105], v[104:105], v[106:107], v[104:105]
	v_fma_f64 v[106:107], -v[102:103], v[104:105], 1.0
	v_fma_f64 v[104:105], v[104:105], v[106:107], v[104:105]
	v_mul_f64 v[106:107], v[108:109], v[104:105]
	v_fma_f64 v[102:103], -v[102:103], v[106:107], v[108:109]
	v_div_fmas_f64 v[102:103], v[102:103], v[104:105], v[106:107]
	v_div_fixup_f64 v[117:118], v[102:103], v[100:101], 1.0
	v_mul_f64 v[119:120], v[98:99], -v[117:118]
.LBB86_114:
	s_or_b64 exec, exec, s[18:19]
.LBB86_115:
	s_or_b64 exec, exec, s[0:1]
	v_cmp_ne_u32_e32 vcc, v96, v97
	s_and_saveexec_b64 s[0:1], vcc
	s_xor_b64 s[0:1], exec, s[0:1]
	s_cbranch_execz .LBB86_121
; %bb.116:
	v_cmp_eq_u32_e32 vcc, 5, v96
	s_and_saveexec_b64 s[18:19], vcc
	s_cbranch_execz .LBB86_120
; %bb.117:
	v_cmp_ne_u32_e32 vcc, 5, v97
	s_xor_b64 s[20:21], s[6:7], -1
	s_and_b64 s[22:23], s[20:21], vcc
	s_and_saveexec_b64 s[20:21], s[22:23]
	s_cbranch_execz .LBB86_119
; %bb.118:
	v_ashrrev_i32_e32 v98, 31, v97
	v_lshlrev_b64 v[98:99], 2, v[97:98]
	v_add_co_u32_e32 v98, vcc, v91, v98
	v_addc_co_u32_e32 v99, vcc, v92, v99, vcc
	global_load_dword v0, v[98:99], off
	global_load_dword v96, v[91:92], off offset:20
	s_waitcnt vmcnt(1)
	global_store_dword v[91:92], v0, off offset:20
	s_waitcnt vmcnt(1)
	global_store_dword v[98:99], v96, off
.LBB86_119:
	s_or_b64 exec, exec, s[20:21]
	v_mov_b32_e32 v96, v97
	v_mov_b32_e32 v0, v97
.LBB86_120:
	s_or_b64 exec, exec, s[18:19]
.LBB86_121:
	s_andn2_saveexec_b64 s[0:1], s[0:1]
	s_cbranch_execz .LBB86_123
; %bb.122:
	buffer_load_dword v96, off, s[24:27], 0 offset:224 ; 4-byte Folded Reload
	buffer_load_dword v97, off, s[24:27], 0 offset:228 ; 4-byte Folded Reload
	buffer_load_dword v98, off, s[24:27], 0 offset:232 ; 4-byte Folded Reload
	buffer_load_dword v99, off, s[24:27], 0 offset:236 ; 4-byte Folded Reload
	s_waitcnt vmcnt(0)
	ds_write2_b64 v94, v[96:97], v[98:99] offset0:12 offset1:13
	buffer_load_dword v96, off, s[24:27], 0 offset:208 ; 4-byte Folded Reload
	buffer_load_dword v97, off, s[24:27], 0 offset:212 ; 4-byte Folded Reload
	buffer_load_dword v98, off, s[24:27], 0 offset:216 ; 4-byte Folded Reload
	buffer_load_dword v99, off, s[24:27], 0 offset:220 ; 4-byte Folded Reload
	s_waitcnt vmcnt(0)
	ds_write2_b64 v94, v[96:97], v[98:99] offset0:14 offset1:15
	;; [unrolled: 6-line block ×14, first 2 shown]
	buffer_load_dword v96, off, s[24:27], 0 ; 4-byte Folded Reload
	buffer_load_dword v97, off, s[24:27], 0 offset:4 ; 4-byte Folded Reload
	buffer_load_dword v98, off, s[24:27], 0 offset:8 ; 4-byte Folded Reload
	;; [unrolled: 1-line block ×3, first 2 shown]
	s_waitcnt vmcnt(0)
	ds_write2_b64 v94, v[96:97], v[98:99] offset0:40 offset1:41
	ds_write2_b64 v94, v[85:86], v[87:88] offset0:42 offset1:43
	ds_write2_b64 v94, v[81:82], v[83:84] offset0:44 offset1:45
	ds_write2_b64 v94, v[77:78], v[79:80] offset0:46 offset1:47
	ds_write2_b64 v94, v[73:74], v[75:76] offset0:48 offset1:49
	ds_write2_b64 v94, v[69:70], v[71:72] offset0:50 offset1:51
	ds_write2_b64 v94, v[65:66], v[67:68] offset0:52 offset1:53
	ds_write2_b64 v94, v[61:62], v[63:64] offset0:54 offset1:55
	ds_write2_b64 v94, v[57:58], v[59:60] offset0:56 offset1:57
	ds_write2_b64 v94, v[53:54], v[55:56] offset0:58 offset1:59
	ds_write2_b64 v94, v[49:50], v[51:52] offset0:60 offset1:61
	ds_write2_b64 v94, v[45:46], v[47:48] offset0:62 offset1:63
	ds_write2_b64 v94, v[41:42], v[43:44] offset0:64 offset1:65
	ds_write2_b64 v94, v[37:38], v[39:40] offset0:66 offset1:67
	ds_write2_b64 v94, v[33:34], v[35:36] offset0:68 offset1:69
	ds_write2_b64 v94, v[29:30], v[31:32] offset0:70 offset1:71
	ds_write2_b64 v94, v[25:26], v[27:28] offset0:72 offset1:73
	ds_write2_b64 v94, v[21:22], v[23:24] offset0:74 offset1:75
	ds_write2_b64 v94, v[17:18], v[19:20] offset0:76 offset1:77
	ds_write2_b64 v94, v[13:14], v[15:16] offset0:78 offset1:79
	ds_write2_b64 v94, v[9:10], v[11:12] offset0:80 offset1:81
	ds_write2_b64 v94, v[5:6], v[7:8] offset0:82 offset1:83
	ds_write2_b64 v94, v[1:2], v[3:4] offset0:84 offset1:85
	ds_write2_b64 v94, v[121:122], v[123:124] offset0:86 offset1:87
	v_mov_b32_e32 v96, 5
.LBB86_123:
	s_or_b64 exec, exec, s[0:1]
	v_cmp_lt_i32_e32 vcc, 5, v96
	s_waitcnt vmcnt(0) lgkmcnt(0)
	s_barrier
	s_and_saveexec_b64 s[0:1], vcc
	s_cbranch_execz .LBB86_125
; %bb.124:
	buffer_load_dword v105, off, s[24:27], 0 offset:240 ; 4-byte Folded Reload
	buffer_load_dword v106, off, s[24:27], 0 offset:244 ; 4-byte Folded Reload
	;; [unrolled: 1-line block ×4, first 2 shown]
	s_waitcnt vmcnt(0)
	v_mul_f64 v[97:98], v[119:120], v[107:108]
	v_fma_f64 v[125:126], v[117:118], v[105:106], -v[97:98]
	v_mul_f64 v[97:98], v[117:118], v[107:108]
	v_fma_f64 v[107:108], v[119:120], v[105:106], v[97:98]
	ds_read2_b64 v[97:100], v94 offset0:12 offset1:13
	buffer_load_dword v103, off, s[24:27], 0 offset:224 ; 4-byte Folded Reload
	buffer_load_dword v104, off, s[24:27], 0 offset:228 ; 4-byte Folded Reload
	buffer_load_dword v105, off, s[24:27], 0 offset:232 ; 4-byte Folded Reload
	buffer_load_dword v106, off, s[24:27], 0 offset:236 ; 4-byte Folded Reload
	s_waitcnt lgkmcnt(0)
	v_mul_f64 v[101:102], v[99:100], v[107:108]
	v_fma_f64 v[101:102], v[97:98], v[125:126], -v[101:102]
	v_mul_f64 v[97:98], v[97:98], v[107:108]
	v_fma_f64 v[97:98], v[99:100], v[125:126], v[97:98]
	s_waitcnt vmcnt(2)
	v_add_f64 v[103:104], v[103:104], -v[101:102]
	s_waitcnt vmcnt(0)
	v_add_f64 v[105:106], v[105:106], -v[97:98]
	buffer_store_dword v103, off, s[24:27], 0 offset:224 ; 4-byte Folded Spill
	s_nop 0
	buffer_store_dword v104, off, s[24:27], 0 offset:228 ; 4-byte Folded Spill
	buffer_store_dword v105, off, s[24:27], 0 offset:232 ; 4-byte Folded Spill
	buffer_store_dword v106, off, s[24:27], 0 offset:236 ; 4-byte Folded Spill
	ds_read2_b64 v[97:100], v94 offset0:14 offset1:15
	buffer_load_dword v103, off, s[24:27], 0 offset:208 ; 4-byte Folded Reload
	buffer_load_dword v104, off, s[24:27], 0 offset:212 ; 4-byte Folded Reload
	buffer_load_dword v105, off, s[24:27], 0 offset:216 ; 4-byte Folded Reload
	buffer_load_dword v106, off, s[24:27], 0 offset:220 ; 4-byte Folded Reload
	s_waitcnt lgkmcnt(0)
	v_mul_f64 v[101:102], v[99:100], v[107:108]
	v_fma_f64 v[101:102], v[97:98], v[125:126], -v[101:102]
	v_mul_f64 v[97:98], v[97:98], v[107:108]
	v_fma_f64 v[97:98], v[99:100], v[125:126], v[97:98]
	s_waitcnt vmcnt(2)
	v_add_f64 v[103:104], v[103:104], -v[101:102]
	s_waitcnt vmcnt(0)
	v_add_f64 v[105:106], v[105:106], -v[97:98]
	buffer_store_dword v103, off, s[24:27], 0 offset:208 ; 4-byte Folded Spill
	s_nop 0
	buffer_store_dword v104, off, s[24:27], 0 offset:212 ; 4-byte Folded Spill
	buffer_store_dword v105, off, s[24:27], 0 offset:216 ; 4-byte Folded Spill
	buffer_store_dword v106, off, s[24:27], 0 offset:220 ; 4-byte Folded Spill
	;; [unrolled: 19-line block ×14, first 2 shown]
	ds_read2_b64 v[97:100], v94 offset0:40 offset1:41
	buffer_load_dword v103, off, s[24:27], 0 ; 4-byte Folded Reload
	buffer_load_dword v104, off, s[24:27], 0 offset:4 ; 4-byte Folded Reload
	buffer_load_dword v105, off, s[24:27], 0 offset:8 ; 4-byte Folded Reload
	;; [unrolled: 1-line block ×3, first 2 shown]
	s_waitcnt lgkmcnt(0)
	v_mul_f64 v[101:102], v[99:100], v[107:108]
	v_fma_f64 v[101:102], v[97:98], v[125:126], -v[101:102]
	v_mul_f64 v[97:98], v[97:98], v[107:108]
	v_fma_f64 v[97:98], v[99:100], v[125:126], v[97:98]
	s_waitcnt vmcnt(2)
	v_add_f64 v[103:104], v[103:104], -v[101:102]
	s_waitcnt vmcnt(0)
	v_add_f64 v[105:106], v[105:106], -v[97:98]
	buffer_store_dword v103, off, s[24:27], 0 ; 4-byte Folded Spill
	s_nop 0
	buffer_store_dword v104, off, s[24:27], 0 offset:4 ; 4-byte Folded Spill
	buffer_store_dword v105, off, s[24:27], 0 offset:8 ; 4-byte Folded Spill
	buffer_store_dword v106, off, s[24:27], 0 offset:12 ; 4-byte Folded Spill
	ds_read2_b64 v[97:100], v94 offset0:42 offset1:43
	v_mov_b32_e32 v105, v125
	v_mov_b32_e32 v106, v126
	s_waitcnt lgkmcnt(0)
	v_mul_f64 v[101:102], v[99:100], v[107:108]
	v_fma_f64 v[101:102], v[97:98], v[125:126], -v[101:102]
	v_mul_f64 v[97:98], v[97:98], v[107:108]
	v_add_f64 v[85:86], v[85:86], -v[101:102]
	v_fma_f64 v[97:98], v[99:100], v[125:126], v[97:98]
	v_add_f64 v[87:88], v[87:88], -v[97:98]
	ds_read2_b64 v[97:100], v94 offset0:44 offset1:45
	s_waitcnt lgkmcnt(0)
	v_mul_f64 v[101:102], v[99:100], v[107:108]
	v_fma_f64 v[101:102], v[97:98], v[125:126], -v[101:102]
	v_mul_f64 v[97:98], v[97:98], v[107:108]
	v_add_f64 v[81:82], v[81:82], -v[101:102]
	v_fma_f64 v[97:98], v[99:100], v[125:126], v[97:98]
	v_add_f64 v[83:84], v[83:84], -v[97:98]
	ds_read2_b64 v[97:100], v94 offset0:46 offset1:47
	;; [unrolled: 8-line block ×22, first 2 shown]
	s_waitcnt lgkmcnt(0)
	v_mul_f64 v[101:102], v[99:100], v[107:108]
	v_fma_f64 v[101:102], v[97:98], v[125:126], -v[101:102]
	v_mul_f64 v[97:98], v[97:98], v[107:108]
	buffer_store_dword v105, off, s[24:27], 0 offset:240 ; 4-byte Folded Spill
	s_nop 0
	buffer_store_dword v106, off, s[24:27], 0 offset:244 ; 4-byte Folded Spill
	buffer_store_dword v107, off, s[24:27], 0 offset:248 ; 4-byte Folded Spill
	;; [unrolled: 1-line block ×3, first 2 shown]
	v_add_f64 v[121:122], v[121:122], -v[101:102]
	v_fma_f64 v[97:98], v[99:100], v[125:126], v[97:98]
	v_add_f64 v[123:124], v[123:124], -v[97:98]
.LBB86_125:
	s_or_b64 exec, exec, s[0:1]
	s_waitcnt vmcnt(0)
	s_barrier
	buffer_load_dword v98, off, s[24:27], 0 offset:224 ; 4-byte Folded Reload
	buffer_load_dword v99, off, s[24:27], 0 offset:228 ; 4-byte Folded Reload
	;; [unrolled: 1-line block ×4, first 2 shown]
	v_lshl_add_u32 v97, v96, 4, v94
	s_cmp_lt_i32 s3, 8
	s_waitcnt vmcnt(0)
	ds_write2_b64 v97, v[98:99], v[100:101] offset1:1
	s_waitcnt lgkmcnt(0)
	s_barrier
	ds_read2_b64 v[117:120], v94 offset0:12 offset1:13
	v_mov_b32_e32 v97, 6
	s_cbranch_scc1 .LBB86_128
; %bb.126:
	v_add_u32_e32 v98, 0x70, v94
	s_mov_b32 s0, 7
	v_mov_b32_e32 v97, 6
.LBB86_127:                             ; =>This Inner Loop Header: Depth=1
	s_waitcnt lgkmcnt(0)
	v_cmp_gt_f64_e32 vcc, 0, v[117:118]
	v_xor_b32_e32 v103, 0x80000000, v118
	ds_read2_b64 v[99:102], v98 offset1:1
	v_xor_b32_e32 v105, 0x80000000, v120
	v_add_u32_e32 v98, 16, v98
	s_waitcnt lgkmcnt(0)
	v_xor_b32_e32 v107, 0x80000000, v102
	v_cndmask_b32_e32 v104, v118, v103, vcc
	v_cmp_gt_f64_e32 vcc, 0, v[119:120]
	v_mov_b32_e32 v103, v117
	v_cndmask_b32_e32 v106, v120, v105, vcc
	v_cmp_gt_f64_e32 vcc, 0, v[99:100]
	v_mov_b32_e32 v105, v119
	v_add_f64 v[103:104], v[103:104], v[105:106]
	v_xor_b32_e32 v105, 0x80000000, v100
	v_cndmask_b32_e32 v106, v100, v105, vcc
	v_cmp_gt_f64_e32 vcc, 0, v[101:102]
	v_mov_b32_e32 v105, v99
	v_cndmask_b32_e32 v108, v102, v107, vcc
	v_mov_b32_e32 v107, v101
	v_add_f64 v[105:106], v[105:106], v[107:108]
	v_cmp_lt_f64_e32 vcc, v[103:104], v[105:106]
	v_cndmask_b32_e32 v117, v117, v99, vcc
	v_mov_b32_e32 v99, s0
	s_add_i32 s0, s0, 1
	v_cndmask_b32_e32 v118, v118, v100, vcc
	v_cndmask_b32_e32 v120, v120, v102, vcc
	;; [unrolled: 1-line block ×4, first 2 shown]
	s_cmp_lg_u32 s3, s0
	s_cbranch_scc1 .LBB86_127
.LBB86_128:
	s_waitcnt lgkmcnt(0)
	v_cmp_eq_f64_e32 vcc, 0, v[117:118]
	v_cmp_eq_f64_e64 s[0:1], 0, v[119:120]
	s_and_b64 s[0:1], vcc, s[0:1]
	s_and_saveexec_b64 s[18:19], s[0:1]
	s_xor_b64 s[0:1], exec, s[18:19]
; %bb.129:
	v_cmp_ne_u32_e32 vcc, 0, v95
	v_cndmask_b32_e32 v95, 7, v95, vcc
; %bb.130:
	s_andn2_saveexec_b64 s[0:1], s[0:1]
	s_cbranch_execz .LBB86_136
; %bb.131:
	v_cmp_ngt_f64_e64 s[18:19], |v[117:118]|, |v[119:120]|
	s_and_saveexec_b64 s[20:21], s[18:19]
	s_xor_b64 s[18:19], exec, s[20:21]
	s_cbranch_execz .LBB86_133
; %bb.132:
	v_div_scale_f64 v[98:99], s[20:21], v[119:120], v[119:120], v[117:118]
	v_rcp_f64_e32 v[100:101], v[98:99]
	v_fma_f64 v[102:103], -v[98:99], v[100:101], 1.0
	v_fma_f64 v[100:101], v[100:101], v[102:103], v[100:101]
	v_div_scale_f64 v[102:103], vcc, v[117:118], v[119:120], v[117:118]
	v_fma_f64 v[104:105], -v[98:99], v[100:101], 1.0
	v_fma_f64 v[100:101], v[100:101], v[104:105], v[100:101]
	v_mul_f64 v[104:105], v[102:103], v[100:101]
	v_fma_f64 v[98:99], -v[98:99], v[104:105], v[102:103]
	v_div_fmas_f64 v[98:99], v[98:99], v[100:101], v[104:105]
	v_div_fixup_f64 v[98:99], v[98:99], v[119:120], v[117:118]
	v_fma_f64 v[100:101], v[117:118], v[98:99], v[119:120]
	v_div_scale_f64 v[102:103], s[20:21], v[100:101], v[100:101], 1.0
	v_div_scale_f64 v[108:109], vcc, 1.0, v[100:101], 1.0
	v_rcp_f64_e32 v[104:105], v[102:103]
	v_fma_f64 v[106:107], -v[102:103], v[104:105], 1.0
	v_fma_f64 v[104:105], v[104:105], v[106:107], v[104:105]
	v_fma_f64 v[106:107], -v[102:103], v[104:105], 1.0
	v_fma_f64 v[104:105], v[104:105], v[106:107], v[104:105]
	v_mul_f64 v[106:107], v[108:109], v[104:105]
	v_fma_f64 v[102:103], -v[102:103], v[106:107], v[108:109]
	v_div_fmas_f64 v[102:103], v[102:103], v[104:105], v[106:107]
	v_div_fixup_f64 v[119:120], v[102:103], v[100:101], 1.0
	v_mul_f64 v[117:118], v[98:99], v[119:120]
	v_xor_b32_e32 v120, 0x80000000, v120
.LBB86_133:
	s_andn2_saveexec_b64 s[18:19], s[18:19]
	s_cbranch_execz .LBB86_135
; %bb.134:
	v_div_scale_f64 v[98:99], s[20:21], v[117:118], v[117:118], v[119:120]
	v_rcp_f64_e32 v[100:101], v[98:99]
	v_fma_f64 v[102:103], -v[98:99], v[100:101], 1.0
	v_fma_f64 v[100:101], v[100:101], v[102:103], v[100:101]
	v_div_scale_f64 v[102:103], vcc, v[119:120], v[117:118], v[119:120]
	v_fma_f64 v[104:105], -v[98:99], v[100:101], 1.0
	v_fma_f64 v[100:101], v[100:101], v[104:105], v[100:101]
	v_mul_f64 v[104:105], v[102:103], v[100:101]
	v_fma_f64 v[98:99], -v[98:99], v[104:105], v[102:103]
	v_div_fmas_f64 v[98:99], v[98:99], v[100:101], v[104:105]
	v_div_fixup_f64 v[98:99], v[98:99], v[117:118], v[119:120]
	v_fma_f64 v[100:101], v[119:120], v[98:99], v[117:118]
	v_div_scale_f64 v[102:103], s[20:21], v[100:101], v[100:101], 1.0
	v_div_scale_f64 v[108:109], vcc, 1.0, v[100:101], 1.0
	v_rcp_f64_e32 v[104:105], v[102:103]
	v_fma_f64 v[106:107], -v[102:103], v[104:105], 1.0
	v_fma_f64 v[104:105], v[104:105], v[106:107], v[104:105]
	v_fma_f64 v[106:107], -v[102:103], v[104:105], 1.0
	v_fma_f64 v[104:105], v[104:105], v[106:107], v[104:105]
	v_mul_f64 v[106:107], v[108:109], v[104:105]
	v_fma_f64 v[102:103], -v[102:103], v[106:107], v[108:109]
	v_div_fmas_f64 v[102:103], v[102:103], v[104:105], v[106:107]
	v_div_fixup_f64 v[117:118], v[102:103], v[100:101], 1.0
	v_mul_f64 v[119:120], v[98:99], -v[117:118]
.LBB86_135:
	s_or_b64 exec, exec, s[18:19]
.LBB86_136:
	s_or_b64 exec, exec, s[0:1]
	v_cmp_ne_u32_e32 vcc, v96, v97
	s_and_saveexec_b64 s[0:1], vcc
	s_xor_b64 s[0:1], exec, s[0:1]
	s_cbranch_execz .LBB86_142
; %bb.137:
	v_cmp_eq_u32_e32 vcc, 6, v96
	s_and_saveexec_b64 s[18:19], vcc
	s_cbranch_execz .LBB86_141
; %bb.138:
	v_cmp_ne_u32_e32 vcc, 6, v97
	s_xor_b64 s[20:21], s[6:7], -1
	s_and_b64 s[22:23], s[20:21], vcc
	s_and_saveexec_b64 s[20:21], s[22:23]
	s_cbranch_execz .LBB86_140
; %bb.139:
	v_ashrrev_i32_e32 v98, 31, v97
	v_lshlrev_b64 v[98:99], 2, v[97:98]
	v_add_co_u32_e32 v98, vcc, v91, v98
	v_addc_co_u32_e32 v99, vcc, v92, v99, vcc
	global_load_dword v0, v[98:99], off
	global_load_dword v96, v[91:92], off offset:24
	s_waitcnt vmcnt(1)
	global_store_dword v[91:92], v0, off offset:24
	s_waitcnt vmcnt(1)
	global_store_dword v[98:99], v96, off
.LBB86_140:
	s_or_b64 exec, exec, s[20:21]
	v_mov_b32_e32 v96, v97
	v_mov_b32_e32 v0, v97
.LBB86_141:
	s_or_b64 exec, exec, s[18:19]
.LBB86_142:
	s_andn2_saveexec_b64 s[0:1], s[0:1]
	s_cbranch_execz .LBB86_144
; %bb.143:
	buffer_load_dword v96, off, s[24:27], 0 offset:208 ; 4-byte Folded Reload
	buffer_load_dword v97, off, s[24:27], 0 offset:212 ; 4-byte Folded Reload
	buffer_load_dword v98, off, s[24:27], 0 offset:216 ; 4-byte Folded Reload
	buffer_load_dword v99, off, s[24:27], 0 offset:220 ; 4-byte Folded Reload
	s_waitcnt vmcnt(0)
	ds_write2_b64 v94, v[96:97], v[98:99] offset0:14 offset1:15
	buffer_load_dword v96, off, s[24:27], 0 offset:192 ; 4-byte Folded Reload
	buffer_load_dword v97, off, s[24:27], 0 offset:196 ; 4-byte Folded Reload
	buffer_load_dword v98, off, s[24:27], 0 offset:200 ; 4-byte Folded Reload
	buffer_load_dword v99, off, s[24:27], 0 offset:204 ; 4-byte Folded Reload
	s_waitcnt vmcnt(0)
	ds_write2_b64 v94, v[96:97], v[98:99] offset0:16 offset1:17
	;; [unrolled: 6-line block ×13, first 2 shown]
	buffer_load_dword v96, off, s[24:27], 0 ; 4-byte Folded Reload
	buffer_load_dword v97, off, s[24:27], 0 offset:4 ; 4-byte Folded Reload
	buffer_load_dword v98, off, s[24:27], 0 offset:8 ; 4-byte Folded Reload
	;; [unrolled: 1-line block ×3, first 2 shown]
	s_waitcnt vmcnt(0)
	ds_write2_b64 v94, v[96:97], v[98:99] offset0:40 offset1:41
	ds_write2_b64 v94, v[85:86], v[87:88] offset0:42 offset1:43
	ds_write2_b64 v94, v[81:82], v[83:84] offset0:44 offset1:45
	ds_write2_b64 v94, v[77:78], v[79:80] offset0:46 offset1:47
	ds_write2_b64 v94, v[73:74], v[75:76] offset0:48 offset1:49
	ds_write2_b64 v94, v[69:70], v[71:72] offset0:50 offset1:51
	ds_write2_b64 v94, v[65:66], v[67:68] offset0:52 offset1:53
	ds_write2_b64 v94, v[61:62], v[63:64] offset0:54 offset1:55
	ds_write2_b64 v94, v[57:58], v[59:60] offset0:56 offset1:57
	ds_write2_b64 v94, v[53:54], v[55:56] offset0:58 offset1:59
	ds_write2_b64 v94, v[49:50], v[51:52] offset0:60 offset1:61
	ds_write2_b64 v94, v[45:46], v[47:48] offset0:62 offset1:63
	ds_write2_b64 v94, v[41:42], v[43:44] offset0:64 offset1:65
	ds_write2_b64 v94, v[37:38], v[39:40] offset0:66 offset1:67
	ds_write2_b64 v94, v[33:34], v[35:36] offset0:68 offset1:69
	ds_write2_b64 v94, v[29:30], v[31:32] offset0:70 offset1:71
	ds_write2_b64 v94, v[25:26], v[27:28] offset0:72 offset1:73
	ds_write2_b64 v94, v[21:22], v[23:24] offset0:74 offset1:75
	ds_write2_b64 v94, v[17:18], v[19:20] offset0:76 offset1:77
	ds_write2_b64 v94, v[13:14], v[15:16] offset0:78 offset1:79
	ds_write2_b64 v94, v[9:10], v[11:12] offset0:80 offset1:81
	ds_write2_b64 v94, v[5:6], v[7:8] offset0:82 offset1:83
	ds_write2_b64 v94, v[1:2], v[3:4] offset0:84 offset1:85
	ds_write2_b64 v94, v[121:122], v[123:124] offset0:86 offset1:87
	v_mov_b32_e32 v96, 6
.LBB86_144:
	s_or_b64 exec, exec, s[0:1]
	v_cmp_lt_i32_e32 vcc, 6, v96
	s_waitcnt vmcnt(0) lgkmcnt(0)
	s_barrier
	s_and_saveexec_b64 s[0:1], vcc
	s_cbranch_execz .LBB86_146
; %bb.145:
	buffer_load_dword v105, off, s[24:27], 0 offset:224 ; 4-byte Folded Reload
	buffer_load_dword v106, off, s[24:27], 0 offset:228 ; 4-byte Folded Reload
	;; [unrolled: 1-line block ×4, first 2 shown]
	s_waitcnt vmcnt(0)
	v_mul_f64 v[97:98], v[119:120], v[107:108]
	v_fma_f64 v[125:126], v[117:118], v[105:106], -v[97:98]
	v_mul_f64 v[97:98], v[117:118], v[107:108]
	v_fma_f64 v[107:108], v[119:120], v[105:106], v[97:98]
	ds_read2_b64 v[97:100], v94 offset0:14 offset1:15
	buffer_load_dword v103, off, s[24:27], 0 offset:208 ; 4-byte Folded Reload
	buffer_load_dword v104, off, s[24:27], 0 offset:212 ; 4-byte Folded Reload
	buffer_load_dword v105, off, s[24:27], 0 offset:216 ; 4-byte Folded Reload
	buffer_load_dword v106, off, s[24:27], 0 offset:220 ; 4-byte Folded Reload
	s_waitcnt lgkmcnt(0)
	v_mul_f64 v[101:102], v[99:100], v[107:108]
	v_fma_f64 v[101:102], v[97:98], v[125:126], -v[101:102]
	v_mul_f64 v[97:98], v[97:98], v[107:108]
	v_fma_f64 v[97:98], v[99:100], v[125:126], v[97:98]
	s_waitcnt vmcnt(2)
	v_add_f64 v[103:104], v[103:104], -v[101:102]
	s_waitcnt vmcnt(0)
	v_add_f64 v[105:106], v[105:106], -v[97:98]
	buffer_store_dword v103, off, s[24:27], 0 offset:208 ; 4-byte Folded Spill
	s_nop 0
	buffer_store_dword v104, off, s[24:27], 0 offset:212 ; 4-byte Folded Spill
	buffer_store_dword v105, off, s[24:27], 0 offset:216 ; 4-byte Folded Spill
	buffer_store_dword v106, off, s[24:27], 0 offset:220 ; 4-byte Folded Spill
	ds_read2_b64 v[97:100], v94 offset0:16 offset1:17
	buffer_load_dword v103, off, s[24:27], 0 offset:192 ; 4-byte Folded Reload
	buffer_load_dword v104, off, s[24:27], 0 offset:196 ; 4-byte Folded Reload
	buffer_load_dword v105, off, s[24:27], 0 offset:200 ; 4-byte Folded Reload
	buffer_load_dword v106, off, s[24:27], 0 offset:204 ; 4-byte Folded Reload
	s_waitcnt lgkmcnt(0)
	v_mul_f64 v[101:102], v[99:100], v[107:108]
	v_fma_f64 v[101:102], v[97:98], v[125:126], -v[101:102]
	v_mul_f64 v[97:98], v[97:98], v[107:108]
	v_fma_f64 v[97:98], v[99:100], v[125:126], v[97:98]
	s_waitcnt vmcnt(2)
	v_add_f64 v[103:104], v[103:104], -v[101:102]
	s_waitcnt vmcnt(0)
	v_add_f64 v[105:106], v[105:106], -v[97:98]
	buffer_store_dword v103, off, s[24:27], 0 offset:192 ; 4-byte Folded Spill
	s_nop 0
	buffer_store_dword v104, off, s[24:27], 0 offset:196 ; 4-byte Folded Spill
	buffer_store_dword v105, off, s[24:27], 0 offset:200 ; 4-byte Folded Spill
	buffer_store_dword v106, off, s[24:27], 0 offset:204 ; 4-byte Folded Spill
	;; [unrolled: 19-line block ×13, first 2 shown]
	ds_read2_b64 v[97:100], v94 offset0:40 offset1:41
	buffer_load_dword v103, off, s[24:27], 0 ; 4-byte Folded Reload
	buffer_load_dword v104, off, s[24:27], 0 offset:4 ; 4-byte Folded Reload
	buffer_load_dword v105, off, s[24:27], 0 offset:8 ; 4-byte Folded Reload
	;; [unrolled: 1-line block ×3, first 2 shown]
	s_waitcnt lgkmcnt(0)
	v_mul_f64 v[101:102], v[99:100], v[107:108]
	v_fma_f64 v[101:102], v[97:98], v[125:126], -v[101:102]
	v_mul_f64 v[97:98], v[97:98], v[107:108]
	v_fma_f64 v[97:98], v[99:100], v[125:126], v[97:98]
	s_waitcnt vmcnt(2)
	v_add_f64 v[103:104], v[103:104], -v[101:102]
	s_waitcnt vmcnt(0)
	v_add_f64 v[105:106], v[105:106], -v[97:98]
	buffer_store_dword v103, off, s[24:27], 0 ; 4-byte Folded Spill
	s_nop 0
	buffer_store_dword v104, off, s[24:27], 0 offset:4 ; 4-byte Folded Spill
	buffer_store_dword v105, off, s[24:27], 0 offset:8 ; 4-byte Folded Spill
	;; [unrolled: 1-line block ×3, first 2 shown]
	ds_read2_b64 v[97:100], v94 offset0:42 offset1:43
	v_mov_b32_e32 v105, v125
	v_mov_b32_e32 v106, v126
	s_waitcnt lgkmcnt(0)
	v_mul_f64 v[101:102], v[99:100], v[107:108]
	v_fma_f64 v[101:102], v[97:98], v[125:126], -v[101:102]
	v_mul_f64 v[97:98], v[97:98], v[107:108]
	v_add_f64 v[85:86], v[85:86], -v[101:102]
	v_fma_f64 v[97:98], v[99:100], v[125:126], v[97:98]
	v_add_f64 v[87:88], v[87:88], -v[97:98]
	ds_read2_b64 v[97:100], v94 offset0:44 offset1:45
	s_waitcnt lgkmcnt(0)
	v_mul_f64 v[101:102], v[99:100], v[107:108]
	v_fma_f64 v[101:102], v[97:98], v[125:126], -v[101:102]
	v_mul_f64 v[97:98], v[97:98], v[107:108]
	v_add_f64 v[81:82], v[81:82], -v[101:102]
	v_fma_f64 v[97:98], v[99:100], v[125:126], v[97:98]
	v_add_f64 v[83:84], v[83:84], -v[97:98]
	ds_read2_b64 v[97:100], v94 offset0:46 offset1:47
	;; [unrolled: 8-line block ×22, first 2 shown]
	s_waitcnt lgkmcnt(0)
	v_mul_f64 v[101:102], v[99:100], v[107:108]
	v_fma_f64 v[101:102], v[97:98], v[125:126], -v[101:102]
	v_mul_f64 v[97:98], v[97:98], v[107:108]
	buffer_store_dword v105, off, s[24:27], 0 offset:224 ; 4-byte Folded Spill
	s_nop 0
	buffer_store_dword v106, off, s[24:27], 0 offset:228 ; 4-byte Folded Spill
	buffer_store_dword v107, off, s[24:27], 0 offset:232 ; 4-byte Folded Spill
	;; [unrolled: 1-line block ×3, first 2 shown]
	v_add_f64 v[121:122], v[121:122], -v[101:102]
	v_fma_f64 v[97:98], v[99:100], v[125:126], v[97:98]
	v_add_f64 v[123:124], v[123:124], -v[97:98]
.LBB86_146:
	s_or_b64 exec, exec, s[0:1]
	s_waitcnt vmcnt(0)
	s_barrier
	buffer_load_dword v98, off, s[24:27], 0 offset:208 ; 4-byte Folded Reload
	buffer_load_dword v99, off, s[24:27], 0 offset:212 ; 4-byte Folded Reload
	;; [unrolled: 1-line block ×4, first 2 shown]
	v_lshl_add_u32 v97, v96, 4, v94
	s_cmp_lt_i32 s3, 9
	s_waitcnt vmcnt(0)
	ds_write2_b64 v97, v[98:99], v[100:101] offset1:1
	s_waitcnt lgkmcnt(0)
	s_barrier
	ds_read2_b64 v[117:120], v94 offset0:14 offset1:15
	v_mov_b32_e32 v97, 7
	s_cbranch_scc1 .LBB86_149
; %bb.147:
	v_add_u32_e32 v98, 0x80, v94
	s_mov_b32 s0, 8
	v_mov_b32_e32 v97, 7
.LBB86_148:                             ; =>This Inner Loop Header: Depth=1
	s_waitcnt lgkmcnt(0)
	v_cmp_gt_f64_e32 vcc, 0, v[117:118]
	v_xor_b32_e32 v103, 0x80000000, v118
	ds_read2_b64 v[99:102], v98 offset1:1
	v_xor_b32_e32 v105, 0x80000000, v120
	v_add_u32_e32 v98, 16, v98
	s_waitcnt lgkmcnt(0)
	v_xor_b32_e32 v107, 0x80000000, v102
	v_cndmask_b32_e32 v104, v118, v103, vcc
	v_cmp_gt_f64_e32 vcc, 0, v[119:120]
	v_mov_b32_e32 v103, v117
	v_cndmask_b32_e32 v106, v120, v105, vcc
	v_cmp_gt_f64_e32 vcc, 0, v[99:100]
	v_mov_b32_e32 v105, v119
	v_add_f64 v[103:104], v[103:104], v[105:106]
	v_xor_b32_e32 v105, 0x80000000, v100
	v_cndmask_b32_e32 v106, v100, v105, vcc
	v_cmp_gt_f64_e32 vcc, 0, v[101:102]
	v_mov_b32_e32 v105, v99
	v_cndmask_b32_e32 v108, v102, v107, vcc
	v_mov_b32_e32 v107, v101
	v_add_f64 v[105:106], v[105:106], v[107:108]
	v_cmp_lt_f64_e32 vcc, v[103:104], v[105:106]
	v_cndmask_b32_e32 v117, v117, v99, vcc
	v_mov_b32_e32 v99, s0
	s_add_i32 s0, s0, 1
	v_cndmask_b32_e32 v118, v118, v100, vcc
	v_cndmask_b32_e32 v120, v120, v102, vcc
	v_cndmask_b32_e32 v119, v119, v101, vcc
	v_cndmask_b32_e32 v97, v97, v99, vcc
	s_cmp_lg_u32 s3, s0
	s_cbranch_scc1 .LBB86_148
.LBB86_149:
	s_waitcnt lgkmcnt(0)
	v_cmp_eq_f64_e32 vcc, 0, v[117:118]
	v_cmp_eq_f64_e64 s[0:1], 0, v[119:120]
	s_and_b64 s[0:1], vcc, s[0:1]
	s_and_saveexec_b64 s[18:19], s[0:1]
	s_xor_b64 s[0:1], exec, s[18:19]
; %bb.150:
	v_cmp_ne_u32_e32 vcc, 0, v95
	v_cndmask_b32_e32 v95, 8, v95, vcc
; %bb.151:
	s_andn2_saveexec_b64 s[0:1], s[0:1]
	s_cbranch_execz .LBB86_157
; %bb.152:
	v_cmp_ngt_f64_e64 s[18:19], |v[117:118]|, |v[119:120]|
	s_and_saveexec_b64 s[20:21], s[18:19]
	s_xor_b64 s[18:19], exec, s[20:21]
	s_cbranch_execz .LBB86_154
; %bb.153:
	v_div_scale_f64 v[98:99], s[20:21], v[119:120], v[119:120], v[117:118]
	v_rcp_f64_e32 v[100:101], v[98:99]
	v_fma_f64 v[102:103], -v[98:99], v[100:101], 1.0
	v_fma_f64 v[100:101], v[100:101], v[102:103], v[100:101]
	v_div_scale_f64 v[102:103], vcc, v[117:118], v[119:120], v[117:118]
	v_fma_f64 v[104:105], -v[98:99], v[100:101], 1.0
	v_fma_f64 v[100:101], v[100:101], v[104:105], v[100:101]
	v_mul_f64 v[104:105], v[102:103], v[100:101]
	v_fma_f64 v[98:99], -v[98:99], v[104:105], v[102:103]
	v_div_fmas_f64 v[98:99], v[98:99], v[100:101], v[104:105]
	v_div_fixup_f64 v[98:99], v[98:99], v[119:120], v[117:118]
	v_fma_f64 v[100:101], v[117:118], v[98:99], v[119:120]
	v_div_scale_f64 v[102:103], s[20:21], v[100:101], v[100:101], 1.0
	v_div_scale_f64 v[108:109], vcc, 1.0, v[100:101], 1.0
	v_rcp_f64_e32 v[104:105], v[102:103]
	v_fma_f64 v[106:107], -v[102:103], v[104:105], 1.0
	v_fma_f64 v[104:105], v[104:105], v[106:107], v[104:105]
	v_fma_f64 v[106:107], -v[102:103], v[104:105], 1.0
	v_fma_f64 v[104:105], v[104:105], v[106:107], v[104:105]
	v_mul_f64 v[106:107], v[108:109], v[104:105]
	v_fma_f64 v[102:103], -v[102:103], v[106:107], v[108:109]
	v_div_fmas_f64 v[102:103], v[102:103], v[104:105], v[106:107]
	v_div_fixup_f64 v[119:120], v[102:103], v[100:101], 1.0
	v_mul_f64 v[117:118], v[98:99], v[119:120]
	v_xor_b32_e32 v120, 0x80000000, v120
.LBB86_154:
	s_andn2_saveexec_b64 s[18:19], s[18:19]
	s_cbranch_execz .LBB86_156
; %bb.155:
	v_div_scale_f64 v[98:99], s[20:21], v[117:118], v[117:118], v[119:120]
	v_rcp_f64_e32 v[100:101], v[98:99]
	v_fma_f64 v[102:103], -v[98:99], v[100:101], 1.0
	v_fma_f64 v[100:101], v[100:101], v[102:103], v[100:101]
	v_div_scale_f64 v[102:103], vcc, v[119:120], v[117:118], v[119:120]
	v_fma_f64 v[104:105], -v[98:99], v[100:101], 1.0
	v_fma_f64 v[100:101], v[100:101], v[104:105], v[100:101]
	v_mul_f64 v[104:105], v[102:103], v[100:101]
	v_fma_f64 v[98:99], -v[98:99], v[104:105], v[102:103]
	v_div_fmas_f64 v[98:99], v[98:99], v[100:101], v[104:105]
	v_div_fixup_f64 v[98:99], v[98:99], v[117:118], v[119:120]
	v_fma_f64 v[100:101], v[119:120], v[98:99], v[117:118]
	v_div_scale_f64 v[102:103], s[20:21], v[100:101], v[100:101], 1.0
	v_div_scale_f64 v[108:109], vcc, 1.0, v[100:101], 1.0
	v_rcp_f64_e32 v[104:105], v[102:103]
	v_fma_f64 v[106:107], -v[102:103], v[104:105], 1.0
	v_fma_f64 v[104:105], v[104:105], v[106:107], v[104:105]
	v_fma_f64 v[106:107], -v[102:103], v[104:105], 1.0
	v_fma_f64 v[104:105], v[104:105], v[106:107], v[104:105]
	v_mul_f64 v[106:107], v[108:109], v[104:105]
	v_fma_f64 v[102:103], -v[102:103], v[106:107], v[108:109]
	v_div_fmas_f64 v[102:103], v[102:103], v[104:105], v[106:107]
	v_div_fixup_f64 v[117:118], v[102:103], v[100:101], 1.0
	v_mul_f64 v[119:120], v[98:99], -v[117:118]
.LBB86_156:
	s_or_b64 exec, exec, s[18:19]
.LBB86_157:
	s_or_b64 exec, exec, s[0:1]
	v_cmp_ne_u32_e32 vcc, v96, v97
	s_and_saveexec_b64 s[0:1], vcc
	s_xor_b64 s[0:1], exec, s[0:1]
	s_cbranch_execz .LBB86_163
; %bb.158:
	v_cmp_eq_u32_e32 vcc, 7, v96
	s_and_saveexec_b64 s[18:19], vcc
	s_cbranch_execz .LBB86_162
; %bb.159:
	v_cmp_ne_u32_e32 vcc, 7, v97
	s_xor_b64 s[20:21], s[6:7], -1
	s_and_b64 s[22:23], s[20:21], vcc
	s_and_saveexec_b64 s[20:21], s[22:23]
	s_cbranch_execz .LBB86_161
; %bb.160:
	v_ashrrev_i32_e32 v98, 31, v97
	v_lshlrev_b64 v[98:99], 2, v[97:98]
	v_add_co_u32_e32 v98, vcc, v91, v98
	v_addc_co_u32_e32 v99, vcc, v92, v99, vcc
	global_load_dword v0, v[98:99], off
	global_load_dword v96, v[91:92], off offset:28
	s_waitcnt vmcnt(1)
	global_store_dword v[91:92], v0, off offset:28
	s_waitcnt vmcnt(1)
	global_store_dword v[98:99], v96, off
.LBB86_161:
	s_or_b64 exec, exec, s[20:21]
	v_mov_b32_e32 v96, v97
	v_mov_b32_e32 v0, v97
.LBB86_162:
	s_or_b64 exec, exec, s[18:19]
.LBB86_163:
	s_andn2_saveexec_b64 s[0:1], s[0:1]
	s_cbranch_execz .LBB86_165
; %bb.164:
	buffer_load_dword v96, off, s[24:27], 0 offset:192 ; 4-byte Folded Reload
	buffer_load_dword v97, off, s[24:27], 0 offset:196 ; 4-byte Folded Reload
	buffer_load_dword v98, off, s[24:27], 0 offset:200 ; 4-byte Folded Reload
	buffer_load_dword v99, off, s[24:27], 0 offset:204 ; 4-byte Folded Reload
	s_waitcnt vmcnt(0)
	ds_write2_b64 v94, v[96:97], v[98:99] offset0:16 offset1:17
	buffer_load_dword v96, off, s[24:27], 0 offset:176 ; 4-byte Folded Reload
	buffer_load_dword v97, off, s[24:27], 0 offset:180 ; 4-byte Folded Reload
	buffer_load_dword v98, off, s[24:27], 0 offset:184 ; 4-byte Folded Reload
	buffer_load_dword v99, off, s[24:27], 0 offset:188 ; 4-byte Folded Reload
	s_waitcnt vmcnt(0)
	ds_write2_b64 v94, v[96:97], v[98:99] offset0:18 offset1:19
	;; [unrolled: 6-line block ×12, first 2 shown]
	buffer_load_dword v96, off, s[24:27], 0 ; 4-byte Folded Reload
	buffer_load_dword v97, off, s[24:27], 0 offset:4 ; 4-byte Folded Reload
	buffer_load_dword v98, off, s[24:27], 0 offset:8 ; 4-byte Folded Reload
	;; [unrolled: 1-line block ×3, first 2 shown]
	s_waitcnt vmcnt(0)
	ds_write2_b64 v94, v[96:97], v[98:99] offset0:40 offset1:41
	ds_write2_b64 v94, v[85:86], v[87:88] offset0:42 offset1:43
	;; [unrolled: 1-line block ×24, first 2 shown]
	v_mov_b32_e32 v96, 7
.LBB86_165:
	s_or_b64 exec, exec, s[0:1]
	v_cmp_lt_i32_e32 vcc, 7, v96
	s_waitcnt vmcnt(0) lgkmcnt(0)
	s_barrier
	s_and_saveexec_b64 s[0:1], vcc
	s_cbranch_execz .LBB86_167
; %bb.166:
	buffer_load_dword v105, off, s[24:27], 0 offset:208 ; 4-byte Folded Reload
	buffer_load_dword v106, off, s[24:27], 0 offset:212 ; 4-byte Folded Reload
	;; [unrolled: 1-line block ×4, first 2 shown]
	s_waitcnt vmcnt(0)
	v_mul_f64 v[97:98], v[119:120], v[107:108]
	v_fma_f64 v[125:126], v[117:118], v[105:106], -v[97:98]
	v_mul_f64 v[97:98], v[117:118], v[107:108]
	v_fma_f64 v[107:108], v[119:120], v[105:106], v[97:98]
	ds_read2_b64 v[97:100], v94 offset0:16 offset1:17
	buffer_load_dword v103, off, s[24:27], 0 offset:192 ; 4-byte Folded Reload
	buffer_load_dword v104, off, s[24:27], 0 offset:196 ; 4-byte Folded Reload
	buffer_load_dword v105, off, s[24:27], 0 offset:200 ; 4-byte Folded Reload
	buffer_load_dword v106, off, s[24:27], 0 offset:204 ; 4-byte Folded Reload
	s_waitcnt lgkmcnt(0)
	v_mul_f64 v[101:102], v[99:100], v[107:108]
	v_fma_f64 v[101:102], v[97:98], v[125:126], -v[101:102]
	v_mul_f64 v[97:98], v[97:98], v[107:108]
	v_fma_f64 v[97:98], v[99:100], v[125:126], v[97:98]
	s_waitcnt vmcnt(2)
	v_add_f64 v[103:104], v[103:104], -v[101:102]
	s_waitcnt vmcnt(0)
	v_add_f64 v[105:106], v[105:106], -v[97:98]
	buffer_store_dword v103, off, s[24:27], 0 offset:192 ; 4-byte Folded Spill
	s_nop 0
	buffer_store_dword v104, off, s[24:27], 0 offset:196 ; 4-byte Folded Spill
	buffer_store_dword v105, off, s[24:27], 0 offset:200 ; 4-byte Folded Spill
	buffer_store_dword v106, off, s[24:27], 0 offset:204 ; 4-byte Folded Spill
	ds_read2_b64 v[97:100], v94 offset0:18 offset1:19
	buffer_load_dword v103, off, s[24:27], 0 offset:176 ; 4-byte Folded Reload
	buffer_load_dword v104, off, s[24:27], 0 offset:180 ; 4-byte Folded Reload
	buffer_load_dword v105, off, s[24:27], 0 offset:184 ; 4-byte Folded Reload
	buffer_load_dword v106, off, s[24:27], 0 offset:188 ; 4-byte Folded Reload
	s_waitcnt lgkmcnt(0)
	v_mul_f64 v[101:102], v[99:100], v[107:108]
	v_fma_f64 v[101:102], v[97:98], v[125:126], -v[101:102]
	v_mul_f64 v[97:98], v[97:98], v[107:108]
	v_fma_f64 v[97:98], v[99:100], v[125:126], v[97:98]
	s_waitcnt vmcnt(2)
	v_add_f64 v[103:104], v[103:104], -v[101:102]
	s_waitcnt vmcnt(0)
	v_add_f64 v[105:106], v[105:106], -v[97:98]
	buffer_store_dword v103, off, s[24:27], 0 offset:176 ; 4-byte Folded Spill
	s_nop 0
	buffer_store_dword v104, off, s[24:27], 0 offset:180 ; 4-byte Folded Spill
	buffer_store_dword v105, off, s[24:27], 0 offset:184 ; 4-byte Folded Spill
	buffer_store_dword v106, off, s[24:27], 0 offset:188 ; 4-byte Folded Spill
	;; [unrolled: 19-line block ×12, first 2 shown]
	ds_read2_b64 v[97:100], v94 offset0:40 offset1:41
	buffer_load_dword v103, off, s[24:27], 0 ; 4-byte Folded Reload
	buffer_load_dword v104, off, s[24:27], 0 offset:4 ; 4-byte Folded Reload
	buffer_load_dword v105, off, s[24:27], 0 offset:8 ; 4-byte Folded Reload
	;; [unrolled: 1-line block ×3, first 2 shown]
	s_waitcnt lgkmcnt(0)
	v_mul_f64 v[101:102], v[99:100], v[107:108]
	v_fma_f64 v[101:102], v[97:98], v[125:126], -v[101:102]
	v_mul_f64 v[97:98], v[97:98], v[107:108]
	v_fma_f64 v[97:98], v[99:100], v[125:126], v[97:98]
	s_waitcnt vmcnt(2)
	v_add_f64 v[103:104], v[103:104], -v[101:102]
	s_waitcnt vmcnt(0)
	v_add_f64 v[105:106], v[105:106], -v[97:98]
	buffer_store_dword v103, off, s[24:27], 0 ; 4-byte Folded Spill
	s_nop 0
	buffer_store_dword v104, off, s[24:27], 0 offset:4 ; 4-byte Folded Spill
	buffer_store_dword v105, off, s[24:27], 0 offset:8 ; 4-byte Folded Spill
	;; [unrolled: 1-line block ×3, first 2 shown]
	ds_read2_b64 v[97:100], v94 offset0:42 offset1:43
	v_mov_b32_e32 v105, v125
	v_mov_b32_e32 v106, v126
	s_waitcnt lgkmcnt(0)
	v_mul_f64 v[101:102], v[99:100], v[107:108]
	v_fma_f64 v[101:102], v[97:98], v[125:126], -v[101:102]
	v_mul_f64 v[97:98], v[97:98], v[107:108]
	v_add_f64 v[85:86], v[85:86], -v[101:102]
	v_fma_f64 v[97:98], v[99:100], v[125:126], v[97:98]
	v_add_f64 v[87:88], v[87:88], -v[97:98]
	ds_read2_b64 v[97:100], v94 offset0:44 offset1:45
	s_waitcnt lgkmcnt(0)
	v_mul_f64 v[101:102], v[99:100], v[107:108]
	v_fma_f64 v[101:102], v[97:98], v[125:126], -v[101:102]
	v_mul_f64 v[97:98], v[97:98], v[107:108]
	v_add_f64 v[81:82], v[81:82], -v[101:102]
	v_fma_f64 v[97:98], v[99:100], v[125:126], v[97:98]
	v_add_f64 v[83:84], v[83:84], -v[97:98]
	ds_read2_b64 v[97:100], v94 offset0:46 offset1:47
	;; [unrolled: 8-line block ×22, first 2 shown]
	s_waitcnt lgkmcnt(0)
	v_mul_f64 v[101:102], v[99:100], v[107:108]
	v_fma_f64 v[101:102], v[97:98], v[125:126], -v[101:102]
	v_mul_f64 v[97:98], v[97:98], v[107:108]
	buffer_store_dword v105, off, s[24:27], 0 offset:208 ; 4-byte Folded Spill
	s_nop 0
	buffer_store_dword v106, off, s[24:27], 0 offset:212 ; 4-byte Folded Spill
	buffer_store_dword v107, off, s[24:27], 0 offset:216 ; 4-byte Folded Spill
	;; [unrolled: 1-line block ×3, first 2 shown]
	v_add_f64 v[121:122], v[121:122], -v[101:102]
	v_fma_f64 v[97:98], v[99:100], v[125:126], v[97:98]
	v_add_f64 v[123:124], v[123:124], -v[97:98]
.LBB86_167:
	s_or_b64 exec, exec, s[0:1]
	s_waitcnt vmcnt(0)
	s_barrier
	buffer_load_dword v98, off, s[24:27], 0 offset:192 ; 4-byte Folded Reload
	buffer_load_dword v99, off, s[24:27], 0 offset:196 ; 4-byte Folded Reload
	buffer_load_dword v100, off, s[24:27], 0 offset:200 ; 4-byte Folded Reload
	buffer_load_dword v101, off, s[24:27], 0 offset:204 ; 4-byte Folded Reload
	v_lshl_add_u32 v97, v96, 4, v94
	s_cmp_lt_i32 s3, 10
	s_waitcnt vmcnt(0)
	ds_write2_b64 v97, v[98:99], v[100:101] offset1:1
	s_waitcnt lgkmcnt(0)
	s_barrier
	ds_read2_b64 v[117:120], v94 offset0:16 offset1:17
	v_mov_b32_e32 v97, 8
	s_cbranch_scc1 .LBB86_170
; %bb.168:
	v_add_u32_e32 v98, 0x90, v94
	s_mov_b32 s0, 9
	v_mov_b32_e32 v97, 8
.LBB86_169:                             ; =>This Inner Loop Header: Depth=1
	s_waitcnt lgkmcnt(0)
	v_cmp_gt_f64_e32 vcc, 0, v[117:118]
	v_xor_b32_e32 v103, 0x80000000, v118
	ds_read2_b64 v[99:102], v98 offset1:1
	v_xor_b32_e32 v105, 0x80000000, v120
	v_add_u32_e32 v98, 16, v98
	s_waitcnt lgkmcnt(0)
	v_xor_b32_e32 v107, 0x80000000, v102
	v_cndmask_b32_e32 v104, v118, v103, vcc
	v_cmp_gt_f64_e32 vcc, 0, v[119:120]
	v_mov_b32_e32 v103, v117
	v_cndmask_b32_e32 v106, v120, v105, vcc
	v_cmp_gt_f64_e32 vcc, 0, v[99:100]
	v_mov_b32_e32 v105, v119
	v_add_f64 v[103:104], v[103:104], v[105:106]
	v_xor_b32_e32 v105, 0x80000000, v100
	v_cndmask_b32_e32 v106, v100, v105, vcc
	v_cmp_gt_f64_e32 vcc, 0, v[101:102]
	v_mov_b32_e32 v105, v99
	v_cndmask_b32_e32 v108, v102, v107, vcc
	v_mov_b32_e32 v107, v101
	v_add_f64 v[105:106], v[105:106], v[107:108]
	v_cmp_lt_f64_e32 vcc, v[103:104], v[105:106]
	v_cndmask_b32_e32 v117, v117, v99, vcc
	v_mov_b32_e32 v99, s0
	s_add_i32 s0, s0, 1
	v_cndmask_b32_e32 v118, v118, v100, vcc
	v_cndmask_b32_e32 v120, v120, v102, vcc
	;; [unrolled: 1-line block ×4, first 2 shown]
	s_cmp_lg_u32 s3, s0
	s_cbranch_scc1 .LBB86_169
.LBB86_170:
	s_waitcnt lgkmcnt(0)
	v_cmp_eq_f64_e32 vcc, 0, v[117:118]
	v_cmp_eq_f64_e64 s[0:1], 0, v[119:120]
	s_and_b64 s[0:1], vcc, s[0:1]
	s_and_saveexec_b64 s[18:19], s[0:1]
	s_xor_b64 s[0:1], exec, s[18:19]
; %bb.171:
	v_cmp_ne_u32_e32 vcc, 0, v95
	v_cndmask_b32_e32 v95, 9, v95, vcc
; %bb.172:
	s_andn2_saveexec_b64 s[0:1], s[0:1]
	s_cbranch_execz .LBB86_178
; %bb.173:
	v_cmp_ngt_f64_e64 s[18:19], |v[117:118]|, |v[119:120]|
	s_and_saveexec_b64 s[20:21], s[18:19]
	s_xor_b64 s[18:19], exec, s[20:21]
	s_cbranch_execz .LBB86_175
; %bb.174:
	v_div_scale_f64 v[98:99], s[20:21], v[119:120], v[119:120], v[117:118]
	v_rcp_f64_e32 v[100:101], v[98:99]
	v_fma_f64 v[102:103], -v[98:99], v[100:101], 1.0
	v_fma_f64 v[100:101], v[100:101], v[102:103], v[100:101]
	v_div_scale_f64 v[102:103], vcc, v[117:118], v[119:120], v[117:118]
	v_fma_f64 v[104:105], -v[98:99], v[100:101], 1.0
	v_fma_f64 v[100:101], v[100:101], v[104:105], v[100:101]
	v_mul_f64 v[104:105], v[102:103], v[100:101]
	v_fma_f64 v[98:99], -v[98:99], v[104:105], v[102:103]
	v_div_fmas_f64 v[98:99], v[98:99], v[100:101], v[104:105]
	v_div_fixup_f64 v[98:99], v[98:99], v[119:120], v[117:118]
	v_fma_f64 v[100:101], v[117:118], v[98:99], v[119:120]
	v_div_scale_f64 v[102:103], s[20:21], v[100:101], v[100:101], 1.0
	v_div_scale_f64 v[108:109], vcc, 1.0, v[100:101], 1.0
	v_rcp_f64_e32 v[104:105], v[102:103]
	v_fma_f64 v[106:107], -v[102:103], v[104:105], 1.0
	v_fma_f64 v[104:105], v[104:105], v[106:107], v[104:105]
	v_fma_f64 v[106:107], -v[102:103], v[104:105], 1.0
	v_fma_f64 v[104:105], v[104:105], v[106:107], v[104:105]
	v_mul_f64 v[106:107], v[108:109], v[104:105]
	v_fma_f64 v[102:103], -v[102:103], v[106:107], v[108:109]
	v_div_fmas_f64 v[102:103], v[102:103], v[104:105], v[106:107]
	v_div_fixup_f64 v[119:120], v[102:103], v[100:101], 1.0
	v_mul_f64 v[117:118], v[98:99], v[119:120]
	v_xor_b32_e32 v120, 0x80000000, v120
.LBB86_175:
	s_andn2_saveexec_b64 s[18:19], s[18:19]
	s_cbranch_execz .LBB86_177
; %bb.176:
	v_div_scale_f64 v[98:99], s[20:21], v[117:118], v[117:118], v[119:120]
	v_rcp_f64_e32 v[100:101], v[98:99]
	v_fma_f64 v[102:103], -v[98:99], v[100:101], 1.0
	v_fma_f64 v[100:101], v[100:101], v[102:103], v[100:101]
	v_div_scale_f64 v[102:103], vcc, v[119:120], v[117:118], v[119:120]
	v_fma_f64 v[104:105], -v[98:99], v[100:101], 1.0
	v_fma_f64 v[100:101], v[100:101], v[104:105], v[100:101]
	v_mul_f64 v[104:105], v[102:103], v[100:101]
	v_fma_f64 v[98:99], -v[98:99], v[104:105], v[102:103]
	v_div_fmas_f64 v[98:99], v[98:99], v[100:101], v[104:105]
	v_div_fixup_f64 v[98:99], v[98:99], v[117:118], v[119:120]
	v_fma_f64 v[100:101], v[119:120], v[98:99], v[117:118]
	v_div_scale_f64 v[102:103], s[20:21], v[100:101], v[100:101], 1.0
	v_div_scale_f64 v[108:109], vcc, 1.0, v[100:101], 1.0
	v_rcp_f64_e32 v[104:105], v[102:103]
	v_fma_f64 v[106:107], -v[102:103], v[104:105], 1.0
	v_fma_f64 v[104:105], v[104:105], v[106:107], v[104:105]
	v_fma_f64 v[106:107], -v[102:103], v[104:105], 1.0
	v_fma_f64 v[104:105], v[104:105], v[106:107], v[104:105]
	v_mul_f64 v[106:107], v[108:109], v[104:105]
	v_fma_f64 v[102:103], -v[102:103], v[106:107], v[108:109]
	v_div_fmas_f64 v[102:103], v[102:103], v[104:105], v[106:107]
	v_div_fixup_f64 v[117:118], v[102:103], v[100:101], 1.0
	v_mul_f64 v[119:120], v[98:99], -v[117:118]
.LBB86_177:
	s_or_b64 exec, exec, s[18:19]
.LBB86_178:
	s_or_b64 exec, exec, s[0:1]
	v_cmp_ne_u32_e32 vcc, v96, v97
	s_and_saveexec_b64 s[0:1], vcc
	s_xor_b64 s[0:1], exec, s[0:1]
	s_cbranch_execz .LBB86_184
; %bb.179:
	v_cmp_eq_u32_e32 vcc, 8, v96
	s_and_saveexec_b64 s[18:19], vcc
	s_cbranch_execz .LBB86_183
; %bb.180:
	v_cmp_ne_u32_e32 vcc, 8, v97
	s_xor_b64 s[20:21], s[6:7], -1
	s_and_b64 s[22:23], s[20:21], vcc
	s_and_saveexec_b64 s[20:21], s[22:23]
	s_cbranch_execz .LBB86_182
; %bb.181:
	v_ashrrev_i32_e32 v98, 31, v97
	v_lshlrev_b64 v[98:99], 2, v[97:98]
	v_add_co_u32_e32 v98, vcc, v91, v98
	v_addc_co_u32_e32 v99, vcc, v92, v99, vcc
	global_load_dword v0, v[98:99], off
	global_load_dword v96, v[91:92], off offset:32
	s_waitcnt vmcnt(1)
	global_store_dword v[91:92], v0, off offset:32
	s_waitcnt vmcnt(1)
	global_store_dword v[98:99], v96, off
.LBB86_182:
	s_or_b64 exec, exec, s[20:21]
	v_mov_b32_e32 v96, v97
	v_mov_b32_e32 v0, v97
.LBB86_183:
	s_or_b64 exec, exec, s[18:19]
.LBB86_184:
	s_andn2_saveexec_b64 s[0:1], s[0:1]
	s_cbranch_execz .LBB86_186
; %bb.185:
	buffer_load_dword v96, off, s[24:27], 0 offset:176 ; 4-byte Folded Reload
	buffer_load_dword v97, off, s[24:27], 0 offset:180 ; 4-byte Folded Reload
	buffer_load_dword v98, off, s[24:27], 0 offset:184 ; 4-byte Folded Reload
	buffer_load_dword v99, off, s[24:27], 0 offset:188 ; 4-byte Folded Reload
	s_waitcnt vmcnt(0)
	ds_write2_b64 v94, v[96:97], v[98:99] offset0:18 offset1:19
	buffer_load_dword v96, off, s[24:27], 0 offset:160 ; 4-byte Folded Reload
	buffer_load_dword v97, off, s[24:27], 0 offset:164 ; 4-byte Folded Reload
	buffer_load_dword v98, off, s[24:27], 0 offset:168 ; 4-byte Folded Reload
	buffer_load_dword v99, off, s[24:27], 0 offset:172 ; 4-byte Folded Reload
	s_waitcnt vmcnt(0)
	ds_write2_b64 v94, v[96:97], v[98:99] offset0:20 offset1:21
	;; [unrolled: 6-line block ×11, first 2 shown]
	buffer_load_dword v96, off, s[24:27], 0 ; 4-byte Folded Reload
	buffer_load_dword v97, off, s[24:27], 0 offset:4 ; 4-byte Folded Reload
	buffer_load_dword v98, off, s[24:27], 0 offset:8 ; 4-byte Folded Reload
	;; [unrolled: 1-line block ×3, first 2 shown]
	s_waitcnt vmcnt(0)
	ds_write2_b64 v94, v[96:97], v[98:99] offset0:40 offset1:41
	ds_write2_b64 v94, v[85:86], v[87:88] offset0:42 offset1:43
	;; [unrolled: 1-line block ×24, first 2 shown]
	v_mov_b32_e32 v96, 8
.LBB86_186:
	s_or_b64 exec, exec, s[0:1]
	v_cmp_lt_i32_e32 vcc, 8, v96
	s_waitcnt vmcnt(0) lgkmcnt(0)
	s_barrier
	s_and_saveexec_b64 s[0:1], vcc
	s_cbranch_execz .LBB86_188
; %bb.187:
	buffer_load_dword v105, off, s[24:27], 0 offset:192 ; 4-byte Folded Reload
	buffer_load_dword v106, off, s[24:27], 0 offset:196 ; 4-byte Folded Reload
	;; [unrolled: 1-line block ×4, first 2 shown]
	s_waitcnt vmcnt(0)
	v_mul_f64 v[97:98], v[119:120], v[107:108]
	v_fma_f64 v[125:126], v[117:118], v[105:106], -v[97:98]
	v_mul_f64 v[97:98], v[117:118], v[107:108]
	v_fma_f64 v[107:108], v[119:120], v[105:106], v[97:98]
	ds_read2_b64 v[97:100], v94 offset0:18 offset1:19
	buffer_load_dword v103, off, s[24:27], 0 offset:176 ; 4-byte Folded Reload
	buffer_load_dword v104, off, s[24:27], 0 offset:180 ; 4-byte Folded Reload
	buffer_load_dword v105, off, s[24:27], 0 offset:184 ; 4-byte Folded Reload
	buffer_load_dword v106, off, s[24:27], 0 offset:188 ; 4-byte Folded Reload
	s_waitcnt lgkmcnt(0)
	v_mul_f64 v[101:102], v[99:100], v[107:108]
	v_fma_f64 v[101:102], v[97:98], v[125:126], -v[101:102]
	v_mul_f64 v[97:98], v[97:98], v[107:108]
	v_fma_f64 v[97:98], v[99:100], v[125:126], v[97:98]
	s_waitcnt vmcnt(2)
	v_add_f64 v[103:104], v[103:104], -v[101:102]
	s_waitcnt vmcnt(0)
	v_add_f64 v[105:106], v[105:106], -v[97:98]
	buffer_store_dword v103, off, s[24:27], 0 offset:176 ; 4-byte Folded Spill
	s_nop 0
	buffer_store_dword v104, off, s[24:27], 0 offset:180 ; 4-byte Folded Spill
	buffer_store_dword v105, off, s[24:27], 0 offset:184 ; 4-byte Folded Spill
	buffer_store_dword v106, off, s[24:27], 0 offset:188 ; 4-byte Folded Spill
	ds_read2_b64 v[97:100], v94 offset0:20 offset1:21
	buffer_load_dword v103, off, s[24:27], 0 offset:160 ; 4-byte Folded Reload
	buffer_load_dword v104, off, s[24:27], 0 offset:164 ; 4-byte Folded Reload
	buffer_load_dword v105, off, s[24:27], 0 offset:168 ; 4-byte Folded Reload
	buffer_load_dword v106, off, s[24:27], 0 offset:172 ; 4-byte Folded Reload
	s_waitcnt lgkmcnt(0)
	v_mul_f64 v[101:102], v[99:100], v[107:108]
	v_fma_f64 v[101:102], v[97:98], v[125:126], -v[101:102]
	v_mul_f64 v[97:98], v[97:98], v[107:108]
	v_fma_f64 v[97:98], v[99:100], v[125:126], v[97:98]
	s_waitcnt vmcnt(2)
	v_add_f64 v[103:104], v[103:104], -v[101:102]
	s_waitcnt vmcnt(0)
	v_add_f64 v[105:106], v[105:106], -v[97:98]
	buffer_store_dword v103, off, s[24:27], 0 offset:160 ; 4-byte Folded Spill
	s_nop 0
	buffer_store_dword v104, off, s[24:27], 0 offset:164 ; 4-byte Folded Spill
	buffer_store_dword v105, off, s[24:27], 0 offset:168 ; 4-byte Folded Spill
	buffer_store_dword v106, off, s[24:27], 0 offset:172 ; 4-byte Folded Spill
	ds_read2_b64 v[97:100], v94 offset0:22 offset1:23
	buffer_load_dword v103, off, s[24:27], 0 offset:144 ; 4-byte Folded Reload
	buffer_load_dword v104, off, s[24:27], 0 offset:148 ; 4-byte Folded Reload
	buffer_load_dword v105, off, s[24:27], 0 offset:152 ; 4-byte Folded Reload
	buffer_load_dword v106, off, s[24:27], 0 offset:156 ; 4-byte Folded Reload
	s_waitcnt lgkmcnt(0)
	v_mul_f64 v[101:102], v[99:100], v[107:108]
	v_fma_f64 v[101:102], v[97:98], v[125:126], -v[101:102]
	v_mul_f64 v[97:98], v[97:98], v[107:108]
	v_fma_f64 v[97:98], v[99:100], v[125:126], v[97:98]
	s_waitcnt vmcnt(2)
	v_add_f64 v[103:104], v[103:104], -v[101:102]
	s_waitcnt vmcnt(0)
	v_add_f64 v[105:106], v[105:106], -v[97:98]
	buffer_store_dword v103, off, s[24:27], 0 offset:144 ; 4-byte Folded Spill
	s_nop 0
	buffer_store_dword v104, off, s[24:27], 0 offset:148 ; 4-byte Folded Spill
	buffer_store_dword v105, off, s[24:27], 0 offset:152 ; 4-byte Folded Spill
	buffer_store_dword v106, off, s[24:27], 0 offset:156 ; 4-byte Folded Spill
	ds_read2_b64 v[97:100], v94 offset0:24 offset1:25
	buffer_load_dword v103, off, s[24:27], 0 offset:128 ; 4-byte Folded Reload
	buffer_load_dword v104, off, s[24:27], 0 offset:132 ; 4-byte Folded Reload
	buffer_load_dword v105, off, s[24:27], 0 offset:136 ; 4-byte Folded Reload
	buffer_load_dword v106, off, s[24:27], 0 offset:140 ; 4-byte Folded Reload
	s_waitcnt lgkmcnt(0)
	v_mul_f64 v[101:102], v[99:100], v[107:108]
	v_fma_f64 v[101:102], v[97:98], v[125:126], -v[101:102]
	v_mul_f64 v[97:98], v[97:98], v[107:108]
	v_fma_f64 v[97:98], v[99:100], v[125:126], v[97:98]
	s_waitcnt vmcnt(2)
	v_add_f64 v[103:104], v[103:104], -v[101:102]
	s_waitcnt vmcnt(0)
	v_add_f64 v[105:106], v[105:106], -v[97:98]
	buffer_store_dword v103, off, s[24:27], 0 offset:128 ; 4-byte Folded Spill
	s_nop 0
	buffer_store_dword v104, off, s[24:27], 0 offset:132 ; 4-byte Folded Spill
	buffer_store_dword v105, off, s[24:27], 0 offset:136 ; 4-byte Folded Spill
	buffer_store_dword v106, off, s[24:27], 0 offset:140 ; 4-byte Folded Spill
	ds_read2_b64 v[97:100], v94 offset0:26 offset1:27
	buffer_load_dword v103, off, s[24:27], 0 offset:112 ; 4-byte Folded Reload
	buffer_load_dword v104, off, s[24:27], 0 offset:116 ; 4-byte Folded Reload
	buffer_load_dword v105, off, s[24:27], 0 offset:120 ; 4-byte Folded Reload
	buffer_load_dword v106, off, s[24:27], 0 offset:124 ; 4-byte Folded Reload
	s_waitcnt lgkmcnt(0)
	v_mul_f64 v[101:102], v[99:100], v[107:108]
	v_fma_f64 v[101:102], v[97:98], v[125:126], -v[101:102]
	v_mul_f64 v[97:98], v[97:98], v[107:108]
	v_fma_f64 v[97:98], v[99:100], v[125:126], v[97:98]
	s_waitcnt vmcnt(2)
	v_add_f64 v[103:104], v[103:104], -v[101:102]
	s_waitcnt vmcnt(0)
	v_add_f64 v[105:106], v[105:106], -v[97:98]
	buffer_store_dword v103, off, s[24:27], 0 offset:112 ; 4-byte Folded Spill
	s_nop 0
	buffer_store_dword v104, off, s[24:27], 0 offset:116 ; 4-byte Folded Spill
	buffer_store_dword v105, off, s[24:27], 0 offset:120 ; 4-byte Folded Spill
	buffer_store_dword v106, off, s[24:27], 0 offset:124 ; 4-byte Folded Spill
	ds_read2_b64 v[97:100], v94 offset0:28 offset1:29
	buffer_load_dword v103, off, s[24:27], 0 offset:96 ; 4-byte Folded Reload
	buffer_load_dword v104, off, s[24:27], 0 offset:100 ; 4-byte Folded Reload
	buffer_load_dword v105, off, s[24:27], 0 offset:104 ; 4-byte Folded Reload
	buffer_load_dword v106, off, s[24:27], 0 offset:108 ; 4-byte Folded Reload
	s_waitcnt lgkmcnt(0)
	v_mul_f64 v[101:102], v[99:100], v[107:108]
	v_fma_f64 v[101:102], v[97:98], v[125:126], -v[101:102]
	v_mul_f64 v[97:98], v[97:98], v[107:108]
	v_fma_f64 v[97:98], v[99:100], v[125:126], v[97:98]
	s_waitcnt vmcnt(2)
	v_add_f64 v[103:104], v[103:104], -v[101:102]
	s_waitcnt vmcnt(0)
	v_add_f64 v[105:106], v[105:106], -v[97:98]
	buffer_store_dword v103, off, s[24:27], 0 offset:96 ; 4-byte Folded Spill
	s_nop 0
	buffer_store_dword v104, off, s[24:27], 0 offset:100 ; 4-byte Folded Spill
	buffer_store_dword v105, off, s[24:27], 0 offset:104 ; 4-byte Folded Spill
	buffer_store_dword v106, off, s[24:27], 0 offset:108 ; 4-byte Folded Spill
	ds_read2_b64 v[97:100], v94 offset0:30 offset1:31
	buffer_load_dword v103, off, s[24:27], 0 offset:80 ; 4-byte Folded Reload
	buffer_load_dword v104, off, s[24:27], 0 offset:84 ; 4-byte Folded Reload
	buffer_load_dword v105, off, s[24:27], 0 offset:88 ; 4-byte Folded Reload
	buffer_load_dword v106, off, s[24:27], 0 offset:92 ; 4-byte Folded Reload
	s_waitcnt lgkmcnt(0)
	v_mul_f64 v[101:102], v[99:100], v[107:108]
	v_fma_f64 v[101:102], v[97:98], v[125:126], -v[101:102]
	v_mul_f64 v[97:98], v[97:98], v[107:108]
	v_fma_f64 v[97:98], v[99:100], v[125:126], v[97:98]
	s_waitcnt vmcnt(2)
	v_add_f64 v[103:104], v[103:104], -v[101:102]
	s_waitcnt vmcnt(0)
	v_add_f64 v[105:106], v[105:106], -v[97:98]
	buffer_store_dword v103, off, s[24:27], 0 offset:80 ; 4-byte Folded Spill
	s_nop 0
	buffer_store_dword v104, off, s[24:27], 0 offset:84 ; 4-byte Folded Spill
	buffer_store_dword v105, off, s[24:27], 0 offset:88 ; 4-byte Folded Spill
	buffer_store_dword v106, off, s[24:27], 0 offset:92 ; 4-byte Folded Spill
	ds_read2_b64 v[97:100], v94 offset0:32 offset1:33
	buffer_load_dword v103, off, s[24:27], 0 offset:64 ; 4-byte Folded Reload
	buffer_load_dword v104, off, s[24:27], 0 offset:68 ; 4-byte Folded Reload
	buffer_load_dword v105, off, s[24:27], 0 offset:72 ; 4-byte Folded Reload
	buffer_load_dword v106, off, s[24:27], 0 offset:76 ; 4-byte Folded Reload
	s_waitcnt lgkmcnt(0)
	v_mul_f64 v[101:102], v[99:100], v[107:108]
	v_fma_f64 v[101:102], v[97:98], v[125:126], -v[101:102]
	v_mul_f64 v[97:98], v[97:98], v[107:108]
	v_fma_f64 v[97:98], v[99:100], v[125:126], v[97:98]
	s_waitcnt vmcnt(2)
	v_add_f64 v[103:104], v[103:104], -v[101:102]
	s_waitcnt vmcnt(0)
	v_add_f64 v[105:106], v[105:106], -v[97:98]
	buffer_store_dword v103, off, s[24:27], 0 offset:64 ; 4-byte Folded Spill
	s_nop 0
	buffer_store_dword v104, off, s[24:27], 0 offset:68 ; 4-byte Folded Spill
	buffer_store_dword v105, off, s[24:27], 0 offset:72 ; 4-byte Folded Spill
	buffer_store_dword v106, off, s[24:27], 0 offset:76 ; 4-byte Folded Spill
	ds_read2_b64 v[97:100], v94 offset0:34 offset1:35
	buffer_load_dword v103, off, s[24:27], 0 offset:48 ; 4-byte Folded Reload
	buffer_load_dword v104, off, s[24:27], 0 offset:52 ; 4-byte Folded Reload
	buffer_load_dword v105, off, s[24:27], 0 offset:56 ; 4-byte Folded Reload
	buffer_load_dword v106, off, s[24:27], 0 offset:60 ; 4-byte Folded Reload
	s_waitcnt lgkmcnt(0)
	v_mul_f64 v[101:102], v[99:100], v[107:108]
	v_fma_f64 v[101:102], v[97:98], v[125:126], -v[101:102]
	v_mul_f64 v[97:98], v[97:98], v[107:108]
	v_fma_f64 v[97:98], v[99:100], v[125:126], v[97:98]
	s_waitcnt vmcnt(2)
	v_add_f64 v[103:104], v[103:104], -v[101:102]
	s_waitcnt vmcnt(0)
	v_add_f64 v[105:106], v[105:106], -v[97:98]
	buffer_store_dword v103, off, s[24:27], 0 offset:48 ; 4-byte Folded Spill
	s_nop 0
	buffer_store_dword v104, off, s[24:27], 0 offset:52 ; 4-byte Folded Spill
	buffer_store_dword v105, off, s[24:27], 0 offset:56 ; 4-byte Folded Spill
	buffer_store_dword v106, off, s[24:27], 0 offset:60 ; 4-byte Folded Spill
	ds_read2_b64 v[97:100], v94 offset0:36 offset1:37
	buffer_load_dword v103, off, s[24:27], 0 offset:32 ; 4-byte Folded Reload
	buffer_load_dword v104, off, s[24:27], 0 offset:36 ; 4-byte Folded Reload
	buffer_load_dword v105, off, s[24:27], 0 offset:40 ; 4-byte Folded Reload
	buffer_load_dword v106, off, s[24:27], 0 offset:44 ; 4-byte Folded Reload
	s_waitcnt lgkmcnt(0)
	v_mul_f64 v[101:102], v[99:100], v[107:108]
	v_fma_f64 v[101:102], v[97:98], v[125:126], -v[101:102]
	v_mul_f64 v[97:98], v[97:98], v[107:108]
	v_fma_f64 v[97:98], v[99:100], v[125:126], v[97:98]
	s_waitcnt vmcnt(2)
	v_add_f64 v[103:104], v[103:104], -v[101:102]
	s_waitcnt vmcnt(0)
	v_add_f64 v[105:106], v[105:106], -v[97:98]
	buffer_store_dword v103, off, s[24:27], 0 offset:32 ; 4-byte Folded Spill
	s_nop 0
	buffer_store_dword v104, off, s[24:27], 0 offset:36 ; 4-byte Folded Spill
	buffer_store_dword v105, off, s[24:27], 0 offset:40 ; 4-byte Folded Spill
	buffer_store_dword v106, off, s[24:27], 0 offset:44 ; 4-byte Folded Spill
	ds_read2_b64 v[97:100], v94 offset0:38 offset1:39
	buffer_load_dword v103, off, s[24:27], 0 offset:16 ; 4-byte Folded Reload
	buffer_load_dword v104, off, s[24:27], 0 offset:20 ; 4-byte Folded Reload
	buffer_load_dword v105, off, s[24:27], 0 offset:24 ; 4-byte Folded Reload
	buffer_load_dword v106, off, s[24:27], 0 offset:28 ; 4-byte Folded Reload
	s_waitcnt lgkmcnt(0)
	v_mul_f64 v[101:102], v[99:100], v[107:108]
	v_fma_f64 v[101:102], v[97:98], v[125:126], -v[101:102]
	v_mul_f64 v[97:98], v[97:98], v[107:108]
	v_fma_f64 v[97:98], v[99:100], v[125:126], v[97:98]
	s_waitcnt vmcnt(2)
	v_add_f64 v[103:104], v[103:104], -v[101:102]
	s_waitcnt vmcnt(0)
	v_add_f64 v[105:106], v[105:106], -v[97:98]
	buffer_store_dword v103, off, s[24:27], 0 offset:16 ; 4-byte Folded Spill
	s_nop 0
	buffer_store_dword v104, off, s[24:27], 0 offset:20 ; 4-byte Folded Spill
	buffer_store_dword v105, off, s[24:27], 0 offset:24 ; 4-byte Folded Spill
	buffer_store_dword v106, off, s[24:27], 0 offset:28 ; 4-byte Folded Spill
	ds_read2_b64 v[97:100], v94 offset0:40 offset1:41
	buffer_load_dword v103, off, s[24:27], 0 ; 4-byte Folded Reload
	buffer_load_dword v104, off, s[24:27], 0 offset:4 ; 4-byte Folded Reload
	buffer_load_dword v105, off, s[24:27], 0 offset:8 ; 4-byte Folded Reload
	buffer_load_dword v106, off, s[24:27], 0 offset:12 ; 4-byte Folded Reload
	s_waitcnt lgkmcnt(0)
	v_mul_f64 v[101:102], v[99:100], v[107:108]
	v_fma_f64 v[101:102], v[97:98], v[125:126], -v[101:102]
	v_mul_f64 v[97:98], v[97:98], v[107:108]
	v_fma_f64 v[97:98], v[99:100], v[125:126], v[97:98]
	s_waitcnt vmcnt(2)
	v_add_f64 v[103:104], v[103:104], -v[101:102]
	s_waitcnt vmcnt(0)
	v_add_f64 v[105:106], v[105:106], -v[97:98]
	buffer_store_dword v103, off, s[24:27], 0 ; 4-byte Folded Spill
	s_nop 0
	buffer_store_dword v104, off, s[24:27], 0 offset:4 ; 4-byte Folded Spill
	buffer_store_dword v105, off, s[24:27], 0 offset:8 ; 4-byte Folded Spill
	;; [unrolled: 1-line block ×3, first 2 shown]
	ds_read2_b64 v[97:100], v94 offset0:42 offset1:43
	v_mov_b32_e32 v105, v125
	v_mov_b32_e32 v106, v126
	s_waitcnt lgkmcnt(0)
	v_mul_f64 v[101:102], v[99:100], v[107:108]
	v_fma_f64 v[101:102], v[97:98], v[125:126], -v[101:102]
	v_mul_f64 v[97:98], v[97:98], v[107:108]
	v_add_f64 v[85:86], v[85:86], -v[101:102]
	v_fma_f64 v[97:98], v[99:100], v[125:126], v[97:98]
	v_add_f64 v[87:88], v[87:88], -v[97:98]
	ds_read2_b64 v[97:100], v94 offset0:44 offset1:45
	s_waitcnt lgkmcnt(0)
	v_mul_f64 v[101:102], v[99:100], v[107:108]
	v_fma_f64 v[101:102], v[97:98], v[125:126], -v[101:102]
	v_mul_f64 v[97:98], v[97:98], v[107:108]
	v_add_f64 v[81:82], v[81:82], -v[101:102]
	v_fma_f64 v[97:98], v[99:100], v[125:126], v[97:98]
	v_add_f64 v[83:84], v[83:84], -v[97:98]
	ds_read2_b64 v[97:100], v94 offset0:46 offset1:47
	;; [unrolled: 8-line block ×22, first 2 shown]
	s_waitcnt lgkmcnt(0)
	v_mul_f64 v[101:102], v[99:100], v[107:108]
	v_fma_f64 v[101:102], v[97:98], v[125:126], -v[101:102]
	v_mul_f64 v[97:98], v[97:98], v[107:108]
	buffer_store_dword v105, off, s[24:27], 0 offset:192 ; 4-byte Folded Spill
	s_nop 0
	buffer_store_dword v106, off, s[24:27], 0 offset:196 ; 4-byte Folded Spill
	buffer_store_dword v107, off, s[24:27], 0 offset:200 ; 4-byte Folded Spill
	;; [unrolled: 1-line block ×3, first 2 shown]
	v_add_f64 v[121:122], v[121:122], -v[101:102]
	v_fma_f64 v[97:98], v[99:100], v[125:126], v[97:98]
	v_add_f64 v[123:124], v[123:124], -v[97:98]
.LBB86_188:
	s_or_b64 exec, exec, s[0:1]
	s_waitcnt vmcnt(0)
	s_barrier
	buffer_load_dword v98, off, s[24:27], 0 offset:176 ; 4-byte Folded Reload
	buffer_load_dword v99, off, s[24:27], 0 offset:180 ; 4-byte Folded Reload
	;; [unrolled: 1-line block ×4, first 2 shown]
	v_lshl_add_u32 v97, v96, 4, v94
	s_cmp_lt_i32 s3, 11
	s_waitcnt vmcnt(0)
	ds_write2_b64 v97, v[98:99], v[100:101] offset1:1
	s_waitcnt lgkmcnt(0)
	s_barrier
	ds_read2_b64 v[117:120], v94 offset0:18 offset1:19
	v_mov_b32_e32 v97, 9
	s_cbranch_scc1 .LBB86_191
; %bb.189:
	v_add_u32_e32 v98, 0xa0, v94
	s_mov_b32 s0, 10
	v_mov_b32_e32 v97, 9
.LBB86_190:                             ; =>This Inner Loop Header: Depth=1
	s_waitcnt lgkmcnt(0)
	v_cmp_gt_f64_e32 vcc, 0, v[117:118]
	v_xor_b32_e32 v103, 0x80000000, v118
	ds_read2_b64 v[99:102], v98 offset1:1
	v_xor_b32_e32 v105, 0x80000000, v120
	v_add_u32_e32 v98, 16, v98
	s_waitcnt lgkmcnt(0)
	v_xor_b32_e32 v107, 0x80000000, v102
	v_cndmask_b32_e32 v104, v118, v103, vcc
	v_cmp_gt_f64_e32 vcc, 0, v[119:120]
	v_mov_b32_e32 v103, v117
	v_cndmask_b32_e32 v106, v120, v105, vcc
	v_cmp_gt_f64_e32 vcc, 0, v[99:100]
	v_mov_b32_e32 v105, v119
	v_add_f64 v[103:104], v[103:104], v[105:106]
	v_xor_b32_e32 v105, 0x80000000, v100
	v_cndmask_b32_e32 v106, v100, v105, vcc
	v_cmp_gt_f64_e32 vcc, 0, v[101:102]
	v_mov_b32_e32 v105, v99
	v_cndmask_b32_e32 v108, v102, v107, vcc
	v_mov_b32_e32 v107, v101
	v_add_f64 v[105:106], v[105:106], v[107:108]
	v_cmp_lt_f64_e32 vcc, v[103:104], v[105:106]
	v_cndmask_b32_e32 v117, v117, v99, vcc
	v_mov_b32_e32 v99, s0
	s_add_i32 s0, s0, 1
	v_cndmask_b32_e32 v118, v118, v100, vcc
	v_cndmask_b32_e32 v120, v120, v102, vcc
	;; [unrolled: 1-line block ×4, first 2 shown]
	s_cmp_lg_u32 s3, s0
	s_cbranch_scc1 .LBB86_190
.LBB86_191:
	s_waitcnt lgkmcnt(0)
	v_cmp_eq_f64_e32 vcc, 0, v[117:118]
	v_cmp_eq_f64_e64 s[0:1], 0, v[119:120]
	s_and_b64 s[0:1], vcc, s[0:1]
	s_and_saveexec_b64 s[18:19], s[0:1]
	s_xor_b64 s[0:1], exec, s[18:19]
; %bb.192:
	v_cmp_ne_u32_e32 vcc, 0, v95
	v_cndmask_b32_e32 v95, 10, v95, vcc
; %bb.193:
	s_andn2_saveexec_b64 s[0:1], s[0:1]
	s_cbranch_execz .LBB86_199
; %bb.194:
	v_cmp_ngt_f64_e64 s[18:19], |v[117:118]|, |v[119:120]|
	s_and_saveexec_b64 s[20:21], s[18:19]
	s_xor_b64 s[18:19], exec, s[20:21]
	s_cbranch_execz .LBB86_196
; %bb.195:
	v_div_scale_f64 v[98:99], s[20:21], v[119:120], v[119:120], v[117:118]
	v_rcp_f64_e32 v[100:101], v[98:99]
	v_fma_f64 v[102:103], -v[98:99], v[100:101], 1.0
	v_fma_f64 v[100:101], v[100:101], v[102:103], v[100:101]
	v_div_scale_f64 v[102:103], vcc, v[117:118], v[119:120], v[117:118]
	v_fma_f64 v[104:105], -v[98:99], v[100:101], 1.0
	v_fma_f64 v[100:101], v[100:101], v[104:105], v[100:101]
	v_mul_f64 v[104:105], v[102:103], v[100:101]
	v_fma_f64 v[98:99], -v[98:99], v[104:105], v[102:103]
	v_div_fmas_f64 v[98:99], v[98:99], v[100:101], v[104:105]
	v_div_fixup_f64 v[98:99], v[98:99], v[119:120], v[117:118]
	v_fma_f64 v[100:101], v[117:118], v[98:99], v[119:120]
	v_div_scale_f64 v[102:103], s[20:21], v[100:101], v[100:101], 1.0
	v_div_scale_f64 v[108:109], vcc, 1.0, v[100:101], 1.0
	v_rcp_f64_e32 v[104:105], v[102:103]
	v_fma_f64 v[106:107], -v[102:103], v[104:105], 1.0
	v_fma_f64 v[104:105], v[104:105], v[106:107], v[104:105]
	v_fma_f64 v[106:107], -v[102:103], v[104:105], 1.0
	v_fma_f64 v[104:105], v[104:105], v[106:107], v[104:105]
	v_mul_f64 v[106:107], v[108:109], v[104:105]
	v_fma_f64 v[102:103], -v[102:103], v[106:107], v[108:109]
	v_div_fmas_f64 v[102:103], v[102:103], v[104:105], v[106:107]
	v_div_fixup_f64 v[119:120], v[102:103], v[100:101], 1.0
	v_mul_f64 v[117:118], v[98:99], v[119:120]
	v_xor_b32_e32 v120, 0x80000000, v120
.LBB86_196:
	s_andn2_saveexec_b64 s[18:19], s[18:19]
	s_cbranch_execz .LBB86_198
; %bb.197:
	v_div_scale_f64 v[98:99], s[20:21], v[117:118], v[117:118], v[119:120]
	v_rcp_f64_e32 v[100:101], v[98:99]
	v_fma_f64 v[102:103], -v[98:99], v[100:101], 1.0
	v_fma_f64 v[100:101], v[100:101], v[102:103], v[100:101]
	v_div_scale_f64 v[102:103], vcc, v[119:120], v[117:118], v[119:120]
	v_fma_f64 v[104:105], -v[98:99], v[100:101], 1.0
	v_fma_f64 v[100:101], v[100:101], v[104:105], v[100:101]
	v_mul_f64 v[104:105], v[102:103], v[100:101]
	v_fma_f64 v[98:99], -v[98:99], v[104:105], v[102:103]
	v_div_fmas_f64 v[98:99], v[98:99], v[100:101], v[104:105]
	v_div_fixup_f64 v[98:99], v[98:99], v[117:118], v[119:120]
	v_fma_f64 v[100:101], v[119:120], v[98:99], v[117:118]
	v_div_scale_f64 v[102:103], s[20:21], v[100:101], v[100:101], 1.0
	v_div_scale_f64 v[108:109], vcc, 1.0, v[100:101], 1.0
	v_rcp_f64_e32 v[104:105], v[102:103]
	v_fma_f64 v[106:107], -v[102:103], v[104:105], 1.0
	v_fma_f64 v[104:105], v[104:105], v[106:107], v[104:105]
	v_fma_f64 v[106:107], -v[102:103], v[104:105], 1.0
	v_fma_f64 v[104:105], v[104:105], v[106:107], v[104:105]
	v_mul_f64 v[106:107], v[108:109], v[104:105]
	v_fma_f64 v[102:103], -v[102:103], v[106:107], v[108:109]
	v_div_fmas_f64 v[102:103], v[102:103], v[104:105], v[106:107]
	v_div_fixup_f64 v[117:118], v[102:103], v[100:101], 1.0
	v_mul_f64 v[119:120], v[98:99], -v[117:118]
.LBB86_198:
	s_or_b64 exec, exec, s[18:19]
.LBB86_199:
	s_or_b64 exec, exec, s[0:1]
	v_cmp_ne_u32_e32 vcc, v96, v97
	s_and_saveexec_b64 s[0:1], vcc
	s_xor_b64 s[0:1], exec, s[0:1]
	s_cbranch_execz .LBB86_205
; %bb.200:
	v_cmp_eq_u32_e32 vcc, 9, v96
	s_and_saveexec_b64 s[18:19], vcc
	s_cbranch_execz .LBB86_204
; %bb.201:
	v_cmp_ne_u32_e32 vcc, 9, v97
	s_xor_b64 s[20:21], s[6:7], -1
	s_and_b64 s[22:23], s[20:21], vcc
	s_and_saveexec_b64 s[20:21], s[22:23]
	s_cbranch_execz .LBB86_203
; %bb.202:
	v_ashrrev_i32_e32 v98, 31, v97
	v_lshlrev_b64 v[98:99], 2, v[97:98]
	v_add_co_u32_e32 v98, vcc, v91, v98
	v_addc_co_u32_e32 v99, vcc, v92, v99, vcc
	global_load_dword v0, v[98:99], off
	global_load_dword v96, v[91:92], off offset:36
	s_waitcnt vmcnt(1)
	global_store_dword v[91:92], v0, off offset:36
	s_waitcnt vmcnt(1)
	global_store_dword v[98:99], v96, off
.LBB86_203:
	s_or_b64 exec, exec, s[20:21]
	v_mov_b32_e32 v96, v97
	v_mov_b32_e32 v0, v97
.LBB86_204:
	s_or_b64 exec, exec, s[18:19]
.LBB86_205:
	s_andn2_saveexec_b64 s[0:1], s[0:1]
	s_cbranch_execz .LBB86_207
; %bb.206:
	buffer_load_dword v96, off, s[24:27], 0 offset:160 ; 4-byte Folded Reload
	buffer_load_dword v97, off, s[24:27], 0 offset:164 ; 4-byte Folded Reload
	buffer_load_dword v98, off, s[24:27], 0 offset:168 ; 4-byte Folded Reload
	buffer_load_dword v99, off, s[24:27], 0 offset:172 ; 4-byte Folded Reload
	s_waitcnt vmcnt(0)
	ds_write2_b64 v94, v[96:97], v[98:99] offset0:20 offset1:21
	buffer_load_dword v96, off, s[24:27], 0 offset:144 ; 4-byte Folded Reload
	buffer_load_dword v97, off, s[24:27], 0 offset:148 ; 4-byte Folded Reload
	buffer_load_dword v98, off, s[24:27], 0 offset:152 ; 4-byte Folded Reload
	buffer_load_dword v99, off, s[24:27], 0 offset:156 ; 4-byte Folded Reload
	s_waitcnt vmcnt(0)
	ds_write2_b64 v94, v[96:97], v[98:99] offset0:22 offset1:23
	;; [unrolled: 6-line block ×10, first 2 shown]
	buffer_load_dword v96, off, s[24:27], 0 ; 4-byte Folded Reload
	buffer_load_dword v97, off, s[24:27], 0 offset:4 ; 4-byte Folded Reload
	buffer_load_dword v98, off, s[24:27], 0 offset:8 ; 4-byte Folded Reload
	;; [unrolled: 1-line block ×3, first 2 shown]
	s_waitcnt vmcnt(0)
	ds_write2_b64 v94, v[96:97], v[98:99] offset0:40 offset1:41
	ds_write2_b64 v94, v[85:86], v[87:88] offset0:42 offset1:43
	;; [unrolled: 1-line block ×24, first 2 shown]
	v_mov_b32_e32 v96, 9
.LBB86_207:
	s_or_b64 exec, exec, s[0:1]
	v_cmp_lt_i32_e32 vcc, 9, v96
	s_waitcnt vmcnt(0) lgkmcnt(0)
	s_barrier
	s_and_saveexec_b64 s[0:1], vcc
	s_cbranch_execz .LBB86_209
; %bb.208:
	buffer_load_dword v105, off, s[24:27], 0 offset:176 ; 4-byte Folded Reload
	buffer_load_dword v106, off, s[24:27], 0 offset:180 ; 4-byte Folded Reload
	;; [unrolled: 1-line block ×4, first 2 shown]
	s_waitcnt vmcnt(0)
	v_mul_f64 v[97:98], v[119:120], v[107:108]
	v_fma_f64 v[125:126], v[117:118], v[105:106], -v[97:98]
	v_mul_f64 v[97:98], v[117:118], v[107:108]
	v_fma_f64 v[107:108], v[119:120], v[105:106], v[97:98]
	ds_read2_b64 v[97:100], v94 offset0:20 offset1:21
	buffer_load_dword v103, off, s[24:27], 0 offset:160 ; 4-byte Folded Reload
	buffer_load_dword v104, off, s[24:27], 0 offset:164 ; 4-byte Folded Reload
	buffer_load_dword v105, off, s[24:27], 0 offset:168 ; 4-byte Folded Reload
	buffer_load_dword v106, off, s[24:27], 0 offset:172 ; 4-byte Folded Reload
	s_waitcnt lgkmcnt(0)
	v_mul_f64 v[101:102], v[99:100], v[107:108]
	v_fma_f64 v[101:102], v[97:98], v[125:126], -v[101:102]
	v_mul_f64 v[97:98], v[97:98], v[107:108]
	v_fma_f64 v[97:98], v[99:100], v[125:126], v[97:98]
	s_waitcnt vmcnt(2)
	v_add_f64 v[103:104], v[103:104], -v[101:102]
	s_waitcnt vmcnt(0)
	v_add_f64 v[105:106], v[105:106], -v[97:98]
	buffer_store_dword v103, off, s[24:27], 0 offset:160 ; 4-byte Folded Spill
	s_nop 0
	buffer_store_dword v104, off, s[24:27], 0 offset:164 ; 4-byte Folded Spill
	buffer_store_dword v105, off, s[24:27], 0 offset:168 ; 4-byte Folded Spill
	buffer_store_dword v106, off, s[24:27], 0 offset:172 ; 4-byte Folded Spill
	ds_read2_b64 v[97:100], v94 offset0:22 offset1:23
	buffer_load_dword v103, off, s[24:27], 0 offset:144 ; 4-byte Folded Reload
	buffer_load_dword v104, off, s[24:27], 0 offset:148 ; 4-byte Folded Reload
	buffer_load_dword v105, off, s[24:27], 0 offset:152 ; 4-byte Folded Reload
	buffer_load_dword v106, off, s[24:27], 0 offset:156 ; 4-byte Folded Reload
	s_waitcnt lgkmcnt(0)
	v_mul_f64 v[101:102], v[99:100], v[107:108]
	v_fma_f64 v[101:102], v[97:98], v[125:126], -v[101:102]
	v_mul_f64 v[97:98], v[97:98], v[107:108]
	v_fma_f64 v[97:98], v[99:100], v[125:126], v[97:98]
	s_waitcnt vmcnt(2)
	v_add_f64 v[103:104], v[103:104], -v[101:102]
	s_waitcnt vmcnt(0)
	v_add_f64 v[105:106], v[105:106], -v[97:98]
	buffer_store_dword v103, off, s[24:27], 0 offset:144 ; 4-byte Folded Spill
	s_nop 0
	buffer_store_dword v104, off, s[24:27], 0 offset:148 ; 4-byte Folded Spill
	buffer_store_dword v105, off, s[24:27], 0 offset:152 ; 4-byte Folded Spill
	buffer_store_dword v106, off, s[24:27], 0 offset:156 ; 4-byte Folded Spill
	;; [unrolled: 19-line block ×10, first 2 shown]
	ds_read2_b64 v[97:100], v94 offset0:40 offset1:41
	buffer_load_dword v103, off, s[24:27], 0 ; 4-byte Folded Reload
	buffer_load_dword v104, off, s[24:27], 0 offset:4 ; 4-byte Folded Reload
	buffer_load_dword v105, off, s[24:27], 0 offset:8 ; 4-byte Folded Reload
	;; [unrolled: 1-line block ×3, first 2 shown]
	s_waitcnt lgkmcnt(0)
	v_mul_f64 v[101:102], v[99:100], v[107:108]
	v_fma_f64 v[101:102], v[97:98], v[125:126], -v[101:102]
	v_mul_f64 v[97:98], v[97:98], v[107:108]
	v_fma_f64 v[97:98], v[99:100], v[125:126], v[97:98]
	s_waitcnt vmcnt(2)
	v_add_f64 v[103:104], v[103:104], -v[101:102]
	s_waitcnt vmcnt(0)
	v_add_f64 v[105:106], v[105:106], -v[97:98]
	buffer_store_dword v103, off, s[24:27], 0 ; 4-byte Folded Spill
	s_nop 0
	buffer_store_dword v104, off, s[24:27], 0 offset:4 ; 4-byte Folded Spill
	buffer_store_dword v105, off, s[24:27], 0 offset:8 ; 4-byte Folded Spill
	;; [unrolled: 1-line block ×3, first 2 shown]
	ds_read2_b64 v[97:100], v94 offset0:42 offset1:43
	v_mov_b32_e32 v105, v125
	v_mov_b32_e32 v106, v126
	s_waitcnt lgkmcnt(0)
	v_mul_f64 v[101:102], v[99:100], v[107:108]
	v_fma_f64 v[101:102], v[97:98], v[125:126], -v[101:102]
	v_mul_f64 v[97:98], v[97:98], v[107:108]
	v_add_f64 v[85:86], v[85:86], -v[101:102]
	v_fma_f64 v[97:98], v[99:100], v[125:126], v[97:98]
	v_add_f64 v[87:88], v[87:88], -v[97:98]
	ds_read2_b64 v[97:100], v94 offset0:44 offset1:45
	s_waitcnt lgkmcnt(0)
	v_mul_f64 v[101:102], v[99:100], v[107:108]
	v_fma_f64 v[101:102], v[97:98], v[125:126], -v[101:102]
	v_mul_f64 v[97:98], v[97:98], v[107:108]
	v_add_f64 v[81:82], v[81:82], -v[101:102]
	v_fma_f64 v[97:98], v[99:100], v[125:126], v[97:98]
	v_add_f64 v[83:84], v[83:84], -v[97:98]
	ds_read2_b64 v[97:100], v94 offset0:46 offset1:47
	;; [unrolled: 8-line block ×22, first 2 shown]
	s_waitcnt lgkmcnt(0)
	v_mul_f64 v[101:102], v[99:100], v[107:108]
	v_fma_f64 v[101:102], v[97:98], v[125:126], -v[101:102]
	v_mul_f64 v[97:98], v[97:98], v[107:108]
	buffer_store_dword v105, off, s[24:27], 0 offset:176 ; 4-byte Folded Spill
	s_nop 0
	buffer_store_dword v106, off, s[24:27], 0 offset:180 ; 4-byte Folded Spill
	buffer_store_dword v107, off, s[24:27], 0 offset:184 ; 4-byte Folded Spill
	;; [unrolled: 1-line block ×3, first 2 shown]
	v_add_f64 v[121:122], v[121:122], -v[101:102]
	v_fma_f64 v[97:98], v[99:100], v[125:126], v[97:98]
	v_add_f64 v[123:124], v[123:124], -v[97:98]
.LBB86_209:
	s_or_b64 exec, exec, s[0:1]
	s_waitcnt vmcnt(0)
	s_barrier
	buffer_load_dword v98, off, s[24:27], 0 offset:160 ; 4-byte Folded Reload
	buffer_load_dword v99, off, s[24:27], 0 offset:164 ; 4-byte Folded Reload
	;; [unrolled: 1-line block ×4, first 2 shown]
	v_lshl_add_u32 v97, v96, 4, v94
	s_cmp_lt_i32 s3, 12
	s_waitcnt vmcnt(0)
	ds_write2_b64 v97, v[98:99], v[100:101] offset1:1
	s_waitcnt lgkmcnt(0)
	s_barrier
	ds_read2_b64 v[117:120], v94 offset0:20 offset1:21
	v_mov_b32_e32 v97, 10
	s_cbranch_scc1 .LBB86_212
; %bb.210:
	v_add_u32_e32 v98, 0xb0, v94
	s_mov_b32 s0, 11
	v_mov_b32_e32 v97, 10
.LBB86_211:                             ; =>This Inner Loop Header: Depth=1
	s_waitcnt lgkmcnt(0)
	v_cmp_gt_f64_e32 vcc, 0, v[117:118]
	v_xor_b32_e32 v103, 0x80000000, v118
	ds_read2_b64 v[99:102], v98 offset1:1
	v_xor_b32_e32 v105, 0x80000000, v120
	v_add_u32_e32 v98, 16, v98
	s_waitcnt lgkmcnt(0)
	v_xor_b32_e32 v107, 0x80000000, v102
	v_cndmask_b32_e32 v104, v118, v103, vcc
	v_cmp_gt_f64_e32 vcc, 0, v[119:120]
	v_mov_b32_e32 v103, v117
	v_cndmask_b32_e32 v106, v120, v105, vcc
	v_cmp_gt_f64_e32 vcc, 0, v[99:100]
	v_mov_b32_e32 v105, v119
	v_add_f64 v[103:104], v[103:104], v[105:106]
	v_xor_b32_e32 v105, 0x80000000, v100
	v_cndmask_b32_e32 v106, v100, v105, vcc
	v_cmp_gt_f64_e32 vcc, 0, v[101:102]
	v_mov_b32_e32 v105, v99
	v_cndmask_b32_e32 v108, v102, v107, vcc
	v_mov_b32_e32 v107, v101
	v_add_f64 v[105:106], v[105:106], v[107:108]
	v_cmp_lt_f64_e32 vcc, v[103:104], v[105:106]
	v_cndmask_b32_e32 v117, v117, v99, vcc
	v_mov_b32_e32 v99, s0
	s_add_i32 s0, s0, 1
	v_cndmask_b32_e32 v118, v118, v100, vcc
	v_cndmask_b32_e32 v120, v120, v102, vcc
	;; [unrolled: 1-line block ×4, first 2 shown]
	s_cmp_lg_u32 s3, s0
	s_cbranch_scc1 .LBB86_211
.LBB86_212:
	s_waitcnt lgkmcnt(0)
	v_cmp_eq_f64_e32 vcc, 0, v[117:118]
	v_cmp_eq_f64_e64 s[0:1], 0, v[119:120]
	s_and_b64 s[0:1], vcc, s[0:1]
	s_and_saveexec_b64 s[18:19], s[0:1]
	s_xor_b64 s[0:1], exec, s[18:19]
; %bb.213:
	v_cmp_ne_u32_e32 vcc, 0, v95
	v_cndmask_b32_e32 v95, 11, v95, vcc
; %bb.214:
	s_andn2_saveexec_b64 s[0:1], s[0:1]
	s_cbranch_execz .LBB86_220
; %bb.215:
	v_cmp_ngt_f64_e64 s[18:19], |v[117:118]|, |v[119:120]|
	s_and_saveexec_b64 s[20:21], s[18:19]
	s_xor_b64 s[18:19], exec, s[20:21]
	s_cbranch_execz .LBB86_217
; %bb.216:
	v_div_scale_f64 v[98:99], s[20:21], v[119:120], v[119:120], v[117:118]
	v_rcp_f64_e32 v[100:101], v[98:99]
	v_fma_f64 v[102:103], -v[98:99], v[100:101], 1.0
	v_fma_f64 v[100:101], v[100:101], v[102:103], v[100:101]
	v_div_scale_f64 v[102:103], vcc, v[117:118], v[119:120], v[117:118]
	v_fma_f64 v[104:105], -v[98:99], v[100:101], 1.0
	v_fma_f64 v[100:101], v[100:101], v[104:105], v[100:101]
	v_mul_f64 v[104:105], v[102:103], v[100:101]
	v_fma_f64 v[98:99], -v[98:99], v[104:105], v[102:103]
	v_div_fmas_f64 v[98:99], v[98:99], v[100:101], v[104:105]
	v_div_fixup_f64 v[98:99], v[98:99], v[119:120], v[117:118]
	v_fma_f64 v[100:101], v[117:118], v[98:99], v[119:120]
	v_div_scale_f64 v[102:103], s[20:21], v[100:101], v[100:101], 1.0
	v_div_scale_f64 v[108:109], vcc, 1.0, v[100:101], 1.0
	v_rcp_f64_e32 v[104:105], v[102:103]
	v_fma_f64 v[106:107], -v[102:103], v[104:105], 1.0
	v_fma_f64 v[104:105], v[104:105], v[106:107], v[104:105]
	v_fma_f64 v[106:107], -v[102:103], v[104:105], 1.0
	v_fma_f64 v[104:105], v[104:105], v[106:107], v[104:105]
	v_mul_f64 v[106:107], v[108:109], v[104:105]
	v_fma_f64 v[102:103], -v[102:103], v[106:107], v[108:109]
	v_div_fmas_f64 v[102:103], v[102:103], v[104:105], v[106:107]
	v_div_fixup_f64 v[119:120], v[102:103], v[100:101], 1.0
	v_mul_f64 v[117:118], v[98:99], v[119:120]
	v_xor_b32_e32 v120, 0x80000000, v120
.LBB86_217:
	s_andn2_saveexec_b64 s[18:19], s[18:19]
	s_cbranch_execz .LBB86_219
; %bb.218:
	v_div_scale_f64 v[98:99], s[20:21], v[117:118], v[117:118], v[119:120]
	v_rcp_f64_e32 v[100:101], v[98:99]
	v_fma_f64 v[102:103], -v[98:99], v[100:101], 1.0
	v_fma_f64 v[100:101], v[100:101], v[102:103], v[100:101]
	v_div_scale_f64 v[102:103], vcc, v[119:120], v[117:118], v[119:120]
	v_fma_f64 v[104:105], -v[98:99], v[100:101], 1.0
	v_fma_f64 v[100:101], v[100:101], v[104:105], v[100:101]
	v_mul_f64 v[104:105], v[102:103], v[100:101]
	v_fma_f64 v[98:99], -v[98:99], v[104:105], v[102:103]
	v_div_fmas_f64 v[98:99], v[98:99], v[100:101], v[104:105]
	v_div_fixup_f64 v[98:99], v[98:99], v[117:118], v[119:120]
	v_fma_f64 v[100:101], v[119:120], v[98:99], v[117:118]
	v_div_scale_f64 v[102:103], s[20:21], v[100:101], v[100:101], 1.0
	v_div_scale_f64 v[108:109], vcc, 1.0, v[100:101], 1.0
	v_rcp_f64_e32 v[104:105], v[102:103]
	v_fma_f64 v[106:107], -v[102:103], v[104:105], 1.0
	v_fma_f64 v[104:105], v[104:105], v[106:107], v[104:105]
	v_fma_f64 v[106:107], -v[102:103], v[104:105], 1.0
	v_fma_f64 v[104:105], v[104:105], v[106:107], v[104:105]
	v_mul_f64 v[106:107], v[108:109], v[104:105]
	v_fma_f64 v[102:103], -v[102:103], v[106:107], v[108:109]
	v_div_fmas_f64 v[102:103], v[102:103], v[104:105], v[106:107]
	v_div_fixup_f64 v[117:118], v[102:103], v[100:101], 1.0
	v_mul_f64 v[119:120], v[98:99], -v[117:118]
.LBB86_219:
	s_or_b64 exec, exec, s[18:19]
.LBB86_220:
	s_or_b64 exec, exec, s[0:1]
	v_cmp_ne_u32_e32 vcc, v96, v97
	s_and_saveexec_b64 s[0:1], vcc
	s_xor_b64 s[0:1], exec, s[0:1]
	s_cbranch_execz .LBB86_226
; %bb.221:
	v_cmp_eq_u32_e32 vcc, 10, v96
	s_and_saveexec_b64 s[18:19], vcc
	s_cbranch_execz .LBB86_225
; %bb.222:
	v_cmp_ne_u32_e32 vcc, 10, v97
	s_xor_b64 s[20:21], s[6:7], -1
	s_and_b64 s[22:23], s[20:21], vcc
	s_and_saveexec_b64 s[20:21], s[22:23]
	s_cbranch_execz .LBB86_224
; %bb.223:
	v_ashrrev_i32_e32 v98, 31, v97
	v_lshlrev_b64 v[98:99], 2, v[97:98]
	v_add_co_u32_e32 v98, vcc, v91, v98
	v_addc_co_u32_e32 v99, vcc, v92, v99, vcc
	global_load_dword v0, v[98:99], off
	global_load_dword v96, v[91:92], off offset:40
	s_waitcnt vmcnt(1)
	global_store_dword v[91:92], v0, off offset:40
	s_waitcnt vmcnt(1)
	global_store_dword v[98:99], v96, off
.LBB86_224:
	s_or_b64 exec, exec, s[20:21]
	v_mov_b32_e32 v96, v97
	v_mov_b32_e32 v0, v97
.LBB86_225:
	s_or_b64 exec, exec, s[18:19]
.LBB86_226:
	s_andn2_saveexec_b64 s[0:1], s[0:1]
	s_cbranch_execz .LBB86_228
; %bb.227:
	buffer_load_dword v96, off, s[24:27], 0 offset:144 ; 4-byte Folded Reload
	buffer_load_dword v97, off, s[24:27], 0 offset:148 ; 4-byte Folded Reload
	buffer_load_dword v98, off, s[24:27], 0 offset:152 ; 4-byte Folded Reload
	buffer_load_dword v99, off, s[24:27], 0 offset:156 ; 4-byte Folded Reload
	s_waitcnt vmcnt(0)
	ds_write2_b64 v94, v[96:97], v[98:99] offset0:22 offset1:23
	buffer_load_dword v96, off, s[24:27], 0 offset:128 ; 4-byte Folded Reload
	buffer_load_dword v97, off, s[24:27], 0 offset:132 ; 4-byte Folded Reload
	buffer_load_dword v98, off, s[24:27], 0 offset:136 ; 4-byte Folded Reload
	buffer_load_dword v99, off, s[24:27], 0 offset:140 ; 4-byte Folded Reload
	s_waitcnt vmcnt(0)
	ds_write2_b64 v94, v[96:97], v[98:99] offset0:24 offset1:25
	;; [unrolled: 6-line block ×9, first 2 shown]
	buffer_load_dword v96, off, s[24:27], 0 ; 4-byte Folded Reload
	buffer_load_dword v97, off, s[24:27], 0 offset:4 ; 4-byte Folded Reload
	buffer_load_dword v98, off, s[24:27], 0 offset:8 ; 4-byte Folded Reload
	;; [unrolled: 1-line block ×3, first 2 shown]
	s_waitcnt vmcnt(0)
	ds_write2_b64 v94, v[96:97], v[98:99] offset0:40 offset1:41
	ds_write2_b64 v94, v[85:86], v[87:88] offset0:42 offset1:43
	;; [unrolled: 1-line block ×24, first 2 shown]
	v_mov_b32_e32 v96, 10
.LBB86_228:
	s_or_b64 exec, exec, s[0:1]
	v_cmp_lt_i32_e32 vcc, 10, v96
	s_waitcnt vmcnt(0) lgkmcnt(0)
	s_barrier
	s_and_saveexec_b64 s[0:1], vcc
	s_cbranch_execz .LBB86_230
; %bb.229:
	buffer_load_dword v105, off, s[24:27], 0 offset:160 ; 4-byte Folded Reload
	buffer_load_dword v106, off, s[24:27], 0 offset:164 ; 4-byte Folded Reload
	;; [unrolled: 1-line block ×4, first 2 shown]
	s_waitcnt vmcnt(0)
	v_mul_f64 v[97:98], v[119:120], v[107:108]
	v_fma_f64 v[125:126], v[117:118], v[105:106], -v[97:98]
	v_mul_f64 v[97:98], v[117:118], v[107:108]
	v_fma_f64 v[107:108], v[119:120], v[105:106], v[97:98]
	ds_read2_b64 v[97:100], v94 offset0:22 offset1:23
	buffer_load_dword v103, off, s[24:27], 0 offset:144 ; 4-byte Folded Reload
	buffer_load_dword v104, off, s[24:27], 0 offset:148 ; 4-byte Folded Reload
	buffer_load_dword v105, off, s[24:27], 0 offset:152 ; 4-byte Folded Reload
	buffer_load_dword v106, off, s[24:27], 0 offset:156 ; 4-byte Folded Reload
	s_waitcnt lgkmcnt(0)
	v_mul_f64 v[101:102], v[99:100], v[107:108]
	v_fma_f64 v[101:102], v[97:98], v[125:126], -v[101:102]
	v_mul_f64 v[97:98], v[97:98], v[107:108]
	v_fma_f64 v[97:98], v[99:100], v[125:126], v[97:98]
	s_waitcnt vmcnt(2)
	v_add_f64 v[103:104], v[103:104], -v[101:102]
	s_waitcnt vmcnt(0)
	v_add_f64 v[105:106], v[105:106], -v[97:98]
	buffer_store_dword v103, off, s[24:27], 0 offset:144 ; 4-byte Folded Spill
	s_nop 0
	buffer_store_dword v104, off, s[24:27], 0 offset:148 ; 4-byte Folded Spill
	buffer_store_dword v105, off, s[24:27], 0 offset:152 ; 4-byte Folded Spill
	buffer_store_dword v106, off, s[24:27], 0 offset:156 ; 4-byte Folded Spill
	ds_read2_b64 v[97:100], v94 offset0:24 offset1:25
	buffer_load_dword v103, off, s[24:27], 0 offset:128 ; 4-byte Folded Reload
	buffer_load_dword v104, off, s[24:27], 0 offset:132 ; 4-byte Folded Reload
	buffer_load_dword v105, off, s[24:27], 0 offset:136 ; 4-byte Folded Reload
	buffer_load_dword v106, off, s[24:27], 0 offset:140 ; 4-byte Folded Reload
	s_waitcnt lgkmcnt(0)
	v_mul_f64 v[101:102], v[99:100], v[107:108]
	v_fma_f64 v[101:102], v[97:98], v[125:126], -v[101:102]
	v_mul_f64 v[97:98], v[97:98], v[107:108]
	v_fma_f64 v[97:98], v[99:100], v[125:126], v[97:98]
	s_waitcnt vmcnt(2)
	v_add_f64 v[103:104], v[103:104], -v[101:102]
	s_waitcnt vmcnt(0)
	v_add_f64 v[105:106], v[105:106], -v[97:98]
	buffer_store_dword v103, off, s[24:27], 0 offset:128 ; 4-byte Folded Spill
	s_nop 0
	buffer_store_dword v104, off, s[24:27], 0 offset:132 ; 4-byte Folded Spill
	buffer_store_dword v105, off, s[24:27], 0 offset:136 ; 4-byte Folded Spill
	buffer_store_dword v106, off, s[24:27], 0 offset:140 ; 4-byte Folded Spill
	;; [unrolled: 19-line block ×9, first 2 shown]
	ds_read2_b64 v[97:100], v94 offset0:40 offset1:41
	buffer_load_dword v103, off, s[24:27], 0 ; 4-byte Folded Reload
	buffer_load_dword v104, off, s[24:27], 0 offset:4 ; 4-byte Folded Reload
	buffer_load_dword v105, off, s[24:27], 0 offset:8 ; 4-byte Folded Reload
	;; [unrolled: 1-line block ×3, first 2 shown]
	s_waitcnt lgkmcnt(0)
	v_mul_f64 v[101:102], v[99:100], v[107:108]
	v_fma_f64 v[101:102], v[97:98], v[125:126], -v[101:102]
	v_mul_f64 v[97:98], v[97:98], v[107:108]
	v_fma_f64 v[97:98], v[99:100], v[125:126], v[97:98]
	s_waitcnt vmcnt(2)
	v_add_f64 v[103:104], v[103:104], -v[101:102]
	s_waitcnt vmcnt(0)
	v_add_f64 v[105:106], v[105:106], -v[97:98]
	buffer_store_dword v103, off, s[24:27], 0 ; 4-byte Folded Spill
	s_nop 0
	buffer_store_dword v104, off, s[24:27], 0 offset:4 ; 4-byte Folded Spill
	buffer_store_dword v105, off, s[24:27], 0 offset:8 ; 4-byte Folded Spill
	;; [unrolled: 1-line block ×3, first 2 shown]
	ds_read2_b64 v[97:100], v94 offset0:42 offset1:43
	v_mov_b32_e32 v105, v125
	v_mov_b32_e32 v106, v126
	s_waitcnt lgkmcnt(0)
	v_mul_f64 v[101:102], v[99:100], v[107:108]
	v_fma_f64 v[101:102], v[97:98], v[125:126], -v[101:102]
	v_mul_f64 v[97:98], v[97:98], v[107:108]
	v_add_f64 v[85:86], v[85:86], -v[101:102]
	v_fma_f64 v[97:98], v[99:100], v[125:126], v[97:98]
	v_add_f64 v[87:88], v[87:88], -v[97:98]
	ds_read2_b64 v[97:100], v94 offset0:44 offset1:45
	s_waitcnt lgkmcnt(0)
	v_mul_f64 v[101:102], v[99:100], v[107:108]
	v_fma_f64 v[101:102], v[97:98], v[125:126], -v[101:102]
	v_mul_f64 v[97:98], v[97:98], v[107:108]
	v_add_f64 v[81:82], v[81:82], -v[101:102]
	v_fma_f64 v[97:98], v[99:100], v[125:126], v[97:98]
	v_add_f64 v[83:84], v[83:84], -v[97:98]
	ds_read2_b64 v[97:100], v94 offset0:46 offset1:47
	;; [unrolled: 8-line block ×22, first 2 shown]
	s_waitcnt lgkmcnt(0)
	v_mul_f64 v[101:102], v[99:100], v[107:108]
	v_fma_f64 v[101:102], v[97:98], v[125:126], -v[101:102]
	v_mul_f64 v[97:98], v[97:98], v[107:108]
	buffer_store_dword v105, off, s[24:27], 0 offset:160 ; 4-byte Folded Spill
	s_nop 0
	buffer_store_dword v106, off, s[24:27], 0 offset:164 ; 4-byte Folded Spill
	buffer_store_dword v107, off, s[24:27], 0 offset:168 ; 4-byte Folded Spill
	;; [unrolled: 1-line block ×3, first 2 shown]
	v_add_f64 v[121:122], v[121:122], -v[101:102]
	v_fma_f64 v[97:98], v[99:100], v[125:126], v[97:98]
	v_add_f64 v[123:124], v[123:124], -v[97:98]
.LBB86_230:
	s_or_b64 exec, exec, s[0:1]
	s_waitcnt vmcnt(0)
	s_barrier
	buffer_load_dword v98, off, s[24:27], 0 offset:144 ; 4-byte Folded Reload
	buffer_load_dword v99, off, s[24:27], 0 offset:148 ; 4-byte Folded Reload
	;; [unrolled: 1-line block ×4, first 2 shown]
	v_lshl_add_u32 v97, v96, 4, v94
	s_cmp_lt_i32 s3, 13
	s_waitcnt vmcnt(0)
	ds_write2_b64 v97, v[98:99], v[100:101] offset1:1
	s_waitcnt lgkmcnt(0)
	s_barrier
	ds_read2_b64 v[117:120], v94 offset0:22 offset1:23
	v_mov_b32_e32 v97, 11
	s_cbranch_scc1 .LBB86_233
; %bb.231:
	v_add_u32_e32 v98, 0xc0, v94
	s_mov_b32 s0, 12
	v_mov_b32_e32 v97, 11
.LBB86_232:                             ; =>This Inner Loop Header: Depth=1
	s_waitcnt lgkmcnt(0)
	v_cmp_gt_f64_e32 vcc, 0, v[117:118]
	v_xor_b32_e32 v103, 0x80000000, v118
	ds_read2_b64 v[99:102], v98 offset1:1
	v_xor_b32_e32 v105, 0x80000000, v120
	v_add_u32_e32 v98, 16, v98
	s_waitcnt lgkmcnt(0)
	v_xor_b32_e32 v107, 0x80000000, v102
	v_cndmask_b32_e32 v104, v118, v103, vcc
	v_cmp_gt_f64_e32 vcc, 0, v[119:120]
	v_mov_b32_e32 v103, v117
	v_cndmask_b32_e32 v106, v120, v105, vcc
	v_cmp_gt_f64_e32 vcc, 0, v[99:100]
	v_mov_b32_e32 v105, v119
	v_add_f64 v[103:104], v[103:104], v[105:106]
	v_xor_b32_e32 v105, 0x80000000, v100
	v_cndmask_b32_e32 v106, v100, v105, vcc
	v_cmp_gt_f64_e32 vcc, 0, v[101:102]
	v_mov_b32_e32 v105, v99
	v_cndmask_b32_e32 v108, v102, v107, vcc
	v_mov_b32_e32 v107, v101
	v_add_f64 v[105:106], v[105:106], v[107:108]
	v_cmp_lt_f64_e32 vcc, v[103:104], v[105:106]
	v_cndmask_b32_e32 v117, v117, v99, vcc
	v_mov_b32_e32 v99, s0
	s_add_i32 s0, s0, 1
	v_cndmask_b32_e32 v118, v118, v100, vcc
	v_cndmask_b32_e32 v120, v120, v102, vcc
	v_cndmask_b32_e32 v119, v119, v101, vcc
	v_cndmask_b32_e32 v97, v97, v99, vcc
	s_cmp_lg_u32 s3, s0
	s_cbranch_scc1 .LBB86_232
.LBB86_233:
	s_waitcnt lgkmcnt(0)
	v_cmp_eq_f64_e32 vcc, 0, v[117:118]
	v_cmp_eq_f64_e64 s[0:1], 0, v[119:120]
	s_and_b64 s[0:1], vcc, s[0:1]
	s_and_saveexec_b64 s[18:19], s[0:1]
	s_xor_b64 s[0:1], exec, s[18:19]
; %bb.234:
	v_cmp_ne_u32_e32 vcc, 0, v95
	v_cndmask_b32_e32 v95, 12, v95, vcc
; %bb.235:
	s_andn2_saveexec_b64 s[0:1], s[0:1]
	s_cbranch_execz .LBB86_241
; %bb.236:
	v_cmp_ngt_f64_e64 s[18:19], |v[117:118]|, |v[119:120]|
	s_and_saveexec_b64 s[20:21], s[18:19]
	s_xor_b64 s[18:19], exec, s[20:21]
	s_cbranch_execz .LBB86_238
; %bb.237:
	v_div_scale_f64 v[98:99], s[20:21], v[119:120], v[119:120], v[117:118]
	v_rcp_f64_e32 v[100:101], v[98:99]
	v_fma_f64 v[102:103], -v[98:99], v[100:101], 1.0
	v_fma_f64 v[100:101], v[100:101], v[102:103], v[100:101]
	v_div_scale_f64 v[102:103], vcc, v[117:118], v[119:120], v[117:118]
	v_fma_f64 v[104:105], -v[98:99], v[100:101], 1.0
	v_fma_f64 v[100:101], v[100:101], v[104:105], v[100:101]
	v_mul_f64 v[104:105], v[102:103], v[100:101]
	v_fma_f64 v[98:99], -v[98:99], v[104:105], v[102:103]
	v_div_fmas_f64 v[98:99], v[98:99], v[100:101], v[104:105]
	v_div_fixup_f64 v[98:99], v[98:99], v[119:120], v[117:118]
	v_fma_f64 v[100:101], v[117:118], v[98:99], v[119:120]
	v_div_scale_f64 v[102:103], s[20:21], v[100:101], v[100:101], 1.0
	v_div_scale_f64 v[108:109], vcc, 1.0, v[100:101], 1.0
	v_rcp_f64_e32 v[104:105], v[102:103]
	v_fma_f64 v[106:107], -v[102:103], v[104:105], 1.0
	v_fma_f64 v[104:105], v[104:105], v[106:107], v[104:105]
	v_fma_f64 v[106:107], -v[102:103], v[104:105], 1.0
	v_fma_f64 v[104:105], v[104:105], v[106:107], v[104:105]
	v_mul_f64 v[106:107], v[108:109], v[104:105]
	v_fma_f64 v[102:103], -v[102:103], v[106:107], v[108:109]
	v_div_fmas_f64 v[102:103], v[102:103], v[104:105], v[106:107]
	v_div_fixup_f64 v[119:120], v[102:103], v[100:101], 1.0
	v_mul_f64 v[117:118], v[98:99], v[119:120]
	v_xor_b32_e32 v120, 0x80000000, v120
.LBB86_238:
	s_andn2_saveexec_b64 s[18:19], s[18:19]
	s_cbranch_execz .LBB86_240
; %bb.239:
	v_div_scale_f64 v[98:99], s[20:21], v[117:118], v[117:118], v[119:120]
	v_rcp_f64_e32 v[100:101], v[98:99]
	v_fma_f64 v[102:103], -v[98:99], v[100:101], 1.0
	v_fma_f64 v[100:101], v[100:101], v[102:103], v[100:101]
	v_div_scale_f64 v[102:103], vcc, v[119:120], v[117:118], v[119:120]
	v_fma_f64 v[104:105], -v[98:99], v[100:101], 1.0
	v_fma_f64 v[100:101], v[100:101], v[104:105], v[100:101]
	v_mul_f64 v[104:105], v[102:103], v[100:101]
	v_fma_f64 v[98:99], -v[98:99], v[104:105], v[102:103]
	v_div_fmas_f64 v[98:99], v[98:99], v[100:101], v[104:105]
	v_div_fixup_f64 v[98:99], v[98:99], v[117:118], v[119:120]
	v_fma_f64 v[100:101], v[119:120], v[98:99], v[117:118]
	v_div_scale_f64 v[102:103], s[20:21], v[100:101], v[100:101], 1.0
	v_div_scale_f64 v[108:109], vcc, 1.0, v[100:101], 1.0
	v_rcp_f64_e32 v[104:105], v[102:103]
	v_fma_f64 v[106:107], -v[102:103], v[104:105], 1.0
	v_fma_f64 v[104:105], v[104:105], v[106:107], v[104:105]
	v_fma_f64 v[106:107], -v[102:103], v[104:105], 1.0
	v_fma_f64 v[104:105], v[104:105], v[106:107], v[104:105]
	v_mul_f64 v[106:107], v[108:109], v[104:105]
	v_fma_f64 v[102:103], -v[102:103], v[106:107], v[108:109]
	v_div_fmas_f64 v[102:103], v[102:103], v[104:105], v[106:107]
	v_div_fixup_f64 v[117:118], v[102:103], v[100:101], 1.0
	v_mul_f64 v[119:120], v[98:99], -v[117:118]
.LBB86_240:
	s_or_b64 exec, exec, s[18:19]
.LBB86_241:
	s_or_b64 exec, exec, s[0:1]
	v_cmp_ne_u32_e32 vcc, v96, v97
	s_and_saveexec_b64 s[0:1], vcc
	s_xor_b64 s[0:1], exec, s[0:1]
	s_cbranch_execz .LBB86_247
; %bb.242:
	v_cmp_eq_u32_e32 vcc, 11, v96
	s_and_saveexec_b64 s[18:19], vcc
	s_cbranch_execz .LBB86_246
; %bb.243:
	v_cmp_ne_u32_e32 vcc, 11, v97
	s_xor_b64 s[20:21], s[6:7], -1
	s_and_b64 s[22:23], s[20:21], vcc
	s_and_saveexec_b64 s[20:21], s[22:23]
	s_cbranch_execz .LBB86_245
; %bb.244:
	v_ashrrev_i32_e32 v98, 31, v97
	v_lshlrev_b64 v[98:99], 2, v[97:98]
	v_add_co_u32_e32 v98, vcc, v91, v98
	v_addc_co_u32_e32 v99, vcc, v92, v99, vcc
	global_load_dword v0, v[98:99], off
	global_load_dword v96, v[91:92], off offset:44
	s_waitcnt vmcnt(1)
	global_store_dword v[91:92], v0, off offset:44
	s_waitcnt vmcnt(1)
	global_store_dword v[98:99], v96, off
.LBB86_245:
	s_or_b64 exec, exec, s[20:21]
	v_mov_b32_e32 v96, v97
	v_mov_b32_e32 v0, v97
.LBB86_246:
	s_or_b64 exec, exec, s[18:19]
.LBB86_247:
	s_andn2_saveexec_b64 s[0:1], s[0:1]
	s_cbranch_execz .LBB86_249
; %bb.248:
	buffer_load_dword v96, off, s[24:27], 0 offset:128 ; 4-byte Folded Reload
	buffer_load_dword v97, off, s[24:27], 0 offset:132 ; 4-byte Folded Reload
	buffer_load_dword v98, off, s[24:27], 0 offset:136 ; 4-byte Folded Reload
	buffer_load_dword v99, off, s[24:27], 0 offset:140 ; 4-byte Folded Reload
	s_waitcnt vmcnt(0)
	ds_write2_b64 v94, v[96:97], v[98:99] offset0:24 offset1:25
	buffer_load_dword v96, off, s[24:27], 0 offset:112 ; 4-byte Folded Reload
	buffer_load_dword v97, off, s[24:27], 0 offset:116 ; 4-byte Folded Reload
	buffer_load_dword v98, off, s[24:27], 0 offset:120 ; 4-byte Folded Reload
	buffer_load_dword v99, off, s[24:27], 0 offset:124 ; 4-byte Folded Reload
	s_waitcnt vmcnt(0)
	ds_write2_b64 v94, v[96:97], v[98:99] offset0:26 offset1:27
	;; [unrolled: 6-line block ×8, first 2 shown]
	buffer_load_dword v96, off, s[24:27], 0 ; 4-byte Folded Reload
	buffer_load_dword v97, off, s[24:27], 0 offset:4 ; 4-byte Folded Reload
	buffer_load_dword v98, off, s[24:27], 0 offset:8 ; 4-byte Folded Reload
	;; [unrolled: 1-line block ×3, first 2 shown]
	s_waitcnt vmcnt(0)
	ds_write2_b64 v94, v[96:97], v[98:99] offset0:40 offset1:41
	ds_write2_b64 v94, v[85:86], v[87:88] offset0:42 offset1:43
	;; [unrolled: 1-line block ×24, first 2 shown]
	v_mov_b32_e32 v96, 11
.LBB86_249:
	s_or_b64 exec, exec, s[0:1]
	v_cmp_lt_i32_e32 vcc, 11, v96
	s_waitcnt vmcnt(0) lgkmcnt(0)
	s_barrier
	s_and_saveexec_b64 s[0:1], vcc
	s_cbranch_execz .LBB86_251
; %bb.250:
	buffer_load_dword v105, off, s[24:27], 0 offset:144 ; 4-byte Folded Reload
	buffer_load_dword v106, off, s[24:27], 0 offset:148 ; 4-byte Folded Reload
	buffer_load_dword v107, off, s[24:27], 0 offset:152 ; 4-byte Folded Reload
	buffer_load_dword v108, off, s[24:27], 0 offset:156 ; 4-byte Folded Reload
	s_waitcnt vmcnt(0)
	v_mul_f64 v[97:98], v[119:120], v[107:108]
	v_fma_f64 v[125:126], v[117:118], v[105:106], -v[97:98]
	v_mul_f64 v[97:98], v[117:118], v[107:108]
	v_fma_f64 v[107:108], v[119:120], v[105:106], v[97:98]
	ds_read2_b64 v[97:100], v94 offset0:24 offset1:25
	buffer_load_dword v103, off, s[24:27], 0 offset:128 ; 4-byte Folded Reload
	buffer_load_dword v104, off, s[24:27], 0 offset:132 ; 4-byte Folded Reload
	buffer_load_dword v105, off, s[24:27], 0 offset:136 ; 4-byte Folded Reload
	buffer_load_dword v106, off, s[24:27], 0 offset:140 ; 4-byte Folded Reload
	s_waitcnt lgkmcnt(0)
	v_mul_f64 v[101:102], v[99:100], v[107:108]
	v_fma_f64 v[101:102], v[97:98], v[125:126], -v[101:102]
	v_mul_f64 v[97:98], v[97:98], v[107:108]
	v_fma_f64 v[97:98], v[99:100], v[125:126], v[97:98]
	s_waitcnt vmcnt(2)
	v_add_f64 v[103:104], v[103:104], -v[101:102]
	s_waitcnt vmcnt(0)
	v_add_f64 v[105:106], v[105:106], -v[97:98]
	buffer_store_dword v103, off, s[24:27], 0 offset:128 ; 4-byte Folded Spill
	s_nop 0
	buffer_store_dword v104, off, s[24:27], 0 offset:132 ; 4-byte Folded Spill
	buffer_store_dword v105, off, s[24:27], 0 offset:136 ; 4-byte Folded Spill
	buffer_store_dword v106, off, s[24:27], 0 offset:140 ; 4-byte Folded Spill
	ds_read2_b64 v[97:100], v94 offset0:26 offset1:27
	buffer_load_dword v103, off, s[24:27], 0 offset:112 ; 4-byte Folded Reload
	buffer_load_dword v104, off, s[24:27], 0 offset:116 ; 4-byte Folded Reload
	buffer_load_dword v105, off, s[24:27], 0 offset:120 ; 4-byte Folded Reload
	buffer_load_dword v106, off, s[24:27], 0 offset:124 ; 4-byte Folded Reload
	s_waitcnt lgkmcnt(0)
	v_mul_f64 v[101:102], v[99:100], v[107:108]
	v_fma_f64 v[101:102], v[97:98], v[125:126], -v[101:102]
	v_mul_f64 v[97:98], v[97:98], v[107:108]
	v_fma_f64 v[97:98], v[99:100], v[125:126], v[97:98]
	s_waitcnt vmcnt(2)
	v_add_f64 v[103:104], v[103:104], -v[101:102]
	s_waitcnt vmcnt(0)
	v_add_f64 v[105:106], v[105:106], -v[97:98]
	buffer_store_dword v103, off, s[24:27], 0 offset:112 ; 4-byte Folded Spill
	s_nop 0
	buffer_store_dword v104, off, s[24:27], 0 offset:116 ; 4-byte Folded Spill
	buffer_store_dword v105, off, s[24:27], 0 offset:120 ; 4-byte Folded Spill
	buffer_store_dword v106, off, s[24:27], 0 offset:124 ; 4-byte Folded Spill
	;; [unrolled: 19-line block ×8, first 2 shown]
	ds_read2_b64 v[97:100], v94 offset0:40 offset1:41
	buffer_load_dword v103, off, s[24:27], 0 ; 4-byte Folded Reload
	buffer_load_dword v104, off, s[24:27], 0 offset:4 ; 4-byte Folded Reload
	buffer_load_dword v105, off, s[24:27], 0 offset:8 ; 4-byte Folded Reload
	;; [unrolled: 1-line block ×3, first 2 shown]
	s_waitcnt lgkmcnt(0)
	v_mul_f64 v[101:102], v[99:100], v[107:108]
	v_fma_f64 v[101:102], v[97:98], v[125:126], -v[101:102]
	v_mul_f64 v[97:98], v[97:98], v[107:108]
	v_fma_f64 v[97:98], v[99:100], v[125:126], v[97:98]
	s_waitcnt vmcnt(2)
	v_add_f64 v[103:104], v[103:104], -v[101:102]
	s_waitcnt vmcnt(0)
	v_add_f64 v[105:106], v[105:106], -v[97:98]
	buffer_store_dword v103, off, s[24:27], 0 ; 4-byte Folded Spill
	s_nop 0
	buffer_store_dword v104, off, s[24:27], 0 offset:4 ; 4-byte Folded Spill
	buffer_store_dword v105, off, s[24:27], 0 offset:8 ; 4-byte Folded Spill
	;; [unrolled: 1-line block ×3, first 2 shown]
	ds_read2_b64 v[97:100], v94 offset0:42 offset1:43
	v_mov_b32_e32 v105, v125
	v_mov_b32_e32 v106, v126
	s_waitcnt lgkmcnt(0)
	v_mul_f64 v[101:102], v[99:100], v[107:108]
	v_fma_f64 v[101:102], v[97:98], v[125:126], -v[101:102]
	v_mul_f64 v[97:98], v[97:98], v[107:108]
	v_add_f64 v[85:86], v[85:86], -v[101:102]
	v_fma_f64 v[97:98], v[99:100], v[125:126], v[97:98]
	v_add_f64 v[87:88], v[87:88], -v[97:98]
	ds_read2_b64 v[97:100], v94 offset0:44 offset1:45
	s_waitcnt lgkmcnt(0)
	v_mul_f64 v[101:102], v[99:100], v[107:108]
	v_fma_f64 v[101:102], v[97:98], v[125:126], -v[101:102]
	v_mul_f64 v[97:98], v[97:98], v[107:108]
	v_add_f64 v[81:82], v[81:82], -v[101:102]
	v_fma_f64 v[97:98], v[99:100], v[125:126], v[97:98]
	v_add_f64 v[83:84], v[83:84], -v[97:98]
	ds_read2_b64 v[97:100], v94 offset0:46 offset1:47
	;; [unrolled: 8-line block ×22, first 2 shown]
	s_waitcnt lgkmcnt(0)
	v_mul_f64 v[101:102], v[99:100], v[107:108]
	v_fma_f64 v[101:102], v[97:98], v[125:126], -v[101:102]
	v_mul_f64 v[97:98], v[97:98], v[107:108]
	buffer_store_dword v105, off, s[24:27], 0 offset:144 ; 4-byte Folded Spill
	s_nop 0
	buffer_store_dword v106, off, s[24:27], 0 offset:148 ; 4-byte Folded Spill
	buffer_store_dword v107, off, s[24:27], 0 offset:152 ; 4-byte Folded Spill
	;; [unrolled: 1-line block ×3, first 2 shown]
	v_add_f64 v[121:122], v[121:122], -v[101:102]
	v_fma_f64 v[97:98], v[99:100], v[125:126], v[97:98]
	v_add_f64 v[123:124], v[123:124], -v[97:98]
.LBB86_251:
	s_or_b64 exec, exec, s[0:1]
	s_waitcnt vmcnt(0)
	s_barrier
	buffer_load_dword v98, off, s[24:27], 0 offset:128 ; 4-byte Folded Reload
	buffer_load_dword v99, off, s[24:27], 0 offset:132 ; 4-byte Folded Reload
	;; [unrolled: 1-line block ×4, first 2 shown]
	v_lshl_add_u32 v97, v96, 4, v94
	s_cmp_lt_i32 s3, 14
	s_waitcnt vmcnt(0)
	ds_write2_b64 v97, v[98:99], v[100:101] offset1:1
	s_waitcnt lgkmcnt(0)
	s_barrier
	ds_read2_b64 v[117:120], v94 offset0:24 offset1:25
	v_mov_b32_e32 v97, 12
	s_cbranch_scc1 .LBB86_254
; %bb.252:
	v_add_u32_e32 v98, 0xd0, v94
	s_mov_b32 s0, 13
	v_mov_b32_e32 v97, 12
.LBB86_253:                             ; =>This Inner Loop Header: Depth=1
	s_waitcnt lgkmcnt(0)
	v_cmp_gt_f64_e32 vcc, 0, v[117:118]
	v_xor_b32_e32 v103, 0x80000000, v118
	ds_read2_b64 v[99:102], v98 offset1:1
	v_xor_b32_e32 v105, 0x80000000, v120
	v_add_u32_e32 v98, 16, v98
	s_waitcnt lgkmcnt(0)
	v_xor_b32_e32 v107, 0x80000000, v102
	v_cndmask_b32_e32 v104, v118, v103, vcc
	v_cmp_gt_f64_e32 vcc, 0, v[119:120]
	v_mov_b32_e32 v103, v117
	v_cndmask_b32_e32 v106, v120, v105, vcc
	v_cmp_gt_f64_e32 vcc, 0, v[99:100]
	v_mov_b32_e32 v105, v119
	v_add_f64 v[103:104], v[103:104], v[105:106]
	v_xor_b32_e32 v105, 0x80000000, v100
	v_cndmask_b32_e32 v106, v100, v105, vcc
	v_cmp_gt_f64_e32 vcc, 0, v[101:102]
	v_mov_b32_e32 v105, v99
	v_cndmask_b32_e32 v108, v102, v107, vcc
	v_mov_b32_e32 v107, v101
	v_add_f64 v[105:106], v[105:106], v[107:108]
	v_cmp_lt_f64_e32 vcc, v[103:104], v[105:106]
	v_cndmask_b32_e32 v117, v117, v99, vcc
	v_mov_b32_e32 v99, s0
	s_add_i32 s0, s0, 1
	v_cndmask_b32_e32 v118, v118, v100, vcc
	v_cndmask_b32_e32 v120, v120, v102, vcc
	;; [unrolled: 1-line block ×4, first 2 shown]
	s_cmp_lg_u32 s3, s0
	s_cbranch_scc1 .LBB86_253
.LBB86_254:
	s_waitcnt lgkmcnt(0)
	v_cmp_eq_f64_e32 vcc, 0, v[117:118]
	v_cmp_eq_f64_e64 s[0:1], 0, v[119:120]
	s_and_b64 s[0:1], vcc, s[0:1]
	s_and_saveexec_b64 s[18:19], s[0:1]
	s_xor_b64 s[0:1], exec, s[18:19]
; %bb.255:
	v_cmp_ne_u32_e32 vcc, 0, v95
	v_cndmask_b32_e32 v95, 13, v95, vcc
; %bb.256:
	s_andn2_saveexec_b64 s[0:1], s[0:1]
	s_cbranch_execz .LBB86_262
; %bb.257:
	v_cmp_ngt_f64_e64 s[18:19], |v[117:118]|, |v[119:120]|
	s_and_saveexec_b64 s[20:21], s[18:19]
	s_xor_b64 s[18:19], exec, s[20:21]
	s_cbranch_execz .LBB86_259
; %bb.258:
	v_div_scale_f64 v[98:99], s[20:21], v[119:120], v[119:120], v[117:118]
	v_rcp_f64_e32 v[100:101], v[98:99]
	v_fma_f64 v[102:103], -v[98:99], v[100:101], 1.0
	v_fma_f64 v[100:101], v[100:101], v[102:103], v[100:101]
	v_div_scale_f64 v[102:103], vcc, v[117:118], v[119:120], v[117:118]
	v_fma_f64 v[104:105], -v[98:99], v[100:101], 1.0
	v_fma_f64 v[100:101], v[100:101], v[104:105], v[100:101]
	v_mul_f64 v[104:105], v[102:103], v[100:101]
	v_fma_f64 v[98:99], -v[98:99], v[104:105], v[102:103]
	v_div_fmas_f64 v[98:99], v[98:99], v[100:101], v[104:105]
	v_div_fixup_f64 v[98:99], v[98:99], v[119:120], v[117:118]
	v_fma_f64 v[100:101], v[117:118], v[98:99], v[119:120]
	v_div_scale_f64 v[102:103], s[20:21], v[100:101], v[100:101], 1.0
	v_div_scale_f64 v[108:109], vcc, 1.0, v[100:101], 1.0
	v_rcp_f64_e32 v[104:105], v[102:103]
	v_fma_f64 v[106:107], -v[102:103], v[104:105], 1.0
	v_fma_f64 v[104:105], v[104:105], v[106:107], v[104:105]
	v_fma_f64 v[106:107], -v[102:103], v[104:105], 1.0
	v_fma_f64 v[104:105], v[104:105], v[106:107], v[104:105]
	v_mul_f64 v[106:107], v[108:109], v[104:105]
	v_fma_f64 v[102:103], -v[102:103], v[106:107], v[108:109]
	v_div_fmas_f64 v[102:103], v[102:103], v[104:105], v[106:107]
	v_div_fixup_f64 v[119:120], v[102:103], v[100:101], 1.0
	v_mul_f64 v[117:118], v[98:99], v[119:120]
	v_xor_b32_e32 v120, 0x80000000, v120
.LBB86_259:
	s_andn2_saveexec_b64 s[18:19], s[18:19]
	s_cbranch_execz .LBB86_261
; %bb.260:
	v_div_scale_f64 v[98:99], s[20:21], v[117:118], v[117:118], v[119:120]
	v_rcp_f64_e32 v[100:101], v[98:99]
	v_fma_f64 v[102:103], -v[98:99], v[100:101], 1.0
	v_fma_f64 v[100:101], v[100:101], v[102:103], v[100:101]
	v_div_scale_f64 v[102:103], vcc, v[119:120], v[117:118], v[119:120]
	v_fma_f64 v[104:105], -v[98:99], v[100:101], 1.0
	v_fma_f64 v[100:101], v[100:101], v[104:105], v[100:101]
	v_mul_f64 v[104:105], v[102:103], v[100:101]
	v_fma_f64 v[98:99], -v[98:99], v[104:105], v[102:103]
	v_div_fmas_f64 v[98:99], v[98:99], v[100:101], v[104:105]
	v_div_fixup_f64 v[98:99], v[98:99], v[117:118], v[119:120]
	v_fma_f64 v[100:101], v[119:120], v[98:99], v[117:118]
	v_div_scale_f64 v[102:103], s[20:21], v[100:101], v[100:101], 1.0
	v_div_scale_f64 v[108:109], vcc, 1.0, v[100:101], 1.0
	v_rcp_f64_e32 v[104:105], v[102:103]
	v_fma_f64 v[106:107], -v[102:103], v[104:105], 1.0
	v_fma_f64 v[104:105], v[104:105], v[106:107], v[104:105]
	v_fma_f64 v[106:107], -v[102:103], v[104:105], 1.0
	v_fma_f64 v[104:105], v[104:105], v[106:107], v[104:105]
	v_mul_f64 v[106:107], v[108:109], v[104:105]
	v_fma_f64 v[102:103], -v[102:103], v[106:107], v[108:109]
	v_div_fmas_f64 v[102:103], v[102:103], v[104:105], v[106:107]
	v_div_fixup_f64 v[117:118], v[102:103], v[100:101], 1.0
	v_mul_f64 v[119:120], v[98:99], -v[117:118]
.LBB86_261:
	s_or_b64 exec, exec, s[18:19]
.LBB86_262:
	s_or_b64 exec, exec, s[0:1]
	v_cmp_ne_u32_e32 vcc, v96, v97
	s_and_saveexec_b64 s[0:1], vcc
	s_xor_b64 s[0:1], exec, s[0:1]
	s_cbranch_execz .LBB86_268
; %bb.263:
	v_cmp_eq_u32_e32 vcc, 12, v96
	s_and_saveexec_b64 s[18:19], vcc
	s_cbranch_execz .LBB86_267
; %bb.264:
	v_cmp_ne_u32_e32 vcc, 12, v97
	s_xor_b64 s[20:21], s[6:7], -1
	s_and_b64 s[22:23], s[20:21], vcc
	s_and_saveexec_b64 s[20:21], s[22:23]
	s_cbranch_execz .LBB86_266
; %bb.265:
	v_ashrrev_i32_e32 v98, 31, v97
	v_lshlrev_b64 v[98:99], 2, v[97:98]
	v_add_co_u32_e32 v98, vcc, v91, v98
	v_addc_co_u32_e32 v99, vcc, v92, v99, vcc
	global_load_dword v0, v[98:99], off
	global_load_dword v96, v[91:92], off offset:48
	s_waitcnt vmcnt(1)
	global_store_dword v[91:92], v0, off offset:48
	s_waitcnt vmcnt(1)
	global_store_dword v[98:99], v96, off
.LBB86_266:
	s_or_b64 exec, exec, s[20:21]
	v_mov_b32_e32 v96, v97
	v_mov_b32_e32 v0, v97
.LBB86_267:
	s_or_b64 exec, exec, s[18:19]
.LBB86_268:
	s_andn2_saveexec_b64 s[0:1], s[0:1]
	s_cbranch_execz .LBB86_270
; %bb.269:
	buffer_load_dword v96, off, s[24:27], 0 offset:112 ; 4-byte Folded Reload
	buffer_load_dword v97, off, s[24:27], 0 offset:116 ; 4-byte Folded Reload
	buffer_load_dword v98, off, s[24:27], 0 offset:120 ; 4-byte Folded Reload
	buffer_load_dword v99, off, s[24:27], 0 offset:124 ; 4-byte Folded Reload
	s_waitcnt vmcnt(0)
	ds_write2_b64 v94, v[96:97], v[98:99] offset0:26 offset1:27
	buffer_load_dword v96, off, s[24:27], 0 offset:96 ; 4-byte Folded Reload
	buffer_load_dword v97, off, s[24:27], 0 offset:100 ; 4-byte Folded Reload
	buffer_load_dword v98, off, s[24:27], 0 offset:104 ; 4-byte Folded Reload
	buffer_load_dword v99, off, s[24:27], 0 offset:108 ; 4-byte Folded Reload
	s_waitcnt vmcnt(0)
	ds_write2_b64 v94, v[96:97], v[98:99] offset0:28 offset1:29
	;; [unrolled: 6-line block ×7, first 2 shown]
	buffer_load_dword v96, off, s[24:27], 0 ; 4-byte Folded Reload
	buffer_load_dword v97, off, s[24:27], 0 offset:4 ; 4-byte Folded Reload
	buffer_load_dword v98, off, s[24:27], 0 offset:8 ; 4-byte Folded Reload
	buffer_load_dword v99, off, s[24:27], 0 offset:12 ; 4-byte Folded Reload
	s_waitcnt vmcnt(0)
	ds_write2_b64 v94, v[96:97], v[98:99] offset0:40 offset1:41
	ds_write2_b64 v94, v[85:86], v[87:88] offset0:42 offset1:43
	;; [unrolled: 1-line block ×24, first 2 shown]
	v_mov_b32_e32 v96, 12
.LBB86_270:
	s_or_b64 exec, exec, s[0:1]
	v_cmp_lt_i32_e32 vcc, 12, v96
	s_waitcnt vmcnt(0) lgkmcnt(0)
	s_barrier
	s_and_saveexec_b64 s[0:1], vcc
	s_cbranch_execz .LBB86_272
; %bb.271:
	buffer_load_dword v105, off, s[24:27], 0 offset:128 ; 4-byte Folded Reload
	buffer_load_dword v106, off, s[24:27], 0 offset:132 ; 4-byte Folded Reload
	;; [unrolled: 1-line block ×4, first 2 shown]
	s_waitcnt vmcnt(0)
	v_mul_f64 v[97:98], v[119:120], v[107:108]
	v_fma_f64 v[125:126], v[117:118], v[105:106], -v[97:98]
	v_mul_f64 v[97:98], v[117:118], v[107:108]
	v_fma_f64 v[107:108], v[119:120], v[105:106], v[97:98]
	ds_read2_b64 v[97:100], v94 offset0:26 offset1:27
	buffer_load_dword v103, off, s[24:27], 0 offset:112 ; 4-byte Folded Reload
	buffer_load_dword v104, off, s[24:27], 0 offset:116 ; 4-byte Folded Reload
	buffer_load_dword v105, off, s[24:27], 0 offset:120 ; 4-byte Folded Reload
	buffer_load_dword v106, off, s[24:27], 0 offset:124 ; 4-byte Folded Reload
	s_waitcnt lgkmcnt(0)
	v_mul_f64 v[101:102], v[99:100], v[107:108]
	v_fma_f64 v[101:102], v[97:98], v[125:126], -v[101:102]
	v_mul_f64 v[97:98], v[97:98], v[107:108]
	v_fma_f64 v[97:98], v[99:100], v[125:126], v[97:98]
	s_waitcnt vmcnt(2)
	v_add_f64 v[103:104], v[103:104], -v[101:102]
	s_waitcnt vmcnt(0)
	v_add_f64 v[105:106], v[105:106], -v[97:98]
	buffer_store_dword v103, off, s[24:27], 0 offset:112 ; 4-byte Folded Spill
	s_nop 0
	buffer_store_dword v104, off, s[24:27], 0 offset:116 ; 4-byte Folded Spill
	buffer_store_dword v105, off, s[24:27], 0 offset:120 ; 4-byte Folded Spill
	buffer_store_dword v106, off, s[24:27], 0 offset:124 ; 4-byte Folded Spill
	ds_read2_b64 v[97:100], v94 offset0:28 offset1:29
	buffer_load_dword v103, off, s[24:27], 0 offset:96 ; 4-byte Folded Reload
	buffer_load_dword v104, off, s[24:27], 0 offset:100 ; 4-byte Folded Reload
	buffer_load_dword v105, off, s[24:27], 0 offset:104 ; 4-byte Folded Reload
	buffer_load_dword v106, off, s[24:27], 0 offset:108 ; 4-byte Folded Reload
	s_waitcnt lgkmcnt(0)
	v_mul_f64 v[101:102], v[99:100], v[107:108]
	v_fma_f64 v[101:102], v[97:98], v[125:126], -v[101:102]
	v_mul_f64 v[97:98], v[97:98], v[107:108]
	v_fma_f64 v[97:98], v[99:100], v[125:126], v[97:98]
	s_waitcnt vmcnt(2)
	v_add_f64 v[103:104], v[103:104], -v[101:102]
	s_waitcnt vmcnt(0)
	v_add_f64 v[105:106], v[105:106], -v[97:98]
	buffer_store_dword v103, off, s[24:27], 0 offset:96 ; 4-byte Folded Spill
	s_nop 0
	buffer_store_dword v104, off, s[24:27], 0 offset:100 ; 4-byte Folded Spill
	buffer_store_dword v105, off, s[24:27], 0 offset:104 ; 4-byte Folded Spill
	buffer_store_dword v106, off, s[24:27], 0 offset:108 ; 4-byte Folded Spill
	;; [unrolled: 19-line block ×7, first 2 shown]
	ds_read2_b64 v[97:100], v94 offset0:40 offset1:41
	buffer_load_dword v103, off, s[24:27], 0 ; 4-byte Folded Reload
	buffer_load_dword v104, off, s[24:27], 0 offset:4 ; 4-byte Folded Reload
	buffer_load_dword v105, off, s[24:27], 0 offset:8 ; 4-byte Folded Reload
	;; [unrolled: 1-line block ×3, first 2 shown]
	s_waitcnt lgkmcnt(0)
	v_mul_f64 v[101:102], v[99:100], v[107:108]
	v_fma_f64 v[101:102], v[97:98], v[125:126], -v[101:102]
	v_mul_f64 v[97:98], v[97:98], v[107:108]
	v_fma_f64 v[97:98], v[99:100], v[125:126], v[97:98]
	s_waitcnt vmcnt(2)
	v_add_f64 v[103:104], v[103:104], -v[101:102]
	s_waitcnt vmcnt(0)
	v_add_f64 v[105:106], v[105:106], -v[97:98]
	buffer_store_dword v103, off, s[24:27], 0 ; 4-byte Folded Spill
	s_nop 0
	buffer_store_dword v104, off, s[24:27], 0 offset:4 ; 4-byte Folded Spill
	buffer_store_dword v105, off, s[24:27], 0 offset:8 ; 4-byte Folded Spill
	;; [unrolled: 1-line block ×3, first 2 shown]
	ds_read2_b64 v[97:100], v94 offset0:42 offset1:43
	v_mov_b32_e32 v105, v125
	v_mov_b32_e32 v106, v126
	s_waitcnt lgkmcnt(0)
	v_mul_f64 v[101:102], v[99:100], v[107:108]
	v_fma_f64 v[101:102], v[97:98], v[125:126], -v[101:102]
	v_mul_f64 v[97:98], v[97:98], v[107:108]
	v_add_f64 v[85:86], v[85:86], -v[101:102]
	v_fma_f64 v[97:98], v[99:100], v[125:126], v[97:98]
	v_add_f64 v[87:88], v[87:88], -v[97:98]
	ds_read2_b64 v[97:100], v94 offset0:44 offset1:45
	s_waitcnt lgkmcnt(0)
	v_mul_f64 v[101:102], v[99:100], v[107:108]
	v_fma_f64 v[101:102], v[97:98], v[125:126], -v[101:102]
	v_mul_f64 v[97:98], v[97:98], v[107:108]
	v_add_f64 v[81:82], v[81:82], -v[101:102]
	v_fma_f64 v[97:98], v[99:100], v[125:126], v[97:98]
	v_add_f64 v[83:84], v[83:84], -v[97:98]
	ds_read2_b64 v[97:100], v94 offset0:46 offset1:47
	;; [unrolled: 8-line block ×22, first 2 shown]
	s_waitcnt lgkmcnt(0)
	v_mul_f64 v[101:102], v[99:100], v[107:108]
	v_fma_f64 v[101:102], v[97:98], v[125:126], -v[101:102]
	v_mul_f64 v[97:98], v[97:98], v[107:108]
	buffer_store_dword v105, off, s[24:27], 0 offset:128 ; 4-byte Folded Spill
	s_nop 0
	buffer_store_dword v106, off, s[24:27], 0 offset:132 ; 4-byte Folded Spill
	buffer_store_dword v107, off, s[24:27], 0 offset:136 ; 4-byte Folded Spill
	;; [unrolled: 1-line block ×3, first 2 shown]
	v_add_f64 v[121:122], v[121:122], -v[101:102]
	v_fma_f64 v[97:98], v[99:100], v[125:126], v[97:98]
	v_add_f64 v[123:124], v[123:124], -v[97:98]
.LBB86_272:
	s_or_b64 exec, exec, s[0:1]
	s_waitcnt vmcnt(0)
	s_barrier
	buffer_load_dword v98, off, s[24:27], 0 offset:112 ; 4-byte Folded Reload
	buffer_load_dword v99, off, s[24:27], 0 offset:116 ; 4-byte Folded Reload
	buffer_load_dword v100, off, s[24:27], 0 offset:120 ; 4-byte Folded Reload
	buffer_load_dword v101, off, s[24:27], 0 offset:124 ; 4-byte Folded Reload
	v_lshl_add_u32 v97, v96, 4, v94
	s_cmp_lt_i32 s3, 15
	s_waitcnt vmcnt(0)
	ds_write2_b64 v97, v[98:99], v[100:101] offset1:1
	s_waitcnt lgkmcnt(0)
	s_barrier
	ds_read2_b64 v[117:120], v94 offset0:26 offset1:27
	v_mov_b32_e32 v97, 13
	s_cbranch_scc1 .LBB86_275
; %bb.273:
	v_add_u32_e32 v98, 0xe0, v94
	s_mov_b32 s0, 14
	v_mov_b32_e32 v97, 13
.LBB86_274:                             ; =>This Inner Loop Header: Depth=1
	s_waitcnt lgkmcnt(0)
	v_cmp_gt_f64_e32 vcc, 0, v[117:118]
	v_xor_b32_e32 v103, 0x80000000, v118
	ds_read2_b64 v[99:102], v98 offset1:1
	v_xor_b32_e32 v105, 0x80000000, v120
	v_add_u32_e32 v98, 16, v98
	s_waitcnt lgkmcnt(0)
	v_xor_b32_e32 v107, 0x80000000, v102
	v_cndmask_b32_e32 v104, v118, v103, vcc
	v_cmp_gt_f64_e32 vcc, 0, v[119:120]
	v_mov_b32_e32 v103, v117
	v_cndmask_b32_e32 v106, v120, v105, vcc
	v_cmp_gt_f64_e32 vcc, 0, v[99:100]
	v_mov_b32_e32 v105, v119
	v_add_f64 v[103:104], v[103:104], v[105:106]
	v_xor_b32_e32 v105, 0x80000000, v100
	v_cndmask_b32_e32 v106, v100, v105, vcc
	v_cmp_gt_f64_e32 vcc, 0, v[101:102]
	v_mov_b32_e32 v105, v99
	v_cndmask_b32_e32 v108, v102, v107, vcc
	v_mov_b32_e32 v107, v101
	v_add_f64 v[105:106], v[105:106], v[107:108]
	v_cmp_lt_f64_e32 vcc, v[103:104], v[105:106]
	v_cndmask_b32_e32 v117, v117, v99, vcc
	v_mov_b32_e32 v99, s0
	s_add_i32 s0, s0, 1
	v_cndmask_b32_e32 v118, v118, v100, vcc
	v_cndmask_b32_e32 v120, v120, v102, vcc
	v_cndmask_b32_e32 v119, v119, v101, vcc
	v_cndmask_b32_e32 v97, v97, v99, vcc
	s_cmp_lg_u32 s3, s0
	s_cbranch_scc1 .LBB86_274
.LBB86_275:
	s_waitcnt lgkmcnt(0)
	v_cmp_eq_f64_e32 vcc, 0, v[117:118]
	v_cmp_eq_f64_e64 s[0:1], 0, v[119:120]
	s_and_b64 s[0:1], vcc, s[0:1]
	s_and_saveexec_b64 s[18:19], s[0:1]
	s_xor_b64 s[0:1], exec, s[18:19]
; %bb.276:
	v_cmp_ne_u32_e32 vcc, 0, v95
	v_cndmask_b32_e32 v95, 14, v95, vcc
; %bb.277:
	s_andn2_saveexec_b64 s[0:1], s[0:1]
	s_cbranch_execz .LBB86_283
; %bb.278:
	v_cmp_ngt_f64_e64 s[18:19], |v[117:118]|, |v[119:120]|
	s_and_saveexec_b64 s[20:21], s[18:19]
	s_xor_b64 s[18:19], exec, s[20:21]
	s_cbranch_execz .LBB86_280
; %bb.279:
	v_div_scale_f64 v[98:99], s[20:21], v[119:120], v[119:120], v[117:118]
	v_rcp_f64_e32 v[100:101], v[98:99]
	v_fma_f64 v[102:103], -v[98:99], v[100:101], 1.0
	v_fma_f64 v[100:101], v[100:101], v[102:103], v[100:101]
	v_div_scale_f64 v[102:103], vcc, v[117:118], v[119:120], v[117:118]
	v_fma_f64 v[104:105], -v[98:99], v[100:101], 1.0
	v_fma_f64 v[100:101], v[100:101], v[104:105], v[100:101]
	v_mul_f64 v[104:105], v[102:103], v[100:101]
	v_fma_f64 v[98:99], -v[98:99], v[104:105], v[102:103]
	v_div_fmas_f64 v[98:99], v[98:99], v[100:101], v[104:105]
	v_div_fixup_f64 v[98:99], v[98:99], v[119:120], v[117:118]
	v_fma_f64 v[100:101], v[117:118], v[98:99], v[119:120]
	v_div_scale_f64 v[102:103], s[20:21], v[100:101], v[100:101], 1.0
	v_div_scale_f64 v[108:109], vcc, 1.0, v[100:101], 1.0
	v_rcp_f64_e32 v[104:105], v[102:103]
	v_fma_f64 v[106:107], -v[102:103], v[104:105], 1.0
	v_fma_f64 v[104:105], v[104:105], v[106:107], v[104:105]
	v_fma_f64 v[106:107], -v[102:103], v[104:105], 1.0
	v_fma_f64 v[104:105], v[104:105], v[106:107], v[104:105]
	v_mul_f64 v[106:107], v[108:109], v[104:105]
	v_fma_f64 v[102:103], -v[102:103], v[106:107], v[108:109]
	v_div_fmas_f64 v[102:103], v[102:103], v[104:105], v[106:107]
	v_div_fixup_f64 v[119:120], v[102:103], v[100:101], 1.0
	v_mul_f64 v[117:118], v[98:99], v[119:120]
	v_xor_b32_e32 v120, 0x80000000, v120
.LBB86_280:
	s_andn2_saveexec_b64 s[18:19], s[18:19]
	s_cbranch_execz .LBB86_282
; %bb.281:
	v_div_scale_f64 v[98:99], s[20:21], v[117:118], v[117:118], v[119:120]
	v_rcp_f64_e32 v[100:101], v[98:99]
	v_fma_f64 v[102:103], -v[98:99], v[100:101], 1.0
	v_fma_f64 v[100:101], v[100:101], v[102:103], v[100:101]
	v_div_scale_f64 v[102:103], vcc, v[119:120], v[117:118], v[119:120]
	v_fma_f64 v[104:105], -v[98:99], v[100:101], 1.0
	v_fma_f64 v[100:101], v[100:101], v[104:105], v[100:101]
	v_mul_f64 v[104:105], v[102:103], v[100:101]
	v_fma_f64 v[98:99], -v[98:99], v[104:105], v[102:103]
	v_div_fmas_f64 v[98:99], v[98:99], v[100:101], v[104:105]
	v_div_fixup_f64 v[98:99], v[98:99], v[117:118], v[119:120]
	v_fma_f64 v[100:101], v[119:120], v[98:99], v[117:118]
	v_div_scale_f64 v[102:103], s[20:21], v[100:101], v[100:101], 1.0
	v_div_scale_f64 v[108:109], vcc, 1.0, v[100:101], 1.0
	v_rcp_f64_e32 v[104:105], v[102:103]
	v_fma_f64 v[106:107], -v[102:103], v[104:105], 1.0
	v_fma_f64 v[104:105], v[104:105], v[106:107], v[104:105]
	v_fma_f64 v[106:107], -v[102:103], v[104:105], 1.0
	v_fma_f64 v[104:105], v[104:105], v[106:107], v[104:105]
	v_mul_f64 v[106:107], v[108:109], v[104:105]
	v_fma_f64 v[102:103], -v[102:103], v[106:107], v[108:109]
	v_div_fmas_f64 v[102:103], v[102:103], v[104:105], v[106:107]
	v_div_fixup_f64 v[117:118], v[102:103], v[100:101], 1.0
	v_mul_f64 v[119:120], v[98:99], -v[117:118]
.LBB86_282:
	s_or_b64 exec, exec, s[18:19]
.LBB86_283:
	s_or_b64 exec, exec, s[0:1]
	v_cmp_ne_u32_e32 vcc, v96, v97
	s_and_saveexec_b64 s[0:1], vcc
	s_xor_b64 s[0:1], exec, s[0:1]
	s_cbranch_execz .LBB86_289
; %bb.284:
	v_cmp_eq_u32_e32 vcc, 13, v96
	s_and_saveexec_b64 s[18:19], vcc
	s_cbranch_execz .LBB86_288
; %bb.285:
	v_cmp_ne_u32_e32 vcc, 13, v97
	s_xor_b64 s[20:21], s[6:7], -1
	s_and_b64 s[22:23], s[20:21], vcc
	s_and_saveexec_b64 s[20:21], s[22:23]
	s_cbranch_execz .LBB86_287
; %bb.286:
	v_ashrrev_i32_e32 v98, 31, v97
	v_lshlrev_b64 v[98:99], 2, v[97:98]
	v_add_co_u32_e32 v98, vcc, v91, v98
	v_addc_co_u32_e32 v99, vcc, v92, v99, vcc
	global_load_dword v0, v[98:99], off
	global_load_dword v96, v[91:92], off offset:52
	s_waitcnt vmcnt(1)
	global_store_dword v[91:92], v0, off offset:52
	s_waitcnt vmcnt(1)
	global_store_dword v[98:99], v96, off
.LBB86_287:
	s_or_b64 exec, exec, s[20:21]
	v_mov_b32_e32 v96, v97
	v_mov_b32_e32 v0, v97
.LBB86_288:
	s_or_b64 exec, exec, s[18:19]
.LBB86_289:
	s_andn2_saveexec_b64 s[0:1], s[0:1]
	s_cbranch_execz .LBB86_291
; %bb.290:
	buffer_load_dword v96, off, s[24:27], 0 offset:96 ; 4-byte Folded Reload
	buffer_load_dword v97, off, s[24:27], 0 offset:100 ; 4-byte Folded Reload
	buffer_load_dword v98, off, s[24:27], 0 offset:104 ; 4-byte Folded Reload
	buffer_load_dword v99, off, s[24:27], 0 offset:108 ; 4-byte Folded Reload
	s_waitcnt vmcnt(0)
	ds_write2_b64 v94, v[96:97], v[98:99] offset0:28 offset1:29
	buffer_load_dword v96, off, s[24:27], 0 offset:80 ; 4-byte Folded Reload
	buffer_load_dword v97, off, s[24:27], 0 offset:84 ; 4-byte Folded Reload
	buffer_load_dword v98, off, s[24:27], 0 offset:88 ; 4-byte Folded Reload
	buffer_load_dword v99, off, s[24:27], 0 offset:92 ; 4-byte Folded Reload
	s_waitcnt vmcnt(0)
	ds_write2_b64 v94, v[96:97], v[98:99] offset0:30 offset1:31
	;; [unrolled: 6-line block ×6, first 2 shown]
	buffer_load_dword v96, off, s[24:27], 0 ; 4-byte Folded Reload
	buffer_load_dword v97, off, s[24:27], 0 offset:4 ; 4-byte Folded Reload
	buffer_load_dword v98, off, s[24:27], 0 offset:8 ; 4-byte Folded Reload
	;; [unrolled: 1-line block ×3, first 2 shown]
	s_waitcnt vmcnt(0)
	ds_write2_b64 v94, v[96:97], v[98:99] offset0:40 offset1:41
	ds_write2_b64 v94, v[85:86], v[87:88] offset0:42 offset1:43
	ds_write2_b64 v94, v[81:82], v[83:84] offset0:44 offset1:45
	ds_write2_b64 v94, v[77:78], v[79:80] offset0:46 offset1:47
	ds_write2_b64 v94, v[73:74], v[75:76] offset0:48 offset1:49
	ds_write2_b64 v94, v[69:70], v[71:72] offset0:50 offset1:51
	ds_write2_b64 v94, v[65:66], v[67:68] offset0:52 offset1:53
	ds_write2_b64 v94, v[61:62], v[63:64] offset0:54 offset1:55
	ds_write2_b64 v94, v[57:58], v[59:60] offset0:56 offset1:57
	ds_write2_b64 v94, v[53:54], v[55:56] offset0:58 offset1:59
	ds_write2_b64 v94, v[49:50], v[51:52] offset0:60 offset1:61
	ds_write2_b64 v94, v[45:46], v[47:48] offset0:62 offset1:63
	ds_write2_b64 v94, v[41:42], v[43:44] offset0:64 offset1:65
	ds_write2_b64 v94, v[37:38], v[39:40] offset0:66 offset1:67
	ds_write2_b64 v94, v[33:34], v[35:36] offset0:68 offset1:69
	ds_write2_b64 v94, v[29:30], v[31:32] offset0:70 offset1:71
	ds_write2_b64 v94, v[25:26], v[27:28] offset0:72 offset1:73
	ds_write2_b64 v94, v[21:22], v[23:24] offset0:74 offset1:75
	ds_write2_b64 v94, v[17:18], v[19:20] offset0:76 offset1:77
	ds_write2_b64 v94, v[13:14], v[15:16] offset0:78 offset1:79
	ds_write2_b64 v94, v[9:10], v[11:12] offset0:80 offset1:81
	ds_write2_b64 v94, v[5:6], v[7:8] offset0:82 offset1:83
	ds_write2_b64 v94, v[1:2], v[3:4] offset0:84 offset1:85
	ds_write2_b64 v94, v[121:122], v[123:124] offset0:86 offset1:87
	v_mov_b32_e32 v96, 13
.LBB86_291:
	s_or_b64 exec, exec, s[0:1]
	v_cmp_lt_i32_e32 vcc, 13, v96
	s_waitcnt vmcnt(0) lgkmcnt(0)
	s_barrier
	s_and_saveexec_b64 s[0:1], vcc
	s_cbranch_execz .LBB86_293
; %bb.292:
	buffer_load_dword v105, off, s[24:27], 0 offset:112 ; 4-byte Folded Reload
	buffer_load_dword v106, off, s[24:27], 0 offset:116 ; 4-byte Folded Reload
	;; [unrolled: 1-line block ×4, first 2 shown]
	s_waitcnt vmcnt(0)
	v_mul_f64 v[97:98], v[119:120], v[107:108]
	v_fma_f64 v[125:126], v[117:118], v[105:106], -v[97:98]
	v_mul_f64 v[97:98], v[117:118], v[107:108]
	v_fma_f64 v[107:108], v[119:120], v[105:106], v[97:98]
	ds_read2_b64 v[97:100], v94 offset0:28 offset1:29
	buffer_load_dword v103, off, s[24:27], 0 offset:96 ; 4-byte Folded Reload
	buffer_load_dword v104, off, s[24:27], 0 offset:100 ; 4-byte Folded Reload
	buffer_load_dword v105, off, s[24:27], 0 offset:104 ; 4-byte Folded Reload
	buffer_load_dword v106, off, s[24:27], 0 offset:108 ; 4-byte Folded Reload
	s_waitcnt lgkmcnt(0)
	v_mul_f64 v[101:102], v[99:100], v[107:108]
	v_fma_f64 v[101:102], v[97:98], v[125:126], -v[101:102]
	v_mul_f64 v[97:98], v[97:98], v[107:108]
	v_fma_f64 v[97:98], v[99:100], v[125:126], v[97:98]
	s_waitcnt vmcnt(2)
	v_add_f64 v[103:104], v[103:104], -v[101:102]
	s_waitcnt vmcnt(0)
	v_add_f64 v[105:106], v[105:106], -v[97:98]
	buffer_store_dword v103, off, s[24:27], 0 offset:96 ; 4-byte Folded Spill
	s_nop 0
	buffer_store_dword v104, off, s[24:27], 0 offset:100 ; 4-byte Folded Spill
	buffer_store_dword v105, off, s[24:27], 0 offset:104 ; 4-byte Folded Spill
	buffer_store_dword v106, off, s[24:27], 0 offset:108 ; 4-byte Folded Spill
	ds_read2_b64 v[97:100], v94 offset0:30 offset1:31
	buffer_load_dword v103, off, s[24:27], 0 offset:80 ; 4-byte Folded Reload
	buffer_load_dword v104, off, s[24:27], 0 offset:84 ; 4-byte Folded Reload
	buffer_load_dword v105, off, s[24:27], 0 offset:88 ; 4-byte Folded Reload
	buffer_load_dword v106, off, s[24:27], 0 offset:92 ; 4-byte Folded Reload
	s_waitcnt lgkmcnt(0)
	v_mul_f64 v[101:102], v[99:100], v[107:108]
	v_fma_f64 v[101:102], v[97:98], v[125:126], -v[101:102]
	v_mul_f64 v[97:98], v[97:98], v[107:108]
	v_fma_f64 v[97:98], v[99:100], v[125:126], v[97:98]
	s_waitcnt vmcnt(2)
	v_add_f64 v[103:104], v[103:104], -v[101:102]
	s_waitcnt vmcnt(0)
	v_add_f64 v[105:106], v[105:106], -v[97:98]
	buffer_store_dword v103, off, s[24:27], 0 offset:80 ; 4-byte Folded Spill
	s_nop 0
	buffer_store_dword v104, off, s[24:27], 0 offset:84 ; 4-byte Folded Spill
	buffer_store_dword v105, off, s[24:27], 0 offset:88 ; 4-byte Folded Spill
	buffer_store_dword v106, off, s[24:27], 0 offset:92 ; 4-byte Folded Spill
	;; [unrolled: 19-line block ×6, first 2 shown]
	ds_read2_b64 v[97:100], v94 offset0:40 offset1:41
	buffer_load_dword v103, off, s[24:27], 0 ; 4-byte Folded Reload
	buffer_load_dword v104, off, s[24:27], 0 offset:4 ; 4-byte Folded Reload
	buffer_load_dword v105, off, s[24:27], 0 offset:8 ; 4-byte Folded Reload
	;; [unrolled: 1-line block ×3, first 2 shown]
	s_waitcnt lgkmcnt(0)
	v_mul_f64 v[101:102], v[99:100], v[107:108]
	v_fma_f64 v[101:102], v[97:98], v[125:126], -v[101:102]
	v_mul_f64 v[97:98], v[97:98], v[107:108]
	v_fma_f64 v[97:98], v[99:100], v[125:126], v[97:98]
	s_waitcnt vmcnt(2)
	v_add_f64 v[103:104], v[103:104], -v[101:102]
	s_waitcnt vmcnt(0)
	v_add_f64 v[105:106], v[105:106], -v[97:98]
	buffer_store_dword v103, off, s[24:27], 0 ; 4-byte Folded Spill
	s_nop 0
	buffer_store_dword v104, off, s[24:27], 0 offset:4 ; 4-byte Folded Spill
	buffer_store_dword v105, off, s[24:27], 0 offset:8 ; 4-byte Folded Spill
	buffer_store_dword v106, off, s[24:27], 0 offset:12 ; 4-byte Folded Spill
	ds_read2_b64 v[97:100], v94 offset0:42 offset1:43
	v_mov_b32_e32 v105, v125
	v_mov_b32_e32 v106, v126
	s_waitcnt lgkmcnt(0)
	v_mul_f64 v[101:102], v[99:100], v[107:108]
	v_fma_f64 v[101:102], v[97:98], v[125:126], -v[101:102]
	v_mul_f64 v[97:98], v[97:98], v[107:108]
	v_add_f64 v[85:86], v[85:86], -v[101:102]
	v_fma_f64 v[97:98], v[99:100], v[125:126], v[97:98]
	v_add_f64 v[87:88], v[87:88], -v[97:98]
	ds_read2_b64 v[97:100], v94 offset0:44 offset1:45
	s_waitcnt lgkmcnt(0)
	v_mul_f64 v[101:102], v[99:100], v[107:108]
	v_fma_f64 v[101:102], v[97:98], v[125:126], -v[101:102]
	v_mul_f64 v[97:98], v[97:98], v[107:108]
	v_add_f64 v[81:82], v[81:82], -v[101:102]
	v_fma_f64 v[97:98], v[99:100], v[125:126], v[97:98]
	v_add_f64 v[83:84], v[83:84], -v[97:98]
	ds_read2_b64 v[97:100], v94 offset0:46 offset1:47
	;; [unrolled: 8-line block ×22, first 2 shown]
	s_waitcnt lgkmcnt(0)
	v_mul_f64 v[101:102], v[99:100], v[107:108]
	v_fma_f64 v[101:102], v[97:98], v[125:126], -v[101:102]
	v_mul_f64 v[97:98], v[97:98], v[107:108]
	buffer_store_dword v105, off, s[24:27], 0 offset:112 ; 4-byte Folded Spill
	s_nop 0
	buffer_store_dword v106, off, s[24:27], 0 offset:116 ; 4-byte Folded Spill
	buffer_store_dword v107, off, s[24:27], 0 offset:120 ; 4-byte Folded Spill
	;; [unrolled: 1-line block ×3, first 2 shown]
	v_add_f64 v[121:122], v[121:122], -v[101:102]
	v_fma_f64 v[97:98], v[99:100], v[125:126], v[97:98]
	v_add_f64 v[123:124], v[123:124], -v[97:98]
.LBB86_293:
	s_or_b64 exec, exec, s[0:1]
	s_waitcnt vmcnt(0)
	s_barrier
	buffer_load_dword v98, off, s[24:27], 0 offset:96 ; 4-byte Folded Reload
	buffer_load_dword v99, off, s[24:27], 0 offset:100 ; 4-byte Folded Reload
	;; [unrolled: 1-line block ×4, first 2 shown]
	v_lshl_add_u32 v97, v96, 4, v94
	s_cmp_lt_i32 s3, 16
	s_waitcnt vmcnt(0)
	ds_write2_b64 v97, v[98:99], v[100:101] offset1:1
	s_waitcnt lgkmcnt(0)
	s_barrier
	ds_read2_b64 v[117:120], v94 offset0:28 offset1:29
	v_mov_b32_e32 v97, 14
	s_cbranch_scc1 .LBB86_296
; %bb.294:
	v_add_u32_e32 v98, 0xf0, v94
	s_mov_b32 s0, 15
	v_mov_b32_e32 v97, 14
.LBB86_295:                             ; =>This Inner Loop Header: Depth=1
	s_waitcnt lgkmcnt(0)
	v_cmp_gt_f64_e32 vcc, 0, v[117:118]
	v_xor_b32_e32 v103, 0x80000000, v118
	ds_read2_b64 v[99:102], v98 offset1:1
	v_xor_b32_e32 v105, 0x80000000, v120
	v_add_u32_e32 v98, 16, v98
	s_waitcnt lgkmcnt(0)
	v_xor_b32_e32 v107, 0x80000000, v102
	v_cndmask_b32_e32 v104, v118, v103, vcc
	v_cmp_gt_f64_e32 vcc, 0, v[119:120]
	v_mov_b32_e32 v103, v117
	v_cndmask_b32_e32 v106, v120, v105, vcc
	v_cmp_gt_f64_e32 vcc, 0, v[99:100]
	v_mov_b32_e32 v105, v119
	v_add_f64 v[103:104], v[103:104], v[105:106]
	v_xor_b32_e32 v105, 0x80000000, v100
	v_cndmask_b32_e32 v106, v100, v105, vcc
	v_cmp_gt_f64_e32 vcc, 0, v[101:102]
	v_mov_b32_e32 v105, v99
	v_cndmask_b32_e32 v108, v102, v107, vcc
	v_mov_b32_e32 v107, v101
	v_add_f64 v[105:106], v[105:106], v[107:108]
	v_cmp_lt_f64_e32 vcc, v[103:104], v[105:106]
	v_cndmask_b32_e32 v117, v117, v99, vcc
	v_mov_b32_e32 v99, s0
	s_add_i32 s0, s0, 1
	v_cndmask_b32_e32 v118, v118, v100, vcc
	v_cndmask_b32_e32 v120, v120, v102, vcc
	;; [unrolled: 1-line block ×4, first 2 shown]
	s_cmp_lg_u32 s3, s0
	s_cbranch_scc1 .LBB86_295
.LBB86_296:
	s_waitcnt lgkmcnt(0)
	v_cmp_eq_f64_e32 vcc, 0, v[117:118]
	v_cmp_eq_f64_e64 s[0:1], 0, v[119:120]
	s_and_b64 s[0:1], vcc, s[0:1]
	s_and_saveexec_b64 s[18:19], s[0:1]
	s_xor_b64 s[0:1], exec, s[18:19]
; %bb.297:
	v_cmp_ne_u32_e32 vcc, 0, v95
	v_cndmask_b32_e32 v95, 15, v95, vcc
; %bb.298:
	s_andn2_saveexec_b64 s[0:1], s[0:1]
	s_cbranch_execz .LBB86_304
; %bb.299:
	v_cmp_ngt_f64_e64 s[18:19], |v[117:118]|, |v[119:120]|
	s_and_saveexec_b64 s[20:21], s[18:19]
	s_xor_b64 s[18:19], exec, s[20:21]
	s_cbranch_execz .LBB86_301
; %bb.300:
	v_div_scale_f64 v[98:99], s[20:21], v[119:120], v[119:120], v[117:118]
	v_rcp_f64_e32 v[100:101], v[98:99]
	v_fma_f64 v[102:103], -v[98:99], v[100:101], 1.0
	v_fma_f64 v[100:101], v[100:101], v[102:103], v[100:101]
	v_div_scale_f64 v[102:103], vcc, v[117:118], v[119:120], v[117:118]
	v_fma_f64 v[104:105], -v[98:99], v[100:101], 1.0
	v_fma_f64 v[100:101], v[100:101], v[104:105], v[100:101]
	v_mul_f64 v[104:105], v[102:103], v[100:101]
	v_fma_f64 v[98:99], -v[98:99], v[104:105], v[102:103]
	v_div_fmas_f64 v[98:99], v[98:99], v[100:101], v[104:105]
	v_div_fixup_f64 v[98:99], v[98:99], v[119:120], v[117:118]
	v_fma_f64 v[100:101], v[117:118], v[98:99], v[119:120]
	v_div_scale_f64 v[102:103], s[20:21], v[100:101], v[100:101], 1.0
	v_div_scale_f64 v[108:109], vcc, 1.0, v[100:101], 1.0
	v_rcp_f64_e32 v[104:105], v[102:103]
	v_fma_f64 v[106:107], -v[102:103], v[104:105], 1.0
	v_fma_f64 v[104:105], v[104:105], v[106:107], v[104:105]
	v_fma_f64 v[106:107], -v[102:103], v[104:105], 1.0
	v_fma_f64 v[104:105], v[104:105], v[106:107], v[104:105]
	v_mul_f64 v[106:107], v[108:109], v[104:105]
	v_fma_f64 v[102:103], -v[102:103], v[106:107], v[108:109]
	v_div_fmas_f64 v[102:103], v[102:103], v[104:105], v[106:107]
	v_div_fixup_f64 v[119:120], v[102:103], v[100:101], 1.0
	v_mul_f64 v[117:118], v[98:99], v[119:120]
	v_xor_b32_e32 v120, 0x80000000, v120
.LBB86_301:
	s_andn2_saveexec_b64 s[18:19], s[18:19]
	s_cbranch_execz .LBB86_303
; %bb.302:
	v_div_scale_f64 v[98:99], s[20:21], v[117:118], v[117:118], v[119:120]
	v_rcp_f64_e32 v[100:101], v[98:99]
	v_fma_f64 v[102:103], -v[98:99], v[100:101], 1.0
	v_fma_f64 v[100:101], v[100:101], v[102:103], v[100:101]
	v_div_scale_f64 v[102:103], vcc, v[119:120], v[117:118], v[119:120]
	v_fma_f64 v[104:105], -v[98:99], v[100:101], 1.0
	v_fma_f64 v[100:101], v[100:101], v[104:105], v[100:101]
	v_mul_f64 v[104:105], v[102:103], v[100:101]
	v_fma_f64 v[98:99], -v[98:99], v[104:105], v[102:103]
	v_div_fmas_f64 v[98:99], v[98:99], v[100:101], v[104:105]
	v_div_fixup_f64 v[98:99], v[98:99], v[117:118], v[119:120]
	v_fma_f64 v[100:101], v[119:120], v[98:99], v[117:118]
	v_div_scale_f64 v[102:103], s[20:21], v[100:101], v[100:101], 1.0
	v_div_scale_f64 v[108:109], vcc, 1.0, v[100:101], 1.0
	v_rcp_f64_e32 v[104:105], v[102:103]
	v_fma_f64 v[106:107], -v[102:103], v[104:105], 1.0
	v_fma_f64 v[104:105], v[104:105], v[106:107], v[104:105]
	v_fma_f64 v[106:107], -v[102:103], v[104:105], 1.0
	v_fma_f64 v[104:105], v[104:105], v[106:107], v[104:105]
	v_mul_f64 v[106:107], v[108:109], v[104:105]
	v_fma_f64 v[102:103], -v[102:103], v[106:107], v[108:109]
	v_div_fmas_f64 v[102:103], v[102:103], v[104:105], v[106:107]
	v_div_fixup_f64 v[117:118], v[102:103], v[100:101], 1.0
	v_mul_f64 v[119:120], v[98:99], -v[117:118]
.LBB86_303:
	s_or_b64 exec, exec, s[18:19]
.LBB86_304:
	s_or_b64 exec, exec, s[0:1]
	v_cmp_ne_u32_e32 vcc, v96, v97
	s_and_saveexec_b64 s[0:1], vcc
	s_xor_b64 s[0:1], exec, s[0:1]
	s_cbranch_execz .LBB86_310
; %bb.305:
	v_cmp_eq_u32_e32 vcc, 14, v96
	s_and_saveexec_b64 s[18:19], vcc
	s_cbranch_execz .LBB86_309
; %bb.306:
	v_cmp_ne_u32_e32 vcc, 14, v97
	s_xor_b64 s[20:21], s[6:7], -1
	s_and_b64 s[22:23], s[20:21], vcc
	s_and_saveexec_b64 s[20:21], s[22:23]
	s_cbranch_execz .LBB86_308
; %bb.307:
	v_ashrrev_i32_e32 v98, 31, v97
	v_lshlrev_b64 v[98:99], 2, v[97:98]
	v_add_co_u32_e32 v98, vcc, v91, v98
	v_addc_co_u32_e32 v99, vcc, v92, v99, vcc
	global_load_dword v0, v[98:99], off
	global_load_dword v96, v[91:92], off offset:56
	s_waitcnt vmcnt(1)
	global_store_dword v[91:92], v0, off offset:56
	s_waitcnt vmcnt(1)
	global_store_dword v[98:99], v96, off
.LBB86_308:
	s_or_b64 exec, exec, s[20:21]
	v_mov_b32_e32 v96, v97
	v_mov_b32_e32 v0, v97
.LBB86_309:
	s_or_b64 exec, exec, s[18:19]
.LBB86_310:
	s_andn2_saveexec_b64 s[0:1], s[0:1]
	s_cbranch_execz .LBB86_312
; %bb.311:
	buffer_load_dword v96, off, s[24:27], 0 offset:80 ; 4-byte Folded Reload
	buffer_load_dword v97, off, s[24:27], 0 offset:84 ; 4-byte Folded Reload
	buffer_load_dword v98, off, s[24:27], 0 offset:88 ; 4-byte Folded Reload
	buffer_load_dword v99, off, s[24:27], 0 offset:92 ; 4-byte Folded Reload
	s_waitcnt vmcnt(0)
	ds_write2_b64 v94, v[96:97], v[98:99] offset0:30 offset1:31
	buffer_load_dword v96, off, s[24:27], 0 offset:64 ; 4-byte Folded Reload
	buffer_load_dword v97, off, s[24:27], 0 offset:68 ; 4-byte Folded Reload
	buffer_load_dword v98, off, s[24:27], 0 offset:72 ; 4-byte Folded Reload
	buffer_load_dword v99, off, s[24:27], 0 offset:76 ; 4-byte Folded Reload
	s_waitcnt vmcnt(0)
	ds_write2_b64 v94, v[96:97], v[98:99] offset0:32 offset1:33
	;; [unrolled: 6-line block ×5, first 2 shown]
	buffer_load_dword v96, off, s[24:27], 0 ; 4-byte Folded Reload
	buffer_load_dword v97, off, s[24:27], 0 offset:4 ; 4-byte Folded Reload
	buffer_load_dword v98, off, s[24:27], 0 offset:8 ; 4-byte Folded Reload
	;; [unrolled: 1-line block ×3, first 2 shown]
	s_waitcnt vmcnt(0)
	ds_write2_b64 v94, v[96:97], v[98:99] offset0:40 offset1:41
	ds_write2_b64 v94, v[85:86], v[87:88] offset0:42 offset1:43
	;; [unrolled: 1-line block ×24, first 2 shown]
	v_mov_b32_e32 v96, 14
.LBB86_312:
	s_or_b64 exec, exec, s[0:1]
	v_cmp_lt_i32_e32 vcc, 14, v96
	s_waitcnt vmcnt(0) lgkmcnt(0)
	s_barrier
	s_and_saveexec_b64 s[0:1], vcc
	s_cbranch_execz .LBB86_314
; %bb.313:
	buffer_load_dword v105, off, s[24:27], 0 offset:96 ; 4-byte Folded Reload
	buffer_load_dword v106, off, s[24:27], 0 offset:100 ; 4-byte Folded Reload
	;; [unrolled: 1-line block ×4, first 2 shown]
	s_waitcnt vmcnt(0)
	v_mul_f64 v[97:98], v[119:120], v[107:108]
	v_fma_f64 v[125:126], v[117:118], v[105:106], -v[97:98]
	v_mul_f64 v[97:98], v[117:118], v[107:108]
	v_fma_f64 v[107:108], v[119:120], v[105:106], v[97:98]
	ds_read2_b64 v[97:100], v94 offset0:30 offset1:31
	buffer_load_dword v103, off, s[24:27], 0 offset:80 ; 4-byte Folded Reload
	buffer_load_dword v104, off, s[24:27], 0 offset:84 ; 4-byte Folded Reload
	buffer_load_dword v105, off, s[24:27], 0 offset:88 ; 4-byte Folded Reload
	buffer_load_dword v106, off, s[24:27], 0 offset:92 ; 4-byte Folded Reload
	s_waitcnt lgkmcnt(0)
	v_mul_f64 v[101:102], v[99:100], v[107:108]
	v_fma_f64 v[101:102], v[97:98], v[125:126], -v[101:102]
	v_mul_f64 v[97:98], v[97:98], v[107:108]
	v_fma_f64 v[97:98], v[99:100], v[125:126], v[97:98]
	s_waitcnt vmcnt(2)
	v_add_f64 v[103:104], v[103:104], -v[101:102]
	s_waitcnt vmcnt(0)
	v_add_f64 v[105:106], v[105:106], -v[97:98]
	buffer_store_dword v103, off, s[24:27], 0 offset:80 ; 4-byte Folded Spill
	s_nop 0
	buffer_store_dword v104, off, s[24:27], 0 offset:84 ; 4-byte Folded Spill
	buffer_store_dword v105, off, s[24:27], 0 offset:88 ; 4-byte Folded Spill
	buffer_store_dword v106, off, s[24:27], 0 offset:92 ; 4-byte Folded Spill
	ds_read2_b64 v[97:100], v94 offset0:32 offset1:33
	buffer_load_dword v103, off, s[24:27], 0 offset:64 ; 4-byte Folded Reload
	buffer_load_dword v104, off, s[24:27], 0 offset:68 ; 4-byte Folded Reload
	buffer_load_dword v105, off, s[24:27], 0 offset:72 ; 4-byte Folded Reload
	buffer_load_dword v106, off, s[24:27], 0 offset:76 ; 4-byte Folded Reload
	s_waitcnt lgkmcnt(0)
	v_mul_f64 v[101:102], v[99:100], v[107:108]
	v_fma_f64 v[101:102], v[97:98], v[125:126], -v[101:102]
	v_mul_f64 v[97:98], v[97:98], v[107:108]
	v_fma_f64 v[97:98], v[99:100], v[125:126], v[97:98]
	s_waitcnt vmcnt(2)
	v_add_f64 v[103:104], v[103:104], -v[101:102]
	s_waitcnt vmcnt(0)
	v_add_f64 v[105:106], v[105:106], -v[97:98]
	buffer_store_dword v103, off, s[24:27], 0 offset:64 ; 4-byte Folded Spill
	s_nop 0
	buffer_store_dword v104, off, s[24:27], 0 offset:68 ; 4-byte Folded Spill
	buffer_store_dword v105, off, s[24:27], 0 offset:72 ; 4-byte Folded Spill
	buffer_store_dword v106, off, s[24:27], 0 offset:76 ; 4-byte Folded Spill
	ds_read2_b64 v[97:100], v94 offset0:34 offset1:35
	buffer_load_dword v103, off, s[24:27], 0 offset:48 ; 4-byte Folded Reload
	buffer_load_dword v104, off, s[24:27], 0 offset:52 ; 4-byte Folded Reload
	buffer_load_dword v105, off, s[24:27], 0 offset:56 ; 4-byte Folded Reload
	buffer_load_dword v106, off, s[24:27], 0 offset:60 ; 4-byte Folded Reload
	s_waitcnt lgkmcnt(0)
	v_mul_f64 v[101:102], v[99:100], v[107:108]
	v_fma_f64 v[101:102], v[97:98], v[125:126], -v[101:102]
	v_mul_f64 v[97:98], v[97:98], v[107:108]
	v_fma_f64 v[97:98], v[99:100], v[125:126], v[97:98]
	s_waitcnt vmcnt(2)
	v_add_f64 v[103:104], v[103:104], -v[101:102]
	s_waitcnt vmcnt(0)
	v_add_f64 v[105:106], v[105:106], -v[97:98]
	buffer_store_dword v103, off, s[24:27], 0 offset:48 ; 4-byte Folded Spill
	s_nop 0
	buffer_store_dword v104, off, s[24:27], 0 offset:52 ; 4-byte Folded Spill
	buffer_store_dword v105, off, s[24:27], 0 offset:56 ; 4-byte Folded Spill
	buffer_store_dword v106, off, s[24:27], 0 offset:60 ; 4-byte Folded Spill
	ds_read2_b64 v[97:100], v94 offset0:36 offset1:37
	buffer_load_dword v103, off, s[24:27], 0 offset:32 ; 4-byte Folded Reload
	buffer_load_dword v104, off, s[24:27], 0 offset:36 ; 4-byte Folded Reload
	buffer_load_dword v105, off, s[24:27], 0 offset:40 ; 4-byte Folded Reload
	buffer_load_dword v106, off, s[24:27], 0 offset:44 ; 4-byte Folded Reload
	s_waitcnt lgkmcnt(0)
	v_mul_f64 v[101:102], v[99:100], v[107:108]
	v_fma_f64 v[101:102], v[97:98], v[125:126], -v[101:102]
	v_mul_f64 v[97:98], v[97:98], v[107:108]
	v_fma_f64 v[97:98], v[99:100], v[125:126], v[97:98]
	s_waitcnt vmcnt(2)
	v_add_f64 v[103:104], v[103:104], -v[101:102]
	s_waitcnt vmcnt(0)
	v_add_f64 v[105:106], v[105:106], -v[97:98]
	buffer_store_dword v103, off, s[24:27], 0 offset:32 ; 4-byte Folded Spill
	s_nop 0
	buffer_store_dword v104, off, s[24:27], 0 offset:36 ; 4-byte Folded Spill
	buffer_store_dword v105, off, s[24:27], 0 offset:40 ; 4-byte Folded Spill
	buffer_store_dword v106, off, s[24:27], 0 offset:44 ; 4-byte Folded Spill
	ds_read2_b64 v[97:100], v94 offset0:38 offset1:39
	buffer_load_dword v103, off, s[24:27], 0 offset:16 ; 4-byte Folded Reload
	buffer_load_dword v104, off, s[24:27], 0 offset:20 ; 4-byte Folded Reload
	buffer_load_dword v105, off, s[24:27], 0 offset:24 ; 4-byte Folded Reload
	buffer_load_dword v106, off, s[24:27], 0 offset:28 ; 4-byte Folded Reload
	s_waitcnt lgkmcnt(0)
	v_mul_f64 v[101:102], v[99:100], v[107:108]
	v_fma_f64 v[101:102], v[97:98], v[125:126], -v[101:102]
	v_mul_f64 v[97:98], v[97:98], v[107:108]
	v_fma_f64 v[97:98], v[99:100], v[125:126], v[97:98]
	s_waitcnt vmcnt(2)
	v_add_f64 v[103:104], v[103:104], -v[101:102]
	s_waitcnt vmcnt(0)
	v_add_f64 v[105:106], v[105:106], -v[97:98]
	buffer_store_dword v103, off, s[24:27], 0 offset:16 ; 4-byte Folded Spill
	s_nop 0
	buffer_store_dword v104, off, s[24:27], 0 offset:20 ; 4-byte Folded Spill
	buffer_store_dword v105, off, s[24:27], 0 offset:24 ; 4-byte Folded Spill
	buffer_store_dword v106, off, s[24:27], 0 offset:28 ; 4-byte Folded Spill
	ds_read2_b64 v[97:100], v94 offset0:40 offset1:41
	buffer_load_dword v103, off, s[24:27], 0 ; 4-byte Folded Reload
	buffer_load_dword v104, off, s[24:27], 0 offset:4 ; 4-byte Folded Reload
	buffer_load_dword v105, off, s[24:27], 0 offset:8 ; 4-byte Folded Reload
	;; [unrolled: 1-line block ×3, first 2 shown]
	s_waitcnt lgkmcnt(0)
	v_mul_f64 v[101:102], v[99:100], v[107:108]
	v_fma_f64 v[101:102], v[97:98], v[125:126], -v[101:102]
	v_mul_f64 v[97:98], v[97:98], v[107:108]
	v_fma_f64 v[97:98], v[99:100], v[125:126], v[97:98]
	s_waitcnt vmcnt(2)
	v_add_f64 v[103:104], v[103:104], -v[101:102]
	s_waitcnt vmcnt(0)
	v_add_f64 v[105:106], v[105:106], -v[97:98]
	buffer_store_dword v103, off, s[24:27], 0 ; 4-byte Folded Spill
	s_nop 0
	buffer_store_dword v104, off, s[24:27], 0 offset:4 ; 4-byte Folded Spill
	buffer_store_dword v105, off, s[24:27], 0 offset:8 ; 4-byte Folded Spill
	;; [unrolled: 1-line block ×3, first 2 shown]
	ds_read2_b64 v[97:100], v94 offset0:42 offset1:43
	v_mov_b32_e32 v105, v125
	v_mov_b32_e32 v106, v126
	s_waitcnt lgkmcnt(0)
	v_mul_f64 v[101:102], v[99:100], v[107:108]
	v_fma_f64 v[101:102], v[97:98], v[125:126], -v[101:102]
	v_mul_f64 v[97:98], v[97:98], v[107:108]
	v_add_f64 v[85:86], v[85:86], -v[101:102]
	v_fma_f64 v[97:98], v[99:100], v[125:126], v[97:98]
	v_add_f64 v[87:88], v[87:88], -v[97:98]
	ds_read2_b64 v[97:100], v94 offset0:44 offset1:45
	s_waitcnt lgkmcnt(0)
	v_mul_f64 v[101:102], v[99:100], v[107:108]
	v_fma_f64 v[101:102], v[97:98], v[125:126], -v[101:102]
	v_mul_f64 v[97:98], v[97:98], v[107:108]
	v_add_f64 v[81:82], v[81:82], -v[101:102]
	v_fma_f64 v[97:98], v[99:100], v[125:126], v[97:98]
	v_add_f64 v[83:84], v[83:84], -v[97:98]
	ds_read2_b64 v[97:100], v94 offset0:46 offset1:47
	;; [unrolled: 8-line block ×22, first 2 shown]
	s_waitcnt lgkmcnt(0)
	v_mul_f64 v[101:102], v[99:100], v[107:108]
	v_fma_f64 v[101:102], v[97:98], v[125:126], -v[101:102]
	v_mul_f64 v[97:98], v[97:98], v[107:108]
	buffer_store_dword v105, off, s[24:27], 0 offset:96 ; 4-byte Folded Spill
	s_nop 0
	buffer_store_dword v106, off, s[24:27], 0 offset:100 ; 4-byte Folded Spill
	buffer_store_dword v107, off, s[24:27], 0 offset:104 ; 4-byte Folded Spill
	;; [unrolled: 1-line block ×3, first 2 shown]
	v_add_f64 v[121:122], v[121:122], -v[101:102]
	v_fma_f64 v[97:98], v[99:100], v[125:126], v[97:98]
	v_add_f64 v[123:124], v[123:124], -v[97:98]
.LBB86_314:
	s_or_b64 exec, exec, s[0:1]
	s_waitcnt vmcnt(0)
	s_barrier
	buffer_load_dword v98, off, s[24:27], 0 offset:80 ; 4-byte Folded Reload
	buffer_load_dword v99, off, s[24:27], 0 offset:84 ; 4-byte Folded Reload
	buffer_load_dword v100, off, s[24:27], 0 offset:88 ; 4-byte Folded Reload
	buffer_load_dword v101, off, s[24:27], 0 offset:92 ; 4-byte Folded Reload
	v_lshl_add_u32 v97, v96, 4, v94
	s_cmp_lt_i32 s3, 17
	s_waitcnt vmcnt(0)
	ds_write2_b64 v97, v[98:99], v[100:101] offset1:1
	s_waitcnt lgkmcnt(0)
	s_barrier
	ds_read2_b64 v[117:120], v94 offset0:30 offset1:31
	v_mov_b32_e32 v97, 15
	s_cbranch_scc1 .LBB86_317
; %bb.315:
	v_add_u32_e32 v98, 0x100, v94
	s_mov_b32 s0, 16
	v_mov_b32_e32 v97, 15
.LBB86_316:                             ; =>This Inner Loop Header: Depth=1
	s_waitcnt lgkmcnt(0)
	v_cmp_gt_f64_e32 vcc, 0, v[117:118]
	v_xor_b32_e32 v103, 0x80000000, v118
	ds_read2_b64 v[99:102], v98 offset1:1
	v_xor_b32_e32 v105, 0x80000000, v120
	v_add_u32_e32 v98, 16, v98
	s_waitcnt lgkmcnt(0)
	v_xor_b32_e32 v107, 0x80000000, v102
	v_cndmask_b32_e32 v104, v118, v103, vcc
	v_cmp_gt_f64_e32 vcc, 0, v[119:120]
	v_mov_b32_e32 v103, v117
	v_cndmask_b32_e32 v106, v120, v105, vcc
	v_cmp_gt_f64_e32 vcc, 0, v[99:100]
	v_mov_b32_e32 v105, v119
	v_add_f64 v[103:104], v[103:104], v[105:106]
	v_xor_b32_e32 v105, 0x80000000, v100
	v_cndmask_b32_e32 v106, v100, v105, vcc
	v_cmp_gt_f64_e32 vcc, 0, v[101:102]
	v_mov_b32_e32 v105, v99
	v_cndmask_b32_e32 v108, v102, v107, vcc
	v_mov_b32_e32 v107, v101
	v_add_f64 v[105:106], v[105:106], v[107:108]
	v_cmp_lt_f64_e32 vcc, v[103:104], v[105:106]
	v_cndmask_b32_e32 v117, v117, v99, vcc
	v_mov_b32_e32 v99, s0
	s_add_i32 s0, s0, 1
	v_cndmask_b32_e32 v118, v118, v100, vcc
	v_cndmask_b32_e32 v120, v120, v102, vcc
	;; [unrolled: 1-line block ×4, first 2 shown]
	s_cmp_lg_u32 s3, s0
	s_cbranch_scc1 .LBB86_316
.LBB86_317:
	s_waitcnt lgkmcnt(0)
	v_cmp_eq_f64_e32 vcc, 0, v[117:118]
	v_cmp_eq_f64_e64 s[0:1], 0, v[119:120]
	s_and_b64 s[0:1], vcc, s[0:1]
	s_and_saveexec_b64 s[18:19], s[0:1]
	s_xor_b64 s[0:1], exec, s[18:19]
; %bb.318:
	v_cmp_ne_u32_e32 vcc, 0, v95
	v_cndmask_b32_e32 v95, 16, v95, vcc
; %bb.319:
	s_andn2_saveexec_b64 s[0:1], s[0:1]
	s_cbranch_execz .LBB86_325
; %bb.320:
	v_cmp_ngt_f64_e64 s[18:19], |v[117:118]|, |v[119:120]|
	s_and_saveexec_b64 s[20:21], s[18:19]
	s_xor_b64 s[18:19], exec, s[20:21]
	s_cbranch_execz .LBB86_322
; %bb.321:
	v_div_scale_f64 v[98:99], s[20:21], v[119:120], v[119:120], v[117:118]
	v_rcp_f64_e32 v[100:101], v[98:99]
	v_fma_f64 v[102:103], -v[98:99], v[100:101], 1.0
	v_fma_f64 v[100:101], v[100:101], v[102:103], v[100:101]
	v_div_scale_f64 v[102:103], vcc, v[117:118], v[119:120], v[117:118]
	v_fma_f64 v[104:105], -v[98:99], v[100:101], 1.0
	v_fma_f64 v[100:101], v[100:101], v[104:105], v[100:101]
	v_mul_f64 v[104:105], v[102:103], v[100:101]
	v_fma_f64 v[98:99], -v[98:99], v[104:105], v[102:103]
	v_div_fmas_f64 v[98:99], v[98:99], v[100:101], v[104:105]
	v_div_fixup_f64 v[98:99], v[98:99], v[119:120], v[117:118]
	v_fma_f64 v[100:101], v[117:118], v[98:99], v[119:120]
	v_div_scale_f64 v[102:103], s[20:21], v[100:101], v[100:101], 1.0
	v_div_scale_f64 v[108:109], vcc, 1.0, v[100:101], 1.0
	v_rcp_f64_e32 v[104:105], v[102:103]
	v_fma_f64 v[106:107], -v[102:103], v[104:105], 1.0
	v_fma_f64 v[104:105], v[104:105], v[106:107], v[104:105]
	v_fma_f64 v[106:107], -v[102:103], v[104:105], 1.0
	v_fma_f64 v[104:105], v[104:105], v[106:107], v[104:105]
	v_mul_f64 v[106:107], v[108:109], v[104:105]
	v_fma_f64 v[102:103], -v[102:103], v[106:107], v[108:109]
	v_div_fmas_f64 v[102:103], v[102:103], v[104:105], v[106:107]
	v_div_fixup_f64 v[119:120], v[102:103], v[100:101], 1.0
	v_mul_f64 v[117:118], v[98:99], v[119:120]
	v_xor_b32_e32 v120, 0x80000000, v120
.LBB86_322:
	s_andn2_saveexec_b64 s[18:19], s[18:19]
	s_cbranch_execz .LBB86_324
; %bb.323:
	v_div_scale_f64 v[98:99], s[20:21], v[117:118], v[117:118], v[119:120]
	v_rcp_f64_e32 v[100:101], v[98:99]
	v_fma_f64 v[102:103], -v[98:99], v[100:101], 1.0
	v_fma_f64 v[100:101], v[100:101], v[102:103], v[100:101]
	v_div_scale_f64 v[102:103], vcc, v[119:120], v[117:118], v[119:120]
	v_fma_f64 v[104:105], -v[98:99], v[100:101], 1.0
	v_fma_f64 v[100:101], v[100:101], v[104:105], v[100:101]
	v_mul_f64 v[104:105], v[102:103], v[100:101]
	v_fma_f64 v[98:99], -v[98:99], v[104:105], v[102:103]
	v_div_fmas_f64 v[98:99], v[98:99], v[100:101], v[104:105]
	v_div_fixup_f64 v[98:99], v[98:99], v[117:118], v[119:120]
	v_fma_f64 v[100:101], v[119:120], v[98:99], v[117:118]
	v_div_scale_f64 v[102:103], s[20:21], v[100:101], v[100:101], 1.0
	v_div_scale_f64 v[108:109], vcc, 1.0, v[100:101], 1.0
	v_rcp_f64_e32 v[104:105], v[102:103]
	v_fma_f64 v[106:107], -v[102:103], v[104:105], 1.0
	v_fma_f64 v[104:105], v[104:105], v[106:107], v[104:105]
	v_fma_f64 v[106:107], -v[102:103], v[104:105], 1.0
	v_fma_f64 v[104:105], v[104:105], v[106:107], v[104:105]
	v_mul_f64 v[106:107], v[108:109], v[104:105]
	v_fma_f64 v[102:103], -v[102:103], v[106:107], v[108:109]
	v_div_fmas_f64 v[102:103], v[102:103], v[104:105], v[106:107]
	v_div_fixup_f64 v[117:118], v[102:103], v[100:101], 1.0
	v_mul_f64 v[119:120], v[98:99], -v[117:118]
.LBB86_324:
	s_or_b64 exec, exec, s[18:19]
.LBB86_325:
	s_or_b64 exec, exec, s[0:1]
	v_cmp_ne_u32_e32 vcc, v96, v97
	s_and_saveexec_b64 s[0:1], vcc
	s_xor_b64 s[0:1], exec, s[0:1]
	s_cbranch_execz .LBB86_331
; %bb.326:
	v_cmp_eq_u32_e32 vcc, 15, v96
	s_and_saveexec_b64 s[18:19], vcc
	s_cbranch_execz .LBB86_330
; %bb.327:
	v_cmp_ne_u32_e32 vcc, 15, v97
	s_xor_b64 s[20:21], s[6:7], -1
	s_and_b64 s[22:23], s[20:21], vcc
	s_and_saveexec_b64 s[20:21], s[22:23]
	s_cbranch_execz .LBB86_329
; %bb.328:
	v_ashrrev_i32_e32 v98, 31, v97
	v_lshlrev_b64 v[98:99], 2, v[97:98]
	v_add_co_u32_e32 v98, vcc, v91, v98
	v_addc_co_u32_e32 v99, vcc, v92, v99, vcc
	global_load_dword v0, v[98:99], off
	global_load_dword v96, v[91:92], off offset:60
	s_waitcnt vmcnt(1)
	global_store_dword v[91:92], v0, off offset:60
	s_waitcnt vmcnt(1)
	global_store_dword v[98:99], v96, off
.LBB86_329:
	s_or_b64 exec, exec, s[20:21]
	v_mov_b32_e32 v96, v97
	v_mov_b32_e32 v0, v97
.LBB86_330:
	s_or_b64 exec, exec, s[18:19]
.LBB86_331:
	s_andn2_saveexec_b64 s[0:1], s[0:1]
	s_cbranch_execz .LBB86_333
; %bb.332:
	buffer_load_dword v96, off, s[24:27], 0 offset:64 ; 4-byte Folded Reload
	buffer_load_dword v97, off, s[24:27], 0 offset:68 ; 4-byte Folded Reload
	buffer_load_dword v98, off, s[24:27], 0 offset:72 ; 4-byte Folded Reload
	buffer_load_dword v99, off, s[24:27], 0 offset:76 ; 4-byte Folded Reload
	s_waitcnt vmcnt(0)
	ds_write2_b64 v94, v[96:97], v[98:99] offset0:32 offset1:33
	buffer_load_dword v96, off, s[24:27], 0 offset:48 ; 4-byte Folded Reload
	buffer_load_dword v97, off, s[24:27], 0 offset:52 ; 4-byte Folded Reload
	buffer_load_dword v98, off, s[24:27], 0 offset:56 ; 4-byte Folded Reload
	buffer_load_dword v99, off, s[24:27], 0 offset:60 ; 4-byte Folded Reload
	s_waitcnt vmcnt(0)
	ds_write2_b64 v94, v[96:97], v[98:99] offset0:34 offset1:35
	;; [unrolled: 6-line block ×4, first 2 shown]
	buffer_load_dword v96, off, s[24:27], 0 ; 4-byte Folded Reload
	buffer_load_dword v97, off, s[24:27], 0 offset:4 ; 4-byte Folded Reload
	buffer_load_dword v98, off, s[24:27], 0 offset:8 ; 4-byte Folded Reload
	;; [unrolled: 1-line block ×3, first 2 shown]
	s_waitcnt vmcnt(0)
	ds_write2_b64 v94, v[96:97], v[98:99] offset0:40 offset1:41
	ds_write2_b64 v94, v[85:86], v[87:88] offset0:42 offset1:43
	;; [unrolled: 1-line block ×24, first 2 shown]
	v_mov_b32_e32 v96, 15
.LBB86_333:
	s_or_b64 exec, exec, s[0:1]
	v_cmp_lt_i32_e32 vcc, 15, v96
	s_waitcnt vmcnt(0) lgkmcnt(0)
	s_barrier
	s_and_saveexec_b64 s[0:1], vcc
	s_cbranch_execz .LBB86_335
; %bb.334:
	buffer_load_dword v105, off, s[24:27], 0 offset:80 ; 4-byte Folded Reload
	buffer_load_dword v106, off, s[24:27], 0 offset:84 ; 4-byte Folded Reload
	;; [unrolled: 1-line block ×4, first 2 shown]
	s_waitcnt vmcnt(0)
	v_mul_f64 v[97:98], v[119:120], v[107:108]
	v_fma_f64 v[125:126], v[117:118], v[105:106], -v[97:98]
	v_mul_f64 v[97:98], v[117:118], v[107:108]
	v_fma_f64 v[107:108], v[119:120], v[105:106], v[97:98]
	ds_read2_b64 v[97:100], v94 offset0:32 offset1:33
	buffer_load_dword v103, off, s[24:27], 0 offset:64 ; 4-byte Folded Reload
	buffer_load_dword v104, off, s[24:27], 0 offset:68 ; 4-byte Folded Reload
	buffer_load_dword v105, off, s[24:27], 0 offset:72 ; 4-byte Folded Reload
	buffer_load_dword v106, off, s[24:27], 0 offset:76 ; 4-byte Folded Reload
	s_waitcnt lgkmcnt(0)
	v_mul_f64 v[101:102], v[99:100], v[107:108]
	v_fma_f64 v[101:102], v[97:98], v[125:126], -v[101:102]
	v_mul_f64 v[97:98], v[97:98], v[107:108]
	v_fma_f64 v[97:98], v[99:100], v[125:126], v[97:98]
	s_waitcnt vmcnt(2)
	v_add_f64 v[103:104], v[103:104], -v[101:102]
	s_waitcnt vmcnt(0)
	v_add_f64 v[105:106], v[105:106], -v[97:98]
	buffer_store_dword v103, off, s[24:27], 0 offset:64 ; 4-byte Folded Spill
	s_nop 0
	buffer_store_dword v104, off, s[24:27], 0 offset:68 ; 4-byte Folded Spill
	buffer_store_dword v105, off, s[24:27], 0 offset:72 ; 4-byte Folded Spill
	buffer_store_dword v106, off, s[24:27], 0 offset:76 ; 4-byte Folded Spill
	ds_read2_b64 v[97:100], v94 offset0:34 offset1:35
	buffer_load_dword v103, off, s[24:27], 0 offset:48 ; 4-byte Folded Reload
	buffer_load_dword v104, off, s[24:27], 0 offset:52 ; 4-byte Folded Reload
	buffer_load_dword v105, off, s[24:27], 0 offset:56 ; 4-byte Folded Reload
	buffer_load_dword v106, off, s[24:27], 0 offset:60 ; 4-byte Folded Reload
	s_waitcnt lgkmcnt(0)
	v_mul_f64 v[101:102], v[99:100], v[107:108]
	v_fma_f64 v[101:102], v[97:98], v[125:126], -v[101:102]
	v_mul_f64 v[97:98], v[97:98], v[107:108]
	v_fma_f64 v[97:98], v[99:100], v[125:126], v[97:98]
	s_waitcnt vmcnt(2)
	v_add_f64 v[103:104], v[103:104], -v[101:102]
	s_waitcnt vmcnt(0)
	v_add_f64 v[105:106], v[105:106], -v[97:98]
	buffer_store_dword v103, off, s[24:27], 0 offset:48 ; 4-byte Folded Spill
	s_nop 0
	buffer_store_dword v104, off, s[24:27], 0 offset:52 ; 4-byte Folded Spill
	buffer_store_dword v105, off, s[24:27], 0 offset:56 ; 4-byte Folded Spill
	buffer_store_dword v106, off, s[24:27], 0 offset:60 ; 4-byte Folded Spill
	;; [unrolled: 19-line block ×4, first 2 shown]
	ds_read2_b64 v[97:100], v94 offset0:40 offset1:41
	buffer_load_dword v103, off, s[24:27], 0 ; 4-byte Folded Reload
	buffer_load_dword v104, off, s[24:27], 0 offset:4 ; 4-byte Folded Reload
	buffer_load_dword v105, off, s[24:27], 0 offset:8 ; 4-byte Folded Reload
	;; [unrolled: 1-line block ×3, first 2 shown]
	s_waitcnt lgkmcnt(0)
	v_mul_f64 v[101:102], v[99:100], v[107:108]
	v_fma_f64 v[101:102], v[97:98], v[125:126], -v[101:102]
	v_mul_f64 v[97:98], v[97:98], v[107:108]
	v_fma_f64 v[97:98], v[99:100], v[125:126], v[97:98]
	s_waitcnt vmcnt(2)
	v_add_f64 v[103:104], v[103:104], -v[101:102]
	s_waitcnt vmcnt(0)
	v_add_f64 v[105:106], v[105:106], -v[97:98]
	buffer_store_dword v103, off, s[24:27], 0 ; 4-byte Folded Spill
	s_nop 0
	buffer_store_dword v104, off, s[24:27], 0 offset:4 ; 4-byte Folded Spill
	buffer_store_dword v105, off, s[24:27], 0 offset:8 ; 4-byte Folded Spill
	;; [unrolled: 1-line block ×3, first 2 shown]
	ds_read2_b64 v[97:100], v94 offset0:42 offset1:43
	v_mov_b32_e32 v105, v125
	v_mov_b32_e32 v106, v126
	s_waitcnt lgkmcnt(0)
	v_mul_f64 v[101:102], v[99:100], v[107:108]
	v_fma_f64 v[101:102], v[97:98], v[125:126], -v[101:102]
	v_mul_f64 v[97:98], v[97:98], v[107:108]
	v_add_f64 v[85:86], v[85:86], -v[101:102]
	v_fma_f64 v[97:98], v[99:100], v[125:126], v[97:98]
	v_add_f64 v[87:88], v[87:88], -v[97:98]
	ds_read2_b64 v[97:100], v94 offset0:44 offset1:45
	s_waitcnt lgkmcnt(0)
	v_mul_f64 v[101:102], v[99:100], v[107:108]
	v_fma_f64 v[101:102], v[97:98], v[125:126], -v[101:102]
	v_mul_f64 v[97:98], v[97:98], v[107:108]
	v_add_f64 v[81:82], v[81:82], -v[101:102]
	v_fma_f64 v[97:98], v[99:100], v[125:126], v[97:98]
	v_add_f64 v[83:84], v[83:84], -v[97:98]
	ds_read2_b64 v[97:100], v94 offset0:46 offset1:47
	;; [unrolled: 8-line block ×22, first 2 shown]
	s_waitcnt lgkmcnt(0)
	v_mul_f64 v[101:102], v[99:100], v[107:108]
	v_fma_f64 v[101:102], v[97:98], v[125:126], -v[101:102]
	v_mul_f64 v[97:98], v[97:98], v[107:108]
	buffer_store_dword v105, off, s[24:27], 0 offset:80 ; 4-byte Folded Spill
	s_nop 0
	buffer_store_dword v106, off, s[24:27], 0 offset:84 ; 4-byte Folded Spill
	buffer_store_dword v107, off, s[24:27], 0 offset:88 ; 4-byte Folded Spill
	;; [unrolled: 1-line block ×3, first 2 shown]
	v_add_f64 v[121:122], v[121:122], -v[101:102]
	v_fma_f64 v[97:98], v[99:100], v[125:126], v[97:98]
	v_add_f64 v[123:124], v[123:124], -v[97:98]
.LBB86_335:
	s_or_b64 exec, exec, s[0:1]
	s_waitcnt vmcnt(0)
	s_barrier
	buffer_load_dword v98, off, s[24:27], 0 offset:64 ; 4-byte Folded Reload
	buffer_load_dword v99, off, s[24:27], 0 offset:68 ; 4-byte Folded Reload
	;; [unrolled: 1-line block ×4, first 2 shown]
	v_lshl_add_u32 v97, v96, 4, v94
	s_cmp_lt_i32 s3, 18
	s_waitcnt vmcnt(0)
	ds_write2_b64 v97, v[98:99], v[100:101] offset1:1
	s_waitcnt lgkmcnt(0)
	s_barrier
	ds_read2_b64 v[117:120], v94 offset0:32 offset1:33
	v_mov_b32_e32 v97, 16
	s_cbranch_scc1 .LBB86_338
; %bb.336:
	v_add_u32_e32 v98, 0x110, v94
	s_mov_b32 s0, 17
	v_mov_b32_e32 v97, 16
.LBB86_337:                             ; =>This Inner Loop Header: Depth=1
	s_waitcnt lgkmcnt(0)
	v_cmp_gt_f64_e32 vcc, 0, v[117:118]
	v_xor_b32_e32 v103, 0x80000000, v118
	ds_read2_b64 v[99:102], v98 offset1:1
	v_xor_b32_e32 v105, 0x80000000, v120
	v_add_u32_e32 v98, 16, v98
	s_waitcnt lgkmcnt(0)
	v_xor_b32_e32 v107, 0x80000000, v102
	v_cndmask_b32_e32 v104, v118, v103, vcc
	v_cmp_gt_f64_e32 vcc, 0, v[119:120]
	v_mov_b32_e32 v103, v117
	v_cndmask_b32_e32 v106, v120, v105, vcc
	v_cmp_gt_f64_e32 vcc, 0, v[99:100]
	v_mov_b32_e32 v105, v119
	v_add_f64 v[103:104], v[103:104], v[105:106]
	v_xor_b32_e32 v105, 0x80000000, v100
	v_cndmask_b32_e32 v106, v100, v105, vcc
	v_cmp_gt_f64_e32 vcc, 0, v[101:102]
	v_mov_b32_e32 v105, v99
	v_cndmask_b32_e32 v108, v102, v107, vcc
	v_mov_b32_e32 v107, v101
	v_add_f64 v[105:106], v[105:106], v[107:108]
	v_cmp_lt_f64_e32 vcc, v[103:104], v[105:106]
	v_cndmask_b32_e32 v117, v117, v99, vcc
	v_mov_b32_e32 v99, s0
	s_add_i32 s0, s0, 1
	v_cndmask_b32_e32 v118, v118, v100, vcc
	v_cndmask_b32_e32 v120, v120, v102, vcc
	;; [unrolled: 1-line block ×4, first 2 shown]
	s_cmp_lg_u32 s3, s0
	s_cbranch_scc1 .LBB86_337
.LBB86_338:
	s_waitcnt lgkmcnt(0)
	v_cmp_eq_f64_e32 vcc, 0, v[117:118]
	v_cmp_eq_f64_e64 s[0:1], 0, v[119:120]
	s_and_b64 s[0:1], vcc, s[0:1]
	s_and_saveexec_b64 s[18:19], s[0:1]
	s_xor_b64 s[0:1], exec, s[18:19]
; %bb.339:
	v_cmp_ne_u32_e32 vcc, 0, v95
	v_cndmask_b32_e32 v95, 17, v95, vcc
; %bb.340:
	s_andn2_saveexec_b64 s[0:1], s[0:1]
	s_cbranch_execz .LBB86_346
; %bb.341:
	v_cmp_ngt_f64_e64 s[18:19], |v[117:118]|, |v[119:120]|
	s_and_saveexec_b64 s[20:21], s[18:19]
	s_xor_b64 s[18:19], exec, s[20:21]
	s_cbranch_execz .LBB86_343
; %bb.342:
	v_div_scale_f64 v[98:99], s[20:21], v[119:120], v[119:120], v[117:118]
	v_rcp_f64_e32 v[100:101], v[98:99]
	v_fma_f64 v[102:103], -v[98:99], v[100:101], 1.0
	v_fma_f64 v[100:101], v[100:101], v[102:103], v[100:101]
	v_div_scale_f64 v[102:103], vcc, v[117:118], v[119:120], v[117:118]
	v_fma_f64 v[104:105], -v[98:99], v[100:101], 1.0
	v_fma_f64 v[100:101], v[100:101], v[104:105], v[100:101]
	v_mul_f64 v[104:105], v[102:103], v[100:101]
	v_fma_f64 v[98:99], -v[98:99], v[104:105], v[102:103]
	v_div_fmas_f64 v[98:99], v[98:99], v[100:101], v[104:105]
	v_div_fixup_f64 v[98:99], v[98:99], v[119:120], v[117:118]
	v_fma_f64 v[100:101], v[117:118], v[98:99], v[119:120]
	v_div_scale_f64 v[102:103], s[20:21], v[100:101], v[100:101], 1.0
	v_div_scale_f64 v[108:109], vcc, 1.0, v[100:101], 1.0
	v_rcp_f64_e32 v[104:105], v[102:103]
	v_fma_f64 v[106:107], -v[102:103], v[104:105], 1.0
	v_fma_f64 v[104:105], v[104:105], v[106:107], v[104:105]
	v_fma_f64 v[106:107], -v[102:103], v[104:105], 1.0
	v_fma_f64 v[104:105], v[104:105], v[106:107], v[104:105]
	v_mul_f64 v[106:107], v[108:109], v[104:105]
	v_fma_f64 v[102:103], -v[102:103], v[106:107], v[108:109]
	v_div_fmas_f64 v[102:103], v[102:103], v[104:105], v[106:107]
	v_div_fixup_f64 v[119:120], v[102:103], v[100:101], 1.0
	v_mul_f64 v[117:118], v[98:99], v[119:120]
	v_xor_b32_e32 v120, 0x80000000, v120
.LBB86_343:
	s_andn2_saveexec_b64 s[18:19], s[18:19]
	s_cbranch_execz .LBB86_345
; %bb.344:
	v_div_scale_f64 v[98:99], s[20:21], v[117:118], v[117:118], v[119:120]
	v_rcp_f64_e32 v[100:101], v[98:99]
	v_fma_f64 v[102:103], -v[98:99], v[100:101], 1.0
	v_fma_f64 v[100:101], v[100:101], v[102:103], v[100:101]
	v_div_scale_f64 v[102:103], vcc, v[119:120], v[117:118], v[119:120]
	v_fma_f64 v[104:105], -v[98:99], v[100:101], 1.0
	v_fma_f64 v[100:101], v[100:101], v[104:105], v[100:101]
	v_mul_f64 v[104:105], v[102:103], v[100:101]
	v_fma_f64 v[98:99], -v[98:99], v[104:105], v[102:103]
	v_div_fmas_f64 v[98:99], v[98:99], v[100:101], v[104:105]
	v_div_fixup_f64 v[98:99], v[98:99], v[117:118], v[119:120]
	v_fma_f64 v[100:101], v[119:120], v[98:99], v[117:118]
	v_div_scale_f64 v[102:103], s[20:21], v[100:101], v[100:101], 1.0
	v_div_scale_f64 v[108:109], vcc, 1.0, v[100:101], 1.0
	v_rcp_f64_e32 v[104:105], v[102:103]
	v_fma_f64 v[106:107], -v[102:103], v[104:105], 1.0
	v_fma_f64 v[104:105], v[104:105], v[106:107], v[104:105]
	v_fma_f64 v[106:107], -v[102:103], v[104:105], 1.0
	v_fma_f64 v[104:105], v[104:105], v[106:107], v[104:105]
	v_mul_f64 v[106:107], v[108:109], v[104:105]
	v_fma_f64 v[102:103], -v[102:103], v[106:107], v[108:109]
	v_div_fmas_f64 v[102:103], v[102:103], v[104:105], v[106:107]
	v_div_fixup_f64 v[117:118], v[102:103], v[100:101], 1.0
	v_mul_f64 v[119:120], v[98:99], -v[117:118]
.LBB86_345:
	s_or_b64 exec, exec, s[18:19]
.LBB86_346:
	s_or_b64 exec, exec, s[0:1]
	v_cmp_ne_u32_e32 vcc, v96, v97
	s_and_saveexec_b64 s[0:1], vcc
	s_xor_b64 s[0:1], exec, s[0:1]
	s_cbranch_execz .LBB86_352
; %bb.347:
	v_cmp_eq_u32_e32 vcc, 16, v96
	s_and_saveexec_b64 s[18:19], vcc
	s_cbranch_execz .LBB86_351
; %bb.348:
	v_cmp_ne_u32_e32 vcc, 16, v97
	s_xor_b64 s[20:21], s[6:7], -1
	s_and_b64 s[22:23], s[20:21], vcc
	s_and_saveexec_b64 s[20:21], s[22:23]
	s_cbranch_execz .LBB86_350
; %bb.349:
	v_ashrrev_i32_e32 v98, 31, v97
	v_lshlrev_b64 v[98:99], 2, v[97:98]
	v_add_co_u32_e32 v98, vcc, v91, v98
	v_addc_co_u32_e32 v99, vcc, v92, v99, vcc
	global_load_dword v0, v[98:99], off
	global_load_dword v96, v[91:92], off offset:64
	s_waitcnt vmcnt(1)
	global_store_dword v[91:92], v0, off offset:64
	s_waitcnt vmcnt(1)
	global_store_dword v[98:99], v96, off
.LBB86_350:
	s_or_b64 exec, exec, s[20:21]
	v_mov_b32_e32 v96, v97
	v_mov_b32_e32 v0, v97
.LBB86_351:
	s_or_b64 exec, exec, s[18:19]
.LBB86_352:
	s_andn2_saveexec_b64 s[0:1], s[0:1]
	s_cbranch_execz .LBB86_354
; %bb.353:
	buffer_load_dword v96, off, s[24:27], 0 offset:48 ; 4-byte Folded Reload
	buffer_load_dword v97, off, s[24:27], 0 offset:52 ; 4-byte Folded Reload
	buffer_load_dword v98, off, s[24:27], 0 offset:56 ; 4-byte Folded Reload
	buffer_load_dword v99, off, s[24:27], 0 offset:60 ; 4-byte Folded Reload
	s_waitcnt vmcnt(0)
	ds_write2_b64 v94, v[96:97], v[98:99] offset0:34 offset1:35
	buffer_load_dword v96, off, s[24:27], 0 offset:32 ; 4-byte Folded Reload
	buffer_load_dword v97, off, s[24:27], 0 offset:36 ; 4-byte Folded Reload
	buffer_load_dword v98, off, s[24:27], 0 offset:40 ; 4-byte Folded Reload
	buffer_load_dword v99, off, s[24:27], 0 offset:44 ; 4-byte Folded Reload
	s_waitcnt vmcnt(0)
	ds_write2_b64 v94, v[96:97], v[98:99] offset0:36 offset1:37
	buffer_load_dword v96, off, s[24:27], 0 offset:16 ; 4-byte Folded Reload
	buffer_load_dword v97, off, s[24:27], 0 offset:20 ; 4-byte Folded Reload
	buffer_load_dword v98, off, s[24:27], 0 offset:24 ; 4-byte Folded Reload
	buffer_load_dword v99, off, s[24:27], 0 offset:28 ; 4-byte Folded Reload
	s_waitcnt vmcnt(0)
	ds_write2_b64 v94, v[96:97], v[98:99] offset0:38 offset1:39
	buffer_load_dword v96, off, s[24:27], 0 ; 4-byte Folded Reload
	buffer_load_dword v97, off, s[24:27], 0 offset:4 ; 4-byte Folded Reload
	buffer_load_dword v98, off, s[24:27], 0 offset:8 ; 4-byte Folded Reload
	;; [unrolled: 1-line block ×3, first 2 shown]
	s_waitcnt vmcnt(0)
	ds_write2_b64 v94, v[96:97], v[98:99] offset0:40 offset1:41
	ds_write2_b64 v94, v[85:86], v[87:88] offset0:42 offset1:43
	ds_write2_b64 v94, v[81:82], v[83:84] offset0:44 offset1:45
	ds_write2_b64 v94, v[77:78], v[79:80] offset0:46 offset1:47
	ds_write2_b64 v94, v[73:74], v[75:76] offset0:48 offset1:49
	ds_write2_b64 v94, v[69:70], v[71:72] offset0:50 offset1:51
	ds_write2_b64 v94, v[65:66], v[67:68] offset0:52 offset1:53
	ds_write2_b64 v94, v[61:62], v[63:64] offset0:54 offset1:55
	ds_write2_b64 v94, v[57:58], v[59:60] offset0:56 offset1:57
	ds_write2_b64 v94, v[53:54], v[55:56] offset0:58 offset1:59
	ds_write2_b64 v94, v[49:50], v[51:52] offset0:60 offset1:61
	ds_write2_b64 v94, v[45:46], v[47:48] offset0:62 offset1:63
	ds_write2_b64 v94, v[41:42], v[43:44] offset0:64 offset1:65
	ds_write2_b64 v94, v[37:38], v[39:40] offset0:66 offset1:67
	ds_write2_b64 v94, v[33:34], v[35:36] offset0:68 offset1:69
	ds_write2_b64 v94, v[29:30], v[31:32] offset0:70 offset1:71
	ds_write2_b64 v94, v[25:26], v[27:28] offset0:72 offset1:73
	ds_write2_b64 v94, v[21:22], v[23:24] offset0:74 offset1:75
	ds_write2_b64 v94, v[17:18], v[19:20] offset0:76 offset1:77
	ds_write2_b64 v94, v[13:14], v[15:16] offset0:78 offset1:79
	ds_write2_b64 v94, v[9:10], v[11:12] offset0:80 offset1:81
	ds_write2_b64 v94, v[5:6], v[7:8] offset0:82 offset1:83
	ds_write2_b64 v94, v[1:2], v[3:4] offset0:84 offset1:85
	ds_write2_b64 v94, v[121:122], v[123:124] offset0:86 offset1:87
	v_mov_b32_e32 v96, 16
.LBB86_354:
	s_or_b64 exec, exec, s[0:1]
	v_cmp_lt_i32_e32 vcc, 16, v96
	s_waitcnt vmcnt(0) lgkmcnt(0)
	s_barrier
	s_and_saveexec_b64 s[0:1], vcc
	s_cbranch_execz .LBB86_356
; %bb.355:
	buffer_load_dword v107, off, s[24:27], 0 offset:64 ; 4-byte Folded Reload
	buffer_load_dword v108, off, s[24:27], 0 offset:68 ; 4-byte Folded Reload
	;; [unrolled: 1-line block ×4, first 2 shown]
	s_waitcnt vmcnt(0)
	v_mul_f64 v[97:98], v[119:120], v[109:110]
	v_fma_f64 v[101:102], v[117:118], v[107:108], -v[97:98]
	v_mul_f64 v[97:98], v[117:118], v[109:110]
	v_fma_f64 v[109:110], v[119:120], v[107:108], v[97:98]
	ds_read2_b64 v[97:100], v94 offset0:34 offset1:35
	buffer_load_dword v105, off, s[24:27], 0 offset:48 ; 4-byte Folded Reload
	buffer_load_dword v106, off, s[24:27], 0 offset:52 ; 4-byte Folded Reload
	buffer_load_dword v107, off, s[24:27], 0 offset:56 ; 4-byte Folded Reload
	buffer_load_dword v108, off, s[24:27], 0 offset:60 ; 4-byte Folded Reload
	s_waitcnt lgkmcnt(0)
	v_mul_f64 v[103:104], v[99:100], v[109:110]
	v_fma_f64 v[103:104], v[97:98], v[101:102], -v[103:104]
	v_mul_f64 v[97:98], v[97:98], v[109:110]
	v_fma_f64 v[97:98], v[99:100], v[101:102], v[97:98]
	s_waitcnt vmcnt(2)
	v_add_f64 v[105:106], v[105:106], -v[103:104]
	s_waitcnt vmcnt(0)
	v_add_f64 v[107:108], v[107:108], -v[97:98]
	buffer_store_dword v105, off, s[24:27], 0 offset:48 ; 4-byte Folded Spill
	s_nop 0
	buffer_store_dword v106, off, s[24:27], 0 offset:52 ; 4-byte Folded Spill
	buffer_store_dword v107, off, s[24:27], 0 offset:56 ; 4-byte Folded Spill
	buffer_store_dword v108, off, s[24:27], 0 offset:60 ; 4-byte Folded Spill
	ds_read2_b64 v[97:100], v94 offset0:36 offset1:37
	buffer_load_dword v105, off, s[24:27], 0 offset:32 ; 4-byte Folded Reload
	buffer_load_dword v106, off, s[24:27], 0 offset:36 ; 4-byte Folded Reload
	buffer_load_dword v107, off, s[24:27], 0 offset:40 ; 4-byte Folded Reload
	buffer_load_dword v108, off, s[24:27], 0 offset:44 ; 4-byte Folded Reload
	s_waitcnt lgkmcnt(0)
	v_mul_f64 v[103:104], v[99:100], v[109:110]
	v_fma_f64 v[103:104], v[97:98], v[101:102], -v[103:104]
	v_mul_f64 v[97:98], v[97:98], v[109:110]
	v_fma_f64 v[97:98], v[99:100], v[101:102], v[97:98]
	s_waitcnt vmcnt(2)
	v_add_f64 v[105:106], v[105:106], -v[103:104]
	s_waitcnt vmcnt(0)
	v_add_f64 v[107:108], v[107:108], -v[97:98]
	buffer_store_dword v105, off, s[24:27], 0 offset:32 ; 4-byte Folded Spill
	s_nop 0
	buffer_store_dword v106, off, s[24:27], 0 offset:36 ; 4-byte Folded Spill
	buffer_store_dword v107, off, s[24:27], 0 offset:40 ; 4-byte Folded Spill
	buffer_store_dword v108, off, s[24:27], 0 offset:44 ; 4-byte Folded Spill
	;; [unrolled: 19-line block ×3, first 2 shown]
	ds_read2_b64 v[97:100], v94 offset0:40 offset1:41
	buffer_load_dword v105, off, s[24:27], 0 ; 4-byte Folded Reload
	buffer_load_dword v106, off, s[24:27], 0 offset:4 ; 4-byte Folded Reload
	buffer_load_dword v107, off, s[24:27], 0 offset:8 ; 4-byte Folded Reload
	;; [unrolled: 1-line block ×3, first 2 shown]
	s_waitcnt lgkmcnt(0)
	v_mul_f64 v[103:104], v[99:100], v[109:110]
	v_fma_f64 v[103:104], v[97:98], v[101:102], -v[103:104]
	v_mul_f64 v[97:98], v[97:98], v[109:110]
	v_fma_f64 v[97:98], v[99:100], v[101:102], v[97:98]
	s_waitcnt vmcnt(2)
	v_add_f64 v[105:106], v[105:106], -v[103:104]
	s_waitcnt vmcnt(0)
	v_add_f64 v[107:108], v[107:108], -v[97:98]
	buffer_store_dword v105, off, s[24:27], 0 ; 4-byte Folded Spill
	s_nop 0
	buffer_store_dword v106, off, s[24:27], 0 offset:4 ; 4-byte Folded Spill
	buffer_store_dword v107, off, s[24:27], 0 offset:8 ; 4-byte Folded Spill
	;; [unrolled: 1-line block ×3, first 2 shown]
	ds_read2_b64 v[97:100], v94 offset0:42 offset1:43
	v_mov_b32_e32 v108, v102
	v_mov_b32_e32 v107, v101
	s_waitcnt lgkmcnt(0)
	v_mul_f64 v[103:104], v[99:100], v[109:110]
	v_fma_f64 v[103:104], v[97:98], v[101:102], -v[103:104]
	v_mul_f64 v[97:98], v[97:98], v[109:110]
	v_add_f64 v[85:86], v[85:86], -v[103:104]
	v_fma_f64 v[97:98], v[99:100], v[101:102], v[97:98]
	v_add_f64 v[87:88], v[87:88], -v[97:98]
	ds_read2_b64 v[97:100], v94 offset0:44 offset1:45
	s_waitcnt lgkmcnt(0)
	v_mul_f64 v[103:104], v[99:100], v[109:110]
	v_fma_f64 v[103:104], v[97:98], v[101:102], -v[103:104]
	v_mul_f64 v[97:98], v[97:98], v[109:110]
	v_add_f64 v[81:82], v[81:82], -v[103:104]
	v_fma_f64 v[97:98], v[99:100], v[101:102], v[97:98]
	v_add_f64 v[83:84], v[83:84], -v[97:98]
	ds_read2_b64 v[97:100], v94 offset0:46 offset1:47
	;; [unrolled: 8-line block ×22, first 2 shown]
	s_waitcnt lgkmcnt(0)
	v_mul_f64 v[103:104], v[99:100], v[109:110]
	v_fma_f64 v[103:104], v[97:98], v[101:102], -v[103:104]
	v_mul_f64 v[97:98], v[97:98], v[109:110]
	buffer_store_dword v107, off, s[24:27], 0 offset:64 ; 4-byte Folded Spill
	s_nop 0
	buffer_store_dword v108, off, s[24:27], 0 offset:68 ; 4-byte Folded Spill
	buffer_store_dword v109, off, s[24:27], 0 offset:72 ; 4-byte Folded Spill
	buffer_store_dword v110, off, s[24:27], 0 offset:76 ; 4-byte Folded Spill
	v_add_f64 v[121:122], v[121:122], -v[103:104]
	v_fma_f64 v[97:98], v[99:100], v[101:102], v[97:98]
	v_add_f64 v[123:124], v[123:124], -v[97:98]
.LBB86_356:
	s_or_b64 exec, exec, s[0:1]
	s_waitcnt vmcnt(0)
	s_barrier
	buffer_load_dword v98, off, s[24:27], 0 offset:48 ; 4-byte Folded Reload
	buffer_load_dword v99, off, s[24:27], 0 offset:52 ; 4-byte Folded Reload
	;; [unrolled: 1-line block ×4, first 2 shown]
	v_lshl_add_u32 v97, v96, 4, v94
	s_cmp_lt_i32 s3, 19
	s_waitcnt vmcnt(0)
	ds_write2_b64 v97, v[98:99], v[100:101] offset1:1
	s_waitcnt lgkmcnt(0)
	s_barrier
	ds_read2_b64 v[117:120], v94 offset0:34 offset1:35
	v_mov_b32_e32 v97, 17
	s_cbranch_scc1 .LBB86_359
; %bb.357:
	v_add_u32_e32 v98, 0x120, v94
	s_mov_b32 s0, 18
	v_mov_b32_e32 v97, 17
.LBB86_358:                             ; =>This Inner Loop Header: Depth=1
	s_waitcnt lgkmcnt(0)
	v_cmp_gt_f64_e32 vcc, 0, v[117:118]
	v_xor_b32_e32 v103, 0x80000000, v118
	ds_read2_b64 v[99:102], v98 offset1:1
	v_xor_b32_e32 v105, 0x80000000, v120
	v_add_u32_e32 v98, 16, v98
	s_waitcnt lgkmcnt(0)
	v_xor_b32_e32 v107, 0x80000000, v102
	v_cndmask_b32_e32 v104, v118, v103, vcc
	v_cmp_gt_f64_e32 vcc, 0, v[119:120]
	v_mov_b32_e32 v103, v117
	v_cndmask_b32_e32 v106, v120, v105, vcc
	v_cmp_gt_f64_e32 vcc, 0, v[99:100]
	v_mov_b32_e32 v105, v119
	v_add_f64 v[103:104], v[103:104], v[105:106]
	v_xor_b32_e32 v105, 0x80000000, v100
	v_cndmask_b32_e32 v106, v100, v105, vcc
	v_cmp_gt_f64_e32 vcc, 0, v[101:102]
	v_mov_b32_e32 v105, v99
	v_cndmask_b32_e32 v108, v102, v107, vcc
	v_mov_b32_e32 v107, v101
	v_add_f64 v[105:106], v[105:106], v[107:108]
	v_cmp_lt_f64_e32 vcc, v[103:104], v[105:106]
	v_cndmask_b32_e32 v117, v117, v99, vcc
	v_mov_b32_e32 v99, s0
	s_add_i32 s0, s0, 1
	v_cndmask_b32_e32 v118, v118, v100, vcc
	v_cndmask_b32_e32 v120, v120, v102, vcc
	;; [unrolled: 1-line block ×4, first 2 shown]
	s_cmp_lg_u32 s3, s0
	s_cbranch_scc1 .LBB86_358
.LBB86_359:
	s_waitcnt lgkmcnt(0)
	v_cmp_eq_f64_e32 vcc, 0, v[117:118]
	v_cmp_eq_f64_e64 s[0:1], 0, v[119:120]
	s_and_b64 s[0:1], vcc, s[0:1]
	s_and_saveexec_b64 s[18:19], s[0:1]
	s_xor_b64 s[0:1], exec, s[18:19]
; %bb.360:
	v_cmp_ne_u32_e32 vcc, 0, v95
	v_cndmask_b32_e32 v95, 18, v95, vcc
; %bb.361:
	s_andn2_saveexec_b64 s[0:1], s[0:1]
	s_cbranch_execz .LBB86_367
; %bb.362:
	v_cmp_ngt_f64_e64 s[18:19], |v[117:118]|, |v[119:120]|
	s_and_saveexec_b64 s[20:21], s[18:19]
	s_xor_b64 s[18:19], exec, s[20:21]
	s_cbranch_execz .LBB86_364
; %bb.363:
	v_div_scale_f64 v[98:99], s[20:21], v[119:120], v[119:120], v[117:118]
	v_rcp_f64_e32 v[100:101], v[98:99]
	v_fma_f64 v[102:103], -v[98:99], v[100:101], 1.0
	v_fma_f64 v[100:101], v[100:101], v[102:103], v[100:101]
	v_div_scale_f64 v[102:103], vcc, v[117:118], v[119:120], v[117:118]
	v_fma_f64 v[104:105], -v[98:99], v[100:101], 1.0
	v_fma_f64 v[100:101], v[100:101], v[104:105], v[100:101]
	v_mul_f64 v[104:105], v[102:103], v[100:101]
	v_fma_f64 v[98:99], -v[98:99], v[104:105], v[102:103]
	v_div_fmas_f64 v[98:99], v[98:99], v[100:101], v[104:105]
	v_div_fixup_f64 v[98:99], v[98:99], v[119:120], v[117:118]
	v_fma_f64 v[100:101], v[117:118], v[98:99], v[119:120]
	v_div_scale_f64 v[102:103], s[20:21], v[100:101], v[100:101], 1.0
	v_div_scale_f64 v[108:109], vcc, 1.0, v[100:101], 1.0
	v_rcp_f64_e32 v[104:105], v[102:103]
	v_fma_f64 v[106:107], -v[102:103], v[104:105], 1.0
	v_fma_f64 v[104:105], v[104:105], v[106:107], v[104:105]
	v_fma_f64 v[106:107], -v[102:103], v[104:105], 1.0
	v_fma_f64 v[104:105], v[104:105], v[106:107], v[104:105]
	v_mul_f64 v[106:107], v[108:109], v[104:105]
	v_fma_f64 v[102:103], -v[102:103], v[106:107], v[108:109]
	v_div_fmas_f64 v[102:103], v[102:103], v[104:105], v[106:107]
	v_div_fixup_f64 v[119:120], v[102:103], v[100:101], 1.0
	v_mul_f64 v[117:118], v[98:99], v[119:120]
	v_xor_b32_e32 v120, 0x80000000, v120
.LBB86_364:
	s_andn2_saveexec_b64 s[18:19], s[18:19]
	s_cbranch_execz .LBB86_366
; %bb.365:
	v_div_scale_f64 v[98:99], s[20:21], v[117:118], v[117:118], v[119:120]
	v_rcp_f64_e32 v[100:101], v[98:99]
	v_fma_f64 v[102:103], -v[98:99], v[100:101], 1.0
	v_fma_f64 v[100:101], v[100:101], v[102:103], v[100:101]
	v_div_scale_f64 v[102:103], vcc, v[119:120], v[117:118], v[119:120]
	v_fma_f64 v[104:105], -v[98:99], v[100:101], 1.0
	v_fma_f64 v[100:101], v[100:101], v[104:105], v[100:101]
	v_mul_f64 v[104:105], v[102:103], v[100:101]
	v_fma_f64 v[98:99], -v[98:99], v[104:105], v[102:103]
	v_div_fmas_f64 v[98:99], v[98:99], v[100:101], v[104:105]
	v_div_fixup_f64 v[98:99], v[98:99], v[117:118], v[119:120]
	v_fma_f64 v[100:101], v[119:120], v[98:99], v[117:118]
	v_div_scale_f64 v[102:103], s[20:21], v[100:101], v[100:101], 1.0
	v_div_scale_f64 v[108:109], vcc, 1.0, v[100:101], 1.0
	v_rcp_f64_e32 v[104:105], v[102:103]
	v_fma_f64 v[106:107], -v[102:103], v[104:105], 1.0
	v_fma_f64 v[104:105], v[104:105], v[106:107], v[104:105]
	v_fma_f64 v[106:107], -v[102:103], v[104:105], 1.0
	v_fma_f64 v[104:105], v[104:105], v[106:107], v[104:105]
	v_mul_f64 v[106:107], v[108:109], v[104:105]
	v_fma_f64 v[102:103], -v[102:103], v[106:107], v[108:109]
	v_div_fmas_f64 v[102:103], v[102:103], v[104:105], v[106:107]
	v_div_fixup_f64 v[117:118], v[102:103], v[100:101], 1.0
	v_mul_f64 v[119:120], v[98:99], -v[117:118]
.LBB86_366:
	s_or_b64 exec, exec, s[18:19]
.LBB86_367:
	s_or_b64 exec, exec, s[0:1]
	v_cmp_ne_u32_e32 vcc, v96, v97
	s_and_saveexec_b64 s[0:1], vcc
	s_xor_b64 s[0:1], exec, s[0:1]
	s_cbranch_execz .LBB86_373
; %bb.368:
	v_cmp_eq_u32_e32 vcc, 17, v96
	s_and_saveexec_b64 s[18:19], vcc
	s_cbranch_execz .LBB86_372
; %bb.369:
	v_cmp_ne_u32_e32 vcc, 17, v97
	s_xor_b64 s[20:21], s[6:7], -1
	s_and_b64 s[22:23], s[20:21], vcc
	s_and_saveexec_b64 s[20:21], s[22:23]
	s_cbranch_execz .LBB86_371
; %bb.370:
	v_ashrrev_i32_e32 v98, 31, v97
	v_lshlrev_b64 v[98:99], 2, v[97:98]
	v_add_co_u32_e32 v98, vcc, v91, v98
	v_addc_co_u32_e32 v99, vcc, v92, v99, vcc
	global_load_dword v0, v[98:99], off
	global_load_dword v96, v[91:92], off offset:68
	s_waitcnt vmcnt(1)
	global_store_dword v[91:92], v0, off offset:68
	s_waitcnt vmcnt(1)
	global_store_dword v[98:99], v96, off
.LBB86_371:
	s_or_b64 exec, exec, s[20:21]
	v_mov_b32_e32 v96, v97
	v_mov_b32_e32 v0, v97
.LBB86_372:
	s_or_b64 exec, exec, s[18:19]
.LBB86_373:
	s_andn2_saveexec_b64 s[0:1], s[0:1]
	s_cbranch_execz .LBB86_375
; %bb.374:
	buffer_load_dword v96, off, s[24:27], 0 offset:32 ; 4-byte Folded Reload
	buffer_load_dword v97, off, s[24:27], 0 offset:36 ; 4-byte Folded Reload
	;; [unrolled: 1-line block ×4, first 2 shown]
	s_waitcnt vmcnt(0)
	ds_write2_b64 v94, v[96:97], v[98:99] offset0:36 offset1:37
	buffer_load_dword v96, off, s[24:27], 0 offset:16 ; 4-byte Folded Reload
	buffer_load_dword v97, off, s[24:27], 0 offset:20 ; 4-byte Folded Reload
	;; [unrolled: 1-line block ×4, first 2 shown]
	s_waitcnt vmcnt(0)
	ds_write2_b64 v94, v[96:97], v[98:99] offset0:38 offset1:39
	buffer_load_dword v96, off, s[24:27], 0 ; 4-byte Folded Reload
	buffer_load_dword v97, off, s[24:27], 0 offset:4 ; 4-byte Folded Reload
	buffer_load_dword v98, off, s[24:27], 0 offset:8 ; 4-byte Folded Reload
	;; [unrolled: 1-line block ×3, first 2 shown]
	s_waitcnt vmcnt(0)
	ds_write2_b64 v94, v[96:97], v[98:99] offset0:40 offset1:41
	ds_write2_b64 v94, v[85:86], v[87:88] offset0:42 offset1:43
	;; [unrolled: 1-line block ×24, first 2 shown]
	v_mov_b32_e32 v96, 17
.LBB86_375:
	s_or_b64 exec, exec, s[0:1]
	v_cmp_lt_i32_e32 vcc, 17, v96
	s_waitcnt vmcnt(0) lgkmcnt(0)
	s_barrier
	s_and_saveexec_b64 s[0:1], vcc
	s_cbranch_execz .LBB86_377
; %bb.376:
	buffer_load_dword v107, off, s[24:27], 0 offset:48 ; 4-byte Folded Reload
	buffer_load_dword v108, off, s[24:27], 0 offset:52 ; 4-byte Folded Reload
	;; [unrolled: 1-line block ×4, first 2 shown]
	s_waitcnt vmcnt(0)
	v_mul_f64 v[97:98], v[119:120], v[109:110]
	v_mul_f64 v[99:100], v[117:118], v[109:110]
	v_fma_f64 v[97:98], v[117:118], v[107:108], -v[97:98]
	v_fma_f64 v[109:110], v[119:120], v[107:108], v[99:100]
	ds_read2_b64 v[99:102], v94 offset0:36 offset1:37
	buffer_load_dword v105, off, s[24:27], 0 offset:32 ; 4-byte Folded Reload
	buffer_load_dword v106, off, s[24:27], 0 offset:36 ; 4-byte Folded Reload
	;; [unrolled: 1-line block ×4, first 2 shown]
	s_waitcnt lgkmcnt(0)
	v_mul_f64 v[103:104], v[101:102], v[109:110]
	v_fma_f64 v[103:104], v[99:100], v[97:98], -v[103:104]
	v_mul_f64 v[99:100], v[99:100], v[109:110]
	v_fma_f64 v[99:100], v[101:102], v[97:98], v[99:100]
	s_waitcnt vmcnt(2)
	v_add_f64 v[105:106], v[105:106], -v[103:104]
	s_waitcnt vmcnt(0)
	v_add_f64 v[107:108], v[107:108], -v[99:100]
	buffer_store_dword v105, off, s[24:27], 0 offset:32 ; 4-byte Folded Spill
	s_nop 0
	buffer_store_dword v106, off, s[24:27], 0 offset:36 ; 4-byte Folded Spill
	buffer_store_dword v107, off, s[24:27], 0 offset:40 ; 4-byte Folded Spill
	;; [unrolled: 1-line block ×3, first 2 shown]
	ds_read2_b64 v[99:102], v94 offset0:38 offset1:39
	buffer_load_dword v105, off, s[24:27], 0 offset:16 ; 4-byte Folded Reload
	buffer_load_dword v106, off, s[24:27], 0 offset:20 ; 4-byte Folded Reload
	;; [unrolled: 1-line block ×4, first 2 shown]
	s_waitcnt lgkmcnt(0)
	v_mul_f64 v[103:104], v[101:102], v[109:110]
	v_fma_f64 v[103:104], v[99:100], v[97:98], -v[103:104]
	v_mul_f64 v[99:100], v[99:100], v[109:110]
	v_fma_f64 v[99:100], v[101:102], v[97:98], v[99:100]
	s_waitcnt vmcnt(2)
	v_add_f64 v[105:106], v[105:106], -v[103:104]
	s_waitcnt vmcnt(0)
	v_add_f64 v[107:108], v[107:108], -v[99:100]
	buffer_store_dword v105, off, s[24:27], 0 offset:16 ; 4-byte Folded Spill
	s_nop 0
	buffer_store_dword v106, off, s[24:27], 0 offset:20 ; 4-byte Folded Spill
	buffer_store_dword v107, off, s[24:27], 0 offset:24 ; 4-byte Folded Spill
	;; [unrolled: 1-line block ×3, first 2 shown]
	ds_read2_b64 v[99:102], v94 offset0:40 offset1:41
	buffer_load_dword v105, off, s[24:27], 0 ; 4-byte Folded Reload
	buffer_load_dword v106, off, s[24:27], 0 offset:4 ; 4-byte Folded Reload
	buffer_load_dword v107, off, s[24:27], 0 offset:8 ; 4-byte Folded Reload
	;; [unrolled: 1-line block ×3, first 2 shown]
	s_waitcnt lgkmcnt(0)
	v_mul_f64 v[103:104], v[101:102], v[109:110]
	v_fma_f64 v[103:104], v[99:100], v[97:98], -v[103:104]
	v_mul_f64 v[99:100], v[99:100], v[109:110]
	v_fma_f64 v[99:100], v[101:102], v[97:98], v[99:100]
	s_waitcnt vmcnt(2)
	v_add_f64 v[105:106], v[105:106], -v[103:104]
	s_waitcnt vmcnt(0)
	v_add_f64 v[107:108], v[107:108], -v[99:100]
	buffer_store_dword v105, off, s[24:27], 0 ; 4-byte Folded Spill
	s_nop 0
	buffer_store_dword v106, off, s[24:27], 0 offset:4 ; 4-byte Folded Spill
	buffer_store_dword v107, off, s[24:27], 0 offset:8 ; 4-byte Folded Spill
	;; [unrolled: 1-line block ×3, first 2 shown]
	ds_read2_b64 v[99:102], v94 offset0:42 offset1:43
	v_mov_b32_e32 v108, v98
	v_mov_b32_e32 v107, v97
	s_waitcnt lgkmcnt(0)
	v_mul_f64 v[103:104], v[101:102], v[109:110]
	v_fma_f64 v[103:104], v[99:100], v[97:98], -v[103:104]
	v_mul_f64 v[99:100], v[99:100], v[109:110]
	v_add_f64 v[85:86], v[85:86], -v[103:104]
	v_fma_f64 v[99:100], v[101:102], v[97:98], v[99:100]
	v_add_f64 v[87:88], v[87:88], -v[99:100]
	ds_read2_b64 v[99:102], v94 offset0:44 offset1:45
	s_waitcnt lgkmcnt(0)
	v_mul_f64 v[103:104], v[101:102], v[109:110]
	v_fma_f64 v[103:104], v[99:100], v[97:98], -v[103:104]
	v_mul_f64 v[99:100], v[99:100], v[109:110]
	v_add_f64 v[81:82], v[81:82], -v[103:104]
	v_fma_f64 v[99:100], v[101:102], v[97:98], v[99:100]
	v_add_f64 v[83:84], v[83:84], -v[99:100]
	ds_read2_b64 v[99:102], v94 offset0:46 offset1:47
	;; [unrolled: 8-line block ×22, first 2 shown]
	s_waitcnt lgkmcnt(0)
	v_mul_f64 v[103:104], v[101:102], v[109:110]
	v_fma_f64 v[103:104], v[99:100], v[97:98], -v[103:104]
	v_mul_f64 v[99:100], v[99:100], v[109:110]
	buffer_store_dword v107, off, s[24:27], 0 offset:48 ; 4-byte Folded Spill
	s_nop 0
	buffer_store_dword v108, off, s[24:27], 0 offset:52 ; 4-byte Folded Spill
	buffer_store_dword v109, off, s[24:27], 0 offset:56 ; 4-byte Folded Spill
	;; [unrolled: 1-line block ×3, first 2 shown]
	v_add_f64 v[121:122], v[121:122], -v[103:104]
	v_fma_f64 v[99:100], v[101:102], v[97:98], v[99:100]
	v_add_f64 v[123:124], v[123:124], -v[99:100]
.LBB86_377:
	s_or_b64 exec, exec, s[0:1]
	s_waitcnt vmcnt(0)
	s_barrier
	buffer_load_dword v98, off, s[24:27], 0 offset:32 ; 4-byte Folded Reload
	buffer_load_dword v99, off, s[24:27], 0 offset:36 ; 4-byte Folded Reload
	;; [unrolled: 1-line block ×4, first 2 shown]
	v_lshl_add_u32 v97, v96, 4, v94
	s_cmp_lt_i32 s3, 20
	s_waitcnt vmcnt(0)
	ds_write2_b64 v97, v[98:99], v[100:101] offset1:1
	s_waitcnt lgkmcnt(0)
	s_barrier
	ds_read2_b64 v[117:120], v94 offset0:36 offset1:37
	v_mov_b32_e32 v97, 18
	s_cbranch_scc1 .LBB86_380
; %bb.378:
	v_add_u32_e32 v98, 0x130, v94
	s_mov_b32 s0, 19
	v_mov_b32_e32 v97, 18
.LBB86_379:                             ; =>This Inner Loop Header: Depth=1
	s_waitcnt lgkmcnt(0)
	v_cmp_gt_f64_e32 vcc, 0, v[117:118]
	v_xor_b32_e32 v103, 0x80000000, v118
	ds_read2_b64 v[99:102], v98 offset1:1
	v_xor_b32_e32 v105, 0x80000000, v120
	v_add_u32_e32 v98, 16, v98
	s_waitcnt lgkmcnt(0)
	v_xor_b32_e32 v107, 0x80000000, v102
	v_cndmask_b32_e32 v104, v118, v103, vcc
	v_cmp_gt_f64_e32 vcc, 0, v[119:120]
	v_mov_b32_e32 v103, v117
	v_cndmask_b32_e32 v106, v120, v105, vcc
	v_cmp_gt_f64_e32 vcc, 0, v[99:100]
	v_mov_b32_e32 v105, v119
	v_add_f64 v[103:104], v[103:104], v[105:106]
	v_xor_b32_e32 v105, 0x80000000, v100
	v_cndmask_b32_e32 v106, v100, v105, vcc
	v_cmp_gt_f64_e32 vcc, 0, v[101:102]
	v_mov_b32_e32 v105, v99
	v_cndmask_b32_e32 v108, v102, v107, vcc
	v_mov_b32_e32 v107, v101
	v_add_f64 v[105:106], v[105:106], v[107:108]
	v_cmp_lt_f64_e32 vcc, v[103:104], v[105:106]
	v_cndmask_b32_e32 v117, v117, v99, vcc
	v_mov_b32_e32 v99, s0
	s_add_i32 s0, s0, 1
	v_cndmask_b32_e32 v118, v118, v100, vcc
	v_cndmask_b32_e32 v120, v120, v102, vcc
	;; [unrolled: 1-line block ×4, first 2 shown]
	s_cmp_lg_u32 s3, s0
	s_cbranch_scc1 .LBB86_379
.LBB86_380:
	s_waitcnt lgkmcnt(0)
	v_cmp_eq_f64_e32 vcc, 0, v[117:118]
	v_cmp_eq_f64_e64 s[0:1], 0, v[119:120]
	s_and_b64 s[0:1], vcc, s[0:1]
	s_and_saveexec_b64 s[18:19], s[0:1]
	s_xor_b64 s[0:1], exec, s[18:19]
; %bb.381:
	v_cmp_ne_u32_e32 vcc, 0, v95
	v_cndmask_b32_e32 v95, 19, v95, vcc
; %bb.382:
	s_andn2_saveexec_b64 s[0:1], s[0:1]
	s_cbranch_execz .LBB86_388
; %bb.383:
	v_cmp_ngt_f64_e64 s[18:19], |v[117:118]|, |v[119:120]|
	s_and_saveexec_b64 s[20:21], s[18:19]
	s_xor_b64 s[18:19], exec, s[20:21]
	s_cbranch_execz .LBB86_385
; %bb.384:
	v_div_scale_f64 v[98:99], s[20:21], v[119:120], v[119:120], v[117:118]
	v_rcp_f64_e32 v[100:101], v[98:99]
	v_fma_f64 v[102:103], -v[98:99], v[100:101], 1.0
	v_fma_f64 v[100:101], v[100:101], v[102:103], v[100:101]
	v_div_scale_f64 v[102:103], vcc, v[117:118], v[119:120], v[117:118]
	v_fma_f64 v[104:105], -v[98:99], v[100:101], 1.0
	v_fma_f64 v[100:101], v[100:101], v[104:105], v[100:101]
	v_mul_f64 v[104:105], v[102:103], v[100:101]
	v_fma_f64 v[98:99], -v[98:99], v[104:105], v[102:103]
	v_div_fmas_f64 v[98:99], v[98:99], v[100:101], v[104:105]
	v_div_fixup_f64 v[98:99], v[98:99], v[119:120], v[117:118]
	v_fma_f64 v[100:101], v[117:118], v[98:99], v[119:120]
	v_div_scale_f64 v[102:103], s[20:21], v[100:101], v[100:101], 1.0
	v_div_scale_f64 v[108:109], vcc, 1.0, v[100:101], 1.0
	v_rcp_f64_e32 v[104:105], v[102:103]
	v_fma_f64 v[106:107], -v[102:103], v[104:105], 1.0
	v_fma_f64 v[104:105], v[104:105], v[106:107], v[104:105]
	v_fma_f64 v[106:107], -v[102:103], v[104:105], 1.0
	v_fma_f64 v[104:105], v[104:105], v[106:107], v[104:105]
	v_mul_f64 v[106:107], v[108:109], v[104:105]
	v_fma_f64 v[102:103], -v[102:103], v[106:107], v[108:109]
	v_div_fmas_f64 v[102:103], v[102:103], v[104:105], v[106:107]
	v_div_fixup_f64 v[119:120], v[102:103], v[100:101], 1.0
	v_mul_f64 v[117:118], v[98:99], v[119:120]
	v_xor_b32_e32 v120, 0x80000000, v120
.LBB86_385:
	s_andn2_saveexec_b64 s[18:19], s[18:19]
	s_cbranch_execz .LBB86_387
; %bb.386:
	v_div_scale_f64 v[98:99], s[20:21], v[117:118], v[117:118], v[119:120]
	v_rcp_f64_e32 v[100:101], v[98:99]
	v_fma_f64 v[102:103], -v[98:99], v[100:101], 1.0
	v_fma_f64 v[100:101], v[100:101], v[102:103], v[100:101]
	v_div_scale_f64 v[102:103], vcc, v[119:120], v[117:118], v[119:120]
	v_fma_f64 v[104:105], -v[98:99], v[100:101], 1.0
	v_fma_f64 v[100:101], v[100:101], v[104:105], v[100:101]
	v_mul_f64 v[104:105], v[102:103], v[100:101]
	v_fma_f64 v[98:99], -v[98:99], v[104:105], v[102:103]
	v_div_fmas_f64 v[98:99], v[98:99], v[100:101], v[104:105]
	v_div_fixup_f64 v[98:99], v[98:99], v[117:118], v[119:120]
	v_fma_f64 v[100:101], v[119:120], v[98:99], v[117:118]
	v_div_scale_f64 v[102:103], s[20:21], v[100:101], v[100:101], 1.0
	v_div_scale_f64 v[108:109], vcc, 1.0, v[100:101], 1.0
	v_rcp_f64_e32 v[104:105], v[102:103]
	v_fma_f64 v[106:107], -v[102:103], v[104:105], 1.0
	v_fma_f64 v[104:105], v[104:105], v[106:107], v[104:105]
	v_fma_f64 v[106:107], -v[102:103], v[104:105], 1.0
	v_fma_f64 v[104:105], v[104:105], v[106:107], v[104:105]
	v_mul_f64 v[106:107], v[108:109], v[104:105]
	v_fma_f64 v[102:103], -v[102:103], v[106:107], v[108:109]
	v_div_fmas_f64 v[102:103], v[102:103], v[104:105], v[106:107]
	v_div_fixup_f64 v[117:118], v[102:103], v[100:101], 1.0
	v_mul_f64 v[119:120], v[98:99], -v[117:118]
.LBB86_387:
	s_or_b64 exec, exec, s[18:19]
.LBB86_388:
	s_or_b64 exec, exec, s[0:1]
	v_cmp_ne_u32_e32 vcc, v96, v97
	s_and_saveexec_b64 s[0:1], vcc
	s_xor_b64 s[0:1], exec, s[0:1]
	s_cbranch_execz .LBB86_394
; %bb.389:
	v_cmp_eq_u32_e32 vcc, 18, v96
	s_and_saveexec_b64 s[18:19], vcc
	s_cbranch_execz .LBB86_393
; %bb.390:
	v_cmp_ne_u32_e32 vcc, 18, v97
	s_xor_b64 s[20:21], s[6:7], -1
	s_and_b64 s[22:23], s[20:21], vcc
	s_and_saveexec_b64 s[20:21], s[22:23]
	s_cbranch_execz .LBB86_392
; %bb.391:
	v_ashrrev_i32_e32 v98, 31, v97
	v_lshlrev_b64 v[98:99], 2, v[97:98]
	v_add_co_u32_e32 v98, vcc, v91, v98
	v_addc_co_u32_e32 v99, vcc, v92, v99, vcc
	global_load_dword v0, v[98:99], off
	global_load_dword v96, v[91:92], off offset:72
	s_waitcnt vmcnt(1)
	global_store_dword v[91:92], v0, off offset:72
	s_waitcnt vmcnt(1)
	global_store_dword v[98:99], v96, off
.LBB86_392:
	s_or_b64 exec, exec, s[20:21]
	v_mov_b32_e32 v96, v97
	v_mov_b32_e32 v0, v97
.LBB86_393:
	s_or_b64 exec, exec, s[18:19]
.LBB86_394:
	s_andn2_saveexec_b64 s[0:1], s[0:1]
	s_cbranch_execz .LBB86_396
; %bb.395:
	buffer_load_dword v96, off, s[24:27], 0 offset:16 ; 4-byte Folded Reload
	buffer_load_dword v97, off, s[24:27], 0 offset:20 ; 4-byte Folded Reload
	;; [unrolled: 1-line block ×4, first 2 shown]
	s_waitcnt vmcnt(0)
	ds_write2_b64 v94, v[96:97], v[98:99] offset0:38 offset1:39
	buffer_load_dword v96, off, s[24:27], 0 ; 4-byte Folded Reload
	buffer_load_dword v97, off, s[24:27], 0 offset:4 ; 4-byte Folded Reload
	buffer_load_dword v98, off, s[24:27], 0 offset:8 ; 4-byte Folded Reload
	;; [unrolled: 1-line block ×3, first 2 shown]
	s_waitcnt vmcnt(0)
	ds_write2_b64 v94, v[96:97], v[98:99] offset0:40 offset1:41
	ds_write2_b64 v94, v[85:86], v[87:88] offset0:42 offset1:43
	;; [unrolled: 1-line block ×24, first 2 shown]
	v_mov_b32_e32 v96, 18
.LBB86_396:
	s_or_b64 exec, exec, s[0:1]
	v_cmp_lt_i32_e32 vcc, 18, v96
	s_waitcnt vmcnt(0) lgkmcnt(0)
	s_barrier
	s_and_saveexec_b64 s[0:1], vcc
	s_cbranch_execz .LBB86_398
; %bb.397:
	buffer_load_dword v107, off, s[24:27], 0 offset:32 ; 4-byte Folded Reload
	buffer_load_dword v108, off, s[24:27], 0 offset:36 ; 4-byte Folded Reload
	buffer_load_dword v109, off, s[24:27], 0 offset:40 ; 4-byte Folded Reload
	buffer_load_dword v110, off, s[24:27], 0 offset:44 ; 4-byte Folded Reload
	s_waitcnt vmcnt(0)
	v_mul_f64 v[97:98], v[119:120], v[109:110]
	v_mul_f64 v[99:100], v[117:118], v[109:110]
	v_fma_f64 v[97:98], v[117:118], v[107:108], -v[97:98]
	v_fma_f64 v[109:110], v[119:120], v[107:108], v[99:100]
	ds_read2_b64 v[99:102], v94 offset0:38 offset1:39
	buffer_load_dword v105, off, s[24:27], 0 offset:16 ; 4-byte Folded Reload
	buffer_load_dword v106, off, s[24:27], 0 offset:20 ; 4-byte Folded Reload
	;; [unrolled: 1-line block ×4, first 2 shown]
	s_waitcnt lgkmcnt(0)
	v_mul_f64 v[103:104], v[101:102], v[109:110]
	v_fma_f64 v[103:104], v[99:100], v[97:98], -v[103:104]
	v_mul_f64 v[99:100], v[99:100], v[109:110]
	v_fma_f64 v[99:100], v[101:102], v[97:98], v[99:100]
	s_waitcnt vmcnt(2)
	v_add_f64 v[105:106], v[105:106], -v[103:104]
	s_waitcnt vmcnt(0)
	v_add_f64 v[107:108], v[107:108], -v[99:100]
	buffer_store_dword v105, off, s[24:27], 0 offset:16 ; 4-byte Folded Spill
	s_nop 0
	buffer_store_dword v106, off, s[24:27], 0 offset:20 ; 4-byte Folded Spill
	buffer_store_dword v107, off, s[24:27], 0 offset:24 ; 4-byte Folded Spill
	;; [unrolled: 1-line block ×3, first 2 shown]
	ds_read2_b64 v[99:102], v94 offset0:40 offset1:41
	buffer_load_dword v105, off, s[24:27], 0 ; 4-byte Folded Reload
	buffer_load_dword v106, off, s[24:27], 0 offset:4 ; 4-byte Folded Reload
	buffer_load_dword v107, off, s[24:27], 0 offset:8 ; 4-byte Folded Reload
	;; [unrolled: 1-line block ×3, first 2 shown]
	s_waitcnt lgkmcnt(0)
	v_mul_f64 v[103:104], v[101:102], v[109:110]
	v_fma_f64 v[103:104], v[99:100], v[97:98], -v[103:104]
	v_mul_f64 v[99:100], v[99:100], v[109:110]
	v_fma_f64 v[99:100], v[101:102], v[97:98], v[99:100]
	s_waitcnt vmcnt(2)
	v_add_f64 v[105:106], v[105:106], -v[103:104]
	s_waitcnt vmcnt(0)
	v_add_f64 v[107:108], v[107:108], -v[99:100]
	buffer_store_dword v105, off, s[24:27], 0 ; 4-byte Folded Spill
	s_nop 0
	buffer_store_dword v106, off, s[24:27], 0 offset:4 ; 4-byte Folded Spill
	buffer_store_dword v107, off, s[24:27], 0 offset:8 ; 4-byte Folded Spill
	;; [unrolled: 1-line block ×3, first 2 shown]
	ds_read2_b64 v[99:102], v94 offset0:42 offset1:43
	v_mov_b32_e32 v108, v98
	v_mov_b32_e32 v107, v97
	s_waitcnt lgkmcnt(0)
	v_mul_f64 v[103:104], v[101:102], v[109:110]
	v_fma_f64 v[103:104], v[99:100], v[97:98], -v[103:104]
	v_mul_f64 v[99:100], v[99:100], v[109:110]
	v_add_f64 v[85:86], v[85:86], -v[103:104]
	v_fma_f64 v[99:100], v[101:102], v[97:98], v[99:100]
	v_add_f64 v[87:88], v[87:88], -v[99:100]
	ds_read2_b64 v[99:102], v94 offset0:44 offset1:45
	s_waitcnt lgkmcnt(0)
	v_mul_f64 v[103:104], v[101:102], v[109:110]
	v_fma_f64 v[103:104], v[99:100], v[97:98], -v[103:104]
	v_mul_f64 v[99:100], v[99:100], v[109:110]
	v_add_f64 v[81:82], v[81:82], -v[103:104]
	v_fma_f64 v[99:100], v[101:102], v[97:98], v[99:100]
	v_add_f64 v[83:84], v[83:84], -v[99:100]
	ds_read2_b64 v[99:102], v94 offset0:46 offset1:47
	;; [unrolled: 8-line block ×22, first 2 shown]
	s_waitcnt lgkmcnt(0)
	v_mul_f64 v[103:104], v[101:102], v[109:110]
	v_fma_f64 v[103:104], v[99:100], v[97:98], -v[103:104]
	v_mul_f64 v[99:100], v[99:100], v[109:110]
	buffer_store_dword v107, off, s[24:27], 0 offset:32 ; 4-byte Folded Spill
	s_nop 0
	buffer_store_dword v108, off, s[24:27], 0 offset:36 ; 4-byte Folded Spill
	buffer_store_dword v109, off, s[24:27], 0 offset:40 ; 4-byte Folded Spill
	;; [unrolled: 1-line block ×3, first 2 shown]
	v_add_f64 v[121:122], v[121:122], -v[103:104]
	v_fma_f64 v[99:100], v[101:102], v[97:98], v[99:100]
	v_add_f64 v[123:124], v[123:124], -v[99:100]
.LBB86_398:
	s_or_b64 exec, exec, s[0:1]
	s_waitcnt vmcnt(0)
	s_barrier
	buffer_load_dword v98, off, s[24:27], 0 offset:16 ; 4-byte Folded Reload
	buffer_load_dword v99, off, s[24:27], 0 offset:20 ; 4-byte Folded Reload
	;; [unrolled: 1-line block ×4, first 2 shown]
	v_lshl_add_u32 v97, v96, 4, v94
	s_cmp_lt_i32 s3, 21
	s_waitcnt vmcnt(0)
	ds_write2_b64 v97, v[98:99], v[100:101] offset1:1
	s_waitcnt lgkmcnt(0)
	s_barrier
	ds_read2_b64 v[117:120], v94 offset0:38 offset1:39
	v_mov_b32_e32 v97, 19
	s_cbranch_scc1 .LBB86_401
; %bb.399:
	v_add_u32_e32 v98, 0x140, v94
	s_mov_b32 s0, 20
	v_mov_b32_e32 v97, 19
.LBB86_400:                             ; =>This Inner Loop Header: Depth=1
	s_waitcnt lgkmcnt(0)
	v_cmp_gt_f64_e32 vcc, 0, v[117:118]
	v_xor_b32_e32 v103, 0x80000000, v118
	ds_read2_b64 v[99:102], v98 offset1:1
	v_xor_b32_e32 v105, 0x80000000, v120
	v_add_u32_e32 v98, 16, v98
	s_waitcnt lgkmcnt(0)
	v_xor_b32_e32 v107, 0x80000000, v102
	v_cndmask_b32_e32 v104, v118, v103, vcc
	v_cmp_gt_f64_e32 vcc, 0, v[119:120]
	v_mov_b32_e32 v103, v117
	v_cndmask_b32_e32 v106, v120, v105, vcc
	v_cmp_gt_f64_e32 vcc, 0, v[99:100]
	v_mov_b32_e32 v105, v119
	v_add_f64 v[103:104], v[103:104], v[105:106]
	v_xor_b32_e32 v105, 0x80000000, v100
	v_cndmask_b32_e32 v106, v100, v105, vcc
	v_cmp_gt_f64_e32 vcc, 0, v[101:102]
	v_mov_b32_e32 v105, v99
	v_cndmask_b32_e32 v108, v102, v107, vcc
	v_mov_b32_e32 v107, v101
	v_add_f64 v[105:106], v[105:106], v[107:108]
	v_cmp_lt_f64_e32 vcc, v[103:104], v[105:106]
	v_cndmask_b32_e32 v117, v117, v99, vcc
	v_mov_b32_e32 v99, s0
	s_add_i32 s0, s0, 1
	v_cndmask_b32_e32 v118, v118, v100, vcc
	v_cndmask_b32_e32 v120, v120, v102, vcc
	;; [unrolled: 1-line block ×4, first 2 shown]
	s_cmp_lg_u32 s3, s0
	s_cbranch_scc1 .LBB86_400
.LBB86_401:
	s_waitcnt lgkmcnt(0)
	v_cmp_eq_f64_e32 vcc, 0, v[117:118]
	v_cmp_eq_f64_e64 s[0:1], 0, v[119:120]
	s_and_b64 s[0:1], vcc, s[0:1]
	s_and_saveexec_b64 s[18:19], s[0:1]
	s_xor_b64 s[0:1], exec, s[18:19]
; %bb.402:
	v_cmp_ne_u32_e32 vcc, 0, v95
	v_cndmask_b32_e32 v95, 20, v95, vcc
; %bb.403:
	s_andn2_saveexec_b64 s[0:1], s[0:1]
	s_cbranch_execz .LBB86_409
; %bb.404:
	v_cmp_ngt_f64_e64 s[18:19], |v[117:118]|, |v[119:120]|
	s_and_saveexec_b64 s[20:21], s[18:19]
	s_xor_b64 s[18:19], exec, s[20:21]
	s_cbranch_execz .LBB86_406
; %bb.405:
	v_div_scale_f64 v[98:99], s[20:21], v[119:120], v[119:120], v[117:118]
	v_rcp_f64_e32 v[100:101], v[98:99]
	v_fma_f64 v[102:103], -v[98:99], v[100:101], 1.0
	v_fma_f64 v[100:101], v[100:101], v[102:103], v[100:101]
	v_div_scale_f64 v[102:103], vcc, v[117:118], v[119:120], v[117:118]
	v_fma_f64 v[104:105], -v[98:99], v[100:101], 1.0
	v_fma_f64 v[100:101], v[100:101], v[104:105], v[100:101]
	v_mul_f64 v[104:105], v[102:103], v[100:101]
	v_fma_f64 v[98:99], -v[98:99], v[104:105], v[102:103]
	v_div_fmas_f64 v[98:99], v[98:99], v[100:101], v[104:105]
	v_div_fixup_f64 v[98:99], v[98:99], v[119:120], v[117:118]
	v_fma_f64 v[100:101], v[117:118], v[98:99], v[119:120]
	v_div_scale_f64 v[102:103], s[20:21], v[100:101], v[100:101], 1.0
	v_div_scale_f64 v[108:109], vcc, 1.0, v[100:101], 1.0
	v_rcp_f64_e32 v[104:105], v[102:103]
	v_fma_f64 v[106:107], -v[102:103], v[104:105], 1.0
	v_fma_f64 v[104:105], v[104:105], v[106:107], v[104:105]
	v_fma_f64 v[106:107], -v[102:103], v[104:105], 1.0
	v_fma_f64 v[104:105], v[104:105], v[106:107], v[104:105]
	v_mul_f64 v[106:107], v[108:109], v[104:105]
	v_fma_f64 v[102:103], -v[102:103], v[106:107], v[108:109]
	v_div_fmas_f64 v[102:103], v[102:103], v[104:105], v[106:107]
	v_div_fixup_f64 v[119:120], v[102:103], v[100:101], 1.0
	v_mul_f64 v[117:118], v[98:99], v[119:120]
	v_xor_b32_e32 v120, 0x80000000, v120
.LBB86_406:
	s_andn2_saveexec_b64 s[18:19], s[18:19]
	s_cbranch_execz .LBB86_408
; %bb.407:
	v_div_scale_f64 v[98:99], s[20:21], v[117:118], v[117:118], v[119:120]
	v_rcp_f64_e32 v[100:101], v[98:99]
	v_fma_f64 v[102:103], -v[98:99], v[100:101], 1.0
	v_fma_f64 v[100:101], v[100:101], v[102:103], v[100:101]
	v_div_scale_f64 v[102:103], vcc, v[119:120], v[117:118], v[119:120]
	v_fma_f64 v[104:105], -v[98:99], v[100:101], 1.0
	v_fma_f64 v[100:101], v[100:101], v[104:105], v[100:101]
	v_mul_f64 v[104:105], v[102:103], v[100:101]
	v_fma_f64 v[98:99], -v[98:99], v[104:105], v[102:103]
	v_div_fmas_f64 v[98:99], v[98:99], v[100:101], v[104:105]
	v_div_fixup_f64 v[98:99], v[98:99], v[117:118], v[119:120]
	v_fma_f64 v[100:101], v[119:120], v[98:99], v[117:118]
	v_div_scale_f64 v[102:103], s[20:21], v[100:101], v[100:101], 1.0
	v_div_scale_f64 v[108:109], vcc, 1.0, v[100:101], 1.0
	v_rcp_f64_e32 v[104:105], v[102:103]
	v_fma_f64 v[106:107], -v[102:103], v[104:105], 1.0
	v_fma_f64 v[104:105], v[104:105], v[106:107], v[104:105]
	v_fma_f64 v[106:107], -v[102:103], v[104:105], 1.0
	v_fma_f64 v[104:105], v[104:105], v[106:107], v[104:105]
	v_mul_f64 v[106:107], v[108:109], v[104:105]
	v_fma_f64 v[102:103], -v[102:103], v[106:107], v[108:109]
	v_div_fmas_f64 v[102:103], v[102:103], v[104:105], v[106:107]
	v_div_fixup_f64 v[117:118], v[102:103], v[100:101], 1.0
	v_mul_f64 v[119:120], v[98:99], -v[117:118]
.LBB86_408:
	s_or_b64 exec, exec, s[18:19]
.LBB86_409:
	s_or_b64 exec, exec, s[0:1]
	v_cmp_ne_u32_e32 vcc, v96, v97
	s_and_saveexec_b64 s[0:1], vcc
	s_xor_b64 s[0:1], exec, s[0:1]
	s_cbranch_execz .LBB86_415
; %bb.410:
	v_cmp_eq_u32_e32 vcc, 19, v96
	s_and_saveexec_b64 s[18:19], vcc
	s_cbranch_execz .LBB86_414
; %bb.411:
	v_cmp_ne_u32_e32 vcc, 19, v97
	s_xor_b64 s[20:21], s[6:7], -1
	s_and_b64 s[22:23], s[20:21], vcc
	s_and_saveexec_b64 s[20:21], s[22:23]
	s_cbranch_execz .LBB86_413
; %bb.412:
	v_ashrrev_i32_e32 v98, 31, v97
	v_lshlrev_b64 v[98:99], 2, v[97:98]
	v_add_co_u32_e32 v98, vcc, v91, v98
	v_addc_co_u32_e32 v99, vcc, v92, v99, vcc
	global_load_dword v0, v[98:99], off
	global_load_dword v96, v[91:92], off offset:76
	s_waitcnt vmcnt(1)
	global_store_dword v[91:92], v0, off offset:76
	s_waitcnt vmcnt(1)
	global_store_dword v[98:99], v96, off
.LBB86_413:
	s_or_b64 exec, exec, s[20:21]
	v_mov_b32_e32 v96, v97
	v_mov_b32_e32 v0, v97
.LBB86_414:
	s_or_b64 exec, exec, s[18:19]
.LBB86_415:
	s_andn2_saveexec_b64 s[0:1], s[0:1]
	s_cbranch_execz .LBB86_417
; %bb.416:
	buffer_load_dword v96, off, s[24:27], 0 ; 4-byte Folded Reload
	buffer_load_dword v97, off, s[24:27], 0 offset:4 ; 4-byte Folded Reload
	buffer_load_dword v98, off, s[24:27], 0 offset:8 ; 4-byte Folded Reload
	buffer_load_dword v99, off, s[24:27], 0 offset:12 ; 4-byte Folded Reload
	s_waitcnt vmcnt(0)
	ds_write2_b64 v94, v[96:97], v[98:99] offset0:40 offset1:41
	ds_write2_b64 v94, v[85:86], v[87:88] offset0:42 offset1:43
	;; [unrolled: 1-line block ×24, first 2 shown]
	v_mov_b32_e32 v96, 19
.LBB86_417:
	s_or_b64 exec, exec, s[0:1]
	v_cmp_lt_i32_e32 vcc, 19, v96
	s_waitcnt vmcnt(0) lgkmcnt(0)
	s_barrier
	s_and_saveexec_b64 s[0:1], vcc
	s_cbranch_execz .LBB86_419
; %bb.418:
	buffer_load_dword v101, off, s[24:27], 0 offset:16 ; 4-byte Folded Reload
	buffer_load_dword v102, off, s[24:27], 0 offset:20 ; 4-byte Folded Reload
	;; [unrolled: 1-line block ×4, first 2 shown]
	s_waitcnt vmcnt(0)
	v_mul_f64 v[97:98], v[119:120], v[103:104]
	v_fma_f64 v[105:106], v[117:118], v[101:102], -v[97:98]
	v_mul_f64 v[97:98], v[117:118], v[103:104]
	v_fma_f64 v[103:104], v[119:120], v[101:102], v[97:98]
	ds_read2_b64 v[97:100], v94 offset0:40 offset1:41
	buffer_load_dword v107, off, s[24:27], 0 ; 4-byte Folded Reload
	buffer_load_dword v108, off, s[24:27], 0 offset:4 ; 4-byte Folded Reload
	buffer_load_dword v109, off, s[24:27], 0 offset:8 ; 4-byte Folded Reload
	;; [unrolled: 1-line block ×3, first 2 shown]
	s_waitcnt lgkmcnt(0)
	v_mul_f64 v[101:102], v[99:100], v[103:104]
	v_fma_f64 v[101:102], v[97:98], v[105:106], -v[101:102]
	v_mul_f64 v[97:98], v[97:98], v[103:104]
	v_fma_f64 v[97:98], v[99:100], v[105:106], v[97:98]
	s_waitcnt vmcnt(2)
	v_add_f64 v[107:108], v[107:108], -v[101:102]
	s_waitcnt vmcnt(0)
	v_add_f64 v[109:110], v[109:110], -v[97:98]
	buffer_store_dword v107, off, s[24:27], 0 ; 4-byte Folded Spill
	s_nop 0
	buffer_store_dword v108, off, s[24:27], 0 offset:4 ; 4-byte Folded Spill
	buffer_store_dword v109, off, s[24:27], 0 offset:8 ; 4-byte Folded Spill
	;; [unrolled: 1-line block ×3, first 2 shown]
	ds_read2_b64 v[97:100], v94 offset0:42 offset1:43
	s_waitcnt lgkmcnt(0)
	v_mul_f64 v[101:102], v[99:100], v[103:104]
	v_fma_f64 v[101:102], v[97:98], v[105:106], -v[101:102]
	v_mul_f64 v[97:98], v[97:98], v[103:104]
	v_add_f64 v[85:86], v[85:86], -v[101:102]
	v_fma_f64 v[97:98], v[99:100], v[105:106], v[97:98]
	v_add_f64 v[87:88], v[87:88], -v[97:98]
	ds_read2_b64 v[97:100], v94 offset0:44 offset1:45
	s_waitcnt lgkmcnt(0)
	v_mul_f64 v[101:102], v[99:100], v[103:104]
	v_fma_f64 v[101:102], v[97:98], v[105:106], -v[101:102]
	v_mul_f64 v[97:98], v[97:98], v[103:104]
	v_add_f64 v[81:82], v[81:82], -v[101:102]
	v_fma_f64 v[97:98], v[99:100], v[105:106], v[97:98]
	v_add_f64 v[83:84], v[83:84], -v[97:98]
	;; [unrolled: 8-line block ×22, first 2 shown]
	ds_read2_b64 v[97:100], v94 offset0:86 offset1:87
	s_waitcnt lgkmcnt(0)
	v_mul_f64 v[101:102], v[99:100], v[103:104]
	v_fma_f64 v[101:102], v[97:98], v[105:106], -v[101:102]
	v_mul_f64 v[97:98], v[97:98], v[103:104]
	v_add_f64 v[121:122], v[121:122], -v[101:102]
	v_fma_f64 v[97:98], v[99:100], v[105:106], v[97:98]
	v_mov_b32_e32 v101, v105
	v_mov_b32_e32 v102, v106
	buffer_store_dword v101, off, s[24:27], 0 offset:16 ; 4-byte Folded Spill
	s_nop 0
	buffer_store_dword v102, off, s[24:27], 0 offset:20 ; 4-byte Folded Spill
	buffer_store_dword v103, off, s[24:27], 0 offset:24 ; 4-byte Folded Spill
	buffer_store_dword v104, off, s[24:27], 0 offset:28 ; 4-byte Folded Spill
	v_add_f64 v[123:124], v[123:124], -v[97:98]
.LBB86_419:
	s_or_b64 exec, exec, s[0:1]
	s_waitcnt vmcnt(0)
	s_barrier
	buffer_load_dword v98, off, s[24:27], 0 ; 4-byte Folded Reload
	buffer_load_dword v99, off, s[24:27], 0 offset:4 ; 4-byte Folded Reload
	buffer_load_dword v100, off, s[24:27], 0 offset:8 ; 4-byte Folded Reload
	;; [unrolled: 1-line block ×3, first 2 shown]
	v_lshl_add_u32 v97, v96, 4, v94
	s_cmp_lt_i32 s3, 22
	s_waitcnt vmcnt(0)
	ds_write2_b64 v97, v[98:99], v[100:101] offset1:1
	s_waitcnt lgkmcnt(0)
	s_barrier
	ds_read2_b64 v[117:120], v94 offset0:40 offset1:41
	v_mov_b32_e32 v97, 20
	s_cbranch_scc1 .LBB86_422
; %bb.420:
	v_add_u32_e32 v98, 0x150, v94
	s_mov_b32 s0, 21
	v_mov_b32_e32 v97, 20
.LBB86_421:                             ; =>This Inner Loop Header: Depth=1
	s_waitcnt lgkmcnt(0)
	v_cmp_gt_f64_e32 vcc, 0, v[117:118]
	v_xor_b32_e32 v103, 0x80000000, v118
	ds_read2_b64 v[99:102], v98 offset1:1
	v_xor_b32_e32 v105, 0x80000000, v120
	v_add_u32_e32 v98, 16, v98
	s_waitcnt lgkmcnt(0)
	v_xor_b32_e32 v107, 0x80000000, v102
	v_cndmask_b32_e32 v104, v118, v103, vcc
	v_cmp_gt_f64_e32 vcc, 0, v[119:120]
	v_mov_b32_e32 v103, v117
	v_cndmask_b32_e32 v106, v120, v105, vcc
	v_cmp_gt_f64_e32 vcc, 0, v[99:100]
	v_mov_b32_e32 v105, v119
	v_add_f64 v[103:104], v[103:104], v[105:106]
	v_xor_b32_e32 v105, 0x80000000, v100
	v_cndmask_b32_e32 v106, v100, v105, vcc
	v_cmp_gt_f64_e32 vcc, 0, v[101:102]
	v_mov_b32_e32 v105, v99
	v_cndmask_b32_e32 v108, v102, v107, vcc
	v_mov_b32_e32 v107, v101
	v_add_f64 v[105:106], v[105:106], v[107:108]
	v_cmp_lt_f64_e32 vcc, v[103:104], v[105:106]
	v_cndmask_b32_e32 v117, v117, v99, vcc
	v_mov_b32_e32 v99, s0
	s_add_i32 s0, s0, 1
	v_cndmask_b32_e32 v118, v118, v100, vcc
	v_cndmask_b32_e32 v120, v120, v102, vcc
	;; [unrolled: 1-line block ×4, first 2 shown]
	s_cmp_lg_u32 s3, s0
	s_cbranch_scc1 .LBB86_421
.LBB86_422:
	s_waitcnt lgkmcnt(0)
	v_cmp_eq_f64_e32 vcc, 0, v[117:118]
	v_cmp_eq_f64_e64 s[0:1], 0, v[119:120]
	s_and_b64 s[0:1], vcc, s[0:1]
	s_and_saveexec_b64 s[18:19], s[0:1]
	s_xor_b64 s[0:1], exec, s[18:19]
; %bb.423:
	v_cmp_ne_u32_e32 vcc, 0, v95
	v_cndmask_b32_e32 v95, 21, v95, vcc
; %bb.424:
	s_andn2_saveexec_b64 s[0:1], s[0:1]
	s_cbranch_execz .LBB86_430
; %bb.425:
	v_cmp_ngt_f64_e64 s[18:19], |v[117:118]|, |v[119:120]|
	s_and_saveexec_b64 s[20:21], s[18:19]
	s_xor_b64 s[18:19], exec, s[20:21]
	s_cbranch_execz .LBB86_427
; %bb.426:
	v_div_scale_f64 v[98:99], s[20:21], v[119:120], v[119:120], v[117:118]
	v_rcp_f64_e32 v[100:101], v[98:99]
	v_fma_f64 v[102:103], -v[98:99], v[100:101], 1.0
	v_fma_f64 v[100:101], v[100:101], v[102:103], v[100:101]
	v_div_scale_f64 v[102:103], vcc, v[117:118], v[119:120], v[117:118]
	v_fma_f64 v[104:105], -v[98:99], v[100:101], 1.0
	v_fma_f64 v[100:101], v[100:101], v[104:105], v[100:101]
	v_mul_f64 v[104:105], v[102:103], v[100:101]
	v_fma_f64 v[98:99], -v[98:99], v[104:105], v[102:103]
	v_div_fmas_f64 v[98:99], v[98:99], v[100:101], v[104:105]
	v_div_fixup_f64 v[98:99], v[98:99], v[119:120], v[117:118]
	v_fma_f64 v[100:101], v[117:118], v[98:99], v[119:120]
	v_div_scale_f64 v[102:103], s[20:21], v[100:101], v[100:101], 1.0
	v_div_scale_f64 v[108:109], vcc, 1.0, v[100:101], 1.0
	v_rcp_f64_e32 v[104:105], v[102:103]
	v_fma_f64 v[106:107], -v[102:103], v[104:105], 1.0
	v_fma_f64 v[104:105], v[104:105], v[106:107], v[104:105]
	v_fma_f64 v[106:107], -v[102:103], v[104:105], 1.0
	v_fma_f64 v[104:105], v[104:105], v[106:107], v[104:105]
	v_mul_f64 v[106:107], v[108:109], v[104:105]
	v_fma_f64 v[102:103], -v[102:103], v[106:107], v[108:109]
	v_div_fmas_f64 v[102:103], v[102:103], v[104:105], v[106:107]
	v_div_fixup_f64 v[119:120], v[102:103], v[100:101], 1.0
	v_mul_f64 v[117:118], v[98:99], v[119:120]
	v_xor_b32_e32 v120, 0x80000000, v120
.LBB86_427:
	s_andn2_saveexec_b64 s[18:19], s[18:19]
	s_cbranch_execz .LBB86_429
; %bb.428:
	v_div_scale_f64 v[98:99], s[20:21], v[117:118], v[117:118], v[119:120]
	v_rcp_f64_e32 v[100:101], v[98:99]
	v_fma_f64 v[102:103], -v[98:99], v[100:101], 1.0
	v_fma_f64 v[100:101], v[100:101], v[102:103], v[100:101]
	v_div_scale_f64 v[102:103], vcc, v[119:120], v[117:118], v[119:120]
	v_fma_f64 v[104:105], -v[98:99], v[100:101], 1.0
	v_fma_f64 v[100:101], v[100:101], v[104:105], v[100:101]
	v_mul_f64 v[104:105], v[102:103], v[100:101]
	v_fma_f64 v[98:99], -v[98:99], v[104:105], v[102:103]
	v_div_fmas_f64 v[98:99], v[98:99], v[100:101], v[104:105]
	v_div_fixup_f64 v[98:99], v[98:99], v[117:118], v[119:120]
	v_fma_f64 v[100:101], v[119:120], v[98:99], v[117:118]
	v_div_scale_f64 v[102:103], s[20:21], v[100:101], v[100:101], 1.0
	v_div_scale_f64 v[108:109], vcc, 1.0, v[100:101], 1.0
	v_rcp_f64_e32 v[104:105], v[102:103]
	v_fma_f64 v[106:107], -v[102:103], v[104:105], 1.0
	v_fma_f64 v[104:105], v[104:105], v[106:107], v[104:105]
	v_fma_f64 v[106:107], -v[102:103], v[104:105], 1.0
	v_fma_f64 v[104:105], v[104:105], v[106:107], v[104:105]
	v_mul_f64 v[106:107], v[108:109], v[104:105]
	v_fma_f64 v[102:103], -v[102:103], v[106:107], v[108:109]
	v_div_fmas_f64 v[102:103], v[102:103], v[104:105], v[106:107]
	v_div_fixup_f64 v[117:118], v[102:103], v[100:101], 1.0
	v_mul_f64 v[119:120], v[98:99], -v[117:118]
.LBB86_429:
	s_or_b64 exec, exec, s[18:19]
.LBB86_430:
	s_or_b64 exec, exec, s[0:1]
	v_cmp_ne_u32_e32 vcc, v96, v97
	s_and_saveexec_b64 s[0:1], vcc
	s_xor_b64 s[0:1], exec, s[0:1]
	s_cbranch_execz .LBB86_436
; %bb.431:
	v_cmp_eq_u32_e32 vcc, 20, v96
	s_and_saveexec_b64 s[18:19], vcc
	s_cbranch_execz .LBB86_435
; %bb.432:
	v_cmp_ne_u32_e32 vcc, 20, v97
	s_xor_b64 s[20:21], s[6:7], -1
	s_and_b64 s[22:23], s[20:21], vcc
	s_and_saveexec_b64 s[20:21], s[22:23]
	s_cbranch_execz .LBB86_434
; %bb.433:
	v_ashrrev_i32_e32 v98, 31, v97
	v_lshlrev_b64 v[98:99], 2, v[97:98]
	v_add_co_u32_e32 v98, vcc, v91, v98
	v_addc_co_u32_e32 v99, vcc, v92, v99, vcc
	global_load_dword v0, v[98:99], off
	global_load_dword v96, v[91:92], off offset:80
	s_waitcnt vmcnt(1)
	global_store_dword v[91:92], v0, off offset:80
	s_waitcnt vmcnt(1)
	global_store_dword v[98:99], v96, off
.LBB86_434:
	s_or_b64 exec, exec, s[20:21]
	v_mov_b32_e32 v96, v97
	v_mov_b32_e32 v0, v97
.LBB86_435:
	s_or_b64 exec, exec, s[18:19]
.LBB86_436:
	s_andn2_saveexec_b64 s[0:1], s[0:1]
	s_cbranch_execz .LBB86_438
; %bb.437:
	v_mov_b32_e32 v96, 20
	ds_write2_b64 v94, v[85:86], v[87:88] offset0:42 offset1:43
	ds_write2_b64 v94, v[81:82], v[83:84] offset0:44 offset1:45
	;; [unrolled: 1-line block ×23, first 2 shown]
.LBB86_438:
	s_or_b64 exec, exec, s[0:1]
	v_cmp_lt_i32_e32 vcc, 20, v96
	s_waitcnt vmcnt(0) lgkmcnt(0)
	s_barrier
	s_and_saveexec_b64 s[0:1], vcc
	s_cbranch_execz .LBB86_440
; %bb.439:
	buffer_load_dword v99, off, s[24:27], 0 ; 4-byte Folded Reload
	buffer_load_dword v100, off, s[24:27], 0 offset:4 ; 4-byte Folded Reload
	buffer_load_dword v101, off, s[24:27], 0 offset:8 ; 4-byte Folded Reload
	;; [unrolled: 1-line block ×3, first 2 shown]
	v_mov_b32_e32 v89, v91
	v_mov_b32_e32 v90, v92
	s_waitcnt vmcnt(0)
	v_mul_f64 v[91:92], v[117:118], v[101:102]
	v_mul_f64 v[97:98], v[119:120], v[101:102]
	v_fma_f64 v[101:102], v[119:120], v[99:100], v[91:92]
	v_fma_f64 v[109:110], v[117:118], v[99:100], -v[97:98]
	ds_read2_b64 v[97:100], v94 offset0:42 offset1:43
	v_mov_b32_e32 v92, v90
	v_mov_b32_e32 v91, v89
	s_waitcnt lgkmcnt(0)
	v_mul_f64 v[89:90], v[99:100], v[101:102]
	v_fma_f64 v[89:90], v[97:98], v[109:110], -v[89:90]
	v_mul_f64 v[97:98], v[97:98], v[101:102]
	v_add_f64 v[85:86], v[85:86], -v[89:90]
	v_fma_f64 v[97:98], v[99:100], v[109:110], v[97:98]
	v_add_f64 v[87:88], v[87:88], -v[97:98]
	ds_read2_b64 v[97:100], v94 offset0:44 offset1:45
	s_waitcnt lgkmcnt(0)
	v_mul_f64 v[89:90], v[99:100], v[101:102]
	v_fma_f64 v[89:90], v[97:98], v[109:110], -v[89:90]
	v_mul_f64 v[97:98], v[97:98], v[101:102]
	v_add_f64 v[81:82], v[81:82], -v[89:90]
	v_fma_f64 v[97:98], v[99:100], v[109:110], v[97:98]
	v_add_f64 v[83:84], v[83:84], -v[97:98]
	ds_read2_b64 v[97:100], v94 offset0:46 offset1:47
	;; [unrolled: 8-line block ×22, first 2 shown]
	s_waitcnt lgkmcnt(0)
	v_mul_f64 v[89:90], v[99:100], v[101:102]
	v_fma_f64 v[89:90], v[97:98], v[109:110], -v[89:90]
	v_mul_f64 v[97:98], v[97:98], v[101:102]
	v_add_f64 v[121:122], v[121:122], -v[89:90]
	v_fma_f64 v[97:98], v[99:100], v[109:110], v[97:98]
	v_mov_b32_e32 v99, v109
	v_mov_b32_e32 v100, v110
	buffer_store_dword v99, off, s[24:27], 0 ; 4-byte Folded Spill
	s_nop 0
	buffer_store_dword v100, off, s[24:27], 0 offset:4 ; 4-byte Folded Spill
	buffer_store_dword v101, off, s[24:27], 0 offset:8 ; 4-byte Folded Spill
	;; [unrolled: 1-line block ×3, first 2 shown]
	v_add_f64 v[123:124], v[123:124], -v[97:98]
.LBB86_440:
	s_or_b64 exec, exec, s[0:1]
	v_lshl_add_u32 v97, v96, 4, v94
	s_waitcnt vmcnt(0)
	s_barrier
	ds_write2_b64 v97, v[85:86], v[87:88] offset1:1
	s_waitcnt lgkmcnt(0)
	s_barrier
	ds_read2_b64 v[117:120], v94 offset0:42 offset1:43
	s_cmp_lt_i32 s3, 23
	v_mov_b32_e32 v97, 21
	s_cbranch_scc1 .LBB86_443
; %bb.441:
	v_add_u32_e32 v98, 0x160, v94
	s_mov_b32 s0, 22
	v_mov_b32_e32 v97, 21
.LBB86_442:                             ; =>This Inner Loop Header: Depth=1
	s_waitcnt lgkmcnt(0)
	v_cmp_gt_f64_e32 vcc, 0, v[117:118]
	v_xor_b32_e32 v103, 0x80000000, v118
	ds_read2_b64 v[99:102], v98 offset1:1
	v_xor_b32_e32 v105, 0x80000000, v120
	v_add_u32_e32 v98, 16, v98
	s_waitcnt lgkmcnt(0)
	v_xor_b32_e32 v107, 0x80000000, v102
	v_cndmask_b32_e32 v104, v118, v103, vcc
	v_cmp_gt_f64_e32 vcc, 0, v[119:120]
	v_mov_b32_e32 v103, v117
	v_cndmask_b32_e32 v106, v120, v105, vcc
	v_cmp_gt_f64_e32 vcc, 0, v[99:100]
	v_mov_b32_e32 v105, v119
	v_add_f64 v[103:104], v[103:104], v[105:106]
	v_xor_b32_e32 v105, 0x80000000, v100
	v_cndmask_b32_e32 v106, v100, v105, vcc
	v_cmp_gt_f64_e32 vcc, 0, v[101:102]
	v_mov_b32_e32 v105, v99
	v_cndmask_b32_e32 v108, v102, v107, vcc
	v_mov_b32_e32 v107, v101
	v_add_f64 v[105:106], v[105:106], v[107:108]
	v_cmp_lt_f64_e32 vcc, v[103:104], v[105:106]
	v_cndmask_b32_e32 v117, v117, v99, vcc
	v_mov_b32_e32 v99, s0
	s_add_i32 s0, s0, 1
	v_cndmask_b32_e32 v118, v118, v100, vcc
	v_cndmask_b32_e32 v120, v120, v102, vcc
	;; [unrolled: 1-line block ×4, first 2 shown]
	s_cmp_lg_u32 s3, s0
	s_cbranch_scc1 .LBB86_442
.LBB86_443:
	s_waitcnt lgkmcnt(0)
	v_cmp_eq_f64_e32 vcc, 0, v[117:118]
	v_cmp_eq_f64_e64 s[0:1], 0, v[119:120]
	s_and_b64 s[0:1], vcc, s[0:1]
	s_and_saveexec_b64 s[18:19], s[0:1]
	s_xor_b64 s[0:1], exec, s[18:19]
; %bb.444:
	v_cmp_ne_u32_e32 vcc, 0, v95
	v_cndmask_b32_e32 v95, 22, v95, vcc
; %bb.445:
	s_andn2_saveexec_b64 s[0:1], s[0:1]
	s_cbranch_execz .LBB86_451
; %bb.446:
	v_cmp_ngt_f64_e64 s[18:19], |v[117:118]|, |v[119:120]|
	s_and_saveexec_b64 s[20:21], s[18:19]
	s_xor_b64 s[18:19], exec, s[20:21]
	s_cbranch_execz .LBB86_448
; %bb.447:
	v_div_scale_f64 v[98:99], s[20:21], v[119:120], v[119:120], v[117:118]
	v_rcp_f64_e32 v[100:101], v[98:99]
	v_fma_f64 v[102:103], -v[98:99], v[100:101], 1.0
	v_fma_f64 v[100:101], v[100:101], v[102:103], v[100:101]
	v_div_scale_f64 v[102:103], vcc, v[117:118], v[119:120], v[117:118]
	v_fma_f64 v[104:105], -v[98:99], v[100:101], 1.0
	v_fma_f64 v[100:101], v[100:101], v[104:105], v[100:101]
	v_mul_f64 v[104:105], v[102:103], v[100:101]
	v_fma_f64 v[98:99], -v[98:99], v[104:105], v[102:103]
	v_div_fmas_f64 v[98:99], v[98:99], v[100:101], v[104:105]
	v_div_fixup_f64 v[98:99], v[98:99], v[119:120], v[117:118]
	v_fma_f64 v[100:101], v[117:118], v[98:99], v[119:120]
	v_div_scale_f64 v[102:103], s[20:21], v[100:101], v[100:101], 1.0
	v_div_scale_f64 v[108:109], vcc, 1.0, v[100:101], 1.0
	v_rcp_f64_e32 v[104:105], v[102:103]
	v_fma_f64 v[106:107], -v[102:103], v[104:105], 1.0
	v_fma_f64 v[104:105], v[104:105], v[106:107], v[104:105]
	v_fma_f64 v[106:107], -v[102:103], v[104:105], 1.0
	v_fma_f64 v[104:105], v[104:105], v[106:107], v[104:105]
	v_mul_f64 v[106:107], v[108:109], v[104:105]
	v_fma_f64 v[102:103], -v[102:103], v[106:107], v[108:109]
	v_div_fmas_f64 v[102:103], v[102:103], v[104:105], v[106:107]
	v_div_fixup_f64 v[119:120], v[102:103], v[100:101], 1.0
	v_mul_f64 v[117:118], v[98:99], v[119:120]
	v_xor_b32_e32 v120, 0x80000000, v120
.LBB86_448:
	s_andn2_saveexec_b64 s[18:19], s[18:19]
	s_cbranch_execz .LBB86_450
; %bb.449:
	v_div_scale_f64 v[98:99], s[20:21], v[117:118], v[117:118], v[119:120]
	v_rcp_f64_e32 v[100:101], v[98:99]
	v_fma_f64 v[102:103], -v[98:99], v[100:101], 1.0
	v_fma_f64 v[100:101], v[100:101], v[102:103], v[100:101]
	v_div_scale_f64 v[102:103], vcc, v[119:120], v[117:118], v[119:120]
	v_fma_f64 v[104:105], -v[98:99], v[100:101], 1.0
	v_fma_f64 v[100:101], v[100:101], v[104:105], v[100:101]
	v_mul_f64 v[104:105], v[102:103], v[100:101]
	v_fma_f64 v[98:99], -v[98:99], v[104:105], v[102:103]
	v_div_fmas_f64 v[98:99], v[98:99], v[100:101], v[104:105]
	v_div_fixup_f64 v[98:99], v[98:99], v[117:118], v[119:120]
	v_fma_f64 v[100:101], v[119:120], v[98:99], v[117:118]
	v_div_scale_f64 v[102:103], s[20:21], v[100:101], v[100:101], 1.0
	v_div_scale_f64 v[108:109], vcc, 1.0, v[100:101], 1.0
	v_rcp_f64_e32 v[104:105], v[102:103]
	v_fma_f64 v[106:107], -v[102:103], v[104:105], 1.0
	v_fma_f64 v[104:105], v[104:105], v[106:107], v[104:105]
	v_fma_f64 v[106:107], -v[102:103], v[104:105], 1.0
	v_fma_f64 v[104:105], v[104:105], v[106:107], v[104:105]
	v_mul_f64 v[106:107], v[108:109], v[104:105]
	v_fma_f64 v[102:103], -v[102:103], v[106:107], v[108:109]
	v_div_fmas_f64 v[102:103], v[102:103], v[104:105], v[106:107]
	v_div_fixup_f64 v[117:118], v[102:103], v[100:101], 1.0
	v_mul_f64 v[119:120], v[98:99], -v[117:118]
.LBB86_450:
	s_or_b64 exec, exec, s[18:19]
.LBB86_451:
	s_or_b64 exec, exec, s[0:1]
	v_cmp_ne_u32_e32 vcc, v96, v97
	s_and_saveexec_b64 s[0:1], vcc
	s_xor_b64 s[0:1], exec, s[0:1]
	s_cbranch_execz .LBB86_457
; %bb.452:
	v_cmp_eq_u32_e32 vcc, 21, v96
	s_and_saveexec_b64 s[18:19], vcc
	s_cbranch_execz .LBB86_456
; %bb.453:
	v_cmp_ne_u32_e32 vcc, 21, v97
	s_xor_b64 s[20:21], s[6:7], -1
	s_and_b64 s[22:23], s[20:21], vcc
	s_and_saveexec_b64 s[20:21], s[22:23]
	s_cbranch_execz .LBB86_455
; %bb.454:
	v_ashrrev_i32_e32 v98, 31, v97
	v_lshlrev_b64 v[98:99], 2, v[97:98]
	v_add_co_u32_e32 v98, vcc, v91, v98
	v_addc_co_u32_e32 v99, vcc, v92, v99, vcc
	global_load_dword v0, v[98:99], off
	global_load_dword v96, v[91:92], off offset:84
	s_waitcnt vmcnt(1)
	global_store_dword v[91:92], v0, off offset:84
	s_waitcnt vmcnt(1)
	global_store_dword v[98:99], v96, off
.LBB86_455:
	s_or_b64 exec, exec, s[20:21]
	v_mov_b32_e32 v96, v97
	v_mov_b32_e32 v0, v97
.LBB86_456:
	s_or_b64 exec, exec, s[18:19]
.LBB86_457:
	s_andn2_saveexec_b64 s[0:1], s[0:1]
	s_cbranch_execz .LBB86_459
; %bb.458:
	v_mov_b32_e32 v96, 21
	ds_write2_b64 v94, v[81:82], v[83:84] offset0:44 offset1:45
	ds_write2_b64 v94, v[77:78], v[79:80] offset0:46 offset1:47
	ds_write2_b64 v94, v[73:74], v[75:76] offset0:48 offset1:49
	ds_write2_b64 v94, v[69:70], v[71:72] offset0:50 offset1:51
	ds_write2_b64 v94, v[65:66], v[67:68] offset0:52 offset1:53
	ds_write2_b64 v94, v[61:62], v[63:64] offset0:54 offset1:55
	ds_write2_b64 v94, v[57:58], v[59:60] offset0:56 offset1:57
	ds_write2_b64 v94, v[53:54], v[55:56] offset0:58 offset1:59
	ds_write2_b64 v94, v[49:50], v[51:52] offset0:60 offset1:61
	ds_write2_b64 v94, v[45:46], v[47:48] offset0:62 offset1:63
	ds_write2_b64 v94, v[41:42], v[43:44] offset0:64 offset1:65
	ds_write2_b64 v94, v[37:38], v[39:40] offset0:66 offset1:67
	ds_write2_b64 v94, v[33:34], v[35:36] offset0:68 offset1:69
	ds_write2_b64 v94, v[29:30], v[31:32] offset0:70 offset1:71
	ds_write2_b64 v94, v[25:26], v[27:28] offset0:72 offset1:73
	ds_write2_b64 v94, v[21:22], v[23:24] offset0:74 offset1:75
	ds_write2_b64 v94, v[17:18], v[19:20] offset0:76 offset1:77
	ds_write2_b64 v94, v[13:14], v[15:16] offset0:78 offset1:79
	ds_write2_b64 v94, v[9:10], v[11:12] offset0:80 offset1:81
	ds_write2_b64 v94, v[5:6], v[7:8] offset0:82 offset1:83
	ds_write2_b64 v94, v[1:2], v[3:4] offset0:84 offset1:85
	ds_write2_b64 v94, v[121:122], v[123:124] offset0:86 offset1:87
.LBB86_459:
	s_or_b64 exec, exec, s[0:1]
	v_cmp_lt_i32_e32 vcc, 21, v96
	s_waitcnt vmcnt(0) lgkmcnt(0)
	s_barrier
	s_and_saveexec_b64 s[0:1], vcc
	s_cbranch_execz .LBB86_461
; %bb.460:
	v_mul_f64 v[97:98], v[119:120], v[87:88]
	v_mul_f64 v[87:88], v[117:118], v[87:88]
	v_fma_f64 v[125:126], v[117:118], v[85:86], -v[97:98]
	v_fma_f64 v[87:88], v[119:120], v[85:86], v[87:88]
	ds_read2_b64 v[97:100], v94 offset0:44 offset1:45
	s_waitcnt lgkmcnt(0)
	v_mul_f64 v[85:86], v[99:100], v[87:88]
	v_fma_f64 v[85:86], v[97:98], v[125:126], -v[85:86]
	v_mul_f64 v[97:98], v[97:98], v[87:88]
	v_add_f64 v[81:82], v[81:82], -v[85:86]
	v_fma_f64 v[97:98], v[99:100], v[125:126], v[97:98]
	v_add_f64 v[83:84], v[83:84], -v[97:98]
	ds_read2_b64 v[97:100], v94 offset0:46 offset1:47
	s_waitcnt lgkmcnt(0)
	v_mul_f64 v[85:86], v[99:100], v[87:88]
	v_fma_f64 v[85:86], v[97:98], v[125:126], -v[85:86]
	v_mul_f64 v[97:98], v[97:98], v[87:88]
	v_add_f64 v[77:78], v[77:78], -v[85:86]
	v_fma_f64 v[97:98], v[99:100], v[125:126], v[97:98]
	v_add_f64 v[79:80], v[79:80], -v[97:98]
	;; [unrolled: 8-line block ×21, first 2 shown]
	ds_read2_b64 v[97:100], v94 offset0:86 offset1:87
	s_waitcnt lgkmcnt(0)
	v_mul_f64 v[85:86], v[99:100], v[87:88]
	v_fma_f64 v[85:86], v[97:98], v[125:126], -v[85:86]
	v_mul_f64 v[97:98], v[97:98], v[87:88]
	v_add_f64 v[121:122], v[121:122], -v[85:86]
	v_fma_f64 v[97:98], v[99:100], v[125:126], v[97:98]
	v_mov_b32_e32 v85, v125
	v_mov_b32_e32 v86, v126
	v_add_f64 v[123:124], v[123:124], -v[97:98]
.LBB86_461:
	s_or_b64 exec, exec, s[0:1]
	v_lshl_add_u32 v97, v96, 4, v94
	s_barrier
	ds_write2_b64 v97, v[81:82], v[83:84] offset1:1
	s_waitcnt lgkmcnt(0)
	s_barrier
	ds_read2_b64 v[117:120], v94 offset0:44 offset1:45
	s_cmp_lt_i32 s3, 24
	v_mov_b32_e32 v97, 22
	s_cbranch_scc1 .LBB86_464
; %bb.462:
	v_add_u32_e32 v98, 0x170, v94
	s_mov_b32 s0, 23
	v_mov_b32_e32 v97, 22
.LBB86_463:                             ; =>This Inner Loop Header: Depth=1
	s_waitcnt lgkmcnt(0)
	v_cmp_gt_f64_e32 vcc, 0, v[117:118]
	v_xor_b32_e32 v103, 0x80000000, v118
	ds_read2_b64 v[99:102], v98 offset1:1
	v_xor_b32_e32 v105, 0x80000000, v120
	v_add_u32_e32 v98, 16, v98
	s_waitcnt lgkmcnt(0)
	v_xor_b32_e32 v107, 0x80000000, v102
	v_cndmask_b32_e32 v104, v118, v103, vcc
	v_cmp_gt_f64_e32 vcc, 0, v[119:120]
	v_mov_b32_e32 v103, v117
	v_cndmask_b32_e32 v106, v120, v105, vcc
	v_cmp_gt_f64_e32 vcc, 0, v[99:100]
	v_mov_b32_e32 v105, v119
	v_add_f64 v[103:104], v[103:104], v[105:106]
	v_xor_b32_e32 v105, 0x80000000, v100
	v_cndmask_b32_e32 v106, v100, v105, vcc
	v_cmp_gt_f64_e32 vcc, 0, v[101:102]
	v_mov_b32_e32 v105, v99
	v_cndmask_b32_e32 v108, v102, v107, vcc
	v_mov_b32_e32 v107, v101
	v_add_f64 v[105:106], v[105:106], v[107:108]
	v_cmp_lt_f64_e32 vcc, v[103:104], v[105:106]
	v_cndmask_b32_e32 v117, v117, v99, vcc
	v_mov_b32_e32 v99, s0
	s_add_i32 s0, s0, 1
	v_cndmask_b32_e32 v118, v118, v100, vcc
	v_cndmask_b32_e32 v120, v120, v102, vcc
	v_cndmask_b32_e32 v119, v119, v101, vcc
	v_cndmask_b32_e32 v97, v97, v99, vcc
	s_cmp_lg_u32 s3, s0
	s_cbranch_scc1 .LBB86_463
.LBB86_464:
	s_waitcnt lgkmcnt(0)
	v_cmp_eq_f64_e32 vcc, 0, v[117:118]
	v_cmp_eq_f64_e64 s[0:1], 0, v[119:120]
	s_and_b64 s[0:1], vcc, s[0:1]
	s_and_saveexec_b64 s[18:19], s[0:1]
	s_xor_b64 s[0:1], exec, s[18:19]
; %bb.465:
	v_cmp_ne_u32_e32 vcc, 0, v95
	v_cndmask_b32_e32 v95, 23, v95, vcc
; %bb.466:
	s_andn2_saveexec_b64 s[0:1], s[0:1]
	s_cbranch_execz .LBB86_472
; %bb.467:
	v_cmp_ngt_f64_e64 s[18:19], |v[117:118]|, |v[119:120]|
	s_and_saveexec_b64 s[20:21], s[18:19]
	s_xor_b64 s[18:19], exec, s[20:21]
	s_cbranch_execz .LBB86_469
; %bb.468:
	v_div_scale_f64 v[98:99], s[20:21], v[119:120], v[119:120], v[117:118]
	v_rcp_f64_e32 v[100:101], v[98:99]
	v_fma_f64 v[102:103], -v[98:99], v[100:101], 1.0
	v_fma_f64 v[100:101], v[100:101], v[102:103], v[100:101]
	v_div_scale_f64 v[102:103], vcc, v[117:118], v[119:120], v[117:118]
	v_fma_f64 v[104:105], -v[98:99], v[100:101], 1.0
	v_fma_f64 v[100:101], v[100:101], v[104:105], v[100:101]
	v_mul_f64 v[104:105], v[102:103], v[100:101]
	v_fma_f64 v[98:99], -v[98:99], v[104:105], v[102:103]
	v_div_fmas_f64 v[98:99], v[98:99], v[100:101], v[104:105]
	v_div_fixup_f64 v[98:99], v[98:99], v[119:120], v[117:118]
	v_fma_f64 v[100:101], v[117:118], v[98:99], v[119:120]
	v_div_scale_f64 v[102:103], s[20:21], v[100:101], v[100:101], 1.0
	v_div_scale_f64 v[108:109], vcc, 1.0, v[100:101], 1.0
	v_rcp_f64_e32 v[104:105], v[102:103]
	v_fma_f64 v[106:107], -v[102:103], v[104:105], 1.0
	v_fma_f64 v[104:105], v[104:105], v[106:107], v[104:105]
	v_fma_f64 v[106:107], -v[102:103], v[104:105], 1.0
	v_fma_f64 v[104:105], v[104:105], v[106:107], v[104:105]
	v_mul_f64 v[106:107], v[108:109], v[104:105]
	v_fma_f64 v[102:103], -v[102:103], v[106:107], v[108:109]
	v_div_fmas_f64 v[102:103], v[102:103], v[104:105], v[106:107]
	v_div_fixup_f64 v[119:120], v[102:103], v[100:101], 1.0
	v_mul_f64 v[117:118], v[98:99], v[119:120]
	v_xor_b32_e32 v120, 0x80000000, v120
.LBB86_469:
	s_andn2_saveexec_b64 s[18:19], s[18:19]
	s_cbranch_execz .LBB86_471
; %bb.470:
	v_div_scale_f64 v[98:99], s[20:21], v[117:118], v[117:118], v[119:120]
	v_rcp_f64_e32 v[100:101], v[98:99]
	v_fma_f64 v[102:103], -v[98:99], v[100:101], 1.0
	v_fma_f64 v[100:101], v[100:101], v[102:103], v[100:101]
	v_div_scale_f64 v[102:103], vcc, v[119:120], v[117:118], v[119:120]
	v_fma_f64 v[104:105], -v[98:99], v[100:101], 1.0
	v_fma_f64 v[100:101], v[100:101], v[104:105], v[100:101]
	v_mul_f64 v[104:105], v[102:103], v[100:101]
	v_fma_f64 v[98:99], -v[98:99], v[104:105], v[102:103]
	v_div_fmas_f64 v[98:99], v[98:99], v[100:101], v[104:105]
	v_div_fixup_f64 v[98:99], v[98:99], v[117:118], v[119:120]
	v_fma_f64 v[100:101], v[119:120], v[98:99], v[117:118]
	v_div_scale_f64 v[102:103], s[20:21], v[100:101], v[100:101], 1.0
	v_div_scale_f64 v[108:109], vcc, 1.0, v[100:101], 1.0
	v_rcp_f64_e32 v[104:105], v[102:103]
	v_fma_f64 v[106:107], -v[102:103], v[104:105], 1.0
	v_fma_f64 v[104:105], v[104:105], v[106:107], v[104:105]
	v_fma_f64 v[106:107], -v[102:103], v[104:105], 1.0
	v_fma_f64 v[104:105], v[104:105], v[106:107], v[104:105]
	v_mul_f64 v[106:107], v[108:109], v[104:105]
	v_fma_f64 v[102:103], -v[102:103], v[106:107], v[108:109]
	v_div_fmas_f64 v[102:103], v[102:103], v[104:105], v[106:107]
	v_div_fixup_f64 v[117:118], v[102:103], v[100:101], 1.0
	v_mul_f64 v[119:120], v[98:99], -v[117:118]
.LBB86_471:
	s_or_b64 exec, exec, s[18:19]
.LBB86_472:
	s_or_b64 exec, exec, s[0:1]
	v_cmp_ne_u32_e32 vcc, v96, v97
	s_and_saveexec_b64 s[0:1], vcc
	s_xor_b64 s[0:1], exec, s[0:1]
	s_cbranch_execz .LBB86_478
; %bb.473:
	v_cmp_eq_u32_e32 vcc, 22, v96
	s_and_saveexec_b64 s[18:19], vcc
	s_cbranch_execz .LBB86_477
; %bb.474:
	v_cmp_ne_u32_e32 vcc, 22, v97
	s_xor_b64 s[20:21], s[6:7], -1
	s_and_b64 s[22:23], s[20:21], vcc
	s_and_saveexec_b64 s[20:21], s[22:23]
	s_cbranch_execz .LBB86_476
; %bb.475:
	v_ashrrev_i32_e32 v98, 31, v97
	v_lshlrev_b64 v[98:99], 2, v[97:98]
	v_add_co_u32_e32 v98, vcc, v91, v98
	v_addc_co_u32_e32 v99, vcc, v92, v99, vcc
	global_load_dword v0, v[98:99], off
	global_load_dword v96, v[91:92], off offset:88
	s_waitcnt vmcnt(1)
	global_store_dword v[91:92], v0, off offset:88
	s_waitcnt vmcnt(1)
	global_store_dword v[98:99], v96, off
.LBB86_476:
	s_or_b64 exec, exec, s[20:21]
	v_mov_b32_e32 v96, v97
	v_mov_b32_e32 v0, v97
.LBB86_477:
	s_or_b64 exec, exec, s[18:19]
.LBB86_478:
	s_andn2_saveexec_b64 s[0:1], s[0:1]
	s_cbranch_execz .LBB86_480
; %bb.479:
	v_mov_b32_e32 v96, 22
	ds_write2_b64 v94, v[77:78], v[79:80] offset0:46 offset1:47
	ds_write2_b64 v94, v[73:74], v[75:76] offset0:48 offset1:49
	ds_write2_b64 v94, v[69:70], v[71:72] offset0:50 offset1:51
	ds_write2_b64 v94, v[65:66], v[67:68] offset0:52 offset1:53
	ds_write2_b64 v94, v[61:62], v[63:64] offset0:54 offset1:55
	ds_write2_b64 v94, v[57:58], v[59:60] offset0:56 offset1:57
	ds_write2_b64 v94, v[53:54], v[55:56] offset0:58 offset1:59
	ds_write2_b64 v94, v[49:50], v[51:52] offset0:60 offset1:61
	ds_write2_b64 v94, v[45:46], v[47:48] offset0:62 offset1:63
	ds_write2_b64 v94, v[41:42], v[43:44] offset0:64 offset1:65
	ds_write2_b64 v94, v[37:38], v[39:40] offset0:66 offset1:67
	ds_write2_b64 v94, v[33:34], v[35:36] offset0:68 offset1:69
	ds_write2_b64 v94, v[29:30], v[31:32] offset0:70 offset1:71
	ds_write2_b64 v94, v[25:26], v[27:28] offset0:72 offset1:73
	ds_write2_b64 v94, v[21:22], v[23:24] offset0:74 offset1:75
	ds_write2_b64 v94, v[17:18], v[19:20] offset0:76 offset1:77
	ds_write2_b64 v94, v[13:14], v[15:16] offset0:78 offset1:79
	ds_write2_b64 v94, v[9:10], v[11:12] offset0:80 offset1:81
	ds_write2_b64 v94, v[5:6], v[7:8] offset0:82 offset1:83
	ds_write2_b64 v94, v[1:2], v[3:4] offset0:84 offset1:85
	ds_write2_b64 v94, v[121:122], v[123:124] offset0:86 offset1:87
.LBB86_480:
	s_or_b64 exec, exec, s[0:1]
	v_cmp_lt_i32_e32 vcc, 22, v96
	s_waitcnt vmcnt(0) lgkmcnt(0)
	s_barrier
	s_and_saveexec_b64 s[0:1], vcc
	s_cbranch_execz .LBB86_482
; %bb.481:
	v_mul_f64 v[97:98], v[119:120], v[83:84]
	v_mul_f64 v[83:84], v[117:118], v[83:84]
	v_fma_f64 v[125:126], v[117:118], v[81:82], -v[97:98]
	v_fma_f64 v[83:84], v[119:120], v[81:82], v[83:84]
	ds_read2_b64 v[97:100], v94 offset0:46 offset1:47
	s_waitcnt lgkmcnt(0)
	v_mul_f64 v[81:82], v[99:100], v[83:84]
	v_fma_f64 v[81:82], v[97:98], v[125:126], -v[81:82]
	v_mul_f64 v[97:98], v[97:98], v[83:84]
	v_add_f64 v[77:78], v[77:78], -v[81:82]
	v_fma_f64 v[97:98], v[99:100], v[125:126], v[97:98]
	v_add_f64 v[79:80], v[79:80], -v[97:98]
	ds_read2_b64 v[97:100], v94 offset0:48 offset1:49
	s_waitcnt lgkmcnt(0)
	v_mul_f64 v[81:82], v[99:100], v[83:84]
	v_fma_f64 v[81:82], v[97:98], v[125:126], -v[81:82]
	v_mul_f64 v[97:98], v[97:98], v[83:84]
	v_add_f64 v[73:74], v[73:74], -v[81:82]
	v_fma_f64 v[97:98], v[99:100], v[125:126], v[97:98]
	v_add_f64 v[75:76], v[75:76], -v[97:98]
	;; [unrolled: 8-line block ×20, first 2 shown]
	ds_read2_b64 v[97:100], v94 offset0:86 offset1:87
	s_waitcnt lgkmcnt(0)
	v_mul_f64 v[81:82], v[99:100], v[83:84]
	v_fma_f64 v[81:82], v[97:98], v[125:126], -v[81:82]
	v_mul_f64 v[97:98], v[97:98], v[83:84]
	v_add_f64 v[121:122], v[121:122], -v[81:82]
	v_fma_f64 v[97:98], v[99:100], v[125:126], v[97:98]
	v_mov_b32_e32 v81, v125
	v_mov_b32_e32 v82, v126
	v_add_f64 v[123:124], v[123:124], -v[97:98]
.LBB86_482:
	s_or_b64 exec, exec, s[0:1]
	v_lshl_add_u32 v97, v96, 4, v94
	s_barrier
	ds_write2_b64 v97, v[77:78], v[79:80] offset1:1
	s_waitcnt lgkmcnt(0)
	s_barrier
	ds_read2_b64 v[117:120], v94 offset0:46 offset1:47
	s_cmp_lt_i32 s3, 25
	v_mov_b32_e32 v97, 23
	s_cbranch_scc1 .LBB86_485
; %bb.483:
	v_add_u32_e32 v98, 0x180, v94
	s_mov_b32 s0, 24
	v_mov_b32_e32 v97, 23
.LBB86_484:                             ; =>This Inner Loop Header: Depth=1
	s_waitcnt lgkmcnt(0)
	v_cmp_gt_f64_e32 vcc, 0, v[117:118]
	v_xor_b32_e32 v103, 0x80000000, v118
	ds_read2_b64 v[99:102], v98 offset1:1
	v_xor_b32_e32 v105, 0x80000000, v120
	v_add_u32_e32 v98, 16, v98
	s_waitcnt lgkmcnt(0)
	v_xor_b32_e32 v107, 0x80000000, v102
	v_cndmask_b32_e32 v104, v118, v103, vcc
	v_cmp_gt_f64_e32 vcc, 0, v[119:120]
	v_mov_b32_e32 v103, v117
	v_cndmask_b32_e32 v106, v120, v105, vcc
	v_cmp_gt_f64_e32 vcc, 0, v[99:100]
	v_mov_b32_e32 v105, v119
	v_add_f64 v[103:104], v[103:104], v[105:106]
	v_xor_b32_e32 v105, 0x80000000, v100
	v_cndmask_b32_e32 v106, v100, v105, vcc
	v_cmp_gt_f64_e32 vcc, 0, v[101:102]
	v_mov_b32_e32 v105, v99
	v_cndmask_b32_e32 v108, v102, v107, vcc
	v_mov_b32_e32 v107, v101
	v_add_f64 v[105:106], v[105:106], v[107:108]
	v_cmp_lt_f64_e32 vcc, v[103:104], v[105:106]
	v_cndmask_b32_e32 v117, v117, v99, vcc
	v_mov_b32_e32 v99, s0
	s_add_i32 s0, s0, 1
	v_cndmask_b32_e32 v118, v118, v100, vcc
	v_cndmask_b32_e32 v120, v120, v102, vcc
	;; [unrolled: 1-line block ×4, first 2 shown]
	s_cmp_lg_u32 s3, s0
	s_cbranch_scc1 .LBB86_484
.LBB86_485:
	s_waitcnt lgkmcnt(0)
	v_cmp_eq_f64_e32 vcc, 0, v[117:118]
	v_cmp_eq_f64_e64 s[0:1], 0, v[119:120]
	s_and_b64 s[0:1], vcc, s[0:1]
	s_and_saveexec_b64 s[18:19], s[0:1]
	s_xor_b64 s[0:1], exec, s[18:19]
; %bb.486:
	v_cmp_ne_u32_e32 vcc, 0, v95
	v_cndmask_b32_e32 v95, 24, v95, vcc
; %bb.487:
	s_andn2_saveexec_b64 s[0:1], s[0:1]
	s_cbranch_execz .LBB86_493
; %bb.488:
	v_cmp_ngt_f64_e64 s[18:19], |v[117:118]|, |v[119:120]|
	s_and_saveexec_b64 s[20:21], s[18:19]
	s_xor_b64 s[18:19], exec, s[20:21]
	s_cbranch_execz .LBB86_490
; %bb.489:
	v_div_scale_f64 v[98:99], s[20:21], v[119:120], v[119:120], v[117:118]
	v_rcp_f64_e32 v[100:101], v[98:99]
	v_fma_f64 v[102:103], -v[98:99], v[100:101], 1.0
	v_fma_f64 v[100:101], v[100:101], v[102:103], v[100:101]
	v_div_scale_f64 v[102:103], vcc, v[117:118], v[119:120], v[117:118]
	v_fma_f64 v[104:105], -v[98:99], v[100:101], 1.0
	v_fma_f64 v[100:101], v[100:101], v[104:105], v[100:101]
	v_mul_f64 v[104:105], v[102:103], v[100:101]
	v_fma_f64 v[98:99], -v[98:99], v[104:105], v[102:103]
	v_div_fmas_f64 v[98:99], v[98:99], v[100:101], v[104:105]
	v_div_fixup_f64 v[98:99], v[98:99], v[119:120], v[117:118]
	v_fma_f64 v[100:101], v[117:118], v[98:99], v[119:120]
	v_div_scale_f64 v[102:103], s[20:21], v[100:101], v[100:101], 1.0
	v_div_scale_f64 v[108:109], vcc, 1.0, v[100:101], 1.0
	v_rcp_f64_e32 v[104:105], v[102:103]
	v_fma_f64 v[106:107], -v[102:103], v[104:105], 1.0
	v_fma_f64 v[104:105], v[104:105], v[106:107], v[104:105]
	v_fma_f64 v[106:107], -v[102:103], v[104:105], 1.0
	v_fma_f64 v[104:105], v[104:105], v[106:107], v[104:105]
	v_mul_f64 v[106:107], v[108:109], v[104:105]
	v_fma_f64 v[102:103], -v[102:103], v[106:107], v[108:109]
	v_div_fmas_f64 v[102:103], v[102:103], v[104:105], v[106:107]
	v_div_fixup_f64 v[119:120], v[102:103], v[100:101], 1.0
	v_mul_f64 v[117:118], v[98:99], v[119:120]
	v_xor_b32_e32 v120, 0x80000000, v120
.LBB86_490:
	s_andn2_saveexec_b64 s[18:19], s[18:19]
	s_cbranch_execz .LBB86_492
; %bb.491:
	v_div_scale_f64 v[98:99], s[20:21], v[117:118], v[117:118], v[119:120]
	v_rcp_f64_e32 v[100:101], v[98:99]
	v_fma_f64 v[102:103], -v[98:99], v[100:101], 1.0
	v_fma_f64 v[100:101], v[100:101], v[102:103], v[100:101]
	v_div_scale_f64 v[102:103], vcc, v[119:120], v[117:118], v[119:120]
	v_fma_f64 v[104:105], -v[98:99], v[100:101], 1.0
	v_fma_f64 v[100:101], v[100:101], v[104:105], v[100:101]
	v_mul_f64 v[104:105], v[102:103], v[100:101]
	v_fma_f64 v[98:99], -v[98:99], v[104:105], v[102:103]
	v_div_fmas_f64 v[98:99], v[98:99], v[100:101], v[104:105]
	v_div_fixup_f64 v[98:99], v[98:99], v[117:118], v[119:120]
	v_fma_f64 v[100:101], v[119:120], v[98:99], v[117:118]
	v_div_scale_f64 v[102:103], s[20:21], v[100:101], v[100:101], 1.0
	v_div_scale_f64 v[108:109], vcc, 1.0, v[100:101], 1.0
	v_rcp_f64_e32 v[104:105], v[102:103]
	v_fma_f64 v[106:107], -v[102:103], v[104:105], 1.0
	v_fma_f64 v[104:105], v[104:105], v[106:107], v[104:105]
	v_fma_f64 v[106:107], -v[102:103], v[104:105], 1.0
	v_fma_f64 v[104:105], v[104:105], v[106:107], v[104:105]
	v_mul_f64 v[106:107], v[108:109], v[104:105]
	v_fma_f64 v[102:103], -v[102:103], v[106:107], v[108:109]
	v_div_fmas_f64 v[102:103], v[102:103], v[104:105], v[106:107]
	v_div_fixup_f64 v[117:118], v[102:103], v[100:101], 1.0
	v_mul_f64 v[119:120], v[98:99], -v[117:118]
.LBB86_492:
	s_or_b64 exec, exec, s[18:19]
.LBB86_493:
	s_or_b64 exec, exec, s[0:1]
	v_cmp_ne_u32_e32 vcc, v96, v97
	s_and_saveexec_b64 s[0:1], vcc
	s_xor_b64 s[0:1], exec, s[0:1]
	s_cbranch_execz .LBB86_499
; %bb.494:
	v_cmp_eq_u32_e32 vcc, 23, v96
	s_and_saveexec_b64 s[18:19], vcc
	s_cbranch_execz .LBB86_498
; %bb.495:
	v_cmp_ne_u32_e32 vcc, 23, v97
	s_xor_b64 s[20:21], s[6:7], -1
	s_and_b64 s[22:23], s[20:21], vcc
	s_and_saveexec_b64 s[20:21], s[22:23]
	s_cbranch_execz .LBB86_497
; %bb.496:
	v_ashrrev_i32_e32 v98, 31, v97
	v_lshlrev_b64 v[98:99], 2, v[97:98]
	v_add_co_u32_e32 v98, vcc, v91, v98
	v_addc_co_u32_e32 v99, vcc, v92, v99, vcc
	global_load_dword v0, v[98:99], off
	global_load_dword v96, v[91:92], off offset:92
	s_waitcnt vmcnt(1)
	global_store_dword v[91:92], v0, off offset:92
	s_waitcnt vmcnt(1)
	global_store_dword v[98:99], v96, off
.LBB86_497:
	s_or_b64 exec, exec, s[20:21]
	v_mov_b32_e32 v96, v97
	v_mov_b32_e32 v0, v97
.LBB86_498:
	s_or_b64 exec, exec, s[18:19]
.LBB86_499:
	s_andn2_saveexec_b64 s[0:1], s[0:1]
	s_cbranch_execz .LBB86_501
; %bb.500:
	v_mov_b32_e32 v96, 23
	ds_write2_b64 v94, v[73:74], v[75:76] offset0:48 offset1:49
	ds_write2_b64 v94, v[69:70], v[71:72] offset0:50 offset1:51
	;; [unrolled: 1-line block ×20, first 2 shown]
.LBB86_501:
	s_or_b64 exec, exec, s[0:1]
	v_cmp_lt_i32_e32 vcc, 23, v96
	s_waitcnt vmcnt(0) lgkmcnt(0)
	s_barrier
	s_and_saveexec_b64 s[0:1], vcc
	s_cbranch_execz .LBB86_503
; %bb.502:
	v_mul_f64 v[97:98], v[119:120], v[79:80]
	v_mul_f64 v[79:80], v[117:118], v[79:80]
	v_fma_f64 v[109:110], v[117:118], v[77:78], -v[97:98]
	v_fma_f64 v[79:80], v[119:120], v[77:78], v[79:80]
	ds_read2_b64 v[97:100], v94 offset0:48 offset1:49
	s_waitcnt lgkmcnt(0)
	v_mul_f64 v[77:78], v[99:100], v[79:80]
	v_fma_f64 v[77:78], v[97:98], v[109:110], -v[77:78]
	v_mul_f64 v[97:98], v[97:98], v[79:80]
	v_add_f64 v[73:74], v[73:74], -v[77:78]
	v_fma_f64 v[97:98], v[99:100], v[109:110], v[97:98]
	v_add_f64 v[75:76], v[75:76], -v[97:98]
	ds_read2_b64 v[97:100], v94 offset0:50 offset1:51
	s_waitcnt lgkmcnt(0)
	v_mul_f64 v[77:78], v[99:100], v[79:80]
	v_fma_f64 v[77:78], v[97:98], v[109:110], -v[77:78]
	v_mul_f64 v[97:98], v[97:98], v[79:80]
	v_add_f64 v[69:70], v[69:70], -v[77:78]
	v_fma_f64 v[97:98], v[99:100], v[109:110], v[97:98]
	v_add_f64 v[71:72], v[71:72], -v[97:98]
	;; [unrolled: 8-line block ×19, first 2 shown]
	ds_read2_b64 v[97:100], v94 offset0:86 offset1:87
	s_waitcnt lgkmcnt(0)
	v_mul_f64 v[77:78], v[99:100], v[79:80]
	v_fma_f64 v[77:78], v[97:98], v[109:110], -v[77:78]
	v_mul_f64 v[97:98], v[97:98], v[79:80]
	v_add_f64 v[121:122], v[121:122], -v[77:78]
	v_fma_f64 v[97:98], v[99:100], v[109:110], v[97:98]
	v_mov_b32_e32 v77, v109
	v_mov_b32_e32 v78, v110
	v_add_f64 v[123:124], v[123:124], -v[97:98]
.LBB86_503:
	s_or_b64 exec, exec, s[0:1]
	v_lshl_add_u32 v97, v96, 4, v94
	s_barrier
	ds_write2_b64 v97, v[73:74], v[75:76] offset1:1
	s_waitcnt lgkmcnt(0)
	s_barrier
	ds_read2_b64 v[117:120], v94 offset0:48 offset1:49
	s_cmp_lt_i32 s3, 26
	v_mov_b32_e32 v97, 24
	s_cbranch_scc1 .LBB86_506
; %bb.504:
	v_add_u32_e32 v98, 0x190, v94
	s_mov_b32 s0, 25
	v_mov_b32_e32 v97, 24
.LBB86_505:                             ; =>This Inner Loop Header: Depth=1
	s_waitcnt lgkmcnt(0)
	v_cmp_gt_f64_e32 vcc, 0, v[117:118]
	v_xor_b32_e32 v103, 0x80000000, v118
	ds_read2_b64 v[99:102], v98 offset1:1
	v_xor_b32_e32 v105, 0x80000000, v120
	v_add_u32_e32 v98, 16, v98
	s_waitcnt lgkmcnt(0)
	v_xor_b32_e32 v107, 0x80000000, v102
	v_cndmask_b32_e32 v104, v118, v103, vcc
	v_cmp_gt_f64_e32 vcc, 0, v[119:120]
	v_mov_b32_e32 v103, v117
	v_cndmask_b32_e32 v106, v120, v105, vcc
	v_cmp_gt_f64_e32 vcc, 0, v[99:100]
	v_mov_b32_e32 v105, v119
	v_add_f64 v[103:104], v[103:104], v[105:106]
	v_xor_b32_e32 v105, 0x80000000, v100
	v_cndmask_b32_e32 v106, v100, v105, vcc
	v_cmp_gt_f64_e32 vcc, 0, v[101:102]
	v_mov_b32_e32 v105, v99
	v_cndmask_b32_e32 v108, v102, v107, vcc
	v_mov_b32_e32 v107, v101
	v_add_f64 v[105:106], v[105:106], v[107:108]
	v_cmp_lt_f64_e32 vcc, v[103:104], v[105:106]
	v_cndmask_b32_e32 v117, v117, v99, vcc
	v_mov_b32_e32 v99, s0
	s_add_i32 s0, s0, 1
	v_cndmask_b32_e32 v118, v118, v100, vcc
	v_cndmask_b32_e32 v120, v120, v102, vcc
	;; [unrolled: 1-line block ×4, first 2 shown]
	s_cmp_lg_u32 s3, s0
	s_cbranch_scc1 .LBB86_505
.LBB86_506:
	s_waitcnt lgkmcnt(0)
	v_cmp_eq_f64_e32 vcc, 0, v[117:118]
	v_cmp_eq_f64_e64 s[0:1], 0, v[119:120]
	s_and_b64 s[0:1], vcc, s[0:1]
	s_and_saveexec_b64 s[18:19], s[0:1]
	s_xor_b64 s[0:1], exec, s[18:19]
; %bb.507:
	v_cmp_ne_u32_e32 vcc, 0, v95
	v_cndmask_b32_e32 v95, 25, v95, vcc
; %bb.508:
	s_andn2_saveexec_b64 s[0:1], s[0:1]
	s_cbranch_execz .LBB86_514
; %bb.509:
	v_cmp_ngt_f64_e64 s[18:19], |v[117:118]|, |v[119:120]|
	s_and_saveexec_b64 s[20:21], s[18:19]
	s_xor_b64 s[18:19], exec, s[20:21]
	s_cbranch_execz .LBB86_511
; %bb.510:
	v_div_scale_f64 v[98:99], s[20:21], v[119:120], v[119:120], v[117:118]
	v_rcp_f64_e32 v[100:101], v[98:99]
	v_fma_f64 v[102:103], -v[98:99], v[100:101], 1.0
	v_fma_f64 v[100:101], v[100:101], v[102:103], v[100:101]
	v_div_scale_f64 v[102:103], vcc, v[117:118], v[119:120], v[117:118]
	v_fma_f64 v[104:105], -v[98:99], v[100:101], 1.0
	v_fma_f64 v[100:101], v[100:101], v[104:105], v[100:101]
	v_mul_f64 v[104:105], v[102:103], v[100:101]
	v_fma_f64 v[98:99], -v[98:99], v[104:105], v[102:103]
	v_div_fmas_f64 v[98:99], v[98:99], v[100:101], v[104:105]
	v_div_fixup_f64 v[98:99], v[98:99], v[119:120], v[117:118]
	v_fma_f64 v[100:101], v[117:118], v[98:99], v[119:120]
	v_div_scale_f64 v[102:103], s[20:21], v[100:101], v[100:101], 1.0
	v_div_scale_f64 v[108:109], vcc, 1.0, v[100:101], 1.0
	v_rcp_f64_e32 v[104:105], v[102:103]
	v_fma_f64 v[106:107], -v[102:103], v[104:105], 1.0
	v_fma_f64 v[104:105], v[104:105], v[106:107], v[104:105]
	v_fma_f64 v[106:107], -v[102:103], v[104:105], 1.0
	v_fma_f64 v[104:105], v[104:105], v[106:107], v[104:105]
	v_mul_f64 v[106:107], v[108:109], v[104:105]
	v_fma_f64 v[102:103], -v[102:103], v[106:107], v[108:109]
	v_div_fmas_f64 v[102:103], v[102:103], v[104:105], v[106:107]
	v_div_fixup_f64 v[119:120], v[102:103], v[100:101], 1.0
	v_mul_f64 v[117:118], v[98:99], v[119:120]
	v_xor_b32_e32 v120, 0x80000000, v120
.LBB86_511:
	s_andn2_saveexec_b64 s[18:19], s[18:19]
	s_cbranch_execz .LBB86_513
; %bb.512:
	v_div_scale_f64 v[98:99], s[20:21], v[117:118], v[117:118], v[119:120]
	v_rcp_f64_e32 v[100:101], v[98:99]
	v_fma_f64 v[102:103], -v[98:99], v[100:101], 1.0
	v_fma_f64 v[100:101], v[100:101], v[102:103], v[100:101]
	v_div_scale_f64 v[102:103], vcc, v[119:120], v[117:118], v[119:120]
	v_fma_f64 v[104:105], -v[98:99], v[100:101], 1.0
	v_fma_f64 v[100:101], v[100:101], v[104:105], v[100:101]
	v_mul_f64 v[104:105], v[102:103], v[100:101]
	v_fma_f64 v[98:99], -v[98:99], v[104:105], v[102:103]
	v_div_fmas_f64 v[98:99], v[98:99], v[100:101], v[104:105]
	v_div_fixup_f64 v[98:99], v[98:99], v[117:118], v[119:120]
	v_fma_f64 v[100:101], v[119:120], v[98:99], v[117:118]
	v_div_scale_f64 v[102:103], s[20:21], v[100:101], v[100:101], 1.0
	v_div_scale_f64 v[108:109], vcc, 1.0, v[100:101], 1.0
	v_rcp_f64_e32 v[104:105], v[102:103]
	v_fma_f64 v[106:107], -v[102:103], v[104:105], 1.0
	v_fma_f64 v[104:105], v[104:105], v[106:107], v[104:105]
	v_fma_f64 v[106:107], -v[102:103], v[104:105], 1.0
	v_fma_f64 v[104:105], v[104:105], v[106:107], v[104:105]
	v_mul_f64 v[106:107], v[108:109], v[104:105]
	v_fma_f64 v[102:103], -v[102:103], v[106:107], v[108:109]
	v_div_fmas_f64 v[102:103], v[102:103], v[104:105], v[106:107]
	v_div_fixup_f64 v[117:118], v[102:103], v[100:101], 1.0
	v_mul_f64 v[119:120], v[98:99], -v[117:118]
.LBB86_513:
	s_or_b64 exec, exec, s[18:19]
.LBB86_514:
	s_or_b64 exec, exec, s[0:1]
	v_cmp_ne_u32_e32 vcc, v96, v97
	s_and_saveexec_b64 s[0:1], vcc
	s_xor_b64 s[0:1], exec, s[0:1]
	s_cbranch_execz .LBB86_520
; %bb.515:
	v_cmp_eq_u32_e32 vcc, 24, v96
	s_and_saveexec_b64 s[18:19], vcc
	s_cbranch_execz .LBB86_519
; %bb.516:
	v_cmp_ne_u32_e32 vcc, 24, v97
	s_xor_b64 s[20:21], s[6:7], -1
	s_and_b64 s[22:23], s[20:21], vcc
	s_and_saveexec_b64 s[20:21], s[22:23]
	s_cbranch_execz .LBB86_518
; %bb.517:
	v_ashrrev_i32_e32 v98, 31, v97
	v_lshlrev_b64 v[98:99], 2, v[97:98]
	v_add_co_u32_e32 v98, vcc, v91, v98
	v_addc_co_u32_e32 v99, vcc, v92, v99, vcc
	global_load_dword v0, v[98:99], off
	global_load_dword v96, v[91:92], off offset:96
	s_waitcnt vmcnt(1)
	global_store_dword v[91:92], v0, off offset:96
	s_waitcnt vmcnt(1)
	global_store_dword v[98:99], v96, off
.LBB86_518:
	s_or_b64 exec, exec, s[20:21]
	v_mov_b32_e32 v96, v97
	v_mov_b32_e32 v0, v97
.LBB86_519:
	s_or_b64 exec, exec, s[18:19]
.LBB86_520:
	s_andn2_saveexec_b64 s[0:1], s[0:1]
	s_cbranch_execz .LBB86_522
; %bb.521:
	v_mov_b32_e32 v96, 24
	ds_write2_b64 v94, v[69:70], v[71:72] offset0:50 offset1:51
	ds_write2_b64 v94, v[65:66], v[67:68] offset0:52 offset1:53
	;; [unrolled: 1-line block ×19, first 2 shown]
.LBB86_522:
	s_or_b64 exec, exec, s[0:1]
	v_cmp_lt_i32_e32 vcc, 24, v96
	s_waitcnt vmcnt(0) lgkmcnt(0)
	s_barrier
	s_and_saveexec_b64 s[0:1], vcc
	s_cbranch_execz .LBB86_524
; %bb.523:
	v_mul_f64 v[97:98], v[119:120], v[75:76]
	v_mul_f64 v[75:76], v[117:118], v[75:76]
	v_fma_f64 v[105:106], v[117:118], v[73:74], -v[97:98]
	v_fma_f64 v[75:76], v[119:120], v[73:74], v[75:76]
	ds_read2_b64 v[97:100], v94 offset0:50 offset1:51
	s_waitcnt lgkmcnt(0)
	v_mul_f64 v[73:74], v[99:100], v[75:76]
	v_fma_f64 v[73:74], v[97:98], v[105:106], -v[73:74]
	v_mul_f64 v[97:98], v[97:98], v[75:76]
	v_add_f64 v[69:70], v[69:70], -v[73:74]
	v_fma_f64 v[97:98], v[99:100], v[105:106], v[97:98]
	v_add_f64 v[71:72], v[71:72], -v[97:98]
	ds_read2_b64 v[97:100], v94 offset0:52 offset1:53
	s_waitcnt lgkmcnt(0)
	v_mul_f64 v[73:74], v[99:100], v[75:76]
	v_fma_f64 v[73:74], v[97:98], v[105:106], -v[73:74]
	v_mul_f64 v[97:98], v[97:98], v[75:76]
	v_add_f64 v[65:66], v[65:66], -v[73:74]
	v_fma_f64 v[97:98], v[99:100], v[105:106], v[97:98]
	v_add_f64 v[67:68], v[67:68], -v[97:98]
	;; [unrolled: 8-line block ×18, first 2 shown]
	ds_read2_b64 v[97:100], v94 offset0:86 offset1:87
	s_waitcnt lgkmcnt(0)
	v_mul_f64 v[73:74], v[99:100], v[75:76]
	v_fma_f64 v[73:74], v[97:98], v[105:106], -v[73:74]
	v_mul_f64 v[97:98], v[97:98], v[75:76]
	v_add_f64 v[121:122], v[121:122], -v[73:74]
	v_fma_f64 v[97:98], v[99:100], v[105:106], v[97:98]
	v_mov_b32_e32 v73, v105
	v_mov_b32_e32 v74, v106
	v_add_f64 v[123:124], v[123:124], -v[97:98]
.LBB86_524:
	s_or_b64 exec, exec, s[0:1]
	v_lshl_add_u32 v97, v96, 4, v94
	s_barrier
	ds_write2_b64 v97, v[69:70], v[71:72] offset1:1
	s_waitcnt lgkmcnt(0)
	s_barrier
	ds_read2_b64 v[117:120], v94 offset0:50 offset1:51
	s_cmp_lt_i32 s3, 27
	v_mov_b32_e32 v97, 25
	s_cbranch_scc1 .LBB86_527
; %bb.525:
	v_add_u32_e32 v98, 0x1a0, v94
	s_mov_b32 s0, 26
	v_mov_b32_e32 v97, 25
.LBB86_526:                             ; =>This Inner Loop Header: Depth=1
	s_waitcnt lgkmcnt(0)
	v_cmp_gt_f64_e32 vcc, 0, v[117:118]
	v_xor_b32_e32 v103, 0x80000000, v118
	ds_read2_b64 v[99:102], v98 offset1:1
	v_xor_b32_e32 v105, 0x80000000, v120
	v_add_u32_e32 v98, 16, v98
	s_waitcnt lgkmcnt(0)
	v_xor_b32_e32 v107, 0x80000000, v102
	v_cndmask_b32_e32 v104, v118, v103, vcc
	v_cmp_gt_f64_e32 vcc, 0, v[119:120]
	v_mov_b32_e32 v103, v117
	v_cndmask_b32_e32 v106, v120, v105, vcc
	v_cmp_gt_f64_e32 vcc, 0, v[99:100]
	v_mov_b32_e32 v105, v119
	v_add_f64 v[103:104], v[103:104], v[105:106]
	v_xor_b32_e32 v105, 0x80000000, v100
	v_cndmask_b32_e32 v106, v100, v105, vcc
	v_cmp_gt_f64_e32 vcc, 0, v[101:102]
	v_mov_b32_e32 v105, v99
	v_cndmask_b32_e32 v108, v102, v107, vcc
	v_mov_b32_e32 v107, v101
	v_add_f64 v[105:106], v[105:106], v[107:108]
	v_cmp_lt_f64_e32 vcc, v[103:104], v[105:106]
	v_cndmask_b32_e32 v117, v117, v99, vcc
	v_mov_b32_e32 v99, s0
	s_add_i32 s0, s0, 1
	v_cndmask_b32_e32 v118, v118, v100, vcc
	v_cndmask_b32_e32 v120, v120, v102, vcc
	;; [unrolled: 1-line block ×4, first 2 shown]
	s_cmp_lg_u32 s3, s0
	s_cbranch_scc1 .LBB86_526
.LBB86_527:
	s_waitcnt lgkmcnt(0)
	v_cmp_eq_f64_e32 vcc, 0, v[117:118]
	v_cmp_eq_f64_e64 s[0:1], 0, v[119:120]
	s_and_b64 s[0:1], vcc, s[0:1]
	s_and_saveexec_b64 s[18:19], s[0:1]
	s_xor_b64 s[0:1], exec, s[18:19]
; %bb.528:
	v_cmp_ne_u32_e32 vcc, 0, v95
	v_cndmask_b32_e32 v95, 26, v95, vcc
; %bb.529:
	s_andn2_saveexec_b64 s[0:1], s[0:1]
	s_cbranch_execz .LBB86_535
; %bb.530:
	v_cmp_ngt_f64_e64 s[18:19], |v[117:118]|, |v[119:120]|
	s_and_saveexec_b64 s[20:21], s[18:19]
	s_xor_b64 s[18:19], exec, s[20:21]
	s_cbranch_execz .LBB86_532
; %bb.531:
	v_div_scale_f64 v[98:99], s[20:21], v[119:120], v[119:120], v[117:118]
	v_rcp_f64_e32 v[100:101], v[98:99]
	v_fma_f64 v[102:103], -v[98:99], v[100:101], 1.0
	v_fma_f64 v[100:101], v[100:101], v[102:103], v[100:101]
	v_div_scale_f64 v[102:103], vcc, v[117:118], v[119:120], v[117:118]
	v_fma_f64 v[104:105], -v[98:99], v[100:101], 1.0
	v_fma_f64 v[100:101], v[100:101], v[104:105], v[100:101]
	v_mul_f64 v[104:105], v[102:103], v[100:101]
	v_fma_f64 v[98:99], -v[98:99], v[104:105], v[102:103]
	v_div_fmas_f64 v[98:99], v[98:99], v[100:101], v[104:105]
	v_div_fixup_f64 v[98:99], v[98:99], v[119:120], v[117:118]
	v_fma_f64 v[100:101], v[117:118], v[98:99], v[119:120]
	v_div_scale_f64 v[102:103], s[20:21], v[100:101], v[100:101], 1.0
	v_div_scale_f64 v[108:109], vcc, 1.0, v[100:101], 1.0
	v_rcp_f64_e32 v[104:105], v[102:103]
	v_fma_f64 v[106:107], -v[102:103], v[104:105], 1.0
	v_fma_f64 v[104:105], v[104:105], v[106:107], v[104:105]
	v_fma_f64 v[106:107], -v[102:103], v[104:105], 1.0
	v_fma_f64 v[104:105], v[104:105], v[106:107], v[104:105]
	v_mul_f64 v[106:107], v[108:109], v[104:105]
	v_fma_f64 v[102:103], -v[102:103], v[106:107], v[108:109]
	v_div_fmas_f64 v[102:103], v[102:103], v[104:105], v[106:107]
	v_div_fixup_f64 v[119:120], v[102:103], v[100:101], 1.0
	v_mul_f64 v[117:118], v[98:99], v[119:120]
	v_xor_b32_e32 v120, 0x80000000, v120
.LBB86_532:
	s_andn2_saveexec_b64 s[18:19], s[18:19]
	s_cbranch_execz .LBB86_534
; %bb.533:
	v_div_scale_f64 v[98:99], s[20:21], v[117:118], v[117:118], v[119:120]
	v_rcp_f64_e32 v[100:101], v[98:99]
	v_fma_f64 v[102:103], -v[98:99], v[100:101], 1.0
	v_fma_f64 v[100:101], v[100:101], v[102:103], v[100:101]
	v_div_scale_f64 v[102:103], vcc, v[119:120], v[117:118], v[119:120]
	v_fma_f64 v[104:105], -v[98:99], v[100:101], 1.0
	v_fma_f64 v[100:101], v[100:101], v[104:105], v[100:101]
	v_mul_f64 v[104:105], v[102:103], v[100:101]
	v_fma_f64 v[98:99], -v[98:99], v[104:105], v[102:103]
	v_div_fmas_f64 v[98:99], v[98:99], v[100:101], v[104:105]
	v_div_fixup_f64 v[98:99], v[98:99], v[117:118], v[119:120]
	v_fma_f64 v[100:101], v[119:120], v[98:99], v[117:118]
	v_div_scale_f64 v[102:103], s[20:21], v[100:101], v[100:101], 1.0
	v_div_scale_f64 v[108:109], vcc, 1.0, v[100:101], 1.0
	v_rcp_f64_e32 v[104:105], v[102:103]
	v_fma_f64 v[106:107], -v[102:103], v[104:105], 1.0
	v_fma_f64 v[104:105], v[104:105], v[106:107], v[104:105]
	v_fma_f64 v[106:107], -v[102:103], v[104:105], 1.0
	v_fma_f64 v[104:105], v[104:105], v[106:107], v[104:105]
	v_mul_f64 v[106:107], v[108:109], v[104:105]
	v_fma_f64 v[102:103], -v[102:103], v[106:107], v[108:109]
	v_div_fmas_f64 v[102:103], v[102:103], v[104:105], v[106:107]
	v_div_fixup_f64 v[117:118], v[102:103], v[100:101], 1.0
	v_mul_f64 v[119:120], v[98:99], -v[117:118]
.LBB86_534:
	s_or_b64 exec, exec, s[18:19]
.LBB86_535:
	s_or_b64 exec, exec, s[0:1]
	v_cmp_ne_u32_e32 vcc, v96, v97
	s_and_saveexec_b64 s[0:1], vcc
	s_xor_b64 s[0:1], exec, s[0:1]
	s_cbranch_execz .LBB86_541
; %bb.536:
	v_cmp_eq_u32_e32 vcc, 25, v96
	s_and_saveexec_b64 s[18:19], vcc
	s_cbranch_execz .LBB86_540
; %bb.537:
	v_cmp_ne_u32_e32 vcc, 25, v97
	s_xor_b64 s[20:21], s[6:7], -1
	s_and_b64 s[22:23], s[20:21], vcc
	s_and_saveexec_b64 s[20:21], s[22:23]
	s_cbranch_execz .LBB86_539
; %bb.538:
	v_ashrrev_i32_e32 v98, 31, v97
	v_lshlrev_b64 v[98:99], 2, v[97:98]
	v_add_co_u32_e32 v98, vcc, v91, v98
	v_addc_co_u32_e32 v99, vcc, v92, v99, vcc
	global_load_dword v0, v[98:99], off
	global_load_dword v96, v[91:92], off offset:100
	s_waitcnt vmcnt(1)
	global_store_dword v[91:92], v0, off offset:100
	s_waitcnt vmcnt(1)
	global_store_dword v[98:99], v96, off
.LBB86_539:
	s_or_b64 exec, exec, s[20:21]
	v_mov_b32_e32 v96, v97
	v_mov_b32_e32 v0, v97
.LBB86_540:
	s_or_b64 exec, exec, s[18:19]
.LBB86_541:
	s_andn2_saveexec_b64 s[0:1], s[0:1]
	s_cbranch_execz .LBB86_543
; %bb.542:
	v_mov_b32_e32 v96, 25
	ds_write2_b64 v94, v[65:66], v[67:68] offset0:52 offset1:53
	ds_write2_b64 v94, v[61:62], v[63:64] offset0:54 offset1:55
	;; [unrolled: 1-line block ×18, first 2 shown]
.LBB86_543:
	s_or_b64 exec, exec, s[0:1]
	v_cmp_lt_i32_e32 vcc, 25, v96
	s_waitcnt vmcnt(0) lgkmcnt(0)
	s_barrier
	s_and_saveexec_b64 s[0:1], vcc
	s_cbranch_execz .LBB86_545
; %bb.544:
	v_mul_f64 v[97:98], v[119:120], v[71:72]
	v_mul_f64 v[71:72], v[117:118], v[71:72]
	ds_read2_b64 v[99:102], v94 offset0:52 offset1:53
	v_fma_f64 v[97:98], v[117:118], v[69:70], -v[97:98]
	v_fma_f64 v[71:72], v[119:120], v[69:70], v[71:72]
	s_waitcnt lgkmcnt(0)
	v_mul_f64 v[69:70], v[101:102], v[71:72]
	v_fma_f64 v[69:70], v[99:100], v[97:98], -v[69:70]
	v_mul_f64 v[99:100], v[99:100], v[71:72]
	v_add_f64 v[65:66], v[65:66], -v[69:70]
	v_fma_f64 v[99:100], v[101:102], v[97:98], v[99:100]
	v_add_f64 v[67:68], v[67:68], -v[99:100]
	ds_read2_b64 v[99:102], v94 offset0:54 offset1:55
	s_waitcnt lgkmcnt(0)
	v_mul_f64 v[69:70], v[101:102], v[71:72]
	v_fma_f64 v[69:70], v[99:100], v[97:98], -v[69:70]
	v_mul_f64 v[99:100], v[99:100], v[71:72]
	v_add_f64 v[61:62], v[61:62], -v[69:70]
	v_fma_f64 v[99:100], v[101:102], v[97:98], v[99:100]
	v_add_f64 v[63:64], v[63:64], -v[99:100]
	ds_read2_b64 v[99:102], v94 offset0:56 offset1:57
	;; [unrolled: 8-line block ×17, first 2 shown]
	s_waitcnt lgkmcnt(0)
	v_mul_f64 v[69:70], v[101:102], v[71:72]
	v_fma_f64 v[69:70], v[99:100], v[97:98], -v[69:70]
	v_mul_f64 v[99:100], v[99:100], v[71:72]
	v_add_f64 v[121:122], v[121:122], -v[69:70]
	v_fma_f64 v[99:100], v[101:102], v[97:98], v[99:100]
	v_mov_b32_e32 v69, v97
	v_mov_b32_e32 v70, v98
	v_add_f64 v[123:124], v[123:124], -v[99:100]
.LBB86_545:
	s_or_b64 exec, exec, s[0:1]
	v_lshl_add_u32 v97, v96, 4, v94
	s_barrier
	ds_write2_b64 v97, v[65:66], v[67:68] offset1:1
	s_waitcnt lgkmcnt(0)
	s_barrier
	ds_read2_b64 v[117:120], v94 offset0:52 offset1:53
	s_cmp_lt_i32 s3, 28
	v_mov_b32_e32 v97, 26
	s_cbranch_scc1 .LBB86_548
; %bb.546:
	v_add_u32_e32 v98, 0x1b0, v94
	s_mov_b32 s0, 27
	v_mov_b32_e32 v97, 26
.LBB86_547:                             ; =>This Inner Loop Header: Depth=1
	s_waitcnt lgkmcnt(0)
	v_cmp_gt_f64_e32 vcc, 0, v[117:118]
	v_xor_b32_e32 v103, 0x80000000, v118
	ds_read2_b64 v[99:102], v98 offset1:1
	v_xor_b32_e32 v105, 0x80000000, v120
	v_add_u32_e32 v98, 16, v98
	s_waitcnt lgkmcnt(0)
	v_xor_b32_e32 v107, 0x80000000, v102
	v_cndmask_b32_e32 v104, v118, v103, vcc
	v_cmp_gt_f64_e32 vcc, 0, v[119:120]
	v_mov_b32_e32 v103, v117
	v_cndmask_b32_e32 v106, v120, v105, vcc
	v_cmp_gt_f64_e32 vcc, 0, v[99:100]
	v_mov_b32_e32 v105, v119
	v_add_f64 v[103:104], v[103:104], v[105:106]
	v_xor_b32_e32 v105, 0x80000000, v100
	v_cndmask_b32_e32 v106, v100, v105, vcc
	v_cmp_gt_f64_e32 vcc, 0, v[101:102]
	v_mov_b32_e32 v105, v99
	v_cndmask_b32_e32 v108, v102, v107, vcc
	v_mov_b32_e32 v107, v101
	v_add_f64 v[105:106], v[105:106], v[107:108]
	v_cmp_lt_f64_e32 vcc, v[103:104], v[105:106]
	v_cndmask_b32_e32 v117, v117, v99, vcc
	v_mov_b32_e32 v99, s0
	s_add_i32 s0, s0, 1
	v_cndmask_b32_e32 v118, v118, v100, vcc
	v_cndmask_b32_e32 v120, v120, v102, vcc
	;; [unrolled: 1-line block ×4, first 2 shown]
	s_cmp_lg_u32 s3, s0
	s_cbranch_scc1 .LBB86_547
.LBB86_548:
	s_waitcnt lgkmcnt(0)
	v_cmp_eq_f64_e32 vcc, 0, v[117:118]
	v_cmp_eq_f64_e64 s[0:1], 0, v[119:120]
	s_and_b64 s[0:1], vcc, s[0:1]
	s_and_saveexec_b64 s[18:19], s[0:1]
	s_xor_b64 s[0:1], exec, s[18:19]
; %bb.549:
	v_cmp_ne_u32_e32 vcc, 0, v95
	v_cndmask_b32_e32 v95, 27, v95, vcc
; %bb.550:
	s_andn2_saveexec_b64 s[0:1], s[0:1]
	s_cbranch_execz .LBB86_556
; %bb.551:
	v_cmp_ngt_f64_e64 s[18:19], |v[117:118]|, |v[119:120]|
	s_and_saveexec_b64 s[20:21], s[18:19]
	s_xor_b64 s[18:19], exec, s[20:21]
	s_cbranch_execz .LBB86_553
; %bb.552:
	v_div_scale_f64 v[98:99], s[20:21], v[119:120], v[119:120], v[117:118]
	v_rcp_f64_e32 v[100:101], v[98:99]
	v_fma_f64 v[102:103], -v[98:99], v[100:101], 1.0
	v_fma_f64 v[100:101], v[100:101], v[102:103], v[100:101]
	v_div_scale_f64 v[102:103], vcc, v[117:118], v[119:120], v[117:118]
	v_fma_f64 v[104:105], -v[98:99], v[100:101], 1.0
	v_fma_f64 v[100:101], v[100:101], v[104:105], v[100:101]
	v_mul_f64 v[104:105], v[102:103], v[100:101]
	v_fma_f64 v[98:99], -v[98:99], v[104:105], v[102:103]
	v_div_fmas_f64 v[98:99], v[98:99], v[100:101], v[104:105]
	v_div_fixup_f64 v[98:99], v[98:99], v[119:120], v[117:118]
	v_fma_f64 v[100:101], v[117:118], v[98:99], v[119:120]
	v_div_scale_f64 v[102:103], s[20:21], v[100:101], v[100:101], 1.0
	v_div_scale_f64 v[108:109], vcc, 1.0, v[100:101], 1.0
	v_rcp_f64_e32 v[104:105], v[102:103]
	v_fma_f64 v[106:107], -v[102:103], v[104:105], 1.0
	v_fma_f64 v[104:105], v[104:105], v[106:107], v[104:105]
	v_fma_f64 v[106:107], -v[102:103], v[104:105], 1.0
	v_fma_f64 v[104:105], v[104:105], v[106:107], v[104:105]
	v_mul_f64 v[106:107], v[108:109], v[104:105]
	v_fma_f64 v[102:103], -v[102:103], v[106:107], v[108:109]
	v_div_fmas_f64 v[102:103], v[102:103], v[104:105], v[106:107]
	v_div_fixup_f64 v[119:120], v[102:103], v[100:101], 1.0
	v_mul_f64 v[117:118], v[98:99], v[119:120]
	v_xor_b32_e32 v120, 0x80000000, v120
.LBB86_553:
	s_andn2_saveexec_b64 s[18:19], s[18:19]
	s_cbranch_execz .LBB86_555
; %bb.554:
	v_div_scale_f64 v[98:99], s[20:21], v[117:118], v[117:118], v[119:120]
	v_rcp_f64_e32 v[100:101], v[98:99]
	v_fma_f64 v[102:103], -v[98:99], v[100:101], 1.0
	v_fma_f64 v[100:101], v[100:101], v[102:103], v[100:101]
	v_div_scale_f64 v[102:103], vcc, v[119:120], v[117:118], v[119:120]
	v_fma_f64 v[104:105], -v[98:99], v[100:101], 1.0
	v_fma_f64 v[100:101], v[100:101], v[104:105], v[100:101]
	v_mul_f64 v[104:105], v[102:103], v[100:101]
	v_fma_f64 v[98:99], -v[98:99], v[104:105], v[102:103]
	v_div_fmas_f64 v[98:99], v[98:99], v[100:101], v[104:105]
	v_div_fixup_f64 v[98:99], v[98:99], v[117:118], v[119:120]
	v_fma_f64 v[100:101], v[119:120], v[98:99], v[117:118]
	v_div_scale_f64 v[102:103], s[20:21], v[100:101], v[100:101], 1.0
	v_div_scale_f64 v[108:109], vcc, 1.0, v[100:101], 1.0
	v_rcp_f64_e32 v[104:105], v[102:103]
	v_fma_f64 v[106:107], -v[102:103], v[104:105], 1.0
	v_fma_f64 v[104:105], v[104:105], v[106:107], v[104:105]
	v_fma_f64 v[106:107], -v[102:103], v[104:105], 1.0
	v_fma_f64 v[104:105], v[104:105], v[106:107], v[104:105]
	v_mul_f64 v[106:107], v[108:109], v[104:105]
	v_fma_f64 v[102:103], -v[102:103], v[106:107], v[108:109]
	v_div_fmas_f64 v[102:103], v[102:103], v[104:105], v[106:107]
	v_div_fixup_f64 v[117:118], v[102:103], v[100:101], 1.0
	v_mul_f64 v[119:120], v[98:99], -v[117:118]
.LBB86_555:
	s_or_b64 exec, exec, s[18:19]
.LBB86_556:
	s_or_b64 exec, exec, s[0:1]
	v_cmp_ne_u32_e32 vcc, v96, v97
	s_and_saveexec_b64 s[0:1], vcc
	s_xor_b64 s[0:1], exec, s[0:1]
	s_cbranch_execz .LBB86_562
; %bb.557:
	v_cmp_eq_u32_e32 vcc, 26, v96
	s_and_saveexec_b64 s[18:19], vcc
	s_cbranch_execz .LBB86_561
; %bb.558:
	v_cmp_ne_u32_e32 vcc, 26, v97
	s_xor_b64 s[20:21], s[6:7], -1
	s_and_b64 s[22:23], s[20:21], vcc
	s_and_saveexec_b64 s[20:21], s[22:23]
	s_cbranch_execz .LBB86_560
; %bb.559:
	v_ashrrev_i32_e32 v98, 31, v97
	v_lshlrev_b64 v[98:99], 2, v[97:98]
	v_add_co_u32_e32 v98, vcc, v91, v98
	v_addc_co_u32_e32 v99, vcc, v92, v99, vcc
	global_load_dword v0, v[98:99], off
	global_load_dword v96, v[91:92], off offset:104
	s_waitcnt vmcnt(1)
	global_store_dword v[91:92], v0, off offset:104
	s_waitcnt vmcnt(1)
	global_store_dword v[98:99], v96, off
.LBB86_560:
	s_or_b64 exec, exec, s[20:21]
	v_mov_b32_e32 v96, v97
	v_mov_b32_e32 v0, v97
.LBB86_561:
	s_or_b64 exec, exec, s[18:19]
.LBB86_562:
	s_andn2_saveexec_b64 s[0:1], s[0:1]
	s_cbranch_execz .LBB86_564
; %bb.563:
	v_mov_b32_e32 v96, 26
	ds_write2_b64 v94, v[61:62], v[63:64] offset0:54 offset1:55
	ds_write2_b64 v94, v[57:58], v[59:60] offset0:56 offset1:57
	;; [unrolled: 1-line block ×17, first 2 shown]
.LBB86_564:
	s_or_b64 exec, exec, s[0:1]
	v_cmp_lt_i32_e32 vcc, 26, v96
	s_waitcnt vmcnt(0) lgkmcnt(0)
	s_barrier
	s_and_saveexec_b64 s[0:1], vcc
	s_cbranch_execz .LBB86_566
; %bb.565:
	v_mul_f64 v[97:98], v[119:120], v[67:68]
	v_mul_f64 v[67:68], v[117:118], v[67:68]
	ds_read2_b64 v[99:102], v94 offset0:54 offset1:55
	v_fma_f64 v[97:98], v[117:118], v[65:66], -v[97:98]
	v_fma_f64 v[67:68], v[119:120], v[65:66], v[67:68]
	s_waitcnt lgkmcnt(0)
	v_mul_f64 v[65:66], v[101:102], v[67:68]
	v_fma_f64 v[65:66], v[99:100], v[97:98], -v[65:66]
	v_mul_f64 v[99:100], v[99:100], v[67:68]
	v_add_f64 v[61:62], v[61:62], -v[65:66]
	v_fma_f64 v[99:100], v[101:102], v[97:98], v[99:100]
	v_add_f64 v[63:64], v[63:64], -v[99:100]
	ds_read2_b64 v[99:102], v94 offset0:56 offset1:57
	s_waitcnt lgkmcnt(0)
	v_mul_f64 v[65:66], v[101:102], v[67:68]
	v_fma_f64 v[65:66], v[99:100], v[97:98], -v[65:66]
	v_mul_f64 v[99:100], v[99:100], v[67:68]
	v_add_f64 v[57:58], v[57:58], -v[65:66]
	v_fma_f64 v[99:100], v[101:102], v[97:98], v[99:100]
	v_add_f64 v[59:60], v[59:60], -v[99:100]
	ds_read2_b64 v[99:102], v94 offset0:58 offset1:59
	;; [unrolled: 8-line block ×16, first 2 shown]
	s_waitcnt lgkmcnt(0)
	v_mul_f64 v[65:66], v[101:102], v[67:68]
	v_fma_f64 v[65:66], v[99:100], v[97:98], -v[65:66]
	v_mul_f64 v[99:100], v[99:100], v[67:68]
	v_add_f64 v[121:122], v[121:122], -v[65:66]
	v_fma_f64 v[99:100], v[101:102], v[97:98], v[99:100]
	v_mov_b32_e32 v65, v97
	v_mov_b32_e32 v66, v98
	v_add_f64 v[123:124], v[123:124], -v[99:100]
.LBB86_566:
	s_or_b64 exec, exec, s[0:1]
	v_lshl_add_u32 v97, v96, 4, v94
	s_barrier
	ds_write2_b64 v97, v[61:62], v[63:64] offset1:1
	s_waitcnt lgkmcnt(0)
	s_barrier
	ds_read2_b64 v[117:120], v94 offset0:54 offset1:55
	s_cmp_lt_i32 s3, 29
	v_mov_b32_e32 v97, 27
	s_cbranch_scc1 .LBB86_569
; %bb.567:
	v_add_u32_e32 v98, 0x1c0, v94
	s_mov_b32 s0, 28
	v_mov_b32_e32 v97, 27
.LBB86_568:                             ; =>This Inner Loop Header: Depth=1
	s_waitcnt lgkmcnt(0)
	v_cmp_gt_f64_e32 vcc, 0, v[117:118]
	v_xor_b32_e32 v103, 0x80000000, v118
	ds_read2_b64 v[99:102], v98 offset1:1
	v_xor_b32_e32 v105, 0x80000000, v120
	v_add_u32_e32 v98, 16, v98
	s_waitcnt lgkmcnt(0)
	v_xor_b32_e32 v107, 0x80000000, v102
	v_cndmask_b32_e32 v104, v118, v103, vcc
	v_cmp_gt_f64_e32 vcc, 0, v[119:120]
	v_mov_b32_e32 v103, v117
	v_cndmask_b32_e32 v106, v120, v105, vcc
	v_cmp_gt_f64_e32 vcc, 0, v[99:100]
	v_mov_b32_e32 v105, v119
	v_add_f64 v[103:104], v[103:104], v[105:106]
	v_xor_b32_e32 v105, 0x80000000, v100
	v_cndmask_b32_e32 v106, v100, v105, vcc
	v_cmp_gt_f64_e32 vcc, 0, v[101:102]
	v_mov_b32_e32 v105, v99
	v_cndmask_b32_e32 v108, v102, v107, vcc
	v_mov_b32_e32 v107, v101
	v_add_f64 v[105:106], v[105:106], v[107:108]
	v_cmp_lt_f64_e32 vcc, v[103:104], v[105:106]
	v_cndmask_b32_e32 v117, v117, v99, vcc
	v_mov_b32_e32 v99, s0
	s_add_i32 s0, s0, 1
	v_cndmask_b32_e32 v118, v118, v100, vcc
	v_cndmask_b32_e32 v120, v120, v102, vcc
	;; [unrolled: 1-line block ×4, first 2 shown]
	s_cmp_lg_u32 s3, s0
	s_cbranch_scc1 .LBB86_568
.LBB86_569:
	s_waitcnt lgkmcnt(0)
	v_cmp_eq_f64_e32 vcc, 0, v[117:118]
	v_cmp_eq_f64_e64 s[0:1], 0, v[119:120]
	s_and_b64 s[0:1], vcc, s[0:1]
	s_and_saveexec_b64 s[18:19], s[0:1]
	s_xor_b64 s[0:1], exec, s[18:19]
; %bb.570:
	v_cmp_ne_u32_e32 vcc, 0, v95
	v_cndmask_b32_e32 v95, 28, v95, vcc
; %bb.571:
	s_andn2_saveexec_b64 s[0:1], s[0:1]
	s_cbranch_execz .LBB86_577
; %bb.572:
	v_cmp_ngt_f64_e64 s[18:19], |v[117:118]|, |v[119:120]|
	s_and_saveexec_b64 s[20:21], s[18:19]
	s_xor_b64 s[18:19], exec, s[20:21]
	s_cbranch_execz .LBB86_574
; %bb.573:
	v_div_scale_f64 v[98:99], s[20:21], v[119:120], v[119:120], v[117:118]
	v_rcp_f64_e32 v[100:101], v[98:99]
	v_fma_f64 v[102:103], -v[98:99], v[100:101], 1.0
	v_fma_f64 v[100:101], v[100:101], v[102:103], v[100:101]
	v_div_scale_f64 v[102:103], vcc, v[117:118], v[119:120], v[117:118]
	v_fma_f64 v[104:105], -v[98:99], v[100:101], 1.0
	v_fma_f64 v[100:101], v[100:101], v[104:105], v[100:101]
	v_mul_f64 v[104:105], v[102:103], v[100:101]
	v_fma_f64 v[98:99], -v[98:99], v[104:105], v[102:103]
	v_div_fmas_f64 v[98:99], v[98:99], v[100:101], v[104:105]
	v_div_fixup_f64 v[98:99], v[98:99], v[119:120], v[117:118]
	v_fma_f64 v[100:101], v[117:118], v[98:99], v[119:120]
	v_div_scale_f64 v[102:103], s[20:21], v[100:101], v[100:101], 1.0
	v_div_scale_f64 v[108:109], vcc, 1.0, v[100:101], 1.0
	v_rcp_f64_e32 v[104:105], v[102:103]
	v_fma_f64 v[106:107], -v[102:103], v[104:105], 1.0
	v_fma_f64 v[104:105], v[104:105], v[106:107], v[104:105]
	v_fma_f64 v[106:107], -v[102:103], v[104:105], 1.0
	v_fma_f64 v[104:105], v[104:105], v[106:107], v[104:105]
	v_mul_f64 v[106:107], v[108:109], v[104:105]
	v_fma_f64 v[102:103], -v[102:103], v[106:107], v[108:109]
	v_div_fmas_f64 v[102:103], v[102:103], v[104:105], v[106:107]
	v_div_fixup_f64 v[119:120], v[102:103], v[100:101], 1.0
	v_mul_f64 v[117:118], v[98:99], v[119:120]
	v_xor_b32_e32 v120, 0x80000000, v120
.LBB86_574:
	s_andn2_saveexec_b64 s[18:19], s[18:19]
	s_cbranch_execz .LBB86_576
; %bb.575:
	v_div_scale_f64 v[98:99], s[20:21], v[117:118], v[117:118], v[119:120]
	v_rcp_f64_e32 v[100:101], v[98:99]
	v_fma_f64 v[102:103], -v[98:99], v[100:101], 1.0
	v_fma_f64 v[100:101], v[100:101], v[102:103], v[100:101]
	v_div_scale_f64 v[102:103], vcc, v[119:120], v[117:118], v[119:120]
	v_fma_f64 v[104:105], -v[98:99], v[100:101], 1.0
	v_fma_f64 v[100:101], v[100:101], v[104:105], v[100:101]
	v_mul_f64 v[104:105], v[102:103], v[100:101]
	v_fma_f64 v[98:99], -v[98:99], v[104:105], v[102:103]
	v_div_fmas_f64 v[98:99], v[98:99], v[100:101], v[104:105]
	v_div_fixup_f64 v[98:99], v[98:99], v[117:118], v[119:120]
	v_fma_f64 v[100:101], v[119:120], v[98:99], v[117:118]
	v_div_scale_f64 v[102:103], s[20:21], v[100:101], v[100:101], 1.0
	v_div_scale_f64 v[108:109], vcc, 1.0, v[100:101], 1.0
	v_rcp_f64_e32 v[104:105], v[102:103]
	v_fma_f64 v[106:107], -v[102:103], v[104:105], 1.0
	v_fma_f64 v[104:105], v[104:105], v[106:107], v[104:105]
	v_fma_f64 v[106:107], -v[102:103], v[104:105], 1.0
	v_fma_f64 v[104:105], v[104:105], v[106:107], v[104:105]
	v_mul_f64 v[106:107], v[108:109], v[104:105]
	v_fma_f64 v[102:103], -v[102:103], v[106:107], v[108:109]
	v_div_fmas_f64 v[102:103], v[102:103], v[104:105], v[106:107]
	v_div_fixup_f64 v[117:118], v[102:103], v[100:101], 1.0
	v_mul_f64 v[119:120], v[98:99], -v[117:118]
.LBB86_576:
	s_or_b64 exec, exec, s[18:19]
.LBB86_577:
	s_or_b64 exec, exec, s[0:1]
	v_cmp_ne_u32_e32 vcc, v96, v97
	s_and_saveexec_b64 s[0:1], vcc
	s_xor_b64 s[0:1], exec, s[0:1]
	s_cbranch_execz .LBB86_583
; %bb.578:
	v_cmp_eq_u32_e32 vcc, 27, v96
	s_and_saveexec_b64 s[18:19], vcc
	s_cbranch_execz .LBB86_582
; %bb.579:
	v_cmp_ne_u32_e32 vcc, 27, v97
	s_xor_b64 s[20:21], s[6:7], -1
	s_and_b64 s[22:23], s[20:21], vcc
	s_and_saveexec_b64 s[20:21], s[22:23]
	s_cbranch_execz .LBB86_581
; %bb.580:
	v_ashrrev_i32_e32 v98, 31, v97
	v_lshlrev_b64 v[98:99], 2, v[97:98]
	v_add_co_u32_e32 v98, vcc, v91, v98
	v_addc_co_u32_e32 v99, vcc, v92, v99, vcc
	global_load_dword v0, v[98:99], off
	global_load_dword v96, v[91:92], off offset:108
	s_waitcnt vmcnt(1)
	global_store_dword v[91:92], v0, off offset:108
	s_waitcnt vmcnt(1)
	global_store_dword v[98:99], v96, off
.LBB86_581:
	s_or_b64 exec, exec, s[20:21]
	v_mov_b32_e32 v96, v97
	v_mov_b32_e32 v0, v97
.LBB86_582:
	s_or_b64 exec, exec, s[18:19]
.LBB86_583:
	s_andn2_saveexec_b64 s[0:1], s[0:1]
	s_cbranch_execz .LBB86_585
; %bb.584:
	v_mov_b32_e32 v96, 27
	ds_write2_b64 v94, v[57:58], v[59:60] offset0:56 offset1:57
	ds_write2_b64 v94, v[53:54], v[55:56] offset0:58 offset1:59
	;; [unrolled: 1-line block ×16, first 2 shown]
.LBB86_585:
	s_or_b64 exec, exec, s[0:1]
	v_cmp_lt_i32_e32 vcc, 27, v96
	s_waitcnt vmcnt(0) lgkmcnt(0)
	s_barrier
	s_and_saveexec_b64 s[0:1], vcc
	s_cbranch_execz .LBB86_587
; %bb.586:
	v_mul_f64 v[97:98], v[117:118], v[63:64]
	v_mul_f64 v[63:64], v[119:120], v[63:64]
	ds_read2_b64 v[99:102], v94 offset0:56 offset1:57
	v_fma_f64 v[97:98], v[119:120], v[61:62], v[97:98]
	v_fma_f64 v[61:62], v[117:118], v[61:62], -v[63:64]
	s_waitcnt lgkmcnt(0)
	v_mul_f64 v[63:64], v[101:102], v[97:98]
	v_fma_f64 v[63:64], v[99:100], v[61:62], -v[63:64]
	v_mul_f64 v[99:100], v[99:100], v[97:98]
	v_add_f64 v[57:58], v[57:58], -v[63:64]
	v_fma_f64 v[99:100], v[101:102], v[61:62], v[99:100]
	v_add_f64 v[59:60], v[59:60], -v[99:100]
	ds_read2_b64 v[99:102], v94 offset0:58 offset1:59
	s_waitcnt lgkmcnt(0)
	v_mul_f64 v[63:64], v[101:102], v[97:98]
	v_fma_f64 v[63:64], v[99:100], v[61:62], -v[63:64]
	v_mul_f64 v[99:100], v[99:100], v[97:98]
	v_add_f64 v[53:54], v[53:54], -v[63:64]
	v_fma_f64 v[99:100], v[101:102], v[61:62], v[99:100]
	v_add_f64 v[55:56], v[55:56], -v[99:100]
	ds_read2_b64 v[99:102], v94 offset0:60 offset1:61
	;; [unrolled: 8-line block ×15, first 2 shown]
	s_waitcnt lgkmcnt(0)
	v_mul_f64 v[63:64], v[101:102], v[97:98]
	v_fma_f64 v[63:64], v[99:100], v[61:62], -v[63:64]
	v_mul_f64 v[99:100], v[99:100], v[97:98]
	v_add_f64 v[121:122], v[121:122], -v[63:64]
	v_fma_f64 v[99:100], v[101:102], v[61:62], v[99:100]
	v_mov_b32_e32 v63, v97
	v_mov_b32_e32 v64, v98
	v_add_f64 v[123:124], v[123:124], -v[99:100]
.LBB86_587:
	s_or_b64 exec, exec, s[0:1]
	v_lshl_add_u32 v97, v96, 4, v94
	s_barrier
	ds_write2_b64 v97, v[57:58], v[59:60] offset1:1
	s_waitcnt lgkmcnt(0)
	s_barrier
	ds_read2_b64 v[117:120], v94 offset0:56 offset1:57
	s_cmp_lt_i32 s3, 30
	v_mov_b32_e32 v97, 28
	s_cbranch_scc1 .LBB86_590
; %bb.588:
	v_add_u32_e32 v98, 0x1d0, v94
	s_mov_b32 s0, 29
	v_mov_b32_e32 v97, 28
.LBB86_589:                             ; =>This Inner Loop Header: Depth=1
	s_waitcnt lgkmcnt(0)
	v_cmp_gt_f64_e32 vcc, 0, v[117:118]
	v_xor_b32_e32 v103, 0x80000000, v118
	ds_read2_b64 v[99:102], v98 offset1:1
	v_xor_b32_e32 v105, 0x80000000, v120
	v_add_u32_e32 v98, 16, v98
	s_waitcnt lgkmcnt(0)
	v_xor_b32_e32 v107, 0x80000000, v102
	v_cndmask_b32_e32 v104, v118, v103, vcc
	v_cmp_gt_f64_e32 vcc, 0, v[119:120]
	v_mov_b32_e32 v103, v117
	v_cndmask_b32_e32 v106, v120, v105, vcc
	v_cmp_gt_f64_e32 vcc, 0, v[99:100]
	v_mov_b32_e32 v105, v119
	v_add_f64 v[103:104], v[103:104], v[105:106]
	v_xor_b32_e32 v105, 0x80000000, v100
	v_cndmask_b32_e32 v106, v100, v105, vcc
	v_cmp_gt_f64_e32 vcc, 0, v[101:102]
	v_mov_b32_e32 v105, v99
	v_cndmask_b32_e32 v108, v102, v107, vcc
	v_mov_b32_e32 v107, v101
	v_add_f64 v[105:106], v[105:106], v[107:108]
	v_cmp_lt_f64_e32 vcc, v[103:104], v[105:106]
	v_cndmask_b32_e32 v117, v117, v99, vcc
	v_mov_b32_e32 v99, s0
	s_add_i32 s0, s0, 1
	v_cndmask_b32_e32 v118, v118, v100, vcc
	v_cndmask_b32_e32 v120, v120, v102, vcc
	;; [unrolled: 1-line block ×4, first 2 shown]
	s_cmp_lg_u32 s3, s0
	s_cbranch_scc1 .LBB86_589
.LBB86_590:
	s_waitcnt lgkmcnt(0)
	v_cmp_eq_f64_e32 vcc, 0, v[117:118]
	v_cmp_eq_f64_e64 s[0:1], 0, v[119:120]
	s_and_b64 s[0:1], vcc, s[0:1]
	s_and_saveexec_b64 s[18:19], s[0:1]
	s_xor_b64 s[0:1], exec, s[18:19]
; %bb.591:
	v_cmp_ne_u32_e32 vcc, 0, v95
	v_cndmask_b32_e32 v95, 29, v95, vcc
; %bb.592:
	s_andn2_saveexec_b64 s[0:1], s[0:1]
	s_cbranch_execz .LBB86_598
; %bb.593:
	v_cmp_ngt_f64_e64 s[18:19], |v[117:118]|, |v[119:120]|
	s_and_saveexec_b64 s[20:21], s[18:19]
	s_xor_b64 s[18:19], exec, s[20:21]
	s_cbranch_execz .LBB86_595
; %bb.594:
	v_div_scale_f64 v[98:99], s[20:21], v[119:120], v[119:120], v[117:118]
	v_rcp_f64_e32 v[100:101], v[98:99]
	v_fma_f64 v[102:103], -v[98:99], v[100:101], 1.0
	v_fma_f64 v[100:101], v[100:101], v[102:103], v[100:101]
	v_div_scale_f64 v[102:103], vcc, v[117:118], v[119:120], v[117:118]
	v_fma_f64 v[104:105], -v[98:99], v[100:101], 1.0
	v_fma_f64 v[100:101], v[100:101], v[104:105], v[100:101]
	v_mul_f64 v[104:105], v[102:103], v[100:101]
	v_fma_f64 v[98:99], -v[98:99], v[104:105], v[102:103]
	v_div_fmas_f64 v[98:99], v[98:99], v[100:101], v[104:105]
	v_div_fixup_f64 v[98:99], v[98:99], v[119:120], v[117:118]
	v_fma_f64 v[100:101], v[117:118], v[98:99], v[119:120]
	v_div_scale_f64 v[102:103], s[20:21], v[100:101], v[100:101], 1.0
	v_div_scale_f64 v[108:109], vcc, 1.0, v[100:101], 1.0
	v_rcp_f64_e32 v[104:105], v[102:103]
	v_fma_f64 v[106:107], -v[102:103], v[104:105], 1.0
	v_fma_f64 v[104:105], v[104:105], v[106:107], v[104:105]
	v_fma_f64 v[106:107], -v[102:103], v[104:105], 1.0
	v_fma_f64 v[104:105], v[104:105], v[106:107], v[104:105]
	v_mul_f64 v[106:107], v[108:109], v[104:105]
	v_fma_f64 v[102:103], -v[102:103], v[106:107], v[108:109]
	v_div_fmas_f64 v[102:103], v[102:103], v[104:105], v[106:107]
	v_div_fixup_f64 v[119:120], v[102:103], v[100:101], 1.0
	v_mul_f64 v[117:118], v[98:99], v[119:120]
	v_xor_b32_e32 v120, 0x80000000, v120
.LBB86_595:
	s_andn2_saveexec_b64 s[18:19], s[18:19]
	s_cbranch_execz .LBB86_597
; %bb.596:
	v_div_scale_f64 v[98:99], s[20:21], v[117:118], v[117:118], v[119:120]
	v_rcp_f64_e32 v[100:101], v[98:99]
	v_fma_f64 v[102:103], -v[98:99], v[100:101], 1.0
	v_fma_f64 v[100:101], v[100:101], v[102:103], v[100:101]
	v_div_scale_f64 v[102:103], vcc, v[119:120], v[117:118], v[119:120]
	v_fma_f64 v[104:105], -v[98:99], v[100:101], 1.0
	v_fma_f64 v[100:101], v[100:101], v[104:105], v[100:101]
	v_mul_f64 v[104:105], v[102:103], v[100:101]
	v_fma_f64 v[98:99], -v[98:99], v[104:105], v[102:103]
	v_div_fmas_f64 v[98:99], v[98:99], v[100:101], v[104:105]
	v_div_fixup_f64 v[98:99], v[98:99], v[117:118], v[119:120]
	v_fma_f64 v[100:101], v[119:120], v[98:99], v[117:118]
	v_div_scale_f64 v[102:103], s[20:21], v[100:101], v[100:101], 1.0
	v_div_scale_f64 v[108:109], vcc, 1.0, v[100:101], 1.0
	v_rcp_f64_e32 v[104:105], v[102:103]
	v_fma_f64 v[106:107], -v[102:103], v[104:105], 1.0
	v_fma_f64 v[104:105], v[104:105], v[106:107], v[104:105]
	v_fma_f64 v[106:107], -v[102:103], v[104:105], 1.0
	v_fma_f64 v[104:105], v[104:105], v[106:107], v[104:105]
	v_mul_f64 v[106:107], v[108:109], v[104:105]
	v_fma_f64 v[102:103], -v[102:103], v[106:107], v[108:109]
	v_div_fmas_f64 v[102:103], v[102:103], v[104:105], v[106:107]
	v_div_fixup_f64 v[117:118], v[102:103], v[100:101], 1.0
	v_mul_f64 v[119:120], v[98:99], -v[117:118]
.LBB86_597:
	s_or_b64 exec, exec, s[18:19]
.LBB86_598:
	s_or_b64 exec, exec, s[0:1]
	v_cmp_ne_u32_e32 vcc, v96, v97
	s_and_saveexec_b64 s[0:1], vcc
	s_xor_b64 s[0:1], exec, s[0:1]
	s_cbranch_execz .LBB86_604
; %bb.599:
	v_cmp_eq_u32_e32 vcc, 28, v96
	s_and_saveexec_b64 s[18:19], vcc
	s_cbranch_execz .LBB86_603
; %bb.600:
	v_cmp_ne_u32_e32 vcc, 28, v97
	s_xor_b64 s[20:21], s[6:7], -1
	s_and_b64 s[22:23], s[20:21], vcc
	s_and_saveexec_b64 s[20:21], s[22:23]
	s_cbranch_execz .LBB86_602
; %bb.601:
	v_ashrrev_i32_e32 v98, 31, v97
	v_lshlrev_b64 v[98:99], 2, v[97:98]
	v_add_co_u32_e32 v98, vcc, v91, v98
	v_addc_co_u32_e32 v99, vcc, v92, v99, vcc
	global_load_dword v0, v[98:99], off
	global_load_dword v96, v[91:92], off offset:112
	s_waitcnt vmcnt(1)
	global_store_dword v[91:92], v0, off offset:112
	s_waitcnt vmcnt(1)
	global_store_dword v[98:99], v96, off
.LBB86_602:
	s_or_b64 exec, exec, s[20:21]
	v_mov_b32_e32 v96, v97
	v_mov_b32_e32 v0, v97
.LBB86_603:
	s_or_b64 exec, exec, s[18:19]
.LBB86_604:
	s_andn2_saveexec_b64 s[0:1], s[0:1]
	s_cbranch_execz .LBB86_606
; %bb.605:
	v_mov_b32_e32 v96, 28
	ds_write2_b64 v94, v[53:54], v[55:56] offset0:58 offset1:59
	ds_write2_b64 v94, v[49:50], v[51:52] offset0:60 offset1:61
	;; [unrolled: 1-line block ×15, first 2 shown]
.LBB86_606:
	s_or_b64 exec, exec, s[0:1]
	v_cmp_lt_i32_e32 vcc, 28, v96
	s_waitcnt vmcnt(0) lgkmcnt(0)
	s_barrier
	s_and_saveexec_b64 s[0:1], vcc
	s_cbranch_execz .LBB86_608
; %bb.607:
	v_mul_f64 v[97:98], v[117:118], v[59:60]
	v_mul_f64 v[59:60], v[119:120], v[59:60]
	ds_read2_b64 v[99:102], v94 offset0:58 offset1:59
	v_fma_f64 v[97:98], v[119:120], v[57:58], v[97:98]
	v_fma_f64 v[57:58], v[117:118], v[57:58], -v[59:60]
	s_waitcnt lgkmcnt(0)
	v_mul_f64 v[59:60], v[101:102], v[97:98]
	v_fma_f64 v[59:60], v[99:100], v[57:58], -v[59:60]
	v_mul_f64 v[99:100], v[99:100], v[97:98]
	v_add_f64 v[53:54], v[53:54], -v[59:60]
	v_fma_f64 v[99:100], v[101:102], v[57:58], v[99:100]
	v_add_f64 v[55:56], v[55:56], -v[99:100]
	ds_read2_b64 v[99:102], v94 offset0:60 offset1:61
	s_waitcnt lgkmcnt(0)
	v_mul_f64 v[59:60], v[101:102], v[97:98]
	v_fma_f64 v[59:60], v[99:100], v[57:58], -v[59:60]
	v_mul_f64 v[99:100], v[99:100], v[97:98]
	v_add_f64 v[49:50], v[49:50], -v[59:60]
	v_fma_f64 v[99:100], v[101:102], v[57:58], v[99:100]
	v_add_f64 v[51:52], v[51:52], -v[99:100]
	ds_read2_b64 v[99:102], v94 offset0:62 offset1:63
	;; [unrolled: 8-line block ×14, first 2 shown]
	s_waitcnt lgkmcnt(0)
	v_mul_f64 v[59:60], v[101:102], v[97:98]
	v_fma_f64 v[59:60], v[99:100], v[57:58], -v[59:60]
	v_mul_f64 v[99:100], v[99:100], v[97:98]
	v_add_f64 v[121:122], v[121:122], -v[59:60]
	v_fma_f64 v[99:100], v[101:102], v[57:58], v[99:100]
	v_mov_b32_e32 v59, v97
	v_mov_b32_e32 v60, v98
	v_add_f64 v[123:124], v[123:124], -v[99:100]
.LBB86_608:
	s_or_b64 exec, exec, s[0:1]
	v_lshl_add_u32 v97, v96, 4, v94
	s_barrier
	ds_write2_b64 v97, v[53:54], v[55:56] offset1:1
	s_waitcnt lgkmcnt(0)
	s_barrier
	ds_read2_b64 v[117:120], v94 offset0:58 offset1:59
	s_cmp_lt_i32 s3, 31
	v_mov_b32_e32 v97, 29
	s_cbranch_scc1 .LBB86_611
; %bb.609:
	v_add_u32_e32 v98, 0x1e0, v94
	s_mov_b32 s0, 30
	v_mov_b32_e32 v97, 29
.LBB86_610:                             ; =>This Inner Loop Header: Depth=1
	s_waitcnt lgkmcnt(0)
	v_cmp_gt_f64_e32 vcc, 0, v[117:118]
	v_xor_b32_e32 v103, 0x80000000, v118
	ds_read2_b64 v[99:102], v98 offset1:1
	v_xor_b32_e32 v105, 0x80000000, v120
	v_add_u32_e32 v98, 16, v98
	s_waitcnt lgkmcnt(0)
	v_xor_b32_e32 v107, 0x80000000, v102
	v_cndmask_b32_e32 v104, v118, v103, vcc
	v_cmp_gt_f64_e32 vcc, 0, v[119:120]
	v_mov_b32_e32 v103, v117
	v_cndmask_b32_e32 v106, v120, v105, vcc
	v_cmp_gt_f64_e32 vcc, 0, v[99:100]
	v_mov_b32_e32 v105, v119
	v_add_f64 v[103:104], v[103:104], v[105:106]
	v_xor_b32_e32 v105, 0x80000000, v100
	v_cndmask_b32_e32 v106, v100, v105, vcc
	v_cmp_gt_f64_e32 vcc, 0, v[101:102]
	v_mov_b32_e32 v105, v99
	v_cndmask_b32_e32 v108, v102, v107, vcc
	v_mov_b32_e32 v107, v101
	v_add_f64 v[105:106], v[105:106], v[107:108]
	v_cmp_lt_f64_e32 vcc, v[103:104], v[105:106]
	v_cndmask_b32_e32 v117, v117, v99, vcc
	v_mov_b32_e32 v99, s0
	s_add_i32 s0, s0, 1
	v_cndmask_b32_e32 v118, v118, v100, vcc
	v_cndmask_b32_e32 v120, v120, v102, vcc
	;; [unrolled: 1-line block ×4, first 2 shown]
	s_cmp_lg_u32 s3, s0
	s_cbranch_scc1 .LBB86_610
.LBB86_611:
	s_waitcnt lgkmcnt(0)
	v_cmp_eq_f64_e32 vcc, 0, v[117:118]
	v_cmp_eq_f64_e64 s[0:1], 0, v[119:120]
	s_and_b64 s[0:1], vcc, s[0:1]
	s_and_saveexec_b64 s[18:19], s[0:1]
	s_xor_b64 s[0:1], exec, s[18:19]
; %bb.612:
	v_cmp_ne_u32_e32 vcc, 0, v95
	v_cndmask_b32_e32 v95, 30, v95, vcc
; %bb.613:
	s_andn2_saveexec_b64 s[0:1], s[0:1]
	s_cbranch_execz .LBB86_619
; %bb.614:
	v_cmp_ngt_f64_e64 s[18:19], |v[117:118]|, |v[119:120]|
	s_and_saveexec_b64 s[20:21], s[18:19]
	s_xor_b64 s[18:19], exec, s[20:21]
	s_cbranch_execz .LBB86_616
; %bb.615:
	v_div_scale_f64 v[98:99], s[20:21], v[119:120], v[119:120], v[117:118]
	v_rcp_f64_e32 v[100:101], v[98:99]
	v_fma_f64 v[102:103], -v[98:99], v[100:101], 1.0
	v_fma_f64 v[100:101], v[100:101], v[102:103], v[100:101]
	v_div_scale_f64 v[102:103], vcc, v[117:118], v[119:120], v[117:118]
	v_fma_f64 v[104:105], -v[98:99], v[100:101], 1.0
	v_fma_f64 v[100:101], v[100:101], v[104:105], v[100:101]
	v_mul_f64 v[104:105], v[102:103], v[100:101]
	v_fma_f64 v[98:99], -v[98:99], v[104:105], v[102:103]
	v_div_fmas_f64 v[98:99], v[98:99], v[100:101], v[104:105]
	v_div_fixup_f64 v[98:99], v[98:99], v[119:120], v[117:118]
	v_fma_f64 v[100:101], v[117:118], v[98:99], v[119:120]
	v_div_scale_f64 v[102:103], s[20:21], v[100:101], v[100:101], 1.0
	v_div_scale_f64 v[108:109], vcc, 1.0, v[100:101], 1.0
	v_rcp_f64_e32 v[104:105], v[102:103]
	v_fma_f64 v[106:107], -v[102:103], v[104:105], 1.0
	v_fma_f64 v[104:105], v[104:105], v[106:107], v[104:105]
	v_fma_f64 v[106:107], -v[102:103], v[104:105], 1.0
	v_fma_f64 v[104:105], v[104:105], v[106:107], v[104:105]
	v_mul_f64 v[106:107], v[108:109], v[104:105]
	v_fma_f64 v[102:103], -v[102:103], v[106:107], v[108:109]
	v_div_fmas_f64 v[102:103], v[102:103], v[104:105], v[106:107]
	v_div_fixup_f64 v[119:120], v[102:103], v[100:101], 1.0
	v_mul_f64 v[117:118], v[98:99], v[119:120]
	v_xor_b32_e32 v120, 0x80000000, v120
.LBB86_616:
	s_andn2_saveexec_b64 s[18:19], s[18:19]
	s_cbranch_execz .LBB86_618
; %bb.617:
	v_div_scale_f64 v[98:99], s[20:21], v[117:118], v[117:118], v[119:120]
	v_rcp_f64_e32 v[100:101], v[98:99]
	v_fma_f64 v[102:103], -v[98:99], v[100:101], 1.0
	v_fma_f64 v[100:101], v[100:101], v[102:103], v[100:101]
	v_div_scale_f64 v[102:103], vcc, v[119:120], v[117:118], v[119:120]
	v_fma_f64 v[104:105], -v[98:99], v[100:101], 1.0
	v_fma_f64 v[100:101], v[100:101], v[104:105], v[100:101]
	v_mul_f64 v[104:105], v[102:103], v[100:101]
	v_fma_f64 v[98:99], -v[98:99], v[104:105], v[102:103]
	v_div_fmas_f64 v[98:99], v[98:99], v[100:101], v[104:105]
	v_div_fixup_f64 v[98:99], v[98:99], v[117:118], v[119:120]
	v_fma_f64 v[100:101], v[119:120], v[98:99], v[117:118]
	v_div_scale_f64 v[102:103], s[20:21], v[100:101], v[100:101], 1.0
	v_div_scale_f64 v[108:109], vcc, 1.0, v[100:101], 1.0
	v_rcp_f64_e32 v[104:105], v[102:103]
	v_fma_f64 v[106:107], -v[102:103], v[104:105], 1.0
	v_fma_f64 v[104:105], v[104:105], v[106:107], v[104:105]
	v_fma_f64 v[106:107], -v[102:103], v[104:105], 1.0
	v_fma_f64 v[104:105], v[104:105], v[106:107], v[104:105]
	v_mul_f64 v[106:107], v[108:109], v[104:105]
	v_fma_f64 v[102:103], -v[102:103], v[106:107], v[108:109]
	v_div_fmas_f64 v[102:103], v[102:103], v[104:105], v[106:107]
	v_div_fixup_f64 v[117:118], v[102:103], v[100:101], 1.0
	v_mul_f64 v[119:120], v[98:99], -v[117:118]
.LBB86_618:
	s_or_b64 exec, exec, s[18:19]
.LBB86_619:
	s_or_b64 exec, exec, s[0:1]
	v_cmp_ne_u32_e32 vcc, v96, v97
	s_and_saveexec_b64 s[0:1], vcc
	s_xor_b64 s[0:1], exec, s[0:1]
	s_cbranch_execz .LBB86_625
; %bb.620:
	v_cmp_eq_u32_e32 vcc, 29, v96
	s_and_saveexec_b64 s[18:19], vcc
	s_cbranch_execz .LBB86_624
; %bb.621:
	v_cmp_ne_u32_e32 vcc, 29, v97
	s_xor_b64 s[20:21], s[6:7], -1
	s_and_b64 s[22:23], s[20:21], vcc
	s_and_saveexec_b64 s[20:21], s[22:23]
	s_cbranch_execz .LBB86_623
; %bb.622:
	v_ashrrev_i32_e32 v98, 31, v97
	v_lshlrev_b64 v[98:99], 2, v[97:98]
	v_add_co_u32_e32 v98, vcc, v91, v98
	v_addc_co_u32_e32 v99, vcc, v92, v99, vcc
	global_load_dword v0, v[98:99], off
	global_load_dword v96, v[91:92], off offset:116
	s_waitcnt vmcnt(1)
	global_store_dword v[91:92], v0, off offset:116
	s_waitcnt vmcnt(1)
	global_store_dword v[98:99], v96, off
.LBB86_623:
	s_or_b64 exec, exec, s[20:21]
	v_mov_b32_e32 v96, v97
	v_mov_b32_e32 v0, v97
.LBB86_624:
	s_or_b64 exec, exec, s[18:19]
.LBB86_625:
	s_andn2_saveexec_b64 s[0:1], s[0:1]
	s_cbranch_execz .LBB86_627
; %bb.626:
	v_mov_b32_e32 v96, 29
	ds_write2_b64 v94, v[49:50], v[51:52] offset0:60 offset1:61
	ds_write2_b64 v94, v[45:46], v[47:48] offset0:62 offset1:63
	;; [unrolled: 1-line block ×14, first 2 shown]
.LBB86_627:
	s_or_b64 exec, exec, s[0:1]
	v_cmp_lt_i32_e32 vcc, 29, v96
	s_waitcnt vmcnt(0) lgkmcnt(0)
	s_barrier
	s_and_saveexec_b64 s[0:1], vcc
	s_cbranch_execz .LBB86_629
; %bb.628:
	v_mul_f64 v[97:98], v[117:118], v[55:56]
	v_mul_f64 v[55:56], v[119:120], v[55:56]
	ds_read2_b64 v[99:102], v94 offset0:60 offset1:61
	v_fma_f64 v[97:98], v[119:120], v[53:54], v[97:98]
	v_fma_f64 v[53:54], v[117:118], v[53:54], -v[55:56]
	s_waitcnt lgkmcnt(0)
	v_mul_f64 v[55:56], v[101:102], v[97:98]
	v_fma_f64 v[55:56], v[99:100], v[53:54], -v[55:56]
	v_mul_f64 v[99:100], v[99:100], v[97:98]
	v_add_f64 v[49:50], v[49:50], -v[55:56]
	v_fma_f64 v[99:100], v[101:102], v[53:54], v[99:100]
	v_add_f64 v[51:52], v[51:52], -v[99:100]
	ds_read2_b64 v[99:102], v94 offset0:62 offset1:63
	s_waitcnt lgkmcnt(0)
	v_mul_f64 v[55:56], v[101:102], v[97:98]
	v_fma_f64 v[55:56], v[99:100], v[53:54], -v[55:56]
	v_mul_f64 v[99:100], v[99:100], v[97:98]
	v_add_f64 v[45:46], v[45:46], -v[55:56]
	v_fma_f64 v[99:100], v[101:102], v[53:54], v[99:100]
	v_add_f64 v[47:48], v[47:48], -v[99:100]
	ds_read2_b64 v[99:102], v94 offset0:64 offset1:65
	;; [unrolled: 8-line block ×13, first 2 shown]
	s_waitcnt lgkmcnt(0)
	v_mul_f64 v[55:56], v[101:102], v[97:98]
	v_fma_f64 v[55:56], v[99:100], v[53:54], -v[55:56]
	v_mul_f64 v[99:100], v[99:100], v[97:98]
	v_add_f64 v[121:122], v[121:122], -v[55:56]
	v_fma_f64 v[99:100], v[101:102], v[53:54], v[99:100]
	v_mov_b32_e32 v55, v97
	v_mov_b32_e32 v56, v98
	v_add_f64 v[123:124], v[123:124], -v[99:100]
.LBB86_629:
	s_or_b64 exec, exec, s[0:1]
	v_lshl_add_u32 v97, v96, 4, v94
	s_barrier
	ds_write2_b64 v97, v[49:50], v[51:52] offset1:1
	s_waitcnt lgkmcnt(0)
	s_barrier
	ds_read2_b64 v[117:120], v94 offset0:60 offset1:61
	s_cmp_lt_i32 s3, 32
	v_mov_b32_e32 v97, 30
	s_cbranch_scc1 .LBB86_632
; %bb.630:
	v_add_u32_e32 v98, 0x1f0, v94
	s_mov_b32 s0, 31
	v_mov_b32_e32 v97, 30
.LBB86_631:                             ; =>This Inner Loop Header: Depth=1
	s_waitcnt lgkmcnt(0)
	v_cmp_gt_f64_e32 vcc, 0, v[117:118]
	v_xor_b32_e32 v103, 0x80000000, v118
	ds_read2_b64 v[99:102], v98 offset1:1
	v_xor_b32_e32 v105, 0x80000000, v120
	v_add_u32_e32 v98, 16, v98
	s_waitcnt lgkmcnt(0)
	v_xor_b32_e32 v107, 0x80000000, v102
	v_cndmask_b32_e32 v104, v118, v103, vcc
	v_cmp_gt_f64_e32 vcc, 0, v[119:120]
	v_mov_b32_e32 v103, v117
	v_cndmask_b32_e32 v106, v120, v105, vcc
	v_cmp_gt_f64_e32 vcc, 0, v[99:100]
	v_mov_b32_e32 v105, v119
	v_add_f64 v[103:104], v[103:104], v[105:106]
	v_xor_b32_e32 v105, 0x80000000, v100
	v_cndmask_b32_e32 v106, v100, v105, vcc
	v_cmp_gt_f64_e32 vcc, 0, v[101:102]
	v_mov_b32_e32 v105, v99
	v_cndmask_b32_e32 v108, v102, v107, vcc
	v_mov_b32_e32 v107, v101
	v_add_f64 v[105:106], v[105:106], v[107:108]
	v_cmp_lt_f64_e32 vcc, v[103:104], v[105:106]
	v_cndmask_b32_e32 v117, v117, v99, vcc
	v_mov_b32_e32 v99, s0
	s_add_i32 s0, s0, 1
	v_cndmask_b32_e32 v118, v118, v100, vcc
	v_cndmask_b32_e32 v120, v120, v102, vcc
	;; [unrolled: 1-line block ×4, first 2 shown]
	s_cmp_lg_u32 s3, s0
	s_cbranch_scc1 .LBB86_631
.LBB86_632:
	s_waitcnt lgkmcnt(0)
	v_cmp_eq_f64_e32 vcc, 0, v[117:118]
	v_cmp_eq_f64_e64 s[0:1], 0, v[119:120]
	s_and_b64 s[0:1], vcc, s[0:1]
	s_and_saveexec_b64 s[18:19], s[0:1]
	s_xor_b64 s[0:1], exec, s[18:19]
; %bb.633:
	v_cmp_ne_u32_e32 vcc, 0, v95
	v_cndmask_b32_e32 v95, 31, v95, vcc
; %bb.634:
	s_andn2_saveexec_b64 s[0:1], s[0:1]
	s_cbranch_execz .LBB86_640
; %bb.635:
	v_cmp_ngt_f64_e64 s[18:19], |v[117:118]|, |v[119:120]|
	s_and_saveexec_b64 s[20:21], s[18:19]
	s_xor_b64 s[18:19], exec, s[20:21]
	s_cbranch_execz .LBB86_637
; %bb.636:
	v_div_scale_f64 v[98:99], s[20:21], v[119:120], v[119:120], v[117:118]
	v_rcp_f64_e32 v[100:101], v[98:99]
	v_fma_f64 v[102:103], -v[98:99], v[100:101], 1.0
	v_fma_f64 v[100:101], v[100:101], v[102:103], v[100:101]
	v_div_scale_f64 v[102:103], vcc, v[117:118], v[119:120], v[117:118]
	v_fma_f64 v[104:105], -v[98:99], v[100:101], 1.0
	v_fma_f64 v[100:101], v[100:101], v[104:105], v[100:101]
	v_mul_f64 v[104:105], v[102:103], v[100:101]
	v_fma_f64 v[98:99], -v[98:99], v[104:105], v[102:103]
	v_div_fmas_f64 v[98:99], v[98:99], v[100:101], v[104:105]
	v_div_fixup_f64 v[98:99], v[98:99], v[119:120], v[117:118]
	v_fma_f64 v[100:101], v[117:118], v[98:99], v[119:120]
	v_div_scale_f64 v[102:103], s[20:21], v[100:101], v[100:101], 1.0
	v_div_scale_f64 v[108:109], vcc, 1.0, v[100:101], 1.0
	v_rcp_f64_e32 v[104:105], v[102:103]
	v_fma_f64 v[106:107], -v[102:103], v[104:105], 1.0
	v_fma_f64 v[104:105], v[104:105], v[106:107], v[104:105]
	v_fma_f64 v[106:107], -v[102:103], v[104:105], 1.0
	v_fma_f64 v[104:105], v[104:105], v[106:107], v[104:105]
	v_mul_f64 v[106:107], v[108:109], v[104:105]
	v_fma_f64 v[102:103], -v[102:103], v[106:107], v[108:109]
	v_div_fmas_f64 v[102:103], v[102:103], v[104:105], v[106:107]
	v_div_fixup_f64 v[119:120], v[102:103], v[100:101], 1.0
	v_mul_f64 v[117:118], v[98:99], v[119:120]
	v_xor_b32_e32 v120, 0x80000000, v120
.LBB86_637:
	s_andn2_saveexec_b64 s[18:19], s[18:19]
	s_cbranch_execz .LBB86_639
; %bb.638:
	v_div_scale_f64 v[98:99], s[20:21], v[117:118], v[117:118], v[119:120]
	v_rcp_f64_e32 v[100:101], v[98:99]
	v_fma_f64 v[102:103], -v[98:99], v[100:101], 1.0
	v_fma_f64 v[100:101], v[100:101], v[102:103], v[100:101]
	v_div_scale_f64 v[102:103], vcc, v[119:120], v[117:118], v[119:120]
	v_fma_f64 v[104:105], -v[98:99], v[100:101], 1.0
	v_fma_f64 v[100:101], v[100:101], v[104:105], v[100:101]
	v_mul_f64 v[104:105], v[102:103], v[100:101]
	v_fma_f64 v[98:99], -v[98:99], v[104:105], v[102:103]
	v_div_fmas_f64 v[98:99], v[98:99], v[100:101], v[104:105]
	v_div_fixup_f64 v[98:99], v[98:99], v[117:118], v[119:120]
	v_fma_f64 v[100:101], v[119:120], v[98:99], v[117:118]
	v_div_scale_f64 v[102:103], s[20:21], v[100:101], v[100:101], 1.0
	v_div_scale_f64 v[108:109], vcc, 1.0, v[100:101], 1.0
	v_rcp_f64_e32 v[104:105], v[102:103]
	v_fma_f64 v[106:107], -v[102:103], v[104:105], 1.0
	v_fma_f64 v[104:105], v[104:105], v[106:107], v[104:105]
	v_fma_f64 v[106:107], -v[102:103], v[104:105], 1.0
	v_fma_f64 v[104:105], v[104:105], v[106:107], v[104:105]
	v_mul_f64 v[106:107], v[108:109], v[104:105]
	v_fma_f64 v[102:103], -v[102:103], v[106:107], v[108:109]
	v_div_fmas_f64 v[102:103], v[102:103], v[104:105], v[106:107]
	v_div_fixup_f64 v[117:118], v[102:103], v[100:101], 1.0
	v_mul_f64 v[119:120], v[98:99], -v[117:118]
.LBB86_639:
	s_or_b64 exec, exec, s[18:19]
.LBB86_640:
	s_or_b64 exec, exec, s[0:1]
	v_cmp_ne_u32_e32 vcc, v96, v97
	s_and_saveexec_b64 s[0:1], vcc
	s_xor_b64 s[0:1], exec, s[0:1]
	s_cbranch_execz .LBB86_646
; %bb.641:
	v_cmp_eq_u32_e32 vcc, 30, v96
	s_and_saveexec_b64 s[18:19], vcc
	s_cbranch_execz .LBB86_645
; %bb.642:
	v_cmp_ne_u32_e32 vcc, 30, v97
	s_xor_b64 s[20:21], s[6:7], -1
	s_and_b64 s[22:23], s[20:21], vcc
	s_and_saveexec_b64 s[20:21], s[22:23]
	s_cbranch_execz .LBB86_644
; %bb.643:
	v_ashrrev_i32_e32 v98, 31, v97
	v_lshlrev_b64 v[98:99], 2, v[97:98]
	v_add_co_u32_e32 v98, vcc, v91, v98
	v_addc_co_u32_e32 v99, vcc, v92, v99, vcc
	global_load_dword v0, v[98:99], off
	global_load_dword v96, v[91:92], off offset:120
	s_waitcnt vmcnt(1)
	global_store_dword v[91:92], v0, off offset:120
	s_waitcnt vmcnt(1)
	global_store_dword v[98:99], v96, off
.LBB86_644:
	s_or_b64 exec, exec, s[20:21]
	v_mov_b32_e32 v96, v97
	v_mov_b32_e32 v0, v97
.LBB86_645:
	s_or_b64 exec, exec, s[18:19]
.LBB86_646:
	s_andn2_saveexec_b64 s[0:1], s[0:1]
	s_cbranch_execz .LBB86_648
; %bb.647:
	v_mov_b32_e32 v96, 30
	ds_write2_b64 v94, v[45:46], v[47:48] offset0:62 offset1:63
	ds_write2_b64 v94, v[41:42], v[43:44] offset0:64 offset1:65
	;; [unrolled: 1-line block ×13, first 2 shown]
.LBB86_648:
	s_or_b64 exec, exec, s[0:1]
	v_cmp_lt_i32_e32 vcc, 30, v96
	s_waitcnt vmcnt(0) lgkmcnt(0)
	s_barrier
	s_and_saveexec_b64 s[0:1], vcc
	s_cbranch_execz .LBB86_650
; %bb.649:
	v_mul_f64 v[97:98], v[117:118], v[51:52]
	v_mul_f64 v[51:52], v[119:120], v[51:52]
	ds_read2_b64 v[99:102], v94 offset0:62 offset1:63
	v_fma_f64 v[97:98], v[119:120], v[49:50], v[97:98]
	v_fma_f64 v[49:50], v[117:118], v[49:50], -v[51:52]
	s_waitcnt lgkmcnt(0)
	v_mul_f64 v[51:52], v[101:102], v[97:98]
	v_fma_f64 v[51:52], v[99:100], v[49:50], -v[51:52]
	v_mul_f64 v[99:100], v[99:100], v[97:98]
	v_add_f64 v[45:46], v[45:46], -v[51:52]
	v_fma_f64 v[99:100], v[101:102], v[49:50], v[99:100]
	v_add_f64 v[47:48], v[47:48], -v[99:100]
	ds_read2_b64 v[99:102], v94 offset0:64 offset1:65
	s_waitcnt lgkmcnt(0)
	v_mul_f64 v[51:52], v[101:102], v[97:98]
	v_fma_f64 v[51:52], v[99:100], v[49:50], -v[51:52]
	v_mul_f64 v[99:100], v[99:100], v[97:98]
	v_add_f64 v[41:42], v[41:42], -v[51:52]
	v_fma_f64 v[99:100], v[101:102], v[49:50], v[99:100]
	v_add_f64 v[43:44], v[43:44], -v[99:100]
	ds_read2_b64 v[99:102], v94 offset0:66 offset1:67
	;; [unrolled: 8-line block ×12, first 2 shown]
	s_waitcnt lgkmcnt(0)
	v_mul_f64 v[51:52], v[101:102], v[97:98]
	v_fma_f64 v[51:52], v[99:100], v[49:50], -v[51:52]
	v_mul_f64 v[99:100], v[99:100], v[97:98]
	v_add_f64 v[121:122], v[121:122], -v[51:52]
	v_fma_f64 v[99:100], v[101:102], v[49:50], v[99:100]
	v_mov_b32_e32 v51, v97
	v_mov_b32_e32 v52, v98
	v_add_f64 v[123:124], v[123:124], -v[99:100]
.LBB86_650:
	s_or_b64 exec, exec, s[0:1]
	v_lshl_add_u32 v97, v96, 4, v94
	s_barrier
	ds_write2_b64 v97, v[45:46], v[47:48] offset1:1
	s_waitcnt lgkmcnt(0)
	s_barrier
	ds_read2_b64 v[117:120], v94 offset0:62 offset1:63
	s_cmp_lt_i32 s3, 33
	v_mov_b32_e32 v97, 31
	s_cbranch_scc1 .LBB86_653
; %bb.651:
	v_add_u32_e32 v98, 0x200, v94
	s_mov_b32 s0, 32
	v_mov_b32_e32 v97, 31
.LBB86_652:                             ; =>This Inner Loop Header: Depth=1
	s_waitcnt lgkmcnt(0)
	v_cmp_gt_f64_e32 vcc, 0, v[117:118]
	v_xor_b32_e32 v103, 0x80000000, v118
	ds_read2_b64 v[99:102], v98 offset1:1
	v_xor_b32_e32 v105, 0x80000000, v120
	v_add_u32_e32 v98, 16, v98
	s_waitcnt lgkmcnt(0)
	v_xor_b32_e32 v107, 0x80000000, v102
	v_cndmask_b32_e32 v104, v118, v103, vcc
	v_cmp_gt_f64_e32 vcc, 0, v[119:120]
	v_mov_b32_e32 v103, v117
	v_cndmask_b32_e32 v106, v120, v105, vcc
	v_cmp_gt_f64_e32 vcc, 0, v[99:100]
	v_mov_b32_e32 v105, v119
	v_add_f64 v[103:104], v[103:104], v[105:106]
	v_xor_b32_e32 v105, 0x80000000, v100
	v_cndmask_b32_e32 v106, v100, v105, vcc
	v_cmp_gt_f64_e32 vcc, 0, v[101:102]
	v_mov_b32_e32 v105, v99
	v_cndmask_b32_e32 v108, v102, v107, vcc
	v_mov_b32_e32 v107, v101
	v_add_f64 v[105:106], v[105:106], v[107:108]
	v_cmp_lt_f64_e32 vcc, v[103:104], v[105:106]
	v_cndmask_b32_e32 v117, v117, v99, vcc
	v_mov_b32_e32 v99, s0
	s_add_i32 s0, s0, 1
	v_cndmask_b32_e32 v118, v118, v100, vcc
	v_cndmask_b32_e32 v120, v120, v102, vcc
	;; [unrolled: 1-line block ×4, first 2 shown]
	s_cmp_lg_u32 s3, s0
	s_cbranch_scc1 .LBB86_652
.LBB86_653:
	s_waitcnt lgkmcnt(0)
	v_cmp_eq_f64_e32 vcc, 0, v[117:118]
	v_cmp_eq_f64_e64 s[0:1], 0, v[119:120]
	s_and_b64 s[0:1], vcc, s[0:1]
	s_and_saveexec_b64 s[18:19], s[0:1]
	s_xor_b64 s[0:1], exec, s[18:19]
; %bb.654:
	v_cmp_ne_u32_e32 vcc, 0, v95
	v_cndmask_b32_e32 v95, 32, v95, vcc
; %bb.655:
	s_andn2_saveexec_b64 s[0:1], s[0:1]
	s_cbranch_execz .LBB86_661
; %bb.656:
	v_cmp_ngt_f64_e64 s[18:19], |v[117:118]|, |v[119:120]|
	s_and_saveexec_b64 s[20:21], s[18:19]
	s_xor_b64 s[18:19], exec, s[20:21]
	s_cbranch_execz .LBB86_658
; %bb.657:
	v_div_scale_f64 v[98:99], s[20:21], v[119:120], v[119:120], v[117:118]
	v_rcp_f64_e32 v[100:101], v[98:99]
	v_fma_f64 v[102:103], -v[98:99], v[100:101], 1.0
	v_fma_f64 v[100:101], v[100:101], v[102:103], v[100:101]
	v_div_scale_f64 v[102:103], vcc, v[117:118], v[119:120], v[117:118]
	v_fma_f64 v[104:105], -v[98:99], v[100:101], 1.0
	v_fma_f64 v[100:101], v[100:101], v[104:105], v[100:101]
	v_mul_f64 v[104:105], v[102:103], v[100:101]
	v_fma_f64 v[98:99], -v[98:99], v[104:105], v[102:103]
	v_div_fmas_f64 v[98:99], v[98:99], v[100:101], v[104:105]
	v_div_fixup_f64 v[98:99], v[98:99], v[119:120], v[117:118]
	v_fma_f64 v[100:101], v[117:118], v[98:99], v[119:120]
	v_div_scale_f64 v[102:103], s[20:21], v[100:101], v[100:101], 1.0
	v_div_scale_f64 v[108:109], vcc, 1.0, v[100:101], 1.0
	v_rcp_f64_e32 v[104:105], v[102:103]
	v_fma_f64 v[106:107], -v[102:103], v[104:105], 1.0
	v_fma_f64 v[104:105], v[104:105], v[106:107], v[104:105]
	v_fma_f64 v[106:107], -v[102:103], v[104:105], 1.0
	v_fma_f64 v[104:105], v[104:105], v[106:107], v[104:105]
	v_mul_f64 v[106:107], v[108:109], v[104:105]
	v_fma_f64 v[102:103], -v[102:103], v[106:107], v[108:109]
	v_div_fmas_f64 v[102:103], v[102:103], v[104:105], v[106:107]
	v_div_fixup_f64 v[119:120], v[102:103], v[100:101], 1.0
	v_mul_f64 v[117:118], v[98:99], v[119:120]
	v_xor_b32_e32 v120, 0x80000000, v120
.LBB86_658:
	s_andn2_saveexec_b64 s[18:19], s[18:19]
	s_cbranch_execz .LBB86_660
; %bb.659:
	v_div_scale_f64 v[98:99], s[20:21], v[117:118], v[117:118], v[119:120]
	v_rcp_f64_e32 v[100:101], v[98:99]
	v_fma_f64 v[102:103], -v[98:99], v[100:101], 1.0
	v_fma_f64 v[100:101], v[100:101], v[102:103], v[100:101]
	v_div_scale_f64 v[102:103], vcc, v[119:120], v[117:118], v[119:120]
	v_fma_f64 v[104:105], -v[98:99], v[100:101], 1.0
	v_fma_f64 v[100:101], v[100:101], v[104:105], v[100:101]
	v_mul_f64 v[104:105], v[102:103], v[100:101]
	v_fma_f64 v[98:99], -v[98:99], v[104:105], v[102:103]
	v_div_fmas_f64 v[98:99], v[98:99], v[100:101], v[104:105]
	v_div_fixup_f64 v[98:99], v[98:99], v[117:118], v[119:120]
	v_fma_f64 v[100:101], v[119:120], v[98:99], v[117:118]
	v_div_scale_f64 v[102:103], s[20:21], v[100:101], v[100:101], 1.0
	v_div_scale_f64 v[108:109], vcc, 1.0, v[100:101], 1.0
	v_rcp_f64_e32 v[104:105], v[102:103]
	v_fma_f64 v[106:107], -v[102:103], v[104:105], 1.0
	v_fma_f64 v[104:105], v[104:105], v[106:107], v[104:105]
	v_fma_f64 v[106:107], -v[102:103], v[104:105], 1.0
	v_fma_f64 v[104:105], v[104:105], v[106:107], v[104:105]
	v_mul_f64 v[106:107], v[108:109], v[104:105]
	v_fma_f64 v[102:103], -v[102:103], v[106:107], v[108:109]
	v_div_fmas_f64 v[102:103], v[102:103], v[104:105], v[106:107]
	v_div_fixup_f64 v[117:118], v[102:103], v[100:101], 1.0
	v_mul_f64 v[119:120], v[98:99], -v[117:118]
.LBB86_660:
	s_or_b64 exec, exec, s[18:19]
.LBB86_661:
	s_or_b64 exec, exec, s[0:1]
	v_cmp_ne_u32_e32 vcc, v96, v97
	s_and_saveexec_b64 s[0:1], vcc
	s_xor_b64 s[0:1], exec, s[0:1]
	s_cbranch_execz .LBB86_667
; %bb.662:
	v_cmp_eq_u32_e32 vcc, 31, v96
	s_and_saveexec_b64 s[18:19], vcc
	s_cbranch_execz .LBB86_666
; %bb.663:
	v_cmp_ne_u32_e32 vcc, 31, v97
	s_xor_b64 s[20:21], s[6:7], -1
	s_and_b64 s[22:23], s[20:21], vcc
	s_and_saveexec_b64 s[20:21], s[22:23]
	s_cbranch_execz .LBB86_665
; %bb.664:
	v_ashrrev_i32_e32 v98, 31, v97
	v_lshlrev_b64 v[98:99], 2, v[97:98]
	v_add_co_u32_e32 v98, vcc, v91, v98
	v_addc_co_u32_e32 v99, vcc, v92, v99, vcc
	global_load_dword v0, v[98:99], off
	global_load_dword v96, v[91:92], off offset:124
	s_waitcnt vmcnt(1)
	global_store_dword v[91:92], v0, off offset:124
	s_waitcnt vmcnt(1)
	global_store_dword v[98:99], v96, off
.LBB86_665:
	s_or_b64 exec, exec, s[20:21]
	v_mov_b32_e32 v96, v97
	v_mov_b32_e32 v0, v97
.LBB86_666:
	s_or_b64 exec, exec, s[18:19]
.LBB86_667:
	s_andn2_saveexec_b64 s[0:1], s[0:1]
	s_cbranch_execz .LBB86_669
; %bb.668:
	v_mov_b32_e32 v96, 31
	ds_write2_b64 v94, v[41:42], v[43:44] offset0:64 offset1:65
	ds_write2_b64 v94, v[37:38], v[39:40] offset0:66 offset1:67
	;; [unrolled: 1-line block ×12, first 2 shown]
.LBB86_669:
	s_or_b64 exec, exec, s[0:1]
	v_cmp_lt_i32_e32 vcc, 31, v96
	s_waitcnt vmcnt(0) lgkmcnt(0)
	s_barrier
	s_and_saveexec_b64 s[0:1], vcc
	s_cbranch_execz .LBB86_671
; %bb.670:
	v_mul_f64 v[97:98], v[117:118], v[47:48]
	v_mul_f64 v[47:48], v[119:120], v[47:48]
	ds_read2_b64 v[99:102], v94 offset0:64 offset1:65
	v_fma_f64 v[97:98], v[119:120], v[45:46], v[97:98]
	v_fma_f64 v[45:46], v[117:118], v[45:46], -v[47:48]
	s_waitcnt lgkmcnt(0)
	v_mul_f64 v[47:48], v[101:102], v[97:98]
	v_fma_f64 v[47:48], v[99:100], v[45:46], -v[47:48]
	v_mul_f64 v[99:100], v[99:100], v[97:98]
	v_add_f64 v[41:42], v[41:42], -v[47:48]
	v_fma_f64 v[99:100], v[101:102], v[45:46], v[99:100]
	v_add_f64 v[43:44], v[43:44], -v[99:100]
	ds_read2_b64 v[99:102], v94 offset0:66 offset1:67
	s_waitcnt lgkmcnt(0)
	v_mul_f64 v[47:48], v[101:102], v[97:98]
	v_fma_f64 v[47:48], v[99:100], v[45:46], -v[47:48]
	v_mul_f64 v[99:100], v[99:100], v[97:98]
	v_add_f64 v[37:38], v[37:38], -v[47:48]
	v_fma_f64 v[99:100], v[101:102], v[45:46], v[99:100]
	v_add_f64 v[39:40], v[39:40], -v[99:100]
	ds_read2_b64 v[99:102], v94 offset0:68 offset1:69
	s_waitcnt lgkmcnt(0)
	v_mul_f64 v[47:48], v[101:102], v[97:98]
	v_fma_f64 v[47:48], v[99:100], v[45:46], -v[47:48]
	v_mul_f64 v[99:100], v[99:100], v[97:98]
	v_add_f64 v[33:34], v[33:34], -v[47:48]
	v_fma_f64 v[99:100], v[101:102], v[45:46], v[99:100]
	v_add_f64 v[35:36], v[35:36], -v[99:100]
	ds_read2_b64 v[99:102], v94 offset0:70 offset1:71
	s_waitcnt lgkmcnt(0)
	v_mul_f64 v[47:48], v[101:102], v[97:98]
	v_fma_f64 v[47:48], v[99:100], v[45:46], -v[47:48]
	v_mul_f64 v[99:100], v[99:100], v[97:98]
	v_add_f64 v[29:30], v[29:30], -v[47:48]
	v_fma_f64 v[99:100], v[101:102], v[45:46], v[99:100]
	v_add_f64 v[31:32], v[31:32], -v[99:100]
	ds_read2_b64 v[99:102], v94 offset0:72 offset1:73
	s_waitcnt lgkmcnt(0)
	v_mul_f64 v[47:48], v[101:102], v[97:98]
	v_fma_f64 v[47:48], v[99:100], v[45:46], -v[47:48]
	v_mul_f64 v[99:100], v[99:100], v[97:98]
	v_add_f64 v[25:26], v[25:26], -v[47:48]
	v_fma_f64 v[99:100], v[101:102], v[45:46], v[99:100]
	v_add_f64 v[27:28], v[27:28], -v[99:100]
	ds_read2_b64 v[99:102], v94 offset0:74 offset1:75
	s_waitcnt lgkmcnt(0)
	v_mul_f64 v[47:48], v[101:102], v[97:98]
	v_fma_f64 v[47:48], v[99:100], v[45:46], -v[47:48]
	v_mul_f64 v[99:100], v[99:100], v[97:98]
	v_add_f64 v[21:22], v[21:22], -v[47:48]
	v_fma_f64 v[99:100], v[101:102], v[45:46], v[99:100]
	v_add_f64 v[23:24], v[23:24], -v[99:100]
	ds_read2_b64 v[99:102], v94 offset0:76 offset1:77
	s_waitcnt lgkmcnt(0)
	v_mul_f64 v[47:48], v[101:102], v[97:98]
	v_fma_f64 v[47:48], v[99:100], v[45:46], -v[47:48]
	v_mul_f64 v[99:100], v[99:100], v[97:98]
	v_add_f64 v[17:18], v[17:18], -v[47:48]
	v_fma_f64 v[99:100], v[101:102], v[45:46], v[99:100]
	v_add_f64 v[19:20], v[19:20], -v[99:100]
	ds_read2_b64 v[99:102], v94 offset0:78 offset1:79
	s_waitcnt lgkmcnt(0)
	v_mul_f64 v[47:48], v[101:102], v[97:98]
	v_fma_f64 v[47:48], v[99:100], v[45:46], -v[47:48]
	v_mul_f64 v[99:100], v[99:100], v[97:98]
	v_add_f64 v[13:14], v[13:14], -v[47:48]
	v_fma_f64 v[99:100], v[101:102], v[45:46], v[99:100]
	v_add_f64 v[15:16], v[15:16], -v[99:100]
	ds_read2_b64 v[99:102], v94 offset0:80 offset1:81
	s_waitcnt lgkmcnt(0)
	v_mul_f64 v[47:48], v[101:102], v[97:98]
	v_fma_f64 v[47:48], v[99:100], v[45:46], -v[47:48]
	v_mul_f64 v[99:100], v[99:100], v[97:98]
	v_add_f64 v[9:10], v[9:10], -v[47:48]
	v_fma_f64 v[99:100], v[101:102], v[45:46], v[99:100]
	v_add_f64 v[11:12], v[11:12], -v[99:100]
	ds_read2_b64 v[99:102], v94 offset0:82 offset1:83
	s_waitcnt lgkmcnt(0)
	v_mul_f64 v[47:48], v[101:102], v[97:98]
	v_fma_f64 v[47:48], v[99:100], v[45:46], -v[47:48]
	v_mul_f64 v[99:100], v[99:100], v[97:98]
	v_add_f64 v[5:6], v[5:6], -v[47:48]
	v_fma_f64 v[99:100], v[101:102], v[45:46], v[99:100]
	v_add_f64 v[7:8], v[7:8], -v[99:100]
	ds_read2_b64 v[99:102], v94 offset0:84 offset1:85
	s_waitcnt lgkmcnt(0)
	v_mul_f64 v[47:48], v[101:102], v[97:98]
	v_fma_f64 v[47:48], v[99:100], v[45:46], -v[47:48]
	v_mul_f64 v[99:100], v[99:100], v[97:98]
	v_add_f64 v[1:2], v[1:2], -v[47:48]
	v_fma_f64 v[99:100], v[101:102], v[45:46], v[99:100]
	v_add_f64 v[3:4], v[3:4], -v[99:100]
	ds_read2_b64 v[99:102], v94 offset0:86 offset1:87
	s_waitcnt lgkmcnt(0)
	v_mul_f64 v[47:48], v[101:102], v[97:98]
	v_fma_f64 v[47:48], v[99:100], v[45:46], -v[47:48]
	v_mul_f64 v[99:100], v[99:100], v[97:98]
	v_add_f64 v[121:122], v[121:122], -v[47:48]
	v_fma_f64 v[99:100], v[101:102], v[45:46], v[99:100]
	v_mov_b32_e32 v47, v97
	v_mov_b32_e32 v48, v98
	v_add_f64 v[123:124], v[123:124], -v[99:100]
.LBB86_671:
	s_or_b64 exec, exec, s[0:1]
	v_lshl_add_u32 v97, v96, 4, v94
	s_barrier
	ds_write2_b64 v97, v[41:42], v[43:44] offset1:1
	s_waitcnt lgkmcnt(0)
	s_barrier
	ds_read2_b64 v[117:120], v94 offset0:64 offset1:65
	s_cmp_lt_i32 s3, 34
	v_mov_b32_e32 v97, 32
	s_cbranch_scc1 .LBB86_674
; %bb.672:
	v_add_u32_e32 v98, 0x210, v94
	s_mov_b32 s0, 33
	v_mov_b32_e32 v97, 32
.LBB86_673:                             ; =>This Inner Loop Header: Depth=1
	s_waitcnt lgkmcnt(0)
	v_cmp_gt_f64_e32 vcc, 0, v[117:118]
	v_xor_b32_e32 v103, 0x80000000, v118
	ds_read2_b64 v[99:102], v98 offset1:1
	v_xor_b32_e32 v105, 0x80000000, v120
	v_add_u32_e32 v98, 16, v98
	s_waitcnt lgkmcnt(0)
	v_xor_b32_e32 v107, 0x80000000, v102
	v_cndmask_b32_e32 v104, v118, v103, vcc
	v_cmp_gt_f64_e32 vcc, 0, v[119:120]
	v_mov_b32_e32 v103, v117
	v_cndmask_b32_e32 v106, v120, v105, vcc
	v_cmp_gt_f64_e32 vcc, 0, v[99:100]
	v_mov_b32_e32 v105, v119
	v_add_f64 v[103:104], v[103:104], v[105:106]
	v_xor_b32_e32 v105, 0x80000000, v100
	v_cndmask_b32_e32 v106, v100, v105, vcc
	v_cmp_gt_f64_e32 vcc, 0, v[101:102]
	v_mov_b32_e32 v105, v99
	v_cndmask_b32_e32 v108, v102, v107, vcc
	v_mov_b32_e32 v107, v101
	v_add_f64 v[105:106], v[105:106], v[107:108]
	v_cmp_lt_f64_e32 vcc, v[103:104], v[105:106]
	v_cndmask_b32_e32 v117, v117, v99, vcc
	v_mov_b32_e32 v99, s0
	s_add_i32 s0, s0, 1
	v_cndmask_b32_e32 v118, v118, v100, vcc
	v_cndmask_b32_e32 v120, v120, v102, vcc
	;; [unrolled: 1-line block ×4, first 2 shown]
	s_cmp_lg_u32 s3, s0
	s_cbranch_scc1 .LBB86_673
.LBB86_674:
	s_waitcnt lgkmcnt(0)
	v_cmp_eq_f64_e32 vcc, 0, v[117:118]
	v_cmp_eq_f64_e64 s[0:1], 0, v[119:120]
	s_and_b64 s[0:1], vcc, s[0:1]
	s_and_saveexec_b64 s[18:19], s[0:1]
	s_xor_b64 s[0:1], exec, s[18:19]
; %bb.675:
	v_cmp_ne_u32_e32 vcc, 0, v95
	v_cndmask_b32_e32 v95, 33, v95, vcc
; %bb.676:
	s_andn2_saveexec_b64 s[0:1], s[0:1]
	s_cbranch_execz .LBB86_682
; %bb.677:
	v_cmp_ngt_f64_e64 s[18:19], |v[117:118]|, |v[119:120]|
	s_and_saveexec_b64 s[20:21], s[18:19]
	s_xor_b64 s[18:19], exec, s[20:21]
	s_cbranch_execz .LBB86_679
; %bb.678:
	v_div_scale_f64 v[98:99], s[20:21], v[119:120], v[119:120], v[117:118]
	v_rcp_f64_e32 v[100:101], v[98:99]
	v_fma_f64 v[102:103], -v[98:99], v[100:101], 1.0
	v_fma_f64 v[100:101], v[100:101], v[102:103], v[100:101]
	v_div_scale_f64 v[102:103], vcc, v[117:118], v[119:120], v[117:118]
	v_fma_f64 v[104:105], -v[98:99], v[100:101], 1.0
	v_fma_f64 v[100:101], v[100:101], v[104:105], v[100:101]
	v_mul_f64 v[104:105], v[102:103], v[100:101]
	v_fma_f64 v[98:99], -v[98:99], v[104:105], v[102:103]
	v_div_fmas_f64 v[98:99], v[98:99], v[100:101], v[104:105]
	v_div_fixup_f64 v[98:99], v[98:99], v[119:120], v[117:118]
	v_fma_f64 v[100:101], v[117:118], v[98:99], v[119:120]
	v_div_scale_f64 v[102:103], s[20:21], v[100:101], v[100:101], 1.0
	v_div_scale_f64 v[108:109], vcc, 1.0, v[100:101], 1.0
	v_rcp_f64_e32 v[104:105], v[102:103]
	v_fma_f64 v[106:107], -v[102:103], v[104:105], 1.0
	v_fma_f64 v[104:105], v[104:105], v[106:107], v[104:105]
	v_fma_f64 v[106:107], -v[102:103], v[104:105], 1.0
	v_fma_f64 v[104:105], v[104:105], v[106:107], v[104:105]
	v_mul_f64 v[106:107], v[108:109], v[104:105]
	v_fma_f64 v[102:103], -v[102:103], v[106:107], v[108:109]
	v_div_fmas_f64 v[102:103], v[102:103], v[104:105], v[106:107]
	v_div_fixup_f64 v[119:120], v[102:103], v[100:101], 1.0
	v_mul_f64 v[117:118], v[98:99], v[119:120]
	v_xor_b32_e32 v120, 0x80000000, v120
.LBB86_679:
	s_andn2_saveexec_b64 s[18:19], s[18:19]
	s_cbranch_execz .LBB86_681
; %bb.680:
	v_div_scale_f64 v[98:99], s[20:21], v[117:118], v[117:118], v[119:120]
	v_rcp_f64_e32 v[100:101], v[98:99]
	v_fma_f64 v[102:103], -v[98:99], v[100:101], 1.0
	v_fma_f64 v[100:101], v[100:101], v[102:103], v[100:101]
	v_div_scale_f64 v[102:103], vcc, v[119:120], v[117:118], v[119:120]
	v_fma_f64 v[104:105], -v[98:99], v[100:101], 1.0
	v_fma_f64 v[100:101], v[100:101], v[104:105], v[100:101]
	v_mul_f64 v[104:105], v[102:103], v[100:101]
	v_fma_f64 v[98:99], -v[98:99], v[104:105], v[102:103]
	v_div_fmas_f64 v[98:99], v[98:99], v[100:101], v[104:105]
	v_div_fixup_f64 v[98:99], v[98:99], v[117:118], v[119:120]
	v_fma_f64 v[100:101], v[119:120], v[98:99], v[117:118]
	v_div_scale_f64 v[102:103], s[20:21], v[100:101], v[100:101], 1.0
	v_div_scale_f64 v[108:109], vcc, 1.0, v[100:101], 1.0
	v_rcp_f64_e32 v[104:105], v[102:103]
	v_fma_f64 v[106:107], -v[102:103], v[104:105], 1.0
	v_fma_f64 v[104:105], v[104:105], v[106:107], v[104:105]
	v_fma_f64 v[106:107], -v[102:103], v[104:105], 1.0
	v_fma_f64 v[104:105], v[104:105], v[106:107], v[104:105]
	v_mul_f64 v[106:107], v[108:109], v[104:105]
	v_fma_f64 v[102:103], -v[102:103], v[106:107], v[108:109]
	v_div_fmas_f64 v[102:103], v[102:103], v[104:105], v[106:107]
	v_div_fixup_f64 v[117:118], v[102:103], v[100:101], 1.0
	v_mul_f64 v[119:120], v[98:99], -v[117:118]
.LBB86_681:
	s_or_b64 exec, exec, s[18:19]
.LBB86_682:
	s_or_b64 exec, exec, s[0:1]
	v_cmp_ne_u32_e32 vcc, v96, v97
	s_and_saveexec_b64 s[0:1], vcc
	s_xor_b64 s[0:1], exec, s[0:1]
	s_cbranch_execz .LBB86_688
; %bb.683:
	v_cmp_eq_u32_e32 vcc, 32, v96
	s_and_saveexec_b64 s[18:19], vcc
	s_cbranch_execz .LBB86_687
; %bb.684:
	v_cmp_ne_u32_e32 vcc, 32, v97
	s_xor_b64 s[20:21], s[6:7], -1
	s_and_b64 s[22:23], s[20:21], vcc
	s_and_saveexec_b64 s[20:21], s[22:23]
	s_cbranch_execz .LBB86_686
; %bb.685:
	v_ashrrev_i32_e32 v98, 31, v97
	v_lshlrev_b64 v[98:99], 2, v[97:98]
	v_add_co_u32_e32 v98, vcc, v91, v98
	v_addc_co_u32_e32 v99, vcc, v92, v99, vcc
	global_load_dword v0, v[98:99], off
	global_load_dword v96, v[91:92], off offset:128
	s_waitcnt vmcnt(1)
	global_store_dword v[91:92], v0, off offset:128
	s_waitcnt vmcnt(1)
	global_store_dword v[98:99], v96, off
.LBB86_686:
	s_or_b64 exec, exec, s[20:21]
	v_mov_b32_e32 v96, v97
	v_mov_b32_e32 v0, v97
.LBB86_687:
	s_or_b64 exec, exec, s[18:19]
.LBB86_688:
	s_andn2_saveexec_b64 s[0:1], s[0:1]
	s_cbranch_execz .LBB86_690
; %bb.689:
	v_mov_b32_e32 v96, 32
	ds_write2_b64 v94, v[37:38], v[39:40] offset0:66 offset1:67
	ds_write2_b64 v94, v[33:34], v[35:36] offset0:68 offset1:69
	;; [unrolled: 1-line block ×11, first 2 shown]
.LBB86_690:
	s_or_b64 exec, exec, s[0:1]
	v_cmp_lt_i32_e32 vcc, 32, v96
	s_waitcnt vmcnt(0) lgkmcnt(0)
	s_barrier
	s_and_saveexec_b64 s[0:1], vcc
	s_cbranch_execz .LBB86_692
; %bb.691:
	v_mul_f64 v[97:98], v[117:118], v[43:44]
	v_mul_f64 v[43:44], v[119:120], v[43:44]
	ds_read2_b64 v[99:102], v94 offset0:66 offset1:67
	v_fma_f64 v[97:98], v[119:120], v[41:42], v[97:98]
	v_fma_f64 v[41:42], v[117:118], v[41:42], -v[43:44]
	s_waitcnt lgkmcnt(0)
	v_mul_f64 v[43:44], v[101:102], v[97:98]
	v_fma_f64 v[43:44], v[99:100], v[41:42], -v[43:44]
	v_mul_f64 v[99:100], v[99:100], v[97:98]
	v_add_f64 v[37:38], v[37:38], -v[43:44]
	v_fma_f64 v[99:100], v[101:102], v[41:42], v[99:100]
	v_add_f64 v[39:40], v[39:40], -v[99:100]
	ds_read2_b64 v[99:102], v94 offset0:68 offset1:69
	s_waitcnt lgkmcnt(0)
	v_mul_f64 v[43:44], v[101:102], v[97:98]
	v_fma_f64 v[43:44], v[99:100], v[41:42], -v[43:44]
	v_mul_f64 v[99:100], v[99:100], v[97:98]
	v_add_f64 v[33:34], v[33:34], -v[43:44]
	v_fma_f64 v[99:100], v[101:102], v[41:42], v[99:100]
	v_add_f64 v[35:36], v[35:36], -v[99:100]
	ds_read2_b64 v[99:102], v94 offset0:70 offset1:71
	;; [unrolled: 8-line block ×10, first 2 shown]
	s_waitcnt lgkmcnt(0)
	v_mul_f64 v[43:44], v[101:102], v[97:98]
	v_fma_f64 v[43:44], v[99:100], v[41:42], -v[43:44]
	v_mul_f64 v[99:100], v[99:100], v[97:98]
	v_add_f64 v[121:122], v[121:122], -v[43:44]
	v_fma_f64 v[99:100], v[101:102], v[41:42], v[99:100]
	v_mov_b32_e32 v43, v97
	v_mov_b32_e32 v44, v98
	v_add_f64 v[123:124], v[123:124], -v[99:100]
.LBB86_692:
	s_or_b64 exec, exec, s[0:1]
	v_lshl_add_u32 v97, v96, 4, v94
	s_barrier
	ds_write2_b64 v97, v[37:38], v[39:40] offset1:1
	s_waitcnt lgkmcnt(0)
	s_barrier
	ds_read2_b64 v[117:120], v94 offset0:66 offset1:67
	s_cmp_lt_i32 s3, 35
	v_mov_b32_e32 v97, 33
	s_cbranch_scc1 .LBB86_695
; %bb.693:
	v_add_u32_e32 v98, 0x220, v94
	s_mov_b32 s0, 34
	v_mov_b32_e32 v97, 33
.LBB86_694:                             ; =>This Inner Loop Header: Depth=1
	s_waitcnt lgkmcnt(0)
	v_cmp_gt_f64_e32 vcc, 0, v[117:118]
	v_xor_b32_e32 v103, 0x80000000, v118
	ds_read2_b64 v[99:102], v98 offset1:1
	v_xor_b32_e32 v105, 0x80000000, v120
	v_add_u32_e32 v98, 16, v98
	s_waitcnt lgkmcnt(0)
	v_xor_b32_e32 v107, 0x80000000, v102
	v_cndmask_b32_e32 v104, v118, v103, vcc
	v_cmp_gt_f64_e32 vcc, 0, v[119:120]
	v_mov_b32_e32 v103, v117
	v_cndmask_b32_e32 v106, v120, v105, vcc
	v_cmp_gt_f64_e32 vcc, 0, v[99:100]
	v_mov_b32_e32 v105, v119
	v_add_f64 v[103:104], v[103:104], v[105:106]
	v_xor_b32_e32 v105, 0x80000000, v100
	v_cndmask_b32_e32 v106, v100, v105, vcc
	v_cmp_gt_f64_e32 vcc, 0, v[101:102]
	v_mov_b32_e32 v105, v99
	v_cndmask_b32_e32 v108, v102, v107, vcc
	v_mov_b32_e32 v107, v101
	v_add_f64 v[105:106], v[105:106], v[107:108]
	v_cmp_lt_f64_e32 vcc, v[103:104], v[105:106]
	v_cndmask_b32_e32 v117, v117, v99, vcc
	v_mov_b32_e32 v99, s0
	s_add_i32 s0, s0, 1
	v_cndmask_b32_e32 v118, v118, v100, vcc
	v_cndmask_b32_e32 v120, v120, v102, vcc
	;; [unrolled: 1-line block ×4, first 2 shown]
	s_cmp_lg_u32 s3, s0
	s_cbranch_scc1 .LBB86_694
.LBB86_695:
	s_waitcnt lgkmcnt(0)
	v_cmp_eq_f64_e32 vcc, 0, v[117:118]
	v_cmp_eq_f64_e64 s[0:1], 0, v[119:120]
	s_and_b64 s[0:1], vcc, s[0:1]
	s_and_saveexec_b64 s[18:19], s[0:1]
	s_xor_b64 s[0:1], exec, s[18:19]
; %bb.696:
	v_cmp_ne_u32_e32 vcc, 0, v95
	v_cndmask_b32_e32 v95, 34, v95, vcc
; %bb.697:
	s_andn2_saveexec_b64 s[0:1], s[0:1]
	s_cbranch_execz .LBB86_703
; %bb.698:
	v_cmp_ngt_f64_e64 s[18:19], |v[117:118]|, |v[119:120]|
	s_and_saveexec_b64 s[20:21], s[18:19]
	s_xor_b64 s[18:19], exec, s[20:21]
	s_cbranch_execz .LBB86_700
; %bb.699:
	v_div_scale_f64 v[98:99], s[20:21], v[119:120], v[119:120], v[117:118]
	v_rcp_f64_e32 v[100:101], v[98:99]
	v_fma_f64 v[102:103], -v[98:99], v[100:101], 1.0
	v_fma_f64 v[100:101], v[100:101], v[102:103], v[100:101]
	v_div_scale_f64 v[102:103], vcc, v[117:118], v[119:120], v[117:118]
	v_fma_f64 v[104:105], -v[98:99], v[100:101], 1.0
	v_fma_f64 v[100:101], v[100:101], v[104:105], v[100:101]
	v_mul_f64 v[104:105], v[102:103], v[100:101]
	v_fma_f64 v[98:99], -v[98:99], v[104:105], v[102:103]
	v_div_fmas_f64 v[98:99], v[98:99], v[100:101], v[104:105]
	v_div_fixup_f64 v[98:99], v[98:99], v[119:120], v[117:118]
	v_fma_f64 v[100:101], v[117:118], v[98:99], v[119:120]
	v_div_scale_f64 v[102:103], s[20:21], v[100:101], v[100:101], 1.0
	v_div_scale_f64 v[108:109], vcc, 1.0, v[100:101], 1.0
	v_rcp_f64_e32 v[104:105], v[102:103]
	v_fma_f64 v[106:107], -v[102:103], v[104:105], 1.0
	v_fma_f64 v[104:105], v[104:105], v[106:107], v[104:105]
	v_fma_f64 v[106:107], -v[102:103], v[104:105], 1.0
	v_fma_f64 v[104:105], v[104:105], v[106:107], v[104:105]
	v_mul_f64 v[106:107], v[108:109], v[104:105]
	v_fma_f64 v[102:103], -v[102:103], v[106:107], v[108:109]
	v_div_fmas_f64 v[102:103], v[102:103], v[104:105], v[106:107]
	v_div_fixup_f64 v[119:120], v[102:103], v[100:101], 1.0
	v_mul_f64 v[117:118], v[98:99], v[119:120]
	v_xor_b32_e32 v120, 0x80000000, v120
.LBB86_700:
	s_andn2_saveexec_b64 s[18:19], s[18:19]
	s_cbranch_execz .LBB86_702
; %bb.701:
	v_div_scale_f64 v[98:99], s[20:21], v[117:118], v[117:118], v[119:120]
	v_rcp_f64_e32 v[100:101], v[98:99]
	v_fma_f64 v[102:103], -v[98:99], v[100:101], 1.0
	v_fma_f64 v[100:101], v[100:101], v[102:103], v[100:101]
	v_div_scale_f64 v[102:103], vcc, v[119:120], v[117:118], v[119:120]
	v_fma_f64 v[104:105], -v[98:99], v[100:101], 1.0
	v_fma_f64 v[100:101], v[100:101], v[104:105], v[100:101]
	v_mul_f64 v[104:105], v[102:103], v[100:101]
	v_fma_f64 v[98:99], -v[98:99], v[104:105], v[102:103]
	v_div_fmas_f64 v[98:99], v[98:99], v[100:101], v[104:105]
	v_div_fixup_f64 v[98:99], v[98:99], v[117:118], v[119:120]
	v_fma_f64 v[100:101], v[119:120], v[98:99], v[117:118]
	v_div_scale_f64 v[102:103], s[20:21], v[100:101], v[100:101], 1.0
	v_div_scale_f64 v[108:109], vcc, 1.0, v[100:101], 1.0
	v_rcp_f64_e32 v[104:105], v[102:103]
	v_fma_f64 v[106:107], -v[102:103], v[104:105], 1.0
	v_fma_f64 v[104:105], v[104:105], v[106:107], v[104:105]
	v_fma_f64 v[106:107], -v[102:103], v[104:105], 1.0
	v_fma_f64 v[104:105], v[104:105], v[106:107], v[104:105]
	v_mul_f64 v[106:107], v[108:109], v[104:105]
	v_fma_f64 v[102:103], -v[102:103], v[106:107], v[108:109]
	v_div_fmas_f64 v[102:103], v[102:103], v[104:105], v[106:107]
	v_div_fixup_f64 v[117:118], v[102:103], v[100:101], 1.0
	v_mul_f64 v[119:120], v[98:99], -v[117:118]
.LBB86_702:
	s_or_b64 exec, exec, s[18:19]
.LBB86_703:
	s_or_b64 exec, exec, s[0:1]
	v_cmp_ne_u32_e32 vcc, v96, v97
	s_and_saveexec_b64 s[0:1], vcc
	s_xor_b64 s[0:1], exec, s[0:1]
	s_cbranch_execz .LBB86_709
; %bb.704:
	v_cmp_eq_u32_e32 vcc, 33, v96
	s_and_saveexec_b64 s[18:19], vcc
	s_cbranch_execz .LBB86_708
; %bb.705:
	v_cmp_ne_u32_e32 vcc, 33, v97
	s_xor_b64 s[20:21], s[6:7], -1
	s_and_b64 s[22:23], s[20:21], vcc
	s_and_saveexec_b64 s[20:21], s[22:23]
	s_cbranch_execz .LBB86_707
; %bb.706:
	v_ashrrev_i32_e32 v98, 31, v97
	v_lshlrev_b64 v[98:99], 2, v[97:98]
	v_add_co_u32_e32 v98, vcc, v91, v98
	v_addc_co_u32_e32 v99, vcc, v92, v99, vcc
	global_load_dword v0, v[98:99], off
	global_load_dword v96, v[91:92], off offset:132
	s_waitcnt vmcnt(1)
	global_store_dword v[91:92], v0, off offset:132
	s_waitcnt vmcnt(1)
	global_store_dword v[98:99], v96, off
.LBB86_707:
	s_or_b64 exec, exec, s[20:21]
	v_mov_b32_e32 v96, v97
	v_mov_b32_e32 v0, v97
.LBB86_708:
	s_or_b64 exec, exec, s[18:19]
.LBB86_709:
	s_andn2_saveexec_b64 s[0:1], s[0:1]
	s_cbranch_execz .LBB86_711
; %bb.710:
	v_mov_b32_e32 v96, 33
	ds_write2_b64 v94, v[33:34], v[35:36] offset0:68 offset1:69
	ds_write2_b64 v94, v[29:30], v[31:32] offset0:70 offset1:71
	;; [unrolled: 1-line block ×10, first 2 shown]
.LBB86_711:
	s_or_b64 exec, exec, s[0:1]
	v_cmp_lt_i32_e32 vcc, 33, v96
	s_waitcnt vmcnt(0) lgkmcnt(0)
	s_barrier
	s_and_saveexec_b64 s[0:1], vcc
	s_cbranch_execz .LBB86_713
; %bb.712:
	v_mul_f64 v[97:98], v[117:118], v[39:40]
	v_mul_f64 v[39:40], v[119:120], v[39:40]
	ds_read2_b64 v[99:102], v94 offset0:68 offset1:69
	v_fma_f64 v[97:98], v[119:120], v[37:38], v[97:98]
	v_fma_f64 v[37:38], v[117:118], v[37:38], -v[39:40]
	s_waitcnt lgkmcnt(0)
	v_mul_f64 v[39:40], v[101:102], v[97:98]
	v_fma_f64 v[39:40], v[99:100], v[37:38], -v[39:40]
	v_mul_f64 v[99:100], v[99:100], v[97:98]
	v_add_f64 v[33:34], v[33:34], -v[39:40]
	v_fma_f64 v[99:100], v[101:102], v[37:38], v[99:100]
	v_add_f64 v[35:36], v[35:36], -v[99:100]
	ds_read2_b64 v[99:102], v94 offset0:70 offset1:71
	s_waitcnt lgkmcnt(0)
	v_mul_f64 v[39:40], v[101:102], v[97:98]
	v_fma_f64 v[39:40], v[99:100], v[37:38], -v[39:40]
	v_mul_f64 v[99:100], v[99:100], v[97:98]
	v_add_f64 v[29:30], v[29:30], -v[39:40]
	v_fma_f64 v[99:100], v[101:102], v[37:38], v[99:100]
	v_add_f64 v[31:32], v[31:32], -v[99:100]
	ds_read2_b64 v[99:102], v94 offset0:72 offset1:73
	;; [unrolled: 8-line block ×9, first 2 shown]
	s_waitcnt lgkmcnt(0)
	v_mul_f64 v[39:40], v[101:102], v[97:98]
	v_fma_f64 v[39:40], v[99:100], v[37:38], -v[39:40]
	v_mul_f64 v[99:100], v[99:100], v[97:98]
	v_add_f64 v[121:122], v[121:122], -v[39:40]
	v_fma_f64 v[99:100], v[101:102], v[37:38], v[99:100]
	v_mov_b32_e32 v39, v97
	v_mov_b32_e32 v40, v98
	v_add_f64 v[123:124], v[123:124], -v[99:100]
.LBB86_713:
	s_or_b64 exec, exec, s[0:1]
	v_lshl_add_u32 v97, v96, 4, v94
	s_barrier
	ds_write2_b64 v97, v[33:34], v[35:36] offset1:1
	s_waitcnt lgkmcnt(0)
	s_barrier
	ds_read2_b64 v[117:120], v94 offset0:68 offset1:69
	s_cmp_lt_i32 s3, 36
	v_mov_b32_e32 v97, 34
	s_cbranch_scc1 .LBB86_716
; %bb.714:
	v_add_u32_e32 v98, 0x230, v94
	s_mov_b32 s0, 35
	v_mov_b32_e32 v97, 34
.LBB86_715:                             ; =>This Inner Loop Header: Depth=1
	s_waitcnt lgkmcnt(0)
	v_cmp_gt_f64_e32 vcc, 0, v[117:118]
	v_xor_b32_e32 v103, 0x80000000, v118
	ds_read2_b64 v[99:102], v98 offset1:1
	v_xor_b32_e32 v105, 0x80000000, v120
	v_add_u32_e32 v98, 16, v98
	s_waitcnt lgkmcnt(0)
	v_xor_b32_e32 v107, 0x80000000, v102
	v_cndmask_b32_e32 v104, v118, v103, vcc
	v_cmp_gt_f64_e32 vcc, 0, v[119:120]
	v_mov_b32_e32 v103, v117
	v_cndmask_b32_e32 v106, v120, v105, vcc
	v_cmp_gt_f64_e32 vcc, 0, v[99:100]
	v_mov_b32_e32 v105, v119
	v_add_f64 v[103:104], v[103:104], v[105:106]
	v_xor_b32_e32 v105, 0x80000000, v100
	v_cndmask_b32_e32 v106, v100, v105, vcc
	v_cmp_gt_f64_e32 vcc, 0, v[101:102]
	v_mov_b32_e32 v105, v99
	v_cndmask_b32_e32 v108, v102, v107, vcc
	v_mov_b32_e32 v107, v101
	v_add_f64 v[105:106], v[105:106], v[107:108]
	v_cmp_lt_f64_e32 vcc, v[103:104], v[105:106]
	v_cndmask_b32_e32 v117, v117, v99, vcc
	v_mov_b32_e32 v99, s0
	s_add_i32 s0, s0, 1
	v_cndmask_b32_e32 v118, v118, v100, vcc
	v_cndmask_b32_e32 v120, v120, v102, vcc
	;; [unrolled: 1-line block ×4, first 2 shown]
	s_cmp_lg_u32 s3, s0
	s_cbranch_scc1 .LBB86_715
.LBB86_716:
	s_waitcnt lgkmcnt(0)
	v_cmp_eq_f64_e32 vcc, 0, v[117:118]
	v_cmp_eq_f64_e64 s[0:1], 0, v[119:120]
	s_and_b64 s[0:1], vcc, s[0:1]
	s_and_saveexec_b64 s[18:19], s[0:1]
	s_xor_b64 s[0:1], exec, s[18:19]
; %bb.717:
	v_cmp_ne_u32_e32 vcc, 0, v95
	v_cndmask_b32_e32 v95, 35, v95, vcc
; %bb.718:
	s_andn2_saveexec_b64 s[0:1], s[0:1]
	s_cbranch_execz .LBB86_724
; %bb.719:
	v_cmp_ngt_f64_e64 s[18:19], |v[117:118]|, |v[119:120]|
	s_and_saveexec_b64 s[20:21], s[18:19]
	s_xor_b64 s[18:19], exec, s[20:21]
	s_cbranch_execz .LBB86_721
; %bb.720:
	v_div_scale_f64 v[98:99], s[20:21], v[119:120], v[119:120], v[117:118]
	v_rcp_f64_e32 v[100:101], v[98:99]
	v_fma_f64 v[102:103], -v[98:99], v[100:101], 1.0
	v_fma_f64 v[100:101], v[100:101], v[102:103], v[100:101]
	v_div_scale_f64 v[102:103], vcc, v[117:118], v[119:120], v[117:118]
	v_fma_f64 v[104:105], -v[98:99], v[100:101], 1.0
	v_fma_f64 v[100:101], v[100:101], v[104:105], v[100:101]
	v_mul_f64 v[104:105], v[102:103], v[100:101]
	v_fma_f64 v[98:99], -v[98:99], v[104:105], v[102:103]
	v_div_fmas_f64 v[98:99], v[98:99], v[100:101], v[104:105]
	v_div_fixup_f64 v[98:99], v[98:99], v[119:120], v[117:118]
	v_fma_f64 v[100:101], v[117:118], v[98:99], v[119:120]
	v_div_scale_f64 v[102:103], s[20:21], v[100:101], v[100:101], 1.0
	v_div_scale_f64 v[108:109], vcc, 1.0, v[100:101], 1.0
	v_rcp_f64_e32 v[104:105], v[102:103]
	v_fma_f64 v[106:107], -v[102:103], v[104:105], 1.0
	v_fma_f64 v[104:105], v[104:105], v[106:107], v[104:105]
	v_fma_f64 v[106:107], -v[102:103], v[104:105], 1.0
	v_fma_f64 v[104:105], v[104:105], v[106:107], v[104:105]
	v_mul_f64 v[106:107], v[108:109], v[104:105]
	v_fma_f64 v[102:103], -v[102:103], v[106:107], v[108:109]
	v_div_fmas_f64 v[102:103], v[102:103], v[104:105], v[106:107]
	v_div_fixup_f64 v[119:120], v[102:103], v[100:101], 1.0
	v_mul_f64 v[117:118], v[98:99], v[119:120]
	v_xor_b32_e32 v120, 0x80000000, v120
.LBB86_721:
	s_andn2_saveexec_b64 s[18:19], s[18:19]
	s_cbranch_execz .LBB86_723
; %bb.722:
	v_div_scale_f64 v[98:99], s[20:21], v[117:118], v[117:118], v[119:120]
	v_rcp_f64_e32 v[100:101], v[98:99]
	v_fma_f64 v[102:103], -v[98:99], v[100:101], 1.0
	v_fma_f64 v[100:101], v[100:101], v[102:103], v[100:101]
	v_div_scale_f64 v[102:103], vcc, v[119:120], v[117:118], v[119:120]
	v_fma_f64 v[104:105], -v[98:99], v[100:101], 1.0
	v_fma_f64 v[100:101], v[100:101], v[104:105], v[100:101]
	v_mul_f64 v[104:105], v[102:103], v[100:101]
	v_fma_f64 v[98:99], -v[98:99], v[104:105], v[102:103]
	v_div_fmas_f64 v[98:99], v[98:99], v[100:101], v[104:105]
	v_div_fixup_f64 v[98:99], v[98:99], v[117:118], v[119:120]
	v_fma_f64 v[100:101], v[119:120], v[98:99], v[117:118]
	v_div_scale_f64 v[102:103], s[20:21], v[100:101], v[100:101], 1.0
	v_div_scale_f64 v[108:109], vcc, 1.0, v[100:101], 1.0
	v_rcp_f64_e32 v[104:105], v[102:103]
	v_fma_f64 v[106:107], -v[102:103], v[104:105], 1.0
	v_fma_f64 v[104:105], v[104:105], v[106:107], v[104:105]
	v_fma_f64 v[106:107], -v[102:103], v[104:105], 1.0
	v_fma_f64 v[104:105], v[104:105], v[106:107], v[104:105]
	v_mul_f64 v[106:107], v[108:109], v[104:105]
	v_fma_f64 v[102:103], -v[102:103], v[106:107], v[108:109]
	v_div_fmas_f64 v[102:103], v[102:103], v[104:105], v[106:107]
	v_div_fixup_f64 v[117:118], v[102:103], v[100:101], 1.0
	v_mul_f64 v[119:120], v[98:99], -v[117:118]
.LBB86_723:
	s_or_b64 exec, exec, s[18:19]
.LBB86_724:
	s_or_b64 exec, exec, s[0:1]
	v_cmp_ne_u32_e32 vcc, v96, v97
	s_and_saveexec_b64 s[0:1], vcc
	s_xor_b64 s[0:1], exec, s[0:1]
	s_cbranch_execz .LBB86_730
; %bb.725:
	v_cmp_eq_u32_e32 vcc, 34, v96
	s_and_saveexec_b64 s[18:19], vcc
	s_cbranch_execz .LBB86_729
; %bb.726:
	v_cmp_ne_u32_e32 vcc, 34, v97
	s_xor_b64 s[20:21], s[6:7], -1
	s_and_b64 s[22:23], s[20:21], vcc
	s_and_saveexec_b64 s[20:21], s[22:23]
	s_cbranch_execz .LBB86_728
; %bb.727:
	v_ashrrev_i32_e32 v98, 31, v97
	v_lshlrev_b64 v[98:99], 2, v[97:98]
	v_add_co_u32_e32 v98, vcc, v91, v98
	v_addc_co_u32_e32 v99, vcc, v92, v99, vcc
	global_load_dword v0, v[98:99], off
	global_load_dword v96, v[91:92], off offset:136
	s_waitcnt vmcnt(1)
	global_store_dword v[91:92], v0, off offset:136
	s_waitcnt vmcnt(1)
	global_store_dword v[98:99], v96, off
.LBB86_728:
	s_or_b64 exec, exec, s[20:21]
	v_mov_b32_e32 v96, v97
	v_mov_b32_e32 v0, v97
.LBB86_729:
	s_or_b64 exec, exec, s[18:19]
.LBB86_730:
	s_andn2_saveexec_b64 s[0:1], s[0:1]
	s_cbranch_execz .LBB86_732
; %bb.731:
	v_mov_b32_e32 v96, 34
	ds_write2_b64 v94, v[29:30], v[31:32] offset0:70 offset1:71
	ds_write2_b64 v94, v[25:26], v[27:28] offset0:72 offset1:73
	;; [unrolled: 1-line block ×9, first 2 shown]
.LBB86_732:
	s_or_b64 exec, exec, s[0:1]
	v_cmp_lt_i32_e32 vcc, 34, v96
	s_waitcnt vmcnt(0) lgkmcnt(0)
	s_barrier
	s_and_saveexec_b64 s[0:1], vcc
	s_cbranch_execz .LBB86_734
; %bb.733:
	v_mul_f64 v[97:98], v[117:118], v[35:36]
	v_mul_f64 v[35:36], v[119:120], v[35:36]
	ds_read2_b64 v[99:102], v94 offset0:70 offset1:71
	v_fma_f64 v[97:98], v[119:120], v[33:34], v[97:98]
	v_fma_f64 v[33:34], v[117:118], v[33:34], -v[35:36]
	s_waitcnt lgkmcnt(0)
	v_mul_f64 v[35:36], v[101:102], v[97:98]
	v_fma_f64 v[35:36], v[99:100], v[33:34], -v[35:36]
	v_mul_f64 v[99:100], v[99:100], v[97:98]
	v_add_f64 v[29:30], v[29:30], -v[35:36]
	v_fma_f64 v[99:100], v[101:102], v[33:34], v[99:100]
	v_add_f64 v[31:32], v[31:32], -v[99:100]
	ds_read2_b64 v[99:102], v94 offset0:72 offset1:73
	s_waitcnt lgkmcnt(0)
	v_mul_f64 v[35:36], v[101:102], v[97:98]
	v_fma_f64 v[35:36], v[99:100], v[33:34], -v[35:36]
	v_mul_f64 v[99:100], v[99:100], v[97:98]
	v_add_f64 v[25:26], v[25:26], -v[35:36]
	v_fma_f64 v[99:100], v[101:102], v[33:34], v[99:100]
	v_add_f64 v[27:28], v[27:28], -v[99:100]
	ds_read2_b64 v[99:102], v94 offset0:74 offset1:75
	;; [unrolled: 8-line block ×8, first 2 shown]
	s_waitcnt lgkmcnt(0)
	v_mul_f64 v[35:36], v[101:102], v[97:98]
	v_fma_f64 v[35:36], v[99:100], v[33:34], -v[35:36]
	v_mul_f64 v[99:100], v[99:100], v[97:98]
	v_add_f64 v[121:122], v[121:122], -v[35:36]
	v_fma_f64 v[99:100], v[101:102], v[33:34], v[99:100]
	v_mov_b32_e32 v35, v97
	v_mov_b32_e32 v36, v98
	v_add_f64 v[123:124], v[123:124], -v[99:100]
.LBB86_734:
	s_or_b64 exec, exec, s[0:1]
	v_lshl_add_u32 v97, v96, 4, v94
	s_barrier
	ds_write2_b64 v97, v[29:30], v[31:32] offset1:1
	s_waitcnt lgkmcnt(0)
	s_barrier
	ds_read2_b64 v[117:120], v94 offset0:70 offset1:71
	s_cmp_lt_i32 s3, 37
	v_mov_b32_e32 v97, 35
	s_cbranch_scc1 .LBB86_737
; %bb.735:
	v_add_u32_e32 v98, 0x240, v94
	s_mov_b32 s0, 36
	v_mov_b32_e32 v97, 35
.LBB86_736:                             ; =>This Inner Loop Header: Depth=1
	s_waitcnt lgkmcnt(0)
	v_cmp_gt_f64_e32 vcc, 0, v[117:118]
	v_xor_b32_e32 v103, 0x80000000, v118
	ds_read2_b64 v[99:102], v98 offset1:1
	v_xor_b32_e32 v105, 0x80000000, v120
	v_add_u32_e32 v98, 16, v98
	s_waitcnt lgkmcnt(0)
	v_xor_b32_e32 v107, 0x80000000, v102
	v_cndmask_b32_e32 v104, v118, v103, vcc
	v_cmp_gt_f64_e32 vcc, 0, v[119:120]
	v_mov_b32_e32 v103, v117
	v_cndmask_b32_e32 v106, v120, v105, vcc
	v_cmp_gt_f64_e32 vcc, 0, v[99:100]
	v_mov_b32_e32 v105, v119
	v_add_f64 v[103:104], v[103:104], v[105:106]
	v_xor_b32_e32 v105, 0x80000000, v100
	v_cndmask_b32_e32 v106, v100, v105, vcc
	v_cmp_gt_f64_e32 vcc, 0, v[101:102]
	v_mov_b32_e32 v105, v99
	v_cndmask_b32_e32 v108, v102, v107, vcc
	v_mov_b32_e32 v107, v101
	v_add_f64 v[105:106], v[105:106], v[107:108]
	v_cmp_lt_f64_e32 vcc, v[103:104], v[105:106]
	v_cndmask_b32_e32 v117, v117, v99, vcc
	v_mov_b32_e32 v99, s0
	s_add_i32 s0, s0, 1
	v_cndmask_b32_e32 v118, v118, v100, vcc
	v_cndmask_b32_e32 v120, v120, v102, vcc
	;; [unrolled: 1-line block ×4, first 2 shown]
	s_cmp_lg_u32 s3, s0
	s_cbranch_scc1 .LBB86_736
.LBB86_737:
	s_waitcnt lgkmcnt(0)
	v_cmp_eq_f64_e32 vcc, 0, v[117:118]
	v_cmp_eq_f64_e64 s[0:1], 0, v[119:120]
	s_and_b64 s[0:1], vcc, s[0:1]
	s_and_saveexec_b64 s[18:19], s[0:1]
	s_xor_b64 s[0:1], exec, s[18:19]
; %bb.738:
	v_cmp_ne_u32_e32 vcc, 0, v95
	v_cndmask_b32_e32 v95, 36, v95, vcc
; %bb.739:
	s_andn2_saveexec_b64 s[0:1], s[0:1]
	s_cbranch_execz .LBB86_745
; %bb.740:
	v_cmp_ngt_f64_e64 s[18:19], |v[117:118]|, |v[119:120]|
	s_and_saveexec_b64 s[20:21], s[18:19]
	s_xor_b64 s[18:19], exec, s[20:21]
	s_cbranch_execz .LBB86_742
; %bb.741:
	v_div_scale_f64 v[98:99], s[20:21], v[119:120], v[119:120], v[117:118]
	v_rcp_f64_e32 v[100:101], v[98:99]
	v_fma_f64 v[102:103], -v[98:99], v[100:101], 1.0
	v_fma_f64 v[100:101], v[100:101], v[102:103], v[100:101]
	v_div_scale_f64 v[102:103], vcc, v[117:118], v[119:120], v[117:118]
	v_fma_f64 v[104:105], -v[98:99], v[100:101], 1.0
	v_fma_f64 v[100:101], v[100:101], v[104:105], v[100:101]
	v_mul_f64 v[104:105], v[102:103], v[100:101]
	v_fma_f64 v[98:99], -v[98:99], v[104:105], v[102:103]
	v_div_fmas_f64 v[98:99], v[98:99], v[100:101], v[104:105]
	v_div_fixup_f64 v[98:99], v[98:99], v[119:120], v[117:118]
	v_fma_f64 v[100:101], v[117:118], v[98:99], v[119:120]
	v_div_scale_f64 v[102:103], s[20:21], v[100:101], v[100:101], 1.0
	v_div_scale_f64 v[108:109], vcc, 1.0, v[100:101], 1.0
	v_rcp_f64_e32 v[104:105], v[102:103]
	v_fma_f64 v[106:107], -v[102:103], v[104:105], 1.0
	v_fma_f64 v[104:105], v[104:105], v[106:107], v[104:105]
	v_fma_f64 v[106:107], -v[102:103], v[104:105], 1.0
	v_fma_f64 v[104:105], v[104:105], v[106:107], v[104:105]
	v_mul_f64 v[106:107], v[108:109], v[104:105]
	v_fma_f64 v[102:103], -v[102:103], v[106:107], v[108:109]
	v_div_fmas_f64 v[102:103], v[102:103], v[104:105], v[106:107]
	v_div_fixup_f64 v[119:120], v[102:103], v[100:101], 1.0
	v_mul_f64 v[117:118], v[98:99], v[119:120]
	v_xor_b32_e32 v120, 0x80000000, v120
.LBB86_742:
	s_andn2_saveexec_b64 s[18:19], s[18:19]
	s_cbranch_execz .LBB86_744
; %bb.743:
	v_div_scale_f64 v[98:99], s[20:21], v[117:118], v[117:118], v[119:120]
	v_rcp_f64_e32 v[100:101], v[98:99]
	v_fma_f64 v[102:103], -v[98:99], v[100:101], 1.0
	v_fma_f64 v[100:101], v[100:101], v[102:103], v[100:101]
	v_div_scale_f64 v[102:103], vcc, v[119:120], v[117:118], v[119:120]
	v_fma_f64 v[104:105], -v[98:99], v[100:101], 1.0
	v_fma_f64 v[100:101], v[100:101], v[104:105], v[100:101]
	v_mul_f64 v[104:105], v[102:103], v[100:101]
	v_fma_f64 v[98:99], -v[98:99], v[104:105], v[102:103]
	v_div_fmas_f64 v[98:99], v[98:99], v[100:101], v[104:105]
	v_div_fixup_f64 v[98:99], v[98:99], v[117:118], v[119:120]
	v_fma_f64 v[100:101], v[119:120], v[98:99], v[117:118]
	v_div_scale_f64 v[102:103], s[20:21], v[100:101], v[100:101], 1.0
	v_div_scale_f64 v[108:109], vcc, 1.0, v[100:101], 1.0
	v_rcp_f64_e32 v[104:105], v[102:103]
	v_fma_f64 v[106:107], -v[102:103], v[104:105], 1.0
	v_fma_f64 v[104:105], v[104:105], v[106:107], v[104:105]
	v_fma_f64 v[106:107], -v[102:103], v[104:105], 1.0
	v_fma_f64 v[104:105], v[104:105], v[106:107], v[104:105]
	v_mul_f64 v[106:107], v[108:109], v[104:105]
	v_fma_f64 v[102:103], -v[102:103], v[106:107], v[108:109]
	v_div_fmas_f64 v[102:103], v[102:103], v[104:105], v[106:107]
	v_div_fixup_f64 v[117:118], v[102:103], v[100:101], 1.0
	v_mul_f64 v[119:120], v[98:99], -v[117:118]
.LBB86_744:
	s_or_b64 exec, exec, s[18:19]
.LBB86_745:
	s_or_b64 exec, exec, s[0:1]
	v_cmp_ne_u32_e32 vcc, v96, v97
	s_and_saveexec_b64 s[0:1], vcc
	s_xor_b64 s[0:1], exec, s[0:1]
	s_cbranch_execz .LBB86_751
; %bb.746:
	v_cmp_eq_u32_e32 vcc, 35, v96
	s_and_saveexec_b64 s[18:19], vcc
	s_cbranch_execz .LBB86_750
; %bb.747:
	v_cmp_ne_u32_e32 vcc, 35, v97
	s_xor_b64 s[20:21], s[6:7], -1
	s_and_b64 s[22:23], s[20:21], vcc
	s_and_saveexec_b64 s[20:21], s[22:23]
	s_cbranch_execz .LBB86_749
; %bb.748:
	v_ashrrev_i32_e32 v98, 31, v97
	v_lshlrev_b64 v[98:99], 2, v[97:98]
	v_add_co_u32_e32 v98, vcc, v91, v98
	v_addc_co_u32_e32 v99, vcc, v92, v99, vcc
	global_load_dword v0, v[98:99], off
	global_load_dword v96, v[91:92], off offset:140
	s_waitcnt vmcnt(1)
	global_store_dword v[91:92], v0, off offset:140
	s_waitcnt vmcnt(1)
	global_store_dword v[98:99], v96, off
.LBB86_749:
	s_or_b64 exec, exec, s[20:21]
	v_mov_b32_e32 v96, v97
	v_mov_b32_e32 v0, v97
.LBB86_750:
	s_or_b64 exec, exec, s[18:19]
.LBB86_751:
	s_andn2_saveexec_b64 s[0:1], s[0:1]
	s_cbranch_execz .LBB86_753
; %bb.752:
	v_mov_b32_e32 v96, 35
	ds_write2_b64 v94, v[25:26], v[27:28] offset0:72 offset1:73
	ds_write2_b64 v94, v[21:22], v[23:24] offset0:74 offset1:75
	;; [unrolled: 1-line block ×8, first 2 shown]
.LBB86_753:
	s_or_b64 exec, exec, s[0:1]
	v_cmp_lt_i32_e32 vcc, 35, v96
	s_waitcnt vmcnt(0) lgkmcnt(0)
	s_barrier
	s_and_saveexec_b64 s[0:1], vcc
	s_cbranch_execz .LBB86_755
; %bb.754:
	v_mul_f64 v[97:98], v[117:118], v[31:32]
	v_mul_f64 v[31:32], v[119:120], v[31:32]
	ds_read2_b64 v[99:102], v94 offset0:72 offset1:73
	v_fma_f64 v[97:98], v[119:120], v[29:30], v[97:98]
	v_fma_f64 v[29:30], v[117:118], v[29:30], -v[31:32]
	s_waitcnt lgkmcnt(0)
	v_mul_f64 v[31:32], v[101:102], v[97:98]
	v_fma_f64 v[31:32], v[99:100], v[29:30], -v[31:32]
	v_mul_f64 v[99:100], v[99:100], v[97:98]
	v_add_f64 v[25:26], v[25:26], -v[31:32]
	v_fma_f64 v[99:100], v[101:102], v[29:30], v[99:100]
	v_add_f64 v[27:28], v[27:28], -v[99:100]
	ds_read2_b64 v[99:102], v94 offset0:74 offset1:75
	s_waitcnt lgkmcnt(0)
	v_mul_f64 v[31:32], v[101:102], v[97:98]
	v_fma_f64 v[31:32], v[99:100], v[29:30], -v[31:32]
	v_mul_f64 v[99:100], v[99:100], v[97:98]
	v_add_f64 v[21:22], v[21:22], -v[31:32]
	v_fma_f64 v[99:100], v[101:102], v[29:30], v[99:100]
	v_add_f64 v[23:24], v[23:24], -v[99:100]
	ds_read2_b64 v[99:102], v94 offset0:76 offset1:77
	;; [unrolled: 8-line block ×7, first 2 shown]
	s_waitcnt lgkmcnt(0)
	v_mul_f64 v[31:32], v[101:102], v[97:98]
	v_fma_f64 v[31:32], v[99:100], v[29:30], -v[31:32]
	v_mul_f64 v[99:100], v[99:100], v[97:98]
	v_add_f64 v[121:122], v[121:122], -v[31:32]
	v_fma_f64 v[99:100], v[101:102], v[29:30], v[99:100]
	v_mov_b32_e32 v31, v97
	v_mov_b32_e32 v32, v98
	v_add_f64 v[123:124], v[123:124], -v[99:100]
.LBB86_755:
	s_or_b64 exec, exec, s[0:1]
	v_lshl_add_u32 v97, v96, 4, v94
	s_barrier
	ds_write2_b64 v97, v[25:26], v[27:28] offset1:1
	s_waitcnt lgkmcnt(0)
	s_barrier
	ds_read2_b64 v[117:120], v94 offset0:72 offset1:73
	s_cmp_lt_i32 s3, 38
	v_mov_b32_e32 v97, 36
	s_cbranch_scc1 .LBB86_758
; %bb.756:
	v_add_u32_e32 v98, 0x250, v94
	s_mov_b32 s0, 37
	v_mov_b32_e32 v97, 36
.LBB86_757:                             ; =>This Inner Loop Header: Depth=1
	s_waitcnt lgkmcnt(0)
	v_cmp_gt_f64_e32 vcc, 0, v[117:118]
	v_xor_b32_e32 v103, 0x80000000, v118
	ds_read2_b64 v[99:102], v98 offset1:1
	v_xor_b32_e32 v105, 0x80000000, v120
	v_add_u32_e32 v98, 16, v98
	s_waitcnt lgkmcnt(0)
	v_xor_b32_e32 v107, 0x80000000, v102
	v_cndmask_b32_e32 v104, v118, v103, vcc
	v_cmp_gt_f64_e32 vcc, 0, v[119:120]
	v_mov_b32_e32 v103, v117
	v_cndmask_b32_e32 v106, v120, v105, vcc
	v_cmp_gt_f64_e32 vcc, 0, v[99:100]
	v_mov_b32_e32 v105, v119
	v_add_f64 v[103:104], v[103:104], v[105:106]
	v_xor_b32_e32 v105, 0x80000000, v100
	v_cndmask_b32_e32 v106, v100, v105, vcc
	v_cmp_gt_f64_e32 vcc, 0, v[101:102]
	v_mov_b32_e32 v105, v99
	v_cndmask_b32_e32 v108, v102, v107, vcc
	v_mov_b32_e32 v107, v101
	v_add_f64 v[105:106], v[105:106], v[107:108]
	v_cmp_lt_f64_e32 vcc, v[103:104], v[105:106]
	v_cndmask_b32_e32 v117, v117, v99, vcc
	v_mov_b32_e32 v99, s0
	s_add_i32 s0, s0, 1
	v_cndmask_b32_e32 v118, v118, v100, vcc
	v_cndmask_b32_e32 v120, v120, v102, vcc
	;; [unrolled: 1-line block ×4, first 2 shown]
	s_cmp_lg_u32 s3, s0
	s_cbranch_scc1 .LBB86_757
.LBB86_758:
	s_waitcnt lgkmcnt(0)
	v_cmp_eq_f64_e32 vcc, 0, v[117:118]
	v_cmp_eq_f64_e64 s[0:1], 0, v[119:120]
	s_and_b64 s[0:1], vcc, s[0:1]
	s_and_saveexec_b64 s[18:19], s[0:1]
	s_xor_b64 s[0:1], exec, s[18:19]
; %bb.759:
	v_cmp_ne_u32_e32 vcc, 0, v95
	v_cndmask_b32_e32 v95, 37, v95, vcc
; %bb.760:
	s_andn2_saveexec_b64 s[0:1], s[0:1]
	s_cbranch_execz .LBB86_766
; %bb.761:
	v_cmp_ngt_f64_e64 s[18:19], |v[117:118]|, |v[119:120]|
	s_and_saveexec_b64 s[20:21], s[18:19]
	s_xor_b64 s[18:19], exec, s[20:21]
	s_cbranch_execz .LBB86_763
; %bb.762:
	v_div_scale_f64 v[98:99], s[20:21], v[119:120], v[119:120], v[117:118]
	v_rcp_f64_e32 v[100:101], v[98:99]
	v_fma_f64 v[102:103], -v[98:99], v[100:101], 1.0
	v_fma_f64 v[100:101], v[100:101], v[102:103], v[100:101]
	v_div_scale_f64 v[102:103], vcc, v[117:118], v[119:120], v[117:118]
	v_fma_f64 v[104:105], -v[98:99], v[100:101], 1.0
	v_fma_f64 v[100:101], v[100:101], v[104:105], v[100:101]
	v_mul_f64 v[104:105], v[102:103], v[100:101]
	v_fma_f64 v[98:99], -v[98:99], v[104:105], v[102:103]
	v_div_fmas_f64 v[98:99], v[98:99], v[100:101], v[104:105]
	v_div_fixup_f64 v[98:99], v[98:99], v[119:120], v[117:118]
	v_fma_f64 v[100:101], v[117:118], v[98:99], v[119:120]
	v_div_scale_f64 v[102:103], s[20:21], v[100:101], v[100:101], 1.0
	v_div_scale_f64 v[108:109], vcc, 1.0, v[100:101], 1.0
	v_rcp_f64_e32 v[104:105], v[102:103]
	v_fma_f64 v[106:107], -v[102:103], v[104:105], 1.0
	v_fma_f64 v[104:105], v[104:105], v[106:107], v[104:105]
	v_fma_f64 v[106:107], -v[102:103], v[104:105], 1.0
	v_fma_f64 v[104:105], v[104:105], v[106:107], v[104:105]
	v_mul_f64 v[106:107], v[108:109], v[104:105]
	v_fma_f64 v[102:103], -v[102:103], v[106:107], v[108:109]
	v_div_fmas_f64 v[102:103], v[102:103], v[104:105], v[106:107]
	v_div_fixup_f64 v[119:120], v[102:103], v[100:101], 1.0
	v_mul_f64 v[117:118], v[98:99], v[119:120]
	v_xor_b32_e32 v120, 0x80000000, v120
.LBB86_763:
	s_andn2_saveexec_b64 s[18:19], s[18:19]
	s_cbranch_execz .LBB86_765
; %bb.764:
	v_div_scale_f64 v[98:99], s[20:21], v[117:118], v[117:118], v[119:120]
	v_rcp_f64_e32 v[100:101], v[98:99]
	v_fma_f64 v[102:103], -v[98:99], v[100:101], 1.0
	v_fma_f64 v[100:101], v[100:101], v[102:103], v[100:101]
	v_div_scale_f64 v[102:103], vcc, v[119:120], v[117:118], v[119:120]
	v_fma_f64 v[104:105], -v[98:99], v[100:101], 1.0
	v_fma_f64 v[100:101], v[100:101], v[104:105], v[100:101]
	v_mul_f64 v[104:105], v[102:103], v[100:101]
	v_fma_f64 v[98:99], -v[98:99], v[104:105], v[102:103]
	v_div_fmas_f64 v[98:99], v[98:99], v[100:101], v[104:105]
	v_div_fixup_f64 v[98:99], v[98:99], v[117:118], v[119:120]
	v_fma_f64 v[100:101], v[119:120], v[98:99], v[117:118]
	v_div_scale_f64 v[102:103], s[20:21], v[100:101], v[100:101], 1.0
	v_div_scale_f64 v[108:109], vcc, 1.0, v[100:101], 1.0
	v_rcp_f64_e32 v[104:105], v[102:103]
	v_fma_f64 v[106:107], -v[102:103], v[104:105], 1.0
	v_fma_f64 v[104:105], v[104:105], v[106:107], v[104:105]
	v_fma_f64 v[106:107], -v[102:103], v[104:105], 1.0
	v_fma_f64 v[104:105], v[104:105], v[106:107], v[104:105]
	v_mul_f64 v[106:107], v[108:109], v[104:105]
	v_fma_f64 v[102:103], -v[102:103], v[106:107], v[108:109]
	v_div_fmas_f64 v[102:103], v[102:103], v[104:105], v[106:107]
	v_div_fixup_f64 v[117:118], v[102:103], v[100:101], 1.0
	v_mul_f64 v[119:120], v[98:99], -v[117:118]
.LBB86_765:
	s_or_b64 exec, exec, s[18:19]
.LBB86_766:
	s_or_b64 exec, exec, s[0:1]
	v_cmp_ne_u32_e32 vcc, v96, v97
	s_and_saveexec_b64 s[0:1], vcc
	s_xor_b64 s[0:1], exec, s[0:1]
	s_cbranch_execz .LBB86_772
; %bb.767:
	v_cmp_eq_u32_e32 vcc, 36, v96
	s_and_saveexec_b64 s[18:19], vcc
	s_cbranch_execz .LBB86_771
; %bb.768:
	v_cmp_ne_u32_e32 vcc, 36, v97
	s_xor_b64 s[20:21], s[6:7], -1
	s_and_b64 s[22:23], s[20:21], vcc
	s_and_saveexec_b64 s[20:21], s[22:23]
	s_cbranch_execz .LBB86_770
; %bb.769:
	v_ashrrev_i32_e32 v98, 31, v97
	v_lshlrev_b64 v[98:99], 2, v[97:98]
	v_add_co_u32_e32 v98, vcc, v91, v98
	v_addc_co_u32_e32 v99, vcc, v92, v99, vcc
	global_load_dword v0, v[98:99], off
	global_load_dword v96, v[91:92], off offset:144
	s_waitcnt vmcnt(1)
	global_store_dword v[91:92], v0, off offset:144
	s_waitcnt vmcnt(1)
	global_store_dword v[98:99], v96, off
.LBB86_770:
	s_or_b64 exec, exec, s[20:21]
	v_mov_b32_e32 v96, v97
	v_mov_b32_e32 v0, v97
.LBB86_771:
	s_or_b64 exec, exec, s[18:19]
.LBB86_772:
	s_andn2_saveexec_b64 s[0:1], s[0:1]
	s_cbranch_execz .LBB86_774
; %bb.773:
	v_mov_b32_e32 v96, 36
	ds_write2_b64 v94, v[21:22], v[23:24] offset0:74 offset1:75
	ds_write2_b64 v94, v[17:18], v[19:20] offset0:76 offset1:77
	;; [unrolled: 1-line block ×7, first 2 shown]
.LBB86_774:
	s_or_b64 exec, exec, s[0:1]
	v_cmp_lt_i32_e32 vcc, 36, v96
	s_waitcnt vmcnt(0) lgkmcnt(0)
	s_barrier
	s_and_saveexec_b64 s[0:1], vcc
	s_cbranch_execz .LBB86_776
; %bb.775:
	v_mul_f64 v[97:98], v[117:118], v[27:28]
	v_mul_f64 v[27:28], v[119:120], v[27:28]
	ds_read2_b64 v[99:102], v94 offset0:74 offset1:75
	v_fma_f64 v[97:98], v[119:120], v[25:26], v[97:98]
	v_fma_f64 v[25:26], v[117:118], v[25:26], -v[27:28]
	s_waitcnt lgkmcnt(0)
	v_mul_f64 v[27:28], v[101:102], v[97:98]
	v_fma_f64 v[27:28], v[99:100], v[25:26], -v[27:28]
	v_mul_f64 v[99:100], v[99:100], v[97:98]
	v_add_f64 v[21:22], v[21:22], -v[27:28]
	v_fma_f64 v[99:100], v[101:102], v[25:26], v[99:100]
	v_add_f64 v[23:24], v[23:24], -v[99:100]
	ds_read2_b64 v[99:102], v94 offset0:76 offset1:77
	s_waitcnt lgkmcnt(0)
	v_mul_f64 v[27:28], v[101:102], v[97:98]
	v_fma_f64 v[27:28], v[99:100], v[25:26], -v[27:28]
	v_mul_f64 v[99:100], v[99:100], v[97:98]
	v_add_f64 v[17:18], v[17:18], -v[27:28]
	v_fma_f64 v[99:100], v[101:102], v[25:26], v[99:100]
	v_add_f64 v[19:20], v[19:20], -v[99:100]
	ds_read2_b64 v[99:102], v94 offset0:78 offset1:79
	;; [unrolled: 8-line block ×6, first 2 shown]
	s_waitcnt lgkmcnt(0)
	v_mul_f64 v[27:28], v[101:102], v[97:98]
	v_fma_f64 v[27:28], v[99:100], v[25:26], -v[27:28]
	v_mul_f64 v[99:100], v[99:100], v[97:98]
	v_add_f64 v[121:122], v[121:122], -v[27:28]
	v_fma_f64 v[99:100], v[101:102], v[25:26], v[99:100]
	v_mov_b32_e32 v27, v97
	v_mov_b32_e32 v28, v98
	v_add_f64 v[123:124], v[123:124], -v[99:100]
.LBB86_776:
	s_or_b64 exec, exec, s[0:1]
	v_lshl_add_u32 v97, v96, 4, v94
	s_barrier
	ds_write2_b64 v97, v[21:22], v[23:24] offset1:1
	s_waitcnt lgkmcnt(0)
	s_barrier
	ds_read2_b64 v[117:120], v94 offset0:74 offset1:75
	s_cmp_lt_i32 s3, 39
	v_mov_b32_e32 v97, 37
	s_cbranch_scc1 .LBB86_779
; %bb.777:
	v_add_u32_e32 v98, 0x260, v94
	s_mov_b32 s0, 38
	v_mov_b32_e32 v97, 37
.LBB86_778:                             ; =>This Inner Loop Header: Depth=1
	s_waitcnt lgkmcnt(0)
	v_cmp_gt_f64_e32 vcc, 0, v[117:118]
	v_xor_b32_e32 v103, 0x80000000, v118
	ds_read2_b64 v[99:102], v98 offset1:1
	v_xor_b32_e32 v105, 0x80000000, v120
	v_add_u32_e32 v98, 16, v98
	s_waitcnt lgkmcnt(0)
	v_xor_b32_e32 v107, 0x80000000, v102
	v_cndmask_b32_e32 v104, v118, v103, vcc
	v_cmp_gt_f64_e32 vcc, 0, v[119:120]
	v_mov_b32_e32 v103, v117
	v_cndmask_b32_e32 v106, v120, v105, vcc
	v_cmp_gt_f64_e32 vcc, 0, v[99:100]
	v_mov_b32_e32 v105, v119
	v_add_f64 v[103:104], v[103:104], v[105:106]
	v_xor_b32_e32 v105, 0x80000000, v100
	v_cndmask_b32_e32 v106, v100, v105, vcc
	v_cmp_gt_f64_e32 vcc, 0, v[101:102]
	v_mov_b32_e32 v105, v99
	v_cndmask_b32_e32 v108, v102, v107, vcc
	v_mov_b32_e32 v107, v101
	v_add_f64 v[105:106], v[105:106], v[107:108]
	v_cmp_lt_f64_e32 vcc, v[103:104], v[105:106]
	v_cndmask_b32_e32 v117, v117, v99, vcc
	v_mov_b32_e32 v99, s0
	s_add_i32 s0, s0, 1
	v_cndmask_b32_e32 v118, v118, v100, vcc
	v_cndmask_b32_e32 v120, v120, v102, vcc
	;; [unrolled: 1-line block ×4, first 2 shown]
	s_cmp_lg_u32 s3, s0
	s_cbranch_scc1 .LBB86_778
.LBB86_779:
	s_waitcnt lgkmcnt(0)
	v_cmp_eq_f64_e32 vcc, 0, v[117:118]
	v_cmp_eq_f64_e64 s[0:1], 0, v[119:120]
	s_and_b64 s[0:1], vcc, s[0:1]
	s_and_saveexec_b64 s[18:19], s[0:1]
	s_xor_b64 s[0:1], exec, s[18:19]
; %bb.780:
	v_cmp_ne_u32_e32 vcc, 0, v95
	v_cndmask_b32_e32 v95, 38, v95, vcc
; %bb.781:
	s_andn2_saveexec_b64 s[0:1], s[0:1]
	s_cbranch_execz .LBB86_787
; %bb.782:
	v_cmp_ngt_f64_e64 s[18:19], |v[117:118]|, |v[119:120]|
	s_and_saveexec_b64 s[20:21], s[18:19]
	s_xor_b64 s[18:19], exec, s[20:21]
	s_cbranch_execz .LBB86_784
; %bb.783:
	v_div_scale_f64 v[98:99], s[20:21], v[119:120], v[119:120], v[117:118]
	v_rcp_f64_e32 v[100:101], v[98:99]
	v_fma_f64 v[102:103], -v[98:99], v[100:101], 1.0
	v_fma_f64 v[100:101], v[100:101], v[102:103], v[100:101]
	v_div_scale_f64 v[102:103], vcc, v[117:118], v[119:120], v[117:118]
	v_fma_f64 v[104:105], -v[98:99], v[100:101], 1.0
	v_fma_f64 v[100:101], v[100:101], v[104:105], v[100:101]
	v_mul_f64 v[104:105], v[102:103], v[100:101]
	v_fma_f64 v[98:99], -v[98:99], v[104:105], v[102:103]
	v_div_fmas_f64 v[98:99], v[98:99], v[100:101], v[104:105]
	v_div_fixup_f64 v[98:99], v[98:99], v[119:120], v[117:118]
	v_fma_f64 v[100:101], v[117:118], v[98:99], v[119:120]
	v_div_scale_f64 v[102:103], s[20:21], v[100:101], v[100:101], 1.0
	v_div_scale_f64 v[108:109], vcc, 1.0, v[100:101], 1.0
	v_rcp_f64_e32 v[104:105], v[102:103]
	v_fma_f64 v[106:107], -v[102:103], v[104:105], 1.0
	v_fma_f64 v[104:105], v[104:105], v[106:107], v[104:105]
	v_fma_f64 v[106:107], -v[102:103], v[104:105], 1.0
	v_fma_f64 v[104:105], v[104:105], v[106:107], v[104:105]
	v_mul_f64 v[106:107], v[108:109], v[104:105]
	v_fma_f64 v[102:103], -v[102:103], v[106:107], v[108:109]
	v_div_fmas_f64 v[102:103], v[102:103], v[104:105], v[106:107]
	v_div_fixup_f64 v[119:120], v[102:103], v[100:101], 1.0
	v_mul_f64 v[117:118], v[98:99], v[119:120]
	v_xor_b32_e32 v120, 0x80000000, v120
.LBB86_784:
	s_andn2_saveexec_b64 s[18:19], s[18:19]
	s_cbranch_execz .LBB86_786
; %bb.785:
	v_div_scale_f64 v[98:99], s[20:21], v[117:118], v[117:118], v[119:120]
	v_rcp_f64_e32 v[100:101], v[98:99]
	v_fma_f64 v[102:103], -v[98:99], v[100:101], 1.0
	v_fma_f64 v[100:101], v[100:101], v[102:103], v[100:101]
	v_div_scale_f64 v[102:103], vcc, v[119:120], v[117:118], v[119:120]
	v_fma_f64 v[104:105], -v[98:99], v[100:101], 1.0
	v_fma_f64 v[100:101], v[100:101], v[104:105], v[100:101]
	v_mul_f64 v[104:105], v[102:103], v[100:101]
	v_fma_f64 v[98:99], -v[98:99], v[104:105], v[102:103]
	v_div_fmas_f64 v[98:99], v[98:99], v[100:101], v[104:105]
	v_div_fixup_f64 v[98:99], v[98:99], v[117:118], v[119:120]
	v_fma_f64 v[100:101], v[119:120], v[98:99], v[117:118]
	v_div_scale_f64 v[102:103], s[20:21], v[100:101], v[100:101], 1.0
	v_div_scale_f64 v[108:109], vcc, 1.0, v[100:101], 1.0
	v_rcp_f64_e32 v[104:105], v[102:103]
	v_fma_f64 v[106:107], -v[102:103], v[104:105], 1.0
	v_fma_f64 v[104:105], v[104:105], v[106:107], v[104:105]
	v_fma_f64 v[106:107], -v[102:103], v[104:105], 1.0
	v_fma_f64 v[104:105], v[104:105], v[106:107], v[104:105]
	v_mul_f64 v[106:107], v[108:109], v[104:105]
	v_fma_f64 v[102:103], -v[102:103], v[106:107], v[108:109]
	v_div_fmas_f64 v[102:103], v[102:103], v[104:105], v[106:107]
	v_div_fixup_f64 v[117:118], v[102:103], v[100:101], 1.0
	v_mul_f64 v[119:120], v[98:99], -v[117:118]
.LBB86_786:
	s_or_b64 exec, exec, s[18:19]
.LBB86_787:
	s_or_b64 exec, exec, s[0:1]
	v_cmp_ne_u32_e32 vcc, v96, v97
	s_and_saveexec_b64 s[0:1], vcc
	s_xor_b64 s[0:1], exec, s[0:1]
	s_cbranch_execz .LBB86_793
; %bb.788:
	v_cmp_eq_u32_e32 vcc, 37, v96
	s_and_saveexec_b64 s[18:19], vcc
	s_cbranch_execz .LBB86_792
; %bb.789:
	v_cmp_ne_u32_e32 vcc, 37, v97
	s_xor_b64 s[20:21], s[6:7], -1
	s_and_b64 s[22:23], s[20:21], vcc
	s_and_saveexec_b64 s[20:21], s[22:23]
	s_cbranch_execz .LBB86_791
; %bb.790:
	v_ashrrev_i32_e32 v98, 31, v97
	v_lshlrev_b64 v[98:99], 2, v[97:98]
	v_add_co_u32_e32 v98, vcc, v91, v98
	v_addc_co_u32_e32 v99, vcc, v92, v99, vcc
	global_load_dword v0, v[98:99], off
	global_load_dword v96, v[91:92], off offset:148
	s_waitcnt vmcnt(1)
	global_store_dword v[91:92], v0, off offset:148
	s_waitcnt vmcnt(1)
	global_store_dword v[98:99], v96, off
.LBB86_791:
	s_or_b64 exec, exec, s[20:21]
	v_mov_b32_e32 v96, v97
	v_mov_b32_e32 v0, v97
.LBB86_792:
	s_or_b64 exec, exec, s[18:19]
.LBB86_793:
	s_andn2_saveexec_b64 s[0:1], s[0:1]
	s_cbranch_execz .LBB86_795
; %bb.794:
	v_mov_b32_e32 v96, 37
	ds_write2_b64 v94, v[17:18], v[19:20] offset0:76 offset1:77
	ds_write2_b64 v94, v[13:14], v[15:16] offset0:78 offset1:79
	;; [unrolled: 1-line block ×6, first 2 shown]
.LBB86_795:
	s_or_b64 exec, exec, s[0:1]
	v_cmp_lt_i32_e32 vcc, 37, v96
	s_waitcnt vmcnt(0) lgkmcnt(0)
	s_barrier
	s_and_saveexec_b64 s[0:1], vcc
	s_cbranch_execz .LBB86_797
; %bb.796:
	v_mul_f64 v[97:98], v[117:118], v[23:24]
	v_mul_f64 v[23:24], v[119:120], v[23:24]
	ds_read2_b64 v[99:102], v94 offset0:76 offset1:77
	v_fma_f64 v[97:98], v[119:120], v[21:22], v[97:98]
	v_fma_f64 v[21:22], v[117:118], v[21:22], -v[23:24]
	s_waitcnt lgkmcnt(0)
	v_mul_f64 v[23:24], v[101:102], v[97:98]
	v_fma_f64 v[23:24], v[99:100], v[21:22], -v[23:24]
	v_mul_f64 v[99:100], v[99:100], v[97:98]
	v_add_f64 v[17:18], v[17:18], -v[23:24]
	v_fma_f64 v[99:100], v[101:102], v[21:22], v[99:100]
	v_add_f64 v[19:20], v[19:20], -v[99:100]
	ds_read2_b64 v[99:102], v94 offset0:78 offset1:79
	s_waitcnt lgkmcnt(0)
	v_mul_f64 v[23:24], v[101:102], v[97:98]
	v_fma_f64 v[23:24], v[99:100], v[21:22], -v[23:24]
	v_mul_f64 v[99:100], v[99:100], v[97:98]
	v_add_f64 v[13:14], v[13:14], -v[23:24]
	v_fma_f64 v[99:100], v[101:102], v[21:22], v[99:100]
	v_add_f64 v[15:16], v[15:16], -v[99:100]
	ds_read2_b64 v[99:102], v94 offset0:80 offset1:81
	;; [unrolled: 8-line block ×5, first 2 shown]
	s_waitcnt lgkmcnt(0)
	v_mul_f64 v[23:24], v[101:102], v[97:98]
	v_fma_f64 v[23:24], v[99:100], v[21:22], -v[23:24]
	v_mul_f64 v[99:100], v[99:100], v[97:98]
	v_add_f64 v[121:122], v[121:122], -v[23:24]
	v_fma_f64 v[99:100], v[101:102], v[21:22], v[99:100]
	v_mov_b32_e32 v23, v97
	v_mov_b32_e32 v24, v98
	v_add_f64 v[123:124], v[123:124], -v[99:100]
.LBB86_797:
	s_or_b64 exec, exec, s[0:1]
	v_lshl_add_u32 v97, v96, 4, v94
	s_barrier
	ds_write2_b64 v97, v[17:18], v[19:20] offset1:1
	s_waitcnt lgkmcnt(0)
	s_barrier
	ds_read2_b64 v[117:120], v94 offset0:76 offset1:77
	s_cmp_lt_i32 s3, 40
	v_mov_b32_e32 v97, 38
	s_cbranch_scc1 .LBB86_800
; %bb.798:
	v_add_u32_e32 v98, 0x270, v94
	s_mov_b32 s0, 39
	v_mov_b32_e32 v97, 38
.LBB86_799:                             ; =>This Inner Loop Header: Depth=1
	s_waitcnt lgkmcnt(0)
	v_cmp_gt_f64_e32 vcc, 0, v[117:118]
	v_xor_b32_e32 v103, 0x80000000, v118
	ds_read2_b64 v[99:102], v98 offset1:1
	v_xor_b32_e32 v105, 0x80000000, v120
	v_add_u32_e32 v98, 16, v98
	s_waitcnt lgkmcnt(0)
	v_xor_b32_e32 v107, 0x80000000, v102
	v_cndmask_b32_e32 v104, v118, v103, vcc
	v_cmp_gt_f64_e32 vcc, 0, v[119:120]
	v_mov_b32_e32 v103, v117
	v_cndmask_b32_e32 v106, v120, v105, vcc
	v_cmp_gt_f64_e32 vcc, 0, v[99:100]
	v_mov_b32_e32 v105, v119
	v_add_f64 v[103:104], v[103:104], v[105:106]
	v_xor_b32_e32 v105, 0x80000000, v100
	v_cndmask_b32_e32 v106, v100, v105, vcc
	v_cmp_gt_f64_e32 vcc, 0, v[101:102]
	v_mov_b32_e32 v105, v99
	v_cndmask_b32_e32 v108, v102, v107, vcc
	v_mov_b32_e32 v107, v101
	v_add_f64 v[105:106], v[105:106], v[107:108]
	v_cmp_lt_f64_e32 vcc, v[103:104], v[105:106]
	v_cndmask_b32_e32 v117, v117, v99, vcc
	v_mov_b32_e32 v99, s0
	s_add_i32 s0, s0, 1
	v_cndmask_b32_e32 v118, v118, v100, vcc
	v_cndmask_b32_e32 v120, v120, v102, vcc
	;; [unrolled: 1-line block ×4, first 2 shown]
	s_cmp_lg_u32 s3, s0
	s_cbranch_scc1 .LBB86_799
.LBB86_800:
	s_waitcnt lgkmcnt(0)
	v_cmp_eq_f64_e32 vcc, 0, v[117:118]
	v_cmp_eq_f64_e64 s[0:1], 0, v[119:120]
	s_and_b64 s[0:1], vcc, s[0:1]
	s_and_saveexec_b64 s[18:19], s[0:1]
	s_xor_b64 s[0:1], exec, s[18:19]
; %bb.801:
	v_cmp_ne_u32_e32 vcc, 0, v95
	v_cndmask_b32_e32 v95, 39, v95, vcc
; %bb.802:
	s_andn2_saveexec_b64 s[0:1], s[0:1]
	s_cbranch_execz .LBB86_808
; %bb.803:
	v_cmp_ngt_f64_e64 s[18:19], |v[117:118]|, |v[119:120]|
	s_and_saveexec_b64 s[20:21], s[18:19]
	s_xor_b64 s[18:19], exec, s[20:21]
	s_cbranch_execz .LBB86_805
; %bb.804:
	v_div_scale_f64 v[98:99], s[20:21], v[119:120], v[119:120], v[117:118]
	v_rcp_f64_e32 v[100:101], v[98:99]
	v_fma_f64 v[102:103], -v[98:99], v[100:101], 1.0
	v_fma_f64 v[100:101], v[100:101], v[102:103], v[100:101]
	v_div_scale_f64 v[102:103], vcc, v[117:118], v[119:120], v[117:118]
	v_fma_f64 v[104:105], -v[98:99], v[100:101], 1.0
	v_fma_f64 v[100:101], v[100:101], v[104:105], v[100:101]
	v_mul_f64 v[104:105], v[102:103], v[100:101]
	v_fma_f64 v[98:99], -v[98:99], v[104:105], v[102:103]
	v_div_fmas_f64 v[98:99], v[98:99], v[100:101], v[104:105]
	v_div_fixup_f64 v[98:99], v[98:99], v[119:120], v[117:118]
	v_fma_f64 v[100:101], v[117:118], v[98:99], v[119:120]
	v_div_scale_f64 v[102:103], s[20:21], v[100:101], v[100:101], 1.0
	v_div_scale_f64 v[108:109], vcc, 1.0, v[100:101], 1.0
	v_rcp_f64_e32 v[104:105], v[102:103]
	v_fma_f64 v[106:107], -v[102:103], v[104:105], 1.0
	v_fma_f64 v[104:105], v[104:105], v[106:107], v[104:105]
	v_fma_f64 v[106:107], -v[102:103], v[104:105], 1.0
	v_fma_f64 v[104:105], v[104:105], v[106:107], v[104:105]
	v_mul_f64 v[106:107], v[108:109], v[104:105]
	v_fma_f64 v[102:103], -v[102:103], v[106:107], v[108:109]
	v_div_fmas_f64 v[102:103], v[102:103], v[104:105], v[106:107]
	v_div_fixup_f64 v[119:120], v[102:103], v[100:101], 1.0
	v_mul_f64 v[117:118], v[98:99], v[119:120]
	v_xor_b32_e32 v120, 0x80000000, v120
.LBB86_805:
	s_andn2_saveexec_b64 s[18:19], s[18:19]
	s_cbranch_execz .LBB86_807
; %bb.806:
	v_div_scale_f64 v[98:99], s[20:21], v[117:118], v[117:118], v[119:120]
	v_rcp_f64_e32 v[100:101], v[98:99]
	v_fma_f64 v[102:103], -v[98:99], v[100:101], 1.0
	v_fma_f64 v[100:101], v[100:101], v[102:103], v[100:101]
	v_div_scale_f64 v[102:103], vcc, v[119:120], v[117:118], v[119:120]
	v_fma_f64 v[104:105], -v[98:99], v[100:101], 1.0
	v_fma_f64 v[100:101], v[100:101], v[104:105], v[100:101]
	v_mul_f64 v[104:105], v[102:103], v[100:101]
	v_fma_f64 v[98:99], -v[98:99], v[104:105], v[102:103]
	v_div_fmas_f64 v[98:99], v[98:99], v[100:101], v[104:105]
	v_div_fixup_f64 v[98:99], v[98:99], v[117:118], v[119:120]
	v_fma_f64 v[100:101], v[119:120], v[98:99], v[117:118]
	v_div_scale_f64 v[102:103], s[20:21], v[100:101], v[100:101], 1.0
	v_div_scale_f64 v[108:109], vcc, 1.0, v[100:101], 1.0
	v_rcp_f64_e32 v[104:105], v[102:103]
	v_fma_f64 v[106:107], -v[102:103], v[104:105], 1.0
	v_fma_f64 v[104:105], v[104:105], v[106:107], v[104:105]
	v_fma_f64 v[106:107], -v[102:103], v[104:105], 1.0
	v_fma_f64 v[104:105], v[104:105], v[106:107], v[104:105]
	v_mul_f64 v[106:107], v[108:109], v[104:105]
	v_fma_f64 v[102:103], -v[102:103], v[106:107], v[108:109]
	v_div_fmas_f64 v[102:103], v[102:103], v[104:105], v[106:107]
	v_div_fixup_f64 v[117:118], v[102:103], v[100:101], 1.0
	v_mul_f64 v[119:120], v[98:99], -v[117:118]
.LBB86_807:
	s_or_b64 exec, exec, s[18:19]
.LBB86_808:
	s_or_b64 exec, exec, s[0:1]
	v_cmp_ne_u32_e32 vcc, v96, v97
	s_and_saveexec_b64 s[0:1], vcc
	s_xor_b64 s[0:1], exec, s[0:1]
	s_cbranch_execz .LBB86_814
; %bb.809:
	v_cmp_eq_u32_e32 vcc, 38, v96
	s_and_saveexec_b64 s[18:19], vcc
	s_cbranch_execz .LBB86_813
; %bb.810:
	v_cmp_ne_u32_e32 vcc, 38, v97
	s_xor_b64 s[20:21], s[6:7], -1
	s_and_b64 s[22:23], s[20:21], vcc
	s_and_saveexec_b64 s[20:21], s[22:23]
	s_cbranch_execz .LBB86_812
; %bb.811:
	v_ashrrev_i32_e32 v98, 31, v97
	v_lshlrev_b64 v[98:99], 2, v[97:98]
	v_add_co_u32_e32 v98, vcc, v91, v98
	v_addc_co_u32_e32 v99, vcc, v92, v99, vcc
	global_load_dword v0, v[98:99], off
	global_load_dword v96, v[91:92], off offset:152
	s_waitcnt vmcnt(1)
	global_store_dword v[91:92], v0, off offset:152
	s_waitcnt vmcnt(1)
	global_store_dword v[98:99], v96, off
.LBB86_812:
	s_or_b64 exec, exec, s[20:21]
	v_mov_b32_e32 v96, v97
	v_mov_b32_e32 v0, v97
.LBB86_813:
	s_or_b64 exec, exec, s[18:19]
.LBB86_814:
	s_andn2_saveexec_b64 s[0:1], s[0:1]
	s_cbranch_execz .LBB86_816
; %bb.815:
	v_mov_b32_e32 v96, 38
	ds_write2_b64 v94, v[13:14], v[15:16] offset0:78 offset1:79
	ds_write2_b64 v94, v[9:10], v[11:12] offset0:80 offset1:81
	;; [unrolled: 1-line block ×5, first 2 shown]
.LBB86_816:
	s_or_b64 exec, exec, s[0:1]
	v_cmp_lt_i32_e32 vcc, 38, v96
	s_waitcnt vmcnt(0) lgkmcnt(0)
	s_barrier
	s_and_saveexec_b64 s[0:1], vcc
	s_cbranch_execz .LBB86_818
; %bb.817:
	v_mul_f64 v[97:98], v[117:118], v[19:20]
	v_mul_f64 v[19:20], v[119:120], v[19:20]
	v_fma_f64 v[101:102], v[119:120], v[17:18], v[97:98]
	ds_read2_b64 v[97:100], v94 offset0:78 offset1:79
	v_fma_f64 v[17:18], v[117:118], v[17:18], -v[19:20]
	s_waitcnt lgkmcnt(0)
	v_mul_f64 v[19:20], v[99:100], v[101:102]
	v_fma_f64 v[19:20], v[97:98], v[17:18], -v[19:20]
	v_mul_f64 v[97:98], v[97:98], v[101:102]
	v_add_f64 v[13:14], v[13:14], -v[19:20]
	v_fma_f64 v[97:98], v[99:100], v[17:18], v[97:98]
	v_add_f64 v[15:16], v[15:16], -v[97:98]
	ds_read2_b64 v[97:100], v94 offset0:80 offset1:81
	s_waitcnt lgkmcnt(0)
	v_mul_f64 v[19:20], v[99:100], v[101:102]
	v_fma_f64 v[19:20], v[97:98], v[17:18], -v[19:20]
	v_mul_f64 v[97:98], v[97:98], v[101:102]
	v_add_f64 v[9:10], v[9:10], -v[19:20]
	v_fma_f64 v[97:98], v[99:100], v[17:18], v[97:98]
	v_add_f64 v[11:12], v[11:12], -v[97:98]
	ds_read2_b64 v[97:100], v94 offset0:82 offset1:83
	;; [unrolled: 8-line block ×4, first 2 shown]
	s_waitcnt lgkmcnt(0)
	v_mul_f64 v[19:20], v[99:100], v[101:102]
	v_fma_f64 v[19:20], v[97:98], v[17:18], -v[19:20]
	v_mul_f64 v[97:98], v[97:98], v[101:102]
	v_add_f64 v[121:122], v[121:122], -v[19:20]
	v_fma_f64 v[97:98], v[99:100], v[17:18], v[97:98]
	v_mov_b32_e32 v19, v101
	v_mov_b32_e32 v20, v102
	v_add_f64 v[123:124], v[123:124], -v[97:98]
.LBB86_818:
	s_or_b64 exec, exec, s[0:1]
	v_lshl_add_u32 v97, v96, 4, v94
	s_barrier
	ds_write2_b64 v97, v[13:14], v[15:16] offset1:1
	s_waitcnt lgkmcnt(0)
	s_barrier
	ds_read2_b64 v[117:120], v94 offset0:78 offset1:79
	s_cmp_lt_i32 s3, 41
	v_mov_b32_e32 v97, 39
	s_cbranch_scc1 .LBB86_821
; %bb.819:
	v_add_u32_e32 v98, 0x280, v94
	s_mov_b32 s0, 40
	v_mov_b32_e32 v97, 39
.LBB86_820:                             ; =>This Inner Loop Header: Depth=1
	s_waitcnt lgkmcnt(0)
	v_cmp_gt_f64_e32 vcc, 0, v[117:118]
	v_xor_b32_e32 v103, 0x80000000, v118
	ds_read2_b64 v[99:102], v98 offset1:1
	v_xor_b32_e32 v105, 0x80000000, v120
	v_add_u32_e32 v98, 16, v98
	s_waitcnt lgkmcnt(0)
	v_xor_b32_e32 v107, 0x80000000, v102
	v_cndmask_b32_e32 v104, v118, v103, vcc
	v_cmp_gt_f64_e32 vcc, 0, v[119:120]
	v_mov_b32_e32 v103, v117
	v_cndmask_b32_e32 v106, v120, v105, vcc
	v_cmp_gt_f64_e32 vcc, 0, v[99:100]
	v_mov_b32_e32 v105, v119
	v_add_f64 v[103:104], v[103:104], v[105:106]
	v_xor_b32_e32 v105, 0x80000000, v100
	v_cndmask_b32_e32 v106, v100, v105, vcc
	v_cmp_gt_f64_e32 vcc, 0, v[101:102]
	v_mov_b32_e32 v105, v99
	v_cndmask_b32_e32 v108, v102, v107, vcc
	v_mov_b32_e32 v107, v101
	v_add_f64 v[105:106], v[105:106], v[107:108]
	v_cmp_lt_f64_e32 vcc, v[103:104], v[105:106]
	v_cndmask_b32_e32 v117, v117, v99, vcc
	v_mov_b32_e32 v99, s0
	s_add_i32 s0, s0, 1
	v_cndmask_b32_e32 v118, v118, v100, vcc
	v_cndmask_b32_e32 v120, v120, v102, vcc
	;; [unrolled: 1-line block ×4, first 2 shown]
	s_cmp_lg_u32 s3, s0
	s_cbranch_scc1 .LBB86_820
.LBB86_821:
	s_waitcnt lgkmcnt(0)
	v_cmp_eq_f64_e32 vcc, 0, v[117:118]
	v_cmp_eq_f64_e64 s[0:1], 0, v[119:120]
	s_and_b64 s[0:1], vcc, s[0:1]
	s_and_saveexec_b64 s[18:19], s[0:1]
	s_xor_b64 s[0:1], exec, s[18:19]
; %bb.822:
	v_cmp_ne_u32_e32 vcc, 0, v95
	v_cndmask_b32_e32 v95, 40, v95, vcc
; %bb.823:
	s_andn2_saveexec_b64 s[0:1], s[0:1]
	s_cbranch_execz .LBB86_829
; %bb.824:
	v_cmp_ngt_f64_e64 s[18:19], |v[117:118]|, |v[119:120]|
	s_and_saveexec_b64 s[20:21], s[18:19]
	s_xor_b64 s[18:19], exec, s[20:21]
	s_cbranch_execz .LBB86_826
; %bb.825:
	v_div_scale_f64 v[98:99], s[20:21], v[119:120], v[119:120], v[117:118]
	v_rcp_f64_e32 v[100:101], v[98:99]
	v_fma_f64 v[102:103], -v[98:99], v[100:101], 1.0
	v_fma_f64 v[100:101], v[100:101], v[102:103], v[100:101]
	v_div_scale_f64 v[102:103], vcc, v[117:118], v[119:120], v[117:118]
	v_fma_f64 v[104:105], -v[98:99], v[100:101], 1.0
	v_fma_f64 v[100:101], v[100:101], v[104:105], v[100:101]
	v_mul_f64 v[104:105], v[102:103], v[100:101]
	v_fma_f64 v[98:99], -v[98:99], v[104:105], v[102:103]
	v_div_fmas_f64 v[98:99], v[98:99], v[100:101], v[104:105]
	v_div_fixup_f64 v[98:99], v[98:99], v[119:120], v[117:118]
	v_fma_f64 v[100:101], v[117:118], v[98:99], v[119:120]
	v_div_scale_f64 v[102:103], s[20:21], v[100:101], v[100:101], 1.0
	v_div_scale_f64 v[108:109], vcc, 1.0, v[100:101], 1.0
	v_rcp_f64_e32 v[104:105], v[102:103]
	v_fma_f64 v[106:107], -v[102:103], v[104:105], 1.0
	v_fma_f64 v[104:105], v[104:105], v[106:107], v[104:105]
	v_fma_f64 v[106:107], -v[102:103], v[104:105], 1.0
	v_fma_f64 v[104:105], v[104:105], v[106:107], v[104:105]
	v_mul_f64 v[106:107], v[108:109], v[104:105]
	v_fma_f64 v[102:103], -v[102:103], v[106:107], v[108:109]
	v_div_fmas_f64 v[102:103], v[102:103], v[104:105], v[106:107]
	v_div_fixup_f64 v[119:120], v[102:103], v[100:101], 1.0
	v_mul_f64 v[117:118], v[98:99], v[119:120]
	v_xor_b32_e32 v120, 0x80000000, v120
.LBB86_826:
	s_andn2_saveexec_b64 s[18:19], s[18:19]
	s_cbranch_execz .LBB86_828
; %bb.827:
	v_div_scale_f64 v[98:99], s[20:21], v[117:118], v[117:118], v[119:120]
	v_rcp_f64_e32 v[100:101], v[98:99]
	v_fma_f64 v[102:103], -v[98:99], v[100:101], 1.0
	v_fma_f64 v[100:101], v[100:101], v[102:103], v[100:101]
	v_div_scale_f64 v[102:103], vcc, v[119:120], v[117:118], v[119:120]
	v_fma_f64 v[104:105], -v[98:99], v[100:101], 1.0
	v_fma_f64 v[100:101], v[100:101], v[104:105], v[100:101]
	v_mul_f64 v[104:105], v[102:103], v[100:101]
	v_fma_f64 v[98:99], -v[98:99], v[104:105], v[102:103]
	v_div_fmas_f64 v[98:99], v[98:99], v[100:101], v[104:105]
	v_div_fixup_f64 v[98:99], v[98:99], v[117:118], v[119:120]
	v_fma_f64 v[100:101], v[119:120], v[98:99], v[117:118]
	v_div_scale_f64 v[102:103], s[20:21], v[100:101], v[100:101], 1.0
	v_div_scale_f64 v[108:109], vcc, 1.0, v[100:101], 1.0
	v_rcp_f64_e32 v[104:105], v[102:103]
	v_fma_f64 v[106:107], -v[102:103], v[104:105], 1.0
	v_fma_f64 v[104:105], v[104:105], v[106:107], v[104:105]
	v_fma_f64 v[106:107], -v[102:103], v[104:105], 1.0
	v_fma_f64 v[104:105], v[104:105], v[106:107], v[104:105]
	v_mul_f64 v[106:107], v[108:109], v[104:105]
	v_fma_f64 v[102:103], -v[102:103], v[106:107], v[108:109]
	v_div_fmas_f64 v[102:103], v[102:103], v[104:105], v[106:107]
	v_div_fixup_f64 v[117:118], v[102:103], v[100:101], 1.0
	v_mul_f64 v[119:120], v[98:99], -v[117:118]
.LBB86_828:
	s_or_b64 exec, exec, s[18:19]
.LBB86_829:
	s_or_b64 exec, exec, s[0:1]
	v_cmp_ne_u32_e32 vcc, v96, v97
	s_and_saveexec_b64 s[0:1], vcc
	s_xor_b64 s[0:1], exec, s[0:1]
	s_cbranch_execz .LBB86_835
; %bb.830:
	v_cmp_eq_u32_e32 vcc, 39, v96
	s_and_saveexec_b64 s[18:19], vcc
	s_cbranch_execz .LBB86_834
; %bb.831:
	v_cmp_ne_u32_e32 vcc, 39, v97
	s_xor_b64 s[20:21], s[6:7], -1
	s_and_b64 s[22:23], s[20:21], vcc
	s_and_saveexec_b64 s[20:21], s[22:23]
	s_cbranch_execz .LBB86_833
; %bb.832:
	v_ashrrev_i32_e32 v98, 31, v97
	v_lshlrev_b64 v[98:99], 2, v[97:98]
	v_add_co_u32_e32 v98, vcc, v91, v98
	v_addc_co_u32_e32 v99, vcc, v92, v99, vcc
	global_load_dword v0, v[98:99], off
	global_load_dword v96, v[91:92], off offset:156
	s_waitcnt vmcnt(1)
	global_store_dword v[91:92], v0, off offset:156
	s_waitcnt vmcnt(1)
	global_store_dword v[98:99], v96, off
.LBB86_833:
	s_or_b64 exec, exec, s[20:21]
	v_mov_b32_e32 v96, v97
	v_mov_b32_e32 v0, v97
.LBB86_834:
	s_or_b64 exec, exec, s[18:19]
.LBB86_835:
	s_andn2_saveexec_b64 s[0:1], s[0:1]
	s_cbranch_execz .LBB86_837
; %bb.836:
	v_mov_b32_e32 v96, 39
	ds_write2_b64 v94, v[9:10], v[11:12] offset0:80 offset1:81
	ds_write2_b64 v94, v[5:6], v[7:8] offset0:82 offset1:83
	;; [unrolled: 1-line block ×4, first 2 shown]
.LBB86_837:
	s_or_b64 exec, exec, s[0:1]
	v_cmp_lt_i32_e32 vcc, 39, v96
	s_waitcnt vmcnt(0) lgkmcnt(0)
	s_barrier
	s_and_saveexec_b64 s[0:1], vcc
	s_cbranch_execz .LBB86_839
; %bb.838:
	v_mul_f64 v[97:98], v[117:118], v[15:16]
	v_mul_f64 v[15:16], v[119:120], v[15:16]
	v_fma_f64 v[101:102], v[119:120], v[13:14], v[97:98]
	ds_read2_b64 v[97:100], v94 offset0:80 offset1:81
	v_fma_f64 v[13:14], v[117:118], v[13:14], -v[15:16]
	s_waitcnt lgkmcnt(0)
	v_mul_f64 v[15:16], v[99:100], v[101:102]
	v_fma_f64 v[15:16], v[97:98], v[13:14], -v[15:16]
	v_mul_f64 v[97:98], v[97:98], v[101:102]
	v_add_f64 v[9:10], v[9:10], -v[15:16]
	v_fma_f64 v[97:98], v[99:100], v[13:14], v[97:98]
	v_add_f64 v[11:12], v[11:12], -v[97:98]
	ds_read2_b64 v[97:100], v94 offset0:82 offset1:83
	s_waitcnt lgkmcnt(0)
	v_mul_f64 v[15:16], v[99:100], v[101:102]
	v_fma_f64 v[15:16], v[97:98], v[13:14], -v[15:16]
	v_mul_f64 v[97:98], v[97:98], v[101:102]
	v_add_f64 v[5:6], v[5:6], -v[15:16]
	v_fma_f64 v[97:98], v[99:100], v[13:14], v[97:98]
	v_add_f64 v[7:8], v[7:8], -v[97:98]
	ds_read2_b64 v[97:100], v94 offset0:84 offset1:85
	;; [unrolled: 8-line block ×3, first 2 shown]
	s_waitcnt lgkmcnt(0)
	v_mul_f64 v[15:16], v[99:100], v[101:102]
	v_fma_f64 v[15:16], v[97:98], v[13:14], -v[15:16]
	v_mul_f64 v[97:98], v[97:98], v[101:102]
	v_add_f64 v[121:122], v[121:122], -v[15:16]
	v_fma_f64 v[97:98], v[99:100], v[13:14], v[97:98]
	v_mov_b32_e32 v15, v101
	v_mov_b32_e32 v16, v102
	v_add_f64 v[123:124], v[123:124], -v[97:98]
.LBB86_839:
	s_or_b64 exec, exec, s[0:1]
	v_lshl_add_u32 v97, v96, 4, v94
	s_barrier
	ds_write2_b64 v97, v[9:10], v[11:12] offset1:1
	s_waitcnt lgkmcnt(0)
	s_barrier
	ds_read2_b64 v[117:120], v94 offset0:80 offset1:81
	s_cmp_lt_i32 s3, 42
	v_mov_b32_e32 v97, 40
	s_cbranch_scc1 .LBB86_842
; %bb.840:
	v_add_u32_e32 v98, 0x290, v94
	s_mov_b32 s0, 41
	v_mov_b32_e32 v97, 40
.LBB86_841:                             ; =>This Inner Loop Header: Depth=1
	s_waitcnt lgkmcnt(0)
	v_cmp_gt_f64_e32 vcc, 0, v[117:118]
	v_xor_b32_e32 v103, 0x80000000, v118
	ds_read2_b64 v[99:102], v98 offset1:1
	v_xor_b32_e32 v105, 0x80000000, v120
	v_add_u32_e32 v98, 16, v98
	s_waitcnt lgkmcnt(0)
	v_xor_b32_e32 v107, 0x80000000, v102
	v_cndmask_b32_e32 v104, v118, v103, vcc
	v_cmp_gt_f64_e32 vcc, 0, v[119:120]
	v_mov_b32_e32 v103, v117
	v_cndmask_b32_e32 v106, v120, v105, vcc
	v_cmp_gt_f64_e32 vcc, 0, v[99:100]
	v_mov_b32_e32 v105, v119
	v_add_f64 v[103:104], v[103:104], v[105:106]
	v_xor_b32_e32 v105, 0x80000000, v100
	v_cndmask_b32_e32 v106, v100, v105, vcc
	v_cmp_gt_f64_e32 vcc, 0, v[101:102]
	v_mov_b32_e32 v105, v99
	v_cndmask_b32_e32 v108, v102, v107, vcc
	v_mov_b32_e32 v107, v101
	v_add_f64 v[105:106], v[105:106], v[107:108]
	v_cmp_lt_f64_e32 vcc, v[103:104], v[105:106]
	v_cndmask_b32_e32 v117, v117, v99, vcc
	v_mov_b32_e32 v99, s0
	s_add_i32 s0, s0, 1
	v_cndmask_b32_e32 v118, v118, v100, vcc
	v_cndmask_b32_e32 v120, v120, v102, vcc
	;; [unrolled: 1-line block ×4, first 2 shown]
	s_cmp_lg_u32 s3, s0
	s_cbranch_scc1 .LBB86_841
.LBB86_842:
	s_waitcnt lgkmcnt(0)
	v_cmp_eq_f64_e32 vcc, 0, v[117:118]
	v_cmp_eq_f64_e64 s[0:1], 0, v[119:120]
	s_and_b64 s[0:1], vcc, s[0:1]
	s_and_saveexec_b64 s[18:19], s[0:1]
	s_xor_b64 s[0:1], exec, s[18:19]
; %bb.843:
	v_cmp_ne_u32_e32 vcc, 0, v95
	v_cndmask_b32_e32 v95, 41, v95, vcc
; %bb.844:
	s_andn2_saveexec_b64 s[0:1], s[0:1]
	s_cbranch_execz .LBB86_850
; %bb.845:
	v_cmp_ngt_f64_e64 s[18:19], |v[117:118]|, |v[119:120]|
	s_and_saveexec_b64 s[20:21], s[18:19]
	s_xor_b64 s[18:19], exec, s[20:21]
	s_cbranch_execz .LBB86_847
; %bb.846:
	v_div_scale_f64 v[98:99], s[20:21], v[119:120], v[119:120], v[117:118]
	v_rcp_f64_e32 v[100:101], v[98:99]
	v_fma_f64 v[102:103], -v[98:99], v[100:101], 1.0
	v_fma_f64 v[100:101], v[100:101], v[102:103], v[100:101]
	v_div_scale_f64 v[102:103], vcc, v[117:118], v[119:120], v[117:118]
	v_fma_f64 v[104:105], -v[98:99], v[100:101], 1.0
	v_fma_f64 v[100:101], v[100:101], v[104:105], v[100:101]
	v_mul_f64 v[104:105], v[102:103], v[100:101]
	v_fma_f64 v[98:99], -v[98:99], v[104:105], v[102:103]
	v_div_fmas_f64 v[98:99], v[98:99], v[100:101], v[104:105]
	v_div_fixup_f64 v[98:99], v[98:99], v[119:120], v[117:118]
	v_fma_f64 v[100:101], v[117:118], v[98:99], v[119:120]
	v_div_scale_f64 v[102:103], s[20:21], v[100:101], v[100:101], 1.0
	v_div_scale_f64 v[108:109], vcc, 1.0, v[100:101], 1.0
	v_rcp_f64_e32 v[104:105], v[102:103]
	v_fma_f64 v[106:107], -v[102:103], v[104:105], 1.0
	v_fma_f64 v[104:105], v[104:105], v[106:107], v[104:105]
	v_fma_f64 v[106:107], -v[102:103], v[104:105], 1.0
	v_fma_f64 v[104:105], v[104:105], v[106:107], v[104:105]
	v_mul_f64 v[106:107], v[108:109], v[104:105]
	v_fma_f64 v[102:103], -v[102:103], v[106:107], v[108:109]
	v_div_fmas_f64 v[102:103], v[102:103], v[104:105], v[106:107]
	v_div_fixup_f64 v[119:120], v[102:103], v[100:101], 1.0
	v_mul_f64 v[117:118], v[98:99], v[119:120]
	v_xor_b32_e32 v120, 0x80000000, v120
.LBB86_847:
	s_andn2_saveexec_b64 s[18:19], s[18:19]
	s_cbranch_execz .LBB86_849
; %bb.848:
	v_div_scale_f64 v[98:99], s[20:21], v[117:118], v[117:118], v[119:120]
	v_rcp_f64_e32 v[100:101], v[98:99]
	v_fma_f64 v[102:103], -v[98:99], v[100:101], 1.0
	v_fma_f64 v[100:101], v[100:101], v[102:103], v[100:101]
	v_div_scale_f64 v[102:103], vcc, v[119:120], v[117:118], v[119:120]
	v_fma_f64 v[104:105], -v[98:99], v[100:101], 1.0
	v_fma_f64 v[100:101], v[100:101], v[104:105], v[100:101]
	v_mul_f64 v[104:105], v[102:103], v[100:101]
	v_fma_f64 v[98:99], -v[98:99], v[104:105], v[102:103]
	v_div_fmas_f64 v[98:99], v[98:99], v[100:101], v[104:105]
	v_div_fixup_f64 v[98:99], v[98:99], v[117:118], v[119:120]
	v_fma_f64 v[100:101], v[119:120], v[98:99], v[117:118]
	v_div_scale_f64 v[102:103], s[20:21], v[100:101], v[100:101], 1.0
	v_div_scale_f64 v[108:109], vcc, 1.0, v[100:101], 1.0
	v_rcp_f64_e32 v[104:105], v[102:103]
	v_fma_f64 v[106:107], -v[102:103], v[104:105], 1.0
	v_fma_f64 v[104:105], v[104:105], v[106:107], v[104:105]
	v_fma_f64 v[106:107], -v[102:103], v[104:105], 1.0
	v_fma_f64 v[104:105], v[104:105], v[106:107], v[104:105]
	v_mul_f64 v[106:107], v[108:109], v[104:105]
	v_fma_f64 v[102:103], -v[102:103], v[106:107], v[108:109]
	v_div_fmas_f64 v[102:103], v[102:103], v[104:105], v[106:107]
	v_div_fixup_f64 v[117:118], v[102:103], v[100:101], 1.0
	v_mul_f64 v[119:120], v[98:99], -v[117:118]
.LBB86_849:
	s_or_b64 exec, exec, s[18:19]
.LBB86_850:
	s_or_b64 exec, exec, s[0:1]
	v_cmp_ne_u32_e32 vcc, v96, v97
	s_and_saveexec_b64 s[0:1], vcc
	s_xor_b64 s[0:1], exec, s[0:1]
	s_cbranch_execz .LBB86_856
; %bb.851:
	v_cmp_eq_u32_e32 vcc, 40, v96
	s_and_saveexec_b64 s[18:19], vcc
	s_cbranch_execz .LBB86_855
; %bb.852:
	v_cmp_ne_u32_e32 vcc, 40, v97
	s_xor_b64 s[20:21], s[6:7], -1
	s_and_b64 s[22:23], s[20:21], vcc
	s_and_saveexec_b64 s[20:21], s[22:23]
	s_cbranch_execz .LBB86_854
; %bb.853:
	v_ashrrev_i32_e32 v98, 31, v97
	v_lshlrev_b64 v[98:99], 2, v[97:98]
	v_add_co_u32_e32 v98, vcc, v91, v98
	v_addc_co_u32_e32 v99, vcc, v92, v99, vcc
	global_load_dword v0, v[98:99], off
	global_load_dword v96, v[91:92], off offset:160
	s_waitcnt vmcnt(1)
	global_store_dword v[91:92], v0, off offset:160
	s_waitcnt vmcnt(1)
	global_store_dword v[98:99], v96, off
.LBB86_854:
	s_or_b64 exec, exec, s[20:21]
	v_mov_b32_e32 v96, v97
	v_mov_b32_e32 v0, v97
.LBB86_855:
	s_or_b64 exec, exec, s[18:19]
.LBB86_856:
	s_andn2_saveexec_b64 s[0:1], s[0:1]
	s_cbranch_execz .LBB86_858
; %bb.857:
	v_mov_b32_e32 v96, 40
	ds_write2_b64 v94, v[5:6], v[7:8] offset0:82 offset1:83
	ds_write2_b64 v94, v[1:2], v[3:4] offset0:84 offset1:85
	;; [unrolled: 1-line block ×3, first 2 shown]
.LBB86_858:
	s_or_b64 exec, exec, s[0:1]
	v_cmp_lt_i32_e32 vcc, 40, v96
	s_waitcnt vmcnt(0) lgkmcnt(0)
	s_barrier
	s_and_saveexec_b64 s[0:1], vcc
	s_cbranch_execz .LBB86_860
; %bb.859:
	v_mul_f64 v[97:98], v[117:118], v[11:12]
	v_mul_f64 v[11:12], v[119:120], v[11:12]
	v_fma_f64 v[101:102], v[119:120], v[9:10], v[97:98]
	ds_read2_b64 v[97:100], v94 offset0:82 offset1:83
	v_fma_f64 v[9:10], v[117:118], v[9:10], -v[11:12]
	s_waitcnt lgkmcnt(0)
	v_mul_f64 v[11:12], v[99:100], v[101:102]
	v_fma_f64 v[11:12], v[97:98], v[9:10], -v[11:12]
	v_mul_f64 v[97:98], v[97:98], v[101:102]
	v_add_f64 v[5:6], v[5:6], -v[11:12]
	v_fma_f64 v[97:98], v[99:100], v[9:10], v[97:98]
	v_add_f64 v[7:8], v[7:8], -v[97:98]
	ds_read2_b64 v[97:100], v94 offset0:84 offset1:85
	s_waitcnt lgkmcnt(0)
	v_mul_f64 v[11:12], v[99:100], v[101:102]
	v_fma_f64 v[11:12], v[97:98], v[9:10], -v[11:12]
	v_mul_f64 v[97:98], v[97:98], v[101:102]
	v_add_f64 v[1:2], v[1:2], -v[11:12]
	v_fma_f64 v[97:98], v[99:100], v[9:10], v[97:98]
	v_add_f64 v[3:4], v[3:4], -v[97:98]
	ds_read2_b64 v[97:100], v94 offset0:86 offset1:87
	s_waitcnt lgkmcnt(0)
	v_mul_f64 v[11:12], v[99:100], v[101:102]
	v_fma_f64 v[11:12], v[97:98], v[9:10], -v[11:12]
	v_mul_f64 v[97:98], v[97:98], v[101:102]
	v_add_f64 v[121:122], v[121:122], -v[11:12]
	v_fma_f64 v[97:98], v[99:100], v[9:10], v[97:98]
	v_mov_b32_e32 v11, v101
	v_mov_b32_e32 v12, v102
	v_add_f64 v[123:124], v[123:124], -v[97:98]
.LBB86_860:
	s_or_b64 exec, exec, s[0:1]
	v_lshl_add_u32 v97, v96, 4, v94
	s_barrier
	ds_write2_b64 v97, v[5:6], v[7:8] offset1:1
	s_waitcnt lgkmcnt(0)
	s_barrier
	ds_read2_b64 v[117:120], v94 offset0:82 offset1:83
	s_cmp_lt_i32 s3, 43
	v_mov_b32_e32 v97, 41
	s_cbranch_scc1 .LBB86_863
; %bb.861:
	v_add_u32_e32 v98, 0x2a0, v94
	s_mov_b32 s0, 42
	v_mov_b32_e32 v97, 41
.LBB86_862:                             ; =>This Inner Loop Header: Depth=1
	s_waitcnt lgkmcnt(0)
	v_cmp_gt_f64_e32 vcc, 0, v[117:118]
	v_xor_b32_e32 v103, 0x80000000, v118
	ds_read2_b64 v[99:102], v98 offset1:1
	v_xor_b32_e32 v105, 0x80000000, v120
	v_add_u32_e32 v98, 16, v98
	s_waitcnt lgkmcnt(0)
	v_xor_b32_e32 v107, 0x80000000, v102
	v_cndmask_b32_e32 v104, v118, v103, vcc
	v_cmp_gt_f64_e32 vcc, 0, v[119:120]
	v_mov_b32_e32 v103, v117
	v_cndmask_b32_e32 v106, v120, v105, vcc
	v_cmp_gt_f64_e32 vcc, 0, v[99:100]
	v_mov_b32_e32 v105, v119
	v_add_f64 v[103:104], v[103:104], v[105:106]
	v_xor_b32_e32 v105, 0x80000000, v100
	v_cndmask_b32_e32 v106, v100, v105, vcc
	v_cmp_gt_f64_e32 vcc, 0, v[101:102]
	v_mov_b32_e32 v105, v99
	v_cndmask_b32_e32 v108, v102, v107, vcc
	v_mov_b32_e32 v107, v101
	v_add_f64 v[105:106], v[105:106], v[107:108]
	v_cmp_lt_f64_e32 vcc, v[103:104], v[105:106]
	v_cndmask_b32_e32 v117, v117, v99, vcc
	v_mov_b32_e32 v99, s0
	s_add_i32 s0, s0, 1
	v_cndmask_b32_e32 v118, v118, v100, vcc
	v_cndmask_b32_e32 v120, v120, v102, vcc
	;; [unrolled: 1-line block ×4, first 2 shown]
	s_cmp_lg_u32 s3, s0
	s_cbranch_scc1 .LBB86_862
.LBB86_863:
	s_waitcnt lgkmcnt(0)
	v_cmp_eq_f64_e32 vcc, 0, v[117:118]
	v_cmp_eq_f64_e64 s[0:1], 0, v[119:120]
	s_and_b64 s[0:1], vcc, s[0:1]
	s_and_saveexec_b64 s[18:19], s[0:1]
	s_xor_b64 s[0:1], exec, s[18:19]
; %bb.864:
	v_cmp_ne_u32_e32 vcc, 0, v95
	v_cndmask_b32_e32 v95, 42, v95, vcc
; %bb.865:
	s_andn2_saveexec_b64 s[0:1], s[0:1]
	s_cbranch_execz .LBB86_871
; %bb.866:
	v_cmp_ngt_f64_e64 s[18:19], |v[117:118]|, |v[119:120]|
	s_and_saveexec_b64 s[20:21], s[18:19]
	s_xor_b64 s[18:19], exec, s[20:21]
	s_cbranch_execz .LBB86_868
; %bb.867:
	v_div_scale_f64 v[98:99], s[20:21], v[119:120], v[119:120], v[117:118]
	v_rcp_f64_e32 v[100:101], v[98:99]
	v_fma_f64 v[102:103], -v[98:99], v[100:101], 1.0
	v_fma_f64 v[100:101], v[100:101], v[102:103], v[100:101]
	v_div_scale_f64 v[102:103], vcc, v[117:118], v[119:120], v[117:118]
	v_fma_f64 v[104:105], -v[98:99], v[100:101], 1.0
	v_fma_f64 v[100:101], v[100:101], v[104:105], v[100:101]
	v_mul_f64 v[104:105], v[102:103], v[100:101]
	v_fma_f64 v[98:99], -v[98:99], v[104:105], v[102:103]
	v_div_fmas_f64 v[98:99], v[98:99], v[100:101], v[104:105]
	v_div_fixup_f64 v[98:99], v[98:99], v[119:120], v[117:118]
	v_fma_f64 v[100:101], v[117:118], v[98:99], v[119:120]
	v_div_scale_f64 v[102:103], s[20:21], v[100:101], v[100:101], 1.0
	v_div_scale_f64 v[108:109], vcc, 1.0, v[100:101], 1.0
	v_rcp_f64_e32 v[104:105], v[102:103]
	v_fma_f64 v[106:107], -v[102:103], v[104:105], 1.0
	v_fma_f64 v[104:105], v[104:105], v[106:107], v[104:105]
	v_fma_f64 v[106:107], -v[102:103], v[104:105], 1.0
	v_fma_f64 v[104:105], v[104:105], v[106:107], v[104:105]
	v_mul_f64 v[106:107], v[108:109], v[104:105]
	v_fma_f64 v[102:103], -v[102:103], v[106:107], v[108:109]
	v_div_fmas_f64 v[102:103], v[102:103], v[104:105], v[106:107]
	v_div_fixup_f64 v[119:120], v[102:103], v[100:101], 1.0
	v_mul_f64 v[117:118], v[98:99], v[119:120]
	v_xor_b32_e32 v120, 0x80000000, v120
.LBB86_868:
	s_andn2_saveexec_b64 s[18:19], s[18:19]
	s_cbranch_execz .LBB86_870
; %bb.869:
	v_div_scale_f64 v[98:99], s[20:21], v[117:118], v[117:118], v[119:120]
	v_rcp_f64_e32 v[100:101], v[98:99]
	v_fma_f64 v[102:103], -v[98:99], v[100:101], 1.0
	v_fma_f64 v[100:101], v[100:101], v[102:103], v[100:101]
	v_div_scale_f64 v[102:103], vcc, v[119:120], v[117:118], v[119:120]
	v_fma_f64 v[104:105], -v[98:99], v[100:101], 1.0
	v_fma_f64 v[100:101], v[100:101], v[104:105], v[100:101]
	v_mul_f64 v[104:105], v[102:103], v[100:101]
	v_fma_f64 v[98:99], -v[98:99], v[104:105], v[102:103]
	v_div_fmas_f64 v[98:99], v[98:99], v[100:101], v[104:105]
	v_div_fixup_f64 v[98:99], v[98:99], v[117:118], v[119:120]
	v_fma_f64 v[100:101], v[119:120], v[98:99], v[117:118]
	v_div_scale_f64 v[102:103], s[20:21], v[100:101], v[100:101], 1.0
	v_div_scale_f64 v[108:109], vcc, 1.0, v[100:101], 1.0
	v_rcp_f64_e32 v[104:105], v[102:103]
	v_fma_f64 v[106:107], -v[102:103], v[104:105], 1.0
	v_fma_f64 v[104:105], v[104:105], v[106:107], v[104:105]
	v_fma_f64 v[106:107], -v[102:103], v[104:105], 1.0
	v_fma_f64 v[104:105], v[104:105], v[106:107], v[104:105]
	v_mul_f64 v[106:107], v[108:109], v[104:105]
	v_fma_f64 v[102:103], -v[102:103], v[106:107], v[108:109]
	v_div_fmas_f64 v[102:103], v[102:103], v[104:105], v[106:107]
	v_div_fixup_f64 v[117:118], v[102:103], v[100:101], 1.0
	v_mul_f64 v[119:120], v[98:99], -v[117:118]
.LBB86_870:
	s_or_b64 exec, exec, s[18:19]
.LBB86_871:
	s_or_b64 exec, exec, s[0:1]
	v_cmp_ne_u32_e32 vcc, v96, v97
	s_and_saveexec_b64 s[0:1], vcc
	s_xor_b64 s[0:1], exec, s[0:1]
	s_cbranch_execz .LBB86_877
; %bb.872:
	v_cmp_eq_u32_e32 vcc, 41, v96
	s_and_saveexec_b64 s[18:19], vcc
	s_cbranch_execz .LBB86_876
; %bb.873:
	v_cmp_ne_u32_e32 vcc, 41, v97
	s_xor_b64 s[20:21], s[6:7], -1
	s_and_b64 s[22:23], s[20:21], vcc
	s_and_saveexec_b64 s[20:21], s[22:23]
	s_cbranch_execz .LBB86_875
; %bb.874:
	v_ashrrev_i32_e32 v98, 31, v97
	v_lshlrev_b64 v[98:99], 2, v[97:98]
	v_add_co_u32_e32 v98, vcc, v91, v98
	v_addc_co_u32_e32 v99, vcc, v92, v99, vcc
	global_load_dword v0, v[98:99], off
	global_load_dword v96, v[91:92], off offset:164
	s_waitcnt vmcnt(1)
	global_store_dword v[91:92], v0, off offset:164
	s_waitcnt vmcnt(1)
	global_store_dword v[98:99], v96, off
.LBB86_875:
	s_or_b64 exec, exec, s[20:21]
	v_mov_b32_e32 v96, v97
	v_mov_b32_e32 v0, v97
.LBB86_876:
	s_or_b64 exec, exec, s[18:19]
.LBB86_877:
	s_andn2_saveexec_b64 s[0:1], s[0:1]
	s_cbranch_execz .LBB86_879
; %bb.878:
	v_mov_b32_e32 v96, 41
	ds_write2_b64 v94, v[1:2], v[3:4] offset0:84 offset1:85
	ds_write2_b64 v94, v[121:122], v[123:124] offset0:86 offset1:87
.LBB86_879:
	s_or_b64 exec, exec, s[0:1]
	v_cmp_lt_i32_e32 vcc, 41, v96
	s_waitcnt vmcnt(0) lgkmcnt(0)
	s_barrier
	s_and_saveexec_b64 s[0:1], vcc
	s_cbranch_execz .LBB86_881
; %bb.880:
	v_mul_f64 v[97:98], v[117:118], v[7:8]
	v_mul_f64 v[7:8], v[119:120], v[7:8]
	v_fma_f64 v[101:102], v[119:120], v[5:6], v[97:98]
	ds_read2_b64 v[97:100], v94 offset0:84 offset1:85
	v_fma_f64 v[5:6], v[117:118], v[5:6], -v[7:8]
	s_waitcnt lgkmcnt(0)
	v_mul_f64 v[7:8], v[99:100], v[101:102]
	v_fma_f64 v[7:8], v[97:98], v[5:6], -v[7:8]
	v_mul_f64 v[97:98], v[97:98], v[101:102]
	v_add_f64 v[1:2], v[1:2], -v[7:8]
	v_fma_f64 v[97:98], v[99:100], v[5:6], v[97:98]
	v_add_f64 v[3:4], v[3:4], -v[97:98]
	ds_read2_b64 v[97:100], v94 offset0:86 offset1:87
	s_waitcnt lgkmcnt(0)
	v_mul_f64 v[7:8], v[99:100], v[101:102]
	v_fma_f64 v[7:8], v[97:98], v[5:6], -v[7:8]
	v_mul_f64 v[97:98], v[97:98], v[101:102]
	v_add_f64 v[121:122], v[121:122], -v[7:8]
	v_fma_f64 v[97:98], v[99:100], v[5:6], v[97:98]
	v_mov_b32_e32 v7, v101
	v_mov_b32_e32 v8, v102
	v_add_f64 v[123:124], v[123:124], -v[97:98]
.LBB86_881:
	s_or_b64 exec, exec, s[0:1]
	v_lshl_add_u32 v97, v96, 4, v94
	s_barrier
	ds_write2_b64 v97, v[1:2], v[3:4] offset1:1
	s_waitcnt lgkmcnt(0)
	s_barrier
	ds_read2_b64 v[117:120], v94 offset0:84 offset1:85
	s_cmp_lt_i32 s3, 44
	v_mov_b32_e32 v97, 42
	s_cbranch_scc1 .LBB86_884
; %bb.882:
	v_add_u32_e32 v98, 0x2b0, v94
	s_mov_b32 s0, 43
	v_mov_b32_e32 v97, 42
.LBB86_883:                             ; =>This Inner Loop Header: Depth=1
	s_waitcnt lgkmcnt(0)
	v_cmp_gt_f64_e32 vcc, 0, v[117:118]
	v_xor_b32_e32 v103, 0x80000000, v118
	ds_read2_b64 v[99:102], v98 offset1:1
	v_xor_b32_e32 v105, 0x80000000, v120
	v_add_u32_e32 v98, 16, v98
	s_waitcnt lgkmcnt(0)
	v_xor_b32_e32 v107, 0x80000000, v102
	v_cndmask_b32_e32 v104, v118, v103, vcc
	v_cmp_gt_f64_e32 vcc, 0, v[119:120]
	v_mov_b32_e32 v103, v117
	v_cndmask_b32_e32 v106, v120, v105, vcc
	v_cmp_gt_f64_e32 vcc, 0, v[99:100]
	v_mov_b32_e32 v105, v119
	v_add_f64 v[103:104], v[103:104], v[105:106]
	v_xor_b32_e32 v105, 0x80000000, v100
	v_cndmask_b32_e32 v106, v100, v105, vcc
	v_cmp_gt_f64_e32 vcc, 0, v[101:102]
	v_mov_b32_e32 v105, v99
	v_cndmask_b32_e32 v108, v102, v107, vcc
	v_mov_b32_e32 v107, v101
	v_add_f64 v[105:106], v[105:106], v[107:108]
	v_cmp_lt_f64_e32 vcc, v[103:104], v[105:106]
	v_cndmask_b32_e32 v117, v117, v99, vcc
	v_mov_b32_e32 v99, s0
	s_add_i32 s0, s0, 1
	v_cndmask_b32_e32 v118, v118, v100, vcc
	v_cndmask_b32_e32 v120, v120, v102, vcc
	;; [unrolled: 1-line block ×4, first 2 shown]
	s_cmp_lg_u32 s3, s0
	s_cbranch_scc1 .LBB86_883
.LBB86_884:
	s_waitcnt lgkmcnt(0)
	v_cmp_eq_f64_e32 vcc, 0, v[117:118]
	v_cmp_eq_f64_e64 s[0:1], 0, v[119:120]
	s_and_b64 s[0:1], vcc, s[0:1]
	s_and_saveexec_b64 s[18:19], s[0:1]
	s_xor_b64 s[0:1], exec, s[18:19]
; %bb.885:
	v_cmp_ne_u32_e32 vcc, 0, v95
	v_cndmask_b32_e32 v95, 43, v95, vcc
; %bb.886:
	s_andn2_saveexec_b64 s[0:1], s[0:1]
	s_cbranch_execz .LBB86_892
; %bb.887:
	v_cmp_ngt_f64_e64 s[18:19], |v[117:118]|, |v[119:120]|
	s_and_saveexec_b64 s[20:21], s[18:19]
	s_xor_b64 s[18:19], exec, s[20:21]
	s_cbranch_execz .LBB86_889
; %bb.888:
	v_div_scale_f64 v[98:99], s[20:21], v[119:120], v[119:120], v[117:118]
	v_rcp_f64_e32 v[100:101], v[98:99]
	v_fma_f64 v[102:103], -v[98:99], v[100:101], 1.0
	v_fma_f64 v[100:101], v[100:101], v[102:103], v[100:101]
	v_div_scale_f64 v[102:103], vcc, v[117:118], v[119:120], v[117:118]
	v_fma_f64 v[104:105], -v[98:99], v[100:101], 1.0
	v_fma_f64 v[100:101], v[100:101], v[104:105], v[100:101]
	v_mul_f64 v[104:105], v[102:103], v[100:101]
	v_fma_f64 v[98:99], -v[98:99], v[104:105], v[102:103]
	v_div_fmas_f64 v[98:99], v[98:99], v[100:101], v[104:105]
	v_div_fixup_f64 v[98:99], v[98:99], v[119:120], v[117:118]
	v_fma_f64 v[100:101], v[117:118], v[98:99], v[119:120]
	v_div_scale_f64 v[102:103], s[20:21], v[100:101], v[100:101], 1.0
	v_div_scale_f64 v[108:109], vcc, 1.0, v[100:101], 1.0
	v_rcp_f64_e32 v[104:105], v[102:103]
	v_fma_f64 v[106:107], -v[102:103], v[104:105], 1.0
	v_fma_f64 v[104:105], v[104:105], v[106:107], v[104:105]
	v_fma_f64 v[106:107], -v[102:103], v[104:105], 1.0
	v_fma_f64 v[104:105], v[104:105], v[106:107], v[104:105]
	v_mul_f64 v[106:107], v[108:109], v[104:105]
	v_fma_f64 v[102:103], -v[102:103], v[106:107], v[108:109]
	v_div_fmas_f64 v[102:103], v[102:103], v[104:105], v[106:107]
	v_div_fixup_f64 v[119:120], v[102:103], v[100:101], 1.0
	v_mul_f64 v[117:118], v[98:99], v[119:120]
	v_xor_b32_e32 v120, 0x80000000, v120
.LBB86_889:
	s_andn2_saveexec_b64 s[18:19], s[18:19]
	s_cbranch_execz .LBB86_891
; %bb.890:
	v_div_scale_f64 v[98:99], s[20:21], v[117:118], v[117:118], v[119:120]
	v_rcp_f64_e32 v[100:101], v[98:99]
	v_fma_f64 v[102:103], -v[98:99], v[100:101], 1.0
	v_fma_f64 v[100:101], v[100:101], v[102:103], v[100:101]
	v_div_scale_f64 v[102:103], vcc, v[119:120], v[117:118], v[119:120]
	v_fma_f64 v[104:105], -v[98:99], v[100:101], 1.0
	v_fma_f64 v[100:101], v[100:101], v[104:105], v[100:101]
	v_mul_f64 v[104:105], v[102:103], v[100:101]
	v_fma_f64 v[98:99], -v[98:99], v[104:105], v[102:103]
	v_div_fmas_f64 v[98:99], v[98:99], v[100:101], v[104:105]
	v_div_fixup_f64 v[98:99], v[98:99], v[117:118], v[119:120]
	v_fma_f64 v[100:101], v[119:120], v[98:99], v[117:118]
	v_div_scale_f64 v[102:103], s[20:21], v[100:101], v[100:101], 1.0
	v_div_scale_f64 v[108:109], vcc, 1.0, v[100:101], 1.0
	v_rcp_f64_e32 v[104:105], v[102:103]
	v_fma_f64 v[106:107], -v[102:103], v[104:105], 1.0
	v_fma_f64 v[104:105], v[104:105], v[106:107], v[104:105]
	v_fma_f64 v[106:107], -v[102:103], v[104:105], 1.0
	v_fma_f64 v[104:105], v[104:105], v[106:107], v[104:105]
	v_mul_f64 v[106:107], v[108:109], v[104:105]
	v_fma_f64 v[102:103], -v[102:103], v[106:107], v[108:109]
	v_div_fmas_f64 v[102:103], v[102:103], v[104:105], v[106:107]
	v_div_fixup_f64 v[117:118], v[102:103], v[100:101], 1.0
	v_mul_f64 v[119:120], v[98:99], -v[117:118]
.LBB86_891:
	s_or_b64 exec, exec, s[18:19]
.LBB86_892:
	s_or_b64 exec, exec, s[0:1]
	v_cmp_ne_u32_e32 vcc, v96, v97
	s_and_saveexec_b64 s[0:1], vcc
	s_xor_b64 s[0:1], exec, s[0:1]
	s_cbranch_execz .LBB86_898
; %bb.893:
	v_cmp_eq_u32_e32 vcc, 42, v96
	s_and_saveexec_b64 s[18:19], vcc
	s_cbranch_execz .LBB86_897
; %bb.894:
	v_cmp_ne_u32_e32 vcc, 42, v97
	s_xor_b64 s[20:21], s[6:7], -1
	s_and_b64 s[22:23], s[20:21], vcc
	s_and_saveexec_b64 s[20:21], s[22:23]
	s_cbranch_execz .LBB86_896
; %bb.895:
	v_ashrrev_i32_e32 v98, 31, v97
	v_lshlrev_b64 v[98:99], 2, v[97:98]
	v_add_co_u32_e32 v98, vcc, v91, v98
	v_addc_co_u32_e32 v99, vcc, v92, v99, vcc
	global_load_dword v0, v[98:99], off
	global_load_dword v96, v[91:92], off offset:168
	s_waitcnt vmcnt(1)
	global_store_dword v[91:92], v0, off offset:168
	s_waitcnt vmcnt(1)
	global_store_dword v[98:99], v96, off
.LBB86_896:
	s_or_b64 exec, exec, s[20:21]
	v_mov_b32_e32 v96, v97
	v_mov_b32_e32 v0, v97
.LBB86_897:
	s_or_b64 exec, exec, s[18:19]
.LBB86_898:
	s_andn2_saveexec_b64 s[0:1], s[0:1]
; %bb.899:
	v_mov_b32_e32 v96, 42
	ds_write2_b64 v94, v[121:122], v[123:124] offset0:86 offset1:87
; %bb.900:
	s_or_b64 exec, exec, s[0:1]
	v_cmp_lt_i32_e32 vcc, 42, v96
	s_waitcnt vmcnt(0) lgkmcnt(0)
	s_barrier
	s_and_saveexec_b64 s[0:1], vcc
	s_cbranch_execz .LBB86_902
; %bb.901:
	v_mul_f64 v[97:98], v[117:118], v[3:4]
	v_mul_f64 v[3:4], v[119:120], v[3:4]
	v_fma_f64 v[101:102], v[119:120], v[1:2], v[97:98]
	ds_read2_b64 v[97:100], v94 offset0:86 offset1:87
	v_fma_f64 v[1:2], v[117:118], v[1:2], -v[3:4]
	s_waitcnt lgkmcnt(0)
	v_mul_f64 v[3:4], v[99:100], v[101:102]
	v_fma_f64 v[3:4], v[97:98], v[1:2], -v[3:4]
	v_mul_f64 v[97:98], v[97:98], v[101:102]
	v_add_f64 v[121:122], v[121:122], -v[3:4]
	v_fma_f64 v[97:98], v[99:100], v[1:2], v[97:98]
	v_mov_b32_e32 v3, v101
	v_mov_b32_e32 v4, v102
	v_add_f64 v[123:124], v[123:124], -v[97:98]
.LBB86_902:
	s_or_b64 exec, exec, s[0:1]
	v_lshl_add_u32 v97, v96, 4, v94
	s_barrier
	ds_write2_b64 v97, v[121:122], v[123:124] offset1:1
	s_waitcnt lgkmcnt(0)
	s_barrier
	ds_read2_b64 v[117:120], v94 offset0:86 offset1:87
	s_cmp_lt_i32 s3, 45
	v_mov_b32_e32 v97, 43
	s_cbranch_scc1 .LBB86_905
; %bb.903:
	v_add_u32_e32 v94, 0x2c0, v94
	s_mov_b32 s0, 44
	v_mov_b32_e32 v97, 43
.LBB86_904:                             ; =>This Inner Loop Header: Depth=1
	s_waitcnt lgkmcnt(0)
	v_cmp_gt_f64_e32 vcc, 0, v[117:118]
	v_xor_b32_e32 v102, 0x80000000, v118
	ds_read2_b64 v[98:101], v94 offset1:1
	v_xor_b32_e32 v104, 0x80000000, v120
	v_add_u32_e32 v94, 16, v94
	s_waitcnt lgkmcnt(0)
	v_xor_b32_e32 v106, 0x80000000, v101
	v_cndmask_b32_e32 v103, v118, v102, vcc
	v_cmp_gt_f64_e32 vcc, 0, v[119:120]
	v_mov_b32_e32 v102, v117
	v_cndmask_b32_e32 v105, v120, v104, vcc
	v_cmp_gt_f64_e32 vcc, 0, v[98:99]
	v_mov_b32_e32 v104, v119
	v_add_f64 v[102:103], v[102:103], v[104:105]
	v_xor_b32_e32 v104, 0x80000000, v99
	v_cndmask_b32_e32 v105, v99, v104, vcc
	v_cmp_gt_f64_e32 vcc, 0, v[100:101]
	v_mov_b32_e32 v104, v98
	v_cndmask_b32_e32 v107, v101, v106, vcc
	v_mov_b32_e32 v106, v100
	v_add_f64 v[104:105], v[104:105], v[106:107]
	v_cmp_lt_f64_e32 vcc, v[102:103], v[104:105]
	v_cndmask_b32_e32 v117, v117, v98, vcc
	v_mov_b32_e32 v98, s0
	s_add_i32 s0, s0, 1
	v_cndmask_b32_e32 v118, v118, v99, vcc
	v_cndmask_b32_e32 v120, v120, v101, vcc
	v_cndmask_b32_e32 v119, v119, v100, vcc
	v_cndmask_b32_e32 v97, v97, v98, vcc
	s_cmp_lg_u32 s3, s0
	s_cbranch_scc1 .LBB86_904
.LBB86_905:
	s_waitcnt lgkmcnt(0)
	v_cmp_eq_f64_e32 vcc, 0, v[117:118]
	v_cmp_eq_f64_e64 s[0:1], 0, v[119:120]
	s_and_b64 s[0:1], vcc, s[0:1]
	s_and_saveexec_b64 s[18:19], s[0:1]
	s_xor_b64 s[0:1], exec, s[18:19]
; %bb.906:
	v_cmp_ne_u32_e32 vcc, 0, v95
	v_cndmask_b32_e32 v95, 44, v95, vcc
; %bb.907:
	s_andn2_saveexec_b64 s[0:1], s[0:1]
	s_cbranch_execz .LBB86_913
; %bb.908:
	v_cmp_ngt_f64_e64 s[18:19], |v[117:118]|, |v[119:120]|
	s_and_saveexec_b64 s[20:21], s[18:19]
	s_xor_b64 s[18:19], exec, s[20:21]
	s_cbranch_execz .LBB86_910
; %bb.909:
	v_div_scale_f64 v[98:99], s[20:21], v[119:120], v[119:120], v[117:118]
	v_rcp_f64_e32 v[100:101], v[98:99]
	v_fma_f64 v[102:103], -v[98:99], v[100:101], 1.0
	v_fma_f64 v[100:101], v[100:101], v[102:103], v[100:101]
	v_div_scale_f64 v[102:103], vcc, v[117:118], v[119:120], v[117:118]
	v_fma_f64 v[104:105], -v[98:99], v[100:101], 1.0
	v_fma_f64 v[100:101], v[100:101], v[104:105], v[100:101]
	v_mul_f64 v[104:105], v[102:103], v[100:101]
	v_fma_f64 v[98:99], -v[98:99], v[104:105], v[102:103]
	v_div_fmas_f64 v[98:99], v[98:99], v[100:101], v[104:105]
	v_div_fixup_f64 v[98:99], v[98:99], v[119:120], v[117:118]
	v_fma_f64 v[100:101], v[117:118], v[98:99], v[119:120]
	v_div_scale_f64 v[102:103], s[20:21], v[100:101], v[100:101], 1.0
	v_div_scale_f64 v[108:109], vcc, 1.0, v[100:101], 1.0
	v_rcp_f64_e32 v[104:105], v[102:103]
	v_fma_f64 v[106:107], -v[102:103], v[104:105], 1.0
	v_fma_f64 v[104:105], v[104:105], v[106:107], v[104:105]
	v_fma_f64 v[106:107], -v[102:103], v[104:105], 1.0
	v_fma_f64 v[104:105], v[104:105], v[106:107], v[104:105]
	v_mul_f64 v[106:107], v[108:109], v[104:105]
	v_fma_f64 v[102:103], -v[102:103], v[106:107], v[108:109]
	v_div_fmas_f64 v[102:103], v[102:103], v[104:105], v[106:107]
	v_div_fixup_f64 v[119:120], v[102:103], v[100:101], 1.0
	v_mul_f64 v[117:118], v[98:99], v[119:120]
	v_xor_b32_e32 v120, 0x80000000, v120
.LBB86_910:
	s_andn2_saveexec_b64 s[18:19], s[18:19]
	s_cbranch_execz .LBB86_912
; %bb.911:
	v_div_scale_f64 v[98:99], s[20:21], v[117:118], v[117:118], v[119:120]
	v_rcp_f64_e32 v[100:101], v[98:99]
	v_fma_f64 v[102:103], -v[98:99], v[100:101], 1.0
	v_fma_f64 v[100:101], v[100:101], v[102:103], v[100:101]
	v_div_scale_f64 v[102:103], vcc, v[119:120], v[117:118], v[119:120]
	v_fma_f64 v[104:105], -v[98:99], v[100:101], 1.0
	v_fma_f64 v[100:101], v[100:101], v[104:105], v[100:101]
	v_mul_f64 v[104:105], v[102:103], v[100:101]
	v_fma_f64 v[98:99], -v[98:99], v[104:105], v[102:103]
	v_div_fmas_f64 v[98:99], v[98:99], v[100:101], v[104:105]
	v_div_fixup_f64 v[98:99], v[98:99], v[117:118], v[119:120]
	v_fma_f64 v[100:101], v[119:120], v[98:99], v[117:118]
	v_div_scale_f64 v[102:103], s[20:21], v[100:101], v[100:101], 1.0
	v_div_scale_f64 v[108:109], vcc, 1.0, v[100:101], 1.0
	v_rcp_f64_e32 v[104:105], v[102:103]
	v_fma_f64 v[106:107], -v[102:103], v[104:105], 1.0
	v_fma_f64 v[104:105], v[104:105], v[106:107], v[104:105]
	v_fma_f64 v[106:107], -v[102:103], v[104:105], 1.0
	v_fma_f64 v[104:105], v[104:105], v[106:107], v[104:105]
	v_mul_f64 v[106:107], v[108:109], v[104:105]
	v_fma_f64 v[102:103], -v[102:103], v[106:107], v[108:109]
	v_div_fmas_f64 v[102:103], v[102:103], v[104:105], v[106:107]
	v_div_fixup_f64 v[117:118], v[102:103], v[100:101], 1.0
	v_mul_f64 v[119:120], v[98:99], -v[117:118]
.LBB86_912:
	s_or_b64 exec, exec, s[18:19]
.LBB86_913:
	s_or_b64 exec, exec, s[0:1]
	v_cmp_ne_u32_e32 vcc, v96, v97
	v_mov_b32_e32 v98, 43
	s_and_saveexec_b64 s[0:1], vcc
	s_cbranch_execz .LBB86_919
; %bb.914:
	v_cmp_eq_u32_e32 vcc, 43, v96
	s_and_saveexec_b64 s[18:19], vcc
	s_cbranch_execz .LBB86_918
; %bb.915:
	v_cmp_ne_u32_e32 vcc, 43, v97
	s_xor_b64 s[6:7], s[6:7], -1
	s_and_b64 s[20:21], s[6:7], vcc
	s_and_saveexec_b64 s[6:7], s[20:21]
	s_cbranch_execz .LBB86_917
; %bb.916:
	v_ashrrev_i32_e32 v98, 31, v97
	v_lshlrev_b64 v[98:99], 2, v[97:98]
	v_add_co_u32_e32 v98, vcc, v91, v98
	v_addc_co_u32_e32 v99, vcc, v92, v99, vcc
	global_load_dword v0, v[98:99], off
	global_load_dword v94, v[91:92], off offset:172
	s_waitcnt vmcnt(1)
	global_store_dword v[91:92], v0, off offset:172
	s_waitcnt vmcnt(1)
	global_store_dword v[98:99], v94, off
.LBB86_917:
	s_or_b64 exec, exec, s[6:7]
	v_mov_b32_e32 v96, v97
	v_mov_b32_e32 v0, v97
.LBB86_918:
	s_or_b64 exec, exec, s[18:19]
	v_mov_b32_e32 v98, v96
.LBB86_919:
	s_or_b64 exec, exec, s[0:1]
	v_cmp_gt_i32_e32 vcc, 44, v98
	v_ashrrev_i32_e32 v99, 31, v98
	s_waitcnt vmcnt(0)
	s_barrier
	s_barrier
	s_and_saveexec_b64 s[0:1], vcc
	s_cbranch_execz .LBB86_921
; %bb.920:
	v_mul_lo_u32 v94, s15, v113
	v_mul_lo_u32 v100, s14, v114
	v_mad_u64_u32 v[96:97], s[6:7], s14, v113, 0
	s_lshl_b64 s[6:7], s[12:13], 2
	v_add3_u32 v0, v0, s17, 1
	v_add3_u32 v97, v97, v100, v94
	v_lshlrev_b64 v[96:97], 2, v[96:97]
	v_mov_b32_e32 v94, s11
	v_add_co_u32_e32 v96, vcc, s10, v96
	v_addc_co_u32_e32 v94, vcc, v94, v97, vcc
	v_mov_b32_e32 v97, s7
	v_add_co_u32_e32 v100, vcc, s6, v96
	v_addc_co_u32_e32 v94, vcc, v94, v97, vcc
	v_lshlrev_b64 v[96:97], 2, v[98:99]
	v_add_co_u32_e32 v96, vcc, v100, v96
	v_addc_co_u32_e32 v97, vcc, v94, v97, vcc
	global_store_dword v[96:97], v0, off
.LBB86_921:
	s_or_b64 exec, exec, s[0:1]
	v_cmp_eq_u32_e32 vcc, 0, v98
	s_and_saveexec_b64 s[6:7], vcc
	s_cbranch_execz .LBB86_924
; %bb.922:
	v_lshlrev_b64 v[96:97], 2, v[113:114]
	v_mov_b32_e32 v0, s5
	v_add_co_u32_e32 v100, vcc, s4, v96
	v_addc_co_u32_e32 v101, vcc, v0, v97, vcc
	global_load_dword v0, v[100:101], off
	v_cmp_ne_u32_e64 s[0:1], 0, v95
	s_waitcnt vmcnt(0)
	v_cmp_eq_u32_e32 vcc, 0, v0
	s_and_b64 s[0:1], vcc, s[0:1]
	s_and_b64 exec, exec, s[0:1]
	s_cbranch_execz .LBB86_924
; %bb.923:
	v_add_u32_e32 v0, s17, v95
	global_store_dword v[100:101], v0, off
.LBB86_924:
	s_or_b64 exec, exec, s[6:7]
	buffer_load_dword v89, off, s[24:27], 0 offset:320 ; 4-byte Folded Reload
	buffer_load_dword v90, off, s[24:27], 0 offset:324 ; 4-byte Folded Reload
	;; [unrolled: 1-line block ×4, first 2 shown]
	v_mul_f64 v[94:95], v[117:118], v[123:124]
	v_mul_f64 v[96:97], v[119:120], v[123:124]
	v_cmp_lt_i32_e32 vcc, 43, v98
	v_mov_b32_e32 v0, s9
	v_fma_f64 v[94:95], v[119:120], v[121:122], v[94:95]
	v_fma_f64 v[96:97], v[117:118], v[121:122], -v[96:97]
	v_cndmask_b32_e32 v120, v124, v95, vcc
	v_cndmask_b32_e32 v119, v123, v94, vcc
	v_lshlrev_b64 v[94:95], 4, v[98:99]
	v_cndmask_b32_e32 v118, v122, v97, vcc
	v_cndmask_b32_e32 v117, v121, v96, vcc
	v_add_co_u32_e32 v94, vcc, v127, v94
	v_addc_co_u32_e32 v95, vcc, v93, v95, vcc
	s_waitcnt vmcnt(0)
	global_store_dwordx4 v[94:95], v[89:92], off
	buffer_load_dword v89, off, s[24:27], 0 offset:304 ; 4-byte Folded Reload
	s_nop 0
	buffer_load_dword v90, off, s[24:27], 0 offset:308 ; 4-byte Folded Reload
	buffer_load_dword v91, off, s[24:27], 0 offset:312 ; 4-byte Folded Reload
	;; [unrolled: 1-line block ×3, first 2 shown]
	v_add_co_u32_e32 v94, vcc, s8, v94
	v_addc_co_u32_e32 v95, vcc, v95, v0, vcc
	s_waitcnt vmcnt(0)
	global_store_dwordx4 v[94:95], v[89:92], off
	buffer_load_dword v89, off, s[24:27], 0 offset:288 ; 4-byte Folded Reload
	s_nop 0
	buffer_load_dword v90, off, s[24:27], 0 offset:292 ; 4-byte Folded Reload
	buffer_load_dword v91, off, s[24:27], 0 offset:296 ; 4-byte Folded Reload
	;; [unrolled: 1-line block ×3, first 2 shown]
	v_add_u32_e32 v94, s16, v98
	v_ashrrev_i32_e32 v95, 31, v94
	v_lshlrev_b64 v[95:96], 4, v[94:95]
	v_add_u32_e32 v94, s2, v94
	v_add_co_u32_e32 v95, vcc, v127, v95
	v_addc_co_u32_e32 v96, vcc, v93, v96, vcc
	s_waitcnt vmcnt(0)
	global_store_dwordx4 v[95:96], v[89:92], off
	buffer_load_dword v89, off, s[24:27], 0 offset:272 ; 4-byte Folded Reload
	s_nop 0
	buffer_load_dword v90, off, s[24:27], 0 offset:276 ; 4-byte Folded Reload
	buffer_load_dword v91, off, s[24:27], 0 offset:280 ; 4-byte Folded Reload
	buffer_load_dword v92, off, s[24:27], 0 offset:284 ; 4-byte Folded Reload
	v_ashrrev_i32_e32 v95, 31, v94
	v_lshlrev_b64 v[95:96], 4, v[94:95]
	v_add_u32_e32 v94, s2, v94
	v_add_co_u32_e32 v95, vcc, v127, v95
	v_addc_co_u32_e32 v96, vcc, v93, v96, vcc
	s_waitcnt vmcnt(0)
	global_store_dwordx4 v[95:96], v[89:92], off
	buffer_load_dword v89, off, s[24:27], 0 offset:256 ; 4-byte Folded Reload
	s_nop 0
	buffer_load_dword v90, off, s[24:27], 0 offset:260 ; 4-byte Folded Reload
	buffer_load_dword v91, off, s[24:27], 0 offset:264 ; 4-byte Folded Reload
	buffer_load_dword v92, off, s[24:27], 0 offset:268 ; 4-byte Folded Reload
	;; [unrolled: 12-line block ×17, first 2 shown]
	v_ashrrev_i32_e32 v95, 31, v94
	v_lshlrev_b64 v[95:96], 4, v[94:95]
	v_add_u32_e32 v94, s2, v94
	v_add_co_u32_e32 v95, vcc, v127, v95
	v_addc_co_u32_e32 v96, vcc, v93, v96, vcc
	s_waitcnt vmcnt(0)
	global_store_dwordx4 v[95:96], v[89:92], off
	buffer_load_dword v89, off, s[24:27], 0 ; 4-byte Folded Reload
	s_nop 0
	buffer_load_dword v90, off, s[24:27], 0 offset:4 ; 4-byte Folded Reload
	buffer_load_dword v91, off, s[24:27], 0 offset:8 ; 4-byte Folded Reload
	;; [unrolled: 1-line block ×3, first 2 shown]
	v_ashrrev_i32_e32 v95, 31, v94
	v_lshlrev_b64 v[95:96], 4, v[94:95]
	v_add_co_u32_e32 v95, vcc, v127, v95
	v_addc_co_u32_e32 v96, vcc, v93, v96, vcc
	s_waitcnt vmcnt(0)
	global_store_dwordx4 v[95:96], v[89:92], off
	s_nop 0
	v_add_u32_e32 v89, s2, v94
	v_ashrrev_i32_e32 v90, 31, v89
	v_lshlrev_b64 v[90:91], 4, v[89:90]
	v_add_co_u32_e32 v90, vcc, v127, v90
	v_addc_co_u32_e32 v91, vcc, v93, v91, vcc
	global_store_dwordx4 v[90:91], v[85:88], off
	s_nop 0
	v_add_u32_e32 v85, s2, v89
	v_ashrrev_i32_e32 v86, 31, v85
	v_lshlrev_b64 v[86:87], 4, v[85:86]
	v_add_co_u32_e32 v86, vcc, v127, v86
	v_addc_co_u32_e32 v87, vcc, v93, v87, vcc
	;; [unrolled: 7-line block ×21, first 2 shown]
	global_store_dwordx4 v[10:11], v[5:8], off
	s_nop 0
	v_add_u32_e32 v5, s2, v9
	v_ashrrev_i32_e32 v6, 31, v5
	v_lshlrev_b64 v[6:7], 4, v[5:6]
	v_add_u32_e32 v0, s2, v5
	v_add_co_u32_e32 v6, vcc, v127, v6
	v_addc_co_u32_e32 v7, vcc, v93, v7, vcc
	global_store_dwordx4 v[6:7], v[1:4], off
	s_nop 0
	v_ashrrev_i32_e32 v1, 31, v0
	v_lshlrev_b64 v[0:1], 4, v[0:1]
	v_add_co_u32_e32 v0, vcc, v127, v0
	v_addc_co_u32_e32 v1, vcc, v93, v1, vcc
	global_store_dwordx4 v[0:1], v[117:120], off
.LBB86_925:
	s_endpgm
	.section	.rodata,"a",@progbits
	.p2align	6, 0x0
	.amdhsa_kernel _ZN9rocsolver6v33100L18getf2_small_kernelILi44E19rocblas_complex_numIdEiiPS3_EEvT1_T3_lS5_lPS5_llPT2_S5_S5_S7_l
		.amdhsa_group_segment_fixed_size 0
		.amdhsa_private_segment_fixed_size 340
		.amdhsa_kernarg_size 352
		.amdhsa_user_sgpr_count 6
		.amdhsa_user_sgpr_private_segment_buffer 1
		.amdhsa_user_sgpr_dispatch_ptr 0
		.amdhsa_user_sgpr_queue_ptr 0
		.amdhsa_user_sgpr_kernarg_segment_ptr 1
		.amdhsa_user_sgpr_dispatch_id 0
		.amdhsa_user_sgpr_flat_scratch_init 0
		.amdhsa_user_sgpr_private_segment_size 0
		.amdhsa_uses_dynamic_stack 0
		.amdhsa_system_sgpr_private_segment_wavefront_offset 1
		.amdhsa_system_sgpr_workgroup_id_x 1
		.amdhsa_system_sgpr_workgroup_id_y 1
		.amdhsa_system_sgpr_workgroup_id_z 0
		.amdhsa_system_sgpr_workgroup_info 0
		.amdhsa_system_vgpr_workitem_id 1
		.amdhsa_next_free_vgpr 128
		.amdhsa_next_free_sgpr 30
		.amdhsa_reserve_vcc 1
		.amdhsa_reserve_flat_scratch 0
		.amdhsa_float_round_mode_32 0
		.amdhsa_float_round_mode_16_64 0
		.amdhsa_float_denorm_mode_32 3
		.amdhsa_float_denorm_mode_16_64 3
		.amdhsa_dx10_clamp 1
		.amdhsa_ieee_mode 1
		.amdhsa_fp16_overflow 0
		.amdhsa_exception_fp_ieee_invalid_op 0
		.amdhsa_exception_fp_denorm_src 0
		.amdhsa_exception_fp_ieee_div_zero 0
		.amdhsa_exception_fp_ieee_overflow 0
		.amdhsa_exception_fp_ieee_underflow 0
		.amdhsa_exception_fp_ieee_inexact 0
		.amdhsa_exception_int_div_zero 0
	.end_amdhsa_kernel
	.section	.text._ZN9rocsolver6v33100L18getf2_small_kernelILi44E19rocblas_complex_numIdEiiPS3_EEvT1_T3_lS5_lPS5_llPT2_S5_S5_S7_l,"axG",@progbits,_ZN9rocsolver6v33100L18getf2_small_kernelILi44E19rocblas_complex_numIdEiiPS3_EEvT1_T3_lS5_lPS5_llPT2_S5_S5_S7_l,comdat
.Lfunc_end86:
	.size	_ZN9rocsolver6v33100L18getf2_small_kernelILi44E19rocblas_complex_numIdEiiPS3_EEvT1_T3_lS5_lPS5_llPT2_S5_S5_S7_l, .Lfunc_end86-_ZN9rocsolver6v33100L18getf2_small_kernelILi44E19rocblas_complex_numIdEiiPS3_EEvT1_T3_lS5_lPS5_llPT2_S5_S5_S7_l
                                        ; -- End function
	.set _ZN9rocsolver6v33100L18getf2_small_kernelILi44E19rocblas_complex_numIdEiiPS3_EEvT1_T3_lS5_lPS5_llPT2_S5_S5_S7_l.num_vgpr, 128
	.set _ZN9rocsolver6v33100L18getf2_small_kernelILi44E19rocblas_complex_numIdEiiPS3_EEvT1_T3_lS5_lPS5_llPT2_S5_S5_S7_l.num_agpr, 0
	.set _ZN9rocsolver6v33100L18getf2_small_kernelILi44E19rocblas_complex_numIdEiiPS3_EEvT1_T3_lS5_lPS5_llPT2_S5_S5_S7_l.numbered_sgpr, 30
	.set _ZN9rocsolver6v33100L18getf2_small_kernelILi44E19rocblas_complex_numIdEiiPS3_EEvT1_T3_lS5_lPS5_llPT2_S5_S5_S7_l.num_named_barrier, 0
	.set _ZN9rocsolver6v33100L18getf2_small_kernelILi44E19rocblas_complex_numIdEiiPS3_EEvT1_T3_lS5_lPS5_llPT2_S5_S5_S7_l.private_seg_size, 340
	.set _ZN9rocsolver6v33100L18getf2_small_kernelILi44E19rocblas_complex_numIdEiiPS3_EEvT1_T3_lS5_lPS5_llPT2_S5_S5_S7_l.uses_vcc, 1
	.set _ZN9rocsolver6v33100L18getf2_small_kernelILi44E19rocblas_complex_numIdEiiPS3_EEvT1_T3_lS5_lPS5_llPT2_S5_S5_S7_l.uses_flat_scratch, 0
	.set _ZN9rocsolver6v33100L18getf2_small_kernelILi44E19rocblas_complex_numIdEiiPS3_EEvT1_T3_lS5_lPS5_llPT2_S5_S5_S7_l.has_dyn_sized_stack, 0
	.set _ZN9rocsolver6v33100L18getf2_small_kernelILi44E19rocblas_complex_numIdEiiPS3_EEvT1_T3_lS5_lPS5_llPT2_S5_S5_S7_l.has_recursion, 0
	.set _ZN9rocsolver6v33100L18getf2_small_kernelILi44E19rocblas_complex_numIdEiiPS3_EEvT1_T3_lS5_lPS5_llPT2_S5_S5_S7_l.has_indirect_call, 0
	.section	.AMDGPU.csdata,"",@progbits
; Kernel info:
; codeLenInByte = 133968
; TotalNumSgprs: 34
; NumVgprs: 128
; ScratchSize: 340
; MemoryBound: 0
; FloatMode: 240
; IeeeMode: 1
; LDSByteSize: 0 bytes/workgroup (compile time only)
; SGPRBlocks: 4
; VGPRBlocks: 31
; NumSGPRsForWavesPerEU: 34
; NumVGPRsForWavesPerEU: 128
; Occupancy: 2
; WaveLimiterHint : 0
; COMPUTE_PGM_RSRC2:SCRATCH_EN: 1
; COMPUTE_PGM_RSRC2:USER_SGPR: 6
; COMPUTE_PGM_RSRC2:TRAP_HANDLER: 0
; COMPUTE_PGM_RSRC2:TGID_X_EN: 1
; COMPUTE_PGM_RSRC2:TGID_Y_EN: 1
; COMPUTE_PGM_RSRC2:TGID_Z_EN: 0
; COMPUTE_PGM_RSRC2:TIDIG_COMP_CNT: 1
	.section	.text._ZN9rocsolver6v33100L23getf2_npvt_small_kernelILi44E19rocblas_complex_numIdEiiPS3_EEvT1_T3_lS5_lPT2_S5_S5_,"axG",@progbits,_ZN9rocsolver6v33100L23getf2_npvt_small_kernelILi44E19rocblas_complex_numIdEiiPS3_EEvT1_T3_lS5_lPT2_S5_S5_,comdat
	.globl	_ZN9rocsolver6v33100L23getf2_npvt_small_kernelILi44E19rocblas_complex_numIdEiiPS3_EEvT1_T3_lS5_lPT2_S5_S5_ ; -- Begin function _ZN9rocsolver6v33100L23getf2_npvt_small_kernelILi44E19rocblas_complex_numIdEiiPS3_EEvT1_T3_lS5_lPT2_S5_S5_
	.p2align	8
	.type	_ZN9rocsolver6v33100L23getf2_npvt_small_kernelILi44E19rocblas_complex_numIdEiiPS3_EEvT1_T3_lS5_lPT2_S5_S5_,@function
_ZN9rocsolver6v33100L23getf2_npvt_small_kernelILi44E19rocblas_complex_numIdEiiPS3_EEvT1_T3_lS5_lPT2_S5_S5_: ; @_ZN9rocsolver6v33100L23getf2_npvt_small_kernelILi44E19rocblas_complex_numIdEiiPS3_EEvT1_T3_lS5_lPT2_S5_S5_
; %bb.0:
	s_mov_b64 s[22:23], s[2:3]
	s_mov_b64 s[20:21], s[0:1]
	s_load_dword s0, s[4:5], 0x44
	s_load_dwordx2 s[12:13], s[4:5], 0x30
	s_add_u32 s20, s20, s8
	s_addc_u32 s21, s21, 0
	s_waitcnt lgkmcnt(0)
	s_lshr_b32 s2, s0, 16
	s_mul_i32 s7, s7, s2
	v_add_u32_e32 v87, s7, v1
	v_cmp_gt_i32_e32 vcc, s12, v87
	s_and_saveexec_b64 s[0:1], vcc
	s_cbranch_execnz .LBB87_1
; %bb.400:
	s_getpc_b64 s[0:1]
.Lpost_getpc1:
	s_add_u32 s0, s0, (.LBB87_399-.Lpost_getpc1)&4294967295
	s_addc_u32 s1, s1, (.LBB87_399-.Lpost_getpc1)>>32
	s_setpc_b64 s[0:1]
.LBB87_1:
	s_load_dwordx4 s[8:11], s[4:5], 0x20
	s_load_dwordx4 s[16:19], s[4:5], 0x8
	v_ashrrev_i32_e32 v88, 31, v87
	s_mulk_i32 s2, 0x2c0
	s_waitcnt lgkmcnt(0)
	v_mul_lo_u32 v4, s9, v87
	v_mul_lo_u32 v5, s8, v88
	v_mad_u64_u32 v[2:3], s[0:1], s8, v87, 0
	s_load_dword s0, s[4:5], 0x18
	v_mov_b32_e32 v6, s17
	v_add3_u32 v3, v3, v5, v4
	v_lshlrev_b64 v[2:3], 4, v[2:3]
	s_lshl_b64 s[4:5], s[18:19], 4
	v_add_co_u32_e32 v2, vcc, s16, v2
	v_addc_co_u32_e32 v3, vcc, v6, v3, vcc
	v_mov_b32_e32 v4, s5
	v_add_co_u32_e32 v2, vcc, s4, v2
	s_waitcnt lgkmcnt(0)
	s_add_i32 s1, s0, s0
	v_addc_co_u32_e32 v3, vcc, v3, v4, vcc
	v_add_u32_e32 v4, s1, v0
	v_ashrrev_i32_e32 v5, 31, v4
	v_lshlrev_b64 v[5:6], 4, v[4:5]
	v_add_u32_e32 v4, s0, v4
	v_add_co_u32_e32 v91, vcc, v2, v5
	v_ashrrev_i32_e32 v5, 31, v4
	v_addc_co_u32_e32 v92, vcc, v3, v6, vcc
	v_lshlrev_b64 v[5:6], 4, v[4:5]
	v_add_u32_e32 v4, s0, v4
	v_add_co_u32_e32 v7, vcc, v2, v5
	v_ashrrev_i32_e32 v5, 31, v4
	v_addc_co_u32_e32 v8, vcc, v3, v6, vcc
	;; [unrolled: 5-line block ×40, first 2 shown]
	v_lshlrev_b64 v[5:6], 4, v[4:5]
	v_add_u32_e32 v4, s0, v4
	v_add_co_u32_e32 v109, vcc, v2, v5
	v_ashrrev_i32_e32 v5, 31, v4
	v_lshlrev_b64 v[4:5], 4, v[4:5]
	v_addc_co_u32_e32 v110, vcc, v3, v6, vcc
	v_add_co_u32_e32 v111, vcc, v2, v4
	v_addc_co_u32_e32 v112, vcc, v3, v5, vcc
	v_lshlrev_b32_e32 v4, 4, v0
	v_add_co_u32_e32 v4, vcc, v2, v4
	s_ashr_i32 s1, s0, 31
	v_addc_co_u32_e32 v5, vcc, 0, v3, vcc
	s_lshl_b64 s[0:1], s[0:1], 4
	v_mov_b32_e32 v2, s1
	v_add_co_u32_e32 v53, vcc, s0, v4
	v_addc_co_u32_e32 v54, vcc, v5, v2, vcc
	buffer_store_dword v4, off, s[20:23], 0 offset:664 ; 4-byte Folded Spill
	s_nop 0
	buffer_store_dword v5, off, s[20:23], 0 offset:668 ; 4-byte Folded Spill
	s_movk_i32 s0, 0x2c0
	s_add_i32 s1, s2, 0
	v_mad_u32_u24 v125, v1, s0, 0
	v_lshl_add_u32 v127, v1, 4, s1
	v_cmp_ne_u32_e64 s[2:3], 0, v0
	v_cmp_eq_u32_e64 s[0:1], 0, v0
	global_load_dwordx4 v[1:4], v[4:5], off
	s_waitcnt vmcnt(0)
	buffer_store_dword v1, off, s[20:23], 0 offset:352 ; 4-byte Folded Spill
	s_nop 0
	buffer_store_dword v2, off, s[20:23], 0 offset:356 ; 4-byte Folded Spill
	buffer_store_dword v3, off, s[20:23], 0 offset:360 ; 4-byte Folded Spill
	buffer_store_dword v4, off, s[20:23], 0 offset:364 ; 4-byte Folded Spill
	buffer_store_dword v53, off, s[20:23], 0 offset:672 ; 4-byte Folded Spill
	s_nop 0
	buffer_store_dword v54, off, s[20:23], 0 offset:676 ; 4-byte Folded Spill
	global_load_dwordx4 v[1:4], v[53:54], off
	s_waitcnt vmcnt(0)
	buffer_store_dword v1, off, s[20:23], 0 offset:336 ; 4-byte Folded Spill
	s_nop 0
	buffer_store_dword v2, off, s[20:23], 0 offset:340 ; 4-byte Folded Spill
	buffer_store_dword v3, off, s[20:23], 0 offset:344 ; 4-byte Folded Spill
	buffer_store_dword v4, off, s[20:23], 0 offset:348 ; 4-byte Folded Spill
	global_load_dwordx4 v[1:4], v[91:92], off
	s_waitcnt vmcnt(0)
	buffer_store_dword v1, off, s[20:23], 0 offset:320 ; 4-byte Folded Spill
	s_nop 0
	buffer_store_dword v2, off, s[20:23], 0 offset:324 ; 4-byte Folded Spill
	buffer_store_dword v3, off, s[20:23], 0 offset:328 ; 4-byte Folded Spill
	buffer_store_dword v4, off, s[20:23], 0 offset:332 ; 4-byte Folded Spill
	buffer_store_dword v7, off, s[20:23], 0 offset:384 ; 4-byte Folded Spill
	s_nop 0
	buffer_store_dword v8, off, s[20:23], 0 offset:388 ; 4-byte Folded Spill
	global_load_dwordx4 v[1:4], v[7:8], off
	s_waitcnt vmcnt(0)
	buffer_store_dword v1, off, s[20:23], 0 offset:304 ; 4-byte Folded Spill
	s_nop 0
	buffer_store_dword v2, off, s[20:23], 0 offset:308 ; 4-byte Folded Spill
	buffer_store_dword v3, off, s[20:23], 0 offset:312 ; 4-byte Folded Spill
	buffer_store_dword v4, off, s[20:23], 0 offset:316 ; 4-byte Folded Spill
	;; [unrolled: 17-line block ×3, first 2 shown]
	buffer_store_dword v11, off, s[20:23], 0 offset:400 ; 4-byte Folded Spill
	s_nop 0
	buffer_store_dword v12, off, s[20:23], 0 offset:404 ; 4-byte Folded Spill
	global_load_dwordx4 v[1:4], v[11:12], off
	s_waitcnt vmcnt(0)
	buffer_store_dword v1, off, s[20:23], 0 offset:256 ; 4-byte Folded Spill
	s_nop 0
	buffer_store_dword v2, off, s[20:23], 0 offset:260 ; 4-byte Folded Spill
	buffer_store_dword v3, off, s[20:23], 0 offset:264 ; 4-byte Folded Spill
	buffer_store_dword v4, off, s[20:23], 0 offset:268 ; 4-byte Folded Spill
	buffer_store_dword v13, off, s[20:23], 0 offset:408 ; 4-byte Folded Spill
	s_nop 0
	buffer_store_dword v14, off, s[20:23], 0 offset:412 ; 4-byte Folded Spill
	global_load_dwordx4 v[1:4], v[13:14], off
	s_waitcnt vmcnt(0)
	buffer_store_dword v1, off, s[20:23], 0 offset:240 ; 4-byte Folded Spill
	s_nop 0
	buffer_store_dword v2, off, s[20:23], 0 offset:244 ; 4-byte Folded Spill
	buffer_store_dword v3, off, s[20:23], 0 offset:248 ; 4-byte Folded Spill
	buffer_store_dword v4, off, s[20:23], 0 offset:252 ; 4-byte Folded Spill
	;; [unrolled: 10-line block ×14, first 2 shown]
	buffer_store_dword v39, off, s[20:23], 0 offset:512 ; 4-byte Folded Spill
	s_nop 0
	buffer_store_dword v40, off, s[20:23], 0 offset:516 ; 4-byte Folded Spill
	global_load_dwordx4 v[117:120], v[39:40], off
	s_nop 0
	buffer_store_dword v41, off, s[20:23], 0 offset:520 ; 4-byte Folded Spill
	s_nop 0
	buffer_store_dword v42, off, s[20:23], 0 offset:524 ; 4-byte Folded Spill
	global_load_dwordx4 v[121:124], v[41:42], off
	s_nop 0
	;; [unrolled: 5-line block ×5, first 2 shown]
	buffer_store_dword v45, off, s[20:23], 0 offset:536 ; 4-byte Folded Spill
	s_nop 0
	buffer_store_dword v46, off, s[20:23], 0 offset:540 ; 4-byte Folded Spill
	global_load_dwordx4 v[5:8], v[45:46], off
	s_waitcnt vmcnt(0)
	buffer_store_dword v5, off, s[20:23], 0 offset:32 ; 4-byte Folded Spill
	s_nop 0
	buffer_store_dword v6, off, s[20:23], 0 offset:36 ; 4-byte Folded Spill
	buffer_store_dword v7, off, s[20:23], 0 offset:40 ; 4-byte Folded Spill
	buffer_store_dword v8, off, s[20:23], 0 offset:44 ; 4-byte Folded Spill
	global_load_dwordx4 v[5:8], v[81:82], off
	s_waitcnt vmcnt(0)
	buffer_store_dword v5, off, s[20:23], 0 offset:16 ; 4-byte Folded Spill
	s_nop 0
	buffer_store_dword v6, off, s[20:23], 0 offset:20 ; 4-byte Folded Spill
	buffer_store_dword v7, off, s[20:23], 0 offset:24 ; 4-byte Folded Spill
	;; [unrolled: 1-line block ×3, first 2 shown]
	global_load_dwordx4 v[5:8], v[83:84], off
	s_waitcnt vmcnt(0)
	buffer_store_dword v5, off, s[20:23], 0 ; 4-byte Folded Spill
	s_nop 0
	buffer_store_dword v6, off, s[20:23], 0 offset:4 ; 4-byte Folded Spill
	buffer_store_dword v7, off, s[20:23], 0 offset:8 ; 4-byte Folded Spill
	;; [unrolled: 1-line block ×4, first 2 shown]
	s_nop 0
	buffer_store_dword v48, off, s[20:23], 0 offset:548 ; 4-byte Folded Spill
	global_load_dwordx4 v[57:60], v[47:48], off
	global_load_dwordx4 v[53:56], v[77:78], off
	;; [unrolled: 1-line block ×3, first 2 shown]
	s_nop 0
	global_load_dwordx4 v[45:48], v[75:76], off
	s_nop 0
	buffer_store_dword v73, off, s[20:23], 0 offset:552 ; 4-byte Folded Spill
	s_nop 0
	buffer_store_dword v74, off, s[20:23], 0 offset:556 ; 4-byte Folded Spill
	global_load_dwordx4 v[41:44], v[73:74], off
	s_nop 0
	buffer_store_dword v89, off, s[20:23], 0 offset:560 ; 4-byte Folded Spill
	s_nop 0
	buffer_store_dword v90, off, s[20:23], 0 offset:564 ; 4-byte Folded Spill
	global_load_dwordx4 v[37:40], v[89:90], off
	s_nop 0
	buffer_store_dword v93, off, s[20:23], 0 offset:568 ; 4-byte Folded Spill
	s_nop 0
	buffer_store_dword v94, off, s[20:23], 0 offset:572 ; 4-byte Folded Spill
	global_load_dwordx4 v[33:36], v[93:94], off
	s_nop 0
	buffer_store_dword v95, off, s[20:23], 0 offset:576 ; 4-byte Folded Spill
	s_nop 0
	buffer_store_dword v96, off, s[20:23], 0 offset:580 ; 4-byte Folded Spill
	global_load_dwordx4 v[29:32], v[95:96], off
	s_nop 0
	buffer_store_dword v97, off, s[20:23], 0 offset:584 ; 4-byte Folded Spill
	s_nop 0
	buffer_store_dword v98, off, s[20:23], 0 offset:588 ; 4-byte Folded Spill
	v_mov_b32_e32 v96, v4
	v_mov_b32_e32 v95, v3
	;; [unrolled: 1-line block ×4, first 2 shown]
	global_load_dwordx4 v[25:28], v[97:98], off
	s_nop 0
	buffer_store_dword v99, off, s[20:23], 0 offset:592 ; 4-byte Folded Spill
	s_nop 0
	buffer_store_dword v100, off, s[20:23], 0 offset:596 ; 4-byte Folded Spill
	global_load_dwordx4 v[21:24], v[99:100], off
	s_nop 0
	buffer_store_dword v101, off, s[20:23], 0 offset:600 ; 4-byte Folded Spill
	s_nop 0
	buffer_store_dword v102, off, s[20:23], 0 offset:604 ; 4-byte Folded Spill
	;; [unrolled: 5-line block ×7, first 2 shown]
	global_load_dwordx4 v[65:68], v[111:112], off
	v_mov_b32_e32 v112, v72
	v_mov_b32_e32 v111, v71
	;; [unrolled: 1-line block ×4, first 2 shown]
	s_and_saveexec_b64 s[6:7], s[0:1]
	s_cbranch_execz .LBB87_8
; %bb.2:
	buffer_load_dword v61, off, s[20:23], 0 offset:352 ; 4-byte Folded Reload
	buffer_load_dword v62, off, s[20:23], 0 offset:356 ; 4-byte Folded Reload
	;; [unrolled: 1-line block ×4, first 2 shown]
	s_waitcnt vmcnt(0)
	ds_write2_b64 v127, v[61:62], v[63:64] offset1:1
	buffer_load_dword v61, off, s[20:23], 0 offset:336 ; 4-byte Folded Reload
	buffer_load_dword v62, off, s[20:23], 0 offset:340 ; 4-byte Folded Reload
	buffer_load_dword v63, off, s[20:23], 0 offset:344 ; 4-byte Folded Reload
	buffer_load_dword v64, off, s[20:23], 0 offset:348 ; 4-byte Folded Reload
	s_waitcnt vmcnt(0)
	ds_write2_b64 v125, v[61:62], v[63:64] offset0:2 offset1:3
	buffer_load_dword v61, off, s[20:23], 0 offset:320 ; 4-byte Folded Reload
	buffer_load_dword v62, off, s[20:23], 0 offset:324 ; 4-byte Folded Reload
	buffer_load_dword v63, off, s[20:23], 0 offset:328 ; 4-byte Folded Reload
	buffer_load_dword v64, off, s[20:23], 0 offset:332 ; 4-byte Folded Reload
	s_waitcnt vmcnt(0)
	ds_write2_b64 v125, v[61:62], v[63:64] offset0:4 offset1:5
	;; [unrolled: 6-line block ×19, first 2 shown]
	ds_write2_b64 v125, v[117:118], v[119:120] offset0:40 offset1:41
	ds_write2_b64 v125, v[121:122], v[123:124] offset0:42 offset1:43
	;; [unrolled: 1-line block ×5, first 2 shown]
	buffer_load_dword v69, off, s[20:23], 0 offset:32 ; 4-byte Folded Reload
	buffer_load_dword v70, off, s[20:23], 0 offset:36 ; 4-byte Folded Reload
	;; [unrolled: 1-line block ×4, first 2 shown]
	v_mov_b32_e32 v61, v65
	v_mov_b32_e32 v62, v66
	;; [unrolled: 1-line block ×4, first 2 shown]
	s_waitcnt vmcnt(0)
	ds_write2_b64 v125, v[69:70], v[71:72] offset0:50 offset1:51
	buffer_load_dword v65, off, s[20:23], 0 offset:16 ; 4-byte Folded Reload
	buffer_load_dword v66, off, s[20:23], 0 offset:20 ; 4-byte Folded Reload
	buffer_load_dword v67, off, s[20:23], 0 offset:24 ; 4-byte Folded Reload
	buffer_load_dword v68, off, s[20:23], 0 offset:28 ; 4-byte Folded Reload
	s_waitcnt vmcnt(0)
	ds_write2_b64 v125, v[65:66], v[67:68] offset0:52 offset1:53
	v_mov_b32_e32 v68, v64
	v_mov_b32_e32 v67, v63
	;; [unrolled: 1-line block ×4, first 2 shown]
	buffer_load_dword v61, off, s[20:23], 0 ; 4-byte Folded Reload
	buffer_load_dword v62, off, s[20:23], 0 offset:4 ; 4-byte Folded Reload
	buffer_load_dword v63, off, s[20:23], 0 offset:8 ; 4-byte Folded Reload
	;; [unrolled: 1-line block ×3, first 2 shown]
	s_waitcnt vmcnt(0)
	ds_write2_b64 v125, v[61:62], v[63:64] offset0:54 offset1:55
	ds_write2_b64 v125, v[57:58], v[59:60] offset0:56 offset1:57
	;; [unrolled: 1-line block ×17, first 2 shown]
	ds_read2_b64 v[97:100], v127 offset1:1
	s_waitcnt lgkmcnt(0)
	v_cmp_neq_f64_e32 vcc, 0, v[97:98]
	v_cmp_neq_f64_e64 s[4:5], 0, v[99:100]
	s_or_b64 s[4:5], vcc, s[4:5]
	s_and_b64 exec, exec, s[4:5]
	s_cbranch_execz .LBB87_8
; %bb.3:
	v_cmp_ngt_f64_e64 s[4:5], |v[97:98]|, |v[99:100]|
                                        ; implicit-def: $vgpr101_vgpr102
	s_and_saveexec_b64 s[8:9], s[4:5]
	s_xor_b64 s[4:5], exec, s[8:9]
                                        ; implicit-def: $vgpr103_vgpr104
	s_cbranch_execz .LBB87_5
; %bb.4:
	v_div_scale_f64 v[101:102], s[8:9], v[99:100], v[99:100], v[97:98]
	v_rcp_f64_e32 v[103:104], v[101:102]
	v_fma_f64 v[105:106], -v[101:102], v[103:104], 1.0
	v_fma_f64 v[103:104], v[103:104], v[105:106], v[103:104]
	v_div_scale_f64 v[105:106], vcc, v[97:98], v[99:100], v[97:98]
	v_fma_f64 v[107:108], -v[101:102], v[103:104], 1.0
	v_fma_f64 v[103:104], v[103:104], v[107:108], v[103:104]
	v_mul_f64 v[107:108], v[105:106], v[103:104]
	v_fma_f64 v[101:102], -v[101:102], v[107:108], v[105:106]
	v_div_fmas_f64 v[101:102], v[101:102], v[103:104], v[107:108]
	v_div_fixup_f64 v[101:102], v[101:102], v[99:100], v[97:98]
	v_fma_f64 v[97:98], v[97:98], v[101:102], v[99:100]
	v_div_scale_f64 v[99:100], s[8:9], v[97:98], v[97:98], 1.0
	v_div_scale_f64 v[107:108], vcc, 1.0, v[97:98], 1.0
	v_rcp_f64_e32 v[103:104], v[99:100]
	v_fma_f64 v[105:106], -v[99:100], v[103:104], 1.0
	v_fma_f64 v[103:104], v[103:104], v[105:106], v[103:104]
	v_fma_f64 v[105:106], -v[99:100], v[103:104], 1.0
	v_fma_f64 v[103:104], v[103:104], v[105:106], v[103:104]
	v_mul_f64 v[105:106], v[107:108], v[103:104]
	v_fma_f64 v[99:100], -v[99:100], v[105:106], v[107:108]
	v_div_fmas_f64 v[99:100], v[99:100], v[103:104], v[105:106]
	v_div_fixup_f64 v[103:104], v[99:100], v[97:98], 1.0
                                        ; implicit-def: $vgpr97_vgpr98
	v_mul_f64 v[101:102], v[101:102], v[103:104]
	v_xor_b32_e32 v104, 0x80000000, v104
.LBB87_5:
	s_andn2_saveexec_b64 s[4:5], s[4:5]
	s_cbranch_execz .LBB87_7
; %bb.6:
	v_div_scale_f64 v[101:102], s[8:9], v[97:98], v[97:98], v[99:100]
	v_rcp_f64_e32 v[103:104], v[101:102]
	v_fma_f64 v[105:106], -v[101:102], v[103:104], 1.0
	v_fma_f64 v[103:104], v[103:104], v[105:106], v[103:104]
	v_div_scale_f64 v[105:106], vcc, v[99:100], v[97:98], v[99:100]
	v_fma_f64 v[107:108], -v[101:102], v[103:104], 1.0
	v_fma_f64 v[103:104], v[103:104], v[107:108], v[103:104]
	v_mul_f64 v[107:108], v[105:106], v[103:104]
	v_fma_f64 v[101:102], -v[101:102], v[107:108], v[105:106]
	v_div_fmas_f64 v[101:102], v[101:102], v[103:104], v[107:108]
	v_div_fixup_f64 v[103:104], v[101:102], v[97:98], v[99:100]
	v_fma_f64 v[97:98], v[99:100], v[103:104], v[97:98]
	v_div_scale_f64 v[99:100], s[8:9], v[97:98], v[97:98], 1.0
	v_div_scale_f64 v[107:108], vcc, 1.0, v[97:98], 1.0
	v_rcp_f64_e32 v[101:102], v[99:100]
	v_fma_f64 v[105:106], -v[99:100], v[101:102], 1.0
	v_fma_f64 v[101:102], v[101:102], v[105:106], v[101:102]
	v_fma_f64 v[105:106], -v[99:100], v[101:102], 1.0
	v_fma_f64 v[101:102], v[101:102], v[105:106], v[101:102]
	v_mul_f64 v[105:106], v[107:108], v[101:102]
	v_fma_f64 v[99:100], -v[99:100], v[105:106], v[107:108]
	v_div_fmas_f64 v[99:100], v[99:100], v[101:102], v[105:106]
	v_div_fixup_f64 v[101:102], v[99:100], v[97:98], 1.0
	v_mul_f64 v[103:104], v[103:104], -v[101:102]
.LBB87_7:
	s_or_b64 exec, exec, s[4:5]
	ds_write2_b64 v127, v[101:102], v[103:104] offset1:1
.LBB87_8:
	s_or_b64 exec, exec, s[6:7]
	s_waitcnt vmcnt(0) lgkmcnt(0)
	s_barrier
	ds_read2_b64 v[61:64], v127 offset1:1
	s_waitcnt lgkmcnt(0)
	buffer_store_dword v61, off, s[20:23], 0 offset:680 ; 4-byte Folded Spill
	s_nop 0
	buffer_store_dword v62, off, s[20:23], 0 offset:684 ; 4-byte Folded Spill
	buffer_store_dword v63, off, s[20:23], 0 offset:688 ; 4-byte Folded Spill
	;; [unrolled: 1-line block ×3, first 2 shown]
	s_and_saveexec_b64 s[4:5], s[2:3]
	s_cbranch_execz .LBB87_10
; %bb.9:
	buffer_load_dword v71, off, s[20:23], 0 offset:352 ; 4-byte Folded Reload
	buffer_load_dword v72, off, s[20:23], 0 offset:356 ; 4-byte Folded Reload
	;; [unrolled: 1-line block ×8, first 2 shown]
	s_waitcnt vmcnt(2)
	v_mul_f64 v[99:100], v[61:62], v[73:74]
	s_waitcnt vmcnt(0)
	v_mul_f64 v[97:98], v[63:64], v[73:74]
	v_fma_f64 v[73:74], v[63:64], v[71:72], v[99:100]
	ds_read2_b64 v[99:102], v125 offset0:2 offset1:3
	v_fma_f64 v[97:98], v[61:62], v[71:72], -v[97:98]
	buffer_load_dword v61, off, s[20:23], 0 offset:336 ; 4-byte Folded Reload
	buffer_load_dword v62, off, s[20:23], 0 offset:340 ; 4-byte Folded Reload
	buffer_load_dword v63, off, s[20:23], 0 offset:344 ; 4-byte Folded Reload
	buffer_load_dword v64, off, s[20:23], 0 offset:348 ; 4-byte Folded Reload
	s_waitcnt lgkmcnt(0)
	v_mul_f64 v[103:104], v[101:102], v[73:74]
	v_fma_f64 v[103:104], v[99:100], v[97:98], -v[103:104]
	v_mul_f64 v[99:100], v[99:100], v[73:74]
	v_fma_f64 v[99:100], v[101:102], v[97:98], v[99:100]
	s_waitcnt vmcnt(2)
	v_add_f64 v[61:62], v[61:62], -v[103:104]
	s_waitcnt vmcnt(0)
	v_add_f64 v[63:64], v[63:64], -v[99:100]
	buffer_store_dword v61, off, s[20:23], 0 offset:336 ; 4-byte Folded Spill
	s_nop 0
	buffer_store_dword v62, off, s[20:23], 0 offset:340 ; 4-byte Folded Spill
	buffer_store_dword v63, off, s[20:23], 0 offset:344 ; 4-byte Folded Spill
	buffer_store_dword v64, off, s[20:23], 0 offset:348 ; 4-byte Folded Spill
	ds_read2_b64 v[99:102], v125 offset0:4 offset1:5
	buffer_load_dword v61, off, s[20:23], 0 offset:320 ; 4-byte Folded Reload
	buffer_load_dword v62, off, s[20:23], 0 offset:324 ; 4-byte Folded Reload
	buffer_load_dword v63, off, s[20:23], 0 offset:328 ; 4-byte Folded Reload
	buffer_load_dword v64, off, s[20:23], 0 offset:332 ; 4-byte Folded Reload
	s_waitcnt lgkmcnt(0)
	v_mul_f64 v[103:104], v[101:102], v[73:74]
	v_fma_f64 v[103:104], v[99:100], v[97:98], -v[103:104]
	v_mul_f64 v[99:100], v[99:100], v[73:74]
	v_fma_f64 v[99:100], v[101:102], v[97:98], v[99:100]
	s_waitcnt vmcnt(2)
	v_add_f64 v[61:62], v[61:62], -v[103:104]
	s_waitcnt vmcnt(0)
	v_add_f64 v[63:64], v[63:64], -v[99:100]
	buffer_store_dword v61, off, s[20:23], 0 offset:320 ; 4-byte Folded Spill
	s_nop 0
	buffer_store_dword v62, off, s[20:23], 0 offset:324 ; 4-byte Folded Spill
	buffer_store_dword v63, off, s[20:23], 0 offset:328 ; 4-byte Folded Spill
	buffer_store_dword v64, off, s[20:23], 0 offset:332 ; 4-byte Folded Spill
	ds_read2_b64 v[99:102], v125 offset0:6 offset1:7
	buffer_load_dword v61, off, s[20:23], 0 offset:304 ; 4-byte Folded Reload
	buffer_load_dword v62, off, s[20:23], 0 offset:308 ; 4-byte Folded Reload
	buffer_load_dword v63, off, s[20:23], 0 offset:312 ; 4-byte Folded Reload
	buffer_load_dword v64, off, s[20:23], 0 offset:316 ; 4-byte Folded Reload
	s_waitcnt lgkmcnt(0)
	v_mul_f64 v[103:104], v[101:102], v[73:74]
	v_fma_f64 v[103:104], v[99:100], v[97:98], -v[103:104]
	v_mul_f64 v[99:100], v[99:100], v[73:74]
	v_fma_f64 v[99:100], v[101:102], v[97:98], v[99:100]
	s_waitcnt vmcnt(2)
	v_add_f64 v[61:62], v[61:62], -v[103:104]
	s_waitcnt vmcnt(0)
	v_add_f64 v[63:64], v[63:64], -v[99:100]
	buffer_store_dword v61, off, s[20:23], 0 offset:304 ; 4-byte Folded Spill
	s_nop 0
	buffer_store_dword v62, off, s[20:23], 0 offset:308 ; 4-byte Folded Spill
	buffer_store_dword v63, off, s[20:23], 0 offset:312 ; 4-byte Folded Spill
	buffer_store_dword v64, off, s[20:23], 0 offset:316 ; 4-byte Folded Spill
	ds_read2_b64 v[99:102], v125 offset0:8 offset1:9
	buffer_load_dword v61, off, s[20:23], 0 offset:288 ; 4-byte Folded Reload
	buffer_load_dword v62, off, s[20:23], 0 offset:292 ; 4-byte Folded Reload
	buffer_load_dword v63, off, s[20:23], 0 offset:296 ; 4-byte Folded Reload
	buffer_load_dword v64, off, s[20:23], 0 offset:300 ; 4-byte Folded Reload
	s_waitcnt lgkmcnt(0)
	v_mul_f64 v[103:104], v[101:102], v[73:74]
	v_fma_f64 v[103:104], v[99:100], v[97:98], -v[103:104]
	v_mul_f64 v[99:100], v[99:100], v[73:74]
	v_fma_f64 v[99:100], v[101:102], v[97:98], v[99:100]
	s_waitcnt vmcnt(2)
	v_add_f64 v[61:62], v[61:62], -v[103:104]
	s_waitcnt vmcnt(0)
	v_add_f64 v[63:64], v[63:64], -v[99:100]
	buffer_store_dword v61, off, s[20:23], 0 offset:288 ; 4-byte Folded Spill
	s_nop 0
	buffer_store_dword v62, off, s[20:23], 0 offset:292 ; 4-byte Folded Spill
	buffer_store_dword v63, off, s[20:23], 0 offset:296 ; 4-byte Folded Spill
	buffer_store_dword v64, off, s[20:23], 0 offset:300 ; 4-byte Folded Spill
	ds_read2_b64 v[99:102], v125 offset0:10 offset1:11
	buffer_load_dword v61, off, s[20:23], 0 offset:272 ; 4-byte Folded Reload
	buffer_load_dword v62, off, s[20:23], 0 offset:276 ; 4-byte Folded Reload
	buffer_load_dword v63, off, s[20:23], 0 offset:280 ; 4-byte Folded Reload
	buffer_load_dword v64, off, s[20:23], 0 offset:284 ; 4-byte Folded Reload
	s_waitcnt lgkmcnt(0)
	v_mul_f64 v[103:104], v[101:102], v[73:74]
	v_fma_f64 v[103:104], v[99:100], v[97:98], -v[103:104]
	v_mul_f64 v[99:100], v[99:100], v[73:74]
	v_fma_f64 v[99:100], v[101:102], v[97:98], v[99:100]
	s_waitcnt vmcnt(2)
	v_add_f64 v[61:62], v[61:62], -v[103:104]
	s_waitcnt vmcnt(0)
	v_add_f64 v[63:64], v[63:64], -v[99:100]
	buffer_store_dword v61, off, s[20:23], 0 offset:272 ; 4-byte Folded Spill
	s_nop 0
	buffer_store_dword v62, off, s[20:23], 0 offset:276 ; 4-byte Folded Spill
	buffer_store_dword v63, off, s[20:23], 0 offset:280 ; 4-byte Folded Spill
	buffer_store_dword v64, off, s[20:23], 0 offset:284 ; 4-byte Folded Spill
	ds_read2_b64 v[99:102], v125 offset0:12 offset1:13
	buffer_load_dword v61, off, s[20:23], 0 offset:256 ; 4-byte Folded Reload
	buffer_load_dword v62, off, s[20:23], 0 offset:260 ; 4-byte Folded Reload
	buffer_load_dword v63, off, s[20:23], 0 offset:264 ; 4-byte Folded Reload
	buffer_load_dword v64, off, s[20:23], 0 offset:268 ; 4-byte Folded Reload
	s_waitcnt lgkmcnt(0)
	v_mul_f64 v[103:104], v[101:102], v[73:74]
	v_fma_f64 v[103:104], v[99:100], v[97:98], -v[103:104]
	v_mul_f64 v[99:100], v[99:100], v[73:74]
	v_fma_f64 v[99:100], v[101:102], v[97:98], v[99:100]
	s_waitcnt vmcnt(2)
	v_add_f64 v[61:62], v[61:62], -v[103:104]
	s_waitcnt vmcnt(0)
	v_add_f64 v[63:64], v[63:64], -v[99:100]
	buffer_store_dword v61, off, s[20:23], 0 offset:256 ; 4-byte Folded Spill
	s_nop 0
	buffer_store_dword v62, off, s[20:23], 0 offset:260 ; 4-byte Folded Spill
	buffer_store_dword v63, off, s[20:23], 0 offset:264 ; 4-byte Folded Spill
	buffer_store_dword v64, off, s[20:23], 0 offset:268 ; 4-byte Folded Spill
	ds_read2_b64 v[99:102], v125 offset0:14 offset1:15
	buffer_load_dword v61, off, s[20:23], 0 offset:240 ; 4-byte Folded Reload
	buffer_load_dword v62, off, s[20:23], 0 offset:244 ; 4-byte Folded Reload
	buffer_load_dword v63, off, s[20:23], 0 offset:248 ; 4-byte Folded Reload
	buffer_load_dword v64, off, s[20:23], 0 offset:252 ; 4-byte Folded Reload
	s_waitcnt lgkmcnt(0)
	v_mul_f64 v[103:104], v[101:102], v[73:74]
	v_fma_f64 v[103:104], v[99:100], v[97:98], -v[103:104]
	v_mul_f64 v[99:100], v[99:100], v[73:74]
	v_fma_f64 v[99:100], v[101:102], v[97:98], v[99:100]
	s_waitcnt vmcnt(2)
	v_add_f64 v[61:62], v[61:62], -v[103:104]
	s_waitcnt vmcnt(0)
	v_add_f64 v[63:64], v[63:64], -v[99:100]
	buffer_store_dword v61, off, s[20:23], 0 offset:240 ; 4-byte Folded Spill
	s_nop 0
	buffer_store_dword v62, off, s[20:23], 0 offset:244 ; 4-byte Folded Spill
	buffer_store_dword v63, off, s[20:23], 0 offset:248 ; 4-byte Folded Spill
	buffer_store_dword v64, off, s[20:23], 0 offset:252 ; 4-byte Folded Spill
	ds_read2_b64 v[99:102], v125 offset0:16 offset1:17
	buffer_load_dword v61, off, s[20:23], 0 offset:224 ; 4-byte Folded Reload
	buffer_load_dword v62, off, s[20:23], 0 offset:228 ; 4-byte Folded Reload
	buffer_load_dword v63, off, s[20:23], 0 offset:232 ; 4-byte Folded Reload
	buffer_load_dword v64, off, s[20:23], 0 offset:236 ; 4-byte Folded Reload
	s_waitcnt lgkmcnt(0)
	v_mul_f64 v[103:104], v[101:102], v[73:74]
	v_fma_f64 v[103:104], v[99:100], v[97:98], -v[103:104]
	v_mul_f64 v[99:100], v[99:100], v[73:74]
	v_fma_f64 v[99:100], v[101:102], v[97:98], v[99:100]
	s_waitcnt vmcnt(2)
	v_add_f64 v[61:62], v[61:62], -v[103:104]
	s_waitcnt vmcnt(0)
	v_add_f64 v[63:64], v[63:64], -v[99:100]
	buffer_store_dword v61, off, s[20:23], 0 offset:224 ; 4-byte Folded Spill
	s_nop 0
	buffer_store_dword v62, off, s[20:23], 0 offset:228 ; 4-byte Folded Spill
	buffer_store_dword v63, off, s[20:23], 0 offset:232 ; 4-byte Folded Spill
	buffer_store_dword v64, off, s[20:23], 0 offset:236 ; 4-byte Folded Spill
	ds_read2_b64 v[99:102], v125 offset0:18 offset1:19
	buffer_load_dword v61, off, s[20:23], 0 offset:208 ; 4-byte Folded Reload
	buffer_load_dword v62, off, s[20:23], 0 offset:212 ; 4-byte Folded Reload
	buffer_load_dword v63, off, s[20:23], 0 offset:216 ; 4-byte Folded Reload
	buffer_load_dword v64, off, s[20:23], 0 offset:220 ; 4-byte Folded Reload
	s_waitcnt lgkmcnt(0)
	v_mul_f64 v[103:104], v[101:102], v[73:74]
	v_fma_f64 v[103:104], v[99:100], v[97:98], -v[103:104]
	v_mul_f64 v[99:100], v[99:100], v[73:74]
	v_fma_f64 v[99:100], v[101:102], v[97:98], v[99:100]
	s_waitcnt vmcnt(2)
	v_add_f64 v[61:62], v[61:62], -v[103:104]
	s_waitcnt vmcnt(0)
	v_add_f64 v[63:64], v[63:64], -v[99:100]
	buffer_store_dword v61, off, s[20:23], 0 offset:208 ; 4-byte Folded Spill
	s_nop 0
	buffer_store_dword v62, off, s[20:23], 0 offset:212 ; 4-byte Folded Spill
	buffer_store_dword v63, off, s[20:23], 0 offset:216 ; 4-byte Folded Spill
	buffer_store_dword v64, off, s[20:23], 0 offset:220 ; 4-byte Folded Spill
	ds_read2_b64 v[99:102], v125 offset0:20 offset1:21
	buffer_load_dword v61, off, s[20:23], 0 offset:192 ; 4-byte Folded Reload
	buffer_load_dword v62, off, s[20:23], 0 offset:196 ; 4-byte Folded Reload
	buffer_load_dword v63, off, s[20:23], 0 offset:200 ; 4-byte Folded Reload
	buffer_load_dword v64, off, s[20:23], 0 offset:204 ; 4-byte Folded Reload
	s_waitcnt lgkmcnt(0)
	v_mul_f64 v[103:104], v[101:102], v[73:74]
	v_fma_f64 v[103:104], v[99:100], v[97:98], -v[103:104]
	v_mul_f64 v[99:100], v[99:100], v[73:74]
	v_fma_f64 v[99:100], v[101:102], v[97:98], v[99:100]
	s_waitcnt vmcnt(2)
	v_add_f64 v[61:62], v[61:62], -v[103:104]
	s_waitcnt vmcnt(0)
	v_add_f64 v[63:64], v[63:64], -v[99:100]
	buffer_store_dword v61, off, s[20:23], 0 offset:192 ; 4-byte Folded Spill
	s_nop 0
	buffer_store_dword v62, off, s[20:23], 0 offset:196 ; 4-byte Folded Spill
	buffer_store_dword v63, off, s[20:23], 0 offset:200 ; 4-byte Folded Spill
	buffer_store_dword v64, off, s[20:23], 0 offset:204 ; 4-byte Folded Spill
	ds_read2_b64 v[99:102], v125 offset0:22 offset1:23
	buffer_load_dword v61, off, s[20:23], 0 offset:176 ; 4-byte Folded Reload
	buffer_load_dword v62, off, s[20:23], 0 offset:180 ; 4-byte Folded Reload
	buffer_load_dword v63, off, s[20:23], 0 offset:184 ; 4-byte Folded Reload
	buffer_load_dword v64, off, s[20:23], 0 offset:188 ; 4-byte Folded Reload
	s_waitcnt lgkmcnt(0)
	v_mul_f64 v[103:104], v[101:102], v[73:74]
	v_fma_f64 v[103:104], v[99:100], v[97:98], -v[103:104]
	v_mul_f64 v[99:100], v[99:100], v[73:74]
	v_fma_f64 v[99:100], v[101:102], v[97:98], v[99:100]
	s_waitcnt vmcnt(2)
	v_add_f64 v[61:62], v[61:62], -v[103:104]
	s_waitcnt vmcnt(0)
	v_add_f64 v[63:64], v[63:64], -v[99:100]
	buffer_store_dword v61, off, s[20:23], 0 offset:176 ; 4-byte Folded Spill
	s_nop 0
	buffer_store_dword v62, off, s[20:23], 0 offset:180 ; 4-byte Folded Spill
	buffer_store_dword v63, off, s[20:23], 0 offset:184 ; 4-byte Folded Spill
	buffer_store_dword v64, off, s[20:23], 0 offset:188 ; 4-byte Folded Spill
	ds_read2_b64 v[99:102], v125 offset0:24 offset1:25
	buffer_load_dword v61, off, s[20:23], 0 offset:160 ; 4-byte Folded Reload
	buffer_load_dword v62, off, s[20:23], 0 offset:164 ; 4-byte Folded Reload
	buffer_load_dword v63, off, s[20:23], 0 offset:168 ; 4-byte Folded Reload
	buffer_load_dword v64, off, s[20:23], 0 offset:172 ; 4-byte Folded Reload
	s_waitcnt lgkmcnt(0)
	v_mul_f64 v[103:104], v[101:102], v[73:74]
	v_fma_f64 v[103:104], v[99:100], v[97:98], -v[103:104]
	v_mul_f64 v[99:100], v[99:100], v[73:74]
	v_fma_f64 v[99:100], v[101:102], v[97:98], v[99:100]
	s_waitcnt vmcnt(2)
	v_add_f64 v[61:62], v[61:62], -v[103:104]
	s_waitcnt vmcnt(0)
	v_add_f64 v[63:64], v[63:64], -v[99:100]
	buffer_store_dword v61, off, s[20:23], 0 offset:160 ; 4-byte Folded Spill
	s_nop 0
	buffer_store_dword v62, off, s[20:23], 0 offset:164 ; 4-byte Folded Spill
	buffer_store_dword v63, off, s[20:23], 0 offset:168 ; 4-byte Folded Spill
	buffer_store_dword v64, off, s[20:23], 0 offset:172 ; 4-byte Folded Spill
	ds_read2_b64 v[99:102], v125 offset0:26 offset1:27
	buffer_load_dword v61, off, s[20:23], 0 offset:144 ; 4-byte Folded Reload
	buffer_load_dword v62, off, s[20:23], 0 offset:148 ; 4-byte Folded Reload
	buffer_load_dword v63, off, s[20:23], 0 offset:152 ; 4-byte Folded Reload
	buffer_load_dword v64, off, s[20:23], 0 offset:156 ; 4-byte Folded Reload
	s_waitcnt lgkmcnt(0)
	v_mul_f64 v[103:104], v[101:102], v[73:74]
	v_fma_f64 v[103:104], v[99:100], v[97:98], -v[103:104]
	v_mul_f64 v[99:100], v[99:100], v[73:74]
	v_fma_f64 v[99:100], v[101:102], v[97:98], v[99:100]
	s_waitcnt vmcnt(2)
	v_add_f64 v[61:62], v[61:62], -v[103:104]
	s_waitcnt vmcnt(0)
	v_add_f64 v[63:64], v[63:64], -v[99:100]
	buffer_store_dword v61, off, s[20:23], 0 offset:144 ; 4-byte Folded Spill
	s_nop 0
	buffer_store_dword v62, off, s[20:23], 0 offset:148 ; 4-byte Folded Spill
	buffer_store_dword v63, off, s[20:23], 0 offset:152 ; 4-byte Folded Spill
	buffer_store_dword v64, off, s[20:23], 0 offset:156 ; 4-byte Folded Spill
	ds_read2_b64 v[99:102], v125 offset0:28 offset1:29
	buffer_load_dword v61, off, s[20:23], 0 offset:128 ; 4-byte Folded Reload
	buffer_load_dword v62, off, s[20:23], 0 offset:132 ; 4-byte Folded Reload
	buffer_load_dword v63, off, s[20:23], 0 offset:136 ; 4-byte Folded Reload
	buffer_load_dword v64, off, s[20:23], 0 offset:140 ; 4-byte Folded Reload
	s_waitcnt lgkmcnt(0)
	v_mul_f64 v[103:104], v[101:102], v[73:74]
	v_fma_f64 v[103:104], v[99:100], v[97:98], -v[103:104]
	v_mul_f64 v[99:100], v[99:100], v[73:74]
	v_fma_f64 v[99:100], v[101:102], v[97:98], v[99:100]
	s_waitcnt vmcnt(2)
	v_add_f64 v[61:62], v[61:62], -v[103:104]
	s_waitcnt vmcnt(0)
	v_add_f64 v[63:64], v[63:64], -v[99:100]
	buffer_store_dword v61, off, s[20:23], 0 offset:128 ; 4-byte Folded Spill
	s_nop 0
	buffer_store_dword v62, off, s[20:23], 0 offset:132 ; 4-byte Folded Spill
	buffer_store_dword v63, off, s[20:23], 0 offset:136 ; 4-byte Folded Spill
	buffer_store_dword v64, off, s[20:23], 0 offset:140 ; 4-byte Folded Spill
	ds_read2_b64 v[99:102], v125 offset0:30 offset1:31
	buffer_load_dword v61, off, s[20:23], 0 offset:112 ; 4-byte Folded Reload
	buffer_load_dword v62, off, s[20:23], 0 offset:116 ; 4-byte Folded Reload
	buffer_load_dword v63, off, s[20:23], 0 offset:120 ; 4-byte Folded Reload
	buffer_load_dword v64, off, s[20:23], 0 offset:124 ; 4-byte Folded Reload
	s_waitcnt lgkmcnt(0)
	v_mul_f64 v[103:104], v[101:102], v[73:74]
	v_fma_f64 v[103:104], v[99:100], v[97:98], -v[103:104]
	v_mul_f64 v[99:100], v[99:100], v[73:74]
	v_fma_f64 v[99:100], v[101:102], v[97:98], v[99:100]
	s_waitcnt vmcnt(2)
	v_add_f64 v[61:62], v[61:62], -v[103:104]
	s_waitcnt vmcnt(0)
	v_add_f64 v[63:64], v[63:64], -v[99:100]
	buffer_store_dword v61, off, s[20:23], 0 offset:112 ; 4-byte Folded Spill
	s_nop 0
	buffer_store_dword v62, off, s[20:23], 0 offset:116 ; 4-byte Folded Spill
	buffer_store_dword v63, off, s[20:23], 0 offset:120 ; 4-byte Folded Spill
	buffer_store_dword v64, off, s[20:23], 0 offset:124 ; 4-byte Folded Spill
	ds_read2_b64 v[99:102], v125 offset0:32 offset1:33
	buffer_load_dword v61, off, s[20:23], 0 offset:96 ; 4-byte Folded Reload
	buffer_load_dword v62, off, s[20:23], 0 offset:100 ; 4-byte Folded Reload
	buffer_load_dword v63, off, s[20:23], 0 offset:104 ; 4-byte Folded Reload
	buffer_load_dword v64, off, s[20:23], 0 offset:108 ; 4-byte Folded Reload
	s_waitcnt lgkmcnt(0)
	v_mul_f64 v[103:104], v[101:102], v[73:74]
	v_fma_f64 v[103:104], v[99:100], v[97:98], -v[103:104]
	v_mul_f64 v[99:100], v[99:100], v[73:74]
	v_fma_f64 v[99:100], v[101:102], v[97:98], v[99:100]
	s_waitcnt vmcnt(2)
	v_add_f64 v[61:62], v[61:62], -v[103:104]
	s_waitcnt vmcnt(0)
	v_add_f64 v[63:64], v[63:64], -v[99:100]
	buffer_store_dword v61, off, s[20:23], 0 offset:96 ; 4-byte Folded Spill
	s_nop 0
	buffer_store_dword v62, off, s[20:23], 0 offset:100 ; 4-byte Folded Spill
	buffer_store_dword v63, off, s[20:23], 0 offset:104 ; 4-byte Folded Spill
	buffer_store_dword v64, off, s[20:23], 0 offset:108 ; 4-byte Folded Spill
	ds_read2_b64 v[99:102], v125 offset0:34 offset1:35
	buffer_load_dword v61, off, s[20:23], 0 offset:80 ; 4-byte Folded Reload
	buffer_load_dword v62, off, s[20:23], 0 offset:84 ; 4-byte Folded Reload
	buffer_load_dword v63, off, s[20:23], 0 offset:88 ; 4-byte Folded Reload
	buffer_load_dword v64, off, s[20:23], 0 offset:92 ; 4-byte Folded Reload
	s_waitcnt lgkmcnt(0)
	v_mul_f64 v[103:104], v[101:102], v[73:74]
	v_fma_f64 v[103:104], v[99:100], v[97:98], -v[103:104]
	v_mul_f64 v[99:100], v[99:100], v[73:74]
	v_fma_f64 v[99:100], v[101:102], v[97:98], v[99:100]
	s_waitcnt vmcnt(2)
	v_add_f64 v[61:62], v[61:62], -v[103:104]
	s_waitcnt vmcnt(0)
	v_add_f64 v[63:64], v[63:64], -v[99:100]
	buffer_store_dword v61, off, s[20:23], 0 offset:80 ; 4-byte Folded Spill
	s_nop 0
	buffer_store_dword v62, off, s[20:23], 0 offset:84 ; 4-byte Folded Spill
	buffer_store_dword v63, off, s[20:23], 0 offset:88 ; 4-byte Folded Spill
	buffer_store_dword v64, off, s[20:23], 0 offset:92 ; 4-byte Folded Spill
	ds_read2_b64 v[99:102], v125 offset0:36 offset1:37
	buffer_load_dword v61, off, s[20:23], 0 offset:64 ; 4-byte Folded Reload
	buffer_load_dword v62, off, s[20:23], 0 offset:68 ; 4-byte Folded Reload
	buffer_load_dword v63, off, s[20:23], 0 offset:72 ; 4-byte Folded Reload
	buffer_load_dword v64, off, s[20:23], 0 offset:76 ; 4-byte Folded Reload
	s_waitcnt lgkmcnt(0)
	v_mul_f64 v[103:104], v[101:102], v[73:74]
	v_fma_f64 v[103:104], v[99:100], v[97:98], -v[103:104]
	v_mul_f64 v[99:100], v[99:100], v[73:74]
	v_fma_f64 v[99:100], v[101:102], v[97:98], v[99:100]
	s_waitcnt vmcnt(2)
	v_add_f64 v[61:62], v[61:62], -v[103:104]
	s_waitcnt vmcnt(0)
	v_add_f64 v[63:64], v[63:64], -v[99:100]
	buffer_store_dword v61, off, s[20:23], 0 offset:64 ; 4-byte Folded Spill
	s_nop 0
	buffer_store_dword v62, off, s[20:23], 0 offset:68 ; 4-byte Folded Spill
	buffer_store_dword v63, off, s[20:23], 0 offset:72 ; 4-byte Folded Spill
	buffer_store_dword v64, off, s[20:23], 0 offset:76 ; 4-byte Folded Spill
	ds_read2_b64 v[99:102], v125 offset0:38 offset1:39
	buffer_load_dword v61, off, s[20:23], 0 offset:48 ; 4-byte Folded Reload
	buffer_load_dword v62, off, s[20:23], 0 offset:52 ; 4-byte Folded Reload
	buffer_load_dword v63, off, s[20:23], 0 offset:56 ; 4-byte Folded Reload
	buffer_load_dword v64, off, s[20:23], 0 offset:60 ; 4-byte Folded Reload
	s_waitcnt lgkmcnt(0)
	v_mul_f64 v[103:104], v[101:102], v[73:74]
	v_fma_f64 v[103:104], v[99:100], v[97:98], -v[103:104]
	v_mul_f64 v[99:100], v[99:100], v[73:74]
	v_fma_f64 v[99:100], v[101:102], v[97:98], v[99:100]
	s_waitcnt vmcnt(2)
	v_add_f64 v[61:62], v[61:62], -v[103:104]
	s_waitcnt vmcnt(0)
	v_add_f64 v[63:64], v[63:64], -v[99:100]
	buffer_store_dword v61, off, s[20:23], 0 offset:48 ; 4-byte Folded Spill
	s_nop 0
	buffer_store_dword v62, off, s[20:23], 0 offset:52 ; 4-byte Folded Spill
	buffer_store_dword v63, off, s[20:23], 0 offset:56 ; 4-byte Folded Spill
	buffer_store_dword v64, off, s[20:23], 0 offset:60 ; 4-byte Folded Spill
	ds_read2_b64 v[99:102], v125 offset0:40 offset1:41
	v_mov_b32_e32 v61, v65
	v_mov_b32_e32 v62, v66
	;; [unrolled: 1-line block ×4, first 2 shown]
	s_waitcnt lgkmcnt(0)
	v_mul_f64 v[103:104], v[101:102], v[73:74]
	v_fma_f64 v[103:104], v[99:100], v[97:98], -v[103:104]
	v_mul_f64 v[99:100], v[99:100], v[73:74]
	v_add_f64 v[117:118], v[117:118], -v[103:104]
	v_fma_f64 v[99:100], v[101:102], v[97:98], v[99:100]
	v_add_f64 v[119:120], v[119:120], -v[99:100]
	ds_read2_b64 v[99:102], v125 offset0:42 offset1:43
	s_waitcnt lgkmcnt(0)
	v_mul_f64 v[103:104], v[101:102], v[73:74]
	v_fma_f64 v[103:104], v[99:100], v[97:98], -v[103:104]
	v_mul_f64 v[99:100], v[99:100], v[73:74]
	v_add_f64 v[121:122], v[121:122], -v[103:104]
	v_fma_f64 v[99:100], v[101:102], v[97:98], v[99:100]
	v_add_f64 v[123:124], v[123:124], -v[99:100]
	ds_read2_b64 v[99:102], v125 offset0:44 offset1:45
	;; [unrolled: 8-line block ×5, first 2 shown]
	buffer_load_dword v69, off, s[20:23], 0 offset:32 ; 4-byte Folded Reload
	buffer_load_dword v70, off, s[20:23], 0 offset:36 ; 4-byte Folded Reload
	;; [unrolled: 1-line block ×4, first 2 shown]
	s_waitcnt lgkmcnt(0)
	v_mul_f64 v[103:104], v[101:102], v[73:74]
	v_fma_f64 v[103:104], v[99:100], v[97:98], -v[103:104]
	v_mul_f64 v[99:100], v[99:100], v[73:74]
	v_fma_f64 v[99:100], v[101:102], v[97:98], v[99:100]
	s_waitcnt vmcnt(2)
	v_add_f64 v[69:70], v[69:70], -v[103:104]
	s_waitcnt vmcnt(0)
	v_add_f64 v[71:72], v[71:72], -v[99:100]
	buffer_store_dword v69, off, s[20:23], 0 offset:32 ; 4-byte Folded Spill
	s_nop 0
	buffer_store_dword v70, off, s[20:23], 0 offset:36 ; 4-byte Folded Spill
	buffer_store_dword v71, off, s[20:23], 0 offset:40 ; 4-byte Folded Spill
	;; [unrolled: 1-line block ×3, first 2 shown]
	ds_read2_b64 v[99:102], v125 offset0:52 offset1:53
	buffer_load_dword v65, off, s[20:23], 0 offset:16 ; 4-byte Folded Reload
	buffer_load_dword v66, off, s[20:23], 0 offset:20 ; 4-byte Folded Reload
	;; [unrolled: 1-line block ×4, first 2 shown]
	v_mov_b32_e32 v71, v97
	v_mov_b32_e32 v72, v98
	s_waitcnt lgkmcnt(0)
	v_mul_f64 v[103:104], v[101:102], v[73:74]
	v_fma_f64 v[103:104], v[99:100], v[97:98], -v[103:104]
	v_mul_f64 v[99:100], v[99:100], v[73:74]
	v_fma_f64 v[99:100], v[101:102], v[97:98], v[99:100]
	s_waitcnt vmcnt(2)
	v_add_f64 v[65:66], v[65:66], -v[103:104]
	s_waitcnt vmcnt(0)
	v_add_f64 v[67:68], v[67:68], -v[99:100]
	buffer_store_dword v65, off, s[20:23], 0 offset:16 ; 4-byte Folded Spill
	s_nop 0
	buffer_store_dword v66, off, s[20:23], 0 offset:20 ; 4-byte Folded Spill
	buffer_store_dword v67, off, s[20:23], 0 offset:24 ; 4-byte Folded Spill
	;; [unrolled: 1-line block ×3, first 2 shown]
	v_mov_b32_e32 v68, v64
	v_mov_b32_e32 v67, v63
	v_mov_b32_e32 v66, v62
	v_mov_b32_e32 v65, v61
	ds_read2_b64 v[99:102], v125 offset0:54 offset1:55
	buffer_load_dword v61, off, s[20:23], 0 ; 4-byte Folded Reload
	buffer_load_dword v62, off, s[20:23], 0 offset:4 ; 4-byte Folded Reload
	buffer_load_dword v63, off, s[20:23], 0 offset:8 ; 4-byte Folded Reload
	;; [unrolled: 1-line block ×3, first 2 shown]
	s_waitcnt lgkmcnt(0)
	v_mul_f64 v[103:104], v[101:102], v[73:74]
	v_fma_f64 v[103:104], v[99:100], v[97:98], -v[103:104]
	v_mul_f64 v[99:100], v[99:100], v[73:74]
	v_fma_f64 v[99:100], v[101:102], v[97:98], v[99:100]
	s_waitcnt vmcnt(2)
	v_add_f64 v[61:62], v[61:62], -v[103:104]
	s_waitcnt vmcnt(0)
	v_add_f64 v[63:64], v[63:64], -v[99:100]
	buffer_store_dword v61, off, s[20:23], 0 ; 4-byte Folded Spill
	s_nop 0
	buffer_store_dword v62, off, s[20:23], 0 offset:4 ; 4-byte Folded Spill
	buffer_store_dword v63, off, s[20:23], 0 offset:8 ; 4-byte Folded Spill
	;; [unrolled: 1-line block ×3, first 2 shown]
	ds_read2_b64 v[99:102], v125 offset0:56 offset1:57
	s_waitcnt lgkmcnt(0)
	v_mul_f64 v[103:104], v[101:102], v[73:74]
	v_fma_f64 v[103:104], v[99:100], v[97:98], -v[103:104]
	v_mul_f64 v[99:100], v[99:100], v[73:74]
	v_add_f64 v[57:58], v[57:58], -v[103:104]
	v_fma_f64 v[99:100], v[101:102], v[97:98], v[99:100]
	v_add_f64 v[59:60], v[59:60], -v[99:100]
	ds_read2_b64 v[99:102], v125 offset0:58 offset1:59
	s_waitcnt lgkmcnt(0)
	v_mul_f64 v[103:104], v[101:102], v[73:74]
	v_fma_f64 v[103:104], v[99:100], v[97:98], -v[103:104]
	v_mul_f64 v[99:100], v[99:100], v[73:74]
	v_add_f64 v[53:54], v[53:54], -v[103:104]
	v_fma_f64 v[99:100], v[101:102], v[97:98], v[99:100]
	v_add_f64 v[55:56], v[55:56], -v[99:100]
	;; [unrolled: 8-line block ×14, first 2 shown]
	ds_read2_b64 v[99:102], v125 offset0:84 offset1:85
	s_waitcnt lgkmcnt(0)
	v_mul_f64 v[103:104], v[101:102], v[73:74]
	v_fma_f64 v[103:104], v[99:100], v[97:98], -v[103:104]
	v_mul_f64 v[99:100], v[99:100], v[73:74]
	v_add_f64 v[1:2], v[1:2], -v[103:104]
	v_fma_f64 v[99:100], v[101:102], v[97:98], v[99:100]
	ds_read2_b64 v[101:104], v125 offset0:86 offset1:87
	v_add_f64 v[3:4], v[3:4], -v[99:100]
	s_waitcnt lgkmcnt(0)
	v_mul_f64 v[99:100], v[103:104], v[73:74]
	v_fma_f64 v[99:100], v[101:102], v[97:98], -v[99:100]
	v_mul_f64 v[101:102], v[101:102], v[73:74]
	buffer_store_dword v71, off, s[20:23], 0 offset:352 ; 4-byte Folded Spill
	s_nop 0
	buffer_store_dword v72, off, s[20:23], 0 offset:356 ; 4-byte Folded Spill
	buffer_store_dword v73, off, s[20:23], 0 offset:360 ; 4-byte Folded Spill
	;; [unrolled: 1-line block ×3, first 2 shown]
	v_add_f64 v[65:66], v[65:66], -v[99:100]
	v_fma_f64 v[101:102], v[103:104], v[97:98], v[101:102]
	v_add_f64 v[67:68], v[67:68], -v[101:102]
.LBB87_10:
	s_or_b64 exec, exec, s[4:5]
	v_cmp_eq_u32_e32 vcc, 1, v0
	s_waitcnt vmcnt(0)
	s_barrier
	s_and_saveexec_b64 s[4:5], vcc
	s_cbranch_execz .LBB87_17
; %bb.11:
	buffer_load_dword v61, off, s[20:23], 0 offset:336 ; 4-byte Folded Reload
	buffer_load_dword v62, off, s[20:23], 0 offset:340 ; 4-byte Folded Reload
	;; [unrolled: 1-line block ×4, first 2 shown]
	s_waitcnt vmcnt(0)
	ds_write2_b64 v127, v[61:62], v[63:64] offset1:1
	buffer_load_dword v61, off, s[20:23], 0 offset:320 ; 4-byte Folded Reload
	buffer_load_dword v62, off, s[20:23], 0 offset:324 ; 4-byte Folded Reload
	buffer_load_dword v63, off, s[20:23], 0 offset:328 ; 4-byte Folded Reload
	buffer_load_dword v64, off, s[20:23], 0 offset:332 ; 4-byte Folded Reload
	s_waitcnt vmcnt(0)
	ds_write2_b64 v125, v[61:62], v[63:64] offset0:4 offset1:5
	buffer_load_dword v61, off, s[20:23], 0 offset:304 ; 4-byte Folded Reload
	buffer_load_dword v62, off, s[20:23], 0 offset:308 ; 4-byte Folded Reload
	buffer_load_dword v63, off, s[20:23], 0 offset:312 ; 4-byte Folded Reload
	buffer_load_dword v64, off, s[20:23], 0 offset:316 ; 4-byte Folded Reload
	s_waitcnt vmcnt(0)
	ds_write2_b64 v125, v[61:62], v[63:64] offset0:6 offset1:7
	;; [unrolled: 6-line block ×18, first 2 shown]
	ds_write2_b64 v125, v[117:118], v[119:120] offset0:40 offset1:41
	ds_write2_b64 v125, v[121:122], v[123:124] offset0:42 offset1:43
	;; [unrolled: 1-line block ×5, first 2 shown]
	buffer_load_dword v69, off, s[20:23], 0 offset:32 ; 4-byte Folded Reload
	buffer_load_dword v70, off, s[20:23], 0 offset:36 ; 4-byte Folded Reload
	;; [unrolled: 1-line block ×4, first 2 shown]
	v_mov_b32_e32 v61, v65
	v_mov_b32_e32 v62, v66
	v_mov_b32_e32 v63, v67
	v_mov_b32_e32 v64, v68
	s_waitcnt vmcnt(0)
	ds_write2_b64 v125, v[69:70], v[71:72] offset0:50 offset1:51
	buffer_load_dword v65, off, s[20:23], 0 offset:16 ; 4-byte Folded Reload
	buffer_load_dword v66, off, s[20:23], 0 offset:20 ; 4-byte Folded Reload
	;; [unrolled: 1-line block ×4, first 2 shown]
	s_waitcnt vmcnt(0)
	ds_write2_b64 v125, v[65:66], v[67:68] offset0:52 offset1:53
	v_mov_b32_e32 v68, v64
	v_mov_b32_e32 v67, v63
	;; [unrolled: 1-line block ×4, first 2 shown]
	buffer_load_dword v61, off, s[20:23], 0 ; 4-byte Folded Reload
	buffer_load_dword v62, off, s[20:23], 0 offset:4 ; 4-byte Folded Reload
	buffer_load_dword v63, off, s[20:23], 0 offset:8 ; 4-byte Folded Reload
	;; [unrolled: 1-line block ×3, first 2 shown]
	s_waitcnt vmcnt(0)
	ds_write2_b64 v125, v[61:62], v[63:64] offset0:54 offset1:55
	ds_write2_b64 v125, v[57:58], v[59:60] offset0:56 offset1:57
	ds_write2_b64 v125, v[53:54], v[55:56] offset0:58 offset1:59
	ds_write2_b64 v125, v[49:50], v[51:52] offset0:60 offset1:61
	ds_write2_b64 v125, v[45:46], v[47:48] offset0:62 offset1:63
	ds_write2_b64 v125, v[41:42], v[43:44] offset0:64 offset1:65
	ds_write2_b64 v125, v[37:38], v[39:40] offset0:66 offset1:67
	ds_write2_b64 v125, v[33:34], v[35:36] offset0:68 offset1:69
	ds_write2_b64 v125, v[29:30], v[31:32] offset0:70 offset1:71
	ds_write2_b64 v125, v[25:26], v[27:28] offset0:72 offset1:73
	ds_write2_b64 v125, v[21:22], v[23:24] offset0:74 offset1:75
	ds_write2_b64 v125, v[17:18], v[19:20] offset0:76 offset1:77
	ds_write2_b64 v125, v[13:14], v[15:16] offset0:78 offset1:79
	ds_write2_b64 v125, v[9:10], v[11:12] offset0:80 offset1:81
	ds_write2_b64 v125, v[5:6], v[7:8] offset0:82 offset1:83
	ds_write2_b64 v125, v[1:2], v[3:4] offset0:84 offset1:85
	ds_write2_b64 v125, v[65:66], v[67:68] offset0:86 offset1:87
	ds_read2_b64 v[97:100], v127 offset1:1
	s_waitcnt lgkmcnt(0)
	v_cmp_neq_f64_e32 vcc, 0, v[97:98]
	v_cmp_neq_f64_e64 s[2:3], 0, v[99:100]
	s_or_b64 s[2:3], vcc, s[2:3]
	s_and_b64 exec, exec, s[2:3]
	s_cbranch_execz .LBB87_17
; %bb.12:
	v_cmp_ngt_f64_e64 s[2:3], |v[97:98]|, |v[99:100]|
                                        ; implicit-def: $vgpr101_vgpr102
	s_and_saveexec_b64 s[6:7], s[2:3]
	s_xor_b64 s[2:3], exec, s[6:7]
                                        ; implicit-def: $vgpr103_vgpr104
	s_cbranch_execz .LBB87_14
; %bb.13:
	v_div_scale_f64 v[101:102], s[6:7], v[99:100], v[99:100], v[97:98]
	v_rcp_f64_e32 v[103:104], v[101:102]
	v_fma_f64 v[105:106], -v[101:102], v[103:104], 1.0
	v_fma_f64 v[103:104], v[103:104], v[105:106], v[103:104]
	v_div_scale_f64 v[105:106], vcc, v[97:98], v[99:100], v[97:98]
	v_fma_f64 v[107:108], -v[101:102], v[103:104], 1.0
	v_fma_f64 v[103:104], v[103:104], v[107:108], v[103:104]
	v_mul_f64 v[107:108], v[105:106], v[103:104]
	v_fma_f64 v[101:102], -v[101:102], v[107:108], v[105:106]
	v_div_fmas_f64 v[101:102], v[101:102], v[103:104], v[107:108]
	v_div_fixup_f64 v[101:102], v[101:102], v[99:100], v[97:98]
	v_fma_f64 v[97:98], v[97:98], v[101:102], v[99:100]
	v_div_scale_f64 v[99:100], s[6:7], v[97:98], v[97:98], 1.0
	v_div_scale_f64 v[107:108], vcc, 1.0, v[97:98], 1.0
	v_rcp_f64_e32 v[103:104], v[99:100]
	v_fma_f64 v[105:106], -v[99:100], v[103:104], 1.0
	v_fma_f64 v[103:104], v[103:104], v[105:106], v[103:104]
	v_fma_f64 v[105:106], -v[99:100], v[103:104], 1.0
	v_fma_f64 v[103:104], v[103:104], v[105:106], v[103:104]
	v_mul_f64 v[105:106], v[107:108], v[103:104]
	v_fma_f64 v[99:100], -v[99:100], v[105:106], v[107:108]
	v_div_fmas_f64 v[99:100], v[99:100], v[103:104], v[105:106]
	v_div_fixup_f64 v[103:104], v[99:100], v[97:98], 1.0
                                        ; implicit-def: $vgpr97_vgpr98
	v_mul_f64 v[101:102], v[101:102], v[103:104]
	v_xor_b32_e32 v104, 0x80000000, v104
.LBB87_14:
	s_andn2_saveexec_b64 s[2:3], s[2:3]
	s_cbranch_execz .LBB87_16
; %bb.15:
	v_div_scale_f64 v[101:102], s[6:7], v[97:98], v[97:98], v[99:100]
	v_rcp_f64_e32 v[103:104], v[101:102]
	v_fma_f64 v[105:106], -v[101:102], v[103:104], 1.0
	v_fma_f64 v[103:104], v[103:104], v[105:106], v[103:104]
	v_div_scale_f64 v[105:106], vcc, v[99:100], v[97:98], v[99:100]
	v_fma_f64 v[107:108], -v[101:102], v[103:104], 1.0
	v_fma_f64 v[103:104], v[103:104], v[107:108], v[103:104]
	v_mul_f64 v[107:108], v[105:106], v[103:104]
	v_fma_f64 v[101:102], -v[101:102], v[107:108], v[105:106]
	v_div_fmas_f64 v[101:102], v[101:102], v[103:104], v[107:108]
	v_div_fixup_f64 v[103:104], v[101:102], v[97:98], v[99:100]
	v_fma_f64 v[97:98], v[99:100], v[103:104], v[97:98]
	v_div_scale_f64 v[99:100], s[6:7], v[97:98], v[97:98], 1.0
	v_div_scale_f64 v[107:108], vcc, 1.0, v[97:98], 1.0
	v_rcp_f64_e32 v[101:102], v[99:100]
	v_fma_f64 v[105:106], -v[99:100], v[101:102], 1.0
	v_fma_f64 v[101:102], v[101:102], v[105:106], v[101:102]
	v_fma_f64 v[105:106], -v[99:100], v[101:102], 1.0
	v_fma_f64 v[101:102], v[101:102], v[105:106], v[101:102]
	v_mul_f64 v[105:106], v[107:108], v[101:102]
	v_fma_f64 v[99:100], -v[99:100], v[105:106], v[107:108]
	v_div_fmas_f64 v[99:100], v[99:100], v[101:102], v[105:106]
	v_div_fixup_f64 v[101:102], v[99:100], v[97:98], 1.0
	v_mul_f64 v[103:104], v[103:104], -v[101:102]
.LBB87_16:
	s_or_b64 exec, exec, s[2:3]
	ds_write2_b64 v127, v[101:102], v[103:104] offset1:1
.LBB87_17:
	s_or_b64 exec, exec, s[4:5]
	s_waitcnt lgkmcnt(0)
	s_barrier
	ds_read2_b64 v[61:64], v127 offset1:1
	v_cmp_lt_u32_e32 vcc, 1, v0
	s_waitcnt lgkmcnt(0)
	buffer_store_dword v61, off, s[20:23], 0 offset:696 ; 4-byte Folded Spill
	s_nop 0
	buffer_store_dword v62, off, s[20:23], 0 offset:700 ; 4-byte Folded Spill
	buffer_store_dword v63, off, s[20:23], 0 offset:704 ; 4-byte Folded Spill
	;; [unrolled: 1-line block ×3, first 2 shown]
	s_and_saveexec_b64 s[2:3], vcc
	s_cbranch_execz .LBB87_19
; %bb.18:
	buffer_load_dword v71, off, s[20:23], 0 offset:336 ; 4-byte Folded Reload
	buffer_load_dword v72, off, s[20:23], 0 offset:340 ; 4-byte Folded Reload
	;; [unrolled: 1-line block ×8, first 2 shown]
	s_waitcnt vmcnt(2)
	v_mul_f64 v[99:100], v[61:62], v[73:74]
	s_waitcnt vmcnt(0)
	v_mul_f64 v[97:98], v[63:64], v[73:74]
	v_fma_f64 v[73:74], v[63:64], v[71:72], v[99:100]
	ds_read2_b64 v[99:102], v125 offset0:4 offset1:5
	v_fma_f64 v[97:98], v[61:62], v[71:72], -v[97:98]
	buffer_load_dword v61, off, s[20:23], 0 offset:320 ; 4-byte Folded Reload
	buffer_load_dword v62, off, s[20:23], 0 offset:324 ; 4-byte Folded Reload
	buffer_load_dword v63, off, s[20:23], 0 offset:328 ; 4-byte Folded Reload
	buffer_load_dword v64, off, s[20:23], 0 offset:332 ; 4-byte Folded Reload
	s_waitcnt lgkmcnt(0)
	v_mul_f64 v[103:104], v[101:102], v[73:74]
	v_fma_f64 v[103:104], v[99:100], v[97:98], -v[103:104]
	v_mul_f64 v[99:100], v[99:100], v[73:74]
	v_fma_f64 v[99:100], v[101:102], v[97:98], v[99:100]
	s_waitcnt vmcnt(2)
	v_add_f64 v[61:62], v[61:62], -v[103:104]
	s_waitcnt vmcnt(0)
	v_add_f64 v[63:64], v[63:64], -v[99:100]
	buffer_store_dword v61, off, s[20:23], 0 offset:320 ; 4-byte Folded Spill
	s_nop 0
	buffer_store_dword v62, off, s[20:23], 0 offset:324 ; 4-byte Folded Spill
	buffer_store_dword v63, off, s[20:23], 0 offset:328 ; 4-byte Folded Spill
	buffer_store_dword v64, off, s[20:23], 0 offset:332 ; 4-byte Folded Spill
	ds_read2_b64 v[99:102], v125 offset0:6 offset1:7
	buffer_load_dword v61, off, s[20:23], 0 offset:304 ; 4-byte Folded Reload
	buffer_load_dword v62, off, s[20:23], 0 offset:308 ; 4-byte Folded Reload
	buffer_load_dword v63, off, s[20:23], 0 offset:312 ; 4-byte Folded Reload
	buffer_load_dword v64, off, s[20:23], 0 offset:316 ; 4-byte Folded Reload
	s_waitcnt lgkmcnt(0)
	v_mul_f64 v[103:104], v[101:102], v[73:74]
	v_fma_f64 v[103:104], v[99:100], v[97:98], -v[103:104]
	v_mul_f64 v[99:100], v[99:100], v[73:74]
	v_fma_f64 v[99:100], v[101:102], v[97:98], v[99:100]
	s_waitcnt vmcnt(2)
	v_add_f64 v[61:62], v[61:62], -v[103:104]
	s_waitcnt vmcnt(0)
	v_add_f64 v[63:64], v[63:64], -v[99:100]
	buffer_store_dword v61, off, s[20:23], 0 offset:304 ; 4-byte Folded Spill
	s_nop 0
	buffer_store_dword v62, off, s[20:23], 0 offset:308 ; 4-byte Folded Spill
	buffer_store_dword v63, off, s[20:23], 0 offset:312 ; 4-byte Folded Spill
	buffer_store_dword v64, off, s[20:23], 0 offset:316 ; 4-byte Folded Spill
	ds_read2_b64 v[99:102], v125 offset0:8 offset1:9
	;; [unrolled: 19-line block ×18, first 2 shown]
	v_mov_b32_e32 v61, v65
	v_mov_b32_e32 v62, v66
	v_mov_b32_e32 v63, v67
	v_mov_b32_e32 v64, v68
	s_waitcnt lgkmcnt(0)
	v_mul_f64 v[103:104], v[101:102], v[73:74]
	v_fma_f64 v[103:104], v[99:100], v[97:98], -v[103:104]
	v_mul_f64 v[99:100], v[99:100], v[73:74]
	v_add_f64 v[117:118], v[117:118], -v[103:104]
	v_fma_f64 v[99:100], v[101:102], v[97:98], v[99:100]
	v_add_f64 v[119:120], v[119:120], -v[99:100]
	ds_read2_b64 v[99:102], v125 offset0:42 offset1:43
	s_waitcnt lgkmcnt(0)
	v_mul_f64 v[103:104], v[101:102], v[73:74]
	v_fma_f64 v[103:104], v[99:100], v[97:98], -v[103:104]
	v_mul_f64 v[99:100], v[99:100], v[73:74]
	v_add_f64 v[121:122], v[121:122], -v[103:104]
	v_fma_f64 v[99:100], v[101:102], v[97:98], v[99:100]
	v_add_f64 v[123:124], v[123:124], -v[99:100]
	ds_read2_b64 v[99:102], v125 offset0:44 offset1:45
	;; [unrolled: 8-line block ×5, first 2 shown]
	buffer_load_dword v69, off, s[20:23], 0 offset:32 ; 4-byte Folded Reload
	buffer_load_dword v70, off, s[20:23], 0 offset:36 ; 4-byte Folded Reload
	;; [unrolled: 1-line block ×4, first 2 shown]
	s_waitcnt lgkmcnt(0)
	v_mul_f64 v[103:104], v[101:102], v[73:74]
	v_fma_f64 v[103:104], v[99:100], v[97:98], -v[103:104]
	v_mul_f64 v[99:100], v[99:100], v[73:74]
	v_fma_f64 v[99:100], v[101:102], v[97:98], v[99:100]
	s_waitcnt vmcnt(2)
	v_add_f64 v[69:70], v[69:70], -v[103:104]
	s_waitcnt vmcnt(0)
	v_add_f64 v[71:72], v[71:72], -v[99:100]
	buffer_store_dword v69, off, s[20:23], 0 offset:32 ; 4-byte Folded Spill
	s_nop 0
	buffer_store_dword v70, off, s[20:23], 0 offset:36 ; 4-byte Folded Spill
	buffer_store_dword v71, off, s[20:23], 0 offset:40 ; 4-byte Folded Spill
	;; [unrolled: 1-line block ×3, first 2 shown]
	ds_read2_b64 v[99:102], v125 offset0:52 offset1:53
	buffer_load_dword v65, off, s[20:23], 0 offset:16 ; 4-byte Folded Reload
	buffer_load_dword v66, off, s[20:23], 0 offset:20 ; 4-byte Folded Reload
	;; [unrolled: 1-line block ×4, first 2 shown]
	v_mov_b32_e32 v71, v97
	v_mov_b32_e32 v72, v98
	s_waitcnt lgkmcnt(0)
	v_mul_f64 v[103:104], v[101:102], v[73:74]
	v_fma_f64 v[103:104], v[99:100], v[97:98], -v[103:104]
	v_mul_f64 v[99:100], v[99:100], v[73:74]
	v_fma_f64 v[99:100], v[101:102], v[97:98], v[99:100]
	s_waitcnt vmcnt(2)
	v_add_f64 v[65:66], v[65:66], -v[103:104]
	s_waitcnt vmcnt(0)
	v_add_f64 v[67:68], v[67:68], -v[99:100]
	buffer_store_dword v65, off, s[20:23], 0 offset:16 ; 4-byte Folded Spill
	s_nop 0
	buffer_store_dword v66, off, s[20:23], 0 offset:20 ; 4-byte Folded Spill
	buffer_store_dword v67, off, s[20:23], 0 offset:24 ; 4-byte Folded Spill
	;; [unrolled: 1-line block ×3, first 2 shown]
	v_mov_b32_e32 v68, v64
	v_mov_b32_e32 v67, v63
	;; [unrolled: 1-line block ×4, first 2 shown]
	ds_read2_b64 v[99:102], v125 offset0:54 offset1:55
	buffer_load_dword v61, off, s[20:23], 0 ; 4-byte Folded Reload
	buffer_load_dword v62, off, s[20:23], 0 offset:4 ; 4-byte Folded Reload
	buffer_load_dword v63, off, s[20:23], 0 offset:8 ; 4-byte Folded Reload
	;; [unrolled: 1-line block ×3, first 2 shown]
	s_waitcnt lgkmcnt(0)
	v_mul_f64 v[103:104], v[101:102], v[73:74]
	v_fma_f64 v[103:104], v[99:100], v[97:98], -v[103:104]
	v_mul_f64 v[99:100], v[99:100], v[73:74]
	v_fma_f64 v[99:100], v[101:102], v[97:98], v[99:100]
	s_waitcnt vmcnt(2)
	v_add_f64 v[61:62], v[61:62], -v[103:104]
	s_waitcnt vmcnt(0)
	v_add_f64 v[63:64], v[63:64], -v[99:100]
	buffer_store_dword v61, off, s[20:23], 0 ; 4-byte Folded Spill
	s_nop 0
	buffer_store_dword v62, off, s[20:23], 0 offset:4 ; 4-byte Folded Spill
	buffer_store_dword v63, off, s[20:23], 0 offset:8 ; 4-byte Folded Spill
	buffer_store_dword v64, off, s[20:23], 0 offset:12 ; 4-byte Folded Spill
	ds_read2_b64 v[99:102], v125 offset0:56 offset1:57
	s_waitcnt lgkmcnt(0)
	v_mul_f64 v[103:104], v[101:102], v[73:74]
	v_fma_f64 v[103:104], v[99:100], v[97:98], -v[103:104]
	v_mul_f64 v[99:100], v[99:100], v[73:74]
	v_add_f64 v[57:58], v[57:58], -v[103:104]
	v_fma_f64 v[99:100], v[101:102], v[97:98], v[99:100]
	v_add_f64 v[59:60], v[59:60], -v[99:100]
	ds_read2_b64 v[99:102], v125 offset0:58 offset1:59
	s_waitcnt lgkmcnt(0)
	v_mul_f64 v[103:104], v[101:102], v[73:74]
	v_fma_f64 v[103:104], v[99:100], v[97:98], -v[103:104]
	v_mul_f64 v[99:100], v[99:100], v[73:74]
	v_add_f64 v[53:54], v[53:54], -v[103:104]
	v_fma_f64 v[99:100], v[101:102], v[97:98], v[99:100]
	v_add_f64 v[55:56], v[55:56], -v[99:100]
	;; [unrolled: 8-line block ×15, first 2 shown]
	ds_read2_b64 v[99:102], v125 offset0:86 offset1:87
	s_waitcnt lgkmcnt(0)
	v_mul_f64 v[103:104], v[101:102], v[73:74]
	v_fma_f64 v[103:104], v[99:100], v[97:98], -v[103:104]
	v_mul_f64 v[99:100], v[99:100], v[73:74]
	buffer_store_dword v71, off, s[20:23], 0 offset:336 ; 4-byte Folded Spill
	s_nop 0
	buffer_store_dword v72, off, s[20:23], 0 offset:340 ; 4-byte Folded Spill
	buffer_store_dword v73, off, s[20:23], 0 offset:344 ; 4-byte Folded Spill
	;; [unrolled: 1-line block ×3, first 2 shown]
	v_add_f64 v[65:66], v[65:66], -v[103:104]
	v_fma_f64 v[99:100], v[101:102], v[97:98], v[99:100]
	v_add_f64 v[67:68], v[67:68], -v[99:100]
.LBB87_19:
	s_or_b64 exec, exec, s[2:3]
	v_cmp_eq_u32_e32 vcc, 2, v0
	s_waitcnt vmcnt(0)
	s_barrier
	s_and_saveexec_b64 s[4:5], vcc
	s_cbranch_execz .LBB87_26
; %bb.20:
	buffer_load_dword v61, off, s[20:23], 0 offset:320 ; 4-byte Folded Reload
	buffer_load_dword v62, off, s[20:23], 0 offset:324 ; 4-byte Folded Reload
	;; [unrolled: 1-line block ×4, first 2 shown]
	s_waitcnt vmcnt(0)
	ds_write2_b64 v127, v[61:62], v[63:64] offset1:1
	buffer_load_dword v61, off, s[20:23], 0 offset:304 ; 4-byte Folded Reload
	buffer_load_dword v62, off, s[20:23], 0 offset:308 ; 4-byte Folded Reload
	buffer_load_dword v63, off, s[20:23], 0 offset:312 ; 4-byte Folded Reload
	buffer_load_dword v64, off, s[20:23], 0 offset:316 ; 4-byte Folded Reload
	s_waitcnt vmcnt(0)
	ds_write2_b64 v125, v[61:62], v[63:64] offset0:6 offset1:7
	buffer_load_dword v61, off, s[20:23], 0 offset:288 ; 4-byte Folded Reload
	buffer_load_dword v62, off, s[20:23], 0 offset:292 ; 4-byte Folded Reload
	buffer_load_dword v63, off, s[20:23], 0 offset:296 ; 4-byte Folded Reload
	buffer_load_dword v64, off, s[20:23], 0 offset:300 ; 4-byte Folded Reload
	s_waitcnt vmcnt(0)
	ds_write2_b64 v125, v[61:62], v[63:64] offset0:8 offset1:9
	;; [unrolled: 6-line block ×17, first 2 shown]
	ds_write2_b64 v125, v[117:118], v[119:120] offset0:40 offset1:41
	ds_write2_b64 v125, v[121:122], v[123:124] offset0:42 offset1:43
	ds_write2_b64 v125, v[109:110], v[111:112] offset0:44 offset1:45
	ds_write2_b64 v125, v[113:114], v[115:116] offset0:46 offset1:47
	ds_write2_b64 v125, v[93:94], v[95:96] offset0:48 offset1:49
	buffer_load_dword v69, off, s[20:23], 0 offset:32 ; 4-byte Folded Reload
	buffer_load_dword v70, off, s[20:23], 0 offset:36 ; 4-byte Folded Reload
	buffer_load_dword v71, off, s[20:23], 0 offset:40 ; 4-byte Folded Reload
	buffer_load_dword v72, off, s[20:23], 0 offset:44 ; 4-byte Folded Reload
	v_mov_b32_e32 v61, v65
	v_mov_b32_e32 v62, v66
	;; [unrolled: 1-line block ×4, first 2 shown]
	s_waitcnt vmcnt(0)
	ds_write2_b64 v125, v[69:70], v[71:72] offset0:50 offset1:51
	buffer_load_dword v65, off, s[20:23], 0 offset:16 ; 4-byte Folded Reload
	buffer_load_dword v66, off, s[20:23], 0 offset:20 ; 4-byte Folded Reload
	;; [unrolled: 1-line block ×4, first 2 shown]
	s_waitcnt vmcnt(0)
	ds_write2_b64 v125, v[65:66], v[67:68] offset0:52 offset1:53
	v_mov_b32_e32 v68, v64
	v_mov_b32_e32 v67, v63
	;; [unrolled: 1-line block ×4, first 2 shown]
	buffer_load_dword v61, off, s[20:23], 0 ; 4-byte Folded Reload
	buffer_load_dword v62, off, s[20:23], 0 offset:4 ; 4-byte Folded Reload
	buffer_load_dword v63, off, s[20:23], 0 offset:8 ; 4-byte Folded Reload
	;; [unrolled: 1-line block ×3, first 2 shown]
	s_waitcnt vmcnt(0)
	ds_write2_b64 v125, v[61:62], v[63:64] offset0:54 offset1:55
	ds_write2_b64 v125, v[57:58], v[59:60] offset0:56 offset1:57
	;; [unrolled: 1-line block ×17, first 2 shown]
	ds_read2_b64 v[97:100], v127 offset1:1
	s_waitcnt lgkmcnt(0)
	v_cmp_neq_f64_e32 vcc, 0, v[97:98]
	v_cmp_neq_f64_e64 s[2:3], 0, v[99:100]
	s_or_b64 s[2:3], vcc, s[2:3]
	s_and_b64 exec, exec, s[2:3]
	s_cbranch_execz .LBB87_26
; %bb.21:
	v_cmp_ngt_f64_e64 s[2:3], |v[97:98]|, |v[99:100]|
                                        ; implicit-def: $vgpr101_vgpr102
	s_and_saveexec_b64 s[6:7], s[2:3]
	s_xor_b64 s[2:3], exec, s[6:7]
                                        ; implicit-def: $vgpr103_vgpr104
	s_cbranch_execz .LBB87_23
; %bb.22:
	v_div_scale_f64 v[101:102], s[6:7], v[99:100], v[99:100], v[97:98]
	v_rcp_f64_e32 v[103:104], v[101:102]
	v_fma_f64 v[105:106], -v[101:102], v[103:104], 1.0
	v_fma_f64 v[103:104], v[103:104], v[105:106], v[103:104]
	v_div_scale_f64 v[105:106], vcc, v[97:98], v[99:100], v[97:98]
	v_fma_f64 v[107:108], -v[101:102], v[103:104], 1.0
	v_fma_f64 v[103:104], v[103:104], v[107:108], v[103:104]
	v_mul_f64 v[107:108], v[105:106], v[103:104]
	v_fma_f64 v[101:102], -v[101:102], v[107:108], v[105:106]
	v_div_fmas_f64 v[101:102], v[101:102], v[103:104], v[107:108]
	v_div_fixup_f64 v[101:102], v[101:102], v[99:100], v[97:98]
	v_fma_f64 v[97:98], v[97:98], v[101:102], v[99:100]
	v_div_scale_f64 v[99:100], s[6:7], v[97:98], v[97:98], 1.0
	v_div_scale_f64 v[107:108], vcc, 1.0, v[97:98], 1.0
	v_rcp_f64_e32 v[103:104], v[99:100]
	v_fma_f64 v[105:106], -v[99:100], v[103:104], 1.0
	v_fma_f64 v[103:104], v[103:104], v[105:106], v[103:104]
	v_fma_f64 v[105:106], -v[99:100], v[103:104], 1.0
	v_fma_f64 v[103:104], v[103:104], v[105:106], v[103:104]
	v_mul_f64 v[105:106], v[107:108], v[103:104]
	v_fma_f64 v[99:100], -v[99:100], v[105:106], v[107:108]
	v_div_fmas_f64 v[99:100], v[99:100], v[103:104], v[105:106]
	v_div_fixup_f64 v[103:104], v[99:100], v[97:98], 1.0
                                        ; implicit-def: $vgpr97_vgpr98
	v_mul_f64 v[101:102], v[101:102], v[103:104]
	v_xor_b32_e32 v104, 0x80000000, v104
.LBB87_23:
	s_andn2_saveexec_b64 s[2:3], s[2:3]
	s_cbranch_execz .LBB87_25
; %bb.24:
	v_div_scale_f64 v[101:102], s[6:7], v[97:98], v[97:98], v[99:100]
	v_rcp_f64_e32 v[103:104], v[101:102]
	v_fma_f64 v[105:106], -v[101:102], v[103:104], 1.0
	v_fma_f64 v[103:104], v[103:104], v[105:106], v[103:104]
	v_div_scale_f64 v[105:106], vcc, v[99:100], v[97:98], v[99:100]
	v_fma_f64 v[107:108], -v[101:102], v[103:104], 1.0
	v_fma_f64 v[103:104], v[103:104], v[107:108], v[103:104]
	v_mul_f64 v[107:108], v[105:106], v[103:104]
	v_fma_f64 v[101:102], -v[101:102], v[107:108], v[105:106]
	v_div_fmas_f64 v[101:102], v[101:102], v[103:104], v[107:108]
	v_div_fixup_f64 v[103:104], v[101:102], v[97:98], v[99:100]
	v_fma_f64 v[97:98], v[99:100], v[103:104], v[97:98]
	v_div_scale_f64 v[99:100], s[6:7], v[97:98], v[97:98], 1.0
	v_div_scale_f64 v[107:108], vcc, 1.0, v[97:98], 1.0
	v_rcp_f64_e32 v[101:102], v[99:100]
	v_fma_f64 v[105:106], -v[99:100], v[101:102], 1.0
	v_fma_f64 v[101:102], v[101:102], v[105:106], v[101:102]
	v_fma_f64 v[105:106], -v[99:100], v[101:102], 1.0
	v_fma_f64 v[101:102], v[101:102], v[105:106], v[101:102]
	v_mul_f64 v[105:106], v[107:108], v[101:102]
	v_fma_f64 v[99:100], -v[99:100], v[105:106], v[107:108]
	v_div_fmas_f64 v[99:100], v[99:100], v[101:102], v[105:106]
	v_div_fixup_f64 v[101:102], v[99:100], v[97:98], 1.0
	v_mul_f64 v[103:104], v[103:104], -v[101:102]
.LBB87_25:
	s_or_b64 exec, exec, s[2:3]
	ds_write2_b64 v127, v[101:102], v[103:104] offset1:1
.LBB87_26:
	s_or_b64 exec, exec, s[4:5]
	s_waitcnt lgkmcnt(0)
	s_barrier
	ds_read2_b64 v[61:64], v127 offset1:1
	v_cmp_lt_u32_e32 vcc, 2, v0
	s_waitcnt lgkmcnt(0)
	buffer_store_dword v61, off, s[20:23], 0 offset:712 ; 4-byte Folded Spill
	s_nop 0
	buffer_store_dword v62, off, s[20:23], 0 offset:716 ; 4-byte Folded Spill
	buffer_store_dword v63, off, s[20:23], 0 offset:720 ; 4-byte Folded Spill
	;; [unrolled: 1-line block ×3, first 2 shown]
	s_and_saveexec_b64 s[2:3], vcc
	s_cbranch_execz .LBB87_28
; %bb.27:
	buffer_load_dword v71, off, s[20:23], 0 offset:320 ; 4-byte Folded Reload
	buffer_load_dword v72, off, s[20:23], 0 offset:324 ; 4-byte Folded Reload
	;; [unrolled: 1-line block ×8, first 2 shown]
	s_waitcnt vmcnt(2)
	v_mul_f64 v[99:100], v[61:62], v[73:74]
	s_waitcnt vmcnt(0)
	v_mul_f64 v[97:98], v[63:64], v[73:74]
	v_fma_f64 v[73:74], v[63:64], v[71:72], v[99:100]
	ds_read2_b64 v[99:102], v125 offset0:6 offset1:7
	v_fma_f64 v[97:98], v[61:62], v[71:72], -v[97:98]
	buffer_load_dword v61, off, s[20:23], 0 offset:304 ; 4-byte Folded Reload
	buffer_load_dword v62, off, s[20:23], 0 offset:308 ; 4-byte Folded Reload
	buffer_load_dword v63, off, s[20:23], 0 offset:312 ; 4-byte Folded Reload
	buffer_load_dword v64, off, s[20:23], 0 offset:316 ; 4-byte Folded Reload
	s_waitcnt lgkmcnt(0)
	v_mul_f64 v[103:104], v[101:102], v[73:74]
	v_fma_f64 v[103:104], v[99:100], v[97:98], -v[103:104]
	v_mul_f64 v[99:100], v[99:100], v[73:74]
	v_fma_f64 v[99:100], v[101:102], v[97:98], v[99:100]
	s_waitcnt vmcnt(2)
	v_add_f64 v[61:62], v[61:62], -v[103:104]
	s_waitcnt vmcnt(0)
	v_add_f64 v[63:64], v[63:64], -v[99:100]
	buffer_store_dword v61, off, s[20:23], 0 offset:304 ; 4-byte Folded Spill
	s_nop 0
	buffer_store_dword v62, off, s[20:23], 0 offset:308 ; 4-byte Folded Spill
	buffer_store_dword v63, off, s[20:23], 0 offset:312 ; 4-byte Folded Spill
	buffer_store_dword v64, off, s[20:23], 0 offset:316 ; 4-byte Folded Spill
	ds_read2_b64 v[99:102], v125 offset0:8 offset1:9
	buffer_load_dword v61, off, s[20:23], 0 offset:288 ; 4-byte Folded Reload
	buffer_load_dword v62, off, s[20:23], 0 offset:292 ; 4-byte Folded Reload
	buffer_load_dword v63, off, s[20:23], 0 offset:296 ; 4-byte Folded Reload
	buffer_load_dword v64, off, s[20:23], 0 offset:300 ; 4-byte Folded Reload
	s_waitcnt lgkmcnt(0)
	v_mul_f64 v[103:104], v[101:102], v[73:74]
	v_fma_f64 v[103:104], v[99:100], v[97:98], -v[103:104]
	v_mul_f64 v[99:100], v[99:100], v[73:74]
	v_fma_f64 v[99:100], v[101:102], v[97:98], v[99:100]
	s_waitcnt vmcnt(2)
	v_add_f64 v[61:62], v[61:62], -v[103:104]
	s_waitcnt vmcnt(0)
	v_add_f64 v[63:64], v[63:64], -v[99:100]
	buffer_store_dword v61, off, s[20:23], 0 offset:288 ; 4-byte Folded Spill
	s_nop 0
	buffer_store_dword v62, off, s[20:23], 0 offset:292 ; 4-byte Folded Spill
	buffer_store_dword v63, off, s[20:23], 0 offset:296 ; 4-byte Folded Spill
	buffer_store_dword v64, off, s[20:23], 0 offset:300 ; 4-byte Folded Spill
	ds_read2_b64 v[99:102], v125 offset0:10 offset1:11
	;; [unrolled: 19-line block ×17, first 2 shown]
	v_mov_b32_e32 v61, v65
	v_mov_b32_e32 v62, v66
	;; [unrolled: 1-line block ×4, first 2 shown]
	s_waitcnt lgkmcnt(0)
	v_mul_f64 v[103:104], v[101:102], v[73:74]
	v_fma_f64 v[103:104], v[99:100], v[97:98], -v[103:104]
	v_mul_f64 v[99:100], v[99:100], v[73:74]
	v_add_f64 v[117:118], v[117:118], -v[103:104]
	v_fma_f64 v[99:100], v[101:102], v[97:98], v[99:100]
	v_add_f64 v[119:120], v[119:120], -v[99:100]
	ds_read2_b64 v[99:102], v125 offset0:42 offset1:43
	s_waitcnt lgkmcnt(0)
	v_mul_f64 v[103:104], v[101:102], v[73:74]
	v_fma_f64 v[103:104], v[99:100], v[97:98], -v[103:104]
	v_mul_f64 v[99:100], v[99:100], v[73:74]
	v_add_f64 v[121:122], v[121:122], -v[103:104]
	v_fma_f64 v[99:100], v[101:102], v[97:98], v[99:100]
	v_add_f64 v[123:124], v[123:124], -v[99:100]
	ds_read2_b64 v[99:102], v125 offset0:44 offset1:45
	;; [unrolled: 8-line block ×5, first 2 shown]
	buffer_load_dword v69, off, s[20:23], 0 offset:32 ; 4-byte Folded Reload
	buffer_load_dword v70, off, s[20:23], 0 offset:36 ; 4-byte Folded Reload
	;; [unrolled: 1-line block ×4, first 2 shown]
	s_waitcnt lgkmcnt(0)
	v_mul_f64 v[103:104], v[101:102], v[73:74]
	v_fma_f64 v[103:104], v[99:100], v[97:98], -v[103:104]
	v_mul_f64 v[99:100], v[99:100], v[73:74]
	v_fma_f64 v[99:100], v[101:102], v[97:98], v[99:100]
	s_waitcnt vmcnt(2)
	v_add_f64 v[69:70], v[69:70], -v[103:104]
	s_waitcnt vmcnt(0)
	v_add_f64 v[71:72], v[71:72], -v[99:100]
	buffer_store_dword v69, off, s[20:23], 0 offset:32 ; 4-byte Folded Spill
	s_nop 0
	buffer_store_dword v70, off, s[20:23], 0 offset:36 ; 4-byte Folded Spill
	buffer_store_dword v71, off, s[20:23], 0 offset:40 ; 4-byte Folded Spill
	;; [unrolled: 1-line block ×3, first 2 shown]
	ds_read2_b64 v[99:102], v125 offset0:52 offset1:53
	buffer_load_dword v65, off, s[20:23], 0 offset:16 ; 4-byte Folded Reload
	buffer_load_dword v66, off, s[20:23], 0 offset:20 ; 4-byte Folded Reload
	;; [unrolled: 1-line block ×4, first 2 shown]
	v_mov_b32_e32 v71, v97
	v_mov_b32_e32 v72, v98
	s_waitcnt lgkmcnt(0)
	v_mul_f64 v[103:104], v[101:102], v[73:74]
	v_fma_f64 v[103:104], v[99:100], v[97:98], -v[103:104]
	v_mul_f64 v[99:100], v[99:100], v[73:74]
	v_fma_f64 v[99:100], v[101:102], v[97:98], v[99:100]
	s_waitcnt vmcnt(2)
	v_add_f64 v[65:66], v[65:66], -v[103:104]
	s_waitcnt vmcnt(0)
	v_add_f64 v[67:68], v[67:68], -v[99:100]
	buffer_store_dword v65, off, s[20:23], 0 offset:16 ; 4-byte Folded Spill
	s_nop 0
	buffer_store_dword v66, off, s[20:23], 0 offset:20 ; 4-byte Folded Spill
	buffer_store_dword v67, off, s[20:23], 0 offset:24 ; 4-byte Folded Spill
	;; [unrolled: 1-line block ×3, first 2 shown]
	v_mov_b32_e32 v68, v64
	v_mov_b32_e32 v67, v63
	;; [unrolled: 1-line block ×4, first 2 shown]
	ds_read2_b64 v[99:102], v125 offset0:54 offset1:55
	buffer_load_dword v61, off, s[20:23], 0 ; 4-byte Folded Reload
	buffer_load_dword v62, off, s[20:23], 0 offset:4 ; 4-byte Folded Reload
	buffer_load_dword v63, off, s[20:23], 0 offset:8 ; 4-byte Folded Reload
	;; [unrolled: 1-line block ×3, first 2 shown]
	s_waitcnt lgkmcnt(0)
	v_mul_f64 v[103:104], v[101:102], v[73:74]
	v_fma_f64 v[103:104], v[99:100], v[97:98], -v[103:104]
	v_mul_f64 v[99:100], v[99:100], v[73:74]
	v_fma_f64 v[99:100], v[101:102], v[97:98], v[99:100]
	s_waitcnt vmcnt(2)
	v_add_f64 v[61:62], v[61:62], -v[103:104]
	s_waitcnt vmcnt(0)
	v_add_f64 v[63:64], v[63:64], -v[99:100]
	buffer_store_dword v61, off, s[20:23], 0 ; 4-byte Folded Spill
	s_nop 0
	buffer_store_dword v62, off, s[20:23], 0 offset:4 ; 4-byte Folded Spill
	buffer_store_dword v63, off, s[20:23], 0 offset:8 ; 4-byte Folded Spill
	buffer_store_dword v64, off, s[20:23], 0 offset:12 ; 4-byte Folded Spill
	ds_read2_b64 v[99:102], v125 offset0:56 offset1:57
	s_waitcnt lgkmcnt(0)
	v_mul_f64 v[103:104], v[101:102], v[73:74]
	v_fma_f64 v[103:104], v[99:100], v[97:98], -v[103:104]
	v_mul_f64 v[99:100], v[99:100], v[73:74]
	v_add_f64 v[57:58], v[57:58], -v[103:104]
	v_fma_f64 v[99:100], v[101:102], v[97:98], v[99:100]
	v_add_f64 v[59:60], v[59:60], -v[99:100]
	ds_read2_b64 v[99:102], v125 offset0:58 offset1:59
	s_waitcnt lgkmcnt(0)
	v_mul_f64 v[103:104], v[101:102], v[73:74]
	v_fma_f64 v[103:104], v[99:100], v[97:98], -v[103:104]
	v_mul_f64 v[99:100], v[99:100], v[73:74]
	v_add_f64 v[53:54], v[53:54], -v[103:104]
	v_fma_f64 v[99:100], v[101:102], v[97:98], v[99:100]
	v_add_f64 v[55:56], v[55:56], -v[99:100]
	;; [unrolled: 8-line block ×15, first 2 shown]
	ds_read2_b64 v[99:102], v125 offset0:86 offset1:87
	s_waitcnt lgkmcnt(0)
	v_mul_f64 v[103:104], v[101:102], v[73:74]
	v_fma_f64 v[103:104], v[99:100], v[97:98], -v[103:104]
	v_mul_f64 v[99:100], v[99:100], v[73:74]
	buffer_store_dword v71, off, s[20:23], 0 offset:320 ; 4-byte Folded Spill
	s_nop 0
	buffer_store_dword v72, off, s[20:23], 0 offset:324 ; 4-byte Folded Spill
	buffer_store_dword v73, off, s[20:23], 0 offset:328 ; 4-byte Folded Spill
	;; [unrolled: 1-line block ×3, first 2 shown]
	v_add_f64 v[65:66], v[65:66], -v[103:104]
	v_fma_f64 v[99:100], v[101:102], v[97:98], v[99:100]
	v_add_f64 v[67:68], v[67:68], -v[99:100]
.LBB87_28:
	s_or_b64 exec, exec, s[2:3]
	v_cmp_eq_u32_e32 vcc, 3, v0
	s_waitcnt vmcnt(0)
	s_barrier
	s_and_saveexec_b64 s[4:5], vcc
	s_cbranch_execz .LBB87_35
; %bb.29:
	buffer_load_dword v61, off, s[20:23], 0 offset:304 ; 4-byte Folded Reload
	buffer_load_dword v62, off, s[20:23], 0 offset:308 ; 4-byte Folded Reload
	;; [unrolled: 1-line block ×4, first 2 shown]
	s_waitcnt vmcnt(0)
	ds_write2_b64 v127, v[61:62], v[63:64] offset1:1
	buffer_load_dword v61, off, s[20:23], 0 offset:288 ; 4-byte Folded Reload
	buffer_load_dword v62, off, s[20:23], 0 offset:292 ; 4-byte Folded Reload
	buffer_load_dword v63, off, s[20:23], 0 offset:296 ; 4-byte Folded Reload
	buffer_load_dword v64, off, s[20:23], 0 offset:300 ; 4-byte Folded Reload
	s_waitcnt vmcnt(0)
	ds_write2_b64 v125, v[61:62], v[63:64] offset0:8 offset1:9
	buffer_load_dword v61, off, s[20:23], 0 offset:272 ; 4-byte Folded Reload
	buffer_load_dword v62, off, s[20:23], 0 offset:276 ; 4-byte Folded Reload
	buffer_load_dword v63, off, s[20:23], 0 offset:280 ; 4-byte Folded Reload
	buffer_load_dword v64, off, s[20:23], 0 offset:284 ; 4-byte Folded Reload
	s_waitcnt vmcnt(0)
	ds_write2_b64 v125, v[61:62], v[63:64] offset0:10 offset1:11
	;; [unrolled: 6-line block ×16, first 2 shown]
	ds_write2_b64 v125, v[117:118], v[119:120] offset0:40 offset1:41
	ds_write2_b64 v125, v[121:122], v[123:124] offset0:42 offset1:43
	;; [unrolled: 1-line block ×5, first 2 shown]
	buffer_load_dword v69, off, s[20:23], 0 offset:32 ; 4-byte Folded Reload
	buffer_load_dword v70, off, s[20:23], 0 offset:36 ; 4-byte Folded Reload
	;; [unrolled: 1-line block ×4, first 2 shown]
	v_mov_b32_e32 v61, v65
	v_mov_b32_e32 v62, v66
	v_mov_b32_e32 v63, v67
	v_mov_b32_e32 v64, v68
	s_waitcnt vmcnt(0)
	ds_write2_b64 v125, v[69:70], v[71:72] offset0:50 offset1:51
	buffer_load_dword v65, off, s[20:23], 0 offset:16 ; 4-byte Folded Reload
	buffer_load_dword v66, off, s[20:23], 0 offset:20 ; 4-byte Folded Reload
	;; [unrolled: 1-line block ×4, first 2 shown]
	s_waitcnt vmcnt(0)
	ds_write2_b64 v125, v[65:66], v[67:68] offset0:52 offset1:53
	v_mov_b32_e32 v68, v64
	v_mov_b32_e32 v67, v63
	;; [unrolled: 1-line block ×4, first 2 shown]
	buffer_load_dword v61, off, s[20:23], 0 ; 4-byte Folded Reload
	buffer_load_dword v62, off, s[20:23], 0 offset:4 ; 4-byte Folded Reload
	buffer_load_dword v63, off, s[20:23], 0 offset:8 ; 4-byte Folded Reload
	;; [unrolled: 1-line block ×3, first 2 shown]
	s_waitcnt vmcnt(0)
	ds_write2_b64 v125, v[61:62], v[63:64] offset0:54 offset1:55
	ds_write2_b64 v125, v[57:58], v[59:60] offset0:56 offset1:57
	;; [unrolled: 1-line block ×17, first 2 shown]
	ds_read2_b64 v[97:100], v127 offset1:1
	s_waitcnt lgkmcnt(0)
	v_cmp_neq_f64_e32 vcc, 0, v[97:98]
	v_cmp_neq_f64_e64 s[2:3], 0, v[99:100]
	s_or_b64 s[2:3], vcc, s[2:3]
	s_and_b64 exec, exec, s[2:3]
	s_cbranch_execz .LBB87_35
; %bb.30:
	v_cmp_ngt_f64_e64 s[2:3], |v[97:98]|, |v[99:100]|
                                        ; implicit-def: $vgpr101_vgpr102
	s_and_saveexec_b64 s[6:7], s[2:3]
	s_xor_b64 s[2:3], exec, s[6:7]
                                        ; implicit-def: $vgpr103_vgpr104
	s_cbranch_execz .LBB87_32
; %bb.31:
	v_div_scale_f64 v[101:102], s[6:7], v[99:100], v[99:100], v[97:98]
	v_rcp_f64_e32 v[103:104], v[101:102]
	v_fma_f64 v[105:106], -v[101:102], v[103:104], 1.0
	v_fma_f64 v[103:104], v[103:104], v[105:106], v[103:104]
	v_div_scale_f64 v[105:106], vcc, v[97:98], v[99:100], v[97:98]
	v_fma_f64 v[107:108], -v[101:102], v[103:104], 1.0
	v_fma_f64 v[103:104], v[103:104], v[107:108], v[103:104]
	v_mul_f64 v[107:108], v[105:106], v[103:104]
	v_fma_f64 v[101:102], -v[101:102], v[107:108], v[105:106]
	v_div_fmas_f64 v[101:102], v[101:102], v[103:104], v[107:108]
	v_div_fixup_f64 v[101:102], v[101:102], v[99:100], v[97:98]
	v_fma_f64 v[97:98], v[97:98], v[101:102], v[99:100]
	v_div_scale_f64 v[99:100], s[6:7], v[97:98], v[97:98], 1.0
	v_div_scale_f64 v[107:108], vcc, 1.0, v[97:98], 1.0
	v_rcp_f64_e32 v[103:104], v[99:100]
	v_fma_f64 v[105:106], -v[99:100], v[103:104], 1.0
	v_fma_f64 v[103:104], v[103:104], v[105:106], v[103:104]
	v_fma_f64 v[105:106], -v[99:100], v[103:104], 1.0
	v_fma_f64 v[103:104], v[103:104], v[105:106], v[103:104]
	v_mul_f64 v[105:106], v[107:108], v[103:104]
	v_fma_f64 v[99:100], -v[99:100], v[105:106], v[107:108]
	v_div_fmas_f64 v[99:100], v[99:100], v[103:104], v[105:106]
	v_div_fixup_f64 v[103:104], v[99:100], v[97:98], 1.0
                                        ; implicit-def: $vgpr97_vgpr98
	v_mul_f64 v[101:102], v[101:102], v[103:104]
	v_xor_b32_e32 v104, 0x80000000, v104
.LBB87_32:
	s_andn2_saveexec_b64 s[2:3], s[2:3]
	s_cbranch_execz .LBB87_34
; %bb.33:
	v_div_scale_f64 v[101:102], s[6:7], v[97:98], v[97:98], v[99:100]
	v_rcp_f64_e32 v[103:104], v[101:102]
	v_fma_f64 v[105:106], -v[101:102], v[103:104], 1.0
	v_fma_f64 v[103:104], v[103:104], v[105:106], v[103:104]
	v_div_scale_f64 v[105:106], vcc, v[99:100], v[97:98], v[99:100]
	v_fma_f64 v[107:108], -v[101:102], v[103:104], 1.0
	v_fma_f64 v[103:104], v[103:104], v[107:108], v[103:104]
	v_mul_f64 v[107:108], v[105:106], v[103:104]
	v_fma_f64 v[101:102], -v[101:102], v[107:108], v[105:106]
	v_div_fmas_f64 v[101:102], v[101:102], v[103:104], v[107:108]
	v_div_fixup_f64 v[103:104], v[101:102], v[97:98], v[99:100]
	v_fma_f64 v[97:98], v[99:100], v[103:104], v[97:98]
	v_div_scale_f64 v[99:100], s[6:7], v[97:98], v[97:98], 1.0
	v_div_scale_f64 v[107:108], vcc, 1.0, v[97:98], 1.0
	v_rcp_f64_e32 v[101:102], v[99:100]
	v_fma_f64 v[105:106], -v[99:100], v[101:102], 1.0
	v_fma_f64 v[101:102], v[101:102], v[105:106], v[101:102]
	v_fma_f64 v[105:106], -v[99:100], v[101:102], 1.0
	v_fma_f64 v[101:102], v[101:102], v[105:106], v[101:102]
	v_mul_f64 v[105:106], v[107:108], v[101:102]
	v_fma_f64 v[99:100], -v[99:100], v[105:106], v[107:108]
	v_div_fmas_f64 v[99:100], v[99:100], v[101:102], v[105:106]
	v_div_fixup_f64 v[101:102], v[99:100], v[97:98], 1.0
	v_mul_f64 v[103:104], v[103:104], -v[101:102]
.LBB87_34:
	s_or_b64 exec, exec, s[2:3]
	ds_write2_b64 v127, v[101:102], v[103:104] offset1:1
.LBB87_35:
	s_or_b64 exec, exec, s[4:5]
	s_waitcnt lgkmcnt(0)
	s_barrier
	ds_read2_b64 v[61:64], v127 offset1:1
	v_cmp_lt_u32_e32 vcc, 3, v0
	s_waitcnt lgkmcnt(0)
	buffer_store_dword v61, off, s[20:23], 0 offset:728 ; 4-byte Folded Spill
	s_nop 0
	buffer_store_dword v62, off, s[20:23], 0 offset:732 ; 4-byte Folded Spill
	buffer_store_dword v63, off, s[20:23], 0 offset:736 ; 4-byte Folded Spill
	;; [unrolled: 1-line block ×3, first 2 shown]
	s_and_saveexec_b64 s[2:3], vcc
	s_cbranch_execz .LBB87_37
; %bb.36:
	buffer_load_dword v71, off, s[20:23], 0 offset:304 ; 4-byte Folded Reload
	buffer_load_dword v72, off, s[20:23], 0 offset:308 ; 4-byte Folded Reload
	;; [unrolled: 1-line block ×8, first 2 shown]
	s_waitcnt vmcnt(2)
	v_mul_f64 v[99:100], v[61:62], v[73:74]
	s_waitcnt vmcnt(0)
	v_mul_f64 v[97:98], v[63:64], v[73:74]
	v_fma_f64 v[73:74], v[63:64], v[71:72], v[99:100]
	ds_read2_b64 v[99:102], v125 offset0:8 offset1:9
	v_fma_f64 v[97:98], v[61:62], v[71:72], -v[97:98]
	buffer_load_dword v61, off, s[20:23], 0 offset:288 ; 4-byte Folded Reload
	buffer_load_dword v62, off, s[20:23], 0 offset:292 ; 4-byte Folded Reload
	buffer_load_dword v63, off, s[20:23], 0 offset:296 ; 4-byte Folded Reload
	buffer_load_dword v64, off, s[20:23], 0 offset:300 ; 4-byte Folded Reload
	s_waitcnt lgkmcnt(0)
	v_mul_f64 v[103:104], v[101:102], v[73:74]
	v_fma_f64 v[103:104], v[99:100], v[97:98], -v[103:104]
	v_mul_f64 v[99:100], v[99:100], v[73:74]
	v_fma_f64 v[99:100], v[101:102], v[97:98], v[99:100]
	s_waitcnt vmcnt(2)
	v_add_f64 v[61:62], v[61:62], -v[103:104]
	s_waitcnt vmcnt(0)
	v_add_f64 v[63:64], v[63:64], -v[99:100]
	buffer_store_dword v61, off, s[20:23], 0 offset:288 ; 4-byte Folded Spill
	s_nop 0
	buffer_store_dword v62, off, s[20:23], 0 offset:292 ; 4-byte Folded Spill
	buffer_store_dword v63, off, s[20:23], 0 offset:296 ; 4-byte Folded Spill
	buffer_store_dword v64, off, s[20:23], 0 offset:300 ; 4-byte Folded Spill
	ds_read2_b64 v[99:102], v125 offset0:10 offset1:11
	buffer_load_dword v61, off, s[20:23], 0 offset:272 ; 4-byte Folded Reload
	buffer_load_dword v62, off, s[20:23], 0 offset:276 ; 4-byte Folded Reload
	buffer_load_dword v63, off, s[20:23], 0 offset:280 ; 4-byte Folded Reload
	buffer_load_dword v64, off, s[20:23], 0 offset:284 ; 4-byte Folded Reload
	s_waitcnt lgkmcnt(0)
	v_mul_f64 v[103:104], v[101:102], v[73:74]
	v_fma_f64 v[103:104], v[99:100], v[97:98], -v[103:104]
	v_mul_f64 v[99:100], v[99:100], v[73:74]
	v_fma_f64 v[99:100], v[101:102], v[97:98], v[99:100]
	s_waitcnt vmcnt(2)
	v_add_f64 v[61:62], v[61:62], -v[103:104]
	s_waitcnt vmcnt(0)
	v_add_f64 v[63:64], v[63:64], -v[99:100]
	buffer_store_dword v61, off, s[20:23], 0 offset:272 ; 4-byte Folded Spill
	s_nop 0
	buffer_store_dword v62, off, s[20:23], 0 offset:276 ; 4-byte Folded Spill
	buffer_store_dword v63, off, s[20:23], 0 offset:280 ; 4-byte Folded Spill
	buffer_store_dword v64, off, s[20:23], 0 offset:284 ; 4-byte Folded Spill
	ds_read2_b64 v[99:102], v125 offset0:12 offset1:13
	;; [unrolled: 19-line block ×16, first 2 shown]
	v_mov_b32_e32 v61, v65
	v_mov_b32_e32 v62, v66
	;; [unrolled: 1-line block ×4, first 2 shown]
	s_waitcnt lgkmcnt(0)
	v_mul_f64 v[103:104], v[101:102], v[73:74]
	v_fma_f64 v[103:104], v[99:100], v[97:98], -v[103:104]
	v_mul_f64 v[99:100], v[99:100], v[73:74]
	v_add_f64 v[117:118], v[117:118], -v[103:104]
	v_fma_f64 v[99:100], v[101:102], v[97:98], v[99:100]
	v_add_f64 v[119:120], v[119:120], -v[99:100]
	ds_read2_b64 v[99:102], v125 offset0:42 offset1:43
	s_waitcnt lgkmcnt(0)
	v_mul_f64 v[103:104], v[101:102], v[73:74]
	v_fma_f64 v[103:104], v[99:100], v[97:98], -v[103:104]
	v_mul_f64 v[99:100], v[99:100], v[73:74]
	v_add_f64 v[121:122], v[121:122], -v[103:104]
	v_fma_f64 v[99:100], v[101:102], v[97:98], v[99:100]
	v_add_f64 v[123:124], v[123:124], -v[99:100]
	ds_read2_b64 v[99:102], v125 offset0:44 offset1:45
	;; [unrolled: 8-line block ×5, first 2 shown]
	buffer_load_dword v69, off, s[20:23], 0 offset:32 ; 4-byte Folded Reload
	buffer_load_dword v70, off, s[20:23], 0 offset:36 ; 4-byte Folded Reload
	;; [unrolled: 1-line block ×4, first 2 shown]
	s_waitcnt lgkmcnt(0)
	v_mul_f64 v[103:104], v[101:102], v[73:74]
	v_fma_f64 v[103:104], v[99:100], v[97:98], -v[103:104]
	v_mul_f64 v[99:100], v[99:100], v[73:74]
	v_fma_f64 v[99:100], v[101:102], v[97:98], v[99:100]
	s_waitcnt vmcnt(2)
	v_add_f64 v[69:70], v[69:70], -v[103:104]
	s_waitcnt vmcnt(0)
	v_add_f64 v[71:72], v[71:72], -v[99:100]
	buffer_store_dword v69, off, s[20:23], 0 offset:32 ; 4-byte Folded Spill
	s_nop 0
	buffer_store_dword v70, off, s[20:23], 0 offset:36 ; 4-byte Folded Spill
	buffer_store_dword v71, off, s[20:23], 0 offset:40 ; 4-byte Folded Spill
	;; [unrolled: 1-line block ×3, first 2 shown]
	ds_read2_b64 v[99:102], v125 offset0:52 offset1:53
	buffer_load_dword v65, off, s[20:23], 0 offset:16 ; 4-byte Folded Reload
	buffer_load_dword v66, off, s[20:23], 0 offset:20 ; 4-byte Folded Reload
	;; [unrolled: 1-line block ×4, first 2 shown]
	v_mov_b32_e32 v71, v97
	v_mov_b32_e32 v72, v98
	s_waitcnt lgkmcnt(0)
	v_mul_f64 v[103:104], v[101:102], v[73:74]
	v_fma_f64 v[103:104], v[99:100], v[97:98], -v[103:104]
	v_mul_f64 v[99:100], v[99:100], v[73:74]
	v_fma_f64 v[99:100], v[101:102], v[97:98], v[99:100]
	s_waitcnt vmcnt(2)
	v_add_f64 v[65:66], v[65:66], -v[103:104]
	s_waitcnt vmcnt(0)
	v_add_f64 v[67:68], v[67:68], -v[99:100]
	buffer_store_dword v65, off, s[20:23], 0 offset:16 ; 4-byte Folded Spill
	s_nop 0
	buffer_store_dword v66, off, s[20:23], 0 offset:20 ; 4-byte Folded Spill
	buffer_store_dword v67, off, s[20:23], 0 offset:24 ; 4-byte Folded Spill
	;; [unrolled: 1-line block ×3, first 2 shown]
	v_mov_b32_e32 v68, v64
	v_mov_b32_e32 v67, v63
	;; [unrolled: 1-line block ×4, first 2 shown]
	ds_read2_b64 v[99:102], v125 offset0:54 offset1:55
	buffer_load_dword v61, off, s[20:23], 0 ; 4-byte Folded Reload
	buffer_load_dword v62, off, s[20:23], 0 offset:4 ; 4-byte Folded Reload
	buffer_load_dword v63, off, s[20:23], 0 offset:8 ; 4-byte Folded Reload
	buffer_load_dword v64, off, s[20:23], 0 offset:12 ; 4-byte Folded Reload
	s_waitcnt lgkmcnt(0)
	v_mul_f64 v[103:104], v[101:102], v[73:74]
	v_fma_f64 v[103:104], v[99:100], v[97:98], -v[103:104]
	v_mul_f64 v[99:100], v[99:100], v[73:74]
	v_fma_f64 v[99:100], v[101:102], v[97:98], v[99:100]
	s_waitcnt vmcnt(2)
	v_add_f64 v[61:62], v[61:62], -v[103:104]
	s_waitcnt vmcnt(0)
	v_add_f64 v[63:64], v[63:64], -v[99:100]
	buffer_store_dword v61, off, s[20:23], 0 ; 4-byte Folded Spill
	s_nop 0
	buffer_store_dword v62, off, s[20:23], 0 offset:4 ; 4-byte Folded Spill
	buffer_store_dword v63, off, s[20:23], 0 offset:8 ; 4-byte Folded Spill
	;; [unrolled: 1-line block ×3, first 2 shown]
	ds_read2_b64 v[99:102], v125 offset0:56 offset1:57
	s_waitcnt lgkmcnt(0)
	v_mul_f64 v[103:104], v[101:102], v[73:74]
	v_fma_f64 v[103:104], v[99:100], v[97:98], -v[103:104]
	v_mul_f64 v[99:100], v[99:100], v[73:74]
	v_add_f64 v[57:58], v[57:58], -v[103:104]
	v_fma_f64 v[99:100], v[101:102], v[97:98], v[99:100]
	v_add_f64 v[59:60], v[59:60], -v[99:100]
	ds_read2_b64 v[99:102], v125 offset0:58 offset1:59
	s_waitcnt lgkmcnt(0)
	v_mul_f64 v[103:104], v[101:102], v[73:74]
	v_fma_f64 v[103:104], v[99:100], v[97:98], -v[103:104]
	v_mul_f64 v[99:100], v[99:100], v[73:74]
	v_add_f64 v[53:54], v[53:54], -v[103:104]
	v_fma_f64 v[99:100], v[101:102], v[97:98], v[99:100]
	v_add_f64 v[55:56], v[55:56], -v[99:100]
	;; [unrolled: 8-line block ×15, first 2 shown]
	ds_read2_b64 v[99:102], v125 offset0:86 offset1:87
	s_waitcnt lgkmcnt(0)
	v_mul_f64 v[103:104], v[101:102], v[73:74]
	v_fma_f64 v[103:104], v[99:100], v[97:98], -v[103:104]
	v_mul_f64 v[99:100], v[99:100], v[73:74]
	buffer_store_dword v71, off, s[20:23], 0 offset:304 ; 4-byte Folded Spill
	s_nop 0
	buffer_store_dword v72, off, s[20:23], 0 offset:308 ; 4-byte Folded Spill
	buffer_store_dword v73, off, s[20:23], 0 offset:312 ; 4-byte Folded Spill
	;; [unrolled: 1-line block ×3, first 2 shown]
	v_add_f64 v[65:66], v[65:66], -v[103:104]
	v_fma_f64 v[99:100], v[101:102], v[97:98], v[99:100]
	v_add_f64 v[67:68], v[67:68], -v[99:100]
.LBB87_37:
	s_or_b64 exec, exec, s[2:3]
	v_cmp_eq_u32_e32 vcc, 4, v0
	s_waitcnt vmcnt(0)
	s_barrier
	s_and_saveexec_b64 s[4:5], vcc
	s_cbranch_execz .LBB87_44
; %bb.38:
	buffer_load_dword v61, off, s[20:23], 0 offset:288 ; 4-byte Folded Reload
	buffer_load_dword v62, off, s[20:23], 0 offset:292 ; 4-byte Folded Reload
	;; [unrolled: 1-line block ×4, first 2 shown]
	s_waitcnt vmcnt(0)
	ds_write2_b64 v127, v[61:62], v[63:64] offset1:1
	buffer_load_dword v61, off, s[20:23], 0 offset:272 ; 4-byte Folded Reload
	buffer_load_dword v62, off, s[20:23], 0 offset:276 ; 4-byte Folded Reload
	buffer_load_dword v63, off, s[20:23], 0 offset:280 ; 4-byte Folded Reload
	buffer_load_dword v64, off, s[20:23], 0 offset:284 ; 4-byte Folded Reload
	s_waitcnt vmcnt(0)
	ds_write2_b64 v125, v[61:62], v[63:64] offset0:10 offset1:11
	buffer_load_dword v61, off, s[20:23], 0 offset:256 ; 4-byte Folded Reload
	buffer_load_dword v62, off, s[20:23], 0 offset:260 ; 4-byte Folded Reload
	buffer_load_dword v63, off, s[20:23], 0 offset:264 ; 4-byte Folded Reload
	buffer_load_dword v64, off, s[20:23], 0 offset:268 ; 4-byte Folded Reload
	s_waitcnt vmcnt(0)
	ds_write2_b64 v125, v[61:62], v[63:64] offset0:12 offset1:13
	;; [unrolled: 6-line block ×15, first 2 shown]
	ds_write2_b64 v125, v[117:118], v[119:120] offset0:40 offset1:41
	ds_write2_b64 v125, v[121:122], v[123:124] offset0:42 offset1:43
	;; [unrolled: 1-line block ×5, first 2 shown]
	buffer_load_dword v69, off, s[20:23], 0 offset:32 ; 4-byte Folded Reload
	buffer_load_dword v70, off, s[20:23], 0 offset:36 ; 4-byte Folded Reload
	;; [unrolled: 1-line block ×4, first 2 shown]
	v_mov_b32_e32 v61, v65
	v_mov_b32_e32 v62, v66
	;; [unrolled: 1-line block ×4, first 2 shown]
	s_waitcnt vmcnt(0)
	ds_write2_b64 v125, v[69:70], v[71:72] offset0:50 offset1:51
	buffer_load_dword v65, off, s[20:23], 0 offset:16 ; 4-byte Folded Reload
	buffer_load_dword v66, off, s[20:23], 0 offset:20 ; 4-byte Folded Reload
	;; [unrolled: 1-line block ×4, first 2 shown]
	s_waitcnt vmcnt(0)
	ds_write2_b64 v125, v[65:66], v[67:68] offset0:52 offset1:53
	v_mov_b32_e32 v68, v64
	v_mov_b32_e32 v67, v63
	;; [unrolled: 1-line block ×4, first 2 shown]
	buffer_load_dword v61, off, s[20:23], 0 ; 4-byte Folded Reload
	buffer_load_dword v62, off, s[20:23], 0 offset:4 ; 4-byte Folded Reload
	buffer_load_dword v63, off, s[20:23], 0 offset:8 ; 4-byte Folded Reload
	;; [unrolled: 1-line block ×3, first 2 shown]
	s_waitcnt vmcnt(0)
	ds_write2_b64 v125, v[61:62], v[63:64] offset0:54 offset1:55
	ds_write2_b64 v125, v[57:58], v[59:60] offset0:56 offset1:57
	ds_write2_b64 v125, v[53:54], v[55:56] offset0:58 offset1:59
	ds_write2_b64 v125, v[49:50], v[51:52] offset0:60 offset1:61
	ds_write2_b64 v125, v[45:46], v[47:48] offset0:62 offset1:63
	ds_write2_b64 v125, v[41:42], v[43:44] offset0:64 offset1:65
	ds_write2_b64 v125, v[37:38], v[39:40] offset0:66 offset1:67
	ds_write2_b64 v125, v[33:34], v[35:36] offset0:68 offset1:69
	ds_write2_b64 v125, v[29:30], v[31:32] offset0:70 offset1:71
	ds_write2_b64 v125, v[25:26], v[27:28] offset0:72 offset1:73
	ds_write2_b64 v125, v[21:22], v[23:24] offset0:74 offset1:75
	ds_write2_b64 v125, v[17:18], v[19:20] offset0:76 offset1:77
	ds_write2_b64 v125, v[13:14], v[15:16] offset0:78 offset1:79
	ds_write2_b64 v125, v[9:10], v[11:12] offset0:80 offset1:81
	ds_write2_b64 v125, v[5:6], v[7:8] offset0:82 offset1:83
	ds_write2_b64 v125, v[1:2], v[3:4] offset0:84 offset1:85
	ds_write2_b64 v125, v[65:66], v[67:68] offset0:86 offset1:87
	ds_read2_b64 v[97:100], v127 offset1:1
	s_waitcnt lgkmcnt(0)
	v_cmp_neq_f64_e32 vcc, 0, v[97:98]
	v_cmp_neq_f64_e64 s[2:3], 0, v[99:100]
	s_or_b64 s[2:3], vcc, s[2:3]
	s_and_b64 exec, exec, s[2:3]
	s_cbranch_execz .LBB87_44
; %bb.39:
	v_cmp_ngt_f64_e64 s[2:3], |v[97:98]|, |v[99:100]|
                                        ; implicit-def: $vgpr101_vgpr102
	s_and_saveexec_b64 s[6:7], s[2:3]
	s_xor_b64 s[2:3], exec, s[6:7]
                                        ; implicit-def: $vgpr103_vgpr104
	s_cbranch_execz .LBB87_41
; %bb.40:
	v_div_scale_f64 v[101:102], s[6:7], v[99:100], v[99:100], v[97:98]
	v_rcp_f64_e32 v[103:104], v[101:102]
	v_fma_f64 v[105:106], -v[101:102], v[103:104], 1.0
	v_fma_f64 v[103:104], v[103:104], v[105:106], v[103:104]
	v_div_scale_f64 v[105:106], vcc, v[97:98], v[99:100], v[97:98]
	v_fma_f64 v[107:108], -v[101:102], v[103:104], 1.0
	v_fma_f64 v[103:104], v[103:104], v[107:108], v[103:104]
	v_mul_f64 v[107:108], v[105:106], v[103:104]
	v_fma_f64 v[101:102], -v[101:102], v[107:108], v[105:106]
	v_div_fmas_f64 v[101:102], v[101:102], v[103:104], v[107:108]
	v_div_fixup_f64 v[101:102], v[101:102], v[99:100], v[97:98]
	v_fma_f64 v[97:98], v[97:98], v[101:102], v[99:100]
	v_div_scale_f64 v[99:100], s[6:7], v[97:98], v[97:98], 1.0
	v_div_scale_f64 v[107:108], vcc, 1.0, v[97:98], 1.0
	v_rcp_f64_e32 v[103:104], v[99:100]
	v_fma_f64 v[105:106], -v[99:100], v[103:104], 1.0
	v_fma_f64 v[103:104], v[103:104], v[105:106], v[103:104]
	v_fma_f64 v[105:106], -v[99:100], v[103:104], 1.0
	v_fma_f64 v[103:104], v[103:104], v[105:106], v[103:104]
	v_mul_f64 v[105:106], v[107:108], v[103:104]
	v_fma_f64 v[99:100], -v[99:100], v[105:106], v[107:108]
	v_div_fmas_f64 v[99:100], v[99:100], v[103:104], v[105:106]
	v_div_fixup_f64 v[103:104], v[99:100], v[97:98], 1.0
                                        ; implicit-def: $vgpr97_vgpr98
	v_mul_f64 v[101:102], v[101:102], v[103:104]
	v_xor_b32_e32 v104, 0x80000000, v104
.LBB87_41:
	s_andn2_saveexec_b64 s[2:3], s[2:3]
	s_cbranch_execz .LBB87_43
; %bb.42:
	v_div_scale_f64 v[101:102], s[6:7], v[97:98], v[97:98], v[99:100]
	v_rcp_f64_e32 v[103:104], v[101:102]
	v_fma_f64 v[105:106], -v[101:102], v[103:104], 1.0
	v_fma_f64 v[103:104], v[103:104], v[105:106], v[103:104]
	v_div_scale_f64 v[105:106], vcc, v[99:100], v[97:98], v[99:100]
	v_fma_f64 v[107:108], -v[101:102], v[103:104], 1.0
	v_fma_f64 v[103:104], v[103:104], v[107:108], v[103:104]
	v_mul_f64 v[107:108], v[105:106], v[103:104]
	v_fma_f64 v[101:102], -v[101:102], v[107:108], v[105:106]
	v_div_fmas_f64 v[101:102], v[101:102], v[103:104], v[107:108]
	v_div_fixup_f64 v[103:104], v[101:102], v[97:98], v[99:100]
	v_fma_f64 v[97:98], v[99:100], v[103:104], v[97:98]
	v_div_scale_f64 v[99:100], s[6:7], v[97:98], v[97:98], 1.0
	v_div_scale_f64 v[107:108], vcc, 1.0, v[97:98], 1.0
	v_rcp_f64_e32 v[101:102], v[99:100]
	v_fma_f64 v[105:106], -v[99:100], v[101:102], 1.0
	v_fma_f64 v[101:102], v[101:102], v[105:106], v[101:102]
	v_fma_f64 v[105:106], -v[99:100], v[101:102], 1.0
	v_fma_f64 v[101:102], v[101:102], v[105:106], v[101:102]
	v_mul_f64 v[105:106], v[107:108], v[101:102]
	v_fma_f64 v[99:100], -v[99:100], v[105:106], v[107:108]
	v_div_fmas_f64 v[99:100], v[99:100], v[101:102], v[105:106]
	v_div_fixup_f64 v[101:102], v[99:100], v[97:98], 1.0
	v_mul_f64 v[103:104], v[103:104], -v[101:102]
.LBB87_43:
	s_or_b64 exec, exec, s[2:3]
	ds_write2_b64 v127, v[101:102], v[103:104] offset1:1
.LBB87_44:
	s_or_b64 exec, exec, s[4:5]
	s_waitcnt lgkmcnt(0)
	s_barrier
	ds_read2_b64 v[61:64], v127 offset1:1
	v_cmp_lt_u32_e32 vcc, 4, v0
	s_waitcnt lgkmcnt(0)
	buffer_store_dword v61, off, s[20:23], 0 offset:744 ; 4-byte Folded Spill
	s_nop 0
	buffer_store_dword v62, off, s[20:23], 0 offset:748 ; 4-byte Folded Spill
	buffer_store_dword v63, off, s[20:23], 0 offset:752 ; 4-byte Folded Spill
	;; [unrolled: 1-line block ×3, first 2 shown]
	s_and_saveexec_b64 s[2:3], vcc
	s_cbranch_execz .LBB87_46
; %bb.45:
	buffer_load_dword v71, off, s[20:23], 0 offset:288 ; 4-byte Folded Reload
	buffer_load_dword v72, off, s[20:23], 0 offset:292 ; 4-byte Folded Reload
	;; [unrolled: 1-line block ×8, first 2 shown]
	s_waitcnt vmcnt(2)
	v_mul_f64 v[99:100], v[61:62], v[73:74]
	s_waitcnt vmcnt(0)
	v_mul_f64 v[97:98], v[63:64], v[73:74]
	v_fma_f64 v[73:74], v[63:64], v[71:72], v[99:100]
	ds_read2_b64 v[99:102], v125 offset0:10 offset1:11
	v_fma_f64 v[97:98], v[61:62], v[71:72], -v[97:98]
	buffer_load_dword v61, off, s[20:23], 0 offset:272 ; 4-byte Folded Reload
	buffer_load_dword v62, off, s[20:23], 0 offset:276 ; 4-byte Folded Reload
	buffer_load_dword v63, off, s[20:23], 0 offset:280 ; 4-byte Folded Reload
	buffer_load_dword v64, off, s[20:23], 0 offset:284 ; 4-byte Folded Reload
	s_waitcnt lgkmcnt(0)
	v_mul_f64 v[103:104], v[101:102], v[73:74]
	v_fma_f64 v[103:104], v[99:100], v[97:98], -v[103:104]
	v_mul_f64 v[99:100], v[99:100], v[73:74]
	v_fma_f64 v[99:100], v[101:102], v[97:98], v[99:100]
	s_waitcnt vmcnt(2)
	v_add_f64 v[61:62], v[61:62], -v[103:104]
	s_waitcnt vmcnt(0)
	v_add_f64 v[63:64], v[63:64], -v[99:100]
	buffer_store_dword v61, off, s[20:23], 0 offset:272 ; 4-byte Folded Spill
	s_nop 0
	buffer_store_dword v62, off, s[20:23], 0 offset:276 ; 4-byte Folded Spill
	buffer_store_dword v63, off, s[20:23], 0 offset:280 ; 4-byte Folded Spill
	buffer_store_dword v64, off, s[20:23], 0 offset:284 ; 4-byte Folded Spill
	ds_read2_b64 v[99:102], v125 offset0:12 offset1:13
	buffer_load_dword v61, off, s[20:23], 0 offset:256 ; 4-byte Folded Reload
	buffer_load_dword v62, off, s[20:23], 0 offset:260 ; 4-byte Folded Reload
	buffer_load_dword v63, off, s[20:23], 0 offset:264 ; 4-byte Folded Reload
	buffer_load_dword v64, off, s[20:23], 0 offset:268 ; 4-byte Folded Reload
	s_waitcnt lgkmcnt(0)
	v_mul_f64 v[103:104], v[101:102], v[73:74]
	v_fma_f64 v[103:104], v[99:100], v[97:98], -v[103:104]
	v_mul_f64 v[99:100], v[99:100], v[73:74]
	v_fma_f64 v[99:100], v[101:102], v[97:98], v[99:100]
	s_waitcnt vmcnt(2)
	v_add_f64 v[61:62], v[61:62], -v[103:104]
	s_waitcnt vmcnt(0)
	v_add_f64 v[63:64], v[63:64], -v[99:100]
	buffer_store_dword v61, off, s[20:23], 0 offset:256 ; 4-byte Folded Spill
	s_nop 0
	buffer_store_dword v62, off, s[20:23], 0 offset:260 ; 4-byte Folded Spill
	buffer_store_dword v63, off, s[20:23], 0 offset:264 ; 4-byte Folded Spill
	buffer_store_dword v64, off, s[20:23], 0 offset:268 ; 4-byte Folded Spill
	ds_read2_b64 v[99:102], v125 offset0:14 offset1:15
	;; [unrolled: 19-line block ×15, first 2 shown]
	v_mov_b32_e32 v61, v65
	v_mov_b32_e32 v62, v66
	;; [unrolled: 1-line block ×4, first 2 shown]
	s_waitcnt lgkmcnt(0)
	v_mul_f64 v[103:104], v[101:102], v[73:74]
	v_fma_f64 v[103:104], v[99:100], v[97:98], -v[103:104]
	v_mul_f64 v[99:100], v[99:100], v[73:74]
	v_add_f64 v[117:118], v[117:118], -v[103:104]
	v_fma_f64 v[99:100], v[101:102], v[97:98], v[99:100]
	v_add_f64 v[119:120], v[119:120], -v[99:100]
	ds_read2_b64 v[99:102], v125 offset0:42 offset1:43
	s_waitcnt lgkmcnt(0)
	v_mul_f64 v[103:104], v[101:102], v[73:74]
	v_fma_f64 v[103:104], v[99:100], v[97:98], -v[103:104]
	v_mul_f64 v[99:100], v[99:100], v[73:74]
	v_add_f64 v[121:122], v[121:122], -v[103:104]
	v_fma_f64 v[99:100], v[101:102], v[97:98], v[99:100]
	v_add_f64 v[123:124], v[123:124], -v[99:100]
	ds_read2_b64 v[99:102], v125 offset0:44 offset1:45
	;; [unrolled: 8-line block ×5, first 2 shown]
	buffer_load_dword v69, off, s[20:23], 0 offset:32 ; 4-byte Folded Reload
	buffer_load_dword v70, off, s[20:23], 0 offset:36 ; 4-byte Folded Reload
	;; [unrolled: 1-line block ×4, first 2 shown]
	s_waitcnt lgkmcnt(0)
	v_mul_f64 v[103:104], v[101:102], v[73:74]
	v_fma_f64 v[103:104], v[99:100], v[97:98], -v[103:104]
	v_mul_f64 v[99:100], v[99:100], v[73:74]
	v_fma_f64 v[99:100], v[101:102], v[97:98], v[99:100]
	s_waitcnt vmcnt(2)
	v_add_f64 v[69:70], v[69:70], -v[103:104]
	s_waitcnt vmcnt(0)
	v_add_f64 v[71:72], v[71:72], -v[99:100]
	buffer_store_dword v69, off, s[20:23], 0 offset:32 ; 4-byte Folded Spill
	s_nop 0
	buffer_store_dword v70, off, s[20:23], 0 offset:36 ; 4-byte Folded Spill
	buffer_store_dword v71, off, s[20:23], 0 offset:40 ; 4-byte Folded Spill
	;; [unrolled: 1-line block ×3, first 2 shown]
	ds_read2_b64 v[99:102], v125 offset0:52 offset1:53
	buffer_load_dword v65, off, s[20:23], 0 offset:16 ; 4-byte Folded Reload
	buffer_load_dword v66, off, s[20:23], 0 offset:20 ; 4-byte Folded Reload
	;; [unrolled: 1-line block ×4, first 2 shown]
	v_mov_b32_e32 v71, v97
	v_mov_b32_e32 v72, v98
	s_waitcnt lgkmcnt(0)
	v_mul_f64 v[103:104], v[101:102], v[73:74]
	v_fma_f64 v[103:104], v[99:100], v[97:98], -v[103:104]
	v_mul_f64 v[99:100], v[99:100], v[73:74]
	v_fma_f64 v[99:100], v[101:102], v[97:98], v[99:100]
	s_waitcnt vmcnt(2)
	v_add_f64 v[65:66], v[65:66], -v[103:104]
	s_waitcnt vmcnt(0)
	v_add_f64 v[67:68], v[67:68], -v[99:100]
	buffer_store_dword v65, off, s[20:23], 0 offset:16 ; 4-byte Folded Spill
	s_nop 0
	buffer_store_dword v66, off, s[20:23], 0 offset:20 ; 4-byte Folded Spill
	buffer_store_dword v67, off, s[20:23], 0 offset:24 ; 4-byte Folded Spill
	;; [unrolled: 1-line block ×3, first 2 shown]
	v_mov_b32_e32 v68, v64
	v_mov_b32_e32 v67, v63
	v_mov_b32_e32 v66, v62
	v_mov_b32_e32 v65, v61
	ds_read2_b64 v[99:102], v125 offset0:54 offset1:55
	buffer_load_dword v61, off, s[20:23], 0 ; 4-byte Folded Reload
	buffer_load_dword v62, off, s[20:23], 0 offset:4 ; 4-byte Folded Reload
	buffer_load_dword v63, off, s[20:23], 0 offset:8 ; 4-byte Folded Reload
	;; [unrolled: 1-line block ×3, first 2 shown]
	s_waitcnt lgkmcnt(0)
	v_mul_f64 v[103:104], v[101:102], v[73:74]
	v_fma_f64 v[103:104], v[99:100], v[97:98], -v[103:104]
	v_mul_f64 v[99:100], v[99:100], v[73:74]
	v_fma_f64 v[99:100], v[101:102], v[97:98], v[99:100]
	s_waitcnt vmcnt(2)
	v_add_f64 v[61:62], v[61:62], -v[103:104]
	s_waitcnt vmcnt(0)
	v_add_f64 v[63:64], v[63:64], -v[99:100]
	buffer_store_dword v61, off, s[20:23], 0 ; 4-byte Folded Spill
	s_nop 0
	buffer_store_dword v62, off, s[20:23], 0 offset:4 ; 4-byte Folded Spill
	buffer_store_dword v63, off, s[20:23], 0 offset:8 ; 4-byte Folded Spill
	;; [unrolled: 1-line block ×3, first 2 shown]
	ds_read2_b64 v[99:102], v125 offset0:56 offset1:57
	s_waitcnt lgkmcnt(0)
	v_mul_f64 v[103:104], v[101:102], v[73:74]
	v_fma_f64 v[103:104], v[99:100], v[97:98], -v[103:104]
	v_mul_f64 v[99:100], v[99:100], v[73:74]
	v_add_f64 v[57:58], v[57:58], -v[103:104]
	v_fma_f64 v[99:100], v[101:102], v[97:98], v[99:100]
	v_add_f64 v[59:60], v[59:60], -v[99:100]
	ds_read2_b64 v[99:102], v125 offset0:58 offset1:59
	s_waitcnt lgkmcnt(0)
	v_mul_f64 v[103:104], v[101:102], v[73:74]
	v_fma_f64 v[103:104], v[99:100], v[97:98], -v[103:104]
	v_mul_f64 v[99:100], v[99:100], v[73:74]
	v_add_f64 v[53:54], v[53:54], -v[103:104]
	v_fma_f64 v[99:100], v[101:102], v[97:98], v[99:100]
	v_add_f64 v[55:56], v[55:56], -v[99:100]
	ds_read2_b64 v[99:102], v125 offset0:60 offset1:61
	s_waitcnt lgkmcnt(0)
	v_mul_f64 v[103:104], v[101:102], v[73:74]
	v_fma_f64 v[103:104], v[99:100], v[97:98], -v[103:104]
	v_mul_f64 v[99:100], v[99:100], v[73:74]
	v_add_f64 v[49:50], v[49:50], -v[103:104]
	v_fma_f64 v[99:100], v[101:102], v[97:98], v[99:100]
	v_add_f64 v[51:52], v[51:52], -v[99:100]
	ds_read2_b64 v[99:102], v125 offset0:62 offset1:63
	s_waitcnt lgkmcnt(0)
	v_mul_f64 v[103:104], v[101:102], v[73:74]
	v_fma_f64 v[103:104], v[99:100], v[97:98], -v[103:104]
	v_mul_f64 v[99:100], v[99:100], v[73:74]
	v_add_f64 v[45:46], v[45:46], -v[103:104]
	v_fma_f64 v[99:100], v[101:102], v[97:98], v[99:100]
	v_add_f64 v[47:48], v[47:48], -v[99:100]
	ds_read2_b64 v[99:102], v125 offset0:64 offset1:65
	s_waitcnt lgkmcnt(0)
	v_mul_f64 v[103:104], v[101:102], v[73:74]
	v_fma_f64 v[103:104], v[99:100], v[97:98], -v[103:104]
	v_mul_f64 v[99:100], v[99:100], v[73:74]
	v_add_f64 v[41:42], v[41:42], -v[103:104]
	v_fma_f64 v[99:100], v[101:102], v[97:98], v[99:100]
	v_add_f64 v[43:44], v[43:44], -v[99:100]
	ds_read2_b64 v[99:102], v125 offset0:66 offset1:67
	s_waitcnt lgkmcnt(0)
	v_mul_f64 v[103:104], v[101:102], v[73:74]
	v_fma_f64 v[103:104], v[99:100], v[97:98], -v[103:104]
	v_mul_f64 v[99:100], v[99:100], v[73:74]
	v_add_f64 v[37:38], v[37:38], -v[103:104]
	v_fma_f64 v[99:100], v[101:102], v[97:98], v[99:100]
	v_add_f64 v[39:40], v[39:40], -v[99:100]
	ds_read2_b64 v[99:102], v125 offset0:68 offset1:69
	s_waitcnt lgkmcnt(0)
	v_mul_f64 v[103:104], v[101:102], v[73:74]
	v_fma_f64 v[103:104], v[99:100], v[97:98], -v[103:104]
	v_mul_f64 v[99:100], v[99:100], v[73:74]
	v_add_f64 v[33:34], v[33:34], -v[103:104]
	v_fma_f64 v[99:100], v[101:102], v[97:98], v[99:100]
	v_add_f64 v[35:36], v[35:36], -v[99:100]
	ds_read2_b64 v[99:102], v125 offset0:70 offset1:71
	s_waitcnt lgkmcnt(0)
	v_mul_f64 v[103:104], v[101:102], v[73:74]
	v_fma_f64 v[103:104], v[99:100], v[97:98], -v[103:104]
	v_mul_f64 v[99:100], v[99:100], v[73:74]
	v_add_f64 v[29:30], v[29:30], -v[103:104]
	v_fma_f64 v[99:100], v[101:102], v[97:98], v[99:100]
	v_add_f64 v[31:32], v[31:32], -v[99:100]
	ds_read2_b64 v[99:102], v125 offset0:72 offset1:73
	s_waitcnt lgkmcnt(0)
	v_mul_f64 v[103:104], v[101:102], v[73:74]
	v_fma_f64 v[103:104], v[99:100], v[97:98], -v[103:104]
	v_mul_f64 v[99:100], v[99:100], v[73:74]
	v_add_f64 v[25:26], v[25:26], -v[103:104]
	v_fma_f64 v[99:100], v[101:102], v[97:98], v[99:100]
	v_add_f64 v[27:28], v[27:28], -v[99:100]
	ds_read2_b64 v[99:102], v125 offset0:74 offset1:75
	s_waitcnt lgkmcnt(0)
	v_mul_f64 v[103:104], v[101:102], v[73:74]
	v_fma_f64 v[103:104], v[99:100], v[97:98], -v[103:104]
	v_mul_f64 v[99:100], v[99:100], v[73:74]
	v_add_f64 v[21:22], v[21:22], -v[103:104]
	v_fma_f64 v[99:100], v[101:102], v[97:98], v[99:100]
	v_add_f64 v[23:24], v[23:24], -v[99:100]
	ds_read2_b64 v[99:102], v125 offset0:76 offset1:77
	s_waitcnt lgkmcnt(0)
	v_mul_f64 v[103:104], v[101:102], v[73:74]
	v_fma_f64 v[103:104], v[99:100], v[97:98], -v[103:104]
	v_mul_f64 v[99:100], v[99:100], v[73:74]
	v_add_f64 v[17:18], v[17:18], -v[103:104]
	v_fma_f64 v[99:100], v[101:102], v[97:98], v[99:100]
	v_add_f64 v[19:20], v[19:20], -v[99:100]
	ds_read2_b64 v[99:102], v125 offset0:78 offset1:79
	s_waitcnt lgkmcnt(0)
	v_mul_f64 v[103:104], v[101:102], v[73:74]
	v_fma_f64 v[103:104], v[99:100], v[97:98], -v[103:104]
	v_mul_f64 v[99:100], v[99:100], v[73:74]
	v_add_f64 v[13:14], v[13:14], -v[103:104]
	v_fma_f64 v[99:100], v[101:102], v[97:98], v[99:100]
	v_add_f64 v[15:16], v[15:16], -v[99:100]
	ds_read2_b64 v[99:102], v125 offset0:80 offset1:81
	s_waitcnt lgkmcnt(0)
	v_mul_f64 v[103:104], v[101:102], v[73:74]
	v_fma_f64 v[103:104], v[99:100], v[97:98], -v[103:104]
	v_mul_f64 v[99:100], v[99:100], v[73:74]
	v_add_f64 v[9:10], v[9:10], -v[103:104]
	v_fma_f64 v[99:100], v[101:102], v[97:98], v[99:100]
	v_add_f64 v[11:12], v[11:12], -v[99:100]
	ds_read2_b64 v[99:102], v125 offset0:82 offset1:83
	s_waitcnt lgkmcnt(0)
	v_mul_f64 v[103:104], v[101:102], v[73:74]
	v_fma_f64 v[103:104], v[99:100], v[97:98], -v[103:104]
	v_mul_f64 v[99:100], v[99:100], v[73:74]
	v_add_f64 v[5:6], v[5:6], -v[103:104]
	v_fma_f64 v[99:100], v[101:102], v[97:98], v[99:100]
	v_add_f64 v[7:8], v[7:8], -v[99:100]
	ds_read2_b64 v[99:102], v125 offset0:84 offset1:85
	s_waitcnt lgkmcnt(0)
	v_mul_f64 v[103:104], v[101:102], v[73:74]
	v_fma_f64 v[103:104], v[99:100], v[97:98], -v[103:104]
	v_mul_f64 v[99:100], v[99:100], v[73:74]
	v_add_f64 v[1:2], v[1:2], -v[103:104]
	v_fma_f64 v[99:100], v[101:102], v[97:98], v[99:100]
	v_add_f64 v[3:4], v[3:4], -v[99:100]
	ds_read2_b64 v[99:102], v125 offset0:86 offset1:87
	s_waitcnt lgkmcnt(0)
	v_mul_f64 v[103:104], v[101:102], v[73:74]
	v_fma_f64 v[103:104], v[99:100], v[97:98], -v[103:104]
	v_mul_f64 v[99:100], v[99:100], v[73:74]
	buffer_store_dword v71, off, s[20:23], 0 offset:288 ; 4-byte Folded Spill
	s_nop 0
	buffer_store_dword v72, off, s[20:23], 0 offset:292 ; 4-byte Folded Spill
	buffer_store_dword v73, off, s[20:23], 0 offset:296 ; 4-byte Folded Spill
	;; [unrolled: 1-line block ×3, first 2 shown]
	v_add_f64 v[65:66], v[65:66], -v[103:104]
	v_fma_f64 v[99:100], v[101:102], v[97:98], v[99:100]
	v_add_f64 v[67:68], v[67:68], -v[99:100]
.LBB87_46:
	s_or_b64 exec, exec, s[2:3]
	v_cmp_eq_u32_e32 vcc, 5, v0
	s_waitcnt vmcnt(0)
	s_barrier
	s_and_saveexec_b64 s[4:5], vcc
	s_cbranch_execz .LBB87_53
; %bb.47:
	buffer_load_dword v61, off, s[20:23], 0 offset:272 ; 4-byte Folded Reload
	buffer_load_dword v62, off, s[20:23], 0 offset:276 ; 4-byte Folded Reload
	;; [unrolled: 1-line block ×4, first 2 shown]
	s_waitcnt vmcnt(0)
	ds_write2_b64 v127, v[61:62], v[63:64] offset1:1
	buffer_load_dword v61, off, s[20:23], 0 offset:256 ; 4-byte Folded Reload
	buffer_load_dword v62, off, s[20:23], 0 offset:260 ; 4-byte Folded Reload
	buffer_load_dword v63, off, s[20:23], 0 offset:264 ; 4-byte Folded Reload
	buffer_load_dword v64, off, s[20:23], 0 offset:268 ; 4-byte Folded Reload
	s_waitcnt vmcnt(0)
	ds_write2_b64 v125, v[61:62], v[63:64] offset0:12 offset1:13
	buffer_load_dword v61, off, s[20:23], 0 offset:240 ; 4-byte Folded Reload
	buffer_load_dword v62, off, s[20:23], 0 offset:244 ; 4-byte Folded Reload
	buffer_load_dword v63, off, s[20:23], 0 offset:248 ; 4-byte Folded Reload
	buffer_load_dword v64, off, s[20:23], 0 offset:252 ; 4-byte Folded Reload
	s_waitcnt vmcnt(0)
	ds_write2_b64 v125, v[61:62], v[63:64] offset0:14 offset1:15
	;; [unrolled: 6-line block ×14, first 2 shown]
	ds_write2_b64 v125, v[117:118], v[119:120] offset0:40 offset1:41
	ds_write2_b64 v125, v[121:122], v[123:124] offset0:42 offset1:43
	;; [unrolled: 1-line block ×5, first 2 shown]
	buffer_load_dword v69, off, s[20:23], 0 offset:32 ; 4-byte Folded Reload
	buffer_load_dword v70, off, s[20:23], 0 offset:36 ; 4-byte Folded Reload
	;; [unrolled: 1-line block ×4, first 2 shown]
	v_mov_b32_e32 v61, v65
	v_mov_b32_e32 v62, v66
	;; [unrolled: 1-line block ×4, first 2 shown]
	s_waitcnt vmcnt(0)
	ds_write2_b64 v125, v[69:70], v[71:72] offset0:50 offset1:51
	buffer_load_dword v65, off, s[20:23], 0 offset:16 ; 4-byte Folded Reload
	buffer_load_dword v66, off, s[20:23], 0 offset:20 ; 4-byte Folded Reload
	;; [unrolled: 1-line block ×4, first 2 shown]
	s_waitcnt vmcnt(0)
	ds_write2_b64 v125, v[65:66], v[67:68] offset0:52 offset1:53
	v_mov_b32_e32 v68, v64
	v_mov_b32_e32 v67, v63
	;; [unrolled: 1-line block ×4, first 2 shown]
	buffer_load_dword v61, off, s[20:23], 0 ; 4-byte Folded Reload
	buffer_load_dword v62, off, s[20:23], 0 offset:4 ; 4-byte Folded Reload
	buffer_load_dword v63, off, s[20:23], 0 offset:8 ; 4-byte Folded Reload
	;; [unrolled: 1-line block ×3, first 2 shown]
	s_waitcnt vmcnt(0)
	ds_write2_b64 v125, v[61:62], v[63:64] offset0:54 offset1:55
	ds_write2_b64 v125, v[57:58], v[59:60] offset0:56 offset1:57
	;; [unrolled: 1-line block ×17, first 2 shown]
	ds_read2_b64 v[97:100], v127 offset1:1
	s_waitcnt lgkmcnt(0)
	v_cmp_neq_f64_e32 vcc, 0, v[97:98]
	v_cmp_neq_f64_e64 s[2:3], 0, v[99:100]
	s_or_b64 s[2:3], vcc, s[2:3]
	s_and_b64 exec, exec, s[2:3]
	s_cbranch_execz .LBB87_53
; %bb.48:
	v_cmp_ngt_f64_e64 s[2:3], |v[97:98]|, |v[99:100]|
                                        ; implicit-def: $vgpr101_vgpr102
	s_and_saveexec_b64 s[6:7], s[2:3]
	s_xor_b64 s[2:3], exec, s[6:7]
                                        ; implicit-def: $vgpr103_vgpr104
	s_cbranch_execz .LBB87_50
; %bb.49:
	v_div_scale_f64 v[101:102], s[6:7], v[99:100], v[99:100], v[97:98]
	v_rcp_f64_e32 v[103:104], v[101:102]
	v_fma_f64 v[105:106], -v[101:102], v[103:104], 1.0
	v_fma_f64 v[103:104], v[103:104], v[105:106], v[103:104]
	v_div_scale_f64 v[105:106], vcc, v[97:98], v[99:100], v[97:98]
	v_fma_f64 v[107:108], -v[101:102], v[103:104], 1.0
	v_fma_f64 v[103:104], v[103:104], v[107:108], v[103:104]
	v_mul_f64 v[107:108], v[105:106], v[103:104]
	v_fma_f64 v[101:102], -v[101:102], v[107:108], v[105:106]
	v_div_fmas_f64 v[101:102], v[101:102], v[103:104], v[107:108]
	v_div_fixup_f64 v[101:102], v[101:102], v[99:100], v[97:98]
	v_fma_f64 v[97:98], v[97:98], v[101:102], v[99:100]
	v_div_scale_f64 v[99:100], s[6:7], v[97:98], v[97:98], 1.0
	v_div_scale_f64 v[107:108], vcc, 1.0, v[97:98], 1.0
	v_rcp_f64_e32 v[103:104], v[99:100]
	v_fma_f64 v[105:106], -v[99:100], v[103:104], 1.0
	v_fma_f64 v[103:104], v[103:104], v[105:106], v[103:104]
	v_fma_f64 v[105:106], -v[99:100], v[103:104], 1.0
	v_fma_f64 v[103:104], v[103:104], v[105:106], v[103:104]
	v_mul_f64 v[105:106], v[107:108], v[103:104]
	v_fma_f64 v[99:100], -v[99:100], v[105:106], v[107:108]
	v_div_fmas_f64 v[99:100], v[99:100], v[103:104], v[105:106]
	v_div_fixup_f64 v[103:104], v[99:100], v[97:98], 1.0
                                        ; implicit-def: $vgpr97_vgpr98
	v_mul_f64 v[101:102], v[101:102], v[103:104]
	v_xor_b32_e32 v104, 0x80000000, v104
.LBB87_50:
	s_andn2_saveexec_b64 s[2:3], s[2:3]
	s_cbranch_execz .LBB87_52
; %bb.51:
	v_div_scale_f64 v[101:102], s[6:7], v[97:98], v[97:98], v[99:100]
	v_rcp_f64_e32 v[103:104], v[101:102]
	v_fma_f64 v[105:106], -v[101:102], v[103:104], 1.0
	v_fma_f64 v[103:104], v[103:104], v[105:106], v[103:104]
	v_div_scale_f64 v[105:106], vcc, v[99:100], v[97:98], v[99:100]
	v_fma_f64 v[107:108], -v[101:102], v[103:104], 1.0
	v_fma_f64 v[103:104], v[103:104], v[107:108], v[103:104]
	v_mul_f64 v[107:108], v[105:106], v[103:104]
	v_fma_f64 v[101:102], -v[101:102], v[107:108], v[105:106]
	v_div_fmas_f64 v[101:102], v[101:102], v[103:104], v[107:108]
	v_div_fixup_f64 v[103:104], v[101:102], v[97:98], v[99:100]
	v_fma_f64 v[97:98], v[99:100], v[103:104], v[97:98]
	v_div_scale_f64 v[99:100], s[6:7], v[97:98], v[97:98], 1.0
	v_div_scale_f64 v[107:108], vcc, 1.0, v[97:98], 1.0
	v_rcp_f64_e32 v[101:102], v[99:100]
	v_fma_f64 v[105:106], -v[99:100], v[101:102], 1.0
	v_fma_f64 v[101:102], v[101:102], v[105:106], v[101:102]
	v_fma_f64 v[105:106], -v[99:100], v[101:102], 1.0
	v_fma_f64 v[101:102], v[101:102], v[105:106], v[101:102]
	v_mul_f64 v[105:106], v[107:108], v[101:102]
	v_fma_f64 v[99:100], -v[99:100], v[105:106], v[107:108]
	v_div_fmas_f64 v[99:100], v[99:100], v[101:102], v[105:106]
	v_div_fixup_f64 v[101:102], v[99:100], v[97:98], 1.0
	v_mul_f64 v[103:104], v[103:104], -v[101:102]
.LBB87_52:
	s_or_b64 exec, exec, s[2:3]
	ds_write2_b64 v127, v[101:102], v[103:104] offset1:1
.LBB87_53:
	s_or_b64 exec, exec, s[4:5]
	s_waitcnt lgkmcnt(0)
	s_barrier
	ds_read2_b64 v[61:64], v127 offset1:1
	v_cmp_lt_u32_e32 vcc, 5, v0
	s_waitcnt lgkmcnt(0)
	buffer_store_dword v61, off, s[20:23], 0 offset:760 ; 4-byte Folded Spill
	s_nop 0
	buffer_store_dword v62, off, s[20:23], 0 offset:764 ; 4-byte Folded Spill
	buffer_store_dword v63, off, s[20:23], 0 offset:768 ; 4-byte Folded Spill
	;; [unrolled: 1-line block ×3, first 2 shown]
	s_and_saveexec_b64 s[2:3], vcc
	s_cbranch_execz .LBB87_55
; %bb.54:
	buffer_load_dword v71, off, s[20:23], 0 offset:272 ; 4-byte Folded Reload
	buffer_load_dword v72, off, s[20:23], 0 offset:276 ; 4-byte Folded Reload
	;; [unrolled: 1-line block ×8, first 2 shown]
	s_waitcnt vmcnt(2)
	v_mul_f64 v[99:100], v[61:62], v[73:74]
	s_waitcnt vmcnt(0)
	v_mul_f64 v[97:98], v[63:64], v[73:74]
	v_fma_f64 v[73:74], v[63:64], v[71:72], v[99:100]
	ds_read2_b64 v[99:102], v125 offset0:12 offset1:13
	v_fma_f64 v[97:98], v[61:62], v[71:72], -v[97:98]
	buffer_load_dword v61, off, s[20:23], 0 offset:256 ; 4-byte Folded Reload
	buffer_load_dword v62, off, s[20:23], 0 offset:260 ; 4-byte Folded Reload
	buffer_load_dword v63, off, s[20:23], 0 offset:264 ; 4-byte Folded Reload
	buffer_load_dword v64, off, s[20:23], 0 offset:268 ; 4-byte Folded Reload
	s_waitcnt lgkmcnt(0)
	v_mul_f64 v[103:104], v[101:102], v[73:74]
	v_fma_f64 v[103:104], v[99:100], v[97:98], -v[103:104]
	v_mul_f64 v[99:100], v[99:100], v[73:74]
	v_fma_f64 v[99:100], v[101:102], v[97:98], v[99:100]
	s_waitcnt vmcnt(2)
	v_add_f64 v[61:62], v[61:62], -v[103:104]
	s_waitcnt vmcnt(0)
	v_add_f64 v[63:64], v[63:64], -v[99:100]
	buffer_store_dword v61, off, s[20:23], 0 offset:256 ; 4-byte Folded Spill
	s_nop 0
	buffer_store_dword v62, off, s[20:23], 0 offset:260 ; 4-byte Folded Spill
	buffer_store_dword v63, off, s[20:23], 0 offset:264 ; 4-byte Folded Spill
	buffer_store_dword v64, off, s[20:23], 0 offset:268 ; 4-byte Folded Spill
	ds_read2_b64 v[99:102], v125 offset0:14 offset1:15
	buffer_load_dword v61, off, s[20:23], 0 offset:240 ; 4-byte Folded Reload
	buffer_load_dword v62, off, s[20:23], 0 offset:244 ; 4-byte Folded Reload
	buffer_load_dword v63, off, s[20:23], 0 offset:248 ; 4-byte Folded Reload
	buffer_load_dword v64, off, s[20:23], 0 offset:252 ; 4-byte Folded Reload
	s_waitcnt lgkmcnt(0)
	v_mul_f64 v[103:104], v[101:102], v[73:74]
	v_fma_f64 v[103:104], v[99:100], v[97:98], -v[103:104]
	v_mul_f64 v[99:100], v[99:100], v[73:74]
	v_fma_f64 v[99:100], v[101:102], v[97:98], v[99:100]
	s_waitcnt vmcnt(2)
	v_add_f64 v[61:62], v[61:62], -v[103:104]
	s_waitcnt vmcnt(0)
	v_add_f64 v[63:64], v[63:64], -v[99:100]
	buffer_store_dword v61, off, s[20:23], 0 offset:240 ; 4-byte Folded Spill
	s_nop 0
	buffer_store_dword v62, off, s[20:23], 0 offset:244 ; 4-byte Folded Spill
	buffer_store_dword v63, off, s[20:23], 0 offset:248 ; 4-byte Folded Spill
	buffer_store_dword v64, off, s[20:23], 0 offset:252 ; 4-byte Folded Spill
	ds_read2_b64 v[99:102], v125 offset0:16 offset1:17
	;; [unrolled: 19-line block ×14, first 2 shown]
	v_mov_b32_e32 v61, v65
	v_mov_b32_e32 v62, v66
	;; [unrolled: 1-line block ×4, first 2 shown]
	s_waitcnt lgkmcnt(0)
	v_mul_f64 v[103:104], v[101:102], v[73:74]
	v_fma_f64 v[103:104], v[99:100], v[97:98], -v[103:104]
	v_mul_f64 v[99:100], v[99:100], v[73:74]
	v_add_f64 v[117:118], v[117:118], -v[103:104]
	v_fma_f64 v[99:100], v[101:102], v[97:98], v[99:100]
	v_add_f64 v[119:120], v[119:120], -v[99:100]
	ds_read2_b64 v[99:102], v125 offset0:42 offset1:43
	s_waitcnt lgkmcnt(0)
	v_mul_f64 v[103:104], v[101:102], v[73:74]
	v_fma_f64 v[103:104], v[99:100], v[97:98], -v[103:104]
	v_mul_f64 v[99:100], v[99:100], v[73:74]
	v_add_f64 v[121:122], v[121:122], -v[103:104]
	v_fma_f64 v[99:100], v[101:102], v[97:98], v[99:100]
	v_add_f64 v[123:124], v[123:124], -v[99:100]
	ds_read2_b64 v[99:102], v125 offset0:44 offset1:45
	;; [unrolled: 8-line block ×5, first 2 shown]
	buffer_load_dword v69, off, s[20:23], 0 offset:32 ; 4-byte Folded Reload
	buffer_load_dword v70, off, s[20:23], 0 offset:36 ; 4-byte Folded Reload
	;; [unrolled: 1-line block ×4, first 2 shown]
	s_waitcnt lgkmcnt(0)
	v_mul_f64 v[103:104], v[101:102], v[73:74]
	v_fma_f64 v[103:104], v[99:100], v[97:98], -v[103:104]
	v_mul_f64 v[99:100], v[99:100], v[73:74]
	v_fma_f64 v[99:100], v[101:102], v[97:98], v[99:100]
	s_waitcnt vmcnt(2)
	v_add_f64 v[69:70], v[69:70], -v[103:104]
	s_waitcnt vmcnt(0)
	v_add_f64 v[71:72], v[71:72], -v[99:100]
	buffer_store_dword v69, off, s[20:23], 0 offset:32 ; 4-byte Folded Spill
	s_nop 0
	buffer_store_dword v70, off, s[20:23], 0 offset:36 ; 4-byte Folded Spill
	buffer_store_dword v71, off, s[20:23], 0 offset:40 ; 4-byte Folded Spill
	;; [unrolled: 1-line block ×3, first 2 shown]
	ds_read2_b64 v[99:102], v125 offset0:52 offset1:53
	buffer_load_dword v65, off, s[20:23], 0 offset:16 ; 4-byte Folded Reload
	buffer_load_dword v66, off, s[20:23], 0 offset:20 ; 4-byte Folded Reload
	;; [unrolled: 1-line block ×4, first 2 shown]
	v_mov_b32_e32 v71, v97
	v_mov_b32_e32 v72, v98
	s_waitcnt lgkmcnt(0)
	v_mul_f64 v[103:104], v[101:102], v[73:74]
	v_fma_f64 v[103:104], v[99:100], v[97:98], -v[103:104]
	v_mul_f64 v[99:100], v[99:100], v[73:74]
	v_fma_f64 v[99:100], v[101:102], v[97:98], v[99:100]
	s_waitcnt vmcnt(2)
	v_add_f64 v[65:66], v[65:66], -v[103:104]
	s_waitcnt vmcnt(0)
	v_add_f64 v[67:68], v[67:68], -v[99:100]
	buffer_store_dword v65, off, s[20:23], 0 offset:16 ; 4-byte Folded Spill
	s_nop 0
	buffer_store_dword v66, off, s[20:23], 0 offset:20 ; 4-byte Folded Spill
	buffer_store_dword v67, off, s[20:23], 0 offset:24 ; 4-byte Folded Spill
	;; [unrolled: 1-line block ×3, first 2 shown]
	v_mov_b32_e32 v68, v64
	v_mov_b32_e32 v67, v63
	;; [unrolled: 1-line block ×4, first 2 shown]
	ds_read2_b64 v[99:102], v125 offset0:54 offset1:55
	buffer_load_dword v61, off, s[20:23], 0 ; 4-byte Folded Reload
	buffer_load_dword v62, off, s[20:23], 0 offset:4 ; 4-byte Folded Reload
	buffer_load_dword v63, off, s[20:23], 0 offset:8 ; 4-byte Folded Reload
	;; [unrolled: 1-line block ×3, first 2 shown]
	s_waitcnt lgkmcnt(0)
	v_mul_f64 v[103:104], v[101:102], v[73:74]
	v_fma_f64 v[103:104], v[99:100], v[97:98], -v[103:104]
	v_mul_f64 v[99:100], v[99:100], v[73:74]
	v_fma_f64 v[99:100], v[101:102], v[97:98], v[99:100]
	s_waitcnt vmcnt(2)
	v_add_f64 v[61:62], v[61:62], -v[103:104]
	s_waitcnt vmcnt(0)
	v_add_f64 v[63:64], v[63:64], -v[99:100]
	buffer_store_dword v61, off, s[20:23], 0 ; 4-byte Folded Spill
	s_nop 0
	buffer_store_dword v62, off, s[20:23], 0 offset:4 ; 4-byte Folded Spill
	buffer_store_dword v63, off, s[20:23], 0 offset:8 ; 4-byte Folded Spill
	;; [unrolled: 1-line block ×3, first 2 shown]
	ds_read2_b64 v[99:102], v125 offset0:56 offset1:57
	s_waitcnt lgkmcnt(0)
	v_mul_f64 v[103:104], v[101:102], v[73:74]
	v_fma_f64 v[103:104], v[99:100], v[97:98], -v[103:104]
	v_mul_f64 v[99:100], v[99:100], v[73:74]
	v_add_f64 v[57:58], v[57:58], -v[103:104]
	v_fma_f64 v[99:100], v[101:102], v[97:98], v[99:100]
	v_add_f64 v[59:60], v[59:60], -v[99:100]
	ds_read2_b64 v[99:102], v125 offset0:58 offset1:59
	s_waitcnt lgkmcnt(0)
	v_mul_f64 v[103:104], v[101:102], v[73:74]
	v_fma_f64 v[103:104], v[99:100], v[97:98], -v[103:104]
	v_mul_f64 v[99:100], v[99:100], v[73:74]
	v_add_f64 v[53:54], v[53:54], -v[103:104]
	v_fma_f64 v[99:100], v[101:102], v[97:98], v[99:100]
	v_add_f64 v[55:56], v[55:56], -v[99:100]
	;; [unrolled: 8-line block ×15, first 2 shown]
	ds_read2_b64 v[99:102], v125 offset0:86 offset1:87
	s_waitcnt lgkmcnt(0)
	v_mul_f64 v[103:104], v[101:102], v[73:74]
	v_fma_f64 v[103:104], v[99:100], v[97:98], -v[103:104]
	v_mul_f64 v[99:100], v[99:100], v[73:74]
	buffer_store_dword v71, off, s[20:23], 0 offset:272 ; 4-byte Folded Spill
	s_nop 0
	buffer_store_dword v72, off, s[20:23], 0 offset:276 ; 4-byte Folded Spill
	buffer_store_dword v73, off, s[20:23], 0 offset:280 ; 4-byte Folded Spill
	;; [unrolled: 1-line block ×3, first 2 shown]
	v_add_f64 v[65:66], v[65:66], -v[103:104]
	v_fma_f64 v[99:100], v[101:102], v[97:98], v[99:100]
	v_add_f64 v[67:68], v[67:68], -v[99:100]
.LBB87_55:
	s_or_b64 exec, exec, s[2:3]
	v_cmp_eq_u32_e32 vcc, 6, v0
	s_waitcnt vmcnt(0)
	s_barrier
	s_and_saveexec_b64 s[4:5], vcc
	s_cbranch_execz .LBB87_62
; %bb.56:
	buffer_load_dword v61, off, s[20:23], 0 offset:256 ; 4-byte Folded Reload
	buffer_load_dword v62, off, s[20:23], 0 offset:260 ; 4-byte Folded Reload
	;; [unrolled: 1-line block ×4, first 2 shown]
	s_waitcnt vmcnt(0)
	ds_write2_b64 v127, v[61:62], v[63:64] offset1:1
	buffer_load_dword v61, off, s[20:23], 0 offset:240 ; 4-byte Folded Reload
	buffer_load_dword v62, off, s[20:23], 0 offset:244 ; 4-byte Folded Reload
	buffer_load_dword v63, off, s[20:23], 0 offset:248 ; 4-byte Folded Reload
	buffer_load_dword v64, off, s[20:23], 0 offset:252 ; 4-byte Folded Reload
	s_waitcnt vmcnt(0)
	ds_write2_b64 v125, v[61:62], v[63:64] offset0:14 offset1:15
	buffer_load_dword v61, off, s[20:23], 0 offset:224 ; 4-byte Folded Reload
	buffer_load_dword v62, off, s[20:23], 0 offset:228 ; 4-byte Folded Reload
	buffer_load_dword v63, off, s[20:23], 0 offset:232 ; 4-byte Folded Reload
	buffer_load_dword v64, off, s[20:23], 0 offset:236 ; 4-byte Folded Reload
	s_waitcnt vmcnt(0)
	ds_write2_b64 v125, v[61:62], v[63:64] offset0:16 offset1:17
	;; [unrolled: 6-line block ×13, first 2 shown]
	ds_write2_b64 v125, v[117:118], v[119:120] offset0:40 offset1:41
	ds_write2_b64 v125, v[121:122], v[123:124] offset0:42 offset1:43
	;; [unrolled: 1-line block ×5, first 2 shown]
	buffer_load_dword v69, off, s[20:23], 0 offset:32 ; 4-byte Folded Reload
	buffer_load_dword v70, off, s[20:23], 0 offset:36 ; 4-byte Folded Reload
	;; [unrolled: 1-line block ×4, first 2 shown]
	v_mov_b32_e32 v61, v65
	v_mov_b32_e32 v62, v66
	;; [unrolled: 1-line block ×4, first 2 shown]
	s_waitcnt vmcnt(0)
	ds_write2_b64 v125, v[69:70], v[71:72] offset0:50 offset1:51
	buffer_load_dword v65, off, s[20:23], 0 offset:16 ; 4-byte Folded Reload
	buffer_load_dword v66, off, s[20:23], 0 offset:20 ; 4-byte Folded Reload
	;; [unrolled: 1-line block ×4, first 2 shown]
	s_waitcnt vmcnt(0)
	ds_write2_b64 v125, v[65:66], v[67:68] offset0:52 offset1:53
	v_mov_b32_e32 v68, v64
	v_mov_b32_e32 v67, v63
	;; [unrolled: 1-line block ×4, first 2 shown]
	buffer_load_dword v61, off, s[20:23], 0 ; 4-byte Folded Reload
	buffer_load_dword v62, off, s[20:23], 0 offset:4 ; 4-byte Folded Reload
	buffer_load_dword v63, off, s[20:23], 0 offset:8 ; 4-byte Folded Reload
	;; [unrolled: 1-line block ×3, first 2 shown]
	s_waitcnt vmcnt(0)
	ds_write2_b64 v125, v[61:62], v[63:64] offset0:54 offset1:55
	ds_write2_b64 v125, v[57:58], v[59:60] offset0:56 offset1:57
	;; [unrolled: 1-line block ×17, first 2 shown]
	ds_read2_b64 v[97:100], v127 offset1:1
	s_waitcnt lgkmcnt(0)
	v_cmp_neq_f64_e32 vcc, 0, v[97:98]
	v_cmp_neq_f64_e64 s[2:3], 0, v[99:100]
	s_or_b64 s[2:3], vcc, s[2:3]
	s_and_b64 exec, exec, s[2:3]
	s_cbranch_execz .LBB87_62
; %bb.57:
	v_cmp_ngt_f64_e64 s[2:3], |v[97:98]|, |v[99:100]|
                                        ; implicit-def: $vgpr101_vgpr102
	s_and_saveexec_b64 s[6:7], s[2:3]
	s_xor_b64 s[2:3], exec, s[6:7]
                                        ; implicit-def: $vgpr103_vgpr104
	s_cbranch_execz .LBB87_59
; %bb.58:
	v_div_scale_f64 v[101:102], s[6:7], v[99:100], v[99:100], v[97:98]
	v_rcp_f64_e32 v[103:104], v[101:102]
	v_fma_f64 v[105:106], -v[101:102], v[103:104], 1.0
	v_fma_f64 v[103:104], v[103:104], v[105:106], v[103:104]
	v_div_scale_f64 v[105:106], vcc, v[97:98], v[99:100], v[97:98]
	v_fma_f64 v[107:108], -v[101:102], v[103:104], 1.0
	v_fma_f64 v[103:104], v[103:104], v[107:108], v[103:104]
	v_mul_f64 v[107:108], v[105:106], v[103:104]
	v_fma_f64 v[101:102], -v[101:102], v[107:108], v[105:106]
	v_div_fmas_f64 v[101:102], v[101:102], v[103:104], v[107:108]
	v_div_fixup_f64 v[101:102], v[101:102], v[99:100], v[97:98]
	v_fma_f64 v[97:98], v[97:98], v[101:102], v[99:100]
	v_div_scale_f64 v[99:100], s[6:7], v[97:98], v[97:98], 1.0
	v_div_scale_f64 v[107:108], vcc, 1.0, v[97:98], 1.0
	v_rcp_f64_e32 v[103:104], v[99:100]
	v_fma_f64 v[105:106], -v[99:100], v[103:104], 1.0
	v_fma_f64 v[103:104], v[103:104], v[105:106], v[103:104]
	v_fma_f64 v[105:106], -v[99:100], v[103:104], 1.0
	v_fma_f64 v[103:104], v[103:104], v[105:106], v[103:104]
	v_mul_f64 v[105:106], v[107:108], v[103:104]
	v_fma_f64 v[99:100], -v[99:100], v[105:106], v[107:108]
	v_div_fmas_f64 v[99:100], v[99:100], v[103:104], v[105:106]
	v_div_fixup_f64 v[103:104], v[99:100], v[97:98], 1.0
                                        ; implicit-def: $vgpr97_vgpr98
	v_mul_f64 v[101:102], v[101:102], v[103:104]
	v_xor_b32_e32 v104, 0x80000000, v104
.LBB87_59:
	s_andn2_saveexec_b64 s[2:3], s[2:3]
	s_cbranch_execz .LBB87_61
; %bb.60:
	v_div_scale_f64 v[101:102], s[6:7], v[97:98], v[97:98], v[99:100]
	v_rcp_f64_e32 v[103:104], v[101:102]
	v_fma_f64 v[105:106], -v[101:102], v[103:104], 1.0
	v_fma_f64 v[103:104], v[103:104], v[105:106], v[103:104]
	v_div_scale_f64 v[105:106], vcc, v[99:100], v[97:98], v[99:100]
	v_fma_f64 v[107:108], -v[101:102], v[103:104], 1.0
	v_fma_f64 v[103:104], v[103:104], v[107:108], v[103:104]
	v_mul_f64 v[107:108], v[105:106], v[103:104]
	v_fma_f64 v[101:102], -v[101:102], v[107:108], v[105:106]
	v_div_fmas_f64 v[101:102], v[101:102], v[103:104], v[107:108]
	v_div_fixup_f64 v[103:104], v[101:102], v[97:98], v[99:100]
	v_fma_f64 v[97:98], v[99:100], v[103:104], v[97:98]
	v_div_scale_f64 v[99:100], s[6:7], v[97:98], v[97:98], 1.0
	v_div_scale_f64 v[107:108], vcc, 1.0, v[97:98], 1.0
	v_rcp_f64_e32 v[101:102], v[99:100]
	v_fma_f64 v[105:106], -v[99:100], v[101:102], 1.0
	v_fma_f64 v[101:102], v[101:102], v[105:106], v[101:102]
	v_fma_f64 v[105:106], -v[99:100], v[101:102], 1.0
	v_fma_f64 v[101:102], v[101:102], v[105:106], v[101:102]
	v_mul_f64 v[105:106], v[107:108], v[101:102]
	v_fma_f64 v[99:100], -v[99:100], v[105:106], v[107:108]
	v_div_fmas_f64 v[99:100], v[99:100], v[101:102], v[105:106]
	v_div_fixup_f64 v[101:102], v[99:100], v[97:98], 1.0
	v_mul_f64 v[103:104], v[103:104], -v[101:102]
.LBB87_61:
	s_or_b64 exec, exec, s[2:3]
	ds_write2_b64 v127, v[101:102], v[103:104] offset1:1
.LBB87_62:
	s_or_b64 exec, exec, s[4:5]
	s_waitcnt lgkmcnt(0)
	s_barrier
	ds_read2_b64 v[61:64], v127 offset1:1
	v_cmp_lt_u32_e32 vcc, 6, v0
	s_waitcnt lgkmcnt(0)
	buffer_store_dword v61, off, s[20:23], 0 offset:776 ; 4-byte Folded Spill
	s_nop 0
	buffer_store_dword v62, off, s[20:23], 0 offset:780 ; 4-byte Folded Spill
	buffer_store_dword v63, off, s[20:23], 0 offset:784 ; 4-byte Folded Spill
	;; [unrolled: 1-line block ×3, first 2 shown]
	s_and_saveexec_b64 s[2:3], vcc
	s_cbranch_execz .LBB87_64
; %bb.63:
	buffer_load_dword v71, off, s[20:23], 0 offset:256 ; 4-byte Folded Reload
	buffer_load_dword v72, off, s[20:23], 0 offset:260 ; 4-byte Folded Reload
	;; [unrolled: 1-line block ×8, first 2 shown]
	s_waitcnt vmcnt(2)
	v_mul_f64 v[99:100], v[61:62], v[73:74]
	s_waitcnt vmcnt(0)
	v_mul_f64 v[97:98], v[63:64], v[73:74]
	v_fma_f64 v[73:74], v[63:64], v[71:72], v[99:100]
	ds_read2_b64 v[99:102], v125 offset0:14 offset1:15
	v_fma_f64 v[97:98], v[61:62], v[71:72], -v[97:98]
	buffer_load_dword v61, off, s[20:23], 0 offset:240 ; 4-byte Folded Reload
	buffer_load_dword v62, off, s[20:23], 0 offset:244 ; 4-byte Folded Reload
	buffer_load_dword v63, off, s[20:23], 0 offset:248 ; 4-byte Folded Reload
	buffer_load_dword v64, off, s[20:23], 0 offset:252 ; 4-byte Folded Reload
	s_waitcnt lgkmcnt(0)
	v_mul_f64 v[103:104], v[101:102], v[73:74]
	v_fma_f64 v[103:104], v[99:100], v[97:98], -v[103:104]
	v_mul_f64 v[99:100], v[99:100], v[73:74]
	v_fma_f64 v[99:100], v[101:102], v[97:98], v[99:100]
	s_waitcnt vmcnt(2)
	v_add_f64 v[61:62], v[61:62], -v[103:104]
	s_waitcnt vmcnt(0)
	v_add_f64 v[63:64], v[63:64], -v[99:100]
	buffer_store_dword v61, off, s[20:23], 0 offset:240 ; 4-byte Folded Spill
	s_nop 0
	buffer_store_dword v62, off, s[20:23], 0 offset:244 ; 4-byte Folded Spill
	buffer_store_dword v63, off, s[20:23], 0 offset:248 ; 4-byte Folded Spill
	buffer_store_dword v64, off, s[20:23], 0 offset:252 ; 4-byte Folded Spill
	ds_read2_b64 v[99:102], v125 offset0:16 offset1:17
	buffer_load_dword v61, off, s[20:23], 0 offset:224 ; 4-byte Folded Reload
	buffer_load_dword v62, off, s[20:23], 0 offset:228 ; 4-byte Folded Reload
	buffer_load_dword v63, off, s[20:23], 0 offset:232 ; 4-byte Folded Reload
	buffer_load_dword v64, off, s[20:23], 0 offset:236 ; 4-byte Folded Reload
	s_waitcnt lgkmcnt(0)
	v_mul_f64 v[103:104], v[101:102], v[73:74]
	v_fma_f64 v[103:104], v[99:100], v[97:98], -v[103:104]
	v_mul_f64 v[99:100], v[99:100], v[73:74]
	v_fma_f64 v[99:100], v[101:102], v[97:98], v[99:100]
	s_waitcnt vmcnt(2)
	v_add_f64 v[61:62], v[61:62], -v[103:104]
	s_waitcnt vmcnt(0)
	v_add_f64 v[63:64], v[63:64], -v[99:100]
	buffer_store_dword v61, off, s[20:23], 0 offset:224 ; 4-byte Folded Spill
	s_nop 0
	buffer_store_dword v62, off, s[20:23], 0 offset:228 ; 4-byte Folded Spill
	buffer_store_dword v63, off, s[20:23], 0 offset:232 ; 4-byte Folded Spill
	buffer_store_dword v64, off, s[20:23], 0 offset:236 ; 4-byte Folded Spill
	ds_read2_b64 v[99:102], v125 offset0:18 offset1:19
	;; [unrolled: 19-line block ×13, first 2 shown]
	v_mov_b32_e32 v61, v65
	v_mov_b32_e32 v62, v66
	;; [unrolled: 1-line block ×4, first 2 shown]
	s_waitcnt lgkmcnt(0)
	v_mul_f64 v[103:104], v[101:102], v[73:74]
	v_fma_f64 v[103:104], v[99:100], v[97:98], -v[103:104]
	v_mul_f64 v[99:100], v[99:100], v[73:74]
	v_add_f64 v[117:118], v[117:118], -v[103:104]
	v_fma_f64 v[99:100], v[101:102], v[97:98], v[99:100]
	v_add_f64 v[119:120], v[119:120], -v[99:100]
	ds_read2_b64 v[99:102], v125 offset0:42 offset1:43
	s_waitcnt lgkmcnt(0)
	v_mul_f64 v[103:104], v[101:102], v[73:74]
	v_fma_f64 v[103:104], v[99:100], v[97:98], -v[103:104]
	v_mul_f64 v[99:100], v[99:100], v[73:74]
	v_add_f64 v[121:122], v[121:122], -v[103:104]
	v_fma_f64 v[99:100], v[101:102], v[97:98], v[99:100]
	v_add_f64 v[123:124], v[123:124], -v[99:100]
	ds_read2_b64 v[99:102], v125 offset0:44 offset1:45
	;; [unrolled: 8-line block ×5, first 2 shown]
	buffer_load_dword v69, off, s[20:23], 0 offset:32 ; 4-byte Folded Reload
	buffer_load_dword v70, off, s[20:23], 0 offset:36 ; 4-byte Folded Reload
	;; [unrolled: 1-line block ×4, first 2 shown]
	s_waitcnt lgkmcnt(0)
	v_mul_f64 v[103:104], v[101:102], v[73:74]
	v_fma_f64 v[103:104], v[99:100], v[97:98], -v[103:104]
	v_mul_f64 v[99:100], v[99:100], v[73:74]
	v_fma_f64 v[99:100], v[101:102], v[97:98], v[99:100]
	s_waitcnt vmcnt(2)
	v_add_f64 v[69:70], v[69:70], -v[103:104]
	s_waitcnt vmcnt(0)
	v_add_f64 v[71:72], v[71:72], -v[99:100]
	buffer_store_dword v69, off, s[20:23], 0 offset:32 ; 4-byte Folded Spill
	s_nop 0
	buffer_store_dword v70, off, s[20:23], 0 offset:36 ; 4-byte Folded Spill
	buffer_store_dword v71, off, s[20:23], 0 offset:40 ; 4-byte Folded Spill
	;; [unrolled: 1-line block ×3, first 2 shown]
	ds_read2_b64 v[99:102], v125 offset0:52 offset1:53
	buffer_load_dword v65, off, s[20:23], 0 offset:16 ; 4-byte Folded Reload
	buffer_load_dword v66, off, s[20:23], 0 offset:20 ; 4-byte Folded Reload
	buffer_load_dword v67, off, s[20:23], 0 offset:24 ; 4-byte Folded Reload
	buffer_load_dword v68, off, s[20:23], 0 offset:28 ; 4-byte Folded Reload
	v_mov_b32_e32 v71, v97
	v_mov_b32_e32 v72, v98
	s_waitcnt lgkmcnt(0)
	v_mul_f64 v[103:104], v[101:102], v[73:74]
	v_fma_f64 v[103:104], v[99:100], v[97:98], -v[103:104]
	v_mul_f64 v[99:100], v[99:100], v[73:74]
	v_fma_f64 v[99:100], v[101:102], v[97:98], v[99:100]
	s_waitcnt vmcnt(2)
	v_add_f64 v[65:66], v[65:66], -v[103:104]
	s_waitcnt vmcnt(0)
	v_add_f64 v[67:68], v[67:68], -v[99:100]
	buffer_store_dword v65, off, s[20:23], 0 offset:16 ; 4-byte Folded Spill
	s_nop 0
	buffer_store_dword v66, off, s[20:23], 0 offset:20 ; 4-byte Folded Spill
	buffer_store_dword v67, off, s[20:23], 0 offset:24 ; 4-byte Folded Spill
	;; [unrolled: 1-line block ×3, first 2 shown]
	v_mov_b32_e32 v68, v64
	v_mov_b32_e32 v67, v63
	;; [unrolled: 1-line block ×4, first 2 shown]
	ds_read2_b64 v[99:102], v125 offset0:54 offset1:55
	buffer_load_dword v61, off, s[20:23], 0 ; 4-byte Folded Reload
	buffer_load_dword v62, off, s[20:23], 0 offset:4 ; 4-byte Folded Reload
	buffer_load_dword v63, off, s[20:23], 0 offset:8 ; 4-byte Folded Reload
	;; [unrolled: 1-line block ×3, first 2 shown]
	s_waitcnt lgkmcnt(0)
	v_mul_f64 v[103:104], v[101:102], v[73:74]
	v_fma_f64 v[103:104], v[99:100], v[97:98], -v[103:104]
	v_mul_f64 v[99:100], v[99:100], v[73:74]
	v_fma_f64 v[99:100], v[101:102], v[97:98], v[99:100]
	s_waitcnt vmcnt(2)
	v_add_f64 v[61:62], v[61:62], -v[103:104]
	s_waitcnt vmcnt(0)
	v_add_f64 v[63:64], v[63:64], -v[99:100]
	buffer_store_dword v61, off, s[20:23], 0 ; 4-byte Folded Spill
	s_nop 0
	buffer_store_dword v62, off, s[20:23], 0 offset:4 ; 4-byte Folded Spill
	buffer_store_dword v63, off, s[20:23], 0 offset:8 ; 4-byte Folded Spill
	;; [unrolled: 1-line block ×3, first 2 shown]
	ds_read2_b64 v[99:102], v125 offset0:56 offset1:57
	s_waitcnt lgkmcnt(0)
	v_mul_f64 v[103:104], v[101:102], v[73:74]
	v_fma_f64 v[103:104], v[99:100], v[97:98], -v[103:104]
	v_mul_f64 v[99:100], v[99:100], v[73:74]
	v_add_f64 v[57:58], v[57:58], -v[103:104]
	v_fma_f64 v[99:100], v[101:102], v[97:98], v[99:100]
	v_add_f64 v[59:60], v[59:60], -v[99:100]
	ds_read2_b64 v[99:102], v125 offset0:58 offset1:59
	s_waitcnt lgkmcnt(0)
	v_mul_f64 v[103:104], v[101:102], v[73:74]
	v_fma_f64 v[103:104], v[99:100], v[97:98], -v[103:104]
	v_mul_f64 v[99:100], v[99:100], v[73:74]
	v_add_f64 v[53:54], v[53:54], -v[103:104]
	v_fma_f64 v[99:100], v[101:102], v[97:98], v[99:100]
	v_add_f64 v[55:56], v[55:56], -v[99:100]
	;; [unrolled: 8-line block ×15, first 2 shown]
	ds_read2_b64 v[99:102], v125 offset0:86 offset1:87
	s_waitcnt lgkmcnt(0)
	v_mul_f64 v[103:104], v[101:102], v[73:74]
	v_fma_f64 v[103:104], v[99:100], v[97:98], -v[103:104]
	v_mul_f64 v[99:100], v[99:100], v[73:74]
	buffer_store_dword v71, off, s[20:23], 0 offset:256 ; 4-byte Folded Spill
	s_nop 0
	buffer_store_dword v72, off, s[20:23], 0 offset:260 ; 4-byte Folded Spill
	buffer_store_dword v73, off, s[20:23], 0 offset:264 ; 4-byte Folded Spill
	;; [unrolled: 1-line block ×3, first 2 shown]
	v_add_f64 v[65:66], v[65:66], -v[103:104]
	v_fma_f64 v[99:100], v[101:102], v[97:98], v[99:100]
	v_add_f64 v[67:68], v[67:68], -v[99:100]
.LBB87_64:
	s_or_b64 exec, exec, s[2:3]
	v_cmp_eq_u32_e32 vcc, 7, v0
	s_waitcnt vmcnt(0)
	s_barrier
	s_and_saveexec_b64 s[4:5], vcc
	s_cbranch_execz .LBB87_71
; %bb.65:
	buffer_load_dword v61, off, s[20:23], 0 offset:240 ; 4-byte Folded Reload
	buffer_load_dword v62, off, s[20:23], 0 offset:244 ; 4-byte Folded Reload
	;; [unrolled: 1-line block ×4, first 2 shown]
	s_waitcnt vmcnt(0)
	ds_write2_b64 v127, v[61:62], v[63:64] offset1:1
	buffer_load_dword v61, off, s[20:23], 0 offset:224 ; 4-byte Folded Reload
	buffer_load_dword v62, off, s[20:23], 0 offset:228 ; 4-byte Folded Reload
	buffer_load_dword v63, off, s[20:23], 0 offset:232 ; 4-byte Folded Reload
	buffer_load_dword v64, off, s[20:23], 0 offset:236 ; 4-byte Folded Reload
	s_waitcnt vmcnt(0)
	ds_write2_b64 v125, v[61:62], v[63:64] offset0:16 offset1:17
	buffer_load_dword v61, off, s[20:23], 0 offset:208 ; 4-byte Folded Reload
	buffer_load_dword v62, off, s[20:23], 0 offset:212 ; 4-byte Folded Reload
	buffer_load_dword v63, off, s[20:23], 0 offset:216 ; 4-byte Folded Reload
	buffer_load_dword v64, off, s[20:23], 0 offset:220 ; 4-byte Folded Reload
	s_waitcnt vmcnt(0)
	ds_write2_b64 v125, v[61:62], v[63:64] offset0:18 offset1:19
	;; [unrolled: 6-line block ×12, first 2 shown]
	ds_write2_b64 v125, v[117:118], v[119:120] offset0:40 offset1:41
	ds_write2_b64 v125, v[121:122], v[123:124] offset0:42 offset1:43
	;; [unrolled: 1-line block ×5, first 2 shown]
	buffer_load_dword v69, off, s[20:23], 0 offset:32 ; 4-byte Folded Reload
	buffer_load_dword v70, off, s[20:23], 0 offset:36 ; 4-byte Folded Reload
	;; [unrolled: 1-line block ×4, first 2 shown]
	v_mov_b32_e32 v61, v65
	v_mov_b32_e32 v62, v66
	v_mov_b32_e32 v63, v67
	v_mov_b32_e32 v64, v68
	s_waitcnt vmcnt(0)
	ds_write2_b64 v125, v[69:70], v[71:72] offset0:50 offset1:51
	buffer_load_dword v65, off, s[20:23], 0 offset:16 ; 4-byte Folded Reload
	buffer_load_dword v66, off, s[20:23], 0 offset:20 ; 4-byte Folded Reload
	;; [unrolled: 1-line block ×4, first 2 shown]
	s_waitcnt vmcnt(0)
	ds_write2_b64 v125, v[65:66], v[67:68] offset0:52 offset1:53
	v_mov_b32_e32 v68, v64
	v_mov_b32_e32 v67, v63
	v_mov_b32_e32 v66, v62
	v_mov_b32_e32 v65, v61
	buffer_load_dword v61, off, s[20:23], 0 ; 4-byte Folded Reload
	buffer_load_dword v62, off, s[20:23], 0 offset:4 ; 4-byte Folded Reload
	buffer_load_dword v63, off, s[20:23], 0 offset:8 ; 4-byte Folded Reload
	;; [unrolled: 1-line block ×3, first 2 shown]
	s_waitcnt vmcnt(0)
	ds_write2_b64 v125, v[61:62], v[63:64] offset0:54 offset1:55
	ds_write2_b64 v125, v[57:58], v[59:60] offset0:56 offset1:57
	;; [unrolled: 1-line block ×17, first 2 shown]
	ds_read2_b64 v[97:100], v127 offset1:1
	s_waitcnt lgkmcnt(0)
	v_cmp_neq_f64_e32 vcc, 0, v[97:98]
	v_cmp_neq_f64_e64 s[2:3], 0, v[99:100]
	s_or_b64 s[2:3], vcc, s[2:3]
	s_and_b64 exec, exec, s[2:3]
	s_cbranch_execz .LBB87_71
; %bb.66:
	v_cmp_ngt_f64_e64 s[2:3], |v[97:98]|, |v[99:100]|
                                        ; implicit-def: $vgpr101_vgpr102
	s_and_saveexec_b64 s[6:7], s[2:3]
	s_xor_b64 s[2:3], exec, s[6:7]
                                        ; implicit-def: $vgpr103_vgpr104
	s_cbranch_execz .LBB87_68
; %bb.67:
	v_div_scale_f64 v[101:102], s[6:7], v[99:100], v[99:100], v[97:98]
	v_rcp_f64_e32 v[103:104], v[101:102]
	v_fma_f64 v[105:106], -v[101:102], v[103:104], 1.0
	v_fma_f64 v[103:104], v[103:104], v[105:106], v[103:104]
	v_div_scale_f64 v[105:106], vcc, v[97:98], v[99:100], v[97:98]
	v_fma_f64 v[107:108], -v[101:102], v[103:104], 1.0
	v_fma_f64 v[103:104], v[103:104], v[107:108], v[103:104]
	v_mul_f64 v[107:108], v[105:106], v[103:104]
	v_fma_f64 v[101:102], -v[101:102], v[107:108], v[105:106]
	v_div_fmas_f64 v[101:102], v[101:102], v[103:104], v[107:108]
	v_div_fixup_f64 v[101:102], v[101:102], v[99:100], v[97:98]
	v_fma_f64 v[97:98], v[97:98], v[101:102], v[99:100]
	v_div_scale_f64 v[99:100], s[6:7], v[97:98], v[97:98], 1.0
	v_div_scale_f64 v[107:108], vcc, 1.0, v[97:98], 1.0
	v_rcp_f64_e32 v[103:104], v[99:100]
	v_fma_f64 v[105:106], -v[99:100], v[103:104], 1.0
	v_fma_f64 v[103:104], v[103:104], v[105:106], v[103:104]
	v_fma_f64 v[105:106], -v[99:100], v[103:104], 1.0
	v_fma_f64 v[103:104], v[103:104], v[105:106], v[103:104]
	v_mul_f64 v[105:106], v[107:108], v[103:104]
	v_fma_f64 v[99:100], -v[99:100], v[105:106], v[107:108]
	v_div_fmas_f64 v[99:100], v[99:100], v[103:104], v[105:106]
	v_div_fixup_f64 v[103:104], v[99:100], v[97:98], 1.0
                                        ; implicit-def: $vgpr97_vgpr98
	v_mul_f64 v[101:102], v[101:102], v[103:104]
	v_xor_b32_e32 v104, 0x80000000, v104
.LBB87_68:
	s_andn2_saveexec_b64 s[2:3], s[2:3]
	s_cbranch_execz .LBB87_70
; %bb.69:
	v_div_scale_f64 v[101:102], s[6:7], v[97:98], v[97:98], v[99:100]
	v_rcp_f64_e32 v[103:104], v[101:102]
	v_fma_f64 v[105:106], -v[101:102], v[103:104], 1.0
	v_fma_f64 v[103:104], v[103:104], v[105:106], v[103:104]
	v_div_scale_f64 v[105:106], vcc, v[99:100], v[97:98], v[99:100]
	v_fma_f64 v[107:108], -v[101:102], v[103:104], 1.0
	v_fma_f64 v[103:104], v[103:104], v[107:108], v[103:104]
	v_mul_f64 v[107:108], v[105:106], v[103:104]
	v_fma_f64 v[101:102], -v[101:102], v[107:108], v[105:106]
	v_div_fmas_f64 v[101:102], v[101:102], v[103:104], v[107:108]
	v_div_fixup_f64 v[103:104], v[101:102], v[97:98], v[99:100]
	v_fma_f64 v[97:98], v[99:100], v[103:104], v[97:98]
	v_div_scale_f64 v[99:100], s[6:7], v[97:98], v[97:98], 1.0
	v_div_scale_f64 v[107:108], vcc, 1.0, v[97:98], 1.0
	v_rcp_f64_e32 v[101:102], v[99:100]
	v_fma_f64 v[105:106], -v[99:100], v[101:102], 1.0
	v_fma_f64 v[101:102], v[101:102], v[105:106], v[101:102]
	v_fma_f64 v[105:106], -v[99:100], v[101:102], 1.0
	v_fma_f64 v[101:102], v[101:102], v[105:106], v[101:102]
	v_mul_f64 v[105:106], v[107:108], v[101:102]
	v_fma_f64 v[99:100], -v[99:100], v[105:106], v[107:108]
	v_div_fmas_f64 v[99:100], v[99:100], v[101:102], v[105:106]
	v_div_fixup_f64 v[101:102], v[99:100], v[97:98], 1.0
	v_mul_f64 v[103:104], v[103:104], -v[101:102]
.LBB87_70:
	s_or_b64 exec, exec, s[2:3]
	ds_write2_b64 v127, v[101:102], v[103:104] offset1:1
.LBB87_71:
	s_or_b64 exec, exec, s[4:5]
	s_waitcnt lgkmcnt(0)
	s_barrier
	ds_read2_b64 v[61:64], v127 offset1:1
	v_cmp_lt_u32_e32 vcc, 7, v0
	s_waitcnt lgkmcnt(0)
	buffer_store_dword v61, off, s[20:23], 0 offset:792 ; 4-byte Folded Spill
	s_nop 0
	buffer_store_dword v62, off, s[20:23], 0 offset:796 ; 4-byte Folded Spill
	buffer_store_dword v63, off, s[20:23], 0 offset:800 ; 4-byte Folded Spill
	;; [unrolled: 1-line block ×3, first 2 shown]
	s_and_saveexec_b64 s[2:3], vcc
	s_cbranch_execz .LBB87_73
; %bb.72:
	buffer_load_dword v71, off, s[20:23], 0 offset:240 ; 4-byte Folded Reload
	buffer_load_dword v72, off, s[20:23], 0 offset:244 ; 4-byte Folded Reload
	;; [unrolled: 1-line block ×8, first 2 shown]
	s_waitcnt vmcnt(2)
	v_mul_f64 v[99:100], v[61:62], v[73:74]
	s_waitcnt vmcnt(0)
	v_mul_f64 v[97:98], v[63:64], v[73:74]
	v_fma_f64 v[73:74], v[63:64], v[71:72], v[99:100]
	ds_read2_b64 v[99:102], v125 offset0:16 offset1:17
	v_fma_f64 v[97:98], v[61:62], v[71:72], -v[97:98]
	buffer_load_dword v61, off, s[20:23], 0 offset:224 ; 4-byte Folded Reload
	buffer_load_dword v62, off, s[20:23], 0 offset:228 ; 4-byte Folded Reload
	buffer_load_dword v63, off, s[20:23], 0 offset:232 ; 4-byte Folded Reload
	buffer_load_dword v64, off, s[20:23], 0 offset:236 ; 4-byte Folded Reload
	s_waitcnt lgkmcnt(0)
	v_mul_f64 v[103:104], v[101:102], v[73:74]
	v_fma_f64 v[103:104], v[99:100], v[97:98], -v[103:104]
	v_mul_f64 v[99:100], v[99:100], v[73:74]
	v_fma_f64 v[99:100], v[101:102], v[97:98], v[99:100]
	s_waitcnt vmcnt(2)
	v_add_f64 v[61:62], v[61:62], -v[103:104]
	s_waitcnt vmcnt(0)
	v_add_f64 v[63:64], v[63:64], -v[99:100]
	buffer_store_dword v61, off, s[20:23], 0 offset:224 ; 4-byte Folded Spill
	s_nop 0
	buffer_store_dword v62, off, s[20:23], 0 offset:228 ; 4-byte Folded Spill
	buffer_store_dword v63, off, s[20:23], 0 offset:232 ; 4-byte Folded Spill
	buffer_store_dword v64, off, s[20:23], 0 offset:236 ; 4-byte Folded Spill
	ds_read2_b64 v[99:102], v125 offset0:18 offset1:19
	buffer_load_dword v61, off, s[20:23], 0 offset:208 ; 4-byte Folded Reload
	buffer_load_dword v62, off, s[20:23], 0 offset:212 ; 4-byte Folded Reload
	buffer_load_dword v63, off, s[20:23], 0 offset:216 ; 4-byte Folded Reload
	buffer_load_dword v64, off, s[20:23], 0 offset:220 ; 4-byte Folded Reload
	s_waitcnt lgkmcnt(0)
	v_mul_f64 v[103:104], v[101:102], v[73:74]
	v_fma_f64 v[103:104], v[99:100], v[97:98], -v[103:104]
	v_mul_f64 v[99:100], v[99:100], v[73:74]
	v_fma_f64 v[99:100], v[101:102], v[97:98], v[99:100]
	s_waitcnt vmcnt(2)
	v_add_f64 v[61:62], v[61:62], -v[103:104]
	s_waitcnt vmcnt(0)
	v_add_f64 v[63:64], v[63:64], -v[99:100]
	buffer_store_dword v61, off, s[20:23], 0 offset:208 ; 4-byte Folded Spill
	s_nop 0
	buffer_store_dword v62, off, s[20:23], 0 offset:212 ; 4-byte Folded Spill
	buffer_store_dword v63, off, s[20:23], 0 offset:216 ; 4-byte Folded Spill
	buffer_store_dword v64, off, s[20:23], 0 offset:220 ; 4-byte Folded Spill
	ds_read2_b64 v[99:102], v125 offset0:20 offset1:21
	;; [unrolled: 19-line block ×12, first 2 shown]
	v_mov_b32_e32 v61, v65
	v_mov_b32_e32 v62, v66
	;; [unrolled: 1-line block ×4, first 2 shown]
	s_waitcnt lgkmcnt(0)
	v_mul_f64 v[103:104], v[101:102], v[73:74]
	v_fma_f64 v[103:104], v[99:100], v[97:98], -v[103:104]
	v_mul_f64 v[99:100], v[99:100], v[73:74]
	v_add_f64 v[117:118], v[117:118], -v[103:104]
	v_fma_f64 v[99:100], v[101:102], v[97:98], v[99:100]
	v_add_f64 v[119:120], v[119:120], -v[99:100]
	ds_read2_b64 v[99:102], v125 offset0:42 offset1:43
	s_waitcnt lgkmcnt(0)
	v_mul_f64 v[103:104], v[101:102], v[73:74]
	v_fma_f64 v[103:104], v[99:100], v[97:98], -v[103:104]
	v_mul_f64 v[99:100], v[99:100], v[73:74]
	v_add_f64 v[121:122], v[121:122], -v[103:104]
	v_fma_f64 v[99:100], v[101:102], v[97:98], v[99:100]
	v_add_f64 v[123:124], v[123:124], -v[99:100]
	ds_read2_b64 v[99:102], v125 offset0:44 offset1:45
	;; [unrolled: 8-line block ×5, first 2 shown]
	buffer_load_dword v69, off, s[20:23], 0 offset:32 ; 4-byte Folded Reload
	buffer_load_dword v70, off, s[20:23], 0 offset:36 ; 4-byte Folded Reload
	buffer_load_dword v71, off, s[20:23], 0 offset:40 ; 4-byte Folded Reload
	buffer_load_dword v72, off, s[20:23], 0 offset:44 ; 4-byte Folded Reload
	s_waitcnt lgkmcnt(0)
	v_mul_f64 v[103:104], v[101:102], v[73:74]
	v_fma_f64 v[103:104], v[99:100], v[97:98], -v[103:104]
	v_mul_f64 v[99:100], v[99:100], v[73:74]
	v_fma_f64 v[99:100], v[101:102], v[97:98], v[99:100]
	s_waitcnt vmcnt(2)
	v_add_f64 v[69:70], v[69:70], -v[103:104]
	s_waitcnt vmcnt(0)
	v_add_f64 v[71:72], v[71:72], -v[99:100]
	buffer_store_dword v69, off, s[20:23], 0 offset:32 ; 4-byte Folded Spill
	s_nop 0
	buffer_store_dword v70, off, s[20:23], 0 offset:36 ; 4-byte Folded Spill
	buffer_store_dword v71, off, s[20:23], 0 offset:40 ; 4-byte Folded Spill
	buffer_store_dword v72, off, s[20:23], 0 offset:44 ; 4-byte Folded Spill
	ds_read2_b64 v[99:102], v125 offset0:52 offset1:53
	buffer_load_dword v65, off, s[20:23], 0 offset:16 ; 4-byte Folded Reload
	buffer_load_dword v66, off, s[20:23], 0 offset:20 ; 4-byte Folded Reload
	;; [unrolled: 1-line block ×4, first 2 shown]
	v_mov_b32_e32 v71, v97
	v_mov_b32_e32 v72, v98
	s_waitcnt lgkmcnt(0)
	v_mul_f64 v[103:104], v[101:102], v[73:74]
	v_fma_f64 v[103:104], v[99:100], v[97:98], -v[103:104]
	v_mul_f64 v[99:100], v[99:100], v[73:74]
	v_fma_f64 v[99:100], v[101:102], v[97:98], v[99:100]
	s_waitcnt vmcnt(2)
	v_add_f64 v[65:66], v[65:66], -v[103:104]
	s_waitcnt vmcnt(0)
	v_add_f64 v[67:68], v[67:68], -v[99:100]
	buffer_store_dword v65, off, s[20:23], 0 offset:16 ; 4-byte Folded Spill
	s_nop 0
	buffer_store_dword v66, off, s[20:23], 0 offset:20 ; 4-byte Folded Spill
	buffer_store_dword v67, off, s[20:23], 0 offset:24 ; 4-byte Folded Spill
	;; [unrolled: 1-line block ×3, first 2 shown]
	v_mov_b32_e32 v68, v64
	v_mov_b32_e32 v67, v63
	v_mov_b32_e32 v66, v62
	v_mov_b32_e32 v65, v61
	ds_read2_b64 v[99:102], v125 offset0:54 offset1:55
	buffer_load_dword v61, off, s[20:23], 0 ; 4-byte Folded Reload
	buffer_load_dword v62, off, s[20:23], 0 offset:4 ; 4-byte Folded Reload
	buffer_load_dword v63, off, s[20:23], 0 offset:8 ; 4-byte Folded Reload
	;; [unrolled: 1-line block ×3, first 2 shown]
	s_waitcnt lgkmcnt(0)
	v_mul_f64 v[103:104], v[101:102], v[73:74]
	v_fma_f64 v[103:104], v[99:100], v[97:98], -v[103:104]
	v_mul_f64 v[99:100], v[99:100], v[73:74]
	v_fma_f64 v[99:100], v[101:102], v[97:98], v[99:100]
	s_waitcnt vmcnt(2)
	v_add_f64 v[61:62], v[61:62], -v[103:104]
	s_waitcnt vmcnt(0)
	v_add_f64 v[63:64], v[63:64], -v[99:100]
	buffer_store_dword v61, off, s[20:23], 0 ; 4-byte Folded Spill
	s_nop 0
	buffer_store_dword v62, off, s[20:23], 0 offset:4 ; 4-byte Folded Spill
	buffer_store_dword v63, off, s[20:23], 0 offset:8 ; 4-byte Folded Spill
	;; [unrolled: 1-line block ×3, first 2 shown]
	ds_read2_b64 v[99:102], v125 offset0:56 offset1:57
	s_waitcnt lgkmcnt(0)
	v_mul_f64 v[103:104], v[101:102], v[73:74]
	v_fma_f64 v[103:104], v[99:100], v[97:98], -v[103:104]
	v_mul_f64 v[99:100], v[99:100], v[73:74]
	v_add_f64 v[57:58], v[57:58], -v[103:104]
	v_fma_f64 v[99:100], v[101:102], v[97:98], v[99:100]
	v_add_f64 v[59:60], v[59:60], -v[99:100]
	ds_read2_b64 v[99:102], v125 offset0:58 offset1:59
	s_waitcnt lgkmcnt(0)
	v_mul_f64 v[103:104], v[101:102], v[73:74]
	v_fma_f64 v[103:104], v[99:100], v[97:98], -v[103:104]
	v_mul_f64 v[99:100], v[99:100], v[73:74]
	v_add_f64 v[53:54], v[53:54], -v[103:104]
	v_fma_f64 v[99:100], v[101:102], v[97:98], v[99:100]
	v_add_f64 v[55:56], v[55:56], -v[99:100]
	;; [unrolled: 8-line block ×15, first 2 shown]
	ds_read2_b64 v[99:102], v125 offset0:86 offset1:87
	s_waitcnt lgkmcnt(0)
	v_mul_f64 v[103:104], v[101:102], v[73:74]
	v_fma_f64 v[103:104], v[99:100], v[97:98], -v[103:104]
	v_mul_f64 v[99:100], v[99:100], v[73:74]
	buffer_store_dword v71, off, s[20:23], 0 offset:240 ; 4-byte Folded Spill
	s_nop 0
	buffer_store_dword v72, off, s[20:23], 0 offset:244 ; 4-byte Folded Spill
	buffer_store_dword v73, off, s[20:23], 0 offset:248 ; 4-byte Folded Spill
	;; [unrolled: 1-line block ×3, first 2 shown]
	v_add_f64 v[65:66], v[65:66], -v[103:104]
	v_fma_f64 v[99:100], v[101:102], v[97:98], v[99:100]
	v_add_f64 v[67:68], v[67:68], -v[99:100]
.LBB87_73:
	s_or_b64 exec, exec, s[2:3]
	v_cmp_eq_u32_e32 vcc, 8, v0
	s_waitcnt vmcnt(0)
	s_barrier
	s_and_saveexec_b64 s[4:5], vcc
	s_cbranch_execz .LBB87_80
; %bb.74:
	buffer_load_dword v61, off, s[20:23], 0 offset:224 ; 4-byte Folded Reload
	buffer_load_dword v62, off, s[20:23], 0 offset:228 ; 4-byte Folded Reload
	;; [unrolled: 1-line block ×4, first 2 shown]
	s_waitcnt vmcnt(0)
	ds_write2_b64 v127, v[61:62], v[63:64] offset1:1
	buffer_load_dword v61, off, s[20:23], 0 offset:208 ; 4-byte Folded Reload
	buffer_load_dword v62, off, s[20:23], 0 offset:212 ; 4-byte Folded Reload
	buffer_load_dword v63, off, s[20:23], 0 offset:216 ; 4-byte Folded Reload
	buffer_load_dword v64, off, s[20:23], 0 offset:220 ; 4-byte Folded Reload
	s_waitcnt vmcnt(0)
	ds_write2_b64 v125, v[61:62], v[63:64] offset0:18 offset1:19
	buffer_load_dword v61, off, s[20:23], 0 offset:192 ; 4-byte Folded Reload
	buffer_load_dword v62, off, s[20:23], 0 offset:196 ; 4-byte Folded Reload
	buffer_load_dword v63, off, s[20:23], 0 offset:200 ; 4-byte Folded Reload
	buffer_load_dword v64, off, s[20:23], 0 offset:204 ; 4-byte Folded Reload
	s_waitcnt vmcnt(0)
	ds_write2_b64 v125, v[61:62], v[63:64] offset0:20 offset1:21
	;; [unrolled: 6-line block ×11, first 2 shown]
	ds_write2_b64 v125, v[117:118], v[119:120] offset0:40 offset1:41
	ds_write2_b64 v125, v[121:122], v[123:124] offset0:42 offset1:43
	;; [unrolled: 1-line block ×5, first 2 shown]
	buffer_load_dword v69, off, s[20:23], 0 offset:32 ; 4-byte Folded Reload
	buffer_load_dword v70, off, s[20:23], 0 offset:36 ; 4-byte Folded Reload
	;; [unrolled: 1-line block ×4, first 2 shown]
	v_mov_b32_e32 v61, v65
	v_mov_b32_e32 v62, v66
	;; [unrolled: 1-line block ×4, first 2 shown]
	s_waitcnt vmcnt(0)
	ds_write2_b64 v125, v[69:70], v[71:72] offset0:50 offset1:51
	buffer_load_dword v65, off, s[20:23], 0 offset:16 ; 4-byte Folded Reload
	buffer_load_dword v66, off, s[20:23], 0 offset:20 ; 4-byte Folded Reload
	;; [unrolled: 1-line block ×4, first 2 shown]
	s_waitcnt vmcnt(0)
	ds_write2_b64 v125, v[65:66], v[67:68] offset0:52 offset1:53
	v_mov_b32_e32 v68, v64
	v_mov_b32_e32 v67, v63
	;; [unrolled: 1-line block ×4, first 2 shown]
	buffer_load_dword v61, off, s[20:23], 0 ; 4-byte Folded Reload
	buffer_load_dword v62, off, s[20:23], 0 offset:4 ; 4-byte Folded Reload
	buffer_load_dword v63, off, s[20:23], 0 offset:8 ; 4-byte Folded Reload
	;; [unrolled: 1-line block ×3, first 2 shown]
	s_waitcnt vmcnt(0)
	ds_write2_b64 v125, v[61:62], v[63:64] offset0:54 offset1:55
	ds_write2_b64 v125, v[57:58], v[59:60] offset0:56 offset1:57
	;; [unrolled: 1-line block ×17, first 2 shown]
	ds_read2_b64 v[97:100], v127 offset1:1
	s_waitcnt lgkmcnt(0)
	v_cmp_neq_f64_e32 vcc, 0, v[97:98]
	v_cmp_neq_f64_e64 s[2:3], 0, v[99:100]
	s_or_b64 s[2:3], vcc, s[2:3]
	s_and_b64 exec, exec, s[2:3]
	s_cbranch_execz .LBB87_80
; %bb.75:
	v_cmp_ngt_f64_e64 s[2:3], |v[97:98]|, |v[99:100]|
                                        ; implicit-def: $vgpr101_vgpr102
	s_and_saveexec_b64 s[6:7], s[2:3]
	s_xor_b64 s[2:3], exec, s[6:7]
                                        ; implicit-def: $vgpr103_vgpr104
	s_cbranch_execz .LBB87_77
; %bb.76:
	v_div_scale_f64 v[101:102], s[6:7], v[99:100], v[99:100], v[97:98]
	v_rcp_f64_e32 v[103:104], v[101:102]
	v_fma_f64 v[105:106], -v[101:102], v[103:104], 1.0
	v_fma_f64 v[103:104], v[103:104], v[105:106], v[103:104]
	v_div_scale_f64 v[105:106], vcc, v[97:98], v[99:100], v[97:98]
	v_fma_f64 v[107:108], -v[101:102], v[103:104], 1.0
	v_fma_f64 v[103:104], v[103:104], v[107:108], v[103:104]
	v_mul_f64 v[107:108], v[105:106], v[103:104]
	v_fma_f64 v[101:102], -v[101:102], v[107:108], v[105:106]
	v_div_fmas_f64 v[101:102], v[101:102], v[103:104], v[107:108]
	v_div_fixup_f64 v[101:102], v[101:102], v[99:100], v[97:98]
	v_fma_f64 v[97:98], v[97:98], v[101:102], v[99:100]
	v_div_scale_f64 v[99:100], s[6:7], v[97:98], v[97:98], 1.0
	v_div_scale_f64 v[107:108], vcc, 1.0, v[97:98], 1.0
	v_rcp_f64_e32 v[103:104], v[99:100]
	v_fma_f64 v[105:106], -v[99:100], v[103:104], 1.0
	v_fma_f64 v[103:104], v[103:104], v[105:106], v[103:104]
	v_fma_f64 v[105:106], -v[99:100], v[103:104], 1.0
	v_fma_f64 v[103:104], v[103:104], v[105:106], v[103:104]
	v_mul_f64 v[105:106], v[107:108], v[103:104]
	v_fma_f64 v[99:100], -v[99:100], v[105:106], v[107:108]
	v_div_fmas_f64 v[99:100], v[99:100], v[103:104], v[105:106]
	v_div_fixup_f64 v[103:104], v[99:100], v[97:98], 1.0
                                        ; implicit-def: $vgpr97_vgpr98
	v_mul_f64 v[101:102], v[101:102], v[103:104]
	v_xor_b32_e32 v104, 0x80000000, v104
.LBB87_77:
	s_andn2_saveexec_b64 s[2:3], s[2:3]
	s_cbranch_execz .LBB87_79
; %bb.78:
	v_div_scale_f64 v[101:102], s[6:7], v[97:98], v[97:98], v[99:100]
	v_rcp_f64_e32 v[103:104], v[101:102]
	v_fma_f64 v[105:106], -v[101:102], v[103:104], 1.0
	v_fma_f64 v[103:104], v[103:104], v[105:106], v[103:104]
	v_div_scale_f64 v[105:106], vcc, v[99:100], v[97:98], v[99:100]
	v_fma_f64 v[107:108], -v[101:102], v[103:104], 1.0
	v_fma_f64 v[103:104], v[103:104], v[107:108], v[103:104]
	v_mul_f64 v[107:108], v[105:106], v[103:104]
	v_fma_f64 v[101:102], -v[101:102], v[107:108], v[105:106]
	v_div_fmas_f64 v[101:102], v[101:102], v[103:104], v[107:108]
	v_div_fixup_f64 v[103:104], v[101:102], v[97:98], v[99:100]
	v_fma_f64 v[97:98], v[99:100], v[103:104], v[97:98]
	v_div_scale_f64 v[99:100], s[6:7], v[97:98], v[97:98], 1.0
	v_div_scale_f64 v[107:108], vcc, 1.0, v[97:98], 1.0
	v_rcp_f64_e32 v[101:102], v[99:100]
	v_fma_f64 v[105:106], -v[99:100], v[101:102], 1.0
	v_fma_f64 v[101:102], v[101:102], v[105:106], v[101:102]
	v_fma_f64 v[105:106], -v[99:100], v[101:102], 1.0
	v_fma_f64 v[101:102], v[101:102], v[105:106], v[101:102]
	v_mul_f64 v[105:106], v[107:108], v[101:102]
	v_fma_f64 v[99:100], -v[99:100], v[105:106], v[107:108]
	v_div_fmas_f64 v[99:100], v[99:100], v[101:102], v[105:106]
	v_div_fixup_f64 v[101:102], v[99:100], v[97:98], 1.0
	v_mul_f64 v[103:104], v[103:104], -v[101:102]
.LBB87_79:
	s_or_b64 exec, exec, s[2:3]
	ds_write2_b64 v127, v[101:102], v[103:104] offset1:1
.LBB87_80:
	s_or_b64 exec, exec, s[4:5]
	s_waitcnt lgkmcnt(0)
	s_barrier
	ds_read2_b64 v[61:64], v127 offset1:1
	v_cmp_lt_u32_e32 vcc, 8, v0
	s_waitcnt lgkmcnt(0)
	buffer_store_dword v61, off, s[20:23], 0 offset:808 ; 4-byte Folded Spill
	s_nop 0
	buffer_store_dword v62, off, s[20:23], 0 offset:812 ; 4-byte Folded Spill
	buffer_store_dword v63, off, s[20:23], 0 offset:816 ; 4-byte Folded Spill
	;; [unrolled: 1-line block ×3, first 2 shown]
	s_and_saveexec_b64 s[2:3], vcc
	s_cbranch_execz .LBB87_82
; %bb.81:
	buffer_load_dword v71, off, s[20:23], 0 offset:224 ; 4-byte Folded Reload
	buffer_load_dword v72, off, s[20:23], 0 offset:228 ; 4-byte Folded Reload
	;; [unrolled: 1-line block ×8, first 2 shown]
	s_waitcnt vmcnt(2)
	v_mul_f64 v[99:100], v[61:62], v[73:74]
	s_waitcnt vmcnt(0)
	v_mul_f64 v[97:98], v[63:64], v[73:74]
	v_fma_f64 v[73:74], v[63:64], v[71:72], v[99:100]
	ds_read2_b64 v[99:102], v125 offset0:18 offset1:19
	v_fma_f64 v[97:98], v[61:62], v[71:72], -v[97:98]
	buffer_load_dword v61, off, s[20:23], 0 offset:208 ; 4-byte Folded Reload
	buffer_load_dword v62, off, s[20:23], 0 offset:212 ; 4-byte Folded Reload
	buffer_load_dword v63, off, s[20:23], 0 offset:216 ; 4-byte Folded Reload
	buffer_load_dword v64, off, s[20:23], 0 offset:220 ; 4-byte Folded Reload
	s_waitcnt lgkmcnt(0)
	v_mul_f64 v[103:104], v[101:102], v[73:74]
	v_fma_f64 v[103:104], v[99:100], v[97:98], -v[103:104]
	v_mul_f64 v[99:100], v[99:100], v[73:74]
	v_fma_f64 v[99:100], v[101:102], v[97:98], v[99:100]
	s_waitcnt vmcnt(2)
	v_add_f64 v[61:62], v[61:62], -v[103:104]
	s_waitcnt vmcnt(0)
	v_add_f64 v[63:64], v[63:64], -v[99:100]
	buffer_store_dword v61, off, s[20:23], 0 offset:208 ; 4-byte Folded Spill
	s_nop 0
	buffer_store_dword v62, off, s[20:23], 0 offset:212 ; 4-byte Folded Spill
	buffer_store_dword v63, off, s[20:23], 0 offset:216 ; 4-byte Folded Spill
	buffer_store_dword v64, off, s[20:23], 0 offset:220 ; 4-byte Folded Spill
	ds_read2_b64 v[99:102], v125 offset0:20 offset1:21
	buffer_load_dword v61, off, s[20:23], 0 offset:192 ; 4-byte Folded Reload
	buffer_load_dword v62, off, s[20:23], 0 offset:196 ; 4-byte Folded Reload
	buffer_load_dword v63, off, s[20:23], 0 offset:200 ; 4-byte Folded Reload
	buffer_load_dword v64, off, s[20:23], 0 offset:204 ; 4-byte Folded Reload
	s_waitcnt lgkmcnt(0)
	v_mul_f64 v[103:104], v[101:102], v[73:74]
	v_fma_f64 v[103:104], v[99:100], v[97:98], -v[103:104]
	v_mul_f64 v[99:100], v[99:100], v[73:74]
	v_fma_f64 v[99:100], v[101:102], v[97:98], v[99:100]
	s_waitcnt vmcnt(2)
	v_add_f64 v[61:62], v[61:62], -v[103:104]
	s_waitcnt vmcnt(0)
	v_add_f64 v[63:64], v[63:64], -v[99:100]
	buffer_store_dword v61, off, s[20:23], 0 offset:192 ; 4-byte Folded Spill
	s_nop 0
	buffer_store_dword v62, off, s[20:23], 0 offset:196 ; 4-byte Folded Spill
	buffer_store_dword v63, off, s[20:23], 0 offset:200 ; 4-byte Folded Spill
	buffer_store_dword v64, off, s[20:23], 0 offset:204 ; 4-byte Folded Spill
	ds_read2_b64 v[99:102], v125 offset0:22 offset1:23
	buffer_load_dword v61, off, s[20:23], 0 offset:176 ; 4-byte Folded Reload
	buffer_load_dword v62, off, s[20:23], 0 offset:180 ; 4-byte Folded Reload
	buffer_load_dword v63, off, s[20:23], 0 offset:184 ; 4-byte Folded Reload
	buffer_load_dword v64, off, s[20:23], 0 offset:188 ; 4-byte Folded Reload
	s_waitcnt lgkmcnt(0)
	v_mul_f64 v[103:104], v[101:102], v[73:74]
	v_fma_f64 v[103:104], v[99:100], v[97:98], -v[103:104]
	v_mul_f64 v[99:100], v[99:100], v[73:74]
	v_fma_f64 v[99:100], v[101:102], v[97:98], v[99:100]
	s_waitcnt vmcnt(2)
	v_add_f64 v[61:62], v[61:62], -v[103:104]
	s_waitcnt vmcnt(0)
	v_add_f64 v[63:64], v[63:64], -v[99:100]
	buffer_store_dword v61, off, s[20:23], 0 offset:176 ; 4-byte Folded Spill
	s_nop 0
	buffer_store_dword v62, off, s[20:23], 0 offset:180 ; 4-byte Folded Spill
	buffer_store_dword v63, off, s[20:23], 0 offset:184 ; 4-byte Folded Spill
	buffer_store_dword v64, off, s[20:23], 0 offset:188 ; 4-byte Folded Spill
	ds_read2_b64 v[99:102], v125 offset0:24 offset1:25
	buffer_load_dword v61, off, s[20:23], 0 offset:160 ; 4-byte Folded Reload
	buffer_load_dword v62, off, s[20:23], 0 offset:164 ; 4-byte Folded Reload
	buffer_load_dword v63, off, s[20:23], 0 offset:168 ; 4-byte Folded Reload
	buffer_load_dword v64, off, s[20:23], 0 offset:172 ; 4-byte Folded Reload
	s_waitcnt lgkmcnt(0)
	v_mul_f64 v[103:104], v[101:102], v[73:74]
	v_fma_f64 v[103:104], v[99:100], v[97:98], -v[103:104]
	v_mul_f64 v[99:100], v[99:100], v[73:74]
	v_fma_f64 v[99:100], v[101:102], v[97:98], v[99:100]
	s_waitcnt vmcnt(2)
	v_add_f64 v[61:62], v[61:62], -v[103:104]
	s_waitcnt vmcnt(0)
	v_add_f64 v[63:64], v[63:64], -v[99:100]
	buffer_store_dword v61, off, s[20:23], 0 offset:160 ; 4-byte Folded Spill
	s_nop 0
	buffer_store_dword v62, off, s[20:23], 0 offset:164 ; 4-byte Folded Spill
	buffer_store_dword v63, off, s[20:23], 0 offset:168 ; 4-byte Folded Spill
	buffer_store_dword v64, off, s[20:23], 0 offset:172 ; 4-byte Folded Spill
	ds_read2_b64 v[99:102], v125 offset0:26 offset1:27
	buffer_load_dword v61, off, s[20:23], 0 offset:144 ; 4-byte Folded Reload
	buffer_load_dword v62, off, s[20:23], 0 offset:148 ; 4-byte Folded Reload
	buffer_load_dword v63, off, s[20:23], 0 offset:152 ; 4-byte Folded Reload
	buffer_load_dword v64, off, s[20:23], 0 offset:156 ; 4-byte Folded Reload
	s_waitcnt lgkmcnt(0)
	v_mul_f64 v[103:104], v[101:102], v[73:74]
	v_fma_f64 v[103:104], v[99:100], v[97:98], -v[103:104]
	v_mul_f64 v[99:100], v[99:100], v[73:74]
	v_fma_f64 v[99:100], v[101:102], v[97:98], v[99:100]
	s_waitcnt vmcnt(2)
	v_add_f64 v[61:62], v[61:62], -v[103:104]
	s_waitcnt vmcnt(0)
	v_add_f64 v[63:64], v[63:64], -v[99:100]
	buffer_store_dword v61, off, s[20:23], 0 offset:144 ; 4-byte Folded Spill
	s_nop 0
	buffer_store_dword v62, off, s[20:23], 0 offset:148 ; 4-byte Folded Spill
	buffer_store_dword v63, off, s[20:23], 0 offset:152 ; 4-byte Folded Spill
	buffer_store_dword v64, off, s[20:23], 0 offset:156 ; 4-byte Folded Spill
	ds_read2_b64 v[99:102], v125 offset0:28 offset1:29
	buffer_load_dword v61, off, s[20:23], 0 offset:128 ; 4-byte Folded Reload
	buffer_load_dword v62, off, s[20:23], 0 offset:132 ; 4-byte Folded Reload
	buffer_load_dword v63, off, s[20:23], 0 offset:136 ; 4-byte Folded Reload
	buffer_load_dword v64, off, s[20:23], 0 offset:140 ; 4-byte Folded Reload
	s_waitcnt lgkmcnt(0)
	v_mul_f64 v[103:104], v[101:102], v[73:74]
	v_fma_f64 v[103:104], v[99:100], v[97:98], -v[103:104]
	v_mul_f64 v[99:100], v[99:100], v[73:74]
	v_fma_f64 v[99:100], v[101:102], v[97:98], v[99:100]
	s_waitcnt vmcnt(2)
	v_add_f64 v[61:62], v[61:62], -v[103:104]
	s_waitcnt vmcnt(0)
	v_add_f64 v[63:64], v[63:64], -v[99:100]
	buffer_store_dword v61, off, s[20:23], 0 offset:128 ; 4-byte Folded Spill
	s_nop 0
	buffer_store_dword v62, off, s[20:23], 0 offset:132 ; 4-byte Folded Spill
	buffer_store_dword v63, off, s[20:23], 0 offset:136 ; 4-byte Folded Spill
	buffer_store_dword v64, off, s[20:23], 0 offset:140 ; 4-byte Folded Spill
	ds_read2_b64 v[99:102], v125 offset0:30 offset1:31
	buffer_load_dword v61, off, s[20:23], 0 offset:112 ; 4-byte Folded Reload
	buffer_load_dword v62, off, s[20:23], 0 offset:116 ; 4-byte Folded Reload
	buffer_load_dword v63, off, s[20:23], 0 offset:120 ; 4-byte Folded Reload
	buffer_load_dword v64, off, s[20:23], 0 offset:124 ; 4-byte Folded Reload
	s_waitcnt lgkmcnt(0)
	v_mul_f64 v[103:104], v[101:102], v[73:74]
	v_fma_f64 v[103:104], v[99:100], v[97:98], -v[103:104]
	v_mul_f64 v[99:100], v[99:100], v[73:74]
	v_fma_f64 v[99:100], v[101:102], v[97:98], v[99:100]
	s_waitcnt vmcnt(2)
	v_add_f64 v[61:62], v[61:62], -v[103:104]
	s_waitcnt vmcnt(0)
	v_add_f64 v[63:64], v[63:64], -v[99:100]
	buffer_store_dword v61, off, s[20:23], 0 offset:112 ; 4-byte Folded Spill
	s_nop 0
	buffer_store_dword v62, off, s[20:23], 0 offset:116 ; 4-byte Folded Spill
	buffer_store_dword v63, off, s[20:23], 0 offset:120 ; 4-byte Folded Spill
	buffer_store_dword v64, off, s[20:23], 0 offset:124 ; 4-byte Folded Spill
	ds_read2_b64 v[99:102], v125 offset0:32 offset1:33
	buffer_load_dword v61, off, s[20:23], 0 offset:96 ; 4-byte Folded Reload
	buffer_load_dword v62, off, s[20:23], 0 offset:100 ; 4-byte Folded Reload
	buffer_load_dword v63, off, s[20:23], 0 offset:104 ; 4-byte Folded Reload
	buffer_load_dword v64, off, s[20:23], 0 offset:108 ; 4-byte Folded Reload
	s_waitcnt lgkmcnt(0)
	v_mul_f64 v[103:104], v[101:102], v[73:74]
	v_fma_f64 v[103:104], v[99:100], v[97:98], -v[103:104]
	v_mul_f64 v[99:100], v[99:100], v[73:74]
	v_fma_f64 v[99:100], v[101:102], v[97:98], v[99:100]
	s_waitcnt vmcnt(2)
	v_add_f64 v[61:62], v[61:62], -v[103:104]
	s_waitcnt vmcnt(0)
	v_add_f64 v[63:64], v[63:64], -v[99:100]
	buffer_store_dword v61, off, s[20:23], 0 offset:96 ; 4-byte Folded Spill
	s_nop 0
	buffer_store_dword v62, off, s[20:23], 0 offset:100 ; 4-byte Folded Spill
	buffer_store_dword v63, off, s[20:23], 0 offset:104 ; 4-byte Folded Spill
	buffer_store_dword v64, off, s[20:23], 0 offset:108 ; 4-byte Folded Spill
	ds_read2_b64 v[99:102], v125 offset0:34 offset1:35
	buffer_load_dword v61, off, s[20:23], 0 offset:80 ; 4-byte Folded Reload
	buffer_load_dword v62, off, s[20:23], 0 offset:84 ; 4-byte Folded Reload
	buffer_load_dword v63, off, s[20:23], 0 offset:88 ; 4-byte Folded Reload
	buffer_load_dword v64, off, s[20:23], 0 offset:92 ; 4-byte Folded Reload
	s_waitcnt lgkmcnt(0)
	v_mul_f64 v[103:104], v[101:102], v[73:74]
	v_fma_f64 v[103:104], v[99:100], v[97:98], -v[103:104]
	v_mul_f64 v[99:100], v[99:100], v[73:74]
	v_fma_f64 v[99:100], v[101:102], v[97:98], v[99:100]
	s_waitcnt vmcnt(2)
	v_add_f64 v[61:62], v[61:62], -v[103:104]
	s_waitcnt vmcnt(0)
	v_add_f64 v[63:64], v[63:64], -v[99:100]
	buffer_store_dword v61, off, s[20:23], 0 offset:80 ; 4-byte Folded Spill
	s_nop 0
	buffer_store_dword v62, off, s[20:23], 0 offset:84 ; 4-byte Folded Spill
	buffer_store_dword v63, off, s[20:23], 0 offset:88 ; 4-byte Folded Spill
	buffer_store_dword v64, off, s[20:23], 0 offset:92 ; 4-byte Folded Spill
	ds_read2_b64 v[99:102], v125 offset0:36 offset1:37
	buffer_load_dword v61, off, s[20:23], 0 offset:64 ; 4-byte Folded Reload
	buffer_load_dword v62, off, s[20:23], 0 offset:68 ; 4-byte Folded Reload
	buffer_load_dword v63, off, s[20:23], 0 offset:72 ; 4-byte Folded Reload
	buffer_load_dword v64, off, s[20:23], 0 offset:76 ; 4-byte Folded Reload
	s_waitcnt lgkmcnt(0)
	v_mul_f64 v[103:104], v[101:102], v[73:74]
	v_fma_f64 v[103:104], v[99:100], v[97:98], -v[103:104]
	v_mul_f64 v[99:100], v[99:100], v[73:74]
	v_fma_f64 v[99:100], v[101:102], v[97:98], v[99:100]
	s_waitcnt vmcnt(2)
	v_add_f64 v[61:62], v[61:62], -v[103:104]
	s_waitcnt vmcnt(0)
	v_add_f64 v[63:64], v[63:64], -v[99:100]
	buffer_store_dword v61, off, s[20:23], 0 offset:64 ; 4-byte Folded Spill
	s_nop 0
	buffer_store_dword v62, off, s[20:23], 0 offset:68 ; 4-byte Folded Spill
	buffer_store_dword v63, off, s[20:23], 0 offset:72 ; 4-byte Folded Spill
	buffer_store_dword v64, off, s[20:23], 0 offset:76 ; 4-byte Folded Spill
	ds_read2_b64 v[99:102], v125 offset0:38 offset1:39
	buffer_load_dword v61, off, s[20:23], 0 offset:48 ; 4-byte Folded Reload
	buffer_load_dword v62, off, s[20:23], 0 offset:52 ; 4-byte Folded Reload
	buffer_load_dword v63, off, s[20:23], 0 offset:56 ; 4-byte Folded Reload
	buffer_load_dword v64, off, s[20:23], 0 offset:60 ; 4-byte Folded Reload
	s_waitcnt lgkmcnt(0)
	v_mul_f64 v[103:104], v[101:102], v[73:74]
	v_fma_f64 v[103:104], v[99:100], v[97:98], -v[103:104]
	v_mul_f64 v[99:100], v[99:100], v[73:74]
	v_fma_f64 v[99:100], v[101:102], v[97:98], v[99:100]
	s_waitcnt vmcnt(2)
	v_add_f64 v[61:62], v[61:62], -v[103:104]
	s_waitcnt vmcnt(0)
	v_add_f64 v[63:64], v[63:64], -v[99:100]
	buffer_store_dword v61, off, s[20:23], 0 offset:48 ; 4-byte Folded Spill
	s_nop 0
	buffer_store_dword v62, off, s[20:23], 0 offset:52 ; 4-byte Folded Spill
	buffer_store_dword v63, off, s[20:23], 0 offset:56 ; 4-byte Folded Spill
	buffer_store_dword v64, off, s[20:23], 0 offset:60 ; 4-byte Folded Spill
	ds_read2_b64 v[99:102], v125 offset0:40 offset1:41
	v_mov_b32_e32 v61, v65
	v_mov_b32_e32 v62, v66
	;; [unrolled: 1-line block ×4, first 2 shown]
	s_waitcnt lgkmcnt(0)
	v_mul_f64 v[103:104], v[101:102], v[73:74]
	v_fma_f64 v[103:104], v[99:100], v[97:98], -v[103:104]
	v_mul_f64 v[99:100], v[99:100], v[73:74]
	v_add_f64 v[117:118], v[117:118], -v[103:104]
	v_fma_f64 v[99:100], v[101:102], v[97:98], v[99:100]
	v_add_f64 v[119:120], v[119:120], -v[99:100]
	ds_read2_b64 v[99:102], v125 offset0:42 offset1:43
	s_waitcnt lgkmcnt(0)
	v_mul_f64 v[103:104], v[101:102], v[73:74]
	v_fma_f64 v[103:104], v[99:100], v[97:98], -v[103:104]
	v_mul_f64 v[99:100], v[99:100], v[73:74]
	v_add_f64 v[121:122], v[121:122], -v[103:104]
	v_fma_f64 v[99:100], v[101:102], v[97:98], v[99:100]
	v_add_f64 v[123:124], v[123:124], -v[99:100]
	ds_read2_b64 v[99:102], v125 offset0:44 offset1:45
	;; [unrolled: 8-line block ×5, first 2 shown]
	buffer_load_dword v69, off, s[20:23], 0 offset:32 ; 4-byte Folded Reload
	buffer_load_dword v70, off, s[20:23], 0 offset:36 ; 4-byte Folded Reload
	;; [unrolled: 1-line block ×4, first 2 shown]
	s_waitcnt lgkmcnt(0)
	v_mul_f64 v[103:104], v[101:102], v[73:74]
	v_fma_f64 v[103:104], v[99:100], v[97:98], -v[103:104]
	v_mul_f64 v[99:100], v[99:100], v[73:74]
	v_fma_f64 v[99:100], v[101:102], v[97:98], v[99:100]
	s_waitcnt vmcnt(2)
	v_add_f64 v[69:70], v[69:70], -v[103:104]
	s_waitcnt vmcnt(0)
	v_add_f64 v[71:72], v[71:72], -v[99:100]
	buffer_store_dword v69, off, s[20:23], 0 offset:32 ; 4-byte Folded Spill
	s_nop 0
	buffer_store_dword v70, off, s[20:23], 0 offset:36 ; 4-byte Folded Spill
	buffer_store_dword v71, off, s[20:23], 0 offset:40 ; 4-byte Folded Spill
	;; [unrolled: 1-line block ×3, first 2 shown]
	ds_read2_b64 v[99:102], v125 offset0:52 offset1:53
	buffer_load_dword v65, off, s[20:23], 0 offset:16 ; 4-byte Folded Reload
	buffer_load_dword v66, off, s[20:23], 0 offset:20 ; 4-byte Folded Reload
	;; [unrolled: 1-line block ×4, first 2 shown]
	v_mov_b32_e32 v71, v97
	v_mov_b32_e32 v72, v98
	s_waitcnt lgkmcnt(0)
	v_mul_f64 v[103:104], v[101:102], v[73:74]
	v_fma_f64 v[103:104], v[99:100], v[97:98], -v[103:104]
	v_mul_f64 v[99:100], v[99:100], v[73:74]
	v_fma_f64 v[99:100], v[101:102], v[97:98], v[99:100]
	s_waitcnt vmcnt(2)
	v_add_f64 v[65:66], v[65:66], -v[103:104]
	s_waitcnt vmcnt(0)
	v_add_f64 v[67:68], v[67:68], -v[99:100]
	buffer_store_dword v65, off, s[20:23], 0 offset:16 ; 4-byte Folded Spill
	s_nop 0
	buffer_store_dword v66, off, s[20:23], 0 offset:20 ; 4-byte Folded Spill
	buffer_store_dword v67, off, s[20:23], 0 offset:24 ; 4-byte Folded Spill
	;; [unrolled: 1-line block ×3, first 2 shown]
	v_mov_b32_e32 v68, v64
	v_mov_b32_e32 v67, v63
	;; [unrolled: 1-line block ×4, first 2 shown]
	ds_read2_b64 v[99:102], v125 offset0:54 offset1:55
	buffer_load_dword v61, off, s[20:23], 0 ; 4-byte Folded Reload
	buffer_load_dword v62, off, s[20:23], 0 offset:4 ; 4-byte Folded Reload
	buffer_load_dword v63, off, s[20:23], 0 offset:8 ; 4-byte Folded Reload
	;; [unrolled: 1-line block ×3, first 2 shown]
	s_waitcnt lgkmcnt(0)
	v_mul_f64 v[103:104], v[101:102], v[73:74]
	v_fma_f64 v[103:104], v[99:100], v[97:98], -v[103:104]
	v_mul_f64 v[99:100], v[99:100], v[73:74]
	v_fma_f64 v[99:100], v[101:102], v[97:98], v[99:100]
	s_waitcnt vmcnt(2)
	v_add_f64 v[61:62], v[61:62], -v[103:104]
	s_waitcnt vmcnt(0)
	v_add_f64 v[63:64], v[63:64], -v[99:100]
	buffer_store_dword v61, off, s[20:23], 0 ; 4-byte Folded Spill
	s_nop 0
	buffer_store_dword v62, off, s[20:23], 0 offset:4 ; 4-byte Folded Spill
	buffer_store_dword v63, off, s[20:23], 0 offset:8 ; 4-byte Folded Spill
	;; [unrolled: 1-line block ×3, first 2 shown]
	ds_read2_b64 v[99:102], v125 offset0:56 offset1:57
	s_waitcnt lgkmcnt(0)
	v_mul_f64 v[103:104], v[101:102], v[73:74]
	v_fma_f64 v[103:104], v[99:100], v[97:98], -v[103:104]
	v_mul_f64 v[99:100], v[99:100], v[73:74]
	v_add_f64 v[57:58], v[57:58], -v[103:104]
	v_fma_f64 v[99:100], v[101:102], v[97:98], v[99:100]
	v_add_f64 v[59:60], v[59:60], -v[99:100]
	ds_read2_b64 v[99:102], v125 offset0:58 offset1:59
	s_waitcnt lgkmcnt(0)
	v_mul_f64 v[103:104], v[101:102], v[73:74]
	v_fma_f64 v[103:104], v[99:100], v[97:98], -v[103:104]
	v_mul_f64 v[99:100], v[99:100], v[73:74]
	v_add_f64 v[53:54], v[53:54], -v[103:104]
	v_fma_f64 v[99:100], v[101:102], v[97:98], v[99:100]
	v_add_f64 v[55:56], v[55:56], -v[99:100]
	;; [unrolled: 8-line block ×15, first 2 shown]
	ds_read2_b64 v[99:102], v125 offset0:86 offset1:87
	s_waitcnt lgkmcnt(0)
	v_mul_f64 v[103:104], v[101:102], v[73:74]
	v_fma_f64 v[103:104], v[99:100], v[97:98], -v[103:104]
	v_mul_f64 v[99:100], v[99:100], v[73:74]
	buffer_store_dword v71, off, s[20:23], 0 offset:224 ; 4-byte Folded Spill
	s_nop 0
	buffer_store_dword v72, off, s[20:23], 0 offset:228 ; 4-byte Folded Spill
	buffer_store_dword v73, off, s[20:23], 0 offset:232 ; 4-byte Folded Spill
	;; [unrolled: 1-line block ×3, first 2 shown]
	v_add_f64 v[65:66], v[65:66], -v[103:104]
	v_fma_f64 v[99:100], v[101:102], v[97:98], v[99:100]
	v_add_f64 v[67:68], v[67:68], -v[99:100]
.LBB87_82:
	s_or_b64 exec, exec, s[2:3]
	v_cmp_eq_u32_e32 vcc, 9, v0
	s_waitcnt vmcnt(0)
	s_barrier
	s_and_saveexec_b64 s[4:5], vcc
	s_cbranch_execz .LBB87_89
; %bb.83:
	buffer_load_dword v61, off, s[20:23], 0 offset:208 ; 4-byte Folded Reload
	buffer_load_dword v62, off, s[20:23], 0 offset:212 ; 4-byte Folded Reload
	;; [unrolled: 1-line block ×4, first 2 shown]
	s_waitcnt vmcnt(0)
	ds_write2_b64 v127, v[61:62], v[63:64] offset1:1
	buffer_load_dword v61, off, s[20:23], 0 offset:192 ; 4-byte Folded Reload
	buffer_load_dword v62, off, s[20:23], 0 offset:196 ; 4-byte Folded Reload
	buffer_load_dword v63, off, s[20:23], 0 offset:200 ; 4-byte Folded Reload
	buffer_load_dword v64, off, s[20:23], 0 offset:204 ; 4-byte Folded Reload
	s_waitcnt vmcnt(0)
	ds_write2_b64 v125, v[61:62], v[63:64] offset0:20 offset1:21
	buffer_load_dword v61, off, s[20:23], 0 offset:176 ; 4-byte Folded Reload
	buffer_load_dword v62, off, s[20:23], 0 offset:180 ; 4-byte Folded Reload
	buffer_load_dword v63, off, s[20:23], 0 offset:184 ; 4-byte Folded Reload
	buffer_load_dword v64, off, s[20:23], 0 offset:188 ; 4-byte Folded Reload
	s_waitcnt vmcnt(0)
	ds_write2_b64 v125, v[61:62], v[63:64] offset0:22 offset1:23
	;; [unrolled: 6-line block ×10, first 2 shown]
	ds_write2_b64 v125, v[117:118], v[119:120] offset0:40 offset1:41
	ds_write2_b64 v125, v[121:122], v[123:124] offset0:42 offset1:43
	;; [unrolled: 1-line block ×5, first 2 shown]
	buffer_load_dword v69, off, s[20:23], 0 offset:32 ; 4-byte Folded Reload
	buffer_load_dword v70, off, s[20:23], 0 offset:36 ; 4-byte Folded Reload
	;; [unrolled: 1-line block ×4, first 2 shown]
	v_mov_b32_e32 v61, v65
	v_mov_b32_e32 v62, v66
	;; [unrolled: 1-line block ×4, first 2 shown]
	s_waitcnt vmcnt(0)
	ds_write2_b64 v125, v[69:70], v[71:72] offset0:50 offset1:51
	buffer_load_dword v65, off, s[20:23], 0 offset:16 ; 4-byte Folded Reload
	buffer_load_dword v66, off, s[20:23], 0 offset:20 ; 4-byte Folded Reload
	buffer_load_dword v67, off, s[20:23], 0 offset:24 ; 4-byte Folded Reload
	buffer_load_dword v68, off, s[20:23], 0 offset:28 ; 4-byte Folded Reload
	s_waitcnt vmcnt(0)
	ds_write2_b64 v125, v[65:66], v[67:68] offset0:52 offset1:53
	v_mov_b32_e32 v68, v64
	v_mov_b32_e32 v67, v63
	;; [unrolled: 1-line block ×4, first 2 shown]
	buffer_load_dword v61, off, s[20:23], 0 ; 4-byte Folded Reload
	buffer_load_dword v62, off, s[20:23], 0 offset:4 ; 4-byte Folded Reload
	buffer_load_dword v63, off, s[20:23], 0 offset:8 ; 4-byte Folded Reload
	;; [unrolled: 1-line block ×3, first 2 shown]
	s_waitcnt vmcnt(0)
	ds_write2_b64 v125, v[61:62], v[63:64] offset0:54 offset1:55
	ds_write2_b64 v125, v[57:58], v[59:60] offset0:56 offset1:57
	;; [unrolled: 1-line block ×17, first 2 shown]
	ds_read2_b64 v[97:100], v127 offset1:1
	s_waitcnt lgkmcnt(0)
	v_cmp_neq_f64_e32 vcc, 0, v[97:98]
	v_cmp_neq_f64_e64 s[2:3], 0, v[99:100]
	s_or_b64 s[2:3], vcc, s[2:3]
	s_and_b64 exec, exec, s[2:3]
	s_cbranch_execz .LBB87_89
; %bb.84:
	v_cmp_ngt_f64_e64 s[2:3], |v[97:98]|, |v[99:100]|
                                        ; implicit-def: $vgpr101_vgpr102
	s_and_saveexec_b64 s[6:7], s[2:3]
	s_xor_b64 s[2:3], exec, s[6:7]
                                        ; implicit-def: $vgpr103_vgpr104
	s_cbranch_execz .LBB87_86
; %bb.85:
	v_div_scale_f64 v[101:102], s[6:7], v[99:100], v[99:100], v[97:98]
	v_rcp_f64_e32 v[103:104], v[101:102]
	v_fma_f64 v[105:106], -v[101:102], v[103:104], 1.0
	v_fma_f64 v[103:104], v[103:104], v[105:106], v[103:104]
	v_div_scale_f64 v[105:106], vcc, v[97:98], v[99:100], v[97:98]
	v_fma_f64 v[107:108], -v[101:102], v[103:104], 1.0
	v_fma_f64 v[103:104], v[103:104], v[107:108], v[103:104]
	v_mul_f64 v[107:108], v[105:106], v[103:104]
	v_fma_f64 v[101:102], -v[101:102], v[107:108], v[105:106]
	v_div_fmas_f64 v[101:102], v[101:102], v[103:104], v[107:108]
	v_div_fixup_f64 v[101:102], v[101:102], v[99:100], v[97:98]
	v_fma_f64 v[97:98], v[97:98], v[101:102], v[99:100]
	v_div_scale_f64 v[99:100], s[6:7], v[97:98], v[97:98], 1.0
	v_div_scale_f64 v[107:108], vcc, 1.0, v[97:98], 1.0
	v_rcp_f64_e32 v[103:104], v[99:100]
	v_fma_f64 v[105:106], -v[99:100], v[103:104], 1.0
	v_fma_f64 v[103:104], v[103:104], v[105:106], v[103:104]
	v_fma_f64 v[105:106], -v[99:100], v[103:104], 1.0
	v_fma_f64 v[103:104], v[103:104], v[105:106], v[103:104]
	v_mul_f64 v[105:106], v[107:108], v[103:104]
	v_fma_f64 v[99:100], -v[99:100], v[105:106], v[107:108]
	v_div_fmas_f64 v[99:100], v[99:100], v[103:104], v[105:106]
	v_div_fixup_f64 v[103:104], v[99:100], v[97:98], 1.0
                                        ; implicit-def: $vgpr97_vgpr98
	v_mul_f64 v[101:102], v[101:102], v[103:104]
	v_xor_b32_e32 v104, 0x80000000, v104
.LBB87_86:
	s_andn2_saveexec_b64 s[2:3], s[2:3]
	s_cbranch_execz .LBB87_88
; %bb.87:
	v_div_scale_f64 v[101:102], s[6:7], v[97:98], v[97:98], v[99:100]
	v_rcp_f64_e32 v[103:104], v[101:102]
	v_fma_f64 v[105:106], -v[101:102], v[103:104], 1.0
	v_fma_f64 v[103:104], v[103:104], v[105:106], v[103:104]
	v_div_scale_f64 v[105:106], vcc, v[99:100], v[97:98], v[99:100]
	v_fma_f64 v[107:108], -v[101:102], v[103:104], 1.0
	v_fma_f64 v[103:104], v[103:104], v[107:108], v[103:104]
	v_mul_f64 v[107:108], v[105:106], v[103:104]
	v_fma_f64 v[101:102], -v[101:102], v[107:108], v[105:106]
	v_div_fmas_f64 v[101:102], v[101:102], v[103:104], v[107:108]
	v_div_fixup_f64 v[103:104], v[101:102], v[97:98], v[99:100]
	v_fma_f64 v[97:98], v[99:100], v[103:104], v[97:98]
	v_div_scale_f64 v[99:100], s[6:7], v[97:98], v[97:98], 1.0
	v_div_scale_f64 v[107:108], vcc, 1.0, v[97:98], 1.0
	v_rcp_f64_e32 v[101:102], v[99:100]
	v_fma_f64 v[105:106], -v[99:100], v[101:102], 1.0
	v_fma_f64 v[101:102], v[101:102], v[105:106], v[101:102]
	v_fma_f64 v[105:106], -v[99:100], v[101:102], 1.0
	v_fma_f64 v[101:102], v[101:102], v[105:106], v[101:102]
	v_mul_f64 v[105:106], v[107:108], v[101:102]
	v_fma_f64 v[99:100], -v[99:100], v[105:106], v[107:108]
	v_div_fmas_f64 v[99:100], v[99:100], v[101:102], v[105:106]
	v_div_fixup_f64 v[101:102], v[99:100], v[97:98], 1.0
	v_mul_f64 v[103:104], v[103:104], -v[101:102]
.LBB87_88:
	s_or_b64 exec, exec, s[2:3]
	ds_write2_b64 v127, v[101:102], v[103:104] offset1:1
.LBB87_89:
	s_or_b64 exec, exec, s[4:5]
	s_waitcnt lgkmcnt(0)
	s_barrier
	ds_read2_b64 v[61:64], v127 offset1:1
	v_cmp_lt_u32_e32 vcc, 9, v0
	s_waitcnt lgkmcnt(0)
	buffer_store_dword v61, off, s[20:23], 0 offset:824 ; 4-byte Folded Spill
	s_nop 0
	buffer_store_dword v62, off, s[20:23], 0 offset:828 ; 4-byte Folded Spill
	buffer_store_dword v63, off, s[20:23], 0 offset:832 ; 4-byte Folded Spill
	;; [unrolled: 1-line block ×3, first 2 shown]
	s_and_saveexec_b64 s[2:3], vcc
	s_cbranch_execz .LBB87_91
; %bb.90:
	buffer_load_dword v71, off, s[20:23], 0 offset:208 ; 4-byte Folded Reload
	buffer_load_dword v72, off, s[20:23], 0 offset:212 ; 4-byte Folded Reload
	;; [unrolled: 1-line block ×8, first 2 shown]
	s_waitcnt vmcnt(2)
	v_mul_f64 v[99:100], v[61:62], v[73:74]
	s_waitcnt vmcnt(0)
	v_mul_f64 v[97:98], v[63:64], v[73:74]
	v_fma_f64 v[73:74], v[63:64], v[71:72], v[99:100]
	ds_read2_b64 v[99:102], v125 offset0:20 offset1:21
	v_fma_f64 v[97:98], v[61:62], v[71:72], -v[97:98]
	buffer_load_dword v61, off, s[20:23], 0 offset:192 ; 4-byte Folded Reload
	buffer_load_dword v62, off, s[20:23], 0 offset:196 ; 4-byte Folded Reload
	buffer_load_dword v63, off, s[20:23], 0 offset:200 ; 4-byte Folded Reload
	buffer_load_dword v64, off, s[20:23], 0 offset:204 ; 4-byte Folded Reload
	s_waitcnt lgkmcnt(0)
	v_mul_f64 v[103:104], v[101:102], v[73:74]
	v_fma_f64 v[103:104], v[99:100], v[97:98], -v[103:104]
	v_mul_f64 v[99:100], v[99:100], v[73:74]
	v_fma_f64 v[99:100], v[101:102], v[97:98], v[99:100]
	s_waitcnt vmcnt(2)
	v_add_f64 v[61:62], v[61:62], -v[103:104]
	s_waitcnt vmcnt(0)
	v_add_f64 v[63:64], v[63:64], -v[99:100]
	buffer_store_dword v61, off, s[20:23], 0 offset:192 ; 4-byte Folded Spill
	s_nop 0
	buffer_store_dword v62, off, s[20:23], 0 offset:196 ; 4-byte Folded Spill
	buffer_store_dword v63, off, s[20:23], 0 offset:200 ; 4-byte Folded Spill
	buffer_store_dword v64, off, s[20:23], 0 offset:204 ; 4-byte Folded Spill
	ds_read2_b64 v[99:102], v125 offset0:22 offset1:23
	buffer_load_dword v61, off, s[20:23], 0 offset:176 ; 4-byte Folded Reload
	buffer_load_dword v62, off, s[20:23], 0 offset:180 ; 4-byte Folded Reload
	buffer_load_dword v63, off, s[20:23], 0 offset:184 ; 4-byte Folded Reload
	buffer_load_dword v64, off, s[20:23], 0 offset:188 ; 4-byte Folded Reload
	s_waitcnt lgkmcnt(0)
	v_mul_f64 v[103:104], v[101:102], v[73:74]
	v_fma_f64 v[103:104], v[99:100], v[97:98], -v[103:104]
	v_mul_f64 v[99:100], v[99:100], v[73:74]
	v_fma_f64 v[99:100], v[101:102], v[97:98], v[99:100]
	s_waitcnt vmcnt(2)
	v_add_f64 v[61:62], v[61:62], -v[103:104]
	s_waitcnt vmcnt(0)
	v_add_f64 v[63:64], v[63:64], -v[99:100]
	buffer_store_dword v61, off, s[20:23], 0 offset:176 ; 4-byte Folded Spill
	s_nop 0
	buffer_store_dword v62, off, s[20:23], 0 offset:180 ; 4-byte Folded Spill
	buffer_store_dword v63, off, s[20:23], 0 offset:184 ; 4-byte Folded Spill
	buffer_store_dword v64, off, s[20:23], 0 offset:188 ; 4-byte Folded Spill
	ds_read2_b64 v[99:102], v125 offset0:24 offset1:25
	;; [unrolled: 19-line block ×10, first 2 shown]
	v_mov_b32_e32 v61, v65
	v_mov_b32_e32 v62, v66
	;; [unrolled: 1-line block ×4, first 2 shown]
	s_waitcnt lgkmcnt(0)
	v_mul_f64 v[103:104], v[101:102], v[73:74]
	v_fma_f64 v[103:104], v[99:100], v[97:98], -v[103:104]
	v_mul_f64 v[99:100], v[99:100], v[73:74]
	v_add_f64 v[117:118], v[117:118], -v[103:104]
	v_fma_f64 v[99:100], v[101:102], v[97:98], v[99:100]
	v_add_f64 v[119:120], v[119:120], -v[99:100]
	ds_read2_b64 v[99:102], v125 offset0:42 offset1:43
	s_waitcnt lgkmcnt(0)
	v_mul_f64 v[103:104], v[101:102], v[73:74]
	v_fma_f64 v[103:104], v[99:100], v[97:98], -v[103:104]
	v_mul_f64 v[99:100], v[99:100], v[73:74]
	v_add_f64 v[121:122], v[121:122], -v[103:104]
	v_fma_f64 v[99:100], v[101:102], v[97:98], v[99:100]
	v_add_f64 v[123:124], v[123:124], -v[99:100]
	ds_read2_b64 v[99:102], v125 offset0:44 offset1:45
	;; [unrolled: 8-line block ×5, first 2 shown]
	buffer_load_dword v69, off, s[20:23], 0 offset:32 ; 4-byte Folded Reload
	buffer_load_dword v70, off, s[20:23], 0 offset:36 ; 4-byte Folded Reload
	buffer_load_dword v71, off, s[20:23], 0 offset:40 ; 4-byte Folded Reload
	buffer_load_dword v72, off, s[20:23], 0 offset:44 ; 4-byte Folded Reload
	s_waitcnt lgkmcnt(0)
	v_mul_f64 v[103:104], v[101:102], v[73:74]
	v_fma_f64 v[103:104], v[99:100], v[97:98], -v[103:104]
	v_mul_f64 v[99:100], v[99:100], v[73:74]
	v_fma_f64 v[99:100], v[101:102], v[97:98], v[99:100]
	s_waitcnt vmcnt(2)
	v_add_f64 v[69:70], v[69:70], -v[103:104]
	s_waitcnt vmcnt(0)
	v_add_f64 v[71:72], v[71:72], -v[99:100]
	buffer_store_dword v69, off, s[20:23], 0 offset:32 ; 4-byte Folded Spill
	s_nop 0
	buffer_store_dword v70, off, s[20:23], 0 offset:36 ; 4-byte Folded Spill
	buffer_store_dword v71, off, s[20:23], 0 offset:40 ; 4-byte Folded Spill
	;; [unrolled: 1-line block ×3, first 2 shown]
	ds_read2_b64 v[99:102], v125 offset0:52 offset1:53
	buffer_load_dword v65, off, s[20:23], 0 offset:16 ; 4-byte Folded Reload
	buffer_load_dword v66, off, s[20:23], 0 offset:20 ; 4-byte Folded Reload
	;; [unrolled: 1-line block ×4, first 2 shown]
	v_mov_b32_e32 v71, v97
	v_mov_b32_e32 v72, v98
	s_waitcnt lgkmcnt(0)
	v_mul_f64 v[103:104], v[101:102], v[73:74]
	v_fma_f64 v[103:104], v[99:100], v[97:98], -v[103:104]
	v_mul_f64 v[99:100], v[99:100], v[73:74]
	v_fma_f64 v[99:100], v[101:102], v[97:98], v[99:100]
	s_waitcnt vmcnt(2)
	v_add_f64 v[65:66], v[65:66], -v[103:104]
	s_waitcnt vmcnt(0)
	v_add_f64 v[67:68], v[67:68], -v[99:100]
	buffer_store_dword v65, off, s[20:23], 0 offset:16 ; 4-byte Folded Spill
	s_nop 0
	buffer_store_dword v66, off, s[20:23], 0 offset:20 ; 4-byte Folded Spill
	buffer_store_dword v67, off, s[20:23], 0 offset:24 ; 4-byte Folded Spill
	;; [unrolled: 1-line block ×3, first 2 shown]
	v_mov_b32_e32 v68, v64
	v_mov_b32_e32 v67, v63
	v_mov_b32_e32 v66, v62
	v_mov_b32_e32 v65, v61
	ds_read2_b64 v[99:102], v125 offset0:54 offset1:55
	buffer_load_dword v61, off, s[20:23], 0 ; 4-byte Folded Reload
	buffer_load_dword v62, off, s[20:23], 0 offset:4 ; 4-byte Folded Reload
	buffer_load_dword v63, off, s[20:23], 0 offset:8 ; 4-byte Folded Reload
	;; [unrolled: 1-line block ×3, first 2 shown]
	s_waitcnt lgkmcnt(0)
	v_mul_f64 v[103:104], v[101:102], v[73:74]
	v_fma_f64 v[103:104], v[99:100], v[97:98], -v[103:104]
	v_mul_f64 v[99:100], v[99:100], v[73:74]
	v_fma_f64 v[99:100], v[101:102], v[97:98], v[99:100]
	s_waitcnt vmcnt(2)
	v_add_f64 v[61:62], v[61:62], -v[103:104]
	s_waitcnt vmcnt(0)
	v_add_f64 v[63:64], v[63:64], -v[99:100]
	buffer_store_dword v61, off, s[20:23], 0 ; 4-byte Folded Spill
	s_nop 0
	buffer_store_dword v62, off, s[20:23], 0 offset:4 ; 4-byte Folded Spill
	buffer_store_dword v63, off, s[20:23], 0 offset:8 ; 4-byte Folded Spill
	;; [unrolled: 1-line block ×3, first 2 shown]
	ds_read2_b64 v[99:102], v125 offset0:56 offset1:57
	s_waitcnt lgkmcnt(0)
	v_mul_f64 v[103:104], v[101:102], v[73:74]
	v_fma_f64 v[103:104], v[99:100], v[97:98], -v[103:104]
	v_mul_f64 v[99:100], v[99:100], v[73:74]
	v_add_f64 v[57:58], v[57:58], -v[103:104]
	v_fma_f64 v[99:100], v[101:102], v[97:98], v[99:100]
	v_add_f64 v[59:60], v[59:60], -v[99:100]
	ds_read2_b64 v[99:102], v125 offset0:58 offset1:59
	s_waitcnt lgkmcnt(0)
	v_mul_f64 v[103:104], v[101:102], v[73:74]
	v_fma_f64 v[103:104], v[99:100], v[97:98], -v[103:104]
	v_mul_f64 v[99:100], v[99:100], v[73:74]
	v_add_f64 v[53:54], v[53:54], -v[103:104]
	v_fma_f64 v[99:100], v[101:102], v[97:98], v[99:100]
	v_add_f64 v[55:56], v[55:56], -v[99:100]
	ds_read2_b64 v[99:102], v125 offset0:60 offset1:61
	s_waitcnt lgkmcnt(0)
	v_mul_f64 v[103:104], v[101:102], v[73:74]
	v_fma_f64 v[103:104], v[99:100], v[97:98], -v[103:104]
	v_mul_f64 v[99:100], v[99:100], v[73:74]
	v_add_f64 v[49:50], v[49:50], -v[103:104]
	v_fma_f64 v[99:100], v[101:102], v[97:98], v[99:100]
	v_add_f64 v[51:52], v[51:52], -v[99:100]
	ds_read2_b64 v[99:102], v125 offset0:62 offset1:63
	s_waitcnt lgkmcnt(0)
	v_mul_f64 v[103:104], v[101:102], v[73:74]
	v_fma_f64 v[103:104], v[99:100], v[97:98], -v[103:104]
	v_mul_f64 v[99:100], v[99:100], v[73:74]
	v_add_f64 v[45:46], v[45:46], -v[103:104]
	v_fma_f64 v[99:100], v[101:102], v[97:98], v[99:100]
	v_add_f64 v[47:48], v[47:48], -v[99:100]
	ds_read2_b64 v[99:102], v125 offset0:64 offset1:65
	s_waitcnt lgkmcnt(0)
	v_mul_f64 v[103:104], v[101:102], v[73:74]
	v_fma_f64 v[103:104], v[99:100], v[97:98], -v[103:104]
	v_mul_f64 v[99:100], v[99:100], v[73:74]
	v_add_f64 v[41:42], v[41:42], -v[103:104]
	v_fma_f64 v[99:100], v[101:102], v[97:98], v[99:100]
	v_add_f64 v[43:44], v[43:44], -v[99:100]
	ds_read2_b64 v[99:102], v125 offset0:66 offset1:67
	s_waitcnt lgkmcnt(0)
	v_mul_f64 v[103:104], v[101:102], v[73:74]
	v_fma_f64 v[103:104], v[99:100], v[97:98], -v[103:104]
	v_mul_f64 v[99:100], v[99:100], v[73:74]
	v_add_f64 v[37:38], v[37:38], -v[103:104]
	v_fma_f64 v[99:100], v[101:102], v[97:98], v[99:100]
	v_add_f64 v[39:40], v[39:40], -v[99:100]
	ds_read2_b64 v[99:102], v125 offset0:68 offset1:69
	s_waitcnt lgkmcnt(0)
	v_mul_f64 v[103:104], v[101:102], v[73:74]
	v_fma_f64 v[103:104], v[99:100], v[97:98], -v[103:104]
	v_mul_f64 v[99:100], v[99:100], v[73:74]
	v_add_f64 v[33:34], v[33:34], -v[103:104]
	v_fma_f64 v[99:100], v[101:102], v[97:98], v[99:100]
	v_add_f64 v[35:36], v[35:36], -v[99:100]
	ds_read2_b64 v[99:102], v125 offset0:70 offset1:71
	s_waitcnt lgkmcnt(0)
	v_mul_f64 v[103:104], v[101:102], v[73:74]
	v_fma_f64 v[103:104], v[99:100], v[97:98], -v[103:104]
	v_mul_f64 v[99:100], v[99:100], v[73:74]
	v_add_f64 v[29:30], v[29:30], -v[103:104]
	v_fma_f64 v[99:100], v[101:102], v[97:98], v[99:100]
	v_add_f64 v[31:32], v[31:32], -v[99:100]
	ds_read2_b64 v[99:102], v125 offset0:72 offset1:73
	s_waitcnt lgkmcnt(0)
	v_mul_f64 v[103:104], v[101:102], v[73:74]
	v_fma_f64 v[103:104], v[99:100], v[97:98], -v[103:104]
	v_mul_f64 v[99:100], v[99:100], v[73:74]
	v_add_f64 v[25:26], v[25:26], -v[103:104]
	v_fma_f64 v[99:100], v[101:102], v[97:98], v[99:100]
	v_add_f64 v[27:28], v[27:28], -v[99:100]
	ds_read2_b64 v[99:102], v125 offset0:74 offset1:75
	s_waitcnt lgkmcnt(0)
	v_mul_f64 v[103:104], v[101:102], v[73:74]
	v_fma_f64 v[103:104], v[99:100], v[97:98], -v[103:104]
	v_mul_f64 v[99:100], v[99:100], v[73:74]
	v_add_f64 v[21:22], v[21:22], -v[103:104]
	v_fma_f64 v[99:100], v[101:102], v[97:98], v[99:100]
	v_add_f64 v[23:24], v[23:24], -v[99:100]
	ds_read2_b64 v[99:102], v125 offset0:76 offset1:77
	s_waitcnt lgkmcnt(0)
	v_mul_f64 v[103:104], v[101:102], v[73:74]
	v_fma_f64 v[103:104], v[99:100], v[97:98], -v[103:104]
	v_mul_f64 v[99:100], v[99:100], v[73:74]
	v_add_f64 v[17:18], v[17:18], -v[103:104]
	v_fma_f64 v[99:100], v[101:102], v[97:98], v[99:100]
	v_add_f64 v[19:20], v[19:20], -v[99:100]
	ds_read2_b64 v[99:102], v125 offset0:78 offset1:79
	s_waitcnt lgkmcnt(0)
	v_mul_f64 v[103:104], v[101:102], v[73:74]
	v_fma_f64 v[103:104], v[99:100], v[97:98], -v[103:104]
	v_mul_f64 v[99:100], v[99:100], v[73:74]
	v_add_f64 v[13:14], v[13:14], -v[103:104]
	v_fma_f64 v[99:100], v[101:102], v[97:98], v[99:100]
	v_add_f64 v[15:16], v[15:16], -v[99:100]
	ds_read2_b64 v[99:102], v125 offset0:80 offset1:81
	s_waitcnt lgkmcnt(0)
	v_mul_f64 v[103:104], v[101:102], v[73:74]
	v_fma_f64 v[103:104], v[99:100], v[97:98], -v[103:104]
	v_mul_f64 v[99:100], v[99:100], v[73:74]
	v_add_f64 v[9:10], v[9:10], -v[103:104]
	v_fma_f64 v[99:100], v[101:102], v[97:98], v[99:100]
	v_add_f64 v[11:12], v[11:12], -v[99:100]
	ds_read2_b64 v[99:102], v125 offset0:82 offset1:83
	s_waitcnt lgkmcnt(0)
	v_mul_f64 v[103:104], v[101:102], v[73:74]
	v_fma_f64 v[103:104], v[99:100], v[97:98], -v[103:104]
	v_mul_f64 v[99:100], v[99:100], v[73:74]
	v_add_f64 v[5:6], v[5:6], -v[103:104]
	v_fma_f64 v[99:100], v[101:102], v[97:98], v[99:100]
	v_add_f64 v[7:8], v[7:8], -v[99:100]
	ds_read2_b64 v[99:102], v125 offset0:84 offset1:85
	s_waitcnt lgkmcnt(0)
	v_mul_f64 v[103:104], v[101:102], v[73:74]
	v_fma_f64 v[103:104], v[99:100], v[97:98], -v[103:104]
	v_mul_f64 v[99:100], v[99:100], v[73:74]
	v_add_f64 v[1:2], v[1:2], -v[103:104]
	v_fma_f64 v[99:100], v[101:102], v[97:98], v[99:100]
	v_add_f64 v[3:4], v[3:4], -v[99:100]
	ds_read2_b64 v[99:102], v125 offset0:86 offset1:87
	s_waitcnt lgkmcnt(0)
	v_mul_f64 v[103:104], v[101:102], v[73:74]
	v_fma_f64 v[103:104], v[99:100], v[97:98], -v[103:104]
	v_mul_f64 v[99:100], v[99:100], v[73:74]
	buffer_store_dword v71, off, s[20:23], 0 offset:208 ; 4-byte Folded Spill
	s_nop 0
	buffer_store_dword v72, off, s[20:23], 0 offset:212 ; 4-byte Folded Spill
	buffer_store_dword v73, off, s[20:23], 0 offset:216 ; 4-byte Folded Spill
	;; [unrolled: 1-line block ×3, first 2 shown]
	v_add_f64 v[65:66], v[65:66], -v[103:104]
	v_fma_f64 v[99:100], v[101:102], v[97:98], v[99:100]
	v_add_f64 v[67:68], v[67:68], -v[99:100]
.LBB87_91:
	s_or_b64 exec, exec, s[2:3]
	v_cmp_eq_u32_e32 vcc, 10, v0
	s_waitcnt vmcnt(0)
	s_barrier
	s_and_saveexec_b64 s[4:5], vcc
	s_cbranch_execz .LBB87_98
; %bb.92:
	buffer_load_dword v61, off, s[20:23], 0 offset:192 ; 4-byte Folded Reload
	buffer_load_dword v62, off, s[20:23], 0 offset:196 ; 4-byte Folded Reload
	buffer_load_dword v63, off, s[20:23], 0 offset:200 ; 4-byte Folded Reload
	buffer_load_dword v64, off, s[20:23], 0 offset:204 ; 4-byte Folded Reload
	s_waitcnt vmcnt(0)
	ds_write2_b64 v127, v[61:62], v[63:64] offset1:1
	buffer_load_dword v61, off, s[20:23], 0 offset:176 ; 4-byte Folded Reload
	buffer_load_dword v62, off, s[20:23], 0 offset:180 ; 4-byte Folded Reload
	buffer_load_dword v63, off, s[20:23], 0 offset:184 ; 4-byte Folded Reload
	buffer_load_dword v64, off, s[20:23], 0 offset:188 ; 4-byte Folded Reload
	s_waitcnt vmcnt(0)
	ds_write2_b64 v125, v[61:62], v[63:64] offset0:22 offset1:23
	buffer_load_dword v61, off, s[20:23], 0 offset:160 ; 4-byte Folded Reload
	buffer_load_dword v62, off, s[20:23], 0 offset:164 ; 4-byte Folded Reload
	buffer_load_dword v63, off, s[20:23], 0 offset:168 ; 4-byte Folded Reload
	buffer_load_dword v64, off, s[20:23], 0 offset:172 ; 4-byte Folded Reload
	s_waitcnt vmcnt(0)
	ds_write2_b64 v125, v[61:62], v[63:64] offset0:24 offset1:25
	;; [unrolled: 6-line block ×9, first 2 shown]
	ds_write2_b64 v125, v[117:118], v[119:120] offset0:40 offset1:41
	ds_write2_b64 v125, v[121:122], v[123:124] offset0:42 offset1:43
	;; [unrolled: 1-line block ×5, first 2 shown]
	buffer_load_dword v69, off, s[20:23], 0 offset:32 ; 4-byte Folded Reload
	buffer_load_dword v70, off, s[20:23], 0 offset:36 ; 4-byte Folded Reload
	;; [unrolled: 1-line block ×4, first 2 shown]
	v_mov_b32_e32 v61, v65
	v_mov_b32_e32 v62, v66
	;; [unrolled: 1-line block ×4, first 2 shown]
	s_waitcnt vmcnt(0)
	ds_write2_b64 v125, v[69:70], v[71:72] offset0:50 offset1:51
	buffer_load_dword v65, off, s[20:23], 0 offset:16 ; 4-byte Folded Reload
	buffer_load_dword v66, off, s[20:23], 0 offset:20 ; 4-byte Folded Reload
	;; [unrolled: 1-line block ×4, first 2 shown]
	s_waitcnt vmcnt(0)
	ds_write2_b64 v125, v[65:66], v[67:68] offset0:52 offset1:53
	v_mov_b32_e32 v68, v64
	v_mov_b32_e32 v67, v63
	v_mov_b32_e32 v66, v62
	v_mov_b32_e32 v65, v61
	buffer_load_dword v61, off, s[20:23], 0 ; 4-byte Folded Reload
	buffer_load_dword v62, off, s[20:23], 0 offset:4 ; 4-byte Folded Reload
	buffer_load_dword v63, off, s[20:23], 0 offset:8 ; 4-byte Folded Reload
	;; [unrolled: 1-line block ×3, first 2 shown]
	s_waitcnt vmcnt(0)
	ds_write2_b64 v125, v[61:62], v[63:64] offset0:54 offset1:55
	ds_write2_b64 v125, v[57:58], v[59:60] offset0:56 offset1:57
	;; [unrolled: 1-line block ×17, first 2 shown]
	ds_read2_b64 v[97:100], v127 offset1:1
	s_waitcnt lgkmcnt(0)
	v_cmp_neq_f64_e32 vcc, 0, v[97:98]
	v_cmp_neq_f64_e64 s[2:3], 0, v[99:100]
	s_or_b64 s[2:3], vcc, s[2:3]
	s_and_b64 exec, exec, s[2:3]
	s_cbranch_execz .LBB87_98
; %bb.93:
	v_cmp_ngt_f64_e64 s[2:3], |v[97:98]|, |v[99:100]|
                                        ; implicit-def: $vgpr101_vgpr102
	s_and_saveexec_b64 s[6:7], s[2:3]
	s_xor_b64 s[2:3], exec, s[6:7]
                                        ; implicit-def: $vgpr103_vgpr104
	s_cbranch_execz .LBB87_95
; %bb.94:
	v_div_scale_f64 v[101:102], s[6:7], v[99:100], v[99:100], v[97:98]
	v_rcp_f64_e32 v[103:104], v[101:102]
	v_fma_f64 v[105:106], -v[101:102], v[103:104], 1.0
	v_fma_f64 v[103:104], v[103:104], v[105:106], v[103:104]
	v_div_scale_f64 v[105:106], vcc, v[97:98], v[99:100], v[97:98]
	v_fma_f64 v[107:108], -v[101:102], v[103:104], 1.0
	v_fma_f64 v[103:104], v[103:104], v[107:108], v[103:104]
	v_mul_f64 v[107:108], v[105:106], v[103:104]
	v_fma_f64 v[101:102], -v[101:102], v[107:108], v[105:106]
	v_div_fmas_f64 v[101:102], v[101:102], v[103:104], v[107:108]
	v_div_fixup_f64 v[101:102], v[101:102], v[99:100], v[97:98]
	v_fma_f64 v[97:98], v[97:98], v[101:102], v[99:100]
	v_div_scale_f64 v[99:100], s[6:7], v[97:98], v[97:98], 1.0
	v_div_scale_f64 v[107:108], vcc, 1.0, v[97:98], 1.0
	v_rcp_f64_e32 v[103:104], v[99:100]
	v_fma_f64 v[105:106], -v[99:100], v[103:104], 1.0
	v_fma_f64 v[103:104], v[103:104], v[105:106], v[103:104]
	v_fma_f64 v[105:106], -v[99:100], v[103:104], 1.0
	v_fma_f64 v[103:104], v[103:104], v[105:106], v[103:104]
	v_mul_f64 v[105:106], v[107:108], v[103:104]
	v_fma_f64 v[99:100], -v[99:100], v[105:106], v[107:108]
	v_div_fmas_f64 v[99:100], v[99:100], v[103:104], v[105:106]
	v_div_fixup_f64 v[103:104], v[99:100], v[97:98], 1.0
                                        ; implicit-def: $vgpr97_vgpr98
	v_mul_f64 v[101:102], v[101:102], v[103:104]
	v_xor_b32_e32 v104, 0x80000000, v104
.LBB87_95:
	s_andn2_saveexec_b64 s[2:3], s[2:3]
	s_cbranch_execz .LBB87_97
; %bb.96:
	v_div_scale_f64 v[101:102], s[6:7], v[97:98], v[97:98], v[99:100]
	v_rcp_f64_e32 v[103:104], v[101:102]
	v_fma_f64 v[105:106], -v[101:102], v[103:104], 1.0
	v_fma_f64 v[103:104], v[103:104], v[105:106], v[103:104]
	v_div_scale_f64 v[105:106], vcc, v[99:100], v[97:98], v[99:100]
	v_fma_f64 v[107:108], -v[101:102], v[103:104], 1.0
	v_fma_f64 v[103:104], v[103:104], v[107:108], v[103:104]
	v_mul_f64 v[107:108], v[105:106], v[103:104]
	v_fma_f64 v[101:102], -v[101:102], v[107:108], v[105:106]
	v_div_fmas_f64 v[101:102], v[101:102], v[103:104], v[107:108]
	v_div_fixup_f64 v[103:104], v[101:102], v[97:98], v[99:100]
	v_fma_f64 v[97:98], v[99:100], v[103:104], v[97:98]
	v_div_scale_f64 v[99:100], s[6:7], v[97:98], v[97:98], 1.0
	v_div_scale_f64 v[107:108], vcc, 1.0, v[97:98], 1.0
	v_rcp_f64_e32 v[101:102], v[99:100]
	v_fma_f64 v[105:106], -v[99:100], v[101:102], 1.0
	v_fma_f64 v[101:102], v[101:102], v[105:106], v[101:102]
	v_fma_f64 v[105:106], -v[99:100], v[101:102], 1.0
	v_fma_f64 v[101:102], v[101:102], v[105:106], v[101:102]
	v_mul_f64 v[105:106], v[107:108], v[101:102]
	v_fma_f64 v[99:100], -v[99:100], v[105:106], v[107:108]
	v_div_fmas_f64 v[99:100], v[99:100], v[101:102], v[105:106]
	v_div_fixup_f64 v[101:102], v[99:100], v[97:98], 1.0
	v_mul_f64 v[103:104], v[103:104], -v[101:102]
.LBB87_97:
	s_or_b64 exec, exec, s[2:3]
	ds_write2_b64 v127, v[101:102], v[103:104] offset1:1
.LBB87_98:
	s_or_b64 exec, exec, s[4:5]
	s_waitcnt lgkmcnt(0)
	s_barrier
	ds_read2_b64 v[61:64], v127 offset1:1
	v_cmp_lt_u32_e32 vcc, 10, v0
	s_waitcnt lgkmcnt(0)
	buffer_store_dword v61, off, s[20:23], 0 offset:840 ; 4-byte Folded Spill
	s_nop 0
	buffer_store_dword v62, off, s[20:23], 0 offset:844 ; 4-byte Folded Spill
	buffer_store_dword v63, off, s[20:23], 0 offset:848 ; 4-byte Folded Spill
	;; [unrolled: 1-line block ×3, first 2 shown]
	s_and_saveexec_b64 s[2:3], vcc
	s_cbranch_execz .LBB87_100
; %bb.99:
	buffer_load_dword v71, off, s[20:23], 0 offset:192 ; 4-byte Folded Reload
	buffer_load_dword v72, off, s[20:23], 0 offset:196 ; 4-byte Folded Reload
	;; [unrolled: 1-line block ×8, first 2 shown]
	s_waitcnt vmcnt(2)
	v_mul_f64 v[99:100], v[61:62], v[73:74]
	s_waitcnt vmcnt(0)
	v_mul_f64 v[97:98], v[63:64], v[73:74]
	v_fma_f64 v[73:74], v[63:64], v[71:72], v[99:100]
	ds_read2_b64 v[99:102], v125 offset0:22 offset1:23
	v_fma_f64 v[97:98], v[61:62], v[71:72], -v[97:98]
	buffer_load_dword v61, off, s[20:23], 0 offset:176 ; 4-byte Folded Reload
	buffer_load_dword v62, off, s[20:23], 0 offset:180 ; 4-byte Folded Reload
	buffer_load_dword v63, off, s[20:23], 0 offset:184 ; 4-byte Folded Reload
	buffer_load_dword v64, off, s[20:23], 0 offset:188 ; 4-byte Folded Reload
	s_waitcnt lgkmcnt(0)
	v_mul_f64 v[103:104], v[101:102], v[73:74]
	v_fma_f64 v[103:104], v[99:100], v[97:98], -v[103:104]
	v_mul_f64 v[99:100], v[99:100], v[73:74]
	v_fma_f64 v[99:100], v[101:102], v[97:98], v[99:100]
	s_waitcnt vmcnt(2)
	v_add_f64 v[61:62], v[61:62], -v[103:104]
	s_waitcnt vmcnt(0)
	v_add_f64 v[63:64], v[63:64], -v[99:100]
	buffer_store_dword v61, off, s[20:23], 0 offset:176 ; 4-byte Folded Spill
	s_nop 0
	buffer_store_dword v62, off, s[20:23], 0 offset:180 ; 4-byte Folded Spill
	buffer_store_dword v63, off, s[20:23], 0 offset:184 ; 4-byte Folded Spill
	buffer_store_dword v64, off, s[20:23], 0 offset:188 ; 4-byte Folded Spill
	ds_read2_b64 v[99:102], v125 offset0:24 offset1:25
	buffer_load_dword v61, off, s[20:23], 0 offset:160 ; 4-byte Folded Reload
	buffer_load_dword v62, off, s[20:23], 0 offset:164 ; 4-byte Folded Reload
	buffer_load_dword v63, off, s[20:23], 0 offset:168 ; 4-byte Folded Reload
	buffer_load_dword v64, off, s[20:23], 0 offset:172 ; 4-byte Folded Reload
	s_waitcnt lgkmcnt(0)
	v_mul_f64 v[103:104], v[101:102], v[73:74]
	v_fma_f64 v[103:104], v[99:100], v[97:98], -v[103:104]
	v_mul_f64 v[99:100], v[99:100], v[73:74]
	v_fma_f64 v[99:100], v[101:102], v[97:98], v[99:100]
	s_waitcnt vmcnt(2)
	v_add_f64 v[61:62], v[61:62], -v[103:104]
	s_waitcnt vmcnt(0)
	v_add_f64 v[63:64], v[63:64], -v[99:100]
	buffer_store_dword v61, off, s[20:23], 0 offset:160 ; 4-byte Folded Spill
	s_nop 0
	buffer_store_dword v62, off, s[20:23], 0 offset:164 ; 4-byte Folded Spill
	buffer_store_dword v63, off, s[20:23], 0 offset:168 ; 4-byte Folded Spill
	buffer_store_dword v64, off, s[20:23], 0 offset:172 ; 4-byte Folded Spill
	ds_read2_b64 v[99:102], v125 offset0:26 offset1:27
	;; [unrolled: 19-line block ×9, first 2 shown]
	v_mov_b32_e32 v61, v65
	v_mov_b32_e32 v62, v66
	;; [unrolled: 1-line block ×4, first 2 shown]
	s_waitcnt lgkmcnt(0)
	v_mul_f64 v[103:104], v[101:102], v[73:74]
	v_fma_f64 v[103:104], v[99:100], v[97:98], -v[103:104]
	v_mul_f64 v[99:100], v[99:100], v[73:74]
	v_add_f64 v[117:118], v[117:118], -v[103:104]
	v_fma_f64 v[99:100], v[101:102], v[97:98], v[99:100]
	v_add_f64 v[119:120], v[119:120], -v[99:100]
	ds_read2_b64 v[99:102], v125 offset0:42 offset1:43
	s_waitcnt lgkmcnt(0)
	v_mul_f64 v[103:104], v[101:102], v[73:74]
	v_fma_f64 v[103:104], v[99:100], v[97:98], -v[103:104]
	v_mul_f64 v[99:100], v[99:100], v[73:74]
	v_add_f64 v[121:122], v[121:122], -v[103:104]
	v_fma_f64 v[99:100], v[101:102], v[97:98], v[99:100]
	v_add_f64 v[123:124], v[123:124], -v[99:100]
	ds_read2_b64 v[99:102], v125 offset0:44 offset1:45
	;; [unrolled: 8-line block ×5, first 2 shown]
	buffer_load_dword v69, off, s[20:23], 0 offset:32 ; 4-byte Folded Reload
	buffer_load_dword v70, off, s[20:23], 0 offset:36 ; 4-byte Folded Reload
	;; [unrolled: 1-line block ×4, first 2 shown]
	s_waitcnt lgkmcnt(0)
	v_mul_f64 v[103:104], v[101:102], v[73:74]
	v_fma_f64 v[103:104], v[99:100], v[97:98], -v[103:104]
	v_mul_f64 v[99:100], v[99:100], v[73:74]
	v_fma_f64 v[99:100], v[101:102], v[97:98], v[99:100]
	s_waitcnt vmcnt(2)
	v_add_f64 v[69:70], v[69:70], -v[103:104]
	s_waitcnt vmcnt(0)
	v_add_f64 v[71:72], v[71:72], -v[99:100]
	buffer_store_dword v69, off, s[20:23], 0 offset:32 ; 4-byte Folded Spill
	s_nop 0
	buffer_store_dword v70, off, s[20:23], 0 offset:36 ; 4-byte Folded Spill
	buffer_store_dword v71, off, s[20:23], 0 offset:40 ; 4-byte Folded Spill
	;; [unrolled: 1-line block ×3, first 2 shown]
	ds_read2_b64 v[99:102], v125 offset0:52 offset1:53
	buffer_load_dword v65, off, s[20:23], 0 offset:16 ; 4-byte Folded Reload
	buffer_load_dword v66, off, s[20:23], 0 offset:20 ; 4-byte Folded Reload
	buffer_load_dword v67, off, s[20:23], 0 offset:24 ; 4-byte Folded Reload
	buffer_load_dword v68, off, s[20:23], 0 offset:28 ; 4-byte Folded Reload
	v_mov_b32_e32 v71, v97
	v_mov_b32_e32 v72, v98
	s_waitcnt lgkmcnt(0)
	v_mul_f64 v[103:104], v[101:102], v[73:74]
	v_fma_f64 v[103:104], v[99:100], v[97:98], -v[103:104]
	v_mul_f64 v[99:100], v[99:100], v[73:74]
	v_fma_f64 v[99:100], v[101:102], v[97:98], v[99:100]
	s_waitcnt vmcnt(2)
	v_add_f64 v[65:66], v[65:66], -v[103:104]
	s_waitcnt vmcnt(0)
	v_add_f64 v[67:68], v[67:68], -v[99:100]
	buffer_store_dword v65, off, s[20:23], 0 offset:16 ; 4-byte Folded Spill
	s_nop 0
	buffer_store_dword v66, off, s[20:23], 0 offset:20 ; 4-byte Folded Spill
	buffer_store_dword v67, off, s[20:23], 0 offset:24 ; 4-byte Folded Spill
	;; [unrolled: 1-line block ×3, first 2 shown]
	v_mov_b32_e32 v68, v64
	v_mov_b32_e32 v67, v63
	;; [unrolled: 1-line block ×4, first 2 shown]
	ds_read2_b64 v[99:102], v125 offset0:54 offset1:55
	buffer_load_dword v61, off, s[20:23], 0 ; 4-byte Folded Reload
	buffer_load_dword v62, off, s[20:23], 0 offset:4 ; 4-byte Folded Reload
	buffer_load_dword v63, off, s[20:23], 0 offset:8 ; 4-byte Folded Reload
	;; [unrolled: 1-line block ×3, first 2 shown]
	s_waitcnt lgkmcnt(0)
	v_mul_f64 v[103:104], v[101:102], v[73:74]
	v_fma_f64 v[103:104], v[99:100], v[97:98], -v[103:104]
	v_mul_f64 v[99:100], v[99:100], v[73:74]
	v_fma_f64 v[99:100], v[101:102], v[97:98], v[99:100]
	s_waitcnt vmcnt(2)
	v_add_f64 v[61:62], v[61:62], -v[103:104]
	s_waitcnt vmcnt(0)
	v_add_f64 v[63:64], v[63:64], -v[99:100]
	buffer_store_dword v61, off, s[20:23], 0 ; 4-byte Folded Spill
	s_nop 0
	buffer_store_dword v62, off, s[20:23], 0 offset:4 ; 4-byte Folded Spill
	buffer_store_dword v63, off, s[20:23], 0 offset:8 ; 4-byte Folded Spill
	;; [unrolled: 1-line block ×3, first 2 shown]
	ds_read2_b64 v[99:102], v125 offset0:56 offset1:57
	s_waitcnt lgkmcnt(0)
	v_mul_f64 v[103:104], v[101:102], v[73:74]
	v_fma_f64 v[103:104], v[99:100], v[97:98], -v[103:104]
	v_mul_f64 v[99:100], v[99:100], v[73:74]
	v_add_f64 v[57:58], v[57:58], -v[103:104]
	v_fma_f64 v[99:100], v[101:102], v[97:98], v[99:100]
	v_add_f64 v[59:60], v[59:60], -v[99:100]
	ds_read2_b64 v[99:102], v125 offset0:58 offset1:59
	s_waitcnt lgkmcnt(0)
	v_mul_f64 v[103:104], v[101:102], v[73:74]
	v_fma_f64 v[103:104], v[99:100], v[97:98], -v[103:104]
	v_mul_f64 v[99:100], v[99:100], v[73:74]
	v_add_f64 v[53:54], v[53:54], -v[103:104]
	v_fma_f64 v[99:100], v[101:102], v[97:98], v[99:100]
	v_add_f64 v[55:56], v[55:56], -v[99:100]
	;; [unrolled: 8-line block ×15, first 2 shown]
	ds_read2_b64 v[99:102], v125 offset0:86 offset1:87
	s_waitcnt lgkmcnt(0)
	v_mul_f64 v[103:104], v[101:102], v[73:74]
	v_fma_f64 v[103:104], v[99:100], v[97:98], -v[103:104]
	v_mul_f64 v[99:100], v[99:100], v[73:74]
	buffer_store_dword v71, off, s[20:23], 0 offset:192 ; 4-byte Folded Spill
	s_nop 0
	buffer_store_dword v72, off, s[20:23], 0 offset:196 ; 4-byte Folded Spill
	buffer_store_dword v73, off, s[20:23], 0 offset:200 ; 4-byte Folded Spill
	;; [unrolled: 1-line block ×3, first 2 shown]
	v_add_f64 v[65:66], v[65:66], -v[103:104]
	v_fma_f64 v[99:100], v[101:102], v[97:98], v[99:100]
	v_add_f64 v[67:68], v[67:68], -v[99:100]
.LBB87_100:
	s_or_b64 exec, exec, s[2:3]
	v_cmp_eq_u32_e32 vcc, 11, v0
	s_waitcnt vmcnt(0)
	s_barrier
	s_and_saveexec_b64 s[4:5], vcc
	s_cbranch_execz .LBB87_107
; %bb.101:
	buffer_load_dword v61, off, s[20:23], 0 offset:176 ; 4-byte Folded Reload
	buffer_load_dword v62, off, s[20:23], 0 offset:180 ; 4-byte Folded Reload
	;; [unrolled: 1-line block ×4, first 2 shown]
	s_waitcnt vmcnt(0)
	ds_write2_b64 v127, v[61:62], v[63:64] offset1:1
	buffer_load_dword v61, off, s[20:23], 0 offset:160 ; 4-byte Folded Reload
	buffer_load_dword v62, off, s[20:23], 0 offset:164 ; 4-byte Folded Reload
	buffer_load_dword v63, off, s[20:23], 0 offset:168 ; 4-byte Folded Reload
	buffer_load_dword v64, off, s[20:23], 0 offset:172 ; 4-byte Folded Reload
	s_waitcnt vmcnt(0)
	ds_write2_b64 v125, v[61:62], v[63:64] offset0:24 offset1:25
	buffer_load_dword v61, off, s[20:23], 0 offset:144 ; 4-byte Folded Reload
	buffer_load_dword v62, off, s[20:23], 0 offset:148 ; 4-byte Folded Reload
	buffer_load_dword v63, off, s[20:23], 0 offset:152 ; 4-byte Folded Reload
	buffer_load_dword v64, off, s[20:23], 0 offset:156 ; 4-byte Folded Reload
	s_waitcnt vmcnt(0)
	ds_write2_b64 v125, v[61:62], v[63:64] offset0:26 offset1:27
	;; [unrolled: 6-line block ×8, first 2 shown]
	ds_write2_b64 v125, v[117:118], v[119:120] offset0:40 offset1:41
	ds_write2_b64 v125, v[121:122], v[123:124] offset0:42 offset1:43
	;; [unrolled: 1-line block ×5, first 2 shown]
	buffer_load_dword v69, off, s[20:23], 0 offset:32 ; 4-byte Folded Reload
	buffer_load_dword v70, off, s[20:23], 0 offset:36 ; 4-byte Folded Reload
	;; [unrolled: 1-line block ×4, first 2 shown]
	v_mov_b32_e32 v61, v65
	v_mov_b32_e32 v62, v66
	;; [unrolled: 1-line block ×4, first 2 shown]
	s_waitcnt vmcnt(0)
	ds_write2_b64 v125, v[69:70], v[71:72] offset0:50 offset1:51
	buffer_load_dword v65, off, s[20:23], 0 offset:16 ; 4-byte Folded Reload
	buffer_load_dword v66, off, s[20:23], 0 offset:20 ; 4-byte Folded Reload
	;; [unrolled: 1-line block ×4, first 2 shown]
	s_waitcnt vmcnt(0)
	ds_write2_b64 v125, v[65:66], v[67:68] offset0:52 offset1:53
	v_mov_b32_e32 v68, v64
	v_mov_b32_e32 v67, v63
	;; [unrolled: 1-line block ×4, first 2 shown]
	buffer_load_dword v61, off, s[20:23], 0 ; 4-byte Folded Reload
	buffer_load_dword v62, off, s[20:23], 0 offset:4 ; 4-byte Folded Reload
	buffer_load_dword v63, off, s[20:23], 0 offset:8 ; 4-byte Folded Reload
	;; [unrolled: 1-line block ×3, first 2 shown]
	s_waitcnt vmcnt(0)
	ds_write2_b64 v125, v[61:62], v[63:64] offset0:54 offset1:55
	ds_write2_b64 v125, v[57:58], v[59:60] offset0:56 offset1:57
	;; [unrolled: 1-line block ×17, first 2 shown]
	ds_read2_b64 v[97:100], v127 offset1:1
	s_waitcnt lgkmcnt(0)
	v_cmp_neq_f64_e32 vcc, 0, v[97:98]
	v_cmp_neq_f64_e64 s[2:3], 0, v[99:100]
	s_or_b64 s[2:3], vcc, s[2:3]
	s_and_b64 exec, exec, s[2:3]
	s_cbranch_execz .LBB87_107
; %bb.102:
	v_cmp_ngt_f64_e64 s[2:3], |v[97:98]|, |v[99:100]|
                                        ; implicit-def: $vgpr101_vgpr102
	s_and_saveexec_b64 s[6:7], s[2:3]
	s_xor_b64 s[2:3], exec, s[6:7]
                                        ; implicit-def: $vgpr103_vgpr104
	s_cbranch_execz .LBB87_104
; %bb.103:
	v_div_scale_f64 v[101:102], s[6:7], v[99:100], v[99:100], v[97:98]
	v_rcp_f64_e32 v[103:104], v[101:102]
	v_fma_f64 v[105:106], -v[101:102], v[103:104], 1.0
	v_fma_f64 v[103:104], v[103:104], v[105:106], v[103:104]
	v_div_scale_f64 v[105:106], vcc, v[97:98], v[99:100], v[97:98]
	v_fma_f64 v[107:108], -v[101:102], v[103:104], 1.0
	v_fma_f64 v[103:104], v[103:104], v[107:108], v[103:104]
	v_mul_f64 v[107:108], v[105:106], v[103:104]
	v_fma_f64 v[101:102], -v[101:102], v[107:108], v[105:106]
	v_div_fmas_f64 v[101:102], v[101:102], v[103:104], v[107:108]
	v_div_fixup_f64 v[101:102], v[101:102], v[99:100], v[97:98]
	v_fma_f64 v[97:98], v[97:98], v[101:102], v[99:100]
	v_div_scale_f64 v[99:100], s[6:7], v[97:98], v[97:98], 1.0
	v_div_scale_f64 v[107:108], vcc, 1.0, v[97:98], 1.0
	v_rcp_f64_e32 v[103:104], v[99:100]
	v_fma_f64 v[105:106], -v[99:100], v[103:104], 1.0
	v_fma_f64 v[103:104], v[103:104], v[105:106], v[103:104]
	v_fma_f64 v[105:106], -v[99:100], v[103:104], 1.0
	v_fma_f64 v[103:104], v[103:104], v[105:106], v[103:104]
	v_mul_f64 v[105:106], v[107:108], v[103:104]
	v_fma_f64 v[99:100], -v[99:100], v[105:106], v[107:108]
	v_div_fmas_f64 v[99:100], v[99:100], v[103:104], v[105:106]
	v_div_fixup_f64 v[103:104], v[99:100], v[97:98], 1.0
                                        ; implicit-def: $vgpr97_vgpr98
	v_mul_f64 v[101:102], v[101:102], v[103:104]
	v_xor_b32_e32 v104, 0x80000000, v104
.LBB87_104:
	s_andn2_saveexec_b64 s[2:3], s[2:3]
	s_cbranch_execz .LBB87_106
; %bb.105:
	v_div_scale_f64 v[101:102], s[6:7], v[97:98], v[97:98], v[99:100]
	v_rcp_f64_e32 v[103:104], v[101:102]
	v_fma_f64 v[105:106], -v[101:102], v[103:104], 1.0
	v_fma_f64 v[103:104], v[103:104], v[105:106], v[103:104]
	v_div_scale_f64 v[105:106], vcc, v[99:100], v[97:98], v[99:100]
	v_fma_f64 v[107:108], -v[101:102], v[103:104], 1.0
	v_fma_f64 v[103:104], v[103:104], v[107:108], v[103:104]
	v_mul_f64 v[107:108], v[105:106], v[103:104]
	v_fma_f64 v[101:102], -v[101:102], v[107:108], v[105:106]
	v_div_fmas_f64 v[101:102], v[101:102], v[103:104], v[107:108]
	v_div_fixup_f64 v[103:104], v[101:102], v[97:98], v[99:100]
	v_fma_f64 v[97:98], v[99:100], v[103:104], v[97:98]
	v_div_scale_f64 v[99:100], s[6:7], v[97:98], v[97:98], 1.0
	v_div_scale_f64 v[107:108], vcc, 1.0, v[97:98], 1.0
	v_rcp_f64_e32 v[101:102], v[99:100]
	v_fma_f64 v[105:106], -v[99:100], v[101:102], 1.0
	v_fma_f64 v[101:102], v[101:102], v[105:106], v[101:102]
	v_fma_f64 v[105:106], -v[99:100], v[101:102], 1.0
	v_fma_f64 v[101:102], v[101:102], v[105:106], v[101:102]
	v_mul_f64 v[105:106], v[107:108], v[101:102]
	v_fma_f64 v[99:100], -v[99:100], v[105:106], v[107:108]
	v_div_fmas_f64 v[99:100], v[99:100], v[101:102], v[105:106]
	v_div_fixup_f64 v[101:102], v[99:100], v[97:98], 1.0
	v_mul_f64 v[103:104], v[103:104], -v[101:102]
.LBB87_106:
	s_or_b64 exec, exec, s[2:3]
	ds_write2_b64 v127, v[101:102], v[103:104] offset1:1
.LBB87_107:
	s_or_b64 exec, exec, s[4:5]
	s_waitcnt lgkmcnt(0)
	s_barrier
	ds_read2_b64 v[61:64], v127 offset1:1
	v_cmp_lt_u32_e32 vcc, 11, v0
	s_waitcnt lgkmcnt(0)
	buffer_store_dword v61, off, s[20:23], 0 offset:856 ; 4-byte Folded Spill
	s_nop 0
	buffer_store_dword v62, off, s[20:23], 0 offset:860 ; 4-byte Folded Spill
	buffer_store_dword v63, off, s[20:23], 0 offset:864 ; 4-byte Folded Spill
	;; [unrolled: 1-line block ×3, first 2 shown]
	s_and_saveexec_b64 s[2:3], vcc
	s_cbranch_execz .LBB87_109
; %bb.108:
	buffer_load_dword v71, off, s[20:23], 0 offset:176 ; 4-byte Folded Reload
	buffer_load_dword v72, off, s[20:23], 0 offset:180 ; 4-byte Folded Reload
	;; [unrolled: 1-line block ×8, first 2 shown]
	s_waitcnt vmcnt(2)
	v_mul_f64 v[99:100], v[61:62], v[73:74]
	s_waitcnt vmcnt(0)
	v_mul_f64 v[97:98], v[63:64], v[73:74]
	v_fma_f64 v[73:74], v[63:64], v[71:72], v[99:100]
	ds_read2_b64 v[99:102], v125 offset0:24 offset1:25
	v_fma_f64 v[97:98], v[61:62], v[71:72], -v[97:98]
	buffer_load_dword v61, off, s[20:23], 0 offset:160 ; 4-byte Folded Reload
	buffer_load_dword v62, off, s[20:23], 0 offset:164 ; 4-byte Folded Reload
	buffer_load_dword v63, off, s[20:23], 0 offset:168 ; 4-byte Folded Reload
	buffer_load_dword v64, off, s[20:23], 0 offset:172 ; 4-byte Folded Reload
	s_waitcnt lgkmcnt(0)
	v_mul_f64 v[103:104], v[101:102], v[73:74]
	v_fma_f64 v[103:104], v[99:100], v[97:98], -v[103:104]
	v_mul_f64 v[99:100], v[99:100], v[73:74]
	v_fma_f64 v[99:100], v[101:102], v[97:98], v[99:100]
	s_waitcnt vmcnt(2)
	v_add_f64 v[61:62], v[61:62], -v[103:104]
	s_waitcnt vmcnt(0)
	v_add_f64 v[63:64], v[63:64], -v[99:100]
	buffer_store_dword v61, off, s[20:23], 0 offset:160 ; 4-byte Folded Spill
	s_nop 0
	buffer_store_dword v62, off, s[20:23], 0 offset:164 ; 4-byte Folded Spill
	buffer_store_dword v63, off, s[20:23], 0 offset:168 ; 4-byte Folded Spill
	buffer_store_dword v64, off, s[20:23], 0 offset:172 ; 4-byte Folded Spill
	ds_read2_b64 v[99:102], v125 offset0:26 offset1:27
	buffer_load_dword v61, off, s[20:23], 0 offset:144 ; 4-byte Folded Reload
	buffer_load_dword v62, off, s[20:23], 0 offset:148 ; 4-byte Folded Reload
	buffer_load_dword v63, off, s[20:23], 0 offset:152 ; 4-byte Folded Reload
	buffer_load_dword v64, off, s[20:23], 0 offset:156 ; 4-byte Folded Reload
	s_waitcnt lgkmcnt(0)
	v_mul_f64 v[103:104], v[101:102], v[73:74]
	v_fma_f64 v[103:104], v[99:100], v[97:98], -v[103:104]
	v_mul_f64 v[99:100], v[99:100], v[73:74]
	v_fma_f64 v[99:100], v[101:102], v[97:98], v[99:100]
	s_waitcnt vmcnt(2)
	v_add_f64 v[61:62], v[61:62], -v[103:104]
	s_waitcnt vmcnt(0)
	v_add_f64 v[63:64], v[63:64], -v[99:100]
	buffer_store_dword v61, off, s[20:23], 0 offset:144 ; 4-byte Folded Spill
	s_nop 0
	buffer_store_dword v62, off, s[20:23], 0 offset:148 ; 4-byte Folded Spill
	buffer_store_dword v63, off, s[20:23], 0 offset:152 ; 4-byte Folded Spill
	buffer_store_dword v64, off, s[20:23], 0 offset:156 ; 4-byte Folded Spill
	ds_read2_b64 v[99:102], v125 offset0:28 offset1:29
	;; [unrolled: 19-line block ×8, first 2 shown]
	v_mov_b32_e32 v61, v65
	v_mov_b32_e32 v62, v66
	;; [unrolled: 1-line block ×4, first 2 shown]
	s_waitcnt lgkmcnt(0)
	v_mul_f64 v[103:104], v[101:102], v[73:74]
	v_fma_f64 v[103:104], v[99:100], v[97:98], -v[103:104]
	v_mul_f64 v[99:100], v[99:100], v[73:74]
	v_add_f64 v[117:118], v[117:118], -v[103:104]
	v_fma_f64 v[99:100], v[101:102], v[97:98], v[99:100]
	v_add_f64 v[119:120], v[119:120], -v[99:100]
	ds_read2_b64 v[99:102], v125 offset0:42 offset1:43
	s_waitcnt lgkmcnt(0)
	v_mul_f64 v[103:104], v[101:102], v[73:74]
	v_fma_f64 v[103:104], v[99:100], v[97:98], -v[103:104]
	v_mul_f64 v[99:100], v[99:100], v[73:74]
	v_add_f64 v[121:122], v[121:122], -v[103:104]
	v_fma_f64 v[99:100], v[101:102], v[97:98], v[99:100]
	v_add_f64 v[123:124], v[123:124], -v[99:100]
	ds_read2_b64 v[99:102], v125 offset0:44 offset1:45
	s_waitcnt lgkmcnt(0)
	v_mul_f64 v[103:104], v[101:102], v[73:74]
	v_fma_f64 v[103:104], v[99:100], v[97:98], -v[103:104]
	v_mul_f64 v[99:100], v[99:100], v[73:74]
	v_add_f64 v[109:110], v[109:110], -v[103:104]
	v_fma_f64 v[99:100], v[101:102], v[97:98], v[99:100]
	v_add_f64 v[111:112], v[111:112], -v[99:100]
	ds_read2_b64 v[99:102], v125 offset0:46 offset1:47
	s_waitcnt lgkmcnt(0)
	v_mul_f64 v[103:104], v[101:102], v[73:74]
	v_fma_f64 v[103:104], v[99:100], v[97:98], -v[103:104]
	v_mul_f64 v[99:100], v[99:100], v[73:74]
	v_add_f64 v[113:114], v[113:114], -v[103:104]
	v_fma_f64 v[99:100], v[101:102], v[97:98], v[99:100]
	v_add_f64 v[115:116], v[115:116], -v[99:100]
	ds_read2_b64 v[99:102], v125 offset0:48 offset1:49
	s_waitcnt lgkmcnt(0)
	v_mul_f64 v[103:104], v[101:102], v[73:74]
	v_fma_f64 v[103:104], v[99:100], v[97:98], -v[103:104]
	v_mul_f64 v[99:100], v[99:100], v[73:74]
	v_add_f64 v[93:94], v[93:94], -v[103:104]
	v_fma_f64 v[99:100], v[101:102], v[97:98], v[99:100]
	v_add_f64 v[95:96], v[95:96], -v[99:100]
	ds_read2_b64 v[99:102], v125 offset0:50 offset1:51
	buffer_load_dword v69, off, s[20:23], 0 offset:32 ; 4-byte Folded Reload
	buffer_load_dword v70, off, s[20:23], 0 offset:36 ; 4-byte Folded Reload
	;; [unrolled: 1-line block ×4, first 2 shown]
	s_waitcnt lgkmcnt(0)
	v_mul_f64 v[103:104], v[101:102], v[73:74]
	v_fma_f64 v[103:104], v[99:100], v[97:98], -v[103:104]
	v_mul_f64 v[99:100], v[99:100], v[73:74]
	v_fma_f64 v[99:100], v[101:102], v[97:98], v[99:100]
	s_waitcnt vmcnt(2)
	v_add_f64 v[69:70], v[69:70], -v[103:104]
	s_waitcnt vmcnt(0)
	v_add_f64 v[71:72], v[71:72], -v[99:100]
	buffer_store_dword v69, off, s[20:23], 0 offset:32 ; 4-byte Folded Spill
	s_nop 0
	buffer_store_dword v70, off, s[20:23], 0 offset:36 ; 4-byte Folded Spill
	buffer_store_dword v71, off, s[20:23], 0 offset:40 ; 4-byte Folded Spill
	;; [unrolled: 1-line block ×3, first 2 shown]
	ds_read2_b64 v[99:102], v125 offset0:52 offset1:53
	buffer_load_dword v65, off, s[20:23], 0 offset:16 ; 4-byte Folded Reload
	buffer_load_dword v66, off, s[20:23], 0 offset:20 ; 4-byte Folded Reload
	;; [unrolled: 1-line block ×4, first 2 shown]
	v_mov_b32_e32 v71, v97
	v_mov_b32_e32 v72, v98
	s_waitcnt lgkmcnt(0)
	v_mul_f64 v[103:104], v[101:102], v[73:74]
	v_fma_f64 v[103:104], v[99:100], v[97:98], -v[103:104]
	v_mul_f64 v[99:100], v[99:100], v[73:74]
	v_fma_f64 v[99:100], v[101:102], v[97:98], v[99:100]
	s_waitcnt vmcnt(2)
	v_add_f64 v[65:66], v[65:66], -v[103:104]
	s_waitcnt vmcnt(0)
	v_add_f64 v[67:68], v[67:68], -v[99:100]
	buffer_store_dword v65, off, s[20:23], 0 offset:16 ; 4-byte Folded Spill
	s_nop 0
	buffer_store_dword v66, off, s[20:23], 0 offset:20 ; 4-byte Folded Spill
	buffer_store_dword v67, off, s[20:23], 0 offset:24 ; 4-byte Folded Spill
	;; [unrolled: 1-line block ×3, first 2 shown]
	v_mov_b32_e32 v68, v64
	v_mov_b32_e32 v67, v63
	;; [unrolled: 1-line block ×4, first 2 shown]
	ds_read2_b64 v[99:102], v125 offset0:54 offset1:55
	buffer_load_dword v61, off, s[20:23], 0 ; 4-byte Folded Reload
	buffer_load_dword v62, off, s[20:23], 0 offset:4 ; 4-byte Folded Reload
	buffer_load_dword v63, off, s[20:23], 0 offset:8 ; 4-byte Folded Reload
	buffer_load_dword v64, off, s[20:23], 0 offset:12 ; 4-byte Folded Reload
	s_waitcnt lgkmcnt(0)
	v_mul_f64 v[103:104], v[101:102], v[73:74]
	v_fma_f64 v[103:104], v[99:100], v[97:98], -v[103:104]
	v_mul_f64 v[99:100], v[99:100], v[73:74]
	v_fma_f64 v[99:100], v[101:102], v[97:98], v[99:100]
	s_waitcnt vmcnt(2)
	v_add_f64 v[61:62], v[61:62], -v[103:104]
	s_waitcnt vmcnt(0)
	v_add_f64 v[63:64], v[63:64], -v[99:100]
	buffer_store_dword v61, off, s[20:23], 0 ; 4-byte Folded Spill
	s_nop 0
	buffer_store_dword v62, off, s[20:23], 0 offset:4 ; 4-byte Folded Spill
	buffer_store_dword v63, off, s[20:23], 0 offset:8 ; 4-byte Folded Spill
	;; [unrolled: 1-line block ×3, first 2 shown]
	ds_read2_b64 v[99:102], v125 offset0:56 offset1:57
	s_waitcnt lgkmcnt(0)
	v_mul_f64 v[103:104], v[101:102], v[73:74]
	v_fma_f64 v[103:104], v[99:100], v[97:98], -v[103:104]
	v_mul_f64 v[99:100], v[99:100], v[73:74]
	v_add_f64 v[57:58], v[57:58], -v[103:104]
	v_fma_f64 v[99:100], v[101:102], v[97:98], v[99:100]
	v_add_f64 v[59:60], v[59:60], -v[99:100]
	ds_read2_b64 v[99:102], v125 offset0:58 offset1:59
	s_waitcnt lgkmcnt(0)
	v_mul_f64 v[103:104], v[101:102], v[73:74]
	v_fma_f64 v[103:104], v[99:100], v[97:98], -v[103:104]
	v_mul_f64 v[99:100], v[99:100], v[73:74]
	v_add_f64 v[53:54], v[53:54], -v[103:104]
	v_fma_f64 v[99:100], v[101:102], v[97:98], v[99:100]
	v_add_f64 v[55:56], v[55:56], -v[99:100]
	;; [unrolled: 8-line block ×15, first 2 shown]
	ds_read2_b64 v[99:102], v125 offset0:86 offset1:87
	s_waitcnt lgkmcnt(0)
	v_mul_f64 v[103:104], v[101:102], v[73:74]
	v_fma_f64 v[103:104], v[99:100], v[97:98], -v[103:104]
	v_mul_f64 v[99:100], v[99:100], v[73:74]
	buffer_store_dword v71, off, s[20:23], 0 offset:176 ; 4-byte Folded Spill
	s_nop 0
	buffer_store_dword v72, off, s[20:23], 0 offset:180 ; 4-byte Folded Spill
	buffer_store_dword v73, off, s[20:23], 0 offset:184 ; 4-byte Folded Spill
	;; [unrolled: 1-line block ×3, first 2 shown]
	v_add_f64 v[65:66], v[65:66], -v[103:104]
	v_fma_f64 v[99:100], v[101:102], v[97:98], v[99:100]
	v_add_f64 v[67:68], v[67:68], -v[99:100]
.LBB87_109:
	s_or_b64 exec, exec, s[2:3]
	v_cmp_eq_u32_e32 vcc, 12, v0
	s_waitcnt vmcnt(0)
	s_barrier
	s_and_saveexec_b64 s[4:5], vcc
	s_cbranch_execz .LBB87_116
; %bb.110:
	buffer_load_dword v61, off, s[20:23], 0 offset:160 ; 4-byte Folded Reload
	buffer_load_dword v62, off, s[20:23], 0 offset:164 ; 4-byte Folded Reload
	;; [unrolled: 1-line block ×4, first 2 shown]
	s_waitcnt vmcnt(0)
	ds_write2_b64 v127, v[61:62], v[63:64] offset1:1
	buffer_load_dword v61, off, s[20:23], 0 offset:144 ; 4-byte Folded Reload
	buffer_load_dword v62, off, s[20:23], 0 offset:148 ; 4-byte Folded Reload
	buffer_load_dword v63, off, s[20:23], 0 offset:152 ; 4-byte Folded Reload
	buffer_load_dword v64, off, s[20:23], 0 offset:156 ; 4-byte Folded Reload
	s_waitcnt vmcnt(0)
	ds_write2_b64 v125, v[61:62], v[63:64] offset0:26 offset1:27
	buffer_load_dword v61, off, s[20:23], 0 offset:128 ; 4-byte Folded Reload
	buffer_load_dword v62, off, s[20:23], 0 offset:132 ; 4-byte Folded Reload
	buffer_load_dword v63, off, s[20:23], 0 offset:136 ; 4-byte Folded Reload
	buffer_load_dword v64, off, s[20:23], 0 offset:140 ; 4-byte Folded Reload
	s_waitcnt vmcnt(0)
	ds_write2_b64 v125, v[61:62], v[63:64] offset0:28 offset1:29
	;; [unrolled: 6-line block ×7, first 2 shown]
	ds_write2_b64 v125, v[117:118], v[119:120] offset0:40 offset1:41
	ds_write2_b64 v125, v[121:122], v[123:124] offset0:42 offset1:43
	;; [unrolled: 1-line block ×5, first 2 shown]
	buffer_load_dword v69, off, s[20:23], 0 offset:32 ; 4-byte Folded Reload
	buffer_load_dword v70, off, s[20:23], 0 offset:36 ; 4-byte Folded Reload
	;; [unrolled: 1-line block ×4, first 2 shown]
	v_mov_b32_e32 v61, v65
	v_mov_b32_e32 v62, v66
	;; [unrolled: 1-line block ×4, first 2 shown]
	s_waitcnt vmcnt(0)
	ds_write2_b64 v125, v[69:70], v[71:72] offset0:50 offset1:51
	buffer_load_dword v65, off, s[20:23], 0 offset:16 ; 4-byte Folded Reload
	buffer_load_dword v66, off, s[20:23], 0 offset:20 ; 4-byte Folded Reload
	;; [unrolled: 1-line block ×4, first 2 shown]
	s_waitcnt vmcnt(0)
	ds_write2_b64 v125, v[65:66], v[67:68] offset0:52 offset1:53
	v_mov_b32_e32 v68, v64
	v_mov_b32_e32 v67, v63
	v_mov_b32_e32 v66, v62
	v_mov_b32_e32 v65, v61
	buffer_load_dword v61, off, s[20:23], 0 ; 4-byte Folded Reload
	buffer_load_dword v62, off, s[20:23], 0 offset:4 ; 4-byte Folded Reload
	buffer_load_dword v63, off, s[20:23], 0 offset:8 ; 4-byte Folded Reload
	;; [unrolled: 1-line block ×3, first 2 shown]
	s_waitcnt vmcnt(0)
	ds_write2_b64 v125, v[61:62], v[63:64] offset0:54 offset1:55
	ds_write2_b64 v125, v[57:58], v[59:60] offset0:56 offset1:57
	;; [unrolled: 1-line block ×17, first 2 shown]
	ds_read2_b64 v[97:100], v127 offset1:1
	s_waitcnt lgkmcnt(0)
	v_cmp_neq_f64_e32 vcc, 0, v[97:98]
	v_cmp_neq_f64_e64 s[2:3], 0, v[99:100]
	s_or_b64 s[2:3], vcc, s[2:3]
	s_and_b64 exec, exec, s[2:3]
	s_cbranch_execz .LBB87_116
; %bb.111:
	v_cmp_ngt_f64_e64 s[2:3], |v[97:98]|, |v[99:100]|
                                        ; implicit-def: $vgpr101_vgpr102
	s_and_saveexec_b64 s[6:7], s[2:3]
	s_xor_b64 s[2:3], exec, s[6:7]
                                        ; implicit-def: $vgpr103_vgpr104
	s_cbranch_execz .LBB87_113
; %bb.112:
	v_div_scale_f64 v[101:102], s[6:7], v[99:100], v[99:100], v[97:98]
	v_rcp_f64_e32 v[103:104], v[101:102]
	v_fma_f64 v[105:106], -v[101:102], v[103:104], 1.0
	v_fma_f64 v[103:104], v[103:104], v[105:106], v[103:104]
	v_div_scale_f64 v[105:106], vcc, v[97:98], v[99:100], v[97:98]
	v_fma_f64 v[107:108], -v[101:102], v[103:104], 1.0
	v_fma_f64 v[103:104], v[103:104], v[107:108], v[103:104]
	v_mul_f64 v[107:108], v[105:106], v[103:104]
	v_fma_f64 v[101:102], -v[101:102], v[107:108], v[105:106]
	v_div_fmas_f64 v[101:102], v[101:102], v[103:104], v[107:108]
	v_div_fixup_f64 v[101:102], v[101:102], v[99:100], v[97:98]
	v_fma_f64 v[97:98], v[97:98], v[101:102], v[99:100]
	v_div_scale_f64 v[99:100], s[6:7], v[97:98], v[97:98], 1.0
	v_div_scale_f64 v[107:108], vcc, 1.0, v[97:98], 1.0
	v_rcp_f64_e32 v[103:104], v[99:100]
	v_fma_f64 v[105:106], -v[99:100], v[103:104], 1.0
	v_fma_f64 v[103:104], v[103:104], v[105:106], v[103:104]
	v_fma_f64 v[105:106], -v[99:100], v[103:104], 1.0
	v_fma_f64 v[103:104], v[103:104], v[105:106], v[103:104]
	v_mul_f64 v[105:106], v[107:108], v[103:104]
	v_fma_f64 v[99:100], -v[99:100], v[105:106], v[107:108]
	v_div_fmas_f64 v[99:100], v[99:100], v[103:104], v[105:106]
	v_div_fixup_f64 v[103:104], v[99:100], v[97:98], 1.0
                                        ; implicit-def: $vgpr97_vgpr98
	v_mul_f64 v[101:102], v[101:102], v[103:104]
	v_xor_b32_e32 v104, 0x80000000, v104
.LBB87_113:
	s_andn2_saveexec_b64 s[2:3], s[2:3]
	s_cbranch_execz .LBB87_115
; %bb.114:
	v_div_scale_f64 v[101:102], s[6:7], v[97:98], v[97:98], v[99:100]
	v_rcp_f64_e32 v[103:104], v[101:102]
	v_fma_f64 v[105:106], -v[101:102], v[103:104], 1.0
	v_fma_f64 v[103:104], v[103:104], v[105:106], v[103:104]
	v_div_scale_f64 v[105:106], vcc, v[99:100], v[97:98], v[99:100]
	v_fma_f64 v[107:108], -v[101:102], v[103:104], 1.0
	v_fma_f64 v[103:104], v[103:104], v[107:108], v[103:104]
	v_mul_f64 v[107:108], v[105:106], v[103:104]
	v_fma_f64 v[101:102], -v[101:102], v[107:108], v[105:106]
	v_div_fmas_f64 v[101:102], v[101:102], v[103:104], v[107:108]
	v_div_fixup_f64 v[103:104], v[101:102], v[97:98], v[99:100]
	v_fma_f64 v[97:98], v[99:100], v[103:104], v[97:98]
	v_div_scale_f64 v[99:100], s[6:7], v[97:98], v[97:98], 1.0
	v_div_scale_f64 v[107:108], vcc, 1.0, v[97:98], 1.0
	v_rcp_f64_e32 v[101:102], v[99:100]
	v_fma_f64 v[105:106], -v[99:100], v[101:102], 1.0
	v_fma_f64 v[101:102], v[101:102], v[105:106], v[101:102]
	v_fma_f64 v[105:106], -v[99:100], v[101:102], 1.0
	v_fma_f64 v[101:102], v[101:102], v[105:106], v[101:102]
	v_mul_f64 v[105:106], v[107:108], v[101:102]
	v_fma_f64 v[99:100], -v[99:100], v[105:106], v[107:108]
	v_div_fmas_f64 v[99:100], v[99:100], v[101:102], v[105:106]
	v_div_fixup_f64 v[101:102], v[99:100], v[97:98], 1.0
	v_mul_f64 v[103:104], v[103:104], -v[101:102]
.LBB87_115:
	s_or_b64 exec, exec, s[2:3]
	ds_write2_b64 v127, v[101:102], v[103:104] offset1:1
.LBB87_116:
	s_or_b64 exec, exec, s[4:5]
	s_waitcnt lgkmcnt(0)
	s_barrier
	ds_read2_b64 v[61:64], v127 offset1:1
	v_cmp_lt_u32_e32 vcc, 12, v0
	s_waitcnt lgkmcnt(0)
	buffer_store_dword v61, off, s[20:23], 0 offset:872 ; 4-byte Folded Spill
	s_nop 0
	buffer_store_dword v62, off, s[20:23], 0 offset:876 ; 4-byte Folded Spill
	buffer_store_dword v63, off, s[20:23], 0 offset:880 ; 4-byte Folded Spill
	;; [unrolled: 1-line block ×3, first 2 shown]
	s_and_saveexec_b64 s[2:3], vcc
	s_cbranch_execz .LBB87_118
; %bb.117:
	buffer_load_dword v71, off, s[20:23], 0 offset:160 ; 4-byte Folded Reload
	buffer_load_dword v72, off, s[20:23], 0 offset:164 ; 4-byte Folded Reload
	;; [unrolled: 1-line block ×8, first 2 shown]
	s_waitcnt vmcnt(2)
	v_mul_f64 v[99:100], v[61:62], v[73:74]
	s_waitcnt vmcnt(0)
	v_mul_f64 v[97:98], v[63:64], v[73:74]
	v_fma_f64 v[73:74], v[63:64], v[71:72], v[99:100]
	ds_read2_b64 v[99:102], v125 offset0:26 offset1:27
	v_fma_f64 v[97:98], v[61:62], v[71:72], -v[97:98]
	buffer_load_dword v61, off, s[20:23], 0 offset:144 ; 4-byte Folded Reload
	buffer_load_dword v62, off, s[20:23], 0 offset:148 ; 4-byte Folded Reload
	buffer_load_dword v63, off, s[20:23], 0 offset:152 ; 4-byte Folded Reload
	buffer_load_dword v64, off, s[20:23], 0 offset:156 ; 4-byte Folded Reload
	s_waitcnt lgkmcnt(0)
	v_mul_f64 v[103:104], v[101:102], v[73:74]
	v_fma_f64 v[103:104], v[99:100], v[97:98], -v[103:104]
	v_mul_f64 v[99:100], v[99:100], v[73:74]
	v_fma_f64 v[99:100], v[101:102], v[97:98], v[99:100]
	s_waitcnt vmcnt(2)
	v_add_f64 v[61:62], v[61:62], -v[103:104]
	s_waitcnt vmcnt(0)
	v_add_f64 v[63:64], v[63:64], -v[99:100]
	buffer_store_dword v61, off, s[20:23], 0 offset:144 ; 4-byte Folded Spill
	s_nop 0
	buffer_store_dword v62, off, s[20:23], 0 offset:148 ; 4-byte Folded Spill
	buffer_store_dword v63, off, s[20:23], 0 offset:152 ; 4-byte Folded Spill
	buffer_store_dword v64, off, s[20:23], 0 offset:156 ; 4-byte Folded Spill
	ds_read2_b64 v[99:102], v125 offset0:28 offset1:29
	buffer_load_dword v61, off, s[20:23], 0 offset:128 ; 4-byte Folded Reload
	buffer_load_dword v62, off, s[20:23], 0 offset:132 ; 4-byte Folded Reload
	buffer_load_dword v63, off, s[20:23], 0 offset:136 ; 4-byte Folded Reload
	buffer_load_dword v64, off, s[20:23], 0 offset:140 ; 4-byte Folded Reload
	s_waitcnt lgkmcnt(0)
	v_mul_f64 v[103:104], v[101:102], v[73:74]
	v_fma_f64 v[103:104], v[99:100], v[97:98], -v[103:104]
	v_mul_f64 v[99:100], v[99:100], v[73:74]
	v_fma_f64 v[99:100], v[101:102], v[97:98], v[99:100]
	s_waitcnt vmcnt(2)
	v_add_f64 v[61:62], v[61:62], -v[103:104]
	s_waitcnt vmcnt(0)
	v_add_f64 v[63:64], v[63:64], -v[99:100]
	buffer_store_dword v61, off, s[20:23], 0 offset:128 ; 4-byte Folded Spill
	s_nop 0
	buffer_store_dword v62, off, s[20:23], 0 offset:132 ; 4-byte Folded Spill
	buffer_store_dword v63, off, s[20:23], 0 offset:136 ; 4-byte Folded Spill
	buffer_store_dword v64, off, s[20:23], 0 offset:140 ; 4-byte Folded Spill
	ds_read2_b64 v[99:102], v125 offset0:30 offset1:31
	;; [unrolled: 19-line block ×7, first 2 shown]
	v_mov_b32_e32 v61, v65
	v_mov_b32_e32 v62, v66
	;; [unrolled: 1-line block ×4, first 2 shown]
	s_waitcnt lgkmcnt(0)
	v_mul_f64 v[103:104], v[101:102], v[73:74]
	v_fma_f64 v[103:104], v[99:100], v[97:98], -v[103:104]
	v_mul_f64 v[99:100], v[99:100], v[73:74]
	v_add_f64 v[117:118], v[117:118], -v[103:104]
	v_fma_f64 v[99:100], v[101:102], v[97:98], v[99:100]
	v_add_f64 v[119:120], v[119:120], -v[99:100]
	ds_read2_b64 v[99:102], v125 offset0:42 offset1:43
	s_waitcnt lgkmcnt(0)
	v_mul_f64 v[103:104], v[101:102], v[73:74]
	v_fma_f64 v[103:104], v[99:100], v[97:98], -v[103:104]
	v_mul_f64 v[99:100], v[99:100], v[73:74]
	v_add_f64 v[121:122], v[121:122], -v[103:104]
	v_fma_f64 v[99:100], v[101:102], v[97:98], v[99:100]
	v_add_f64 v[123:124], v[123:124], -v[99:100]
	ds_read2_b64 v[99:102], v125 offset0:44 offset1:45
	;; [unrolled: 8-line block ×5, first 2 shown]
	buffer_load_dword v69, off, s[20:23], 0 offset:32 ; 4-byte Folded Reload
	buffer_load_dword v70, off, s[20:23], 0 offset:36 ; 4-byte Folded Reload
	;; [unrolled: 1-line block ×4, first 2 shown]
	s_waitcnt lgkmcnt(0)
	v_mul_f64 v[103:104], v[101:102], v[73:74]
	v_fma_f64 v[103:104], v[99:100], v[97:98], -v[103:104]
	v_mul_f64 v[99:100], v[99:100], v[73:74]
	v_fma_f64 v[99:100], v[101:102], v[97:98], v[99:100]
	s_waitcnt vmcnt(2)
	v_add_f64 v[69:70], v[69:70], -v[103:104]
	s_waitcnt vmcnt(0)
	v_add_f64 v[71:72], v[71:72], -v[99:100]
	buffer_store_dword v69, off, s[20:23], 0 offset:32 ; 4-byte Folded Spill
	s_nop 0
	buffer_store_dword v70, off, s[20:23], 0 offset:36 ; 4-byte Folded Spill
	buffer_store_dword v71, off, s[20:23], 0 offset:40 ; 4-byte Folded Spill
	;; [unrolled: 1-line block ×3, first 2 shown]
	ds_read2_b64 v[99:102], v125 offset0:52 offset1:53
	buffer_load_dword v65, off, s[20:23], 0 offset:16 ; 4-byte Folded Reload
	buffer_load_dword v66, off, s[20:23], 0 offset:20 ; 4-byte Folded Reload
	;; [unrolled: 1-line block ×4, first 2 shown]
	v_mov_b32_e32 v71, v97
	v_mov_b32_e32 v72, v98
	s_waitcnt lgkmcnt(0)
	v_mul_f64 v[103:104], v[101:102], v[73:74]
	v_fma_f64 v[103:104], v[99:100], v[97:98], -v[103:104]
	v_mul_f64 v[99:100], v[99:100], v[73:74]
	v_fma_f64 v[99:100], v[101:102], v[97:98], v[99:100]
	s_waitcnt vmcnt(2)
	v_add_f64 v[65:66], v[65:66], -v[103:104]
	s_waitcnt vmcnt(0)
	v_add_f64 v[67:68], v[67:68], -v[99:100]
	buffer_store_dword v65, off, s[20:23], 0 offset:16 ; 4-byte Folded Spill
	s_nop 0
	buffer_store_dword v66, off, s[20:23], 0 offset:20 ; 4-byte Folded Spill
	buffer_store_dword v67, off, s[20:23], 0 offset:24 ; 4-byte Folded Spill
	;; [unrolled: 1-line block ×3, first 2 shown]
	v_mov_b32_e32 v68, v64
	v_mov_b32_e32 v67, v63
	;; [unrolled: 1-line block ×4, first 2 shown]
	ds_read2_b64 v[99:102], v125 offset0:54 offset1:55
	buffer_load_dword v61, off, s[20:23], 0 ; 4-byte Folded Reload
	buffer_load_dword v62, off, s[20:23], 0 offset:4 ; 4-byte Folded Reload
	buffer_load_dword v63, off, s[20:23], 0 offset:8 ; 4-byte Folded Reload
	;; [unrolled: 1-line block ×3, first 2 shown]
	s_waitcnt lgkmcnt(0)
	v_mul_f64 v[103:104], v[101:102], v[73:74]
	v_fma_f64 v[103:104], v[99:100], v[97:98], -v[103:104]
	v_mul_f64 v[99:100], v[99:100], v[73:74]
	v_fma_f64 v[99:100], v[101:102], v[97:98], v[99:100]
	s_waitcnt vmcnt(2)
	v_add_f64 v[61:62], v[61:62], -v[103:104]
	s_waitcnt vmcnt(0)
	v_add_f64 v[63:64], v[63:64], -v[99:100]
	buffer_store_dword v61, off, s[20:23], 0 ; 4-byte Folded Spill
	s_nop 0
	buffer_store_dword v62, off, s[20:23], 0 offset:4 ; 4-byte Folded Spill
	buffer_store_dword v63, off, s[20:23], 0 offset:8 ; 4-byte Folded Spill
	buffer_store_dword v64, off, s[20:23], 0 offset:12 ; 4-byte Folded Spill
	ds_read2_b64 v[99:102], v125 offset0:56 offset1:57
	s_waitcnt lgkmcnt(0)
	v_mul_f64 v[103:104], v[101:102], v[73:74]
	v_fma_f64 v[103:104], v[99:100], v[97:98], -v[103:104]
	v_mul_f64 v[99:100], v[99:100], v[73:74]
	v_add_f64 v[57:58], v[57:58], -v[103:104]
	v_fma_f64 v[99:100], v[101:102], v[97:98], v[99:100]
	v_add_f64 v[59:60], v[59:60], -v[99:100]
	ds_read2_b64 v[99:102], v125 offset0:58 offset1:59
	s_waitcnt lgkmcnt(0)
	v_mul_f64 v[103:104], v[101:102], v[73:74]
	v_fma_f64 v[103:104], v[99:100], v[97:98], -v[103:104]
	v_mul_f64 v[99:100], v[99:100], v[73:74]
	v_add_f64 v[53:54], v[53:54], -v[103:104]
	v_fma_f64 v[99:100], v[101:102], v[97:98], v[99:100]
	v_add_f64 v[55:56], v[55:56], -v[99:100]
	;; [unrolled: 8-line block ×15, first 2 shown]
	ds_read2_b64 v[99:102], v125 offset0:86 offset1:87
	s_waitcnt lgkmcnt(0)
	v_mul_f64 v[103:104], v[101:102], v[73:74]
	v_fma_f64 v[103:104], v[99:100], v[97:98], -v[103:104]
	v_mul_f64 v[99:100], v[99:100], v[73:74]
	buffer_store_dword v71, off, s[20:23], 0 offset:160 ; 4-byte Folded Spill
	s_nop 0
	buffer_store_dword v72, off, s[20:23], 0 offset:164 ; 4-byte Folded Spill
	buffer_store_dword v73, off, s[20:23], 0 offset:168 ; 4-byte Folded Spill
	;; [unrolled: 1-line block ×3, first 2 shown]
	v_add_f64 v[65:66], v[65:66], -v[103:104]
	v_fma_f64 v[99:100], v[101:102], v[97:98], v[99:100]
	v_add_f64 v[67:68], v[67:68], -v[99:100]
.LBB87_118:
	s_or_b64 exec, exec, s[2:3]
	v_cmp_eq_u32_e32 vcc, 13, v0
	s_waitcnt vmcnt(0)
	s_barrier
	s_and_saveexec_b64 s[4:5], vcc
	s_cbranch_execz .LBB87_125
; %bb.119:
	buffer_load_dword v61, off, s[20:23], 0 offset:144 ; 4-byte Folded Reload
	buffer_load_dword v62, off, s[20:23], 0 offset:148 ; 4-byte Folded Reload
	;; [unrolled: 1-line block ×4, first 2 shown]
	s_waitcnt vmcnt(0)
	ds_write2_b64 v127, v[61:62], v[63:64] offset1:1
	buffer_load_dword v61, off, s[20:23], 0 offset:128 ; 4-byte Folded Reload
	buffer_load_dword v62, off, s[20:23], 0 offset:132 ; 4-byte Folded Reload
	buffer_load_dword v63, off, s[20:23], 0 offset:136 ; 4-byte Folded Reload
	buffer_load_dword v64, off, s[20:23], 0 offset:140 ; 4-byte Folded Reload
	s_waitcnt vmcnt(0)
	ds_write2_b64 v125, v[61:62], v[63:64] offset0:28 offset1:29
	buffer_load_dword v61, off, s[20:23], 0 offset:112 ; 4-byte Folded Reload
	buffer_load_dword v62, off, s[20:23], 0 offset:116 ; 4-byte Folded Reload
	buffer_load_dword v63, off, s[20:23], 0 offset:120 ; 4-byte Folded Reload
	buffer_load_dword v64, off, s[20:23], 0 offset:124 ; 4-byte Folded Reload
	s_waitcnt vmcnt(0)
	ds_write2_b64 v125, v[61:62], v[63:64] offset0:30 offset1:31
	;; [unrolled: 6-line block ×6, first 2 shown]
	ds_write2_b64 v125, v[117:118], v[119:120] offset0:40 offset1:41
	ds_write2_b64 v125, v[121:122], v[123:124] offset0:42 offset1:43
	;; [unrolled: 1-line block ×5, first 2 shown]
	buffer_load_dword v69, off, s[20:23], 0 offset:32 ; 4-byte Folded Reload
	buffer_load_dword v70, off, s[20:23], 0 offset:36 ; 4-byte Folded Reload
	;; [unrolled: 1-line block ×4, first 2 shown]
	v_mov_b32_e32 v61, v65
	v_mov_b32_e32 v62, v66
	;; [unrolled: 1-line block ×4, first 2 shown]
	s_waitcnt vmcnt(0)
	ds_write2_b64 v125, v[69:70], v[71:72] offset0:50 offset1:51
	buffer_load_dword v65, off, s[20:23], 0 offset:16 ; 4-byte Folded Reload
	buffer_load_dword v66, off, s[20:23], 0 offset:20 ; 4-byte Folded Reload
	;; [unrolled: 1-line block ×4, first 2 shown]
	s_waitcnt vmcnt(0)
	ds_write2_b64 v125, v[65:66], v[67:68] offset0:52 offset1:53
	v_mov_b32_e32 v68, v64
	v_mov_b32_e32 v67, v63
	;; [unrolled: 1-line block ×4, first 2 shown]
	buffer_load_dword v61, off, s[20:23], 0 ; 4-byte Folded Reload
	buffer_load_dword v62, off, s[20:23], 0 offset:4 ; 4-byte Folded Reload
	buffer_load_dword v63, off, s[20:23], 0 offset:8 ; 4-byte Folded Reload
	;; [unrolled: 1-line block ×3, first 2 shown]
	s_waitcnt vmcnt(0)
	ds_write2_b64 v125, v[61:62], v[63:64] offset0:54 offset1:55
	ds_write2_b64 v125, v[57:58], v[59:60] offset0:56 offset1:57
	;; [unrolled: 1-line block ×17, first 2 shown]
	ds_read2_b64 v[97:100], v127 offset1:1
	s_waitcnt lgkmcnt(0)
	v_cmp_neq_f64_e32 vcc, 0, v[97:98]
	v_cmp_neq_f64_e64 s[2:3], 0, v[99:100]
	s_or_b64 s[2:3], vcc, s[2:3]
	s_and_b64 exec, exec, s[2:3]
	s_cbranch_execz .LBB87_125
; %bb.120:
	v_cmp_ngt_f64_e64 s[2:3], |v[97:98]|, |v[99:100]|
                                        ; implicit-def: $vgpr101_vgpr102
	s_and_saveexec_b64 s[6:7], s[2:3]
	s_xor_b64 s[2:3], exec, s[6:7]
                                        ; implicit-def: $vgpr103_vgpr104
	s_cbranch_execz .LBB87_122
; %bb.121:
	v_div_scale_f64 v[101:102], s[6:7], v[99:100], v[99:100], v[97:98]
	v_rcp_f64_e32 v[103:104], v[101:102]
	v_fma_f64 v[105:106], -v[101:102], v[103:104], 1.0
	v_fma_f64 v[103:104], v[103:104], v[105:106], v[103:104]
	v_div_scale_f64 v[105:106], vcc, v[97:98], v[99:100], v[97:98]
	v_fma_f64 v[107:108], -v[101:102], v[103:104], 1.0
	v_fma_f64 v[103:104], v[103:104], v[107:108], v[103:104]
	v_mul_f64 v[107:108], v[105:106], v[103:104]
	v_fma_f64 v[101:102], -v[101:102], v[107:108], v[105:106]
	v_div_fmas_f64 v[101:102], v[101:102], v[103:104], v[107:108]
	v_div_fixup_f64 v[101:102], v[101:102], v[99:100], v[97:98]
	v_fma_f64 v[97:98], v[97:98], v[101:102], v[99:100]
	v_div_scale_f64 v[99:100], s[6:7], v[97:98], v[97:98], 1.0
	v_div_scale_f64 v[107:108], vcc, 1.0, v[97:98], 1.0
	v_rcp_f64_e32 v[103:104], v[99:100]
	v_fma_f64 v[105:106], -v[99:100], v[103:104], 1.0
	v_fma_f64 v[103:104], v[103:104], v[105:106], v[103:104]
	v_fma_f64 v[105:106], -v[99:100], v[103:104], 1.0
	v_fma_f64 v[103:104], v[103:104], v[105:106], v[103:104]
	v_mul_f64 v[105:106], v[107:108], v[103:104]
	v_fma_f64 v[99:100], -v[99:100], v[105:106], v[107:108]
	v_div_fmas_f64 v[99:100], v[99:100], v[103:104], v[105:106]
	v_div_fixup_f64 v[103:104], v[99:100], v[97:98], 1.0
                                        ; implicit-def: $vgpr97_vgpr98
	v_mul_f64 v[101:102], v[101:102], v[103:104]
	v_xor_b32_e32 v104, 0x80000000, v104
.LBB87_122:
	s_andn2_saveexec_b64 s[2:3], s[2:3]
	s_cbranch_execz .LBB87_124
; %bb.123:
	v_div_scale_f64 v[101:102], s[6:7], v[97:98], v[97:98], v[99:100]
	v_rcp_f64_e32 v[103:104], v[101:102]
	v_fma_f64 v[105:106], -v[101:102], v[103:104], 1.0
	v_fma_f64 v[103:104], v[103:104], v[105:106], v[103:104]
	v_div_scale_f64 v[105:106], vcc, v[99:100], v[97:98], v[99:100]
	v_fma_f64 v[107:108], -v[101:102], v[103:104], 1.0
	v_fma_f64 v[103:104], v[103:104], v[107:108], v[103:104]
	v_mul_f64 v[107:108], v[105:106], v[103:104]
	v_fma_f64 v[101:102], -v[101:102], v[107:108], v[105:106]
	v_div_fmas_f64 v[101:102], v[101:102], v[103:104], v[107:108]
	v_div_fixup_f64 v[103:104], v[101:102], v[97:98], v[99:100]
	v_fma_f64 v[97:98], v[99:100], v[103:104], v[97:98]
	v_div_scale_f64 v[99:100], s[6:7], v[97:98], v[97:98], 1.0
	v_div_scale_f64 v[107:108], vcc, 1.0, v[97:98], 1.0
	v_rcp_f64_e32 v[101:102], v[99:100]
	v_fma_f64 v[105:106], -v[99:100], v[101:102], 1.0
	v_fma_f64 v[101:102], v[101:102], v[105:106], v[101:102]
	v_fma_f64 v[105:106], -v[99:100], v[101:102], 1.0
	v_fma_f64 v[101:102], v[101:102], v[105:106], v[101:102]
	v_mul_f64 v[105:106], v[107:108], v[101:102]
	v_fma_f64 v[99:100], -v[99:100], v[105:106], v[107:108]
	v_div_fmas_f64 v[99:100], v[99:100], v[101:102], v[105:106]
	v_div_fixup_f64 v[101:102], v[99:100], v[97:98], 1.0
	v_mul_f64 v[103:104], v[103:104], -v[101:102]
.LBB87_124:
	s_or_b64 exec, exec, s[2:3]
	ds_write2_b64 v127, v[101:102], v[103:104] offset1:1
.LBB87_125:
	s_or_b64 exec, exec, s[4:5]
	s_waitcnt lgkmcnt(0)
	s_barrier
	ds_read2_b64 v[61:64], v127 offset1:1
	v_cmp_lt_u32_e32 vcc, 13, v0
	s_waitcnt lgkmcnt(0)
	buffer_store_dword v61, off, s[20:23], 0 offset:888 ; 4-byte Folded Spill
	s_nop 0
	buffer_store_dword v62, off, s[20:23], 0 offset:892 ; 4-byte Folded Spill
	buffer_store_dword v63, off, s[20:23], 0 offset:896 ; 4-byte Folded Spill
	;; [unrolled: 1-line block ×3, first 2 shown]
	s_and_saveexec_b64 s[2:3], vcc
	s_cbranch_execz .LBB87_127
; %bb.126:
	buffer_load_dword v71, off, s[20:23], 0 offset:144 ; 4-byte Folded Reload
	buffer_load_dword v72, off, s[20:23], 0 offset:148 ; 4-byte Folded Reload
	;; [unrolled: 1-line block ×8, first 2 shown]
	s_waitcnt vmcnt(2)
	v_mul_f64 v[99:100], v[61:62], v[73:74]
	s_waitcnt vmcnt(0)
	v_mul_f64 v[97:98], v[63:64], v[73:74]
	v_fma_f64 v[73:74], v[63:64], v[71:72], v[99:100]
	ds_read2_b64 v[99:102], v125 offset0:28 offset1:29
	v_fma_f64 v[97:98], v[61:62], v[71:72], -v[97:98]
	buffer_load_dword v61, off, s[20:23], 0 offset:128 ; 4-byte Folded Reload
	buffer_load_dword v62, off, s[20:23], 0 offset:132 ; 4-byte Folded Reload
	buffer_load_dword v63, off, s[20:23], 0 offset:136 ; 4-byte Folded Reload
	buffer_load_dword v64, off, s[20:23], 0 offset:140 ; 4-byte Folded Reload
	s_waitcnt lgkmcnt(0)
	v_mul_f64 v[103:104], v[101:102], v[73:74]
	v_fma_f64 v[103:104], v[99:100], v[97:98], -v[103:104]
	v_mul_f64 v[99:100], v[99:100], v[73:74]
	v_fma_f64 v[99:100], v[101:102], v[97:98], v[99:100]
	s_waitcnt vmcnt(2)
	v_add_f64 v[61:62], v[61:62], -v[103:104]
	s_waitcnt vmcnt(0)
	v_add_f64 v[63:64], v[63:64], -v[99:100]
	buffer_store_dword v61, off, s[20:23], 0 offset:128 ; 4-byte Folded Spill
	s_nop 0
	buffer_store_dword v62, off, s[20:23], 0 offset:132 ; 4-byte Folded Spill
	buffer_store_dword v63, off, s[20:23], 0 offset:136 ; 4-byte Folded Spill
	buffer_store_dword v64, off, s[20:23], 0 offset:140 ; 4-byte Folded Spill
	ds_read2_b64 v[99:102], v125 offset0:30 offset1:31
	buffer_load_dword v61, off, s[20:23], 0 offset:112 ; 4-byte Folded Reload
	buffer_load_dword v62, off, s[20:23], 0 offset:116 ; 4-byte Folded Reload
	buffer_load_dword v63, off, s[20:23], 0 offset:120 ; 4-byte Folded Reload
	buffer_load_dword v64, off, s[20:23], 0 offset:124 ; 4-byte Folded Reload
	s_waitcnt lgkmcnt(0)
	v_mul_f64 v[103:104], v[101:102], v[73:74]
	v_fma_f64 v[103:104], v[99:100], v[97:98], -v[103:104]
	v_mul_f64 v[99:100], v[99:100], v[73:74]
	v_fma_f64 v[99:100], v[101:102], v[97:98], v[99:100]
	s_waitcnt vmcnt(2)
	v_add_f64 v[61:62], v[61:62], -v[103:104]
	s_waitcnt vmcnt(0)
	v_add_f64 v[63:64], v[63:64], -v[99:100]
	buffer_store_dword v61, off, s[20:23], 0 offset:112 ; 4-byte Folded Spill
	s_nop 0
	buffer_store_dword v62, off, s[20:23], 0 offset:116 ; 4-byte Folded Spill
	buffer_store_dword v63, off, s[20:23], 0 offset:120 ; 4-byte Folded Spill
	buffer_store_dword v64, off, s[20:23], 0 offset:124 ; 4-byte Folded Spill
	ds_read2_b64 v[99:102], v125 offset0:32 offset1:33
	buffer_load_dword v61, off, s[20:23], 0 offset:96 ; 4-byte Folded Reload
	buffer_load_dword v62, off, s[20:23], 0 offset:100 ; 4-byte Folded Reload
	buffer_load_dword v63, off, s[20:23], 0 offset:104 ; 4-byte Folded Reload
	buffer_load_dword v64, off, s[20:23], 0 offset:108 ; 4-byte Folded Reload
	s_waitcnt lgkmcnt(0)
	v_mul_f64 v[103:104], v[101:102], v[73:74]
	v_fma_f64 v[103:104], v[99:100], v[97:98], -v[103:104]
	v_mul_f64 v[99:100], v[99:100], v[73:74]
	v_fma_f64 v[99:100], v[101:102], v[97:98], v[99:100]
	s_waitcnt vmcnt(2)
	v_add_f64 v[61:62], v[61:62], -v[103:104]
	s_waitcnt vmcnt(0)
	v_add_f64 v[63:64], v[63:64], -v[99:100]
	buffer_store_dword v61, off, s[20:23], 0 offset:96 ; 4-byte Folded Spill
	s_nop 0
	buffer_store_dword v62, off, s[20:23], 0 offset:100 ; 4-byte Folded Spill
	buffer_store_dword v63, off, s[20:23], 0 offset:104 ; 4-byte Folded Spill
	buffer_store_dword v64, off, s[20:23], 0 offset:108 ; 4-byte Folded Spill
	ds_read2_b64 v[99:102], v125 offset0:34 offset1:35
	buffer_load_dword v61, off, s[20:23], 0 offset:80 ; 4-byte Folded Reload
	buffer_load_dword v62, off, s[20:23], 0 offset:84 ; 4-byte Folded Reload
	buffer_load_dword v63, off, s[20:23], 0 offset:88 ; 4-byte Folded Reload
	buffer_load_dword v64, off, s[20:23], 0 offset:92 ; 4-byte Folded Reload
	s_waitcnt lgkmcnt(0)
	v_mul_f64 v[103:104], v[101:102], v[73:74]
	v_fma_f64 v[103:104], v[99:100], v[97:98], -v[103:104]
	v_mul_f64 v[99:100], v[99:100], v[73:74]
	v_fma_f64 v[99:100], v[101:102], v[97:98], v[99:100]
	s_waitcnt vmcnt(2)
	v_add_f64 v[61:62], v[61:62], -v[103:104]
	s_waitcnt vmcnt(0)
	v_add_f64 v[63:64], v[63:64], -v[99:100]
	buffer_store_dword v61, off, s[20:23], 0 offset:80 ; 4-byte Folded Spill
	s_nop 0
	buffer_store_dword v62, off, s[20:23], 0 offset:84 ; 4-byte Folded Spill
	buffer_store_dword v63, off, s[20:23], 0 offset:88 ; 4-byte Folded Spill
	buffer_store_dword v64, off, s[20:23], 0 offset:92 ; 4-byte Folded Spill
	ds_read2_b64 v[99:102], v125 offset0:36 offset1:37
	buffer_load_dword v61, off, s[20:23], 0 offset:64 ; 4-byte Folded Reload
	buffer_load_dword v62, off, s[20:23], 0 offset:68 ; 4-byte Folded Reload
	buffer_load_dword v63, off, s[20:23], 0 offset:72 ; 4-byte Folded Reload
	buffer_load_dword v64, off, s[20:23], 0 offset:76 ; 4-byte Folded Reload
	s_waitcnt lgkmcnt(0)
	v_mul_f64 v[103:104], v[101:102], v[73:74]
	v_fma_f64 v[103:104], v[99:100], v[97:98], -v[103:104]
	v_mul_f64 v[99:100], v[99:100], v[73:74]
	v_fma_f64 v[99:100], v[101:102], v[97:98], v[99:100]
	s_waitcnt vmcnt(2)
	v_add_f64 v[61:62], v[61:62], -v[103:104]
	s_waitcnt vmcnt(0)
	v_add_f64 v[63:64], v[63:64], -v[99:100]
	buffer_store_dword v61, off, s[20:23], 0 offset:64 ; 4-byte Folded Spill
	s_nop 0
	buffer_store_dword v62, off, s[20:23], 0 offset:68 ; 4-byte Folded Spill
	buffer_store_dword v63, off, s[20:23], 0 offset:72 ; 4-byte Folded Spill
	buffer_store_dword v64, off, s[20:23], 0 offset:76 ; 4-byte Folded Spill
	ds_read2_b64 v[99:102], v125 offset0:38 offset1:39
	buffer_load_dword v61, off, s[20:23], 0 offset:48 ; 4-byte Folded Reload
	buffer_load_dword v62, off, s[20:23], 0 offset:52 ; 4-byte Folded Reload
	buffer_load_dword v63, off, s[20:23], 0 offset:56 ; 4-byte Folded Reload
	buffer_load_dword v64, off, s[20:23], 0 offset:60 ; 4-byte Folded Reload
	s_waitcnt lgkmcnt(0)
	v_mul_f64 v[103:104], v[101:102], v[73:74]
	v_fma_f64 v[103:104], v[99:100], v[97:98], -v[103:104]
	v_mul_f64 v[99:100], v[99:100], v[73:74]
	v_fma_f64 v[99:100], v[101:102], v[97:98], v[99:100]
	s_waitcnt vmcnt(2)
	v_add_f64 v[61:62], v[61:62], -v[103:104]
	s_waitcnt vmcnt(0)
	v_add_f64 v[63:64], v[63:64], -v[99:100]
	buffer_store_dword v61, off, s[20:23], 0 offset:48 ; 4-byte Folded Spill
	s_nop 0
	buffer_store_dword v62, off, s[20:23], 0 offset:52 ; 4-byte Folded Spill
	buffer_store_dword v63, off, s[20:23], 0 offset:56 ; 4-byte Folded Spill
	buffer_store_dword v64, off, s[20:23], 0 offset:60 ; 4-byte Folded Spill
	ds_read2_b64 v[99:102], v125 offset0:40 offset1:41
	v_mov_b32_e32 v61, v65
	v_mov_b32_e32 v62, v66
	;; [unrolled: 1-line block ×4, first 2 shown]
	s_waitcnt lgkmcnt(0)
	v_mul_f64 v[103:104], v[101:102], v[73:74]
	v_fma_f64 v[103:104], v[99:100], v[97:98], -v[103:104]
	v_mul_f64 v[99:100], v[99:100], v[73:74]
	v_add_f64 v[117:118], v[117:118], -v[103:104]
	v_fma_f64 v[99:100], v[101:102], v[97:98], v[99:100]
	v_add_f64 v[119:120], v[119:120], -v[99:100]
	ds_read2_b64 v[99:102], v125 offset0:42 offset1:43
	s_waitcnt lgkmcnt(0)
	v_mul_f64 v[103:104], v[101:102], v[73:74]
	v_fma_f64 v[103:104], v[99:100], v[97:98], -v[103:104]
	v_mul_f64 v[99:100], v[99:100], v[73:74]
	v_add_f64 v[121:122], v[121:122], -v[103:104]
	v_fma_f64 v[99:100], v[101:102], v[97:98], v[99:100]
	v_add_f64 v[123:124], v[123:124], -v[99:100]
	ds_read2_b64 v[99:102], v125 offset0:44 offset1:45
	;; [unrolled: 8-line block ×5, first 2 shown]
	buffer_load_dword v69, off, s[20:23], 0 offset:32 ; 4-byte Folded Reload
	buffer_load_dword v70, off, s[20:23], 0 offset:36 ; 4-byte Folded Reload
	;; [unrolled: 1-line block ×4, first 2 shown]
	s_waitcnt lgkmcnt(0)
	v_mul_f64 v[103:104], v[101:102], v[73:74]
	v_fma_f64 v[103:104], v[99:100], v[97:98], -v[103:104]
	v_mul_f64 v[99:100], v[99:100], v[73:74]
	v_fma_f64 v[99:100], v[101:102], v[97:98], v[99:100]
	s_waitcnt vmcnt(2)
	v_add_f64 v[69:70], v[69:70], -v[103:104]
	s_waitcnt vmcnt(0)
	v_add_f64 v[71:72], v[71:72], -v[99:100]
	buffer_store_dword v69, off, s[20:23], 0 offset:32 ; 4-byte Folded Spill
	s_nop 0
	buffer_store_dword v70, off, s[20:23], 0 offset:36 ; 4-byte Folded Spill
	buffer_store_dword v71, off, s[20:23], 0 offset:40 ; 4-byte Folded Spill
	;; [unrolled: 1-line block ×3, first 2 shown]
	ds_read2_b64 v[99:102], v125 offset0:52 offset1:53
	buffer_load_dword v65, off, s[20:23], 0 offset:16 ; 4-byte Folded Reload
	buffer_load_dword v66, off, s[20:23], 0 offset:20 ; 4-byte Folded Reload
	;; [unrolled: 1-line block ×4, first 2 shown]
	v_mov_b32_e32 v71, v97
	v_mov_b32_e32 v72, v98
	s_waitcnt lgkmcnt(0)
	v_mul_f64 v[103:104], v[101:102], v[73:74]
	v_fma_f64 v[103:104], v[99:100], v[97:98], -v[103:104]
	v_mul_f64 v[99:100], v[99:100], v[73:74]
	v_fma_f64 v[99:100], v[101:102], v[97:98], v[99:100]
	s_waitcnt vmcnt(2)
	v_add_f64 v[65:66], v[65:66], -v[103:104]
	s_waitcnt vmcnt(0)
	v_add_f64 v[67:68], v[67:68], -v[99:100]
	buffer_store_dword v65, off, s[20:23], 0 offset:16 ; 4-byte Folded Spill
	s_nop 0
	buffer_store_dword v66, off, s[20:23], 0 offset:20 ; 4-byte Folded Spill
	buffer_store_dword v67, off, s[20:23], 0 offset:24 ; 4-byte Folded Spill
	;; [unrolled: 1-line block ×3, first 2 shown]
	v_mov_b32_e32 v68, v64
	v_mov_b32_e32 v67, v63
	v_mov_b32_e32 v66, v62
	v_mov_b32_e32 v65, v61
	ds_read2_b64 v[99:102], v125 offset0:54 offset1:55
	buffer_load_dword v61, off, s[20:23], 0 ; 4-byte Folded Reload
	buffer_load_dword v62, off, s[20:23], 0 offset:4 ; 4-byte Folded Reload
	buffer_load_dword v63, off, s[20:23], 0 offset:8 ; 4-byte Folded Reload
	;; [unrolled: 1-line block ×3, first 2 shown]
	s_waitcnt lgkmcnt(0)
	v_mul_f64 v[103:104], v[101:102], v[73:74]
	v_fma_f64 v[103:104], v[99:100], v[97:98], -v[103:104]
	v_mul_f64 v[99:100], v[99:100], v[73:74]
	v_fma_f64 v[99:100], v[101:102], v[97:98], v[99:100]
	s_waitcnt vmcnt(2)
	v_add_f64 v[61:62], v[61:62], -v[103:104]
	s_waitcnt vmcnt(0)
	v_add_f64 v[63:64], v[63:64], -v[99:100]
	buffer_store_dword v61, off, s[20:23], 0 ; 4-byte Folded Spill
	s_nop 0
	buffer_store_dword v62, off, s[20:23], 0 offset:4 ; 4-byte Folded Spill
	buffer_store_dword v63, off, s[20:23], 0 offset:8 ; 4-byte Folded Spill
	;; [unrolled: 1-line block ×3, first 2 shown]
	ds_read2_b64 v[99:102], v125 offset0:56 offset1:57
	s_waitcnt lgkmcnt(0)
	v_mul_f64 v[103:104], v[101:102], v[73:74]
	v_fma_f64 v[103:104], v[99:100], v[97:98], -v[103:104]
	v_mul_f64 v[99:100], v[99:100], v[73:74]
	v_add_f64 v[57:58], v[57:58], -v[103:104]
	v_fma_f64 v[99:100], v[101:102], v[97:98], v[99:100]
	v_add_f64 v[59:60], v[59:60], -v[99:100]
	ds_read2_b64 v[99:102], v125 offset0:58 offset1:59
	s_waitcnt lgkmcnt(0)
	v_mul_f64 v[103:104], v[101:102], v[73:74]
	v_fma_f64 v[103:104], v[99:100], v[97:98], -v[103:104]
	v_mul_f64 v[99:100], v[99:100], v[73:74]
	v_add_f64 v[53:54], v[53:54], -v[103:104]
	v_fma_f64 v[99:100], v[101:102], v[97:98], v[99:100]
	v_add_f64 v[55:56], v[55:56], -v[99:100]
	;; [unrolled: 8-line block ×15, first 2 shown]
	ds_read2_b64 v[99:102], v125 offset0:86 offset1:87
	s_waitcnt lgkmcnt(0)
	v_mul_f64 v[103:104], v[101:102], v[73:74]
	v_fma_f64 v[103:104], v[99:100], v[97:98], -v[103:104]
	v_mul_f64 v[99:100], v[99:100], v[73:74]
	buffer_store_dword v71, off, s[20:23], 0 offset:144 ; 4-byte Folded Spill
	s_nop 0
	buffer_store_dword v72, off, s[20:23], 0 offset:148 ; 4-byte Folded Spill
	buffer_store_dword v73, off, s[20:23], 0 offset:152 ; 4-byte Folded Spill
	buffer_store_dword v74, off, s[20:23], 0 offset:156 ; 4-byte Folded Spill
	v_add_f64 v[65:66], v[65:66], -v[103:104]
	v_fma_f64 v[99:100], v[101:102], v[97:98], v[99:100]
	v_add_f64 v[67:68], v[67:68], -v[99:100]
.LBB87_127:
	s_or_b64 exec, exec, s[2:3]
	v_cmp_eq_u32_e32 vcc, 14, v0
	s_waitcnt vmcnt(0)
	s_barrier
	s_and_saveexec_b64 s[4:5], vcc
	s_cbranch_execz .LBB87_134
; %bb.128:
	buffer_load_dword v61, off, s[20:23], 0 offset:128 ; 4-byte Folded Reload
	buffer_load_dword v62, off, s[20:23], 0 offset:132 ; 4-byte Folded Reload
	;; [unrolled: 1-line block ×4, first 2 shown]
	s_waitcnt vmcnt(0)
	ds_write2_b64 v127, v[61:62], v[63:64] offset1:1
	buffer_load_dword v61, off, s[20:23], 0 offset:112 ; 4-byte Folded Reload
	buffer_load_dword v62, off, s[20:23], 0 offset:116 ; 4-byte Folded Reload
	buffer_load_dword v63, off, s[20:23], 0 offset:120 ; 4-byte Folded Reload
	buffer_load_dword v64, off, s[20:23], 0 offset:124 ; 4-byte Folded Reload
	s_waitcnt vmcnt(0)
	ds_write2_b64 v125, v[61:62], v[63:64] offset0:30 offset1:31
	buffer_load_dword v61, off, s[20:23], 0 offset:96 ; 4-byte Folded Reload
	buffer_load_dword v62, off, s[20:23], 0 offset:100 ; 4-byte Folded Reload
	buffer_load_dword v63, off, s[20:23], 0 offset:104 ; 4-byte Folded Reload
	buffer_load_dword v64, off, s[20:23], 0 offset:108 ; 4-byte Folded Reload
	s_waitcnt vmcnt(0)
	ds_write2_b64 v125, v[61:62], v[63:64] offset0:32 offset1:33
	;; [unrolled: 6-line block ×5, first 2 shown]
	ds_write2_b64 v125, v[117:118], v[119:120] offset0:40 offset1:41
	ds_write2_b64 v125, v[121:122], v[123:124] offset0:42 offset1:43
	;; [unrolled: 1-line block ×5, first 2 shown]
	buffer_load_dword v69, off, s[20:23], 0 offset:32 ; 4-byte Folded Reload
	buffer_load_dword v70, off, s[20:23], 0 offset:36 ; 4-byte Folded Reload
	buffer_load_dword v71, off, s[20:23], 0 offset:40 ; 4-byte Folded Reload
	buffer_load_dword v72, off, s[20:23], 0 offset:44 ; 4-byte Folded Reload
	v_mov_b32_e32 v61, v65
	v_mov_b32_e32 v62, v66
	;; [unrolled: 1-line block ×4, first 2 shown]
	s_waitcnt vmcnt(0)
	ds_write2_b64 v125, v[69:70], v[71:72] offset0:50 offset1:51
	buffer_load_dword v65, off, s[20:23], 0 offset:16 ; 4-byte Folded Reload
	buffer_load_dword v66, off, s[20:23], 0 offset:20 ; 4-byte Folded Reload
	;; [unrolled: 1-line block ×4, first 2 shown]
	s_waitcnt vmcnt(0)
	ds_write2_b64 v125, v[65:66], v[67:68] offset0:52 offset1:53
	v_mov_b32_e32 v68, v64
	v_mov_b32_e32 v67, v63
	;; [unrolled: 1-line block ×4, first 2 shown]
	buffer_load_dword v61, off, s[20:23], 0 ; 4-byte Folded Reload
	buffer_load_dword v62, off, s[20:23], 0 offset:4 ; 4-byte Folded Reload
	buffer_load_dword v63, off, s[20:23], 0 offset:8 ; 4-byte Folded Reload
	;; [unrolled: 1-line block ×3, first 2 shown]
	s_waitcnt vmcnt(0)
	ds_write2_b64 v125, v[61:62], v[63:64] offset0:54 offset1:55
	ds_write2_b64 v125, v[57:58], v[59:60] offset0:56 offset1:57
	ds_write2_b64 v125, v[53:54], v[55:56] offset0:58 offset1:59
	ds_write2_b64 v125, v[49:50], v[51:52] offset0:60 offset1:61
	ds_write2_b64 v125, v[45:46], v[47:48] offset0:62 offset1:63
	ds_write2_b64 v125, v[41:42], v[43:44] offset0:64 offset1:65
	ds_write2_b64 v125, v[37:38], v[39:40] offset0:66 offset1:67
	ds_write2_b64 v125, v[33:34], v[35:36] offset0:68 offset1:69
	ds_write2_b64 v125, v[29:30], v[31:32] offset0:70 offset1:71
	ds_write2_b64 v125, v[25:26], v[27:28] offset0:72 offset1:73
	ds_write2_b64 v125, v[21:22], v[23:24] offset0:74 offset1:75
	ds_write2_b64 v125, v[17:18], v[19:20] offset0:76 offset1:77
	ds_write2_b64 v125, v[13:14], v[15:16] offset0:78 offset1:79
	ds_write2_b64 v125, v[9:10], v[11:12] offset0:80 offset1:81
	ds_write2_b64 v125, v[5:6], v[7:8] offset0:82 offset1:83
	ds_write2_b64 v125, v[1:2], v[3:4] offset0:84 offset1:85
	ds_write2_b64 v125, v[65:66], v[67:68] offset0:86 offset1:87
	ds_read2_b64 v[97:100], v127 offset1:1
	s_waitcnt lgkmcnt(0)
	v_cmp_neq_f64_e32 vcc, 0, v[97:98]
	v_cmp_neq_f64_e64 s[2:3], 0, v[99:100]
	s_or_b64 s[2:3], vcc, s[2:3]
	s_and_b64 exec, exec, s[2:3]
	s_cbranch_execz .LBB87_134
; %bb.129:
	v_cmp_ngt_f64_e64 s[2:3], |v[97:98]|, |v[99:100]|
                                        ; implicit-def: $vgpr101_vgpr102
	s_and_saveexec_b64 s[6:7], s[2:3]
	s_xor_b64 s[2:3], exec, s[6:7]
                                        ; implicit-def: $vgpr103_vgpr104
	s_cbranch_execz .LBB87_131
; %bb.130:
	v_div_scale_f64 v[101:102], s[6:7], v[99:100], v[99:100], v[97:98]
	v_rcp_f64_e32 v[103:104], v[101:102]
	v_fma_f64 v[105:106], -v[101:102], v[103:104], 1.0
	v_fma_f64 v[103:104], v[103:104], v[105:106], v[103:104]
	v_div_scale_f64 v[105:106], vcc, v[97:98], v[99:100], v[97:98]
	v_fma_f64 v[107:108], -v[101:102], v[103:104], 1.0
	v_fma_f64 v[103:104], v[103:104], v[107:108], v[103:104]
	v_mul_f64 v[107:108], v[105:106], v[103:104]
	v_fma_f64 v[101:102], -v[101:102], v[107:108], v[105:106]
	v_div_fmas_f64 v[101:102], v[101:102], v[103:104], v[107:108]
	v_div_fixup_f64 v[101:102], v[101:102], v[99:100], v[97:98]
	v_fma_f64 v[97:98], v[97:98], v[101:102], v[99:100]
	v_div_scale_f64 v[99:100], s[6:7], v[97:98], v[97:98], 1.0
	v_div_scale_f64 v[107:108], vcc, 1.0, v[97:98], 1.0
	v_rcp_f64_e32 v[103:104], v[99:100]
	v_fma_f64 v[105:106], -v[99:100], v[103:104], 1.0
	v_fma_f64 v[103:104], v[103:104], v[105:106], v[103:104]
	v_fma_f64 v[105:106], -v[99:100], v[103:104], 1.0
	v_fma_f64 v[103:104], v[103:104], v[105:106], v[103:104]
	v_mul_f64 v[105:106], v[107:108], v[103:104]
	v_fma_f64 v[99:100], -v[99:100], v[105:106], v[107:108]
	v_div_fmas_f64 v[99:100], v[99:100], v[103:104], v[105:106]
	v_div_fixup_f64 v[103:104], v[99:100], v[97:98], 1.0
                                        ; implicit-def: $vgpr97_vgpr98
	v_mul_f64 v[101:102], v[101:102], v[103:104]
	v_xor_b32_e32 v104, 0x80000000, v104
.LBB87_131:
	s_andn2_saveexec_b64 s[2:3], s[2:3]
	s_cbranch_execz .LBB87_133
; %bb.132:
	v_div_scale_f64 v[101:102], s[6:7], v[97:98], v[97:98], v[99:100]
	v_rcp_f64_e32 v[103:104], v[101:102]
	v_fma_f64 v[105:106], -v[101:102], v[103:104], 1.0
	v_fma_f64 v[103:104], v[103:104], v[105:106], v[103:104]
	v_div_scale_f64 v[105:106], vcc, v[99:100], v[97:98], v[99:100]
	v_fma_f64 v[107:108], -v[101:102], v[103:104], 1.0
	v_fma_f64 v[103:104], v[103:104], v[107:108], v[103:104]
	v_mul_f64 v[107:108], v[105:106], v[103:104]
	v_fma_f64 v[101:102], -v[101:102], v[107:108], v[105:106]
	v_div_fmas_f64 v[101:102], v[101:102], v[103:104], v[107:108]
	v_div_fixup_f64 v[103:104], v[101:102], v[97:98], v[99:100]
	v_fma_f64 v[97:98], v[99:100], v[103:104], v[97:98]
	v_div_scale_f64 v[99:100], s[6:7], v[97:98], v[97:98], 1.0
	v_div_scale_f64 v[107:108], vcc, 1.0, v[97:98], 1.0
	v_rcp_f64_e32 v[101:102], v[99:100]
	v_fma_f64 v[105:106], -v[99:100], v[101:102], 1.0
	v_fma_f64 v[101:102], v[101:102], v[105:106], v[101:102]
	v_fma_f64 v[105:106], -v[99:100], v[101:102], 1.0
	v_fma_f64 v[101:102], v[101:102], v[105:106], v[101:102]
	v_mul_f64 v[105:106], v[107:108], v[101:102]
	v_fma_f64 v[99:100], -v[99:100], v[105:106], v[107:108]
	v_div_fmas_f64 v[99:100], v[99:100], v[101:102], v[105:106]
	v_div_fixup_f64 v[101:102], v[99:100], v[97:98], 1.0
	v_mul_f64 v[103:104], v[103:104], -v[101:102]
.LBB87_133:
	s_or_b64 exec, exec, s[2:3]
	ds_write2_b64 v127, v[101:102], v[103:104] offset1:1
.LBB87_134:
	s_or_b64 exec, exec, s[4:5]
	s_waitcnt lgkmcnt(0)
	s_barrier
	ds_read2_b64 v[61:64], v127 offset1:1
	v_cmp_lt_u32_e32 vcc, 14, v0
	s_waitcnt lgkmcnt(0)
	buffer_store_dword v61, off, s[20:23], 0 offset:904 ; 4-byte Folded Spill
	s_nop 0
	buffer_store_dword v62, off, s[20:23], 0 offset:908 ; 4-byte Folded Spill
	buffer_store_dword v63, off, s[20:23], 0 offset:912 ; 4-byte Folded Spill
	;; [unrolled: 1-line block ×3, first 2 shown]
	s_and_saveexec_b64 s[2:3], vcc
	s_cbranch_execz .LBB87_136
; %bb.135:
	buffer_load_dword v71, off, s[20:23], 0 offset:128 ; 4-byte Folded Reload
	buffer_load_dword v72, off, s[20:23], 0 offset:132 ; 4-byte Folded Reload
	buffer_load_dword v73, off, s[20:23], 0 offset:136 ; 4-byte Folded Reload
	buffer_load_dword v74, off, s[20:23], 0 offset:140 ; 4-byte Folded Reload
	buffer_load_dword v61, off, s[20:23], 0 offset:904 ; 4-byte Folded Reload
	buffer_load_dword v62, off, s[20:23], 0 offset:908 ; 4-byte Folded Reload
	buffer_load_dword v63, off, s[20:23], 0 offset:912 ; 4-byte Folded Reload
	buffer_load_dword v64, off, s[20:23], 0 offset:916 ; 4-byte Folded Reload
	s_waitcnt vmcnt(2)
	v_mul_f64 v[99:100], v[61:62], v[73:74]
	s_waitcnt vmcnt(0)
	v_mul_f64 v[97:98], v[63:64], v[73:74]
	v_fma_f64 v[73:74], v[63:64], v[71:72], v[99:100]
	ds_read2_b64 v[99:102], v125 offset0:30 offset1:31
	v_fma_f64 v[97:98], v[61:62], v[71:72], -v[97:98]
	buffer_load_dword v61, off, s[20:23], 0 offset:112 ; 4-byte Folded Reload
	buffer_load_dword v62, off, s[20:23], 0 offset:116 ; 4-byte Folded Reload
	buffer_load_dword v63, off, s[20:23], 0 offset:120 ; 4-byte Folded Reload
	buffer_load_dword v64, off, s[20:23], 0 offset:124 ; 4-byte Folded Reload
	s_waitcnt lgkmcnt(0)
	v_mul_f64 v[103:104], v[101:102], v[73:74]
	v_fma_f64 v[103:104], v[99:100], v[97:98], -v[103:104]
	v_mul_f64 v[99:100], v[99:100], v[73:74]
	v_fma_f64 v[99:100], v[101:102], v[97:98], v[99:100]
	s_waitcnt vmcnt(2)
	v_add_f64 v[61:62], v[61:62], -v[103:104]
	s_waitcnt vmcnt(0)
	v_add_f64 v[63:64], v[63:64], -v[99:100]
	buffer_store_dword v61, off, s[20:23], 0 offset:112 ; 4-byte Folded Spill
	s_nop 0
	buffer_store_dword v62, off, s[20:23], 0 offset:116 ; 4-byte Folded Spill
	buffer_store_dword v63, off, s[20:23], 0 offset:120 ; 4-byte Folded Spill
	buffer_store_dword v64, off, s[20:23], 0 offset:124 ; 4-byte Folded Spill
	ds_read2_b64 v[99:102], v125 offset0:32 offset1:33
	buffer_load_dword v61, off, s[20:23], 0 offset:96 ; 4-byte Folded Reload
	buffer_load_dword v62, off, s[20:23], 0 offset:100 ; 4-byte Folded Reload
	buffer_load_dword v63, off, s[20:23], 0 offset:104 ; 4-byte Folded Reload
	buffer_load_dword v64, off, s[20:23], 0 offset:108 ; 4-byte Folded Reload
	s_waitcnt lgkmcnt(0)
	v_mul_f64 v[103:104], v[101:102], v[73:74]
	v_fma_f64 v[103:104], v[99:100], v[97:98], -v[103:104]
	v_mul_f64 v[99:100], v[99:100], v[73:74]
	v_fma_f64 v[99:100], v[101:102], v[97:98], v[99:100]
	s_waitcnt vmcnt(2)
	v_add_f64 v[61:62], v[61:62], -v[103:104]
	s_waitcnt vmcnt(0)
	v_add_f64 v[63:64], v[63:64], -v[99:100]
	buffer_store_dword v61, off, s[20:23], 0 offset:96 ; 4-byte Folded Spill
	s_nop 0
	buffer_store_dword v62, off, s[20:23], 0 offset:100 ; 4-byte Folded Spill
	buffer_store_dword v63, off, s[20:23], 0 offset:104 ; 4-byte Folded Spill
	buffer_store_dword v64, off, s[20:23], 0 offset:108 ; 4-byte Folded Spill
	ds_read2_b64 v[99:102], v125 offset0:34 offset1:35
	;; [unrolled: 19-line block ×5, first 2 shown]
	v_mov_b32_e32 v61, v65
	v_mov_b32_e32 v62, v66
	;; [unrolled: 1-line block ×4, first 2 shown]
	s_waitcnt lgkmcnt(0)
	v_mul_f64 v[103:104], v[101:102], v[73:74]
	v_fma_f64 v[103:104], v[99:100], v[97:98], -v[103:104]
	v_mul_f64 v[99:100], v[99:100], v[73:74]
	v_add_f64 v[117:118], v[117:118], -v[103:104]
	v_fma_f64 v[99:100], v[101:102], v[97:98], v[99:100]
	v_add_f64 v[119:120], v[119:120], -v[99:100]
	ds_read2_b64 v[99:102], v125 offset0:42 offset1:43
	s_waitcnt lgkmcnt(0)
	v_mul_f64 v[103:104], v[101:102], v[73:74]
	v_fma_f64 v[103:104], v[99:100], v[97:98], -v[103:104]
	v_mul_f64 v[99:100], v[99:100], v[73:74]
	v_add_f64 v[121:122], v[121:122], -v[103:104]
	v_fma_f64 v[99:100], v[101:102], v[97:98], v[99:100]
	v_add_f64 v[123:124], v[123:124], -v[99:100]
	ds_read2_b64 v[99:102], v125 offset0:44 offset1:45
	;; [unrolled: 8-line block ×5, first 2 shown]
	buffer_load_dword v69, off, s[20:23], 0 offset:32 ; 4-byte Folded Reload
	buffer_load_dword v70, off, s[20:23], 0 offset:36 ; 4-byte Folded Reload
	;; [unrolled: 1-line block ×4, first 2 shown]
	s_waitcnt lgkmcnt(0)
	v_mul_f64 v[103:104], v[101:102], v[73:74]
	v_fma_f64 v[103:104], v[99:100], v[97:98], -v[103:104]
	v_mul_f64 v[99:100], v[99:100], v[73:74]
	v_fma_f64 v[99:100], v[101:102], v[97:98], v[99:100]
	s_waitcnt vmcnt(2)
	v_add_f64 v[69:70], v[69:70], -v[103:104]
	s_waitcnt vmcnt(0)
	v_add_f64 v[71:72], v[71:72], -v[99:100]
	buffer_store_dword v69, off, s[20:23], 0 offset:32 ; 4-byte Folded Spill
	s_nop 0
	buffer_store_dword v70, off, s[20:23], 0 offset:36 ; 4-byte Folded Spill
	buffer_store_dword v71, off, s[20:23], 0 offset:40 ; 4-byte Folded Spill
	;; [unrolled: 1-line block ×3, first 2 shown]
	ds_read2_b64 v[99:102], v125 offset0:52 offset1:53
	buffer_load_dword v65, off, s[20:23], 0 offset:16 ; 4-byte Folded Reload
	buffer_load_dword v66, off, s[20:23], 0 offset:20 ; 4-byte Folded Reload
	;; [unrolled: 1-line block ×4, first 2 shown]
	v_mov_b32_e32 v71, v97
	v_mov_b32_e32 v72, v98
	s_waitcnt lgkmcnt(0)
	v_mul_f64 v[103:104], v[101:102], v[73:74]
	v_fma_f64 v[103:104], v[99:100], v[97:98], -v[103:104]
	v_mul_f64 v[99:100], v[99:100], v[73:74]
	v_fma_f64 v[99:100], v[101:102], v[97:98], v[99:100]
	s_waitcnt vmcnt(2)
	v_add_f64 v[65:66], v[65:66], -v[103:104]
	s_waitcnt vmcnt(0)
	v_add_f64 v[67:68], v[67:68], -v[99:100]
	buffer_store_dword v65, off, s[20:23], 0 offset:16 ; 4-byte Folded Spill
	s_nop 0
	buffer_store_dword v66, off, s[20:23], 0 offset:20 ; 4-byte Folded Spill
	buffer_store_dword v67, off, s[20:23], 0 offset:24 ; 4-byte Folded Spill
	;; [unrolled: 1-line block ×3, first 2 shown]
	v_mov_b32_e32 v68, v64
	v_mov_b32_e32 v67, v63
	;; [unrolled: 1-line block ×4, first 2 shown]
	ds_read2_b64 v[99:102], v125 offset0:54 offset1:55
	buffer_load_dword v61, off, s[20:23], 0 ; 4-byte Folded Reload
	buffer_load_dword v62, off, s[20:23], 0 offset:4 ; 4-byte Folded Reload
	buffer_load_dword v63, off, s[20:23], 0 offset:8 ; 4-byte Folded Reload
	;; [unrolled: 1-line block ×3, first 2 shown]
	s_waitcnt lgkmcnt(0)
	v_mul_f64 v[103:104], v[101:102], v[73:74]
	v_fma_f64 v[103:104], v[99:100], v[97:98], -v[103:104]
	v_mul_f64 v[99:100], v[99:100], v[73:74]
	v_fma_f64 v[99:100], v[101:102], v[97:98], v[99:100]
	s_waitcnt vmcnt(2)
	v_add_f64 v[61:62], v[61:62], -v[103:104]
	s_waitcnt vmcnt(0)
	v_add_f64 v[63:64], v[63:64], -v[99:100]
	buffer_store_dword v61, off, s[20:23], 0 ; 4-byte Folded Spill
	s_nop 0
	buffer_store_dword v62, off, s[20:23], 0 offset:4 ; 4-byte Folded Spill
	buffer_store_dword v63, off, s[20:23], 0 offset:8 ; 4-byte Folded Spill
	;; [unrolled: 1-line block ×3, first 2 shown]
	ds_read2_b64 v[99:102], v125 offset0:56 offset1:57
	s_waitcnt lgkmcnt(0)
	v_mul_f64 v[103:104], v[101:102], v[73:74]
	v_fma_f64 v[103:104], v[99:100], v[97:98], -v[103:104]
	v_mul_f64 v[99:100], v[99:100], v[73:74]
	v_add_f64 v[57:58], v[57:58], -v[103:104]
	v_fma_f64 v[99:100], v[101:102], v[97:98], v[99:100]
	v_add_f64 v[59:60], v[59:60], -v[99:100]
	ds_read2_b64 v[99:102], v125 offset0:58 offset1:59
	s_waitcnt lgkmcnt(0)
	v_mul_f64 v[103:104], v[101:102], v[73:74]
	v_fma_f64 v[103:104], v[99:100], v[97:98], -v[103:104]
	v_mul_f64 v[99:100], v[99:100], v[73:74]
	v_add_f64 v[53:54], v[53:54], -v[103:104]
	v_fma_f64 v[99:100], v[101:102], v[97:98], v[99:100]
	v_add_f64 v[55:56], v[55:56], -v[99:100]
	ds_read2_b64 v[99:102], v125 offset0:60 offset1:61
	s_waitcnt lgkmcnt(0)
	v_mul_f64 v[103:104], v[101:102], v[73:74]
	v_fma_f64 v[103:104], v[99:100], v[97:98], -v[103:104]
	v_mul_f64 v[99:100], v[99:100], v[73:74]
	v_add_f64 v[49:50], v[49:50], -v[103:104]
	v_fma_f64 v[99:100], v[101:102], v[97:98], v[99:100]
	v_add_f64 v[51:52], v[51:52], -v[99:100]
	ds_read2_b64 v[99:102], v125 offset0:62 offset1:63
	s_waitcnt lgkmcnt(0)
	v_mul_f64 v[103:104], v[101:102], v[73:74]
	v_fma_f64 v[103:104], v[99:100], v[97:98], -v[103:104]
	v_mul_f64 v[99:100], v[99:100], v[73:74]
	v_add_f64 v[45:46], v[45:46], -v[103:104]
	v_fma_f64 v[99:100], v[101:102], v[97:98], v[99:100]
	v_add_f64 v[47:48], v[47:48], -v[99:100]
	ds_read2_b64 v[99:102], v125 offset0:64 offset1:65
	s_waitcnt lgkmcnt(0)
	v_mul_f64 v[103:104], v[101:102], v[73:74]
	v_fma_f64 v[103:104], v[99:100], v[97:98], -v[103:104]
	v_mul_f64 v[99:100], v[99:100], v[73:74]
	v_add_f64 v[41:42], v[41:42], -v[103:104]
	v_fma_f64 v[99:100], v[101:102], v[97:98], v[99:100]
	v_add_f64 v[43:44], v[43:44], -v[99:100]
	ds_read2_b64 v[99:102], v125 offset0:66 offset1:67
	s_waitcnt lgkmcnt(0)
	v_mul_f64 v[103:104], v[101:102], v[73:74]
	v_fma_f64 v[103:104], v[99:100], v[97:98], -v[103:104]
	v_mul_f64 v[99:100], v[99:100], v[73:74]
	v_add_f64 v[37:38], v[37:38], -v[103:104]
	v_fma_f64 v[99:100], v[101:102], v[97:98], v[99:100]
	v_add_f64 v[39:40], v[39:40], -v[99:100]
	ds_read2_b64 v[99:102], v125 offset0:68 offset1:69
	s_waitcnt lgkmcnt(0)
	v_mul_f64 v[103:104], v[101:102], v[73:74]
	v_fma_f64 v[103:104], v[99:100], v[97:98], -v[103:104]
	v_mul_f64 v[99:100], v[99:100], v[73:74]
	v_add_f64 v[33:34], v[33:34], -v[103:104]
	v_fma_f64 v[99:100], v[101:102], v[97:98], v[99:100]
	v_add_f64 v[35:36], v[35:36], -v[99:100]
	ds_read2_b64 v[99:102], v125 offset0:70 offset1:71
	s_waitcnt lgkmcnt(0)
	v_mul_f64 v[103:104], v[101:102], v[73:74]
	v_fma_f64 v[103:104], v[99:100], v[97:98], -v[103:104]
	v_mul_f64 v[99:100], v[99:100], v[73:74]
	v_add_f64 v[29:30], v[29:30], -v[103:104]
	v_fma_f64 v[99:100], v[101:102], v[97:98], v[99:100]
	v_add_f64 v[31:32], v[31:32], -v[99:100]
	ds_read2_b64 v[99:102], v125 offset0:72 offset1:73
	s_waitcnt lgkmcnt(0)
	v_mul_f64 v[103:104], v[101:102], v[73:74]
	v_fma_f64 v[103:104], v[99:100], v[97:98], -v[103:104]
	v_mul_f64 v[99:100], v[99:100], v[73:74]
	v_add_f64 v[25:26], v[25:26], -v[103:104]
	v_fma_f64 v[99:100], v[101:102], v[97:98], v[99:100]
	v_add_f64 v[27:28], v[27:28], -v[99:100]
	ds_read2_b64 v[99:102], v125 offset0:74 offset1:75
	s_waitcnt lgkmcnt(0)
	v_mul_f64 v[103:104], v[101:102], v[73:74]
	v_fma_f64 v[103:104], v[99:100], v[97:98], -v[103:104]
	v_mul_f64 v[99:100], v[99:100], v[73:74]
	v_add_f64 v[21:22], v[21:22], -v[103:104]
	v_fma_f64 v[99:100], v[101:102], v[97:98], v[99:100]
	v_add_f64 v[23:24], v[23:24], -v[99:100]
	ds_read2_b64 v[99:102], v125 offset0:76 offset1:77
	s_waitcnt lgkmcnt(0)
	v_mul_f64 v[103:104], v[101:102], v[73:74]
	v_fma_f64 v[103:104], v[99:100], v[97:98], -v[103:104]
	v_mul_f64 v[99:100], v[99:100], v[73:74]
	v_add_f64 v[17:18], v[17:18], -v[103:104]
	v_fma_f64 v[99:100], v[101:102], v[97:98], v[99:100]
	v_add_f64 v[19:20], v[19:20], -v[99:100]
	ds_read2_b64 v[99:102], v125 offset0:78 offset1:79
	s_waitcnt lgkmcnt(0)
	v_mul_f64 v[103:104], v[101:102], v[73:74]
	v_fma_f64 v[103:104], v[99:100], v[97:98], -v[103:104]
	v_mul_f64 v[99:100], v[99:100], v[73:74]
	v_add_f64 v[13:14], v[13:14], -v[103:104]
	v_fma_f64 v[99:100], v[101:102], v[97:98], v[99:100]
	v_add_f64 v[15:16], v[15:16], -v[99:100]
	ds_read2_b64 v[99:102], v125 offset0:80 offset1:81
	s_waitcnt lgkmcnt(0)
	v_mul_f64 v[103:104], v[101:102], v[73:74]
	v_fma_f64 v[103:104], v[99:100], v[97:98], -v[103:104]
	v_mul_f64 v[99:100], v[99:100], v[73:74]
	v_add_f64 v[9:10], v[9:10], -v[103:104]
	v_fma_f64 v[99:100], v[101:102], v[97:98], v[99:100]
	v_add_f64 v[11:12], v[11:12], -v[99:100]
	ds_read2_b64 v[99:102], v125 offset0:82 offset1:83
	s_waitcnt lgkmcnt(0)
	v_mul_f64 v[103:104], v[101:102], v[73:74]
	v_fma_f64 v[103:104], v[99:100], v[97:98], -v[103:104]
	v_mul_f64 v[99:100], v[99:100], v[73:74]
	v_add_f64 v[5:6], v[5:6], -v[103:104]
	v_fma_f64 v[99:100], v[101:102], v[97:98], v[99:100]
	v_add_f64 v[7:8], v[7:8], -v[99:100]
	ds_read2_b64 v[99:102], v125 offset0:84 offset1:85
	s_waitcnt lgkmcnt(0)
	v_mul_f64 v[103:104], v[101:102], v[73:74]
	v_fma_f64 v[103:104], v[99:100], v[97:98], -v[103:104]
	v_mul_f64 v[99:100], v[99:100], v[73:74]
	v_add_f64 v[1:2], v[1:2], -v[103:104]
	v_fma_f64 v[99:100], v[101:102], v[97:98], v[99:100]
	v_add_f64 v[3:4], v[3:4], -v[99:100]
	ds_read2_b64 v[99:102], v125 offset0:86 offset1:87
	s_waitcnt lgkmcnt(0)
	v_mul_f64 v[103:104], v[101:102], v[73:74]
	v_fma_f64 v[103:104], v[99:100], v[97:98], -v[103:104]
	v_mul_f64 v[99:100], v[99:100], v[73:74]
	buffer_store_dword v71, off, s[20:23], 0 offset:128 ; 4-byte Folded Spill
	s_nop 0
	buffer_store_dword v72, off, s[20:23], 0 offset:132 ; 4-byte Folded Spill
	buffer_store_dword v73, off, s[20:23], 0 offset:136 ; 4-byte Folded Spill
	;; [unrolled: 1-line block ×3, first 2 shown]
	v_add_f64 v[65:66], v[65:66], -v[103:104]
	v_fma_f64 v[99:100], v[101:102], v[97:98], v[99:100]
	v_add_f64 v[67:68], v[67:68], -v[99:100]
.LBB87_136:
	s_or_b64 exec, exec, s[2:3]
	v_cmp_eq_u32_e32 vcc, 15, v0
	s_waitcnt vmcnt(0)
	s_barrier
	s_and_saveexec_b64 s[4:5], vcc
	s_cbranch_execz .LBB87_143
; %bb.137:
	buffer_load_dword v61, off, s[20:23], 0 offset:112 ; 4-byte Folded Reload
	buffer_load_dword v62, off, s[20:23], 0 offset:116 ; 4-byte Folded Reload
	;; [unrolled: 1-line block ×4, first 2 shown]
	s_waitcnt vmcnt(0)
	ds_write2_b64 v127, v[61:62], v[63:64] offset1:1
	buffer_load_dword v61, off, s[20:23], 0 offset:96 ; 4-byte Folded Reload
	buffer_load_dword v62, off, s[20:23], 0 offset:100 ; 4-byte Folded Reload
	buffer_load_dword v63, off, s[20:23], 0 offset:104 ; 4-byte Folded Reload
	buffer_load_dword v64, off, s[20:23], 0 offset:108 ; 4-byte Folded Reload
	s_waitcnt vmcnt(0)
	ds_write2_b64 v125, v[61:62], v[63:64] offset0:32 offset1:33
	buffer_load_dword v61, off, s[20:23], 0 offset:80 ; 4-byte Folded Reload
	buffer_load_dword v62, off, s[20:23], 0 offset:84 ; 4-byte Folded Reload
	buffer_load_dword v63, off, s[20:23], 0 offset:88 ; 4-byte Folded Reload
	buffer_load_dword v64, off, s[20:23], 0 offset:92 ; 4-byte Folded Reload
	s_waitcnt vmcnt(0)
	ds_write2_b64 v125, v[61:62], v[63:64] offset0:34 offset1:35
	;; [unrolled: 6-line block ×4, first 2 shown]
	ds_write2_b64 v125, v[117:118], v[119:120] offset0:40 offset1:41
	ds_write2_b64 v125, v[121:122], v[123:124] offset0:42 offset1:43
	;; [unrolled: 1-line block ×5, first 2 shown]
	buffer_load_dword v69, off, s[20:23], 0 offset:32 ; 4-byte Folded Reload
	buffer_load_dword v70, off, s[20:23], 0 offset:36 ; 4-byte Folded Reload
	;; [unrolled: 1-line block ×4, first 2 shown]
	v_mov_b32_e32 v61, v65
	v_mov_b32_e32 v62, v66
	;; [unrolled: 1-line block ×4, first 2 shown]
	s_waitcnt vmcnt(0)
	ds_write2_b64 v125, v[69:70], v[71:72] offset0:50 offset1:51
	buffer_load_dword v65, off, s[20:23], 0 offset:16 ; 4-byte Folded Reload
	buffer_load_dword v66, off, s[20:23], 0 offset:20 ; 4-byte Folded Reload
	;; [unrolled: 1-line block ×4, first 2 shown]
	s_waitcnt vmcnt(0)
	ds_write2_b64 v125, v[65:66], v[67:68] offset0:52 offset1:53
	v_mov_b32_e32 v68, v64
	v_mov_b32_e32 v67, v63
	;; [unrolled: 1-line block ×4, first 2 shown]
	buffer_load_dword v61, off, s[20:23], 0 ; 4-byte Folded Reload
	buffer_load_dword v62, off, s[20:23], 0 offset:4 ; 4-byte Folded Reload
	buffer_load_dword v63, off, s[20:23], 0 offset:8 ; 4-byte Folded Reload
	;; [unrolled: 1-line block ×3, first 2 shown]
	s_waitcnt vmcnt(0)
	ds_write2_b64 v125, v[61:62], v[63:64] offset0:54 offset1:55
	ds_write2_b64 v125, v[57:58], v[59:60] offset0:56 offset1:57
	ds_write2_b64 v125, v[53:54], v[55:56] offset0:58 offset1:59
	ds_write2_b64 v125, v[49:50], v[51:52] offset0:60 offset1:61
	ds_write2_b64 v125, v[45:46], v[47:48] offset0:62 offset1:63
	ds_write2_b64 v125, v[41:42], v[43:44] offset0:64 offset1:65
	ds_write2_b64 v125, v[37:38], v[39:40] offset0:66 offset1:67
	ds_write2_b64 v125, v[33:34], v[35:36] offset0:68 offset1:69
	ds_write2_b64 v125, v[29:30], v[31:32] offset0:70 offset1:71
	ds_write2_b64 v125, v[25:26], v[27:28] offset0:72 offset1:73
	ds_write2_b64 v125, v[21:22], v[23:24] offset0:74 offset1:75
	ds_write2_b64 v125, v[17:18], v[19:20] offset0:76 offset1:77
	ds_write2_b64 v125, v[13:14], v[15:16] offset0:78 offset1:79
	ds_write2_b64 v125, v[9:10], v[11:12] offset0:80 offset1:81
	ds_write2_b64 v125, v[5:6], v[7:8] offset0:82 offset1:83
	ds_write2_b64 v125, v[1:2], v[3:4] offset0:84 offset1:85
	ds_write2_b64 v125, v[65:66], v[67:68] offset0:86 offset1:87
	ds_read2_b64 v[97:100], v127 offset1:1
	s_waitcnt lgkmcnt(0)
	v_cmp_neq_f64_e32 vcc, 0, v[97:98]
	v_cmp_neq_f64_e64 s[2:3], 0, v[99:100]
	s_or_b64 s[2:3], vcc, s[2:3]
	s_and_b64 exec, exec, s[2:3]
	s_cbranch_execz .LBB87_143
; %bb.138:
	v_cmp_ngt_f64_e64 s[2:3], |v[97:98]|, |v[99:100]|
                                        ; implicit-def: $vgpr101_vgpr102
	s_and_saveexec_b64 s[6:7], s[2:3]
	s_xor_b64 s[2:3], exec, s[6:7]
                                        ; implicit-def: $vgpr103_vgpr104
	s_cbranch_execz .LBB87_140
; %bb.139:
	v_div_scale_f64 v[101:102], s[6:7], v[99:100], v[99:100], v[97:98]
	v_rcp_f64_e32 v[103:104], v[101:102]
	v_fma_f64 v[105:106], -v[101:102], v[103:104], 1.0
	v_fma_f64 v[103:104], v[103:104], v[105:106], v[103:104]
	v_div_scale_f64 v[105:106], vcc, v[97:98], v[99:100], v[97:98]
	v_fma_f64 v[107:108], -v[101:102], v[103:104], 1.0
	v_fma_f64 v[103:104], v[103:104], v[107:108], v[103:104]
	v_mul_f64 v[107:108], v[105:106], v[103:104]
	v_fma_f64 v[101:102], -v[101:102], v[107:108], v[105:106]
	v_div_fmas_f64 v[101:102], v[101:102], v[103:104], v[107:108]
	v_div_fixup_f64 v[101:102], v[101:102], v[99:100], v[97:98]
	v_fma_f64 v[97:98], v[97:98], v[101:102], v[99:100]
	v_div_scale_f64 v[99:100], s[6:7], v[97:98], v[97:98], 1.0
	v_div_scale_f64 v[107:108], vcc, 1.0, v[97:98], 1.0
	v_rcp_f64_e32 v[103:104], v[99:100]
	v_fma_f64 v[105:106], -v[99:100], v[103:104], 1.0
	v_fma_f64 v[103:104], v[103:104], v[105:106], v[103:104]
	v_fma_f64 v[105:106], -v[99:100], v[103:104], 1.0
	v_fma_f64 v[103:104], v[103:104], v[105:106], v[103:104]
	v_mul_f64 v[105:106], v[107:108], v[103:104]
	v_fma_f64 v[99:100], -v[99:100], v[105:106], v[107:108]
	v_div_fmas_f64 v[99:100], v[99:100], v[103:104], v[105:106]
	v_div_fixup_f64 v[103:104], v[99:100], v[97:98], 1.0
                                        ; implicit-def: $vgpr97_vgpr98
	v_mul_f64 v[101:102], v[101:102], v[103:104]
	v_xor_b32_e32 v104, 0x80000000, v104
.LBB87_140:
	s_andn2_saveexec_b64 s[2:3], s[2:3]
	s_cbranch_execz .LBB87_142
; %bb.141:
	v_div_scale_f64 v[101:102], s[6:7], v[97:98], v[97:98], v[99:100]
	v_rcp_f64_e32 v[103:104], v[101:102]
	v_fma_f64 v[105:106], -v[101:102], v[103:104], 1.0
	v_fma_f64 v[103:104], v[103:104], v[105:106], v[103:104]
	v_div_scale_f64 v[105:106], vcc, v[99:100], v[97:98], v[99:100]
	v_fma_f64 v[107:108], -v[101:102], v[103:104], 1.0
	v_fma_f64 v[103:104], v[103:104], v[107:108], v[103:104]
	v_mul_f64 v[107:108], v[105:106], v[103:104]
	v_fma_f64 v[101:102], -v[101:102], v[107:108], v[105:106]
	v_div_fmas_f64 v[101:102], v[101:102], v[103:104], v[107:108]
	v_div_fixup_f64 v[103:104], v[101:102], v[97:98], v[99:100]
	v_fma_f64 v[97:98], v[99:100], v[103:104], v[97:98]
	v_div_scale_f64 v[99:100], s[6:7], v[97:98], v[97:98], 1.0
	v_div_scale_f64 v[107:108], vcc, 1.0, v[97:98], 1.0
	v_rcp_f64_e32 v[101:102], v[99:100]
	v_fma_f64 v[105:106], -v[99:100], v[101:102], 1.0
	v_fma_f64 v[101:102], v[101:102], v[105:106], v[101:102]
	v_fma_f64 v[105:106], -v[99:100], v[101:102], 1.0
	v_fma_f64 v[101:102], v[101:102], v[105:106], v[101:102]
	v_mul_f64 v[105:106], v[107:108], v[101:102]
	v_fma_f64 v[99:100], -v[99:100], v[105:106], v[107:108]
	v_div_fmas_f64 v[99:100], v[99:100], v[101:102], v[105:106]
	v_div_fixup_f64 v[101:102], v[99:100], v[97:98], 1.0
	v_mul_f64 v[103:104], v[103:104], -v[101:102]
.LBB87_142:
	s_or_b64 exec, exec, s[2:3]
	ds_write2_b64 v127, v[101:102], v[103:104] offset1:1
.LBB87_143:
	s_or_b64 exec, exec, s[4:5]
	s_waitcnt lgkmcnt(0)
	s_barrier
	ds_read2_b64 v[61:64], v127 offset1:1
	v_cmp_lt_u32_e32 vcc, 15, v0
	s_waitcnt lgkmcnt(0)
	buffer_store_dword v61, off, s[20:23], 0 offset:920 ; 4-byte Folded Spill
	s_nop 0
	buffer_store_dword v62, off, s[20:23], 0 offset:924 ; 4-byte Folded Spill
	buffer_store_dword v63, off, s[20:23], 0 offset:928 ; 4-byte Folded Spill
	;; [unrolled: 1-line block ×3, first 2 shown]
	s_and_saveexec_b64 s[2:3], vcc
	s_cbranch_execz .LBB87_145
; %bb.144:
	buffer_load_dword v71, off, s[20:23], 0 offset:112 ; 4-byte Folded Reload
	buffer_load_dword v72, off, s[20:23], 0 offset:116 ; 4-byte Folded Reload
	;; [unrolled: 1-line block ×8, first 2 shown]
	s_waitcnt vmcnt(2)
	v_mul_f64 v[99:100], v[61:62], v[73:74]
	s_waitcnt vmcnt(0)
	v_mul_f64 v[97:98], v[63:64], v[73:74]
	v_fma_f64 v[73:74], v[63:64], v[71:72], v[99:100]
	ds_read2_b64 v[99:102], v125 offset0:32 offset1:33
	v_fma_f64 v[97:98], v[61:62], v[71:72], -v[97:98]
	buffer_load_dword v61, off, s[20:23], 0 offset:96 ; 4-byte Folded Reload
	buffer_load_dword v62, off, s[20:23], 0 offset:100 ; 4-byte Folded Reload
	buffer_load_dword v63, off, s[20:23], 0 offset:104 ; 4-byte Folded Reload
	buffer_load_dword v64, off, s[20:23], 0 offset:108 ; 4-byte Folded Reload
	s_waitcnt lgkmcnt(0)
	v_mul_f64 v[103:104], v[101:102], v[73:74]
	v_fma_f64 v[103:104], v[99:100], v[97:98], -v[103:104]
	v_mul_f64 v[99:100], v[99:100], v[73:74]
	v_fma_f64 v[99:100], v[101:102], v[97:98], v[99:100]
	s_waitcnt vmcnt(2)
	v_add_f64 v[61:62], v[61:62], -v[103:104]
	s_waitcnt vmcnt(0)
	v_add_f64 v[63:64], v[63:64], -v[99:100]
	buffer_store_dword v61, off, s[20:23], 0 offset:96 ; 4-byte Folded Spill
	s_nop 0
	buffer_store_dword v62, off, s[20:23], 0 offset:100 ; 4-byte Folded Spill
	buffer_store_dword v63, off, s[20:23], 0 offset:104 ; 4-byte Folded Spill
	buffer_store_dword v64, off, s[20:23], 0 offset:108 ; 4-byte Folded Spill
	ds_read2_b64 v[99:102], v125 offset0:34 offset1:35
	buffer_load_dword v61, off, s[20:23], 0 offset:80 ; 4-byte Folded Reload
	buffer_load_dword v62, off, s[20:23], 0 offset:84 ; 4-byte Folded Reload
	buffer_load_dword v63, off, s[20:23], 0 offset:88 ; 4-byte Folded Reload
	buffer_load_dword v64, off, s[20:23], 0 offset:92 ; 4-byte Folded Reload
	s_waitcnt lgkmcnt(0)
	v_mul_f64 v[103:104], v[101:102], v[73:74]
	v_fma_f64 v[103:104], v[99:100], v[97:98], -v[103:104]
	v_mul_f64 v[99:100], v[99:100], v[73:74]
	v_fma_f64 v[99:100], v[101:102], v[97:98], v[99:100]
	s_waitcnt vmcnt(2)
	v_add_f64 v[61:62], v[61:62], -v[103:104]
	s_waitcnt vmcnt(0)
	v_add_f64 v[63:64], v[63:64], -v[99:100]
	buffer_store_dword v61, off, s[20:23], 0 offset:80 ; 4-byte Folded Spill
	s_nop 0
	buffer_store_dword v62, off, s[20:23], 0 offset:84 ; 4-byte Folded Spill
	buffer_store_dword v63, off, s[20:23], 0 offset:88 ; 4-byte Folded Spill
	buffer_store_dword v64, off, s[20:23], 0 offset:92 ; 4-byte Folded Spill
	ds_read2_b64 v[99:102], v125 offset0:36 offset1:37
	;; [unrolled: 19-line block ×4, first 2 shown]
	v_mov_b32_e32 v61, v65
	v_mov_b32_e32 v62, v66
	;; [unrolled: 1-line block ×4, first 2 shown]
	s_waitcnt lgkmcnt(0)
	v_mul_f64 v[103:104], v[101:102], v[73:74]
	v_fma_f64 v[103:104], v[99:100], v[97:98], -v[103:104]
	v_mul_f64 v[99:100], v[99:100], v[73:74]
	v_add_f64 v[117:118], v[117:118], -v[103:104]
	v_fma_f64 v[99:100], v[101:102], v[97:98], v[99:100]
	v_add_f64 v[119:120], v[119:120], -v[99:100]
	ds_read2_b64 v[99:102], v125 offset0:42 offset1:43
	s_waitcnt lgkmcnt(0)
	v_mul_f64 v[103:104], v[101:102], v[73:74]
	v_fma_f64 v[103:104], v[99:100], v[97:98], -v[103:104]
	v_mul_f64 v[99:100], v[99:100], v[73:74]
	v_add_f64 v[121:122], v[121:122], -v[103:104]
	v_fma_f64 v[99:100], v[101:102], v[97:98], v[99:100]
	v_add_f64 v[123:124], v[123:124], -v[99:100]
	ds_read2_b64 v[99:102], v125 offset0:44 offset1:45
	;; [unrolled: 8-line block ×5, first 2 shown]
	buffer_load_dword v69, off, s[20:23], 0 offset:32 ; 4-byte Folded Reload
	buffer_load_dword v70, off, s[20:23], 0 offset:36 ; 4-byte Folded Reload
	buffer_load_dword v71, off, s[20:23], 0 offset:40 ; 4-byte Folded Reload
	buffer_load_dword v72, off, s[20:23], 0 offset:44 ; 4-byte Folded Reload
	s_waitcnt lgkmcnt(0)
	v_mul_f64 v[103:104], v[101:102], v[73:74]
	v_fma_f64 v[103:104], v[99:100], v[97:98], -v[103:104]
	v_mul_f64 v[99:100], v[99:100], v[73:74]
	v_fma_f64 v[99:100], v[101:102], v[97:98], v[99:100]
	s_waitcnt vmcnt(2)
	v_add_f64 v[69:70], v[69:70], -v[103:104]
	s_waitcnt vmcnt(0)
	v_add_f64 v[71:72], v[71:72], -v[99:100]
	buffer_store_dword v69, off, s[20:23], 0 offset:32 ; 4-byte Folded Spill
	s_nop 0
	buffer_store_dword v70, off, s[20:23], 0 offset:36 ; 4-byte Folded Spill
	buffer_store_dword v71, off, s[20:23], 0 offset:40 ; 4-byte Folded Spill
	;; [unrolled: 1-line block ×3, first 2 shown]
	ds_read2_b64 v[99:102], v125 offset0:52 offset1:53
	buffer_load_dword v65, off, s[20:23], 0 offset:16 ; 4-byte Folded Reload
	buffer_load_dword v66, off, s[20:23], 0 offset:20 ; 4-byte Folded Reload
	;; [unrolled: 1-line block ×4, first 2 shown]
	v_mov_b32_e32 v71, v97
	v_mov_b32_e32 v72, v98
	s_waitcnt lgkmcnt(0)
	v_mul_f64 v[103:104], v[101:102], v[73:74]
	v_fma_f64 v[103:104], v[99:100], v[97:98], -v[103:104]
	v_mul_f64 v[99:100], v[99:100], v[73:74]
	v_fma_f64 v[99:100], v[101:102], v[97:98], v[99:100]
	s_waitcnt vmcnt(2)
	v_add_f64 v[65:66], v[65:66], -v[103:104]
	s_waitcnt vmcnt(0)
	v_add_f64 v[67:68], v[67:68], -v[99:100]
	buffer_store_dword v65, off, s[20:23], 0 offset:16 ; 4-byte Folded Spill
	s_nop 0
	buffer_store_dword v66, off, s[20:23], 0 offset:20 ; 4-byte Folded Spill
	buffer_store_dword v67, off, s[20:23], 0 offset:24 ; 4-byte Folded Spill
	;; [unrolled: 1-line block ×3, first 2 shown]
	v_mov_b32_e32 v68, v64
	v_mov_b32_e32 v67, v63
	;; [unrolled: 1-line block ×4, first 2 shown]
	ds_read2_b64 v[99:102], v125 offset0:54 offset1:55
	buffer_load_dword v61, off, s[20:23], 0 ; 4-byte Folded Reload
	buffer_load_dword v62, off, s[20:23], 0 offset:4 ; 4-byte Folded Reload
	buffer_load_dword v63, off, s[20:23], 0 offset:8 ; 4-byte Folded Reload
	;; [unrolled: 1-line block ×3, first 2 shown]
	s_waitcnt lgkmcnt(0)
	v_mul_f64 v[103:104], v[101:102], v[73:74]
	v_fma_f64 v[103:104], v[99:100], v[97:98], -v[103:104]
	v_mul_f64 v[99:100], v[99:100], v[73:74]
	v_fma_f64 v[99:100], v[101:102], v[97:98], v[99:100]
	s_waitcnt vmcnt(2)
	v_add_f64 v[61:62], v[61:62], -v[103:104]
	s_waitcnt vmcnt(0)
	v_add_f64 v[63:64], v[63:64], -v[99:100]
	buffer_store_dword v61, off, s[20:23], 0 ; 4-byte Folded Spill
	s_nop 0
	buffer_store_dword v62, off, s[20:23], 0 offset:4 ; 4-byte Folded Spill
	buffer_store_dword v63, off, s[20:23], 0 offset:8 ; 4-byte Folded Spill
	;; [unrolled: 1-line block ×3, first 2 shown]
	ds_read2_b64 v[99:102], v125 offset0:56 offset1:57
	s_waitcnt lgkmcnt(0)
	v_mul_f64 v[103:104], v[101:102], v[73:74]
	v_fma_f64 v[103:104], v[99:100], v[97:98], -v[103:104]
	v_mul_f64 v[99:100], v[99:100], v[73:74]
	v_add_f64 v[57:58], v[57:58], -v[103:104]
	v_fma_f64 v[99:100], v[101:102], v[97:98], v[99:100]
	v_add_f64 v[59:60], v[59:60], -v[99:100]
	ds_read2_b64 v[99:102], v125 offset0:58 offset1:59
	s_waitcnt lgkmcnt(0)
	v_mul_f64 v[103:104], v[101:102], v[73:74]
	v_fma_f64 v[103:104], v[99:100], v[97:98], -v[103:104]
	v_mul_f64 v[99:100], v[99:100], v[73:74]
	v_add_f64 v[53:54], v[53:54], -v[103:104]
	v_fma_f64 v[99:100], v[101:102], v[97:98], v[99:100]
	v_add_f64 v[55:56], v[55:56], -v[99:100]
	;; [unrolled: 8-line block ×15, first 2 shown]
	ds_read2_b64 v[99:102], v125 offset0:86 offset1:87
	s_waitcnt lgkmcnt(0)
	v_mul_f64 v[103:104], v[101:102], v[73:74]
	v_fma_f64 v[103:104], v[99:100], v[97:98], -v[103:104]
	v_mul_f64 v[99:100], v[99:100], v[73:74]
	buffer_store_dword v71, off, s[20:23], 0 offset:112 ; 4-byte Folded Spill
	s_nop 0
	buffer_store_dword v72, off, s[20:23], 0 offset:116 ; 4-byte Folded Spill
	buffer_store_dword v73, off, s[20:23], 0 offset:120 ; 4-byte Folded Spill
	;; [unrolled: 1-line block ×3, first 2 shown]
	v_add_f64 v[65:66], v[65:66], -v[103:104]
	v_fma_f64 v[99:100], v[101:102], v[97:98], v[99:100]
	v_add_f64 v[67:68], v[67:68], -v[99:100]
.LBB87_145:
	s_or_b64 exec, exec, s[2:3]
	v_cmp_eq_u32_e32 vcc, 16, v0
	s_waitcnt vmcnt(0)
	s_barrier
	s_and_saveexec_b64 s[4:5], vcc
	s_cbranch_execz .LBB87_152
; %bb.146:
	buffer_load_dword v61, off, s[20:23], 0 offset:96 ; 4-byte Folded Reload
	buffer_load_dword v62, off, s[20:23], 0 offset:100 ; 4-byte Folded Reload
	;; [unrolled: 1-line block ×4, first 2 shown]
	s_waitcnt vmcnt(0)
	ds_write2_b64 v127, v[61:62], v[63:64] offset1:1
	buffer_load_dword v61, off, s[20:23], 0 offset:80 ; 4-byte Folded Reload
	buffer_load_dword v62, off, s[20:23], 0 offset:84 ; 4-byte Folded Reload
	buffer_load_dword v63, off, s[20:23], 0 offset:88 ; 4-byte Folded Reload
	buffer_load_dword v64, off, s[20:23], 0 offset:92 ; 4-byte Folded Reload
	s_waitcnt vmcnt(0)
	ds_write2_b64 v125, v[61:62], v[63:64] offset0:34 offset1:35
	buffer_load_dword v61, off, s[20:23], 0 offset:64 ; 4-byte Folded Reload
	buffer_load_dword v62, off, s[20:23], 0 offset:68 ; 4-byte Folded Reload
	buffer_load_dword v63, off, s[20:23], 0 offset:72 ; 4-byte Folded Reload
	buffer_load_dword v64, off, s[20:23], 0 offset:76 ; 4-byte Folded Reload
	s_waitcnt vmcnt(0)
	ds_write2_b64 v125, v[61:62], v[63:64] offset0:36 offset1:37
	;; [unrolled: 6-line block ×3, first 2 shown]
	ds_write2_b64 v125, v[117:118], v[119:120] offset0:40 offset1:41
	ds_write2_b64 v125, v[121:122], v[123:124] offset0:42 offset1:43
	;; [unrolled: 1-line block ×5, first 2 shown]
	buffer_load_dword v69, off, s[20:23], 0 offset:32 ; 4-byte Folded Reload
	buffer_load_dword v70, off, s[20:23], 0 offset:36 ; 4-byte Folded Reload
	buffer_load_dword v71, off, s[20:23], 0 offset:40 ; 4-byte Folded Reload
	buffer_load_dword v72, off, s[20:23], 0 offset:44 ; 4-byte Folded Reload
	v_mov_b32_e32 v61, v65
	v_mov_b32_e32 v62, v66
	;; [unrolled: 1-line block ×4, first 2 shown]
	s_waitcnt vmcnt(0)
	ds_write2_b64 v125, v[69:70], v[71:72] offset0:50 offset1:51
	buffer_load_dword v65, off, s[20:23], 0 offset:16 ; 4-byte Folded Reload
	buffer_load_dword v66, off, s[20:23], 0 offset:20 ; 4-byte Folded Reload
	;; [unrolled: 1-line block ×4, first 2 shown]
	s_waitcnt vmcnt(0)
	ds_write2_b64 v125, v[65:66], v[67:68] offset0:52 offset1:53
	v_mov_b32_e32 v68, v64
	v_mov_b32_e32 v67, v63
	;; [unrolled: 1-line block ×4, first 2 shown]
	buffer_load_dword v61, off, s[20:23], 0 ; 4-byte Folded Reload
	buffer_load_dword v62, off, s[20:23], 0 offset:4 ; 4-byte Folded Reload
	buffer_load_dword v63, off, s[20:23], 0 offset:8 ; 4-byte Folded Reload
	;; [unrolled: 1-line block ×3, first 2 shown]
	s_waitcnt vmcnt(0)
	ds_write2_b64 v125, v[61:62], v[63:64] offset0:54 offset1:55
	ds_write2_b64 v125, v[57:58], v[59:60] offset0:56 offset1:57
	;; [unrolled: 1-line block ×17, first 2 shown]
	ds_read2_b64 v[97:100], v127 offset1:1
	s_waitcnt lgkmcnt(0)
	v_cmp_neq_f64_e32 vcc, 0, v[97:98]
	v_cmp_neq_f64_e64 s[2:3], 0, v[99:100]
	s_or_b64 s[2:3], vcc, s[2:3]
	s_and_b64 exec, exec, s[2:3]
	s_cbranch_execz .LBB87_152
; %bb.147:
	v_cmp_ngt_f64_e64 s[2:3], |v[97:98]|, |v[99:100]|
                                        ; implicit-def: $vgpr101_vgpr102
	s_and_saveexec_b64 s[6:7], s[2:3]
	s_xor_b64 s[2:3], exec, s[6:7]
                                        ; implicit-def: $vgpr103_vgpr104
	s_cbranch_execz .LBB87_149
; %bb.148:
	v_div_scale_f64 v[101:102], s[6:7], v[99:100], v[99:100], v[97:98]
	v_rcp_f64_e32 v[103:104], v[101:102]
	v_fma_f64 v[105:106], -v[101:102], v[103:104], 1.0
	v_fma_f64 v[103:104], v[103:104], v[105:106], v[103:104]
	v_div_scale_f64 v[105:106], vcc, v[97:98], v[99:100], v[97:98]
	v_fma_f64 v[107:108], -v[101:102], v[103:104], 1.0
	v_fma_f64 v[103:104], v[103:104], v[107:108], v[103:104]
	v_mul_f64 v[107:108], v[105:106], v[103:104]
	v_fma_f64 v[101:102], -v[101:102], v[107:108], v[105:106]
	v_div_fmas_f64 v[101:102], v[101:102], v[103:104], v[107:108]
	v_div_fixup_f64 v[101:102], v[101:102], v[99:100], v[97:98]
	v_fma_f64 v[97:98], v[97:98], v[101:102], v[99:100]
	v_div_scale_f64 v[99:100], s[6:7], v[97:98], v[97:98], 1.0
	v_div_scale_f64 v[107:108], vcc, 1.0, v[97:98], 1.0
	v_rcp_f64_e32 v[103:104], v[99:100]
	v_fma_f64 v[105:106], -v[99:100], v[103:104], 1.0
	v_fma_f64 v[103:104], v[103:104], v[105:106], v[103:104]
	v_fma_f64 v[105:106], -v[99:100], v[103:104], 1.0
	v_fma_f64 v[103:104], v[103:104], v[105:106], v[103:104]
	v_mul_f64 v[105:106], v[107:108], v[103:104]
	v_fma_f64 v[99:100], -v[99:100], v[105:106], v[107:108]
	v_div_fmas_f64 v[99:100], v[99:100], v[103:104], v[105:106]
	v_div_fixup_f64 v[103:104], v[99:100], v[97:98], 1.0
                                        ; implicit-def: $vgpr97_vgpr98
	v_mul_f64 v[101:102], v[101:102], v[103:104]
	v_xor_b32_e32 v104, 0x80000000, v104
.LBB87_149:
	s_andn2_saveexec_b64 s[2:3], s[2:3]
	s_cbranch_execz .LBB87_151
; %bb.150:
	v_div_scale_f64 v[101:102], s[6:7], v[97:98], v[97:98], v[99:100]
	v_rcp_f64_e32 v[103:104], v[101:102]
	v_fma_f64 v[105:106], -v[101:102], v[103:104], 1.0
	v_fma_f64 v[103:104], v[103:104], v[105:106], v[103:104]
	v_div_scale_f64 v[105:106], vcc, v[99:100], v[97:98], v[99:100]
	v_fma_f64 v[107:108], -v[101:102], v[103:104], 1.0
	v_fma_f64 v[103:104], v[103:104], v[107:108], v[103:104]
	v_mul_f64 v[107:108], v[105:106], v[103:104]
	v_fma_f64 v[101:102], -v[101:102], v[107:108], v[105:106]
	v_div_fmas_f64 v[101:102], v[101:102], v[103:104], v[107:108]
	v_div_fixup_f64 v[103:104], v[101:102], v[97:98], v[99:100]
	v_fma_f64 v[97:98], v[99:100], v[103:104], v[97:98]
	v_div_scale_f64 v[99:100], s[6:7], v[97:98], v[97:98], 1.0
	v_div_scale_f64 v[107:108], vcc, 1.0, v[97:98], 1.0
	v_rcp_f64_e32 v[101:102], v[99:100]
	v_fma_f64 v[105:106], -v[99:100], v[101:102], 1.0
	v_fma_f64 v[101:102], v[101:102], v[105:106], v[101:102]
	v_fma_f64 v[105:106], -v[99:100], v[101:102], 1.0
	v_fma_f64 v[101:102], v[101:102], v[105:106], v[101:102]
	v_mul_f64 v[105:106], v[107:108], v[101:102]
	v_fma_f64 v[99:100], -v[99:100], v[105:106], v[107:108]
	v_div_fmas_f64 v[99:100], v[99:100], v[101:102], v[105:106]
	v_div_fixup_f64 v[101:102], v[99:100], v[97:98], 1.0
	v_mul_f64 v[103:104], v[103:104], -v[101:102]
.LBB87_151:
	s_or_b64 exec, exec, s[2:3]
	ds_write2_b64 v127, v[101:102], v[103:104] offset1:1
.LBB87_152:
	s_or_b64 exec, exec, s[4:5]
	s_waitcnt lgkmcnt(0)
	s_barrier
	ds_read2_b64 v[61:64], v127 offset1:1
	v_cmp_lt_u32_e32 vcc, 16, v0
	s_waitcnt lgkmcnt(0)
	buffer_store_dword v61, off, s[20:23], 0 offset:936 ; 4-byte Folded Spill
	s_nop 0
	buffer_store_dword v62, off, s[20:23], 0 offset:940 ; 4-byte Folded Spill
	buffer_store_dword v63, off, s[20:23], 0 offset:944 ; 4-byte Folded Spill
	;; [unrolled: 1-line block ×3, first 2 shown]
	s_and_saveexec_b64 s[2:3], vcc
	s_cbranch_execz .LBB87_154
; %bb.153:
	buffer_load_dword v71, off, s[20:23], 0 offset:96 ; 4-byte Folded Reload
	buffer_load_dword v72, off, s[20:23], 0 offset:100 ; 4-byte Folded Reload
	;; [unrolled: 1-line block ×8, first 2 shown]
	s_waitcnt vmcnt(2)
	v_mul_f64 v[99:100], v[61:62], v[73:74]
	s_waitcnt vmcnt(0)
	v_mul_f64 v[97:98], v[63:64], v[73:74]
	v_fma_f64 v[73:74], v[63:64], v[71:72], v[99:100]
	ds_read2_b64 v[99:102], v125 offset0:34 offset1:35
	v_fma_f64 v[97:98], v[61:62], v[71:72], -v[97:98]
	buffer_load_dword v61, off, s[20:23], 0 offset:80 ; 4-byte Folded Reload
	buffer_load_dword v62, off, s[20:23], 0 offset:84 ; 4-byte Folded Reload
	buffer_load_dword v63, off, s[20:23], 0 offset:88 ; 4-byte Folded Reload
	buffer_load_dword v64, off, s[20:23], 0 offset:92 ; 4-byte Folded Reload
	s_waitcnt lgkmcnt(0)
	v_mul_f64 v[103:104], v[101:102], v[73:74]
	v_fma_f64 v[103:104], v[99:100], v[97:98], -v[103:104]
	v_mul_f64 v[99:100], v[99:100], v[73:74]
	v_fma_f64 v[99:100], v[101:102], v[97:98], v[99:100]
	s_waitcnt vmcnt(2)
	v_add_f64 v[61:62], v[61:62], -v[103:104]
	s_waitcnt vmcnt(0)
	v_add_f64 v[63:64], v[63:64], -v[99:100]
	buffer_store_dword v61, off, s[20:23], 0 offset:80 ; 4-byte Folded Spill
	s_nop 0
	buffer_store_dword v62, off, s[20:23], 0 offset:84 ; 4-byte Folded Spill
	buffer_store_dword v63, off, s[20:23], 0 offset:88 ; 4-byte Folded Spill
	buffer_store_dword v64, off, s[20:23], 0 offset:92 ; 4-byte Folded Spill
	ds_read2_b64 v[99:102], v125 offset0:36 offset1:37
	buffer_load_dword v61, off, s[20:23], 0 offset:64 ; 4-byte Folded Reload
	buffer_load_dword v62, off, s[20:23], 0 offset:68 ; 4-byte Folded Reload
	buffer_load_dword v63, off, s[20:23], 0 offset:72 ; 4-byte Folded Reload
	buffer_load_dword v64, off, s[20:23], 0 offset:76 ; 4-byte Folded Reload
	s_waitcnt lgkmcnt(0)
	v_mul_f64 v[103:104], v[101:102], v[73:74]
	v_fma_f64 v[103:104], v[99:100], v[97:98], -v[103:104]
	v_mul_f64 v[99:100], v[99:100], v[73:74]
	v_fma_f64 v[99:100], v[101:102], v[97:98], v[99:100]
	s_waitcnt vmcnt(2)
	v_add_f64 v[61:62], v[61:62], -v[103:104]
	s_waitcnt vmcnt(0)
	v_add_f64 v[63:64], v[63:64], -v[99:100]
	buffer_store_dword v61, off, s[20:23], 0 offset:64 ; 4-byte Folded Spill
	s_nop 0
	buffer_store_dword v62, off, s[20:23], 0 offset:68 ; 4-byte Folded Spill
	buffer_store_dword v63, off, s[20:23], 0 offset:72 ; 4-byte Folded Spill
	buffer_store_dword v64, off, s[20:23], 0 offset:76 ; 4-byte Folded Spill
	ds_read2_b64 v[99:102], v125 offset0:38 offset1:39
	;; [unrolled: 19-line block ×3, first 2 shown]
	v_mov_b32_e32 v61, v65
	v_mov_b32_e32 v62, v66
	v_mov_b32_e32 v63, v67
	v_mov_b32_e32 v64, v68
	s_waitcnt lgkmcnt(0)
	v_mul_f64 v[103:104], v[101:102], v[73:74]
	v_fma_f64 v[103:104], v[99:100], v[97:98], -v[103:104]
	v_mul_f64 v[99:100], v[99:100], v[73:74]
	v_add_f64 v[117:118], v[117:118], -v[103:104]
	v_fma_f64 v[99:100], v[101:102], v[97:98], v[99:100]
	v_add_f64 v[119:120], v[119:120], -v[99:100]
	ds_read2_b64 v[99:102], v125 offset0:42 offset1:43
	s_waitcnt lgkmcnt(0)
	v_mul_f64 v[103:104], v[101:102], v[73:74]
	v_fma_f64 v[103:104], v[99:100], v[97:98], -v[103:104]
	v_mul_f64 v[99:100], v[99:100], v[73:74]
	v_add_f64 v[121:122], v[121:122], -v[103:104]
	v_fma_f64 v[99:100], v[101:102], v[97:98], v[99:100]
	v_add_f64 v[123:124], v[123:124], -v[99:100]
	ds_read2_b64 v[99:102], v125 offset0:44 offset1:45
	;; [unrolled: 8-line block ×5, first 2 shown]
	buffer_load_dword v69, off, s[20:23], 0 offset:32 ; 4-byte Folded Reload
	buffer_load_dword v70, off, s[20:23], 0 offset:36 ; 4-byte Folded Reload
	;; [unrolled: 1-line block ×4, first 2 shown]
	s_waitcnt lgkmcnt(0)
	v_mul_f64 v[103:104], v[101:102], v[73:74]
	v_fma_f64 v[103:104], v[99:100], v[97:98], -v[103:104]
	v_mul_f64 v[99:100], v[99:100], v[73:74]
	v_fma_f64 v[99:100], v[101:102], v[97:98], v[99:100]
	s_waitcnt vmcnt(2)
	v_add_f64 v[69:70], v[69:70], -v[103:104]
	s_waitcnt vmcnt(0)
	v_add_f64 v[71:72], v[71:72], -v[99:100]
	buffer_store_dword v69, off, s[20:23], 0 offset:32 ; 4-byte Folded Spill
	s_nop 0
	buffer_store_dword v70, off, s[20:23], 0 offset:36 ; 4-byte Folded Spill
	buffer_store_dword v71, off, s[20:23], 0 offset:40 ; 4-byte Folded Spill
	;; [unrolled: 1-line block ×3, first 2 shown]
	ds_read2_b64 v[99:102], v125 offset0:52 offset1:53
	buffer_load_dword v65, off, s[20:23], 0 offset:16 ; 4-byte Folded Reload
	buffer_load_dword v66, off, s[20:23], 0 offset:20 ; 4-byte Folded Reload
	;; [unrolled: 1-line block ×4, first 2 shown]
	v_mov_b32_e32 v71, v97
	v_mov_b32_e32 v72, v98
	s_waitcnt lgkmcnt(0)
	v_mul_f64 v[103:104], v[101:102], v[73:74]
	v_fma_f64 v[103:104], v[99:100], v[97:98], -v[103:104]
	v_mul_f64 v[99:100], v[99:100], v[73:74]
	v_fma_f64 v[99:100], v[101:102], v[97:98], v[99:100]
	s_waitcnt vmcnt(2)
	v_add_f64 v[65:66], v[65:66], -v[103:104]
	s_waitcnt vmcnt(0)
	v_add_f64 v[67:68], v[67:68], -v[99:100]
	buffer_store_dword v65, off, s[20:23], 0 offset:16 ; 4-byte Folded Spill
	s_nop 0
	buffer_store_dword v66, off, s[20:23], 0 offset:20 ; 4-byte Folded Spill
	buffer_store_dword v67, off, s[20:23], 0 offset:24 ; 4-byte Folded Spill
	buffer_store_dword v68, off, s[20:23], 0 offset:28 ; 4-byte Folded Spill
	v_mov_b32_e32 v68, v64
	v_mov_b32_e32 v67, v63
	v_mov_b32_e32 v66, v62
	v_mov_b32_e32 v65, v61
	ds_read2_b64 v[99:102], v125 offset0:54 offset1:55
	buffer_load_dword v61, off, s[20:23], 0 ; 4-byte Folded Reload
	buffer_load_dword v62, off, s[20:23], 0 offset:4 ; 4-byte Folded Reload
	buffer_load_dword v63, off, s[20:23], 0 offset:8 ; 4-byte Folded Reload
	;; [unrolled: 1-line block ×3, first 2 shown]
	s_waitcnt lgkmcnt(0)
	v_mul_f64 v[103:104], v[101:102], v[73:74]
	v_fma_f64 v[103:104], v[99:100], v[97:98], -v[103:104]
	v_mul_f64 v[99:100], v[99:100], v[73:74]
	v_fma_f64 v[99:100], v[101:102], v[97:98], v[99:100]
	s_waitcnt vmcnt(2)
	v_add_f64 v[61:62], v[61:62], -v[103:104]
	s_waitcnt vmcnt(0)
	v_add_f64 v[63:64], v[63:64], -v[99:100]
	buffer_store_dword v61, off, s[20:23], 0 ; 4-byte Folded Spill
	s_nop 0
	buffer_store_dword v62, off, s[20:23], 0 offset:4 ; 4-byte Folded Spill
	buffer_store_dword v63, off, s[20:23], 0 offset:8 ; 4-byte Folded Spill
	;; [unrolled: 1-line block ×3, first 2 shown]
	ds_read2_b64 v[99:102], v125 offset0:56 offset1:57
	s_waitcnt lgkmcnt(0)
	v_mul_f64 v[103:104], v[101:102], v[73:74]
	v_fma_f64 v[103:104], v[99:100], v[97:98], -v[103:104]
	v_mul_f64 v[99:100], v[99:100], v[73:74]
	v_add_f64 v[57:58], v[57:58], -v[103:104]
	v_fma_f64 v[99:100], v[101:102], v[97:98], v[99:100]
	v_add_f64 v[59:60], v[59:60], -v[99:100]
	ds_read2_b64 v[99:102], v125 offset0:58 offset1:59
	s_waitcnt lgkmcnt(0)
	v_mul_f64 v[103:104], v[101:102], v[73:74]
	v_fma_f64 v[103:104], v[99:100], v[97:98], -v[103:104]
	v_mul_f64 v[99:100], v[99:100], v[73:74]
	v_add_f64 v[53:54], v[53:54], -v[103:104]
	v_fma_f64 v[99:100], v[101:102], v[97:98], v[99:100]
	v_add_f64 v[55:56], v[55:56], -v[99:100]
	;; [unrolled: 8-line block ×15, first 2 shown]
	ds_read2_b64 v[99:102], v125 offset0:86 offset1:87
	s_waitcnt lgkmcnt(0)
	v_mul_f64 v[103:104], v[101:102], v[73:74]
	v_fma_f64 v[103:104], v[99:100], v[97:98], -v[103:104]
	v_mul_f64 v[99:100], v[99:100], v[73:74]
	buffer_store_dword v71, off, s[20:23], 0 offset:96 ; 4-byte Folded Spill
	s_nop 0
	buffer_store_dword v72, off, s[20:23], 0 offset:100 ; 4-byte Folded Spill
	buffer_store_dword v73, off, s[20:23], 0 offset:104 ; 4-byte Folded Spill
	;; [unrolled: 1-line block ×3, first 2 shown]
	v_add_f64 v[65:66], v[65:66], -v[103:104]
	v_fma_f64 v[99:100], v[101:102], v[97:98], v[99:100]
	v_add_f64 v[67:68], v[67:68], -v[99:100]
.LBB87_154:
	s_or_b64 exec, exec, s[2:3]
	v_cmp_eq_u32_e32 vcc, 17, v0
	s_waitcnt vmcnt(0)
	s_barrier
	s_and_saveexec_b64 s[4:5], vcc
	s_cbranch_execz .LBB87_161
; %bb.155:
	buffer_load_dword v61, off, s[20:23], 0 offset:80 ; 4-byte Folded Reload
	buffer_load_dword v62, off, s[20:23], 0 offset:84 ; 4-byte Folded Reload
	;; [unrolled: 1-line block ×4, first 2 shown]
	s_waitcnt vmcnt(0)
	ds_write2_b64 v127, v[61:62], v[63:64] offset1:1
	buffer_load_dword v61, off, s[20:23], 0 offset:64 ; 4-byte Folded Reload
	buffer_load_dword v62, off, s[20:23], 0 offset:68 ; 4-byte Folded Reload
	;; [unrolled: 1-line block ×4, first 2 shown]
	s_waitcnt vmcnt(0)
	ds_write2_b64 v125, v[61:62], v[63:64] offset0:36 offset1:37
	buffer_load_dword v61, off, s[20:23], 0 offset:48 ; 4-byte Folded Reload
	buffer_load_dword v62, off, s[20:23], 0 offset:52 ; 4-byte Folded Reload
	;; [unrolled: 1-line block ×4, first 2 shown]
	s_waitcnt vmcnt(0)
	ds_write2_b64 v125, v[61:62], v[63:64] offset0:38 offset1:39
	ds_write2_b64 v125, v[117:118], v[119:120] offset0:40 offset1:41
	;; [unrolled: 1-line block ×6, first 2 shown]
	buffer_load_dword v69, off, s[20:23], 0 offset:32 ; 4-byte Folded Reload
	buffer_load_dword v70, off, s[20:23], 0 offset:36 ; 4-byte Folded Reload
	;; [unrolled: 1-line block ×4, first 2 shown]
	v_mov_b32_e32 v61, v65
	v_mov_b32_e32 v62, v66
	;; [unrolled: 1-line block ×4, first 2 shown]
	s_waitcnt vmcnt(0)
	ds_write2_b64 v125, v[69:70], v[71:72] offset0:50 offset1:51
	buffer_load_dword v65, off, s[20:23], 0 offset:16 ; 4-byte Folded Reload
	buffer_load_dword v66, off, s[20:23], 0 offset:20 ; 4-byte Folded Reload
	;; [unrolled: 1-line block ×4, first 2 shown]
	s_waitcnt vmcnt(0)
	ds_write2_b64 v125, v[65:66], v[67:68] offset0:52 offset1:53
	v_mov_b32_e32 v68, v64
	v_mov_b32_e32 v67, v63
	v_mov_b32_e32 v66, v62
	v_mov_b32_e32 v65, v61
	buffer_load_dword v61, off, s[20:23], 0 ; 4-byte Folded Reload
	buffer_load_dword v62, off, s[20:23], 0 offset:4 ; 4-byte Folded Reload
	buffer_load_dword v63, off, s[20:23], 0 offset:8 ; 4-byte Folded Reload
	;; [unrolled: 1-line block ×3, first 2 shown]
	s_waitcnt vmcnt(0)
	ds_write2_b64 v125, v[61:62], v[63:64] offset0:54 offset1:55
	ds_write2_b64 v125, v[57:58], v[59:60] offset0:56 offset1:57
	ds_write2_b64 v125, v[53:54], v[55:56] offset0:58 offset1:59
	ds_write2_b64 v125, v[49:50], v[51:52] offset0:60 offset1:61
	ds_write2_b64 v125, v[45:46], v[47:48] offset0:62 offset1:63
	ds_write2_b64 v125, v[41:42], v[43:44] offset0:64 offset1:65
	ds_write2_b64 v125, v[37:38], v[39:40] offset0:66 offset1:67
	ds_write2_b64 v125, v[33:34], v[35:36] offset0:68 offset1:69
	ds_write2_b64 v125, v[29:30], v[31:32] offset0:70 offset1:71
	ds_write2_b64 v125, v[25:26], v[27:28] offset0:72 offset1:73
	ds_write2_b64 v125, v[21:22], v[23:24] offset0:74 offset1:75
	ds_write2_b64 v125, v[17:18], v[19:20] offset0:76 offset1:77
	ds_write2_b64 v125, v[13:14], v[15:16] offset0:78 offset1:79
	ds_write2_b64 v125, v[9:10], v[11:12] offset0:80 offset1:81
	ds_write2_b64 v125, v[5:6], v[7:8] offset0:82 offset1:83
	ds_write2_b64 v125, v[1:2], v[3:4] offset0:84 offset1:85
	ds_write2_b64 v125, v[65:66], v[67:68] offset0:86 offset1:87
	ds_read2_b64 v[97:100], v127 offset1:1
	s_waitcnt lgkmcnt(0)
	v_cmp_neq_f64_e32 vcc, 0, v[97:98]
	v_cmp_neq_f64_e64 s[2:3], 0, v[99:100]
	s_or_b64 s[2:3], vcc, s[2:3]
	s_and_b64 exec, exec, s[2:3]
	s_cbranch_execz .LBB87_161
; %bb.156:
	v_cmp_ngt_f64_e64 s[2:3], |v[97:98]|, |v[99:100]|
                                        ; implicit-def: $vgpr101_vgpr102
	s_and_saveexec_b64 s[6:7], s[2:3]
	s_xor_b64 s[2:3], exec, s[6:7]
                                        ; implicit-def: $vgpr103_vgpr104
	s_cbranch_execz .LBB87_158
; %bb.157:
	v_div_scale_f64 v[101:102], s[6:7], v[99:100], v[99:100], v[97:98]
	v_rcp_f64_e32 v[103:104], v[101:102]
	v_fma_f64 v[105:106], -v[101:102], v[103:104], 1.0
	v_fma_f64 v[103:104], v[103:104], v[105:106], v[103:104]
	v_div_scale_f64 v[105:106], vcc, v[97:98], v[99:100], v[97:98]
	v_fma_f64 v[107:108], -v[101:102], v[103:104], 1.0
	v_fma_f64 v[103:104], v[103:104], v[107:108], v[103:104]
	v_mul_f64 v[107:108], v[105:106], v[103:104]
	v_fma_f64 v[101:102], -v[101:102], v[107:108], v[105:106]
	v_div_fmas_f64 v[101:102], v[101:102], v[103:104], v[107:108]
	v_div_fixup_f64 v[101:102], v[101:102], v[99:100], v[97:98]
	v_fma_f64 v[97:98], v[97:98], v[101:102], v[99:100]
	v_div_scale_f64 v[99:100], s[6:7], v[97:98], v[97:98], 1.0
	v_div_scale_f64 v[107:108], vcc, 1.0, v[97:98], 1.0
	v_rcp_f64_e32 v[103:104], v[99:100]
	v_fma_f64 v[105:106], -v[99:100], v[103:104], 1.0
	v_fma_f64 v[103:104], v[103:104], v[105:106], v[103:104]
	v_fma_f64 v[105:106], -v[99:100], v[103:104], 1.0
	v_fma_f64 v[103:104], v[103:104], v[105:106], v[103:104]
	v_mul_f64 v[105:106], v[107:108], v[103:104]
	v_fma_f64 v[99:100], -v[99:100], v[105:106], v[107:108]
	v_div_fmas_f64 v[99:100], v[99:100], v[103:104], v[105:106]
	v_div_fixup_f64 v[103:104], v[99:100], v[97:98], 1.0
                                        ; implicit-def: $vgpr97_vgpr98
	v_mul_f64 v[101:102], v[101:102], v[103:104]
	v_xor_b32_e32 v104, 0x80000000, v104
.LBB87_158:
	s_andn2_saveexec_b64 s[2:3], s[2:3]
	s_cbranch_execz .LBB87_160
; %bb.159:
	v_div_scale_f64 v[101:102], s[6:7], v[97:98], v[97:98], v[99:100]
	v_rcp_f64_e32 v[103:104], v[101:102]
	v_fma_f64 v[105:106], -v[101:102], v[103:104], 1.0
	v_fma_f64 v[103:104], v[103:104], v[105:106], v[103:104]
	v_div_scale_f64 v[105:106], vcc, v[99:100], v[97:98], v[99:100]
	v_fma_f64 v[107:108], -v[101:102], v[103:104], 1.0
	v_fma_f64 v[103:104], v[103:104], v[107:108], v[103:104]
	v_mul_f64 v[107:108], v[105:106], v[103:104]
	v_fma_f64 v[101:102], -v[101:102], v[107:108], v[105:106]
	v_div_fmas_f64 v[101:102], v[101:102], v[103:104], v[107:108]
	v_div_fixup_f64 v[103:104], v[101:102], v[97:98], v[99:100]
	v_fma_f64 v[97:98], v[99:100], v[103:104], v[97:98]
	v_div_scale_f64 v[99:100], s[6:7], v[97:98], v[97:98], 1.0
	v_div_scale_f64 v[107:108], vcc, 1.0, v[97:98], 1.0
	v_rcp_f64_e32 v[101:102], v[99:100]
	v_fma_f64 v[105:106], -v[99:100], v[101:102], 1.0
	v_fma_f64 v[101:102], v[101:102], v[105:106], v[101:102]
	v_fma_f64 v[105:106], -v[99:100], v[101:102], 1.0
	v_fma_f64 v[101:102], v[101:102], v[105:106], v[101:102]
	v_mul_f64 v[105:106], v[107:108], v[101:102]
	v_fma_f64 v[99:100], -v[99:100], v[105:106], v[107:108]
	v_div_fmas_f64 v[99:100], v[99:100], v[101:102], v[105:106]
	v_div_fixup_f64 v[101:102], v[99:100], v[97:98], 1.0
	v_mul_f64 v[103:104], v[103:104], -v[101:102]
.LBB87_160:
	s_or_b64 exec, exec, s[2:3]
	ds_write2_b64 v127, v[101:102], v[103:104] offset1:1
.LBB87_161:
	s_or_b64 exec, exec, s[4:5]
	s_waitcnt lgkmcnt(0)
	s_barrier
	ds_read2_b64 v[61:64], v127 offset1:1
	v_cmp_lt_u32_e32 vcc, 17, v0
	s_waitcnt lgkmcnt(0)
	buffer_store_dword v61, off, s[20:23], 0 offset:952 ; 4-byte Folded Spill
	s_nop 0
	buffer_store_dword v62, off, s[20:23], 0 offset:956 ; 4-byte Folded Spill
	buffer_store_dword v63, off, s[20:23], 0 offset:960 ; 4-byte Folded Spill
	;; [unrolled: 1-line block ×3, first 2 shown]
	s_and_saveexec_b64 s[2:3], vcc
	s_cbranch_execz .LBB87_163
; %bb.162:
	buffer_load_dword v71, off, s[20:23], 0 offset:80 ; 4-byte Folded Reload
	buffer_load_dword v72, off, s[20:23], 0 offset:84 ; 4-byte Folded Reload
	;; [unrolled: 1-line block ×8, first 2 shown]
	s_waitcnt vmcnt(2)
	v_mul_f64 v[99:100], v[61:62], v[73:74]
	s_waitcnt vmcnt(0)
	v_mul_f64 v[97:98], v[63:64], v[73:74]
	v_fma_f64 v[73:74], v[63:64], v[71:72], v[99:100]
	ds_read2_b64 v[99:102], v125 offset0:36 offset1:37
	v_fma_f64 v[97:98], v[61:62], v[71:72], -v[97:98]
	buffer_load_dword v61, off, s[20:23], 0 offset:64 ; 4-byte Folded Reload
	buffer_load_dword v62, off, s[20:23], 0 offset:68 ; 4-byte Folded Reload
	buffer_load_dword v63, off, s[20:23], 0 offset:72 ; 4-byte Folded Reload
	buffer_load_dword v64, off, s[20:23], 0 offset:76 ; 4-byte Folded Reload
	s_waitcnt lgkmcnt(0)
	v_mul_f64 v[103:104], v[101:102], v[73:74]
	v_fma_f64 v[103:104], v[99:100], v[97:98], -v[103:104]
	v_mul_f64 v[99:100], v[99:100], v[73:74]
	v_fma_f64 v[99:100], v[101:102], v[97:98], v[99:100]
	s_waitcnt vmcnt(2)
	v_add_f64 v[61:62], v[61:62], -v[103:104]
	s_waitcnt vmcnt(0)
	v_add_f64 v[63:64], v[63:64], -v[99:100]
	buffer_store_dword v61, off, s[20:23], 0 offset:64 ; 4-byte Folded Spill
	s_nop 0
	buffer_store_dword v62, off, s[20:23], 0 offset:68 ; 4-byte Folded Spill
	buffer_store_dword v63, off, s[20:23], 0 offset:72 ; 4-byte Folded Spill
	;; [unrolled: 1-line block ×3, first 2 shown]
	ds_read2_b64 v[99:102], v125 offset0:38 offset1:39
	buffer_load_dword v61, off, s[20:23], 0 offset:48 ; 4-byte Folded Reload
	buffer_load_dword v62, off, s[20:23], 0 offset:52 ; 4-byte Folded Reload
	buffer_load_dword v63, off, s[20:23], 0 offset:56 ; 4-byte Folded Reload
	buffer_load_dword v64, off, s[20:23], 0 offset:60 ; 4-byte Folded Reload
	s_waitcnt lgkmcnt(0)
	v_mul_f64 v[103:104], v[101:102], v[73:74]
	v_fma_f64 v[103:104], v[99:100], v[97:98], -v[103:104]
	v_mul_f64 v[99:100], v[99:100], v[73:74]
	v_fma_f64 v[99:100], v[101:102], v[97:98], v[99:100]
	s_waitcnt vmcnt(2)
	v_add_f64 v[61:62], v[61:62], -v[103:104]
	s_waitcnt vmcnt(0)
	v_add_f64 v[63:64], v[63:64], -v[99:100]
	buffer_store_dword v61, off, s[20:23], 0 offset:48 ; 4-byte Folded Spill
	s_nop 0
	buffer_store_dword v62, off, s[20:23], 0 offset:52 ; 4-byte Folded Spill
	buffer_store_dword v63, off, s[20:23], 0 offset:56 ; 4-byte Folded Spill
	;; [unrolled: 1-line block ×3, first 2 shown]
	ds_read2_b64 v[99:102], v125 offset0:40 offset1:41
	v_mov_b32_e32 v61, v65
	v_mov_b32_e32 v62, v66
	;; [unrolled: 1-line block ×4, first 2 shown]
	s_waitcnt lgkmcnt(0)
	v_mul_f64 v[103:104], v[101:102], v[73:74]
	v_fma_f64 v[103:104], v[99:100], v[97:98], -v[103:104]
	v_mul_f64 v[99:100], v[99:100], v[73:74]
	v_add_f64 v[117:118], v[117:118], -v[103:104]
	v_fma_f64 v[99:100], v[101:102], v[97:98], v[99:100]
	v_add_f64 v[119:120], v[119:120], -v[99:100]
	ds_read2_b64 v[99:102], v125 offset0:42 offset1:43
	s_waitcnt lgkmcnt(0)
	v_mul_f64 v[103:104], v[101:102], v[73:74]
	v_fma_f64 v[103:104], v[99:100], v[97:98], -v[103:104]
	v_mul_f64 v[99:100], v[99:100], v[73:74]
	v_add_f64 v[121:122], v[121:122], -v[103:104]
	v_fma_f64 v[99:100], v[101:102], v[97:98], v[99:100]
	v_add_f64 v[123:124], v[123:124], -v[99:100]
	ds_read2_b64 v[99:102], v125 offset0:44 offset1:45
	;; [unrolled: 8-line block ×5, first 2 shown]
	buffer_load_dword v69, off, s[20:23], 0 offset:32 ; 4-byte Folded Reload
	buffer_load_dword v70, off, s[20:23], 0 offset:36 ; 4-byte Folded Reload
	;; [unrolled: 1-line block ×4, first 2 shown]
	s_waitcnt lgkmcnt(0)
	v_mul_f64 v[103:104], v[101:102], v[73:74]
	v_fma_f64 v[103:104], v[99:100], v[97:98], -v[103:104]
	v_mul_f64 v[99:100], v[99:100], v[73:74]
	v_fma_f64 v[99:100], v[101:102], v[97:98], v[99:100]
	s_waitcnt vmcnt(2)
	v_add_f64 v[69:70], v[69:70], -v[103:104]
	s_waitcnt vmcnt(0)
	v_add_f64 v[71:72], v[71:72], -v[99:100]
	buffer_store_dword v69, off, s[20:23], 0 offset:32 ; 4-byte Folded Spill
	s_nop 0
	buffer_store_dword v70, off, s[20:23], 0 offset:36 ; 4-byte Folded Spill
	buffer_store_dword v71, off, s[20:23], 0 offset:40 ; 4-byte Folded Spill
	;; [unrolled: 1-line block ×3, first 2 shown]
	ds_read2_b64 v[99:102], v125 offset0:52 offset1:53
	buffer_load_dword v65, off, s[20:23], 0 offset:16 ; 4-byte Folded Reload
	buffer_load_dword v66, off, s[20:23], 0 offset:20 ; 4-byte Folded Reload
	;; [unrolled: 1-line block ×4, first 2 shown]
	v_mov_b32_e32 v71, v97
	v_mov_b32_e32 v72, v98
	s_waitcnt lgkmcnt(0)
	v_mul_f64 v[103:104], v[101:102], v[73:74]
	v_fma_f64 v[103:104], v[99:100], v[97:98], -v[103:104]
	v_mul_f64 v[99:100], v[99:100], v[73:74]
	v_fma_f64 v[99:100], v[101:102], v[97:98], v[99:100]
	s_waitcnt vmcnt(2)
	v_add_f64 v[65:66], v[65:66], -v[103:104]
	s_waitcnt vmcnt(0)
	v_add_f64 v[67:68], v[67:68], -v[99:100]
	buffer_store_dword v65, off, s[20:23], 0 offset:16 ; 4-byte Folded Spill
	s_nop 0
	buffer_store_dword v66, off, s[20:23], 0 offset:20 ; 4-byte Folded Spill
	buffer_store_dword v67, off, s[20:23], 0 offset:24 ; 4-byte Folded Spill
	buffer_store_dword v68, off, s[20:23], 0 offset:28 ; 4-byte Folded Spill
	v_mov_b32_e32 v68, v64
	v_mov_b32_e32 v67, v63
	;; [unrolled: 1-line block ×4, first 2 shown]
	ds_read2_b64 v[99:102], v125 offset0:54 offset1:55
	buffer_load_dword v61, off, s[20:23], 0 ; 4-byte Folded Reload
	buffer_load_dword v62, off, s[20:23], 0 offset:4 ; 4-byte Folded Reload
	buffer_load_dword v63, off, s[20:23], 0 offset:8 ; 4-byte Folded Reload
	;; [unrolled: 1-line block ×3, first 2 shown]
	s_waitcnt lgkmcnt(0)
	v_mul_f64 v[103:104], v[101:102], v[73:74]
	v_fma_f64 v[103:104], v[99:100], v[97:98], -v[103:104]
	v_mul_f64 v[99:100], v[99:100], v[73:74]
	v_fma_f64 v[99:100], v[101:102], v[97:98], v[99:100]
	s_waitcnt vmcnt(2)
	v_add_f64 v[61:62], v[61:62], -v[103:104]
	s_waitcnt vmcnt(0)
	v_add_f64 v[63:64], v[63:64], -v[99:100]
	buffer_store_dword v61, off, s[20:23], 0 ; 4-byte Folded Spill
	s_nop 0
	buffer_store_dword v62, off, s[20:23], 0 offset:4 ; 4-byte Folded Spill
	buffer_store_dword v63, off, s[20:23], 0 offset:8 ; 4-byte Folded Spill
	;; [unrolled: 1-line block ×3, first 2 shown]
	ds_read2_b64 v[99:102], v125 offset0:56 offset1:57
	s_waitcnt lgkmcnt(0)
	v_mul_f64 v[103:104], v[101:102], v[73:74]
	v_fma_f64 v[103:104], v[99:100], v[97:98], -v[103:104]
	v_mul_f64 v[99:100], v[99:100], v[73:74]
	v_add_f64 v[57:58], v[57:58], -v[103:104]
	v_fma_f64 v[99:100], v[101:102], v[97:98], v[99:100]
	v_add_f64 v[59:60], v[59:60], -v[99:100]
	ds_read2_b64 v[99:102], v125 offset0:58 offset1:59
	s_waitcnt lgkmcnt(0)
	v_mul_f64 v[103:104], v[101:102], v[73:74]
	v_fma_f64 v[103:104], v[99:100], v[97:98], -v[103:104]
	v_mul_f64 v[99:100], v[99:100], v[73:74]
	v_add_f64 v[53:54], v[53:54], -v[103:104]
	v_fma_f64 v[99:100], v[101:102], v[97:98], v[99:100]
	v_add_f64 v[55:56], v[55:56], -v[99:100]
	;; [unrolled: 8-line block ×15, first 2 shown]
	ds_read2_b64 v[99:102], v125 offset0:86 offset1:87
	s_waitcnt lgkmcnt(0)
	v_mul_f64 v[103:104], v[101:102], v[73:74]
	v_fma_f64 v[103:104], v[99:100], v[97:98], -v[103:104]
	v_mul_f64 v[99:100], v[99:100], v[73:74]
	buffer_store_dword v71, off, s[20:23], 0 offset:80 ; 4-byte Folded Spill
	s_nop 0
	buffer_store_dword v72, off, s[20:23], 0 offset:84 ; 4-byte Folded Spill
	buffer_store_dword v73, off, s[20:23], 0 offset:88 ; 4-byte Folded Spill
	buffer_store_dword v74, off, s[20:23], 0 offset:92 ; 4-byte Folded Spill
	v_add_f64 v[65:66], v[65:66], -v[103:104]
	v_fma_f64 v[99:100], v[101:102], v[97:98], v[99:100]
	v_add_f64 v[67:68], v[67:68], -v[99:100]
.LBB87_163:
	s_or_b64 exec, exec, s[2:3]
	v_cmp_eq_u32_e32 vcc, 18, v0
	s_waitcnt vmcnt(0)
	s_barrier
	s_and_saveexec_b64 s[4:5], vcc
	s_cbranch_execz .LBB87_170
; %bb.164:
	buffer_load_dword v61, off, s[20:23], 0 offset:64 ; 4-byte Folded Reload
	buffer_load_dword v62, off, s[20:23], 0 offset:68 ; 4-byte Folded Reload
	;; [unrolled: 1-line block ×4, first 2 shown]
	s_waitcnt vmcnt(0)
	ds_write2_b64 v127, v[61:62], v[63:64] offset1:1
	buffer_load_dword v61, off, s[20:23], 0 offset:48 ; 4-byte Folded Reload
	buffer_load_dword v62, off, s[20:23], 0 offset:52 ; 4-byte Folded Reload
	;; [unrolled: 1-line block ×4, first 2 shown]
	s_waitcnt vmcnt(0)
	ds_write2_b64 v125, v[61:62], v[63:64] offset0:38 offset1:39
	ds_write2_b64 v125, v[117:118], v[119:120] offset0:40 offset1:41
	;; [unrolled: 1-line block ×6, first 2 shown]
	buffer_load_dword v69, off, s[20:23], 0 offset:32 ; 4-byte Folded Reload
	buffer_load_dword v70, off, s[20:23], 0 offset:36 ; 4-byte Folded Reload
	;; [unrolled: 1-line block ×4, first 2 shown]
	v_mov_b32_e32 v61, v65
	v_mov_b32_e32 v62, v66
	;; [unrolled: 1-line block ×4, first 2 shown]
	s_waitcnt vmcnt(0)
	ds_write2_b64 v125, v[69:70], v[71:72] offset0:50 offset1:51
	buffer_load_dword v65, off, s[20:23], 0 offset:16 ; 4-byte Folded Reload
	buffer_load_dword v66, off, s[20:23], 0 offset:20 ; 4-byte Folded Reload
	;; [unrolled: 1-line block ×4, first 2 shown]
	s_waitcnt vmcnt(0)
	ds_write2_b64 v125, v[65:66], v[67:68] offset0:52 offset1:53
	v_mov_b32_e32 v68, v64
	v_mov_b32_e32 v67, v63
	;; [unrolled: 1-line block ×4, first 2 shown]
	buffer_load_dword v61, off, s[20:23], 0 ; 4-byte Folded Reload
	buffer_load_dword v62, off, s[20:23], 0 offset:4 ; 4-byte Folded Reload
	buffer_load_dword v63, off, s[20:23], 0 offset:8 ; 4-byte Folded Reload
	;; [unrolled: 1-line block ×3, first 2 shown]
	s_waitcnt vmcnt(0)
	ds_write2_b64 v125, v[61:62], v[63:64] offset0:54 offset1:55
	ds_write2_b64 v125, v[57:58], v[59:60] offset0:56 offset1:57
	;; [unrolled: 1-line block ×17, first 2 shown]
	ds_read2_b64 v[97:100], v127 offset1:1
	s_waitcnt lgkmcnt(0)
	v_cmp_neq_f64_e32 vcc, 0, v[97:98]
	v_cmp_neq_f64_e64 s[2:3], 0, v[99:100]
	s_or_b64 s[2:3], vcc, s[2:3]
	s_and_b64 exec, exec, s[2:3]
	s_cbranch_execz .LBB87_170
; %bb.165:
	v_cmp_ngt_f64_e64 s[2:3], |v[97:98]|, |v[99:100]|
                                        ; implicit-def: $vgpr101_vgpr102
	s_and_saveexec_b64 s[6:7], s[2:3]
	s_xor_b64 s[2:3], exec, s[6:7]
                                        ; implicit-def: $vgpr103_vgpr104
	s_cbranch_execz .LBB87_167
; %bb.166:
	v_div_scale_f64 v[101:102], s[6:7], v[99:100], v[99:100], v[97:98]
	v_rcp_f64_e32 v[103:104], v[101:102]
	v_fma_f64 v[105:106], -v[101:102], v[103:104], 1.0
	v_fma_f64 v[103:104], v[103:104], v[105:106], v[103:104]
	v_div_scale_f64 v[105:106], vcc, v[97:98], v[99:100], v[97:98]
	v_fma_f64 v[107:108], -v[101:102], v[103:104], 1.0
	v_fma_f64 v[103:104], v[103:104], v[107:108], v[103:104]
	v_mul_f64 v[107:108], v[105:106], v[103:104]
	v_fma_f64 v[101:102], -v[101:102], v[107:108], v[105:106]
	v_div_fmas_f64 v[101:102], v[101:102], v[103:104], v[107:108]
	v_div_fixup_f64 v[101:102], v[101:102], v[99:100], v[97:98]
	v_fma_f64 v[97:98], v[97:98], v[101:102], v[99:100]
	v_div_scale_f64 v[99:100], s[6:7], v[97:98], v[97:98], 1.0
	v_div_scale_f64 v[107:108], vcc, 1.0, v[97:98], 1.0
	v_rcp_f64_e32 v[103:104], v[99:100]
	v_fma_f64 v[105:106], -v[99:100], v[103:104], 1.0
	v_fma_f64 v[103:104], v[103:104], v[105:106], v[103:104]
	v_fma_f64 v[105:106], -v[99:100], v[103:104], 1.0
	v_fma_f64 v[103:104], v[103:104], v[105:106], v[103:104]
	v_mul_f64 v[105:106], v[107:108], v[103:104]
	v_fma_f64 v[99:100], -v[99:100], v[105:106], v[107:108]
	v_div_fmas_f64 v[99:100], v[99:100], v[103:104], v[105:106]
	v_div_fixup_f64 v[103:104], v[99:100], v[97:98], 1.0
                                        ; implicit-def: $vgpr97_vgpr98
	v_mul_f64 v[101:102], v[101:102], v[103:104]
	v_xor_b32_e32 v104, 0x80000000, v104
.LBB87_167:
	s_andn2_saveexec_b64 s[2:3], s[2:3]
	s_cbranch_execz .LBB87_169
; %bb.168:
	v_div_scale_f64 v[101:102], s[6:7], v[97:98], v[97:98], v[99:100]
	v_rcp_f64_e32 v[103:104], v[101:102]
	v_fma_f64 v[105:106], -v[101:102], v[103:104], 1.0
	v_fma_f64 v[103:104], v[103:104], v[105:106], v[103:104]
	v_div_scale_f64 v[105:106], vcc, v[99:100], v[97:98], v[99:100]
	v_fma_f64 v[107:108], -v[101:102], v[103:104], 1.0
	v_fma_f64 v[103:104], v[103:104], v[107:108], v[103:104]
	v_mul_f64 v[107:108], v[105:106], v[103:104]
	v_fma_f64 v[101:102], -v[101:102], v[107:108], v[105:106]
	v_div_fmas_f64 v[101:102], v[101:102], v[103:104], v[107:108]
	v_div_fixup_f64 v[103:104], v[101:102], v[97:98], v[99:100]
	v_fma_f64 v[97:98], v[99:100], v[103:104], v[97:98]
	v_div_scale_f64 v[99:100], s[6:7], v[97:98], v[97:98], 1.0
	v_div_scale_f64 v[107:108], vcc, 1.0, v[97:98], 1.0
	v_rcp_f64_e32 v[101:102], v[99:100]
	v_fma_f64 v[105:106], -v[99:100], v[101:102], 1.0
	v_fma_f64 v[101:102], v[101:102], v[105:106], v[101:102]
	v_fma_f64 v[105:106], -v[99:100], v[101:102], 1.0
	v_fma_f64 v[101:102], v[101:102], v[105:106], v[101:102]
	v_mul_f64 v[105:106], v[107:108], v[101:102]
	v_fma_f64 v[99:100], -v[99:100], v[105:106], v[107:108]
	v_div_fmas_f64 v[99:100], v[99:100], v[101:102], v[105:106]
	v_div_fixup_f64 v[101:102], v[99:100], v[97:98], 1.0
	v_mul_f64 v[103:104], v[103:104], -v[101:102]
.LBB87_169:
	s_or_b64 exec, exec, s[2:3]
	ds_write2_b64 v127, v[101:102], v[103:104] offset1:1
.LBB87_170:
	s_or_b64 exec, exec, s[4:5]
	s_waitcnt lgkmcnt(0)
	s_barrier
	ds_read2_b64 v[61:64], v127 offset1:1
	v_cmp_lt_u32_e32 vcc, 18, v0
	s_waitcnt lgkmcnt(0)
	buffer_store_dword v61, off, s[20:23], 0 offset:968 ; 4-byte Folded Spill
	s_nop 0
	buffer_store_dword v62, off, s[20:23], 0 offset:972 ; 4-byte Folded Spill
	buffer_store_dword v63, off, s[20:23], 0 offset:976 ; 4-byte Folded Spill
	;; [unrolled: 1-line block ×3, first 2 shown]
	s_and_saveexec_b64 s[2:3], vcc
	s_cbranch_execz .LBB87_172
; %bb.171:
	buffer_load_dword v71, off, s[20:23], 0 offset:64 ; 4-byte Folded Reload
	buffer_load_dword v72, off, s[20:23], 0 offset:68 ; 4-byte Folded Reload
	;; [unrolled: 1-line block ×8, first 2 shown]
	s_waitcnt vmcnt(2)
	v_mul_f64 v[99:100], v[61:62], v[73:74]
	s_waitcnt vmcnt(0)
	v_mul_f64 v[97:98], v[63:64], v[73:74]
	v_fma_f64 v[73:74], v[63:64], v[71:72], v[99:100]
	ds_read2_b64 v[99:102], v125 offset0:38 offset1:39
	v_fma_f64 v[97:98], v[61:62], v[71:72], -v[97:98]
	buffer_load_dword v61, off, s[20:23], 0 offset:48 ; 4-byte Folded Reload
	buffer_load_dword v62, off, s[20:23], 0 offset:52 ; 4-byte Folded Reload
	;; [unrolled: 1-line block ×4, first 2 shown]
	s_waitcnt lgkmcnt(0)
	v_mul_f64 v[103:104], v[101:102], v[73:74]
	v_fma_f64 v[103:104], v[99:100], v[97:98], -v[103:104]
	v_mul_f64 v[99:100], v[99:100], v[73:74]
	v_fma_f64 v[99:100], v[101:102], v[97:98], v[99:100]
	s_waitcnt vmcnt(2)
	v_add_f64 v[61:62], v[61:62], -v[103:104]
	s_waitcnt vmcnt(0)
	v_add_f64 v[63:64], v[63:64], -v[99:100]
	buffer_store_dword v61, off, s[20:23], 0 offset:48 ; 4-byte Folded Spill
	s_nop 0
	buffer_store_dword v62, off, s[20:23], 0 offset:52 ; 4-byte Folded Spill
	buffer_store_dword v63, off, s[20:23], 0 offset:56 ; 4-byte Folded Spill
	;; [unrolled: 1-line block ×3, first 2 shown]
	ds_read2_b64 v[99:102], v125 offset0:40 offset1:41
	v_mov_b32_e32 v61, v65
	v_mov_b32_e32 v62, v66
	;; [unrolled: 1-line block ×4, first 2 shown]
	s_waitcnt lgkmcnt(0)
	v_mul_f64 v[103:104], v[101:102], v[73:74]
	v_fma_f64 v[103:104], v[99:100], v[97:98], -v[103:104]
	v_mul_f64 v[99:100], v[99:100], v[73:74]
	v_add_f64 v[117:118], v[117:118], -v[103:104]
	v_fma_f64 v[99:100], v[101:102], v[97:98], v[99:100]
	v_add_f64 v[119:120], v[119:120], -v[99:100]
	ds_read2_b64 v[99:102], v125 offset0:42 offset1:43
	s_waitcnt lgkmcnt(0)
	v_mul_f64 v[103:104], v[101:102], v[73:74]
	v_fma_f64 v[103:104], v[99:100], v[97:98], -v[103:104]
	v_mul_f64 v[99:100], v[99:100], v[73:74]
	v_add_f64 v[121:122], v[121:122], -v[103:104]
	v_fma_f64 v[99:100], v[101:102], v[97:98], v[99:100]
	v_add_f64 v[123:124], v[123:124], -v[99:100]
	ds_read2_b64 v[99:102], v125 offset0:44 offset1:45
	;; [unrolled: 8-line block ×5, first 2 shown]
	buffer_load_dword v69, off, s[20:23], 0 offset:32 ; 4-byte Folded Reload
	buffer_load_dword v70, off, s[20:23], 0 offset:36 ; 4-byte Folded Reload
	buffer_load_dword v71, off, s[20:23], 0 offset:40 ; 4-byte Folded Reload
	buffer_load_dword v72, off, s[20:23], 0 offset:44 ; 4-byte Folded Reload
	s_waitcnt lgkmcnt(0)
	v_mul_f64 v[103:104], v[101:102], v[73:74]
	v_fma_f64 v[103:104], v[99:100], v[97:98], -v[103:104]
	v_mul_f64 v[99:100], v[99:100], v[73:74]
	v_fma_f64 v[99:100], v[101:102], v[97:98], v[99:100]
	s_waitcnt vmcnt(2)
	v_add_f64 v[69:70], v[69:70], -v[103:104]
	s_waitcnt vmcnt(0)
	v_add_f64 v[71:72], v[71:72], -v[99:100]
	buffer_store_dword v69, off, s[20:23], 0 offset:32 ; 4-byte Folded Spill
	s_nop 0
	buffer_store_dword v70, off, s[20:23], 0 offset:36 ; 4-byte Folded Spill
	buffer_store_dword v71, off, s[20:23], 0 offset:40 ; 4-byte Folded Spill
	;; [unrolled: 1-line block ×3, first 2 shown]
	ds_read2_b64 v[99:102], v125 offset0:52 offset1:53
	buffer_load_dword v65, off, s[20:23], 0 offset:16 ; 4-byte Folded Reload
	buffer_load_dword v66, off, s[20:23], 0 offset:20 ; 4-byte Folded Reload
	;; [unrolled: 1-line block ×4, first 2 shown]
	v_mov_b32_e32 v71, v97
	v_mov_b32_e32 v72, v98
	s_waitcnt lgkmcnt(0)
	v_mul_f64 v[103:104], v[101:102], v[73:74]
	v_fma_f64 v[103:104], v[99:100], v[97:98], -v[103:104]
	v_mul_f64 v[99:100], v[99:100], v[73:74]
	v_fma_f64 v[99:100], v[101:102], v[97:98], v[99:100]
	s_waitcnt vmcnt(2)
	v_add_f64 v[65:66], v[65:66], -v[103:104]
	s_waitcnt vmcnt(0)
	v_add_f64 v[67:68], v[67:68], -v[99:100]
	buffer_store_dword v65, off, s[20:23], 0 offset:16 ; 4-byte Folded Spill
	s_nop 0
	buffer_store_dword v66, off, s[20:23], 0 offset:20 ; 4-byte Folded Spill
	buffer_store_dword v67, off, s[20:23], 0 offset:24 ; 4-byte Folded Spill
	buffer_store_dword v68, off, s[20:23], 0 offset:28 ; 4-byte Folded Spill
	v_mov_b32_e32 v68, v64
	v_mov_b32_e32 v67, v63
	;; [unrolled: 1-line block ×4, first 2 shown]
	ds_read2_b64 v[99:102], v125 offset0:54 offset1:55
	buffer_load_dword v61, off, s[20:23], 0 ; 4-byte Folded Reload
	buffer_load_dword v62, off, s[20:23], 0 offset:4 ; 4-byte Folded Reload
	buffer_load_dword v63, off, s[20:23], 0 offset:8 ; 4-byte Folded Reload
	;; [unrolled: 1-line block ×3, first 2 shown]
	s_waitcnt lgkmcnt(0)
	v_mul_f64 v[103:104], v[101:102], v[73:74]
	v_fma_f64 v[103:104], v[99:100], v[97:98], -v[103:104]
	v_mul_f64 v[99:100], v[99:100], v[73:74]
	v_fma_f64 v[99:100], v[101:102], v[97:98], v[99:100]
	s_waitcnt vmcnt(2)
	v_add_f64 v[61:62], v[61:62], -v[103:104]
	s_waitcnt vmcnt(0)
	v_add_f64 v[63:64], v[63:64], -v[99:100]
	buffer_store_dword v61, off, s[20:23], 0 ; 4-byte Folded Spill
	s_nop 0
	buffer_store_dword v62, off, s[20:23], 0 offset:4 ; 4-byte Folded Spill
	buffer_store_dword v63, off, s[20:23], 0 offset:8 ; 4-byte Folded Spill
	;; [unrolled: 1-line block ×3, first 2 shown]
	ds_read2_b64 v[99:102], v125 offset0:56 offset1:57
	s_waitcnt lgkmcnt(0)
	v_mul_f64 v[103:104], v[101:102], v[73:74]
	v_fma_f64 v[103:104], v[99:100], v[97:98], -v[103:104]
	v_mul_f64 v[99:100], v[99:100], v[73:74]
	v_add_f64 v[57:58], v[57:58], -v[103:104]
	v_fma_f64 v[99:100], v[101:102], v[97:98], v[99:100]
	v_add_f64 v[59:60], v[59:60], -v[99:100]
	ds_read2_b64 v[99:102], v125 offset0:58 offset1:59
	s_waitcnt lgkmcnt(0)
	v_mul_f64 v[103:104], v[101:102], v[73:74]
	v_fma_f64 v[103:104], v[99:100], v[97:98], -v[103:104]
	v_mul_f64 v[99:100], v[99:100], v[73:74]
	v_add_f64 v[53:54], v[53:54], -v[103:104]
	v_fma_f64 v[99:100], v[101:102], v[97:98], v[99:100]
	v_add_f64 v[55:56], v[55:56], -v[99:100]
	;; [unrolled: 8-line block ×15, first 2 shown]
	ds_read2_b64 v[99:102], v125 offset0:86 offset1:87
	s_waitcnt lgkmcnt(0)
	v_mul_f64 v[103:104], v[101:102], v[73:74]
	v_fma_f64 v[103:104], v[99:100], v[97:98], -v[103:104]
	v_mul_f64 v[99:100], v[99:100], v[73:74]
	buffer_store_dword v71, off, s[20:23], 0 offset:64 ; 4-byte Folded Spill
	s_nop 0
	buffer_store_dword v72, off, s[20:23], 0 offset:68 ; 4-byte Folded Spill
	buffer_store_dword v73, off, s[20:23], 0 offset:72 ; 4-byte Folded Spill
	buffer_store_dword v74, off, s[20:23], 0 offset:76 ; 4-byte Folded Spill
	v_add_f64 v[65:66], v[65:66], -v[103:104]
	v_fma_f64 v[99:100], v[101:102], v[97:98], v[99:100]
	v_add_f64 v[67:68], v[67:68], -v[99:100]
.LBB87_172:
	s_or_b64 exec, exec, s[2:3]
	v_cmp_eq_u32_e32 vcc, 19, v0
	s_waitcnt vmcnt(0)
	s_barrier
	s_and_saveexec_b64 s[4:5], vcc
	s_cbranch_execz .LBB87_179
; %bb.173:
	buffer_load_dword v61, off, s[20:23], 0 offset:48 ; 4-byte Folded Reload
	buffer_load_dword v62, off, s[20:23], 0 offset:52 ; 4-byte Folded Reload
	;; [unrolled: 1-line block ×4, first 2 shown]
	s_waitcnt vmcnt(0)
	ds_write2_b64 v127, v[61:62], v[63:64] offset1:1
	ds_write2_b64 v125, v[117:118], v[119:120] offset0:40 offset1:41
	ds_write2_b64 v125, v[121:122], v[123:124] offset0:42 offset1:43
	;; [unrolled: 1-line block ×5, first 2 shown]
	buffer_load_dword v69, off, s[20:23], 0 offset:32 ; 4-byte Folded Reload
	buffer_load_dword v70, off, s[20:23], 0 offset:36 ; 4-byte Folded Reload
	;; [unrolled: 1-line block ×4, first 2 shown]
	v_mov_b32_e32 v61, v65
	v_mov_b32_e32 v62, v66
	;; [unrolled: 1-line block ×4, first 2 shown]
	s_waitcnt vmcnt(0)
	ds_write2_b64 v125, v[69:70], v[71:72] offset0:50 offset1:51
	buffer_load_dword v65, off, s[20:23], 0 offset:16 ; 4-byte Folded Reload
	buffer_load_dword v66, off, s[20:23], 0 offset:20 ; 4-byte Folded Reload
	;; [unrolled: 1-line block ×4, first 2 shown]
	s_waitcnt vmcnt(0)
	ds_write2_b64 v125, v[65:66], v[67:68] offset0:52 offset1:53
	v_mov_b32_e32 v68, v64
	v_mov_b32_e32 v67, v63
	;; [unrolled: 1-line block ×4, first 2 shown]
	buffer_load_dword v61, off, s[20:23], 0 ; 4-byte Folded Reload
	buffer_load_dword v62, off, s[20:23], 0 offset:4 ; 4-byte Folded Reload
	buffer_load_dword v63, off, s[20:23], 0 offset:8 ; 4-byte Folded Reload
	;; [unrolled: 1-line block ×3, first 2 shown]
	s_waitcnt vmcnt(0)
	ds_write2_b64 v125, v[61:62], v[63:64] offset0:54 offset1:55
	ds_write2_b64 v125, v[57:58], v[59:60] offset0:56 offset1:57
	ds_write2_b64 v125, v[53:54], v[55:56] offset0:58 offset1:59
	ds_write2_b64 v125, v[49:50], v[51:52] offset0:60 offset1:61
	ds_write2_b64 v125, v[45:46], v[47:48] offset0:62 offset1:63
	ds_write2_b64 v125, v[41:42], v[43:44] offset0:64 offset1:65
	ds_write2_b64 v125, v[37:38], v[39:40] offset0:66 offset1:67
	ds_write2_b64 v125, v[33:34], v[35:36] offset0:68 offset1:69
	ds_write2_b64 v125, v[29:30], v[31:32] offset0:70 offset1:71
	ds_write2_b64 v125, v[25:26], v[27:28] offset0:72 offset1:73
	ds_write2_b64 v125, v[21:22], v[23:24] offset0:74 offset1:75
	ds_write2_b64 v125, v[17:18], v[19:20] offset0:76 offset1:77
	ds_write2_b64 v125, v[13:14], v[15:16] offset0:78 offset1:79
	ds_write2_b64 v125, v[9:10], v[11:12] offset0:80 offset1:81
	ds_write2_b64 v125, v[5:6], v[7:8] offset0:82 offset1:83
	ds_write2_b64 v125, v[1:2], v[3:4] offset0:84 offset1:85
	ds_write2_b64 v125, v[65:66], v[67:68] offset0:86 offset1:87
	ds_read2_b64 v[97:100], v127 offset1:1
	s_waitcnt lgkmcnt(0)
	v_cmp_neq_f64_e32 vcc, 0, v[97:98]
	v_cmp_neq_f64_e64 s[2:3], 0, v[99:100]
	s_or_b64 s[2:3], vcc, s[2:3]
	s_and_b64 exec, exec, s[2:3]
	s_cbranch_execz .LBB87_179
; %bb.174:
	v_cmp_ngt_f64_e64 s[2:3], |v[97:98]|, |v[99:100]|
                                        ; implicit-def: $vgpr101_vgpr102
	s_and_saveexec_b64 s[6:7], s[2:3]
	s_xor_b64 s[2:3], exec, s[6:7]
                                        ; implicit-def: $vgpr103_vgpr104
	s_cbranch_execz .LBB87_176
; %bb.175:
	v_div_scale_f64 v[101:102], s[6:7], v[99:100], v[99:100], v[97:98]
	v_rcp_f64_e32 v[103:104], v[101:102]
	v_fma_f64 v[105:106], -v[101:102], v[103:104], 1.0
	v_fma_f64 v[103:104], v[103:104], v[105:106], v[103:104]
	v_div_scale_f64 v[105:106], vcc, v[97:98], v[99:100], v[97:98]
	v_fma_f64 v[107:108], -v[101:102], v[103:104], 1.0
	v_fma_f64 v[103:104], v[103:104], v[107:108], v[103:104]
	v_mul_f64 v[107:108], v[105:106], v[103:104]
	v_fma_f64 v[101:102], -v[101:102], v[107:108], v[105:106]
	v_div_fmas_f64 v[101:102], v[101:102], v[103:104], v[107:108]
	v_div_fixup_f64 v[101:102], v[101:102], v[99:100], v[97:98]
	v_fma_f64 v[97:98], v[97:98], v[101:102], v[99:100]
	v_div_scale_f64 v[99:100], s[6:7], v[97:98], v[97:98], 1.0
	v_div_scale_f64 v[107:108], vcc, 1.0, v[97:98], 1.0
	v_rcp_f64_e32 v[103:104], v[99:100]
	v_fma_f64 v[105:106], -v[99:100], v[103:104], 1.0
	v_fma_f64 v[103:104], v[103:104], v[105:106], v[103:104]
	v_fma_f64 v[105:106], -v[99:100], v[103:104], 1.0
	v_fma_f64 v[103:104], v[103:104], v[105:106], v[103:104]
	v_mul_f64 v[105:106], v[107:108], v[103:104]
	v_fma_f64 v[99:100], -v[99:100], v[105:106], v[107:108]
	v_div_fmas_f64 v[99:100], v[99:100], v[103:104], v[105:106]
	v_div_fixup_f64 v[103:104], v[99:100], v[97:98], 1.0
                                        ; implicit-def: $vgpr97_vgpr98
	v_mul_f64 v[101:102], v[101:102], v[103:104]
	v_xor_b32_e32 v104, 0x80000000, v104
.LBB87_176:
	s_andn2_saveexec_b64 s[2:3], s[2:3]
	s_cbranch_execz .LBB87_178
; %bb.177:
	v_div_scale_f64 v[101:102], s[6:7], v[97:98], v[97:98], v[99:100]
	v_rcp_f64_e32 v[103:104], v[101:102]
	v_fma_f64 v[105:106], -v[101:102], v[103:104], 1.0
	v_fma_f64 v[103:104], v[103:104], v[105:106], v[103:104]
	v_div_scale_f64 v[105:106], vcc, v[99:100], v[97:98], v[99:100]
	v_fma_f64 v[107:108], -v[101:102], v[103:104], 1.0
	v_fma_f64 v[103:104], v[103:104], v[107:108], v[103:104]
	v_mul_f64 v[107:108], v[105:106], v[103:104]
	v_fma_f64 v[101:102], -v[101:102], v[107:108], v[105:106]
	v_div_fmas_f64 v[101:102], v[101:102], v[103:104], v[107:108]
	v_div_fixup_f64 v[103:104], v[101:102], v[97:98], v[99:100]
	v_fma_f64 v[97:98], v[99:100], v[103:104], v[97:98]
	v_div_scale_f64 v[99:100], s[6:7], v[97:98], v[97:98], 1.0
	v_div_scale_f64 v[107:108], vcc, 1.0, v[97:98], 1.0
	v_rcp_f64_e32 v[101:102], v[99:100]
	v_fma_f64 v[105:106], -v[99:100], v[101:102], 1.0
	v_fma_f64 v[101:102], v[101:102], v[105:106], v[101:102]
	v_fma_f64 v[105:106], -v[99:100], v[101:102], 1.0
	v_fma_f64 v[101:102], v[101:102], v[105:106], v[101:102]
	v_mul_f64 v[105:106], v[107:108], v[101:102]
	v_fma_f64 v[99:100], -v[99:100], v[105:106], v[107:108]
	v_div_fmas_f64 v[99:100], v[99:100], v[101:102], v[105:106]
	v_div_fixup_f64 v[101:102], v[99:100], v[97:98], 1.0
	v_mul_f64 v[103:104], v[103:104], -v[101:102]
.LBB87_178:
	s_or_b64 exec, exec, s[2:3]
	ds_write2_b64 v127, v[101:102], v[103:104] offset1:1
.LBB87_179:
	s_or_b64 exec, exec, s[4:5]
	s_waitcnt lgkmcnt(0)
	s_barrier
	ds_read2_b64 v[61:64], v127 offset1:1
	v_cmp_lt_u32_e32 vcc, 19, v0
	s_waitcnt lgkmcnt(0)
	buffer_store_dword v61, off, s[20:23], 0 offset:984 ; 4-byte Folded Spill
	s_nop 0
	buffer_store_dword v62, off, s[20:23], 0 offset:988 ; 4-byte Folded Spill
	buffer_store_dword v63, off, s[20:23], 0 offset:992 ; 4-byte Folded Spill
	;; [unrolled: 1-line block ×3, first 2 shown]
	s_and_saveexec_b64 s[2:3], vcc
	s_cbranch_execz .LBB87_181
; %bb.180:
	buffer_load_dword v71, off, s[20:23], 0 offset:48 ; 4-byte Folded Reload
	buffer_load_dword v72, off, s[20:23], 0 offset:52 ; 4-byte Folded Reload
	;; [unrolled: 1-line block ×8, first 2 shown]
	v_mov_b32_e32 v106, v96
	v_mov_b32_e32 v105, v95
	;; [unrolled: 1-line block ×4, first 2 shown]
	ds_read2_b64 v[99:102], v125 offset0:40 offset1:41
	s_waitcnt vmcnt(2)
	v_mul_f64 v[95:96], v[61:62], v[73:74]
	s_waitcnt vmcnt(0)
	v_mul_f64 v[97:98], v[63:64], v[73:74]
	v_fma_f64 v[73:74], v[63:64], v[71:72], v[95:96]
	v_fma_f64 v[97:98], v[61:62], v[71:72], -v[97:98]
	v_mov_b32_e32 v61, v65
	v_mov_b32_e32 v62, v66
	;; [unrolled: 1-line block ×4, first 2 shown]
	s_waitcnt lgkmcnt(0)
	v_mul_f64 v[93:94], v[101:102], v[73:74]
	v_fma_f64 v[93:94], v[99:100], v[97:98], -v[93:94]
	v_mul_f64 v[99:100], v[99:100], v[73:74]
	v_add_f64 v[117:118], v[117:118], -v[93:94]
	v_fma_f64 v[99:100], v[101:102], v[97:98], v[99:100]
	v_add_f64 v[119:120], v[119:120], -v[99:100]
	ds_read2_b64 v[99:102], v125 offset0:42 offset1:43
	s_waitcnt lgkmcnt(0)
	v_mul_f64 v[93:94], v[101:102], v[73:74]
	v_fma_f64 v[93:94], v[99:100], v[97:98], -v[93:94]
	v_mul_f64 v[99:100], v[99:100], v[73:74]
	v_add_f64 v[121:122], v[121:122], -v[93:94]
	v_fma_f64 v[99:100], v[101:102], v[97:98], v[99:100]
	v_add_f64 v[123:124], v[123:124], -v[99:100]
	ds_read2_b64 v[99:102], v125 offset0:44 offset1:45
	;; [unrolled: 8-line block ×5, first 2 shown]
	buffer_load_dword v69, off, s[20:23], 0 offset:32 ; 4-byte Folded Reload
	buffer_load_dword v70, off, s[20:23], 0 offset:36 ; 4-byte Folded Reload
	;; [unrolled: 1-line block ×4, first 2 shown]
	s_waitcnt lgkmcnt(0)
	v_mul_f64 v[93:94], v[101:102], v[73:74]
	v_fma_f64 v[93:94], v[99:100], v[97:98], -v[93:94]
	v_mul_f64 v[99:100], v[99:100], v[73:74]
	v_fma_f64 v[99:100], v[101:102], v[97:98], v[99:100]
	s_waitcnt vmcnt(2)
	v_add_f64 v[69:70], v[69:70], -v[93:94]
	s_waitcnt vmcnt(0)
	v_add_f64 v[71:72], v[71:72], -v[99:100]
	buffer_store_dword v69, off, s[20:23], 0 offset:32 ; 4-byte Folded Spill
	s_nop 0
	buffer_store_dword v70, off, s[20:23], 0 offset:36 ; 4-byte Folded Spill
	buffer_store_dword v71, off, s[20:23], 0 offset:40 ; 4-byte Folded Spill
	;; [unrolled: 1-line block ×3, first 2 shown]
	ds_read2_b64 v[99:102], v125 offset0:52 offset1:53
	buffer_load_dword v65, off, s[20:23], 0 offset:16 ; 4-byte Folded Reload
	buffer_load_dword v66, off, s[20:23], 0 offset:20 ; 4-byte Folded Reload
	;; [unrolled: 1-line block ×4, first 2 shown]
	v_mov_b32_e32 v71, v97
	v_mov_b32_e32 v72, v98
	s_waitcnt lgkmcnt(0)
	v_mul_f64 v[93:94], v[101:102], v[73:74]
	v_fma_f64 v[93:94], v[99:100], v[97:98], -v[93:94]
	v_mul_f64 v[99:100], v[99:100], v[73:74]
	v_fma_f64 v[99:100], v[101:102], v[97:98], v[99:100]
	s_waitcnt vmcnt(2)
	v_add_f64 v[65:66], v[65:66], -v[93:94]
	s_waitcnt vmcnt(0)
	v_add_f64 v[67:68], v[67:68], -v[99:100]
	buffer_store_dword v65, off, s[20:23], 0 offset:16 ; 4-byte Folded Spill
	s_nop 0
	buffer_store_dword v66, off, s[20:23], 0 offset:20 ; 4-byte Folded Spill
	buffer_store_dword v67, off, s[20:23], 0 offset:24 ; 4-byte Folded Spill
	;; [unrolled: 1-line block ×3, first 2 shown]
	v_mov_b32_e32 v68, v64
	v_mov_b32_e32 v67, v63
	;; [unrolled: 1-line block ×4, first 2 shown]
	ds_read2_b64 v[99:102], v125 offset0:54 offset1:55
	buffer_load_dword v61, off, s[20:23], 0 ; 4-byte Folded Reload
	buffer_load_dword v62, off, s[20:23], 0 offset:4 ; 4-byte Folded Reload
	buffer_load_dword v63, off, s[20:23], 0 offset:8 ; 4-byte Folded Reload
	;; [unrolled: 1-line block ×3, first 2 shown]
	s_waitcnt lgkmcnt(0)
	v_mul_f64 v[93:94], v[101:102], v[73:74]
	v_fma_f64 v[93:94], v[99:100], v[97:98], -v[93:94]
	v_mul_f64 v[99:100], v[99:100], v[73:74]
	v_fma_f64 v[99:100], v[101:102], v[97:98], v[99:100]
	s_waitcnt vmcnt(2)
	v_add_f64 v[61:62], v[61:62], -v[93:94]
	s_waitcnt vmcnt(0)
	v_add_f64 v[63:64], v[63:64], -v[99:100]
	buffer_store_dword v61, off, s[20:23], 0 ; 4-byte Folded Spill
	s_nop 0
	buffer_store_dword v62, off, s[20:23], 0 offset:4 ; 4-byte Folded Spill
	buffer_store_dword v63, off, s[20:23], 0 offset:8 ; 4-byte Folded Spill
	;; [unrolled: 1-line block ×3, first 2 shown]
	ds_read2_b64 v[99:102], v125 offset0:56 offset1:57
	s_waitcnt lgkmcnt(0)
	v_mul_f64 v[93:94], v[101:102], v[73:74]
	v_fma_f64 v[93:94], v[99:100], v[97:98], -v[93:94]
	v_mul_f64 v[99:100], v[99:100], v[73:74]
	v_add_f64 v[57:58], v[57:58], -v[93:94]
	v_fma_f64 v[99:100], v[101:102], v[97:98], v[99:100]
	v_add_f64 v[59:60], v[59:60], -v[99:100]
	ds_read2_b64 v[99:102], v125 offset0:58 offset1:59
	s_waitcnt lgkmcnt(0)
	v_mul_f64 v[93:94], v[101:102], v[73:74]
	v_fma_f64 v[93:94], v[99:100], v[97:98], -v[93:94]
	v_mul_f64 v[99:100], v[99:100], v[73:74]
	v_add_f64 v[53:54], v[53:54], -v[93:94]
	v_fma_f64 v[99:100], v[101:102], v[97:98], v[99:100]
	v_add_f64 v[55:56], v[55:56], -v[99:100]
	;; [unrolled: 8-line block ×15, first 2 shown]
	ds_read2_b64 v[99:102], v125 offset0:86 offset1:87
	s_waitcnt lgkmcnt(0)
	v_mul_f64 v[93:94], v[101:102], v[73:74]
	v_fma_f64 v[93:94], v[99:100], v[97:98], -v[93:94]
	v_mul_f64 v[99:100], v[99:100], v[73:74]
	buffer_store_dword v71, off, s[20:23], 0 offset:48 ; 4-byte Folded Spill
	s_nop 0
	buffer_store_dword v72, off, s[20:23], 0 offset:52 ; 4-byte Folded Spill
	buffer_store_dword v73, off, s[20:23], 0 offset:56 ; 4-byte Folded Spill
	;; [unrolled: 1-line block ×3, first 2 shown]
	v_add_f64 v[65:66], v[65:66], -v[93:94]
	v_fma_f64 v[99:100], v[101:102], v[97:98], v[99:100]
	v_mov_b32_e32 v93, v103
	v_mov_b32_e32 v94, v104
	;; [unrolled: 1-line block ×4, first 2 shown]
	v_add_f64 v[67:68], v[67:68], -v[99:100]
.LBB87_181:
	s_or_b64 exec, exec, s[2:3]
	v_cmp_eq_u32_e32 vcc, 20, v0
	s_waitcnt vmcnt(0)
	s_barrier
	s_and_saveexec_b64 s[4:5], vcc
	s_cbranch_execz .LBB87_188
; %bb.182:
	ds_write2_b64 v127, v[117:118], v[119:120] offset1:1
	ds_write2_b64 v125, v[121:122], v[123:124] offset0:42 offset1:43
	ds_write2_b64 v125, v[109:110], v[111:112] offset0:44 offset1:45
	;; [unrolled: 1-line block ×4, first 2 shown]
	buffer_load_dword v69, off, s[20:23], 0 offset:32 ; 4-byte Folded Reload
	buffer_load_dword v70, off, s[20:23], 0 offset:36 ; 4-byte Folded Reload
	;; [unrolled: 1-line block ×4, first 2 shown]
	v_mov_b32_e32 v61, v65
	v_mov_b32_e32 v62, v66
	;; [unrolled: 1-line block ×4, first 2 shown]
	s_waitcnt vmcnt(0)
	ds_write2_b64 v125, v[69:70], v[71:72] offset0:50 offset1:51
	buffer_load_dword v65, off, s[20:23], 0 offset:16 ; 4-byte Folded Reload
	buffer_load_dword v66, off, s[20:23], 0 offset:20 ; 4-byte Folded Reload
	buffer_load_dword v67, off, s[20:23], 0 offset:24 ; 4-byte Folded Reload
	buffer_load_dword v68, off, s[20:23], 0 offset:28 ; 4-byte Folded Reload
	s_waitcnt vmcnt(0)
	ds_write2_b64 v125, v[65:66], v[67:68] offset0:52 offset1:53
	v_mov_b32_e32 v68, v64
	v_mov_b32_e32 v67, v63
	;; [unrolled: 1-line block ×4, first 2 shown]
	buffer_load_dword v61, off, s[20:23], 0 ; 4-byte Folded Reload
	buffer_load_dword v62, off, s[20:23], 0 offset:4 ; 4-byte Folded Reload
	buffer_load_dword v63, off, s[20:23], 0 offset:8 ; 4-byte Folded Reload
	;; [unrolled: 1-line block ×3, first 2 shown]
	s_waitcnt vmcnt(0)
	ds_write2_b64 v125, v[61:62], v[63:64] offset0:54 offset1:55
	ds_write2_b64 v125, v[57:58], v[59:60] offset0:56 offset1:57
	;; [unrolled: 1-line block ×17, first 2 shown]
	ds_read2_b64 v[97:100], v127 offset1:1
	s_waitcnt lgkmcnt(0)
	v_cmp_neq_f64_e32 vcc, 0, v[97:98]
	v_cmp_neq_f64_e64 s[2:3], 0, v[99:100]
	s_or_b64 s[2:3], vcc, s[2:3]
	s_and_b64 exec, exec, s[2:3]
	s_cbranch_execz .LBB87_188
; %bb.183:
	v_cmp_ngt_f64_e64 s[2:3], |v[97:98]|, |v[99:100]|
                                        ; implicit-def: $vgpr101_vgpr102
	s_and_saveexec_b64 s[6:7], s[2:3]
	s_xor_b64 s[2:3], exec, s[6:7]
                                        ; implicit-def: $vgpr103_vgpr104
	s_cbranch_execz .LBB87_185
; %bb.184:
	v_div_scale_f64 v[101:102], s[6:7], v[99:100], v[99:100], v[97:98]
	v_rcp_f64_e32 v[103:104], v[101:102]
	v_fma_f64 v[105:106], -v[101:102], v[103:104], 1.0
	v_fma_f64 v[103:104], v[103:104], v[105:106], v[103:104]
	v_div_scale_f64 v[105:106], vcc, v[97:98], v[99:100], v[97:98]
	v_fma_f64 v[107:108], -v[101:102], v[103:104], 1.0
	v_fma_f64 v[103:104], v[103:104], v[107:108], v[103:104]
	v_mul_f64 v[107:108], v[105:106], v[103:104]
	v_fma_f64 v[101:102], -v[101:102], v[107:108], v[105:106]
	v_div_fmas_f64 v[101:102], v[101:102], v[103:104], v[107:108]
	v_div_fixup_f64 v[101:102], v[101:102], v[99:100], v[97:98]
	v_fma_f64 v[97:98], v[97:98], v[101:102], v[99:100]
	v_div_scale_f64 v[99:100], s[6:7], v[97:98], v[97:98], 1.0
	v_div_scale_f64 v[107:108], vcc, 1.0, v[97:98], 1.0
	v_rcp_f64_e32 v[103:104], v[99:100]
	v_fma_f64 v[105:106], -v[99:100], v[103:104], 1.0
	v_fma_f64 v[103:104], v[103:104], v[105:106], v[103:104]
	v_fma_f64 v[105:106], -v[99:100], v[103:104], 1.0
	v_fma_f64 v[103:104], v[103:104], v[105:106], v[103:104]
	v_mul_f64 v[105:106], v[107:108], v[103:104]
	v_fma_f64 v[99:100], -v[99:100], v[105:106], v[107:108]
	v_div_fmas_f64 v[99:100], v[99:100], v[103:104], v[105:106]
	v_div_fixup_f64 v[103:104], v[99:100], v[97:98], 1.0
                                        ; implicit-def: $vgpr97_vgpr98
	v_mul_f64 v[101:102], v[101:102], v[103:104]
	v_xor_b32_e32 v104, 0x80000000, v104
.LBB87_185:
	s_andn2_saveexec_b64 s[2:3], s[2:3]
	s_cbranch_execz .LBB87_187
; %bb.186:
	v_div_scale_f64 v[101:102], s[6:7], v[97:98], v[97:98], v[99:100]
	v_rcp_f64_e32 v[103:104], v[101:102]
	v_fma_f64 v[105:106], -v[101:102], v[103:104], 1.0
	v_fma_f64 v[103:104], v[103:104], v[105:106], v[103:104]
	v_div_scale_f64 v[105:106], vcc, v[99:100], v[97:98], v[99:100]
	v_fma_f64 v[107:108], -v[101:102], v[103:104], 1.0
	v_fma_f64 v[103:104], v[103:104], v[107:108], v[103:104]
	v_mul_f64 v[107:108], v[105:106], v[103:104]
	v_fma_f64 v[101:102], -v[101:102], v[107:108], v[105:106]
	v_div_fmas_f64 v[101:102], v[101:102], v[103:104], v[107:108]
	v_div_fixup_f64 v[103:104], v[101:102], v[97:98], v[99:100]
	v_fma_f64 v[97:98], v[99:100], v[103:104], v[97:98]
	v_div_scale_f64 v[99:100], s[6:7], v[97:98], v[97:98], 1.0
	v_div_scale_f64 v[107:108], vcc, 1.0, v[97:98], 1.0
	v_rcp_f64_e32 v[101:102], v[99:100]
	v_fma_f64 v[105:106], -v[99:100], v[101:102], 1.0
	v_fma_f64 v[101:102], v[101:102], v[105:106], v[101:102]
	v_fma_f64 v[105:106], -v[99:100], v[101:102], 1.0
	v_fma_f64 v[101:102], v[101:102], v[105:106], v[101:102]
	v_mul_f64 v[105:106], v[107:108], v[101:102]
	v_fma_f64 v[99:100], -v[99:100], v[105:106], v[107:108]
	v_div_fmas_f64 v[99:100], v[99:100], v[101:102], v[105:106]
	v_div_fixup_f64 v[101:102], v[99:100], v[97:98], 1.0
	v_mul_f64 v[103:104], v[103:104], -v[101:102]
.LBB87_187:
	s_or_b64 exec, exec, s[2:3]
	ds_write2_b64 v127, v[101:102], v[103:104] offset1:1
.LBB87_188:
	s_or_b64 exec, exec, s[4:5]
	s_waitcnt lgkmcnt(0)
	s_barrier
	ds_read2_b64 v[61:64], v127 offset1:1
	v_cmp_lt_u32_e32 vcc, 20, v0
	s_waitcnt lgkmcnt(0)
	buffer_store_dword v61, off, s[20:23], 0 offset:1000 ; 4-byte Folded Spill
	s_nop 0
	buffer_store_dword v62, off, s[20:23], 0 offset:1004 ; 4-byte Folded Spill
	buffer_store_dword v63, off, s[20:23], 0 offset:1008 ; 4-byte Folded Spill
	;; [unrolled: 1-line block ×3, first 2 shown]
	s_and_saveexec_b64 s[2:3], vcc
	s_cbranch_execz .LBB87_190
; %bb.189:
	buffer_load_dword v61, off, s[20:23], 0 offset:1000 ; 4-byte Folded Reload
	buffer_load_dword v62, off, s[20:23], 0 offset:1004 ; 4-byte Folded Reload
	;; [unrolled: 1-line block ×4, first 2 shown]
	v_mov_b32_e32 v89, v91
	v_mov_b32_e32 v90, v92
	ds_read2_b64 v[99:102], v125 offset0:42 offset1:43
	s_waitcnt vmcnt(2)
	v_mul_f64 v[91:92], v[61:62], v[119:120]
	s_waitcnt vmcnt(0)
	v_mul_f64 v[97:98], v[63:64], v[119:120]
	v_fma_f64 v[119:120], v[63:64], v[117:118], v[91:92]
	v_mov_b32_e32 v92, v90
	v_fma_f64 v[97:98], v[61:62], v[117:118], -v[97:98]
	v_mov_b32_e32 v91, v89
	v_mov_b32_e32 v61, v65
	;; [unrolled: 1-line block ×5, first 2 shown]
	s_waitcnt lgkmcnt(0)
	v_mul_f64 v[89:90], v[101:102], v[119:120]
	v_mov_b32_e32 v118, v98
	v_mov_b32_e32 v117, v97
	v_fma_f64 v[89:90], v[99:100], v[97:98], -v[89:90]
	v_mul_f64 v[99:100], v[99:100], v[119:120]
	v_add_f64 v[121:122], v[121:122], -v[89:90]
	v_fma_f64 v[99:100], v[101:102], v[97:98], v[99:100]
	v_add_f64 v[123:124], v[123:124], -v[99:100]
	ds_read2_b64 v[99:102], v125 offset0:44 offset1:45
	s_waitcnt lgkmcnt(0)
	v_mul_f64 v[89:90], v[101:102], v[119:120]
	v_fma_f64 v[89:90], v[99:100], v[97:98], -v[89:90]
	v_mul_f64 v[99:100], v[99:100], v[119:120]
	v_add_f64 v[109:110], v[109:110], -v[89:90]
	v_fma_f64 v[99:100], v[101:102], v[97:98], v[99:100]
	v_add_f64 v[111:112], v[111:112], -v[99:100]
	ds_read2_b64 v[99:102], v125 offset0:46 offset1:47
	s_waitcnt lgkmcnt(0)
	v_mul_f64 v[89:90], v[101:102], v[119:120]
	;; [unrolled: 8-line block ×3, first 2 shown]
	v_fma_f64 v[89:90], v[99:100], v[97:98], -v[89:90]
	v_mul_f64 v[99:100], v[99:100], v[119:120]
	v_add_f64 v[93:94], v[93:94], -v[89:90]
	v_fma_f64 v[99:100], v[101:102], v[97:98], v[99:100]
	v_add_f64 v[95:96], v[95:96], -v[99:100]
	ds_read2_b64 v[99:102], v125 offset0:50 offset1:51
	buffer_load_dword v69, off, s[20:23], 0 offset:32 ; 4-byte Folded Reload
	buffer_load_dword v70, off, s[20:23], 0 offset:36 ; 4-byte Folded Reload
	;; [unrolled: 1-line block ×4, first 2 shown]
	s_waitcnt lgkmcnt(0)
	v_mul_f64 v[89:90], v[101:102], v[119:120]
	v_fma_f64 v[89:90], v[99:100], v[97:98], -v[89:90]
	v_mul_f64 v[99:100], v[99:100], v[119:120]
	v_fma_f64 v[99:100], v[101:102], v[97:98], v[99:100]
	s_waitcnt vmcnt(2)
	v_add_f64 v[69:70], v[69:70], -v[89:90]
	s_waitcnt vmcnt(0)
	v_add_f64 v[71:72], v[71:72], -v[99:100]
	buffer_store_dword v69, off, s[20:23], 0 offset:32 ; 4-byte Folded Spill
	s_nop 0
	buffer_store_dword v70, off, s[20:23], 0 offset:36 ; 4-byte Folded Spill
	buffer_store_dword v71, off, s[20:23], 0 offset:40 ; 4-byte Folded Spill
	;; [unrolled: 1-line block ×3, first 2 shown]
	ds_read2_b64 v[99:102], v125 offset0:52 offset1:53
	buffer_load_dword v65, off, s[20:23], 0 offset:16 ; 4-byte Folded Reload
	buffer_load_dword v66, off, s[20:23], 0 offset:20 ; 4-byte Folded Reload
	;; [unrolled: 1-line block ×4, first 2 shown]
	s_waitcnt lgkmcnt(0)
	v_mul_f64 v[89:90], v[101:102], v[119:120]
	v_fma_f64 v[89:90], v[99:100], v[97:98], -v[89:90]
	v_mul_f64 v[99:100], v[99:100], v[119:120]
	v_fma_f64 v[99:100], v[101:102], v[97:98], v[99:100]
	s_waitcnt vmcnt(2)
	v_add_f64 v[65:66], v[65:66], -v[89:90]
	s_waitcnt vmcnt(0)
	v_add_f64 v[67:68], v[67:68], -v[99:100]
	buffer_store_dword v65, off, s[20:23], 0 offset:16 ; 4-byte Folded Spill
	s_nop 0
	buffer_store_dword v66, off, s[20:23], 0 offset:20 ; 4-byte Folded Spill
	buffer_store_dword v67, off, s[20:23], 0 offset:24 ; 4-byte Folded Spill
	;; [unrolled: 1-line block ×3, first 2 shown]
	v_mov_b32_e32 v68, v64
	v_mov_b32_e32 v67, v63
	v_mov_b32_e32 v66, v62
	v_mov_b32_e32 v65, v61
	ds_read2_b64 v[99:102], v125 offset0:54 offset1:55
	buffer_load_dword v61, off, s[20:23], 0 ; 4-byte Folded Reload
	buffer_load_dword v62, off, s[20:23], 0 offset:4 ; 4-byte Folded Reload
	buffer_load_dword v63, off, s[20:23], 0 offset:8 ; 4-byte Folded Reload
	;; [unrolled: 1-line block ×3, first 2 shown]
	s_waitcnt lgkmcnt(0)
	v_mul_f64 v[89:90], v[101:102], v[119:120]
	v_fma_f64 v[89:90], v[99:100], v[97:98], -v[89:90]
	v_mul_f64 v[99:100], v[99:100], v[119:120]
	v_fma_f64 v[99:100], v[101:102], v[97:98], v[99:100]
	s_waitcnt vmcnt(2)
	v_add_f64 v[61:62], v[61:62], -v[89:90]
	s_waitcnt vmcnt(0)
	v_add_f64 v[63:64], v[63:64], -v[99:100]
	buffer_store_dword v61, off, s[20:23], 0 ; 4-byte Folded Spill
	s_nop 0
	buffer_store_dword v62, off, s[20:23], 0 offset:4 ; 4-byte Folded Spill
	buffer_store_dword v63, off, s[20:23], 0 offset:8 ; 4-byte Folded Spill
	;; [unrolled: 1-line block ×3, first 2 shown]
	ds_read2_b64 v[99:102], v125 offset0:56 offset1:57
	s_waitcnt lgkmcnt(0)
	v_mul_f64 v[89:90], v[101:102], v[119:120]
	v_fma_f64 v[89:90], v[99:100], v[97:98], -v[89:90]
	v_mul_f64 v[99:100], v[99:100], v[119:120]
	v_add_f64 v[57:58], v[57:58], -v[89:90]
	v_fma_f64 v[99:100], v[101:102], v[97:98], v[99:100]
	v_add_f64 v[59:60], v[59:60], -v[99:100]
	ds_read2_b64 v[99:102], v125 offset0:58 offset1:59
	s_waitcnt lgkmcnt(0)
	v_mul_f64 v[89:90], v[101:102], v[119:120]
	v_fma_f64 v[89:90], v[99:100], v[97:98], -v[89:90]
	v_mul_f64 v[99:100], v[99:100], v[119:120]
	v_add_f64 v[53:54], v[53:54], -v[89:90]
	v_fma_f64 v[99:100], v[101:102], v[97:98], v[99:100]
	v_add_f64 v[55:56], v[55:56], -v[99:100]
	;; [unrolled: 8-line block ×16, first 2 shown]
.LBB87_190:
	s_or_b64 exec, exec, s[2:3]
	v_cmp_eq_u32_e32 vcc, 21, v0
	s_waitcnt vmcnt(0)
	s_barrier
	s_and_saveexec_b64 s[4:5], vcc
	s_cbranch_execz .LBB87_197
; %bb.191:
	ds_write2_b64 v127, v[121:122], v[123:124] offset1:1
	ds_write2_b64 v125, v[109:110], v[111:112] offset0:44 offset1:45
	ds_write2_b64 v125, v[113:114], v[115:116] offset0:46 offset1:47
	;; [unrolled: 1-line block ×3, first 2 shown]
	buffer_load_dword v69, off, s[20:23], 0 offset:32 ; 4-byte Folded Reload
	buffer_load_dword v70, off, s[20:23], 0 offset:36 ; 4-byte Folded Reload
	;; [unrolled: 1-line block ×4, first 2 shown]
	v_mov_b32_e32 v61, v65
	v_mov_b32_e32 v62, v66
	;; [unrolled: 1-line block ×4, first 2 shown]
	s_waitcnt vmcnt(0)
	ds_write2_b64 v125, v[69:70], v[71:72] offset0:50 offset1:51
	buffer_load_dword v65, off, s[20:23], 0 offset:16 ; 4-byte Folded Reload
	buffer_load_dword v66, off, s[20:23], 0 offset:20 ; 4-byte Folded Reload
	;; [unrolled: 1-line block ×4, first 2 shown]
	s_waitcnt vmcnt(0)
	ds_write2_b64 v125, v[65:66], v[67:68] offset0:52 offset1:53
	v_mov_b32_e32 v68, v64
	v_mov_b32_e32 v67, v63
	;; [unrolled: 1-line block ×4, first 2 shown]
	buffer_load_dword v61, off, s[20:23], 0 ; 4-byte Folded Reload
	buffer_load_dword v62, off, s[20:23], 0 offset:4 ; 4-byte Folded Reload
	buffer_load_dword v63, off, s[20:23], 0 offset:8 ; 4-byte Folded Reload
	;; [unrolled: 1-line block ×3, first 2 shown]
	s_waitcnt vmcnt(0)
	ds_write2_b64 v125, v[61:62], v[63:64] offset0:54 offset1:55
	ds_write2_b64 v125, v[57:58], v[59:60] offset0:56 offset1:57
	;; [unrolled: 1-line block ×17, first 2 shown]
	ds_read2_b64 v[97:100], v127 offset1:1
	s_waitcnt lgkmcnt(0)
	v_cmp_neq_f64_e32 vcc, 0, v[97:98]
	v_cmp_neq_f64_e64 s[2:3], 0, v[99:100]
	s_or_b64 s[2:3], vcc, s[2:3]
	s_and_b64 exec, exec, s[2:3]
	s_cbranch_execz .LBB87_197
; %bb.192:
	v_cmp_ngt_f64_e64 s[2:3], |v[97:98]|, |v[99:100]|
                                        ; implicit-def: $vgpr101_vgpr102
	s_and_saveexec_b64 s[6:7], s[2:3]
	s_xor_b64 s[2:3], exec, s[6:7]
                                        ; implicit-def: $vgpr103_vgpr104
	s_cbranch_execz .LBB87_194
; %bb.193:
	v_div_scale_f64 v[101:102], s[6:7], v[99:100], v[99:100], v[97:98]
	v_rcp_f64_e32 v[103:104], v[101:102]
	v_fma_f64 v[105:106], -v[101:102], v[103:104], 1.0
	v_fma_f64 v[103:104], v[103:104], v[105:106], v[103:104]
	v_div_scale_f64 v[105:106], vcc, v[97:98], v[99:100], v[97:98]
	v_fma_f64 v[107:108], -v[101:102], v[103:104], 1.0
	v_fma_f64 v[103:104], v[103:104], v[107:108], v[103:104]
	v_mul_f64 v[107:108], v[105:106], v[103:104]
	v_fma_f64 v[101:102], -v[101:102], v[107:108], v[105:106]
	v_div_fmas_f64 v[101:102], v[101:102], v[103:104], v[107:108]
	v_div_fixup_f64 v[101:102], v[101:102], v[99:100], v[97:98]
	v_fma_f64 v[97:98], v[97:98], v[101:102], v[99:100]
	v_div_scale_f64 v[99:100], s[6:7], v[97:98], v[97:98], 1.0
	v_div_scale_f64 v[107:108], vcc, 1.0, v[97:98], 1.0
	v_rcp_f64_e32 v[103:104], v[99:100]
	v_fma_f64 v[105:106], -v[99:100], v[103:104], 1.0
	v_fma_f64 v[103:104], v[103:104], v[105:106], v[103:104]
	v_fma_f64 v[105:106], -v[99:100], v[103:104], 1.0
	v_fma_f64 v[103:104], v[103:104], v[105:106], v[103:104]
	v_mul_f64 v[105:106], v[107:108], v[103:104]
	v_fma_f64 v[99:100], -v[99:100], v[105:106], v[107:108]
	v_div_fmas_f64 v[99:100], v[99:100], v[103:104], v[105:106]
	v_div_fixup_f64 v[103:104], v[99:100], v[97:98], 1.0
                                        ; implicit-def: $vgpr97_vgpr98
	v_mul_f64 v[101:102], v[101:102], v[103:104]
	v_xor_b32_e32 v104, 0x80000000, v104
.LBB87_194:
	s_andn2_saveexec_b64 s[2:3], s[2:3]
	s_cbranch_execz .LBB87_196
; %bb.195:
	v_div_scale_f64 v[101:102], s[6:7], v[97:98], v[97:98], v[99:100]
	v_rcp_f64_e32 v[103:104], v[101:102]
	v_fma_f64 v[105:106], -v[101:102], v[103:104], 1.0
	v_fma_f64 v[103:104], v[103:104], v[105:106], v[103:104]
	v_div_scale_f64 v[105:106], vcc, v[99:100], v[97:98], v[99:100]
	v_fma_f64 v[107:108], -v[101:102], v[103:104], 1.0
	v_fma_f64 v[103:104], v[103:104], v[107:108], v[103:104]
	v_mul_f64 v[107:108], v[105:106], v[103:104]
	v_fma_f64 v[101:102], -v[101:102], v[107:108], v[105:106]
	v_div_fmas_f64 v[101:102], v[101:102], v[103:104], v[107:108]
	v_div_fixup_f64 v[103:104], v[101:102], v[97:98], v[99:100]
	v_fma_f64 v[97:98], v[99:100], v[103:104], v[97:98]
	v_div_scale_f64 v[99:100], s[6:7], v[97:98], v[97:98], 1.0
	v_div_scale_f64 v[107:108], vcc, 1.0, v[97:98], 1.0
	v_rcp_f64_e32 v[101:102], v[99:100]
	v_fma_f64 v[105:106], -v[99:100], v[101:102], 1.0
	v_fma_f64 v[101:102], v[101:102], v[105:106], v[101:102]
	v_fma_f64 v[105:106], -v[99:100], v[101:102], 1.0
	v_fma_f64 v[101:102], v[101:102], v[105:106], v[101:102]
	v_mul_f64 v[105:106], v[107:108], v[101:102]
	v_fma_f64 v[99:100], -v[99:100], v[105:106], v[107:108]
	v_div_fmas_f64 v[99:100], v[99:100], v[101:102], v[105:106]
	v_div_fixup_f64 v[101:102], v[99:100], v[97:98], 1.0
	v_mul_f64 v[103:104], v[103:104], -v[101:102]
.LBB87_196:
	s_or_b64 exec, exec, s[2:3]
	ds_write2_b64 v127, v[101:102], v[103:104] offset1:1
.LBB87_197:
	s_or_b64 exec, exec, s[4:5]
	s_waitcnt lgkmcnt(0)
	s_barrier
	ds_read2_b64 v[61:64], v127 offset1:1
	v_cmp_lt_u32_e32 vcc, 21, v0
	s_waitcnt lgkmcnt(0)
	buffer_store_dword v61, off, s[20:23], 0 offset:1016 ; 4-byte Folded Spill
	s_nop 0
	buffer_store_dword v62, off, s[20:23], 0 offset:1020 ; 4-byte Folded Spill
	buffer_store_dword v63, off, s[20:23], 0 offset:1024 ; 4-byte Folded Spill
	;; [unrolled: 1-line block ×3, first 2 shown]
	s_and_saveexec_b64 s[2:3], vcc
	s_cbranch_execz .LBB87_199
; %bb.198:
	buffer_load_dword v61, off, s[20:23], 0 offset:1016 ; 4-byte Folded Reload
	buffer_load_dword v62, off, s[20:23], 0 offset:1020 ; 4-byte Folded Reload
	;; [unrolled: 1-line block ×4, first 2 shown]
	v_mov_b32_e32 v90, v86
	v_mov_b32_e32 v89, v85
	;; [unrolled: 1-line block ×4, first 2 shown]
	ds_read2_b64 v[99:102], v125 offset0:44 offset1:45
	s_waitcnt vmcnt(2)
	v_mul_f64 v[87:88], v[61:62], v[123:124]
	s_waitcnt vmcnt(0)
	v_mul_f64 v[97:98], v[63:64], v[123:124]
	v_fma_f64 v[123:124], v[63:64], v[121:122], v[87:88]
	v_mov_b32_e32 v88, v86
	v_fma_f64 v[97:98], v[61:62], v[121:122], -v[97:98]
	v_mov_b32_e32 v87, v85
	v_mov_b32_e32 v61, v65
	;; [unrolled: 1-line block ×5, first 2 shown]
	s_waitcnt lgkmcnt(0)
	v_mul_f64 v[85:86], v[101:102], v[123:124]
	v_mov_b32_e32 v122, v98
	v_mov_b32_e32 v121, v97
	v_fma_f64 v[85:86], v[99:100], v[97:98], -v[85:86]
	v_mul_f64 v[99:100], v[99:100], v[123:124]
	v_add_f64 v[109:110], v[109:110], -v[85:86]
	v_fma_f64 v[99:100], v[101:102], v[97:98], v[99:100]
	v_add_f64 v[111:112], v[111:112], -v[99:100]
	ds_read2_b64 v[99:102], v125 offset0:46 offset1:47
	s_waitcnt lgkmcnt(0)
	v_mul_f64 v[85:86], v[101:102], v[123:124]
	v_fma_f64 v[85:86], v[99:100], v[97:98], -v[85:86]
	v_mul_f64 v[99:100], v[99:100], v[123:124]
	v_add_f64 v[113:114], v[113:114], -v[85:86]
	v_fma_f64 v[99:100], v[101:102], v[97:98], v[99:100]
	v_add_f64 v[115:116], v[115:116], -v[99:100]
	ds_read2_b64 v[99:102], v125 offset0:48 offset1:49
	s_waitcnt lgkmcnt(0)
	v_mul_f64 v[85:86], v[101:102], v[123:124]
	v_fma_f64 v[85:86], v[99:100], v[97:98], -v[85:86]
	v_mul_f64 v[99:100], v[99:100], v[123:124]
	v_add_f64 v[93:94], v[93:94], -v[85:86]
	v_fma_f64 v[99:100], v[101:102], v[97:98], v[99:100]
	v_add_f64 v[95:96], v[95:96], -v[99:100]
	ds_read2_b64 v[99:102], v125 offset0:50 offset1:51
	buffer_load_dword v69, off, s[20:23], 0 offset:32 ; 4-byte Folded Reload
	buffer_load_dword v70, off, s[20:23], 0 offset:36 ; 4-byte Folded Reload
	;; [unrolled: 1-line block ×4, first 2 shown]
	s_waitcnt lgkmcnt(0)
	v_mul_f64 v[85:86], v[101:102], v[123:124]
	v_fma_f64 v[85:86], v[99:100], v[97:98], -v[85:86]
	v_mul_f64 v[99:100], v[99:100], v[123:124]
	v_fma_f64 v[99:100], v[101:102], v[97:98], v[99:100]
	s_waitcnt vmcnt(2)
	v_add_f64 v[69:70], v[69:70], -v[85:86]
	s_waitcnt vmcnt(0)
	v_add_f64 v[71:72], v[71:72], -v[99:100]
	buffer_store_dword v69, off, s[20:23], 0 offset:32 ; 4-byte Folded Spill
	s_nop 0
	buffer_store_dword v70, off, s[20:23], 0 offset:36 ; 4-byte Folded Spill
	buffer_store_dword v71, off, s[20:23], 0 offset:40 ; 4-byte Folded Spill
	;; [unrolled: 1-line block ×3, first 2 shown]
	ds_read2_b64 v[99:102], v125 offset0:52 offset1:53
	buffer_load_dword v65, off, s[20:23], 0 offset:16 ; 4-byte Folded Reload
	buffer_load_dword v66, off, s[20:23], 0 offset:20 ; 4-byte Folded Reload
	buffer_load_dword v67, off, s[20:23], 0 offset:24 ; 4-byte Folded Reload
	buffer_load_dword v68, off, s[20:23], 0 offset:28 ; 4-byte Folded Reload
	s_waitcnt lgkmcnt(0)
	v_mul_f64 v[85:86], v[101:102], v[123:124]
	v_fma_f64 v[85:86], v[99:100], v[97:98], -v[85:86]
	v_mul_f64 v[99:100], v[99:100], v[123:124]
	v_fma_f64 v[99:100], v[101:102], v[97:98], v[99:100]
	s_waitcnt vmcnt(2)
	v_add_f64 v[65:66], v[65:66], -v[85:86]
	s_waitcnt vmcnt(0)
	v_add_f64 v[67:68], v[67:68], -v[99:100]
	buffer_store_dword v65, off, s[20:23], 0 offset:16 ; 4-byte Folded Spill
	s_nop 0
	buffer_store_dword v66, off, s[20:23], 0 offset:20 ; 4-byte Folded Spill
	buffer_store_dword v67, off, s[20:23], 0 offset:24 ; 4-byte Folded Spill
	;; [unrolled: 1-line block ×3, first 2 shown]
	v_mov_b32_e32 v68, v64
	v_mov_b32_e32 v67, v63
	;; [unrolled: 1-line block ×4, first 2 shown]
	ds_read2_b64 v[99:102], v125 offset0:54 offset1:55
	buffer_load_dword v61, off, s[20:23], 0 ; 4-byte Folded Reload
	buffer_load_dword v62, off, s[20:23], 0 offset:4 ; 4-byte Folded Reload
	buffer_load_dword v63, off, s[20:23], 0 offset:8 ; 4-byte Folded Reload
	;; [unrolled: 1-line block ×3, first 2 shown]
	s_waitcnt lgkmcnt(0)
	v_mul_f64 v[85:86], v[101:102], v[123:124]
	v_fma_f64 v[85:86], v[99:100], v[97:98], -v[85:86]
	v_mul_f64 v[99:100], v[99:100], v[123:124]
	v_fma_f64 v[99:100], v[101:102], v[97:98], v[99:100]
	s_waitcnt vmcnt(2)
	v_add_f64 v[61:62], v[61:62], -v[85:86]
	s_waitcnt vmcnt(0)
	v_add_f64 v[63:64], v[63:64], -v[99:100]
	buffer_store_dword v61, off, s[20:23], 0 ; 4-byte Folded Spill
	s_nop 0
	buffer_store_dword v62, off, s[20:23], 0 offset:4 ; 4-byte Folded Spill
	buffer_store_dword v63, off, s[20:23], 0 offset:8 ; 4-byte Folded Spill
	;; [unrolled: 1-line block ×3, first 2 shown]
	ds_read2_b64 v[99:102], v125 offset0:56 offset1:57
	s_waitcnt lgkmcnt(0)
	v_mul_f64 v[85:86], v[101:102], v[123:124]
	v_fma_f64 v[85:86], v[99:100], v[97:98], -v[85:86]
	v_mul_f64 v[99:100], v[99:100], v[123:124]
	v_add_f64 v[57:58], v[57:58], -v[85:86]
	v_fma_f64 v[99:100], v[101:102], v[97:98], v[99:100]
	v_add_f64 v[59:60], v[59:60], -v[99:100]
	ds_read2_b64 v[99:102], v125 offset0:58 offset1:59
	s_waitcnt lgkmcnt(0)
	v_mul_f64 v[85:86], v[101:102], v[123:124]
	v_fma_f64 v[85:86], v[99:100], v[97:98], -v[85:86]
	v_mul_f64 v[99:100], v[99:100], v[123:124]
	v_add_f64 v[53:54], v[53:54], -v[85:86]
	v_fma_f64 v[99:100], v[101:102], v[97:98], v[99:100]
	v_add_f64 v[55:56], v[55:56], -v[99:100]
	;; [unrolled: 8-line block ×15, first 2 shown]
	ds_read2_b64 v[99:102], v125 offset0:86 offset1:87
	s_waitcnt lgkmcnt(0)
	v_mul_f64 v[85:86], v[101:102], v[123:124]
	v_fma_f64 v[85:86], v[99:100], v[97:98], -v[85:86]
	v_mul_f64 v[99:100], v[99:100], v[123:124]
	v_add_f64 v[65:66], v[65:66], -v[85:86]
	v_fma_f64 v[99:100], v[101:102], v[97:98], v[99:100]
	v_mov_b32_e32 v85, v89
	v_mov_b32_e32 v86, v90
	v_add_f64 v[67:68], v[67:68], -v[99:100]
.LBB87_199:
	s_or_b64 exec, exec, s[2:3]
	v_cmp_eq_u32_e32 vcc, 22, v0
	s_waitcnt vmcnt(0)
	s_barrier
	s_and_saveexec_b64 s[4:5], vcc
	s_cbranch_execz .LBB87_206
; %bb.200:
	ds_write2_b64 v127, v[109:110], v[111:112] offset1:1
	ds_write2_b64 v125, v[113:114], v[115:116] offset0:46 offset1:47
	ds_write2_b64 v125, v[93:94], v[95:96] offset0:48 offset1:49
	buffer_load_dword v69, off, s[20:23], 0 offset:32 ; 4-byte Folded Reload
	buffer_load_dword v70, off, s[20:23], 0 offset:36 ; 4-byte Folded Reload
	;; [unrolled: 1-line block ×4, first 2 shown]
	v_mov_b32_e32 v61, v65
	v_mov_b32_e32 v62, v66
	;; [unrolled: 1-line block ×4, first 2 shown]
	s_waitcnt vmcnt(0)
	ds_write2_b64 v125, v[69:70], v[71:72] offset0:50 offset1:51
	buffer_load_dword v65, off, s[20:23], 0 offset:16 ; 4-byte Folded Reload
	buffer_load_dword v66, off, s[20:23], 0 offset:20 ; 4-byte Folded Reload
	;; [unrolled: 1-line block ×4, first 2 shown]
	s_waitcnt vmcnt(0)
	ds_write2_b64 v125, v[65:66], v[67:68] offset0:52 offset1:53
	v_mov_b32_e32 v68, v64
	v_mov_b32_e32 v67, v63
	;; [unrolled: 1-line block ×4, first 2 shown]
	buffer_load_dword v61, off, s[20:23], 0 ; 4-byte Folded Reload
	buffer_load_dword v62, off, s[20:23], 0 offset:4 ; 4-byte Folded Reload
	buffer_load_dword v63, off, s[20:23], 0 offset:8 ; 4-byte Folded Reload
	;; [unrolled: 1-line block ×3, first 2 shown]
	s_waitcnt vmcnt(0)
	ds_write2_b64 v125, v[61:62], v[63:64] offset0:54 offset1:55
	ds_write2_b64 v125, v[57:58], v[59:60] offset0:56 offset1:57
	;; [unrolled: 1-line block ×17, first 2 shown]
	ds_read2_b64 v[97:100], v127 offset1:1
	s_waitcnt lgkmcnt(0)
	v_cmp_neq_f64_e32 vcc, 0, v[97:98]
	v_cmp_neq_f64_e64 s[2:3], 0, v[99:100]
	s_or_b64 s[2:3], vcc, s[2:3]
	s_and_b64 exec, exec, s[2:3]
	s_cbranch_execz .LBB87_206
; %bb.201:
	v_cmp_ngt_f64_e64 s[2:3], |v[97:98]|, |v[99:100]|
                                        ; implicit-def: $vgpr101_vgpr102
	s_and_saveexec_b64 s[6:7], s[2:3]
	s_xor_b64 s[2:3], exec, s[6:7]
                                        ; implicit-def: $vgpr103_vgpr104
	s_cbranch_execz .LBB87_203
; %bb.202:
	v_div_scale_f64 v[101:102], s[6:7], v[99:100], v[99:100], v[97:98]
	v_rcp_f64_e32 v[103:104], v[101:102]
	v_fma_f64 v[105:106], -v[101:102], v[103:104], 1.0
	v_fma_f64 v[103:104], v[103:104], v[105:106], v[103:104]
	v_div_scale_f64 v[105:106], vcc, v[97:98], v[99:100], v[97:98]
	v_fma_f64 v[107:108], -v[101:102], v[103:104], 1.0
	v_fma_f64 v[103:104], v[103:104], v[107:108], v[103:104]
	v_mul_f64 v[107:108], v[105:106], v[103:104]
	v_fma_f64 v[101:102], -v[101:102], v[107:108], v[105:106]
	v_div_fmas_f64 v[101:102], v[101:102], v[103:104], v[107:108]
	v_div_fixup_f64 v[101:102], v[101:102], v[99:100], v[97:98]
	v_fma_f64 v[97:98], v[97:98], v[101:102], v[99:100]
	v_div_scale_f64 v[99:100], s[6:7], v[97:98], v[97:98], 1.0
	v_div_scale_f64 v[107:108], vcc, 1.0, v[97:98], 1.0
	v_rcp_f64_e32 v[103:104], v[99:100]
	v_fma_f64 v[105:106], -v[99:100], v[103:104], 1.0
	v_fma_f64 v[103:104], v[103:104], v[105:106], v[103:104]
	v_fma_f64 v[105:106], -v[99:100], v[103:104], 1.0
	v_fma_f64 v[103:104], v[103:104], v[105:106], v[103:104]
	v_mul_f64 v[105:106], v[107:108], v[103:104]
	v_fma_f64 v[99:100], -v[99:100], v[105:106], v[107:108]
	v_div_fmas_f64 v[99:100], v[99:100], v[103:104], v[105:106]
	v_div_fixup_f64 v[103:104], v[99:100], v[97:98], 1.0
                                        ; implicit-def: $vgpr97_vgpr98
	v_mul_f64 v[101:102], v[101:102], v[103:104]
	v_xor_b32_e32 v104, 0x80000000, v104
.LBB87_203:
	s_andn2_saveexec_b64 s[2:3], s[2:3]
	s_cbranch_execz .LBB87_205
; %bb.204:
	v_div_scale_f64 v[101:102], s[6:7], v[97:98], v[97:98], v[99:100]
	v_rcp_f64_e32 v[103:104], v[101:102]
	v_fma_f64 v[105:106], -v[101:102], v[103:104], 1.0
	v_fma_f64 v[103:104], v[103:104], v[105:106], v[103:104]
	v_div_scale_f64 v[105:106], vcc, v[99:100], v[97:98], v[99:100]
	v_fma_f64 v[107:108], -v[101:102], v[103:104], 1.0
	v_fma_f64 v[103:104], v[103:104], v[107:108], v[103:104]
	v_mul_f64 v[107:108], v[105:106], v[103:104]
	v_fma_f64 v[101:102], -v[101:102], v[107:108], v[105:106]
	v_div_fmas_f64 v[101:102], v[101:102], v[103:104], v[107:108]
	v_div_fixup_f64 v[103:104], v[101:102], v[97:98], v[99:100]
	v_fma_f64 v[97:98], v[99:100], v[103:104], v[97:98]
	v_div_scale_f64 v[99:100], s[6:7], v[97:98], v[97:98], 1.0
	v_div_scale_f64 v[107:108], vcc, 1.0, v[97:98], 1.0
	v_rcp_f64_e32 v[101:102], v[99:100]
	v_fma_f64 v[105:106], -v[99:100], v[101:102], 1.0
	v_fma_f64 v[101:102], v[101:102], v[105:106], v[101:102]
	v_fma_f64 v[105:106], -v[99:100], v[101:102], 1.0
	v_fma_f64 v[101:102], v[101:102], v[105:106], v[101:102]
	v_mul_f64 v[105:106], v[107:108], v[101:102]
	v_fma_f64 v[99:100], -v[99:100], v[105:106], v[107:108]
	v_div_fmas_f64 v[99:100], v[99:100], v[101:102], v[105:106]
	v_div_fixup_f64 v[101:102], v[99:100], v[97:98], 1.0
	v_mul_f64 v[103:104], v[103:104], -v[101:102]
.LBB87_205:
	s_or_b64 exec, exec, s[2:3]
	ds_write2_b64 v127, v[101:102], v[103:104] offset1:1
.LBB87_206:
	s_or_b64 exec, exec, s[4:5]
	s_waitcnt lgkmcnt(0)
	s_barrier
	ds_read2_b64 v[61:64], v127 offset1:1
	v_cmp_lt_u32_e32 vcc, 22, v0
	s_waitcnt lgkmcnt(0)
	buffer_store_dword v61, off, s[20:23], 0 offset:1032 ; 4-byte Folded Spill
	s_nop 0
	buffer_store_dword v62, off, s[20:23], 0 offset:1036 ; 4-byte Folded Spill
	buffer_store_dword v63, off, s[20:23], 0 offset:1040 ; 4-byte Folded Spill
	;; [unrolled: 1-line block ×3, first 2 shown]
	s_and_saveexec_b64 s[2:3], vcc
	s_cbranch_execz .LBB87_208
; %bb.207:
	buffer_load_dword v61, off, s[20:23], 0 offset:1032 ; 4-byte Folded Reload
	buffer_load_dword v62, off, s[20:23], 0 offset:1036 ; 4-byte Folded Reload
	;; [unrolled: 1-line block ×4, first 2 shown]
	v_mov_b32_e32 v90, v82
	v_mov_b32_e32 v89, v81
	;; [unrolled: 1-line block ×4, first 2 shown]
	ds_read2_b64 v[99:102], v125 offset0:46 offset1:47
	s_waitcnt vmcnt(2)
	v_mul_f64 v[83:84], v[61:62], v[111:112]
	s_waitcnt vmcnt(0)
	v_mul_f64 v[97:98], v[63:64], v[111:112]
	v_fma_f64 v[111:112], v[63:64], v[109:110], v[83:84]
	v_mov_b32_e32 v84, v82
	v_fma_f64 v[97:98], v[61:62], v[109:110], -v[97:98]
	v_mov_b32_e32 v83, v81
	v_mov_b32_e32 v61, v65
	;; [unrolled: 1-line block ×5, first 2 shown]
	s_waitcnt lgkmcnt(0)
	v_mul_f64 v[81:82], v[101:102], v[111:112]
	v_mov_b32_e32 v110, v98
	v_mov_b32_e32 v109, v97
	v_fma_f64 v[81:82], v[99:100], v[97:98], -v[81:82]
	v_mul_f64 v[99:100], v[99:100], v[111:112]
	v_add_f64 v[113:114], v[113:114], -v[81:82]
	v_fma_f64 v[99:100], v[101:102], v[97:98], v[99:100]
	v_add_f64 v[115:116], v[115:116], -v[99:100]
	ds_read2_b64 v[99:102], v125 offset0:48 offset1:49
	s_waitcnt lgkmcnt(0)
	v_mul_f64 v[81:82], v[101:102], v[111:112]
	v_fma_f64 v[81:82], v[99:100], v[97:98], -v[81:82]
	v_mul_f64 v[99:100], v[99:100], v[111:112]
	v_add_f64 v[93:94], v[93:94], -v[81:82]
	v_fma_f64 v[99:100], v[101:102], v[97:98], v[99:100]
	v_add_f64 v[95:96], v[95:96], -v[99:100]
	ds_read2_b64 v[99:102], v125 offset0:50 offset1:51
	buffer_load_dword v69, off, s[20:23], 0 offset:32 ; 4-byte Folded Reload
	buffer_load_dword v70, off, s[20:23], 0 offset:36 ; 4-byte Folded Reload
	;; [unrolled: 1-line block ×4, first 2 shown]
	s_waitcnt lgkmcnt(0)
	v_mul_f64 v[81:82], v[101:102], v[111:112]
	v_fma_f64 v[81:82], v[99:100], v[97:98], -v[81:82]
	v_mul_f64 v[99:100], v[99:100], v[111:112]
	v_fma_f64 v[99:100], v[101:102], v[97:98], v[99:100]
	s_waitcnt vmcnt(2)
	v_add_f64 v[69:70], v[69:70], -v[81:82]
	s_waitcnt vmcnt(0)
	v_add_f64 v[71:72], v[71:72], -v[99:100]
	buffer_store_dword v69, off, s[20:23], 0 offset:32 ; 4-byte Folded Spill
	s_nop 0
	buffer_store_dword v70, off, s[20:23], 0 offset:36 ; 4-byte Folded Spill
	buffer_store_dword v71, off, s[20:23], 0 offset:40 ; 4-byte Folded Spill
	;; [unrolled: 1-line block ×3, first 2 shown]
	ds_read2_b64 v[99:102], v125 offset0:52 offset1:53
	buffer_load_dword v65, off, s[20:23], 0 offset:16 ; 4-byte Folded Reload
	buffer_load_dword v66, off, s[20:23], 0 offset:20 ; 4-byte Folded Reload
	;; [unrolled: 1-line block ×4, first 2 shown]
	s_waitcnt lgkmcnt(0)
	v_mul_f64 v[81:82], v[101:102], v[111:112]
	v_fma_f64 v[81:82], v[99:100], v[97:98], -v[81:82]
	v_mul_f64 v[99:100], v[99:100], v[111:112]
	v_fma_f64 v[99:100], v[101:102], v[97:98], v[99:100]
	s_waitcnt vmcnt(2)
	v_add_f64 v[65:66], v[65:66], -v[81:82]
	s_waitcnt vmcnt(0)
	v_add_f64 v[67:68], v[67:68], -v[99:100]
	buffer_store_dword v65, off, s[20:23], 0 offset:16 ; 4-byte Folded Spill
	s_nop 0
	buffer_store_dword v66, off, s[20:23], 0 offset:20 ; 4-byte Folded Spill
	buffer_store_dword v67, off, s[20:23], 0 offset:24 ; 4-byte Folded Spill
	;; [unrolled: 1-line block ×3, first 2 shown]
	v_mov_b32_e32 v68, v64
	v_mov_b32_e32 v67, v63
	;; [unrolled: 1-line block ×4, first 2 shown]
	ds_read2_b64 v[99:102], v125 offset0:54 offset1:55
	buffer_load_dword v61, off, s[20:23], 0 ; 4-byte Folded Reload
	buffer_load_dword v62, off, s[20:23], 0 offset:4 ; 4-byte Folded Reload
	buffer_load_dword v63, off, s[20:23], 0 offset:8 ; 4-byte Folded Reload
	;; [unrolled: 1-line block ×3, first 2 shown]
	s_waitcnt lgkmcnt(0)
	v_mul_f64 v[81:82], v[101:102], v[111:112]
	v_fma_f64 v[81:82], v[99:100], v[97:98], -v[81:82]
	v_mul_f64 v[99:100], v[99:100], v[111:112]
	v_fma_f64 v[99:100], v[101:102], v[97:98], v[99:100]
	s_waitcnt vmcnt(2)
	v_add_f64 v[61:62], v[61:62], -v[81:82]
	s_waitcnt vmcnt(0)
	v_add_f64 v[63:64], v[63:64], -v[99:100]
	buffer_store_dword v61, off, s[20:23], 0 ; 4-byte Folded Spill
	s_nop 0
	buffer_store_dword v62, off, s[20:23], 0 offset:4 ; 4-byte Folded Spill
	buffer_store_dword v63, off, s[20:23], 0 offset:8 ; 4-byte Folded Spill
	;; [unrolled: 1-line block ×3, first 2 shown]
	ds_read2_b64 v[99:102], v125 offset0:56 offset1:57
	s_waitcnt lgkmcnt(0)
	v_mul_f64 v[81:82], v[101:102], v[111:112]
	v_fma_f64 v[81:82], v[99:100], v[97:98], -v[81:82]
	v_mul_f64 v[99:100], v[99:100], v[111:112]
	v_add_f64 v[57:58], v[57:58], -v[81:82]
	v_fma_f64 v[99:100], v[101:102], v[97:98], v[99:100]
	v_add_f64 v[59:60], v[59:60], -v[99:100]
	ds_read2_b64 v[99:102], v125 offset0:58 offset1:59
	s_waitcnt lgkmcnt(0)
	v_mul_f64 v[81:82], v[101:102], v[111:112]
	v_fma_f64 v[81:82], v[99:100], v[97:98], -v[81:82]
	v_mul_f64 v[99:100], v[99:100], v[111:112]
	v_add_f64 v[53:54], v[53:54], -v[81:82]
	v_fma_f64 v[99:100], v[101:102], v[97:98], v[99:100]
	v_add_f64 v[55:56], v[55:56], -v[99:100]
	;; [unrolled: 8-line block ×15, first 2 shown]
	ds_read2_b64 v[99:102], v125 offset0:86 offset1:87
	s_waitcnt lgkmcnt(0)
	v_mul_f64 v[81:82], v[101:102], v[111:112]
	v_fma_f64 v[81:82], v[99:100], v[97:98], -v[81:82]
	v_mul_f64 v[99:100], v[99:100], v[111:112]
	v_add_f64 v[65:66], v[65:66], -v[81:82]
	v_fma_f64 v[99:100], v[101:102], v[97:98], v[99:100]
	v_mov_b32_e32 v81, v89
	v_mov_b32_e32 v82, v90
	v_add_f64 v[67:68], v[67:68], -v[99:100]
.LBB87_208:
	s_or_b64 exec, exec, s[2:3]
	v_cmp_eq_u32_e32 vcc, 23, v0
	s_waitcnt vmcnt(0)
	s_barrier
	s_and_saveexec_b64 s[4:5], vcc
	s_cbranch_execz .LBB87_215
; %bb.209:
	ds_write2_b64 v127, v[113:114], v[115:116] offset1:1
	ds_write2_b64 v125, v[93:94], v[95:96] offset0:48 offset1:49
	buffer_load_dword v69, off, s[20:23], 0 offset:32 ; 4-byte Folded Reload
	buffer_load_dword v70, off, s[20:23], 0 offset:36 ; 4-byte Folded Reload
	buffer_load_dword v71, off, s[20:23], 0 offset:40 ; 4-byte Folded Reload
	buffer_load_dword v72, off, s[20:23], 0 offset:44 ; 4-byte Folded Reload
	v_mov_b32_e32 v61, v65
	v_mov_b32_e32 v62, v66
	;; [unrolled: 1-line block ×4, first 2 shown]
	s_waitcnt vmcnt(0)
	ds_write2_b64 v125, v[69:70], v[71:72] offset0:50 offset1:51
	buffer_load_dword v65, off, s[20:23], 0 offset:16 ; 4-byte Folded Reload
	buffer_load_dword v66, off, s[20:23], 0 offset:20 ; 4-byte Folded Reload
	;; [unrolled: 1-line block ×4, first 2 shown]
	s_waitcnt vmcnt(0)
	ds_write2_b64 v125, v[65:66], v[67:68] offset0:52 offset1:53
	v_mov_b32_e32 v68, v64
	v_mov_b32_e32 v67, v63
	;; [unrolled: 1-line block ×4, first 2 shown]
	buffer_load_dword v61, off, s[20:23], 0 ; 4-byte Folded Reload
	buffer_load_dword v62, off, s[20:23], 0 offset:4 ; 4-byte Folded Reload
	buffer_load_dword v63, off, s[20:23], 0 offset:8 ; 4-byte Folded Reload
	buffer_load_dword v64, off, s[20:23], 0 offset:12 ; 4-byte Folded Reload
	s_waitcnt vmcnt(0)
	ds_write2_b64 v125, v[61:62], v[63:64] offset0:54 offset1:55
	ds_write2_b64 v125, v[57:58], v[59:60] offset0:56 offset1:57
	;; [unrolled: 1-line block ×17, first 2 shown]
	ds_read2_b64 v[97:100], v127 offset1:1
	s_waitcnt lgkmcnt(0)
	v_cmp_neq_f64_e32 vcc, 0, v[97:98]
	v_cmp_neq_f64_e64 s[2:3], 0, v[99:100]
	s_or_b64 s[2:3], vcc, s[2:3]
	s_and_b64 exec, exec, s[2:3]
	s_cbranch_execz .LBB87_215
; %bb.210:
	v_cmp_ngt_f64_e64 s[2:3], |v[97:98]|, |v[99:100]|
                                        ; implicit-def: $vgpr101_vgpr102
	s_and_saveexec_b64 s[6:7], s[2:3]
	s_xor_b64 s[2:3], exec, s[6:7]
                                        ; implicit-def: $vgpr103_vgpr104
	s_cbranch_execz .LBB87_212
; %bb.211:
	v_div_scale_f64 v[101:102], s[6:7], v[99:100], v[99:100], v[97:98]
	v_rcp_f64_e32 v[103:104], v[101:102]
	v_fma_f64 v[105:106], -v[101:102], v[103:104], 1.0
	v_fma_f64 v[103:104], v[103:104], v[105:106], v[103:104]
	v_div_scale_f64 v[105:106], vcc, v[97:98], v[99:100], v[97:98]
	v_fma_f64 v[107:108], -v[101:102], v[103:104], 1.0
	v_fma_f64 v[103:104], v[103:104], v[107:108], v[103:104]
	v_mul_f64 v[107:108], v[105:106], v[103:104]
	v_fma_f64 v[101:102], -v[101:102], v[107:108], v[105:106]
	v_div_fmas_f64 v[101:102], v[101:102], v[103:104], v[107:108]
	v_div_fixup_f64 v[101:102], v[101:102], v[99:100], v[97:98]
	v_fma_f64 v[97:98], v[97:98], v[101:102], v[99:100]
	v_div_scale_f64 v[99:100], s[6:7], v[97:98], v[97:98], 1.0
	v_div_scale_f64 v[107:108], vcc, 1.0, v[97:98], 1.0
	v_rcp_f64_e32 v[103:104], v[99:100]
	v_fma_f64 v[105:106], -v[99:100], v[103:104], 1.0
	v_fma_f64 v[103:104], v[103:104], v[105:106], v[103:104]
	v_fma_f64 v[105:106], -v[99:100], v[103:104], 1.0
	v_fma_f64 v[103:104], v[103:104], v[105:106], v[103:104]
	v_mul_f64 v[105:106], v[107:108], v[103:104]
	v_fma_f64 v[99:100], -v[99:100], v[105:106], v[107:108]
	v_div_fmas_f64 v[99:100], v[99:100], v[103:104], v[105:106]
	v_div_fixup_f64 v[103:104], v[99:100], v[97:98], 1.0
                                        ; implicit-def: $vgpr97_vgpr98
	v_mul_f64 v[101:102], v[101:102], v[103:104]
	v_xor_b32_e32 v104, 0x80000000, v104
.LBB87_212:
	s_andn2_saveexec_b64 s[2:3], s[2:3]
	s_cbranch_execz .LBB87_214
; %bb.213:
	v_div_scale_f64 v[101:102], s[6:7], v[97:98], v[97:98], v[99:100]
	v_rcp_f64_e32 v[103:104], v[101:102]
	v_fma_f64 v[105:106], -v[101:102], v[103:104], 1.0
	v_fma_f64 v[103:104], v[103:104], v[105:106], v[103:104]
	v_div_scale_f64 v[105:106], vcc, v[99:100], v[97:98], v[99:100]
	v_fma_f64 v[107:108], -v[101:102], v[103:104], 1.0
	v_fma_f64 v[103:104], v[103:104], v[107:108], v[103:104]
	v_mul_f64 v[107:108], v[105:106], v[103:104]
	v_fma_f64 v[101:102], -v[101:102], v[107:108], v[105:106]
	v_div_fmas_f64 v[101:102], v[101:102], v[103:104], v[107:108]
	v_div_fixup_f64 v[103:104], v[101:102], v[97:98], v[99:100]
	v_fma_f64 v[97:98], v[99:100], v[103:104], v[97:98]
	v_div_scale_f64 v[99:100], s[6:7], v[97:98], v[97:98], 1.0
	v_div_scale_f64 v[107:108], vcc, 1.0, v[97:98], 1.0
	v_rcp_f64_e32 v[101:102], v[99:100]
	v_fma_f64 v[105:106], -v[99:100], v[101:102], 1.0
	v_fma_f64 v[101:102], v[101:102], v[105:106], v[101:102]
	v_fma_f64 v[105:106], -v[99:100], v[101:102], 1.0
	v_fma_f64 v[101:102], v[101:102], v[105:106], v[101:102]
	v_mul_f64 v[105:106], v[107:108], v[101:102]
	v_fma_f64 v[99:100], -v[99:100], v[105:106], v[107:108]
	v_div_fmas_f64 v[99:100], v[99:100], v[101:102], v[105:106]
	v_div_fixup_f64 v[101:102], v[99:100], v[97:98], 1.0
	v_mul_f64 v[103:104], v[103:104], -v[101:102]
.LBB87_214:
	s_or_b64 exec, exec, s[2:3]
	ds_write2_b64 v127, v[101:102], v[103:104] offset1:1
.LBB87_215:
	s_or_b64 exec, exec, s[4:5]
	s_waitcnt lgkmcnt(0)
	s_barrier
	ds_read2_b64 v[61:64], v127 offset1:1
	v_cmp_lt_u32_e32 vcc, 23, v0
	s_waitcnt lgkmcnt(0)
	buffer_store_dword v61, off, s[20:23], 0 offset:1048 ; 4-byte Folded Spill
	s_nop 0
	buffer_store_dword v62, off, s[20:23], 0 offset:1052 ; 4-byte Folded Spill
	buffer_store_dword v63, off, s[20:23], 0 offset:1056 ; 4-byte Folded Spill
	;; [unrolled: 1-line block ×3, first 2 shown]
	s_and_saveexec_b64 s[2:3], vcc
	s_cbranch_execz .LBB87_217
; %bb.216:
	buffer_load_dword v61, off, s[20:23], 0 offset:1048 ; 4-byte Folded Reload
	buffer_load_dword v62, off, s[20:23], 0 offset:1052 ; 4-byte Folded Reload
	;; [unrolled: 1-line block ×4, first 2 shown]
	v_mov_b32_e32 v90, v78
	v_mov_b32_e32 v89, v77
	;; [unrolled: 1-line block ×4, first 2 shown]
	ds_read2_b64 v[99:102], v125 offset0:48 offset1:49
	s_waitcnt vmcnt(2)
	v_mul_f64 v[79:80], v[61:62], v[115:116]
	s_waitcnt vmcnt(0)
	v_mul_f64 v[97:98], v[63:64], v[115:116]
	v_fma_f64 v[115:116], v[63:64], v[113:114], v[79:80]
	v_mov_b32_e32 v80, v78
	v_fma_f64 v[97:98], v[61:62], v[113:114], -v[97:98]
	v_mov_b32_e32 v79, v77
	v_mov_b32_e32 v61, v65
	;; [unrolled: 1-line block ×5, first 2 shown]
	s_waitcnt lgkmcnt(0)
	v_mul_f64 v[77:78], v[101:102], v[115:116]
	v_mov_b32_e32 v114, v98
	v_mov_b32_e32 v113, v97
	v_fma_f64 v[77:78], v[99:100], v[97:98], -v[77:78]
	v_mul_f64 v[99:100], v[99:100], v[115:116]
	v_add_f64 v[93:94], v[93:94], -v[77:78]
	v_fma_f64 v[99:100], v[101:102], v[97:98], v[99:100]
	v_add_f64 v[95:96], v[95:96], -v[99:100]
	ds_read2_b64 v[99:102], v125 offset0:50 offset1:51
	buffer_load_dword v69, off, s[20:23], 0 offset:32 ; 4-byte Folded Reload
	buffer_load_dword v70, off, s[20:23], 0 offset:36 ; 4-byte Folded Reload
	;; [unrolled: 1-line block ×4, first 2 shown]
	s_waitcnt lgkmcnt(0)
	v_mul_f64 v[77:78], v[101:102], v[115:116]
	v_fma_f64 v[77:78], v[99:100], v[97:98], -v[77:78]
	v_mul_f64 v[99:100], v[99:100], v[115:116]
	v_fma_f64 v[99:100], v[101:102], v[97:98], v[99:100]
	s_waitcnt vmcnt(2)
	v_add_f64 v[69:70], v[69:70], -v[77:78]
	s_waitcnt vmcnt(0)
	v_add_f64 v[71:72], v[71:72], -v[99:100]
	buffer_store_dword v69, off, s[20:23], 0 offset:32 ; 4-byte Folded Spill
	s_nop 0
	buffer_store_dword v70, off, s[20:23], 0 offset:36 ; 4-byte Folded Spill
	buffer_store_dword v71, off, s[20:23], 0 offset:40 ; 4-byte Folded Spill
	;; [unrolled: 1-line block ×3, first 2 shown]
	ds_read2_b64 v[99:102], v125 offset0:52 offset1:53
	buffer_load_dword v65, off, s[20:23], 0 offset:16 ; 4-byte Folded Reload
	buffer_load_dword v66, off, s[20:23], 0 offset:20 ; 4-byte Folded Reload
	;; [unrolled: 1-line block ×4, first 2 shown]
	s_waitcnt lgkmcnt(0)
	v_mul_f64 v[77:78], v[101:102], v[115:116]
	v_fma_f64 v[77:78], v[99:100], v[97:98], -v[77:78]
	v_mul_f64 v[99:100], v[99:100], v[115:116]
	v_fma_f64 v[99:100], v[101:102], v[97:98], v[99:100]
	s_waitcnt vmcnt(2)
	v_add_f64 v[65:66], v[65:66], -v[77:78]
	s_waitcnt vmcnt(0)
	v_add_f64 v[67:68], v[67:68], -v[99:100]
	buffer_store_dword v65, off, s[20:23], 0 offset:16 ; 4-byte Folded Spill
	s_nop 0
	buffer_store_dword v66, off, s[20:23], 0 offset:20 ; 4-byte Folded Spill
	buffer_store_dword v67, off, s[20:23], 0 offset:24 ; 4-byte Folded Spill
	;; [unrolled: 1-line block ×3, first 2 shown]
	v_mov_b32_e32 v68, v64
	v_mov_b32_e32 v67, v63
	;; [unrolled: 1-line block ×4, first 2 shown]
	ds_read2_b64 v[99:102], v125 offset0:54 offset1:55
	buffer_load_dword v61, off, s[20:23], 0 ; 4-byte Folded Reload
	buffer_load_dword v62, off, s[20:23], 0 offset:4 ; 4-byte Folded Reload
	buffer_load_dword v63, off, s[20:23], 0 offset:8 ; 4-byte Folded Reload
	;; [unrolled: 1-line block ×3, first 2 shown]
	s_waitcnt lgkmcnt(0)
	v_mul_f64 v[77:78], v[101:102], v[115:116]
	v_fma_f64 v[77:78], v[99:100], v[97:98], -v[77:78]
	v_mul_f64 v[99:100], v[99:100], v[115:116]
	v_fma_f64 v[99:100], v[101:102], v[97:98], v[99:100]
	s_waitcnt vmcnt(2)
	v_add_f64 v[61:62], v[61:62], -v[77:78]
	s_waitcnt vmcnt(0)
	v_add_f64 v[63:64], v[63:64], -v[99:100]
	buffer_store_dword v61, off, s[20:23], 0 ; 4-byte Folded Spill
	s_nop 0
	buffer_store_dword v62, off, s[20:23], 0 offset:4 ; 4-byte Folded Spill
	buffer_store_dword v63, off, s[20:23], 0 offset:8 ; 4-byte Folded Spill
	;; [unrolled: 1-line block ×3, first 2 shown]
	ds_read2_b64 v[99:102], v125 offset0:56 offset1:57
	s_waitcnt lgkmcnt(0)
	v_mul_f64 v[77:78], v[101:102], v[115:116]
	v_fma_f64 v[77:78], v[99:100], v[97:98], -v[77:78]
	v_mul_f64 v[99:100], v[99:100], v[115:116]
	v_add_f64 v[57:58], v[57:58], -v[77:78]
	v_fma_f64 v[99:100], v[101:102], v[97:98], v[99:100]
	v_add_f64 v[59:60], v[59:60], -v[99:100]
	ds_read2_b64 v[99:102], v125 offset0:58 offset1:59
	s_waitcnt lgkmcnt(0)
	v_mul_f64 v[77:78], v[101:102], v[115:116]
	v_fma_f64 v[77:78], v[99:100], v[97:98], -v[77:78]
	v_mul_f64 v[99:100], v[99:100], v[115:116]
	v_add_f64 v[53:54], v[53:54], -v[77:78]
	v_fma_f64 v[99:100], v[101:102], v[97:98], v[99:100]
	v_add_f64 v[55:56], v[55:56], -v[99:100]
	;; [unrolled: 8-line block ×15, first 2 shown]
	ds_read2_b64 v[99:102], v125 offset0:86 offset1:87
	s_waitcnt lgkmcnt(0)
	v_mul_f64 v[77:78], v[101:102], v[115:116]
	v_fma_f64 v[77:78], v[99:100], v[97:98], -v[77:78]
	v_mul_f64 v[99:100], v[99:100], v[115:116]
	v_add_f64 v[65:66], v[65:66], -v[77:78]
	v_fma_f64 v[99:100], v[101:102], v[97:98], v[99:100]
	v_mov_b32_e32 v77, v89
	v_mov_b32_e32 v78, v90
	v_add_f64 v[67:68], v[67:68], -v[99:100]
.LBB87_217:
	s_or_b64 exec, exec, s[2:3]
	v_cmp_eq_u32_e32 vcc, 24, v0
	s_waitcnt vmcnt(0)
	s_barrier
	s_and_saveexec_b64 s[4:5], vcc
	s_cbranch_execz .LBB87_224
; %bb.218:
	ds_write2_b64 v127, v[93:94], v[95:96] offset1:1
	buffer_load_dword v69, off, s[20:23], 0 offset:32 ; 4-byte Folded Reload
	buffer_load_dword v70, off, s[20:23], 0 offset:36 ; 4-byte Folded Reload
	;; [unrolled: 1-line block ×4, first 2 shown]
	v_mov_b32_e32 v61, v65
	v_mov_b32_e32 v62, v66
	;; [unrolled: 1-line block ×4, first 2 shown]
	s_waitcnt vmcnt(0)
	ds_write2_b64 v125, v[69:70], v[71:72] offset0:50 offset1:51
	buffer_load_dword v65, off, s[20:23], 0 offset:16 ; 4-byte Folded Reload
	buffer_load_dword v66, off, s[20:23], 0 offset:20 ; 4-byte Folded Reload
	;; [unrolled: 1-line block ×4, first 2 shown]
	s_waitcnt vmcnt(0)
	ds_write2_b64 v125, v[65:66], v[67:68] offset0:52 offset1:53
	v_mov_b32_e32 v68, v64
	v_mov_b32_e32 v67, v63
	;; [unrolled: 1-line block ×4, first 2 shown]
	buffer_load_dword v61, off, s[20:23], 0 ; 4-byte Folded Reload
	buffer_load_dword v62, off, s[20:23], 0 offset:4 ; 4-byte Folded Reload
	buffer_load_dword v63, off, s[20:23], 0 offset:8 ; 4-byte Folded Reload
	;; [unrolled: 1-line block ×3, first 2 shown]
	s_waitcnt vmcnt(0)
	ds_write2_b64 v125, v[61:62], v[63:64] offset0:54 offset1:55
	ds_write2_b64 v125, v[57:58], v[59:60] offset0:56 offset1:57
	ds_write2_b64 v125, v[53:54], v[55:56] offset0:58 offset1:59
	ds_write2_b64 v125, v[49:50], v[51:52] offset0:60 offset1:61
	ds_write2_b64 v125, v[45:46], v[47:48] offset0:62 offset1:63
	ds_write2_b64 v125, v[41:42], v[43:44] offset0:64 offset1:65
	ds_write2_b64 v125, v[37:38], v[39:40] offset0:66 offset1:67
	ds_write2_b64 v125, v[33:34], v[35:36] offset0:68 offset1:69
	ds_write2_b64 v125, v[29:30], v[31:32] offset0:70 offset1:71
	ds_write2_b64 v125, v[25:26], v[27:28] offset0:72 offset1:73
	ds_write2_b64 v125, v[21:22], v[23:24] offset0:74 offset1:75
	ds_write2_b64 v125, v[17:18], v[19:20] offset0:76 offset1:77
	ds_write2_b64 v125, v[13:14], v[15:16] offset0:78 offset1:79
	ds_write2_b64 v125, v[9:10], v[11:12] offset0:80 offset1:81
	ds_write2_b64 v125, v[5:6], v[7:8] offset0:82 offset1:83
	ds_write2_b64 v125, v[1:2], v[3:4] offset0:84 offset1:85
	ds_write2_b64 v125, v[65:66], v[67:68] offset0:86 offset1:87
	ds_read2_b64 v[97:100], v127 offset1:1
	s_waitcnt lgkmcnt(0)
	v_cmp_neq_f64_e32 vcc, 0, v[97:98]
	v_cmp_neq_f64_e64 s[2:3], 0, v[99:100]
	s_or_b64 s[2:3], vcc, s[2:3]
	s_and_b64 exec, exec, s[2:3]
	s_cbranch_execz .LBB87_224
; %bb.219:
	v_cmp_ngt_f64_e64 s[2:3], |v[97:98]|, |v[99:100]|
                                        ; implicit-def: $vgpr101_vgpr102
	s_and_saveexec_b64 s[6:7], s[2:3]
	s_xor_b64 s[2:3], exec, s[6:7]
                                        ; implicit-def: $vgpr103_vgpr104
	s_cbranch_execz .LBB87_221
; %bb.220:
	v_div_scale_f64 v[101:102], s[6:7], v[99:100], v[99:100], v[97:98]
	v_rcp_f64_e32 v[103:104], v[101:102]
	v_fma_f64 v[105:106], -v[101:102], v[103:104], 1.0
	v_fma_f64 v[103:104], v[103:104], v[105:106], v[103:104]
	v_div_scale_f64 v[105:106], vcc, v[97:98], v[99:100], v[97:98]
	v_fma_f64 v[107:108], -v[101:102], v[103:104], 1.0
	v_fma_f64 v[103:104], v[103:104], v[107:108], v[103:104]
	v_mul_f64 v[107:108], v[105:106], v[103:104]
	v_fma_f64 v[101:102], -v[101:102], v[107:108], v[105:106]
	v_div_fmas_f64 v[101:102], v[101:102], v[103:104], v[107:108]
	v_div_fixup_f64 v[101:102], v[101:102], v[99:100], v[97:98]
	v_fma_f64 v[97:98], v[97:98], v[101:102], v[99:100]
	v_div_scale_f64 v[99:100], s[6:7], v[97:98], v[97:98], 1.0
	v_div_scale_f64 v[107:108], vcc, 1.0, v[97:98], 1.0
	v_rcp_f64_e32 v[103:104], v[99:100]
	v_fma_f64 v[105:106], -v[99:100], v[103:104], 1.0
	v_fma_f64 v[103:104], v[103:104], v[105:106], v[103:104]
	v_fma_f64 v[105:106], -v[99:100], v[103:104], 1.0
	v_fma_f64 v[103:104], v[103:104], v[105:106], v[103:104]
	v_mul_f64 v[105:106], v[107:108], v[103:104]
	v_fma_f64 v[99:100], -v[99:100], v[105:106], v[107:108]
	v_div_fmas_f64 v[99:100], v[99:100], v[103:104], v[105:106]
	v_div_fixup_f64 v[103:104], v[99:100], v[97:98], 1.0
                                        ; implicit-def: $vgpr97_vgpr98
	v_mul_f64 v[101:102], v[101:102], v[103:104]
	v_xor_b32_e32 v104, 0x80000000, v104
.LBB87_221:
	s_andn2_saveexec_b64 s[2:3], s[2:3]
	s_cbranch_execz .LBB87_223
; %bb.222:
	v_div_scale_f64 v[101:102], s[6:7], v[97:98], v[97:98], v[99:100]
	v_rcp_f64_e32 v[103:104], v[101:102]
	v_fma_f64 v[105:106], -v[101:102], v[103:104], 1.0
	v_fma_f64 v[103:104], v[103:104], v[105:106], v[103:104]
	v_div_scale_f64 v[105:106], vcc, v[99:100], v[97:98], v[99:100]
	v_fma_f64 v[107:108], -v[101:102], v[103:104], 1.0
	v_fma_f64 v[103:104], v[103:104], v[107:108], v[103:104]
	v_mul_f64 v[107:108], v[105:106], v[103:104]
	v_fma_f64 v[101:102], -v[101:102], v[107:108], v[105:106]
	v_div_fmas_f64 v[101:102], v[101:102], v[103:104], v[107:108]
	v_div_fixup_f64 v[103:104], v[101:102], v[97:98], v[99:100]
	v_fma_f64 v[97:98], v[99:100], v[103:104], v[97:98]
	v_div_scale_f64 v[99:100], s[6:7], v[97:98], v[97:98], 1.0
	v_div_scale_f64 v[107:108], vcc, 1.0, v[97:98], 1.0
	v_rcp_f64_e32 v[101:102], v[99:100]
	v_fma_f64 v[105:106], -v[99:100], v[101:102], 1.0
	v_fma_f64 v[101:102], v[101:102], v[105:106], v[101:102]
	v_fma_f64 v[105:106], -v[99:100], v[101:102], 1.0
	v_fma_f64 v[101:102], v[101:102], v[105:106], v[101:102]
	v_mul_f64 v[105:106], v[107:108], v[101:102]
	v_fma_f64 v[99:100], -v[99:100], v[105:106], v[107:108]
	v_div_fmas_f64 v[99:100], v[99:100], v[101:102], v[105:106]
	v_div_fixup_f64 v[101:102], v[99:100], v[97:98], 1.0
	v_mul_f64 v[103:104], v[103:104], -v[101:102]
.LBB87_223:
	s_or_b64 exec, exec, s[2:3]
	ds_write2_b64 v127, v[101:102], v[103:104] offset1:1
.LBB87_224:
	s_or_b64 exec, exec, s[4:5]
	s_waitcnt lgkmcnt(0)
	s_barrier
	ds_read2_b64 v[61:64], v127 offset1:1
	v_cmp_lt_u32_e32 vcc, 24, v0
	s_waitcnt lgkmcnt(0)
	buffer_store_dword v61, off, s[20:23], 0 offset:1064 ; 4-byte Folded Spill
	s_nop 0
	buffer_store_dword v62, off, s[20:23], 0 offset:1068 ; 4-byte Folded Spill
	buffer_store_dword v63, off, s[20:23], 0 offset:1072 ; 4-byte Folded Spill
	;; [unrolled: 1-line block ×3, first 2 shown]
	s_and_saveexec_b64 s[2:3], vcc
	s_cbranch_execz .LBB87_226
; %bb.225:
	buffer_load_dword v61, off, s[20:23], 0 offset:1064 ; 4-byte Folded Reload
	buffer_load_dword v62, off, s[20:23], 0 offset:1068 ; 4-byte Folded Reload
	;; [unrolled: 1-line block ×4, first 2 shown]
	ds_read2_b64 v[99:102], v125 offset0:50 offset1:51
	buffer_load_dword v69, off, s[20:23], 0 offset:32 ; 4-byte Folded Reload
	buffer_load_dword v70, off, s[20:23], 0 offset:36 ; 4-byte Folded Reload
	;; [unrolled: 1-line block ×4, first 2 shown]
	v_mov_b32_e32 v73, v75
	v_mov_b32_e32 v74, v76
	s_waitcnt vmcnt(6)
	v_mul_f64 v[75:76], v[61:62], v[95:96]
	s_waitcnt vmcnt(4)
	v_mul_f64 v[97:98], v[63:64], v[95:96]
	v_fma_f64 v[95:96], v[63:64], v[93:94], v[75:76]
	v_mov_b32_e32 v76, v74
	v_fma_f64 v[97:98], v[61:62], v[93:94], -v[97:98]
	v_mov_b32_e32 v75, v73
	v_mov_b32_e32 v61, v65
	;; [unrolled: 1-line block ×5, first 2 shown]
	s_waitcnt lgkmcnt(0)
	v_mul_f64 v[73:74], v[101:102], v[95:96]
	v_mov_b32_e32 v93, v97
	v_mov_b32_e32 v94, v98
	v_fma_f64 v[73:74], v[99:100], v[97:98], -v[73:74]
	v_mul_f64 v[99:100], v[99:100], v[95:96]
	s_waitcnt vmcnt(2)
	v_add_f64 v[69:70], v[69:70], -v[73:74]
	v_fma_f64 v[99:100], v[101:102], v[97:98], v[99:100]
	s_waitcnt vmcnt(0)
	v_add_f64 v[71:72], v[71:72], -v[99:100]
	buffer_store_dword v69, off, s[20:23], 0 offset:32 ; 4-byte Folded Spill
	s_nop 0
	buffer_store_dword v70, off, s[20:23], 0 offset:36 ; 4-byte Folded Spill
	buffer_store_dword v71, off, s[20:23], 0 offset:40 ; 4-byte Folded Spill
	;; [unrolled: 1-line block ×3, first 2 shown]
	ds_read2_b64 v[99:102], v125 offset0:52 offset1:53
	buffer_load_dword v65, off, s[20:23], 0 offset:16 ; 4-byte Folded Reload
	buffer_load_dword v66, off, s[20:23], 0 offset:20 ; 4-byte Folded Reload
	;; [unrolled: 1-line block ×4, first 2 shown]
	s_waitcnt lgkmcnt(0)
	v_mul_f64 v[73:74], v[101:102], v[95:96]
	v_fma_f64 v[73:74], v[99:100], v[97:98], -v[73:74]
	v_mul_f64 v[99:100], v[99:100], v[95:96]
	v_fma_f64 v[99:100], v[101:102], v[97:98], v[99:100]
	s_waitcnt vmcnt(2)
	v_add_f64 v[65:66], v[65:66], -v[73:74]
	s_waitcnt vmcnt(0)
	v_add_f64 v[67:68], v[67:68], -v[99:100]
	buffer_store_dword v65, off, s[20:23], 0 offset:16 ; 4-byte Folded Spill
	s_nop 0
	buffer_store_dword v66, off, s[20:23], 0 offset:20 ; 4-byte Folded Spill
	buffer_store_dword v67, off, s[20:23], 0 offset:24 ; 4-byte Folded Spill
	;; [unrolled: 1-line block ×3, first 2 shown]
	v_mov_b32_e32 v68, v64
	v_mov_b32_e32 v67, v63
	;; [unrolled: 1-line block ×4, first 2 shown]
	ds_read2_b64 v[99:102], v125 offset0:54 offset1:55
	buffer_load_dword v61, off, s[20:23], 0 ; 4-byte Folded Reload
	buffer_load_dword v62, off, s[20:23], 0 offset:4 ; 4-byte Folded Reload
	buffer_load_dword v63, off, s[20:23], 0 offset:8 ; 4-byte Folded Reload
	;; [unrolled: 1-line block ×3, first 2 shown]
	s_waitcnt lgkmcnt(0)
	v_mul_f64 v[73:74], v[101:102], v[95:96]
	v_fma_f64 v[73:74], v[99:100], v[97:98], -v[73:74]
	v_mul_f64 v[99:100], v[99:100], v[95:96]
	v_fma_f64 v[99:100], v[101:102], v[97:98], v[99:100]
	s_waitcnt vmcnt(2)
	v_add_f64 v[61:62], v[61:62], -v[73:74]
	s_waitcnt vmcnt(0)
	v_add_f64 v[63:64], v[63:64], -v[99:100]
	buffer_store_dword v61, off, s[20:23], 0 ; 4-byte Folded Spill
	s_nop 0
	buffer_store_dword v62, off, s[20:23], 0 offset:4 ; 4-byte Folded Spill
	buffer_store_dword v63, off, s[20:23], 0 offset:8 ; 4-byte Folded Spill
	;; [unrolled: 1-line block ×3, first 2 shown]
	ds_read2_b64 v[99:102], v125 offset0:56 offset1:57
	s_waitcnt lgkmcnt(0)
	v_mul_f64 v[73:74], v[101:102], v[95:96]
	v_fma_f64 v[73:74], v[99:100], v[97:98], -v[73:74]
	v_mul_f64 v[99:100], v[99:100], v[95:96]
	v_add_f64 v[57:58], v[57:58], -v[73:74]
	v_fma_f64 v[99:100], v[101:102], v[97:98], v[99:100]
	v_add_f64 v[59:60], v[59:60], -v[99:100]
	ds_read2_b64 v[99:102], v125 offset0:58 offset1:59
	s_waitcnt lgkmcnt(0)
	v_mul_f64 v[73:74], v[101:102], v[95:96]
	v_fma_f64 v[73:74], v[99:100], v[97:98], -v[73:74]
	v_mul_f64 v[99:100], v[99:100], v[95:96]
	v_add_f64 v[53:54], v[53:54], -v[73:74]
	v_fma_f64 v[99:100], v[101:102], v[97:98], v[99:100]
	v_add_f64 v[55:56], v[55:56], -v[99:100]
	;; [unrolled: 8-line block ×16, first 2 shown]
.LBB87_226:
	s_or_b64 exec, exec, s[2:3]
	v_cmp_eq_u32_e32 vcc, 25, v0
	s_waitcnt vmcnt(0)
	s_barrier
	s_and_saveexec_b64 s[4:5], vcc
	s_cbranch_execz .LBB87_233
; %bb.227:
	buffer_load_dword v69, off, s[20:23], 0 offset:32 ; 4-byte Folded Reload
	buffer_load_dword v70, off, s[20:23], 0 offset:36 ; 4-byte Folded Reload
	;; [unrolled: 1-line block ×4, first 2 shown]
	v_mov_b32_e32 v61, v65
	v_mov_b32_e32 v62, v66
	;; [unrolled: 1-line block ×4, first 2 shown]
	s_waitcnt vmcnt(0)
	ds_write2_b64 v127, v[69:70], v[71:72] offset1:1
	buffer_load_dword v65, off, s[20:23], 0 offset:16 ; 4-byte Folded Reload
	buffer_load_dword v66, off, s[20:23], 0 offset:20 ; 4-byte Folded Reload
	;; [unrolled: 1-line block ×4, first 2 shown]
	s_waitcnt vmcnt(0)
	ds_write2_b64 v125, v[65:66], v[67:68] offset0:52 offset1:53
	v_mov_b32_e32 v68, v64
	v_mov_b32_e32 v67, v63
	v_mov_b32_e32 v66, v62
	v_mov_b32_e32 v65, v61
	buffer_load_dword v61, off, s[20:23], 0 ; 4-byte Folded Reload
	buffer_load_dword v62, off, s[20:23], 0 offset:4 ; 4-byte Folded Reload
	buffer_load_dword v63, off, s[20:23], 0 offset:8 ; 4-byte Folded Reload
	;; [unrolled: 1-line block ×3, first 2 shown]
	s_waitcnt vmcnt(0)
	ds_write2_b64 v125, v[61:62], v[63:64] offset0:54 offset1:55
	ds_write2_b64 v125, v[57:58], v[59:60] offset0:56 offset1:57
	;; [unrolled: 1-line block ×17, first 2 shown]
	ds_read2_b64 v[97:100], v127 offset1:1
	s_waitcnt lgkmcnt(0)
	v_cmp_neq_f64_e32 vcc, 0, v[97:98]
	v_cmp_neq_f64_e64 s[2:3], 0, v[99:100]
	s_or_b64 s[2:3], vcc, s[2:3]
	s_and_b64 exec, exec, s[2:3]
	s_cbranch_execz .LBB87_233
; %bb.228:
	v_cmp_ngt_f64_e64 s[2:3], |v[97:98]|, |v[99:100]|
                                        ; implicit-def: $vgpr101_vgpr102
	s_and_saveexec_b64 s[6:7], s[2:3]
	s_xor_b64 s[2:3], exec, s[6:7]
                                        ; implicit-def: $vgpr103_vgpr104
	s_cbranch_execz .LBB87_230
; %bb.229:
	v_div_scale_f64 v[101:102], s[6:7], v[99:100], v[99:100], v[97:98]
	v_rcp_f64_e32 v[103:104], v[101:102]
	v_fma_f64 v[105:106], -v[101:102], v[103:104], 1.0
	v_fma_f64 v[103:104], v[103:104], v[105:106], v[103:104]
	v_div_scale_f64 v[105:106], vcc, v[97:98], v[99:100], v[97:98]
	v_fma_f64 v[107:108], -v[101:102], v[103:104], 1.0
	v_fma_f64 v[103:104], v[103:104], v[107:108], v[103:104]
	v_mul_f64 v[107:108], v[105:106], v[103:104]
	v_fma_f64 v[101:102], -v[101:102], v[107:108], v[105:106]
	v_div_fmas_f64 v[101:102], v[101:102], v[103:104], v[107:108]
	v_div_fixup_f64 v[101:102], v[101:102], v[99:100], v[97:98]
	v_fma_f64 v[97:98], v[97:98], v[101:102], v[99:100]
	v_div_scale_f64 v[99:100], s[6:7], v[97:98], v[97:98], 1.0
	v_div_scale_f64 v[107:108], vcc, 1.0, v[97:98], 1.0
	v_rcp_f64_e32 v[103:104], v[99:100]
	v_fma_f64 v[105:106], -v[99:100], v[103:104], 1.0
	v_fma_f64 v[103:104], v[103:104], v[105:106], v[103:104]
	v_fma_f64 v[105:106], -v[99:100], v[103:104], 1.0
	v_fma_f64 v[103:104], v[103:104], v[105:106], v[103:104]
	v_mul_f64 v[105:106], v[107:108], v[103:104]
	v_fma_f64 v[99:100], -v[99:100], v[105:106], v[107:108]
	v_div_fmas_f64 v[99:100], v[99:100], v[103:104], v[105:106]
	v_div_fixup_f64 v[103:104], v[99:100], v[97:98], 1.0
                                        ; implicit-def: $vgpr97_vgpr98
	v_mul_f64 v[101:102], v[101:102], v[103:104]
	v_xor_b32_e32 v104, 0x80000000, v104
.LBB87_230:
	s_andn2_saveexec_b64 s[2:3], s[2:3]
	s_cbranch_execz .LBB87_232
; %bb.231:
	v_div_scale_f64 v[101:102], s[6:7], v[97:98], v[97:98], v[99:100]
	v_rcp_f64_e32 v[103:104], v[101:102]
	v_fma_f64 v[105:106], -v[101:102], v[103:104], 1.0
	v_fma_f64 v[103:104], v[103:104], v[105:106], v[103:104]
	v_div_scale_f64 v[105:106], vcc, v[99:100], v[97:98], v[99:100]
	v_fma_f64 v[107:108], -v[101:102], v[103:104], 1.0
	v_fma_f64 v[103:104], v[103:104], v[107:108], v[103:104]
	v_mul_f64 v[107:108], v[105:106], v[103:104]
	v_fma_f64 v[101:102], -v[101:102], v[107:108], v[105:106]
	v_div_fmas_f64 v[101:102], v[101:102], v[103:104], v[107:108]
	v_div_fixup_f64 v[103:104], v[101:102], v[97:98], v[99:100]
	v_fma_f64 v[97:98], v[99:100], v[103:104], v[97:98]
	v_div_scale_f64 v[99:100], s[6:7], v[97:98], v[97:98], 1.0
	v_div_scale_f64 v[107:108], vcc, 1.0, v[97:98], 1.0
	v_rcp_f64_e32 v[101:102], v[99:100]
	v_fma_f64 v[105:106], -v[99:100], v[101:102], 1.0
	v_fma_f64 v[101:102], v[101:102], v[105:106], v[101:102]
	v_fma_f64 v[105:106], -v[99:100], v[101:102], 1.0
	v_fma_f64 v[101:102], v[101:102], v[105:106], v[101:102]
	v_mul_f64 v[105:106], v[107:108], v[101:102]
	v_fma_f64 v[99:100], -v[99:100], v[105:106], v[107:108]
	v_div_fmas_f64 v[99:100], v[99:100], v[101:102], v[105:106]
	v_div_fixup_f64 v[101:102], v[99:100], v[97:98], 1.0
	v_mul_f64 v[103:104], v[103:104], -v[101:102]
.LBB87_232:
	s_or_b64 exec, exec, s[2:3]
	ds_write2_b64 v127, v[101:102], v[103:104] offset1:1
.LBB87_233:
	s_or_b64 exec, exec, s[4:5]
	s_waitcnt lgkmcnt(0)
	s_barrier
	ds_read2_b64 v[61:64], v127 offset1:1
	v_cmp_lt_u32_e32 vcc, 25, v0
	s_waitcnt lgkmcnt(0)
	buffer_store_dword v61, off, s[20:23], 0 offset:1080 ; 4-byte Folded Spill
	s_nop 0
	buffer_store_dword v62, off, s[20:23], 0 offset:1084 ; 4-byte Folded Spill
	buffer_store_dword v63, off, s[20:23], 0 offset:1088 ; 4-byte Folded Spill
	;; [unrolled: 1-line block ×3, first 2 shown]
	s_and_saveexec_b64 s[2:3], vcc
	s_cbranch_execz .LBB87_235
; %bb.234:
	buffer_load_dword v69, off, s[20:23], 0 offset:32 ; 4-byte Folded Reload
	buffer_load_dword v70, off, s[20:23], 0 offset:36 ; 4-byte Folded Reload
	;; [unrolled: 1-line block ×8, first 2 shown]
	ds_read2_b64 v[99:102], v125 offset0:52 offset1:53
	s_waitcnt vmcnt(0)
	v_mul_f64 v[97:98], v[63:64], v[71:72]
	v_mul_f64 v[71:72], v[61:62], v[71:72]
	v_fma_f64 v[97:98], v[61:62], v[69:70], -v[97:98]
	v_fma_f64 v[71:72], v[63:64], v[69:70], v[71:72]
	v_mov_b32_e32 v61, v65
	v_mov_b32_e32 v62, v66
	;; [unrolled: 1-line block ×4, first 2 shown]
	buffer_load_dword v65, off, s[20:23], 0 offset:16 ; 4-byte Folded Reload
	buffer_load_dword v66, off, s[20:23], 0 offset:20 ; 4-byte Folded Reload
	;; [unrolled: 1-line block ×4, first 2 shown]
	s_waitcnt lgkmcnt(0)
	v_mul_f64 v[69:70], v[101:102], v[71:72]
	v_fma_f64 v[69:70], v[99:100], v[97:98], -v[69:70]
	v_mul_f64 v[99:100], v[99:100], v[71:72]
	v_fma_f64 v[99:100], v[101:102], v[97:98], v[99:100]
	s_waitcnt vmcnt(2)
	v_add_f64 v[65:66], v[65:66], -v[69:70]
	s_waitcnt vmcnt(0)
	v_add_f64 v[67:68], v[67:68], -v[99:100]
	buffer_store_dword v65, off, s[20:23], 0 offset:16 ; 4-byte Folded Spill
	s_nop 0
	buffer_store_dword v66, off, s[20:23], 0 offset:20 ; 4-byte Folded Spill
	buffer_store_dword v67, off, s[20:23], 0 offset:24 ; 4-byte Folded Spill
	;; [unrolled: 1-line block ×3, first 2 shown]
	v_mov_b32_e32 v68, v64
	v_mov_b32_e32 v67, v63
	;; [unrolled: 1-line block ×4, first 2 shown]
	ds_read2_b64 v[99:102], v125 offset0:54 offset1:55
	buffer_load_dword v61, off, s[20:23], 0 ; 4-byte Folded Reload
	buffer_load_dword v62, off, s[20:23], 0 offset:4 ; 4-byte Folded Reload
	buffer_load_dword v63, off, s[20:23], 0 offset:8 ; 4-byte Folded Reload
	;; [unrolled: 1-line block ×3, first 2 shown]
	s_waitcnt lgkmcnt(0)
	v_mul_f64 v[69:70], v[101:102], v[71:72]
	v_fma_f64 v[69:70], v[99:100], v[97:98], -v[69:70]
	v_mul_f64 v[99:100], v[99:100], v[71:72]
	v_fma_f64 v[99:100], v[101:102], v[97:98], v[99:100]
	s_waitcnt vmcnt(2)
	v_add_f64 v[61:62], v[61:62], -v[69:70]
	s_waitcnt vmcnt(0)
	v_add_f64 v[63:64], v[63:64], -v[99:100]
	buffer_store_dword v61, off, s[20:23], 0 ; 4-byte Folded Spill
	s_nop 0
	buffer_store_dword v62, off, s[20:23], 0 offset:4 ; 4-byte Folded Spill
	buffer_store_dword v63, off, s[20:23], 0 offset:8 ; 4-byte Folded Spill
	;; [unrolled: 1-line block ×3, first 2 shown]
	ds_read2_b64 v[99:102], v125 offset0:56 offset1:57
	s_waitcnt lgkmcnt(0)
	v_mul_f64 v[69:70], v[101:102], v[71:72]
	v_fma_f64 v[69:70], v[99:100], v[97:98], -v[69:70]
	v_mul_f64 v[99:100], v[99:100], v[71:72]
	v_add_f64 v[57:58], v[57:58], -v[69:70]
	v_fma_f64 v[99:100], v[101:102], v[97:98], v[99:100]
	v_add_f64 v[59:60], v[59:60], -v[99:100]
	ds_read2_b64 v[99:102], v125 offset0:58 offset1:59
	s_waitcnt lgkmcnt(0)
	v_mul_f64 v[69:70], v[101:102], v[71:72]
	v_fma_f64 v[69:70], v[99:100], v[97:98], -v[69:70]
	v_mul_f64 v[99:100], v[99:100], v[71:72]
	v_add_f64 v[53:54], v[53:54], -v[69:70]
	v_fma_f64 v[99:100], v[101:102], v[97:98], v[99:100]
	v_add_f64 v[55:56], v[55:56], -v[99:100]
	;; [unrolled: 8-line block ×15, first 2 shown]
	ds_read2_b64 v[99:102], v125 offset0:86 offset1:87
	s_waitcnt lgkmcnt(0)
	v_mul_f64 v[69:70], v[101:102], v[71:72]
	v_fma_f64 v[69:70], v[99:100], v[97:98], -v[69:70]
	v_mul_f64 v[99:100], v[99:100], v[71:72]
	v_add_f64 v[65:66], v[65:66], -v[69:70]
	v_fma_f64 v[99:100], v[101:102], v[97:98], v[99:100]
	v_mov_b32_e32 v69, v97
	v_mov_b32_e32 v70, v98
	buffer_store_dword v69, off, s[20:23], 0 offset:32 ; 4-byte Folded Spill
	s_nop 0
	buffer_store_dword v70, off, s[20:23], 0 offset:36 ; 4-byte Folded Spill
	buffer_store_dword v71, off, s[20:23], 0 offset:40 ; 4-byte Folded Spill
	;; [unrolled: 1-line block ×3, first 2 shown]
	v_add_f64 v[67:68], v[67:68], -v[99:100]
.LBB87_235:
	s_or_b64 exec, exec, s[2:3]
	v_cmp_eq_u32_e32 vcc, 26, v0
	s_waitcnt vmcnt(0)
	s_barrier
	s_and_saveexec_b64 s[4:5], vcc
	s_cbranch_execz .LBB87_242
; %bb.236:
	v_mov_b32_e32 v61, v65
	v_mov_b32_e32 v62, v66
	;; [unrolled: 1-line block ×4, first 2 shown]
	buffer_load_dword v65, off, s[20:23], 0 offset:16 ; 4-byte Folded Reload
	buffer_load_dword v66, off, s[20:23], 0 offset:20 ; 4-byte Folded Reload
	;; [unrolled: 1-line block ×4, first 2 shown]
	s_waitcnt vmcnt(0)
	ds_write2_b64 v127, v[65:66], v[67:68] offset1:1
	v_mov_b32_e32 v68, v64
	v_mov_b32_e32 v67, v63
	;; [unrolled: 1-line block ×4, first 2 shown]
	buffer_load_dword v61, off, s[20:23], 0 ; 4-byte Folded Reload
	buffer_load_dword v62, off, s[20:23], 0 offset:4 ; 4-byte Folded Reload
	buffer_load_dword v63, off, s[20:23], 0 offset:8 ; 4-byte Folded Reload
	;; [unrolled: 1-line block ×3, first 2 shown]
	s_waitcnt vmcnt(0)
	ds_write2_b64 v125, v[61:62], v[63:64] offset0:54 offset1:55
	ds_write2_b64 v125, v[57:58], v[59:60] offset0:56 offset1:57
	;; [unrolled: 1-line block ×17, first 2 shown]
	ds_read2_b64 v[97:100], v127 offset1:1
	s_waitcnt lgkmcnt(0)
	v_cmp_neq_f64_e32 vcc, 0, v[97:98]
	v_cmp_neq_f64_e64 s[2:3], 0, v[99:100]
	s_or_b64 s[2:3], vcc, s[2:3]
	s_and_b64 exec, exec, s[2:3]
	s_cbranch_execz .LBB87_242
; %bb.237:
	v_cmp_ngt_f64_e64 s[2:3], |v[97:98]|, |v[99:100]|
                                        ; implicit-def: $vgpr101_vgpr102
	s_and_saveexec_b64 s[6:7], s[2:3]
	s_xor_b64 s[2:3], exec, s[6:7]
                                        ; implicit-def: $vgpr103_vgpr104
	s_cbranch_execz .LBB87_239
; %bb.238:
	v_div_scale_f64 v[101:102], s[6:7], v[99:100], v[99:100], v[97:98]
	v_rcp_f64_e32 v[103:104], v[101:102]
	v_fma_f64 v[105:106], -v[101:102], v[103:104], 1.0
	v_fma_f64 v[103:104], v[103:104], v[105:106], v[103:104]
	v_div_scale_f64 v[105:106], vcc, v[97:98], v[99:100], v[97:98]
	v_fma_f64 v[107:108], -v[101:102], v[103:104], 1.0
	v_fma_f64 v[103:104], v[103:104], v[107:108], v[103:104]
	v_mul_f64 v[107:108], v[105:106], v[103:104]
	v_fma_f64 v[101:102], -v[101:102], v[107:108], v[105:106]
	v_div_fmas_f64 v[101:102], v[101:102], v[103:104], v[107:108]
	v_div_fixup_f64 v[101:102], v[101:102], v[99:100], v[97:98]
	v_fma_f64 v[97:98], v[97:98], v[101:102], v[99:100]
	v_div_scale_f64 v[99:100], s[6:7], v[97:98], v[97:98], 1.0
	v_div_scale_f64 v[107:108], vcc, 1.0, v[97:98], 1.0
	v_rcp_f64_e32 v[103:104], v[99:100]
	v_fma_f64 v[105:106], -v[99:100], v[103:104], 1.0
	v_fma_f64 v[103:104], v[103:104], v[105:106], v[103:104]
	v_fma_f64 v[105:106], -v[99:100], v[103:104], 1.0
	v_fma_f64 v[103:104], v[103:104], v[105:106], v[103:104]
	v_mul_f64 v[105:106], v[107:108], v[103:104]
	v_fma_f64 v[99:100], -v[99:100], v[105:106], v[107:108]
	v_div_fmas_f64 v[99:100], v[99:100], v[103:104], v[105:106]
	v_div_fixup_f64 v[103:104], v[99:100], v[97:98], 1.0
                                        ; implicit-def: $vgpr97_vgpr98
	v_mul_f64 v[101:102], v[101:102], v[103:104]
	v_xor_b32_e32 v104, 0x80000000, v104
.LBB87_239:
	s_andn2_saveexec_b64 s[2:3], s[2:3]
	s_cbranch_execz .LBB87_241
; %bb.240:
	v_div_scale_f64 v[101:102], s[6:7], v[97:98], v[97:98], v[99:100]
	v_rcp_f64_e32 v[103:104], v[101:102]
	v_fma_f64 v[105:106], -v[101:102], v[103:104], 1.0
	v_fma_f64 v[103:104], v[103:104], v[105:106], v[103:104]
	v_div_scale_f64 v[105:106], vcc, v[99:100], v[97:98], v[99:100]
	v_fma_f64 v[107:108], -v[101:102], v[103:104], 1.0
	v_fma_f64 v[103:104], v[103:104], v[107:108], v[103:104]
	v_mul_f64 v[107:108], v[105:106], v[103:104]
	v_fma_f64 v[101:102], -v[101:102], v[107:108], v[105:106]
	v_div_fmas_f64 v[101:102], v[101:102], v[103:104], v[107:108]
	v_div_fixup_f64 v[103:104], v[101:102], v[97:98], v[99:100]
	v_fma_f64 v[97:98], v[99:100], v[103:104], v[97:98]
	v_div_scale_f64 v[99:100], s[6:7], v[97:98], v[97:98], 1.0
	v_div_scale_f64 v[107:108], vcc, 1.0, v[97:98], 1.0
	v_rcp_f64_e32 v[101:102], v[99:100]
	v_fma_f64 v[105:106], -v[99:100], v[101:102], 1.0
	v_fma_f64 v[101:102], v[101:102], v[105:106], v[101:102]
	v_fma_f64 v[105:106], -v[99:100], v[101:102], 1.0
	v_fma_f64 v[101:102], v[101:102], v[105:106], v[101:102]
	v_mul_f64 v[105:106], v[107:108], v[101:102]
	v_fma_f64 v[99:100], -v[99:100], v[105:106], v[107:108]
	v_div_fmas_f64 v[99:100], v[99:100], v[101:102], v[105:106]
	v_div_fixup_f64 v[101:102], v[99:100], v[97:98], 1.0
	v_mul_f64 v[103:104], v[103:104], -v[101:102]
.LBB87_241:
	s_or_b64 exec, exec, s[2:3]
	ds_write2_b64 v127, v[101:102], v[103:104] offset1:1
.LBB87_242:
	s_or_b64 exec, exec, s[4:5]
	s_waitcnt lgkmcnt(0)
	s_barrier
	ds_read2_b64 v[61:64], v127 offset1:1
	v_cmp_lt_u32_e32 vcc, 26, v0
	s_waitcnt lgkmcnt(0)
	buffer_store_dword v61, off, s[20:23], 0 offset:1096 ; 4-byte Folded Spill
	s_nop 0
	buffer_store_dword v62, off, s[20:23], 0 offset:1100 ; 4-byte Folded Spill
	buffer_store_dword v63, off, s[20:23], 0 offset:1104 ; 4-byte Folded Spill
	;; [unrolled: 1-line block ×3, first 2 shown]
	s_and_saveexec_b64 s[2:3], vcc
	s_cbranch_execz .LBB87_244
; %bb.243:
	v_mov_b32_e32 v72, v68
	v_mov_b32_e32 v71, v67
	;; [unrolled: 1-line block ×4, first 2 shown]
	buffer_load_dword v65, off, s[20:23], 0 offset:16 ; 4-byte Folded Reload
	buffer_load_dword v66, off, s[20:23], 0 offset:20 ; 4-byte Folded Reload
	;; [unrolled: 1-line block ×8, first 2 shown]
	ds_read2_b64 v[99:102], v125 offset0:54 offset1:55
	s_waitcnt vmcnt(0)
	v_mul_f64 v[97:98], v[63:64], v[67:68]
	v_mul_f64 v[67:68], v[61:62], v[67:68]
	v_fma_f64 v[97:98], v[61:62], v[65:66], -v[97:98]
	v_fma_f64 v[67:68], v[63:64], v[65:66], v[67:68]
	buffer_load_dword v61, off, s[20:23], 0 ; 4-byte Folded Reload
	buffer_load_dword v62, off, s[20:23], 0 offset:4 ; 4-byte Folded Reload
	buffer_load_dword v63, off, s[20:23], 0 offset:8 ; 4-byte Folded Reload
	;; [unrolled: 1-line block ×3, first 2 shown]
	s_waitcnt lgkmcnt(0)
	v_mul_f64 v[65:66], v[101:102], v[67:68]
	v_fma_f64 v[65:66], v[99:100], v[97:98], -v[65:66]
	v_mul_f64 v[99:100], v[99:100], v[67:68]
	v_fma_f64 v[99:100], v[101:102], v[97:98], v[99:100]
	s_waitcnt vmcnt(2)
	v_add_f64 v[61:62], v[61:62], -v[65:66]
	s_waitcnt vmcnt(0)
	v_add_f64 v[63:64], v[63:64], -v[99:100]
	buffer_store_dword v61, off, s[20:23], 0 ; 4-byte Folded Spill
	s_nop 0
	buffer_store_dword v62, off, s[20:23], 0 offset:4 ; 4-byte Folded Spill
	buffer_store_dword v63, off, s[20:23], 0 offset:8 ; 4-byte Folded Spill
	;; [unrolled: 1-line block ×3, first 2 shown]
	ds_read2_b64 v[99:102], v125 offset0:56 offset1:57
	s_waitcnt lgkmcnt(0)
	v_mul_f64 v[65:66], v[101:102], v[67:68]
	v_fma_f64 v[65:66], v[99:100], v[97:98], -v[65:66]
	v_mul_f64 v[99:100], v[99:100], v[67:68]
	v_add_f64 v[57:58], v[57:58], -v[65:66]
	v_fma_f64 v[99:100], v[101:102], v[97:98], v[99:100]
	v_add_f64 v[59:60], v[59:60], -v[99:100]
	ds_read2_b64 v[99:102], v125 offset0:58 offset1:59
	s_waitcnt lgkmcnt(0)
	v_mul_f64 v[65:66], v[101:102], v[67:68]
	v_fma_f64 v[65:66], v[99:100], v[97:98], -v[65:66]
	v_mul_f64 v[99:100], v[99:100], v[67:68]
	v_add_f64 v[53:54], v[53:54], -v[65:66]
	v_fma_f64 v[99:100], v[101:102], v[97:98], v[99:100]
	v_add_f64 v[55:56], v[55:56], -v[99:100]
	ds_read2_b64 v[99:102], v125 offset0:60 offset1:61
	s_waitcnt lgkmcnt(0)
	v_mul_f64 v[65:66], v[101:102], v[67:68]
	v_fma_f64 v[65:66], v[99:100], v[97:98], -v[65:66]
	v_mul_f64 v[99:100], v[99:100], v[67:68]
	v_add_f64 v[49:50], v[49:50], -v[65:66]
	v_fma_f64 v[99:100], v[101:102], v[97:98], v[99:100]
	v_add_f64 v[51:52], v[51:52], -v[99:100]
	ds_read2_b64 v[99:102], v125 offset0:62 offset1:63
	s_waitcnt lgkmcnt(0)
	v_mul_f64 v[65:66], v[101:102], v[67:68]
	v_fma_f64 v[65:66], v[99:100], v[97:98], -v[65:66]
	v_mul_f64 v[99:100], v[99:100], v[67:68]
	v_add_f64 v[45:46], v[45:46], -v[65:66]
	v_fma_f64 v[99:100], v[101:102], v[97:98], v[99:100]
	v_add_f64 v[47:48], v[47:48], -v[99:100]
	ds_read2_b64 v[99:102], v125 offset0:64 offset1:65
	s_waitcnt lgkmcnt(0)
	v_mul_f64 v[65:66], v[101:102], v[67:68]
	v_fma_f64 v[65:66], v[99:100], v[97:98], -v[65:66]
	v_mul_f64 v[99:100], v[99:100], v[67:68]
	v_add_f64 v[41:42], v[41:42], -v[65:66]
	v_fma_f64 v[99:100], v[101:102], v[97:98], v[99:100]
	v_add_f64 v[43:44], v[43:44], -v[99:100]
	ds_read2_b64 v[99:102], v125 offset0:66 offset1:67
	s_waitcnt lgkmcnt(0)
	v_mul_f64 v[65:66], v[101:102], v[67:68]
	v_fma_f64 v[65:66], v[99:100], v[97:98], -v[65:66]
	v_mul_f64 v[99:100], v[99:100], v[67:68]
	v_add_f64 v[37:38], v[37:38], -v[65:66]
	v_fma_f64 v[99:100], v[101:102], v[97:98], v[99:100]
	v_add_f64 v[39:40], v[39:40], -v[99:100]
	ds_read2_b64 v[99:102], v125 offset0:68 offset1:69
	s_waitcnt lgkmcnt(0)
	v_mul_f64 v[65:66], v[101:102], v[67:68]
	v_fma_f64 v[65:66], v[99:100], v[97:98], -v[65:66]
	v_mul_f64 v[99:100], v[99:100], v[67:68]
	v_add_f64 v[33:34], v[33:34], -v[65:66]
	v_fma_f64 v[99:100], v[101:102], v[97:98], v[99:100]
	v_add_f64 v[35:36], v[35:36], -v[99:100]
	ds_read2_b64 v[99:102], v125 offset0:70 offset1:71
	s_waitcnt lgkmcnt(0)
	v_mul_f64 v[65:66], v[101:102], v[67:68]
	v_fma_f64 v[65:66], v[99:100], v[97:98], -v[65:66]
	v_mul_f64 v[99:100], v[99:100], v[67:68]
	v_add_f64 v[29:30], v[29:30], -v[65:66]
	v_fma_f64 v[99:100], v[101:102], v[97:98], v[99:100]
	v_add_f64 v[31:32], v[31:32], -v[99:100]
	ds_read2_b64 v[99:102], v125 offset0:72 offset1:73
	s_waitcnt lgkmcnt(0)
	v_mul_f64 v[65:66], v[101:102], v[67:68]
	v_fma_f64 v[65:66], v[99:100], v[97:98], -v[65:66]
	v_mul_f64 v[99:100], v[99:100], v[67:68]
	v_add_f64 v[25:26], v[25:26], -v[65:66]
	v_fma_f64 v[99:100], v[101:102], v[97:98], v[99:100]
	v_add_f64 v[27:28], v[27:28], -v[99:100]
	ds_read2_b64 v[99:102], v125 offset0:74 offset1:75
	s_waitcnt lgkmcnt(0)
	v_mul_f64 v[65:66], v[101:102], v[67:68]
	v_fma_f64 v[65:66], v[99:100], v[97:98], -v[65:66]
	v_mul_f64 v[99:100], v[99:100], v[67:68]
	v_add_f64 v[21:22], v[21:22], -v[65:66]
	v_fma_f64 v[99:100], v[101:102], v[97:98], v[99:100]
	v_add_f64 v[23:24], v[23:24], -v[99:100]
	ds_read2_b64 v[99:102], v125 offset0:76 offset1:77
	s_waitcnt lgkmcnt(0)
	v_mul_f64 v[65:66], v[101:102], v[67:68]
	v_fma_f64 v[65:66], v[99:100], v[97:98], -v[65:66]
	v_mul_f64 v[99:100], v[99:100], v[67:68]
	v_add_f64 v[17:18], v[17:18], -v[65:66]
	v_fma_f64 v[99:100], v[101:102], v[97:98], v[99:100]
	v_add_f64 v[19:20], v[19:20], -v[99:100]
	ds_read2_b64 v[99:102], v125 offset0:78 offset1:79
	s_waitcnt lgkmcnt(0)
	v_mul_f64 v[65:66], v[101:102], v[67:68]
	v_fma_f64 v[65:66], v[99:100], v[97:98], -v[65:66]
	v_mul_f64 v[99:100], v[99:100], v[67:68]
	v_add_f64 v[13:14], v[13:14], -v[65:66]
	v_fma_f64 v[99:100], v[101:102], v[97:98], v[99:100]
	v_add_f64 v[15:16], v[15:16], -v[99:100]
	ds_read2_b64 v[99:102], v125 offset0:80 offset1:81
	s_waitcnt lgkmcnt(0)
	v_mul_f64 v[65:66], v[101:102], v[67:68]
	v_fma_f64 v[65:66], v[99:100], v[97:98], -v[65:66]
	v_mul_f64 v[99:100], v[99:100], v[67:68]
	v_add_f64 v[9:10], v[9:10], -v[65:66]
	v_fma_f64 v[99:100], v[101:102], v[97:98], v[99:100]
	v_add_f64 v[11:12], v[11:12], -v[99:100]
	ds_read2_b64 v[99:102], v125 offset0:82 offset1:83
	s_waitcnt lgkmcnt(0)
	v_mul_f64 v[65:66], v[101:102], v[67:68]
	v_fma_f64 v[65:66], v[99:100], v[97:98], -v[65:66]
	v_mul_f64 v[99:100], v[99:100], v[67:68]
	v_add_f64 v[5:6], v[5:6], -v[65:66]
	v_fma_f64 v[99:100], v[101:102], v[97:98], v[99:100]
	v_add_f64 v[7:8], v[7:8], -v[99:100]
	ds_read2_b64 v[99:102], v125 offset0:84 offset1:85
	s_waitcnt lgkmcnt(0)
	v_mul_f64 v[65:66], v[101:102], v[67:68]
	v_fma_f64 v[65:66], v[99:100], v[97:98], -v[65:66]
	v_mul_f64 v[99:100], v[99:100], v[67:68]
	v_add_f64 v[1:2], v[1:2], -v[65:66]
	v_fma_f64 v[99:100], v[101:102], v[97:98], v[99:100]
	v_add_f64 v[3:4], v[3:4], -v[99:100]
	ds_read2_b64 v[99:102], v125 offset0:86 offset1:87
	s_waitcnt lgkmcnt(0)
	v_mul_f64 v[65:66], v[101:102], v[67:68]
	v_fma_f64 v[65:66], v[99:100], v[97:98], -v[65:66]
	v_mul_f64 v[99:100], v[99:100], v[67:68]
	v_add_f64 v[69:70], v[69:70], -v[65:66]
	v_fma_f64 v[99:100], v[101:102], v[97:98], v[99:100]
	v_mov_b32_e32 v65, v97
	v_mov_b32_e32 v66, v98
	buffer_store_dword v65, off, s[20:23], 0 offset:16 ; 4-byte Folded Spill
	s_nop 0
	buffer_store_dword v66, off, s[20:23], 0 offset:20 ; 4-byte Folded Spill
	buffer_store_dword v67, off, s[20:23], 0 offset:24 ; 4-byte Folded Spill
	;; [unrolled: 1-line block ×3, first 2 shown]
	v_add_f64 v[71:72], v[71:72], -v[99:100]
	v_mov_b32_e32 v65, v69
	v_mov_b32_e32 v66, v70
	;; [unrolled: 1-line block ×4, first 2 shown]
.LBB87_244:
	s_or_b64 exec, exec, s[2:3]
	v_cmp_eq_u32_e32 vcc, 27, v0
	s_waitcnt vmcnt(0)
	s_barrier
	s_and_saveexec_b64 s[4:5], vcc
	s_cbranch_execz .LBB87_251
; %bb.245:
	buffer_load_dword v61, off, s[20:23], 0 ; 4-byte Folded Reload
	buffer_load_dword v62, off, s[20:23], 0 offset:4 ; 4-byte Folded Reload
	buffer_load_dword v63, off, s[20:23], 0 offset:8 ; 4-byte Folded Reload
	;; [unrolled: 1-line block ×3, first 2 shown]
	s_waitcnt vmcnt(0)
	ds_write2_b64 v127, v[61:62], v[63:64] offset1:1
	ds_write2_b64 v125, v[57:58], v[59:60] offset0:56 offset1:57
	ds_write2_b64 v125, v[53:54], v[55:56] offset0:58 offset1:59
	ds_write2_b64 v125, v[49:50], v[51:52] offset0:60 offset1:61
	ds_write2_b64 v125, v[45:46], v[47:48] offset0:62 offset1:63
	ds_write2_b64 v125, v[41:42], v[43:44] offset0:64 offset1:65
	ds_write2_b64 v125, v[37:38], v[39:40] offset0:66 offset1:67
	ds_write2_b64 v125, v[33:34], v[35:36] offset0:68 offset1:69
	ds_write2_b64 v125, v[29:30], v[31:32] offset0:70 offset1:71
	ds_write2_b64 v125, v[25:26], v[27:28] offset0:72 offset1:73
	ds_write2_b64 v125, v[21:22], v[23:24] offset0:74 offset1:75
	ds_write2_b64 v125, v[17:18], v[19:20] offset0:76 offset1:77
	ds_write2_b64 v125, v[13:14], v[15:16] offset0:78 offset1:79
	ds_write2_b64 v125, v[9:10], v[11:12] offset0:80 offset1:81
	ds_write2_b64 v125, v[5:6], v[7:8] offset0:82 offset1:83
	ds_write2_b64 v125, v[1:2], v[3:4] offset0:84 offset1:85
	ds_write2_b64 v125, v[65:66], v[67:68] offset0:86 offset1:87
	ds_read2_b64 v[97:100], v127 offset1:1
	s_waitcnt lgkmcnt(0)
	v_cmp_neq_f64_e32 vcc, 0, v[97:98]
	v_cmp_neq_f64_e64 s[2:3], 0, v[99:100]
	s_or_b64 s[2:3], vcc, s[2:3]
	s_and_b64 exec, exec, s[2:3]
	s_cbranch_execz .LBB87_251
; %bb.246:
	v_cmp_ngt_f64_e64 s[2:3], |v[97:98]|, |v[99:100]|
                                        ; implicit-def: $vgpr101_vgpr102
	s_and_saveexec_b64 s[6:7], s[2:3]
	s_xor_b64 s[2:3], exec, s[6:7]
                                        ; implicit-def: $vgpr103_vgpr104
	s_cbranch_execz .LBB87_248
; %bb.247:
	v_div_scale_f64 v[101:102], s[6:7], v[99:100], v[99:100], v[97:98]
	v_rcp_f64_e32 v[103:104], v[101:102]
	v_fma_f64 v[105:106], -v[101:102], v[103:104], 1.0
	v_fma_f64 v[103:104], v[103:104], v[105:106], v[103:104]
	v_div_scale_f64 v[105:106], vcc, v[97:98], v[99:100], v[97:98]
	v_fma_f64 v[107:108], -v[101:102], v[103:104], 1.0
	v_fma_f64 v[103:104], v[103:104], v[107:108], v[103:104]
	v_mul_f64 v[107:108], v[105:106], v[103:104]
	v_fma_f64 v[101:102], -v[101:102], v[107:108], v[105:106]
	v_div_fmas_f64 v[101:102], v[101:102], v[103:104], v[107:108]
	v_div_fixup_f64 v[101:102], v[101:102], v[99:100], v[97:98]
	v_fma_f64 v[97:98], v[97:98], v[101:102], v[99:100]
	v_div_scale_f64 v[99:100], s[6:7], v[97:98], v[97:98], 1.0
	v_div_scale_f64 v[107:108], vcc, 1.0, v[97:98], 1.0
	v_rcp_f64_e32 v[103:104], v[99:100]
	v_fma_f64 v[105:106], -v[99:100], v[103:104], 1.0
	v_fma_f64 v[103:104], v[103:104], v[105:106], v[103:104]
	v_fma_f64 v[105:106], -v[99:100], v[103:104], 1.0
	v_fma_f64 v[103:104], v[103:104], v[105:106], v[103:104]
	v_mul_f64 v[105:106], v[107:108], v[103:104]
	v_fma_f64 v[99:100], -v[99:100], v[105:106], v[107:108]
	v_div_fmas_f64 v[99:100], v[99:100], v[103:104], v[105:106]
	v_div_fixup_f64 v[103:104], v[99:100], v[97:98], 1.0
                                        ; implicit-def: $vgpr97_vgpr98
	v_mul_f64 v[101:102], v[101:102], v[103:104]
	v_xor_b32_e32 v104, 0x80000000, v104
.LBB87_248:
	s_andn2_saveexec_b64 s[2:3], s[2:3]
	s_cbranch_execz .LBB87_250
; %bb.249:
	v_div_scale_f64 v[101:102], s[6:7], v[97:98], v[97:98], v[99:100]
	v_rcp_f64_e32 v[103:104], v[101:102]
	v_fma_f64 v[105:106], -v[101:102], v[103:104], 1.0
	v_fma_f64 v[103:104], v[103:104], v[105:106], v[103:104]
	v_div_scale_f64 v[105:106], vcc, v[99:100], v[97:98], v[99:100]
	v_fma_f64 v[107:108], -v[101:102], v[103:104], 1.0
	v_fma_f64 v[103:104], v[103:104], v[107:108], v[103:104]
	v_mul_f64 v[107:108], v[105:106], v[103:104]
	v_fma_f64 v[101:102], -v[101:102], v[107:108], v[105:106]
	v_div_fmas_f64 v[101:102], v[101:102], v[103:104], v[107:108]
	v_div_fixup_f64 v[103:104], v[101:102], v[97:98], v[99:100]
	v_fma_f64 v[97:98], v[99:100], v[103:104], v[97:98]
	v_div_scale_f64 v[99:100], s[6:7], v[97:98], v[97:98], 1.0
	v_div_scale_f64 v[107:108], vcc, 1.0, v[97:98], 1.0
	v_rcp_f64_e32 v[101:102], v[99:100]
	v_fma_f64 v[105:106], -v[99:100], v[101:102], 1.0
	v_fma_f64 v[101:102], v[101:102], v[105:106], v[101:102]
	v_fma_f64 v[105:106], -v[99:100], v[101:102], 1.0
	v_fma_f64 v[101:102], v[101:102], v[105:106], v[101:102]
	v_mul_f64 v[105:106], v[107:108], v[101:102]
	v_fma_f64 v[99:100], -v[99:100], v[105:106], v[107:108]
	v_div_fmas_f64 v[99:100], v[99:100], v[101:102], v[105:106]
	v_div_fixup_f64 v[101:102], v[99:100], v[97:98], 1.0
	v_mul_f64 v[103:104], v[103:104], -v[101:102]
.LBB87_250:
	s_or_b64 exec, exec, s[2:3]
	ds_write2_b64 v127, v[101:102], v[103:104] offset1:1
.LBB87_251:
	s_or_b64 exec, exec, s[4:5]
	s_waitcnt lgkmcnt(0)
	s_barrier
	ds_read2_b64 v[61:64], v127 offset1:1
	v_cmp_lt_u32_e32 vcc, 27, v0
	s_waitcnt lgkmcnt(0)
	buffer_store_dword v61, off, s[20:23], 0 offset:1112 ; 4-byte Folded Spill
	s_nop 0
	buffer_store_dword v62, off, s[20:23], 0 offset:1116 ; 4-byte Folded Spill
	buffer_store_dword v63, off, s[20:23], 0 offset:1120 ; 4-byte Folded Spill
	;; [unrolled: 1-line block ×3, first 2 shown]
	s_and_saveexec_b64 s[2:3], vcc
	s_cbranch_execz .LBB87_253
; %bb.252:
	buffer_load_dword v61, off, s[20:23], 0 ; 4-byte Folded Reload
	buffer_load_dword v62, off, s[20:23], 0 offset:4 ; 4-byte Folded Reload
	buffer_load_dword v63, off, s[20:23], 0 offset:8 ; 4-byte Folded Reload
	;; [unrolled: 1-line block ×7, first 2 shown]
	ds_read2_b64 v[99:102], v125 offset0:56 offset1:57
	s_waitcnt vmcnt(2)
	v_mul_f64 v[97:98], v[69:70], v[63:64]
	s_waitcnt vmcnt(0)
	v_mul_f64 v[63:64], v[71:72], v[63:64]
	v_fma_f64 v[97:98], v[71:72], v[61:62], v[97:98]
	v_fma_f64 v[61:62], v[69:70], v[61:62], -v[63:64]
	s_waitcnt lgkmcnt(0)
	v_mul_f64 v[63:64], v[101:102], v[97:98]
	v_fma_f64 v[63:64], v[99:100], v[61:62], -v[63:64]
	v_mul_f64 v[99:100], v[99:100], v[97:98]
	v_add_f64 v[57:58], v[57:58], -v[63:64]
	v_fma_f64 v[99:100], v[101:102], v[61:62], v[99:100]
	v_add_f64 v[59:60], v[59:60], -v[99:100]
	ds_read2_b64 v[99:102], v125 offset0:58 offset1:59
	s_waitcnt lgkmcnt(0)
	v_mul_f64 v[63:64], v[101:102], v[97:98]
	v_fma_f64 v[63:64], v[99:100], v[61:62], -v[63:64]
	v_mul_f64 v[99:100], v[99:100], v[97:98]
	v_add_f64 v[53:54], v[53:54], -v[63:64]
	v_fma_f64 v[99:100], v[101:102], v[61:62], v[99:100]
	v_add_f64 v[55:56], v[55:56], -v[99:100]
	ds_read2_b64 v[99:102], v125 offset0:60 offset1:61
	;; [unrolled: 8-line block ×15, first 2 shown]
	s_waitcnt lgkmcnt(0)
	v_mul_f64 v[63:64], v[101:102], v[97:98]
	v_fma_f64 v[63:64], v[99:100], v[61:62], -v[63:64]
	v_mul_f64 v[99:100], v[99:100], v[97:98]
	v_add_f64 v[65:66], v[65:66], -v[63:64]
	v_fma_f64 v[99:100], v[101:102], v[61:62], v[99:100]
	v_mov_b32_e32 v63, v97
	v_mov_b32_e32 v64, v98
	buffer_store_dword v61, off, s[20:23], 0 ; 4-byte Folded Spill
	s_nop 0
	buffer_store_dword v62, off, s[20:23], 0 offset:4 ; 4-byte Folded Spill
	buffer_store_dword v63, off, s[20:23], 0 offset:8 ; 4-byte Folded Spill
	;; [unrolled: 1-line block ×3, first 2 shown]
	v_add_f64 v[67:68], v[67:68], -v[99:100]
.LBB87_253:
	s_or_b64 exec, exec, s[2:3]
	v_cmp_eq_u32_e32 vcc, 28, v0
	s_waitcnt vmcnt(0)
	s_barrier
	s_and_saveexec_b64 s[4:5], vcc
	s_cbranch_execz .LBB87_260
; %bb.254:
	ds_write2_b64 v127, v[57:58], v[59:60] offset1:1
	ds_write2_b64 v125, v[53:54], v[55:56] offset0:58 offset1:59
	ds_write2_b64 v125, v[49:50], v[51:52] offset0:60 offset1:61
	;; [unrolled: 1-line block ×15, first 2 shown]
	ds_read2_b64 v[97:100], v127 offset1:1
	s_waitcnt lgkmcnt(0)
	v_cmp_neq_f64_e32 vcc, 0, v[97:98]
	v_cmp_neq_f64_e64 s[2:3], 0, v[99:100]
	s_or_b64 s[2:3], vcc, s[2:3]
	s_and_b64 exec, exec, s[2:3]
	s_cbranch_execz .LBB87_260
; %bb.255:
	v_cmp_ngt_f64_e64 s[2:3], |v[97:98]|, |v[99:100]|
                                        ; implicit-def: $vgpr101_vgpr102
	s_and_saveexec_b64 s[6:7], s[2:3]
	s_xor_b64 s[2:3], exec, s[6:7]
                                        ; implicit-def: $vgpr103_vgpr104
	s_cbranch_execz .LBB87_257
; %bb.256:
	v_div_scale_f64 v[101:102], s[6:7], v[99:100], v[99:100], v[97:98]
	v_rcp_f64_e32 v[103:104], v[101:102]
	v_fma_f64 v[105:106], -v[101:102], v[103:104], 1.0
	v_fma_f64 v[103:104], v[103:104], v[105:106], v[103:104]
	v_div_scale_f64 v[105:106], vcc, v[97:98], v[99:100], v[97:98]
	v_fma_f64 v[107:108], -v[101:102], v[103:104], 1.0
	v_fma_f64 v[103:104], v[103:104], v[107:108], v[103:104]
	v_mul_f64 v[107:108], v[105:106], v[103:104]
	v_fma_f64 v[101:102], -v[101:102], v[107:108], v[105:106]
	v_div_fmas_f64 v[101:102], v[101:102], v[103:104], v[107:108]
	v_div_fixup_f64 v[101:102], v[101:102], v[99:100], v[97:98]
	v_fma_f64 v[97:98], v[97:98], v[101:102], v[99:100]
	v_div_scale_f64 v[99:100], s[6:7], v[97:98], v[97:98], 1.0
	v_div_scale_f64 v[107:108], vcc, 1.0, v[97:98], 1.0
	v_rcp_f64_e32 v[103:104], v[99:100]
	v_fma_f64 v[105:106], -v[99:100], v[103:104], 1.0
	v_fma_f64 v[103:104], v[103:104], v[105:106], v[103:104]
	v_fma_f64 v[105:106], -v[99:100], v[103:104], 1.0
	v_fma_f64 v[103:104], v[103:104], v[105:106], v[103:104]
	v_mul_f64 v[105:106], v[107:108], v[103:104]
	v_fma_f64 v[99:100], -v[99:100], v[105:106], v[107:108]
	v_div_fmas_f64 v[99:100], v[99:100], v[103:104], v[105:106]
	v_div_fixup_f64 v[103:104], v[99:100], v[97:98], 1.0
                                        ; implicit-def: $vgpr97_vgpr98
	v_mul_f64 v[101:102], v[101:102], v[103:104]
	v_xor_b32_e32 v104, 0x80000000, v104
.LBB87_257:
	s_andn2_saveexec_b64 s[2:3], s[2:3]
	s_cbranch_execz .LBB87_259
; %bb.258:
	v_div_scale_f64 v[101:102], s[6:7], v[97:98], v[97:98], v[99:100]
	v_rcp_f64_e32 v[103:104], v[101:102]
	v_fma_f64 v[105:106], -v[101:102], v[103:104], 1.0
	v_fma_f64 v[103:104], v[103:104], v[105:106], v[103:104]
	v_div_scale_f64 v[105:106], vcc, v[99:100], v[97:98], v[99:100]
	v_fma_f64 v[107:108], -v[101:102], v[103:104], 1.0
	v_fma_f64 v[103:104], v[103:104], v[107:108], v[103:104]
	v_mul_f64 v[107:108], v[105:106], v[103:104]
	v_fma_f64 v[101:102], -v[101:102], v[107:108], v[105:106]
	v_div_fmas_f64 v[101:102], v[101:102], v[103:104], v[107:108]
	v_div_fixup_f64 v[103:104], v[101:102], v[97:98], v[99:100]
	v_fma_f64 v[97:98], v[99:100], v[103:104], v[97:98]
	v_div_scale_f64 v[99:100], s[6:7], v[97:98], v[97:98], 1.0
	v_div_scale_f64 v[107:108], vcc, 1.0, v[97:98], 1.0
	v_rcp_f64_e32 v[101:102], v[99:100]
	v_fma_f64 v[105:106], -v[99:100], v[101:102], 1.0
	v_fma_f64 v[101:102], v[101:102], v[105:106], v[101:102]
	v_fma_f64 v[105:106], -v[99:100], v[101:102], 1.0
	v_fma_f64 v[101:102], v[101:102], v[105:106], v[101:102]
	v_mul_f64 v[105:106], v[107:108], v[101:102]
	v_fma_f64 v[99:100], -v[99:100], v[105:106], v[107:108]
	v_div_fmas_f64 v[99:100], v[99:100], v[101:102], v[105:106]
	v_div_fixup_f64 v[101:102], v[99:100], v[97:98], 1.0
	v_mul_f64 v[103:104], v[103:104], -v[101:102]
.LBB87_259:
	s_or_b64 exec, exec, s[2:3]
	ds_write2_b64 v127, v[101:102], v[103:104] offset1:1
.LBB87_260:
	s_or_b64 exec, exec, s[4:5]
	s_waitcnt lgkmcnt(0)
	s_barrier
	ds_read2_b64 v[61:64], v127 offset1:1
	v_cmp_lt_u32_e32 vcc, 28, v0
	s_waitcnt lgkmcnt(0)
	buffer_store_dword v61, off, s[20:23], 0 offset:1128 ; 4-byte Folded Spill
	s_nop 0
	buffer_store_dword v62, off, s[20:23], 0 offset:1132 ; 4-byte Folded Spill
	buffer_store_dword v63, off, s[20:23], 0 offset:1136 ; 4-byte Folded Spill
	;; [unrolled: 1-line block ×3, first 2 shown]
	s_and_saveexec_b64 s[2:3], vcc
	s_cbranch_execz .LBB87_262
; %bb.261:
	buffer_load_dword v61, off, s[20:23], 0 offset:1128 ; 4-byte Folded Reload
	buffer_load_dword v62, off, s[20:23], 0 offset:1132 ; 4-byte Folded Reload
	;; [unrolled: 1-line block ×4, first 2 shown]
	ds_read2_b64 v[99:102], v125 offset0:58 offset1:59
	s_waitcnt vmcnt(2)
	v_mul_f64 v[97:98], v[61:62], v[59:60]
	s_waitcnt vmcnt(0)
	v_mul_f64 v[59:60], v[63:64], v[59:60]
	v_fma_f64 v[97:98], v[63:64], v[57:58], v[97:98]
	v_fma_f64 v[57:58], v[61:62], v[57:58], -v[59:60]
	s_waitcnt lgkmcnt(0)
	v_mul_f64 v[59:60], v[101:102], v[97:98]
	v_fma_f64 v[59:60], v[99:100], v[57:58], -v[59:60]
	v_mul_f64 v[99:100], v[99:100], v[97:98]
	v_add_f64 v[53:54], v[53:54], -v[59:60]
	v_fma_f64 v[99:100], v[101:102], v[57:58], v[99:100]
	v_add_f64 v[55:56], v[55:56], -v[99:100]
	ds_read2_b64 v[99:102], v125 offset0:60 offset1:61
	s_waitcnt lgkmcnt(0)
	v_mul_f64 v[59:60], v[101:102], v[97:98]
	v_fma_f64 v[59:60], v[99:100], v[57:58], -v[59:60]
	v_mul_f64 v[99:100], v[99:100], v[97:98]
	v_add_f64 v[49:50], v[49:50], -v[59:60]
	v_fma_f64 v[99:100], v[101:102], v[57:58], v[99:100]
	v_add_f64 v[51:52], v[51:52], -v[99:100]
	ds_read2_b64 v[99:102], v125 offset0:62 offset1:63
	;; [unrolled: 8-line block ×14, first 2 shown]
	s_waitcnt lgkmcnt(0)
	v_mul_f64 v[59:60], v[101:102], v[97:98]
	v_fma_f64 v[59:60], v[99:100], v[57:58], -v[59:60]
	v_mul_f64 v[99:100], v[99:100], v[97:98]
	v_add_f64 v[65:66], v[65:66], -v[59:60]
	v_fma_f64 v[99:100], v[101:102], v[57:58], v[99:100]
	v_mov_b32_e32 v59, v97
	v_mov_b32_e32 v60, v98
	v_add_f64 v[67:68], v[67:68], -v[99:100]
.LBB87_262:
	s_or_b64 exec, exec, s[2:3]
	v_cmp_eq_u32_e32 vcc, 29, v0
	s_waitcnt vmcnt(0)
	s_barrier
	s_and_saveexec_b64 s[4:5], vcc
	s_cbranch_execz .LBB87_269
; %bb.263:
	ds_write2_b64 v127, v[53:54], v[55:56] offset1:1
	ds_write2_b64 v125, v[49:50], v[51:52] offset0:60 offset1:61
	ds_write2_b64 v125, v[45:46], v[47:48] offset0:62 offset1:63
	;; [unrolled: 1-line block ×14, first 2 shown]
	ds_read2_b64 v[97:100], v127 offset1:1
	s_waitcnt lgkmcnt(0)
	v_cmp_neq_f64_e32 vcc, 0, v[97:98]
	v_cmp_neq_f64_e64 s[2:3], 0, v[99:100]
	s_or_b64 s[2:3], vcc, s[2:3]
	s_and_b64 exec, exec, s[2:3]
	s_cbranch_execz .LBB87_269
; %bb.264:
	v_cmp_ngt_f64_e64 s[2:3], |v[97:98]|, |v[99:100]|
                                        ; implicit-def: $vgpr101_vgpr102
	s_and_saveexec_b64 s[6:7], s[2:3]
	s_xor_b64 s[2:3], exec, s[6:7]
                                        ; implicit-def: $vgpr103_vgpr104
	s_cbranch_execz .LBB87_266
; %bb.265:
	v_div_scale_f64 v[101:102], s[6:7], v[99:100], v[99:100], v[97:98]
	v_rcp_f64_e32 v[103:104], v[101:102]
	v_fma_f64 v[105:106], -v[101:102], v[103:104], 1.0
	v_fma_f64 v[103:104], v[103:104], v[105:106], v[103:104]
	v_div_scale_f64 v[105:106], vcc, v[97:98], v[99:100], v[97:98]
	v_fma_f64 v[107:108], -v[101:102], v[103:104], 1.0
	v_fma_f64 v[103:104], v[103:104], v[107:108], v[103:104]
	v_mul_f64 v[107:108], v[105:106], v[103:104]
	v_fma_f64 v[101:102], -v[101:102], v[107:108], v[105:106]
	v_div_fmas_f64 v[101:102], v[101:102], v[103:104], v[107:108]
	v_div_fixup_f64 v[101:102], v[101:102], v[99:100], v[97:98]
	v_fma_f64 v[97:98], v[97:98], v[101:102], v[99:100]
	v_div_scale_f64 v[99:100], s[6:7], v[97:98], v[97:98], 1.0
	v_div_scale_f64 v[107:108], vcc, 1.0, v[97:98], 1.0
	v_rcp_f64_e32 v[103:104], v[99:100]
	v_fma_f64 v[105:106], -v[99:100], v[103:104], 1.0
	v_fma_f64 v[103:104], v[103:104], v[105:106], v[103:104]
	v_fma_f64 v[105:106], -v[99:100], v[103:104], 1.0
	v_fma_f64 v[103:104], v[103:104], v[105:106], v[103:104]
	v_mul_f64 v[105:106], v[107:108], v[103:104]
	v_fma_f64 v[99:100], -v[99:100], v[105:106], v[107:108]
	v_div_fmas_f64 v[99:100], v[99:100], v[103:104], v[105:106]
	v_div_fixup_f64 v[103:104], v[99:100], v[97:98], 1.0
                                        ; implicit-def: $vgpr97_vgpr98
	v_mul_f64 v[101:102], v[101:102], v[103:104]
	v_xor_b32_e32 v104, 0x80000000, v104
.LBB87_266:
	s_andn2_saveexec_b64 s[2:3], s[2:3]
	s_cbranch_execz .LBB87_268
; %bb.267:
	v_div_scale_f64 v[101:102], s[6:7], v[97:98], v[97:98], v[99:100]
	v_rcp_f64_e32 v[103:104], v[101:102]
	v_fma_f64 v[105:106], -v[101:102], v[103:104], 1.0
	v_fma_f64 v[103:104], v[103:104], v[105:106], v[103:104]
	v_div_scale_f64 v[105:106], vcc, v[99:100], v[97:98], v[99:100]
	v_fma_f64 v[107:108], -v[101:102], v[103:104], 1.0
	v_fma_f64 v[103:104], v[103:104], v[107:108], v[103:104]
	v_mul_f64 v[107:108], v[105:106], v[103:104]
	v_fma_f64 v[101:102], -v[101:102], v[107:108], v[105:106]
	v_div_fmas_f64 v[101:102], v[101:102], v[103:104], v[107:108]
	v_div_fixup_f64 v[103:104], v[101:102], v[97:98], v[99:100]
	v_fma_f64 v[97:98], v[99:100], v[103:104], v[97:98]
	v_div_scale_f64 v[99:100], s[6:7], v[97:98], v[97:98], 1.0
	v_div_scale_f64 v[107:108], vcc, 1.0, v[97:98], 1.0
	v_rcp_f64_e32 v[101:102], v[99:100]
	v_fma_f64 v[105:106], -v[99:100], v[101:102], 1.0
	v_fma_f64 v[101:102], v[101:102], v[105:106], v[101:102]
	v_fma_f64 v[105:106], -v[99:100], v[101:102], 1.0
	v_fma_f64 v[101:102], v[101:102], v[105:106], v[101:102]
	v_mul_f64 v[105:106], v[107:108], v[101:102]
	v_fma_f64 v[99:100], -v[99:100], v[105:106], v[107:108]
	v_div_fmas_f64 v[99:100], v[99:100], v[101:102], v[105:106]
	v_div_fixup_f64 v[101:102], v[99:100], v[97:98], 1.0
	v_mul_f64 v[103:104], v[103:104], -v[101:102]
.LBB87_268:
	s_or_b64 exec, exec, s[2:3]
	ds_write2_b64 v127, v[101:102], v[103:104] offset1:1
.LBB87_269:
	s_or_b64 exec, exec, s[4:5]
	s_waitcnt lgkmcnt(0)
	s_barrier
	ds_read2_b64 v[61:64], v127 offset1:1
	v_cmp_lt_u32_e32 vcc, 29, v0
	s_waitcnt lgkmcnt(0)
	buffer_store_dword v61, off, s[20:23], 0 offset:1144 ; 4-byte Folded Spill
	s_nop 0
	buffer_store_dword v62, off, s[20:23], 0 offset:1148 ; 4-byte Folded Spill
	buffer_store_dword v63, off, s[20:23], 0 offset:1152 ; 4-byte Folded Spill
	;; [unrolled: 1-line block ×3, first 2 shown]
	s_and_saveexec_b64 s[2:3], vcc
	s_cbranch_execz .LBB87_271
; %bb.270:
	buffer_load_dword v61, off, s[20:23], 0 offset:1144 ; 4-byte Folded Reload
	buffer_load_dword v62, off, s[20:23], 0 offset:1148 ; 4-byte Folded Reload
	;; [unrolled: 1-line block ×4, first 2 shown]
	ds_read2_b64 v[99:102], v125 offset0:60 offset1:61
	s_waitcnt vmcnt(2)
	v_mul_f64 v[97:98], v[61:62], v[55:56]
	s_waitcnt vmcnt(0)
	v_mul_f64 v[55:56], v[63:64], v[55:56]
	v_fma_f64 v[97:98], v[63:64], v[53:54], v[97:98]
	v_fma_f64 v[53:54], v[61:62], v[53:54], -v[55:56]
	s_waitcnt lgkmcnt(0)
	v_mul_f64 v[55:56], v[101:102], v[97:98]
	v_fma_f64 v[55:56], v[99:100], v[53:54], -v[55:56]
	v_mul_f64 v[99:100], v[99:100], v[97:98]
	v_add_f64 v[49:50], v[49:50], -v[55:56]
	v_fma_f64 v[99:100], v[101:102], v[53:54], v[99:100]
	v_add_f64 v[51:52], v[51:52], -v[99:100]
	ds_read2_b64 v[99:102], v125 offset0:62 offset1:63
	s_waitcnt lgkmcnt(0)
	v_mul_f64 v[55:56], v[101:102], v[97:98]
	v_fma_f64 v[55:56], v[99:100], v[53:54], -v[55:56]
	v_mul_f64 v[99:100], v[99:100], v[97:98]
	v_add_f64 v[45:46], v[45:46], -v[55:56]
	v_fma_f64 v[99:100], v[101:102], v[53:54], v[99:100]
	v_add_f64 v[47:48], v[47:48], -v[99:100]
	ds_read2_b64 v[99:102], v125 offset0:64 offset1:65
	s_waitcnt lgkmcnt(0)
	v_mul_f64 v[55:56], v[101:102], v[97:98]
	v_fma_f64 v[55:56], v[99:100], v[53:54], -v[55:56]
	v_mul_f64 v[99:100], v[99:100], v[97:98]
	v_add_f64 v[41:42], v[41:42], -v[55:56]
	v_fma_f64 v[99:100], v[101:102], v[53:54], v[99:100]
	v_add_f64 v[43:44], v[43:44], -v[99:100]
	ds_read2_b64 v[99:102], v125 offset0:66 offset1:67
	s_waitcnt lgkmcnt(0)
	v_mul_f64 v[55:56], v[101:102], v[97:98]
	v_fma_f64 v[55:56], v[99:100], v[53:54], -v[55:56]
	v_mul_f64 v[99:100], v[99:100], v[97:98]
	v_add_f64 v[37:38], v[37:38], -v[55:56]
	v_fma_f64 v[99:100], v[101:102], v[53:54], v[99:100]
	v_add_f64 v[39:40], v[39:40], -v[99:100]
	ds_read2_b64 v[99:102], v125 offset0:68 offset1:69
	s_waitcnt lgkmcnt(0)
	v_mul_f64 v[55:56], v[101:102], v[97:98]
	v_fma_f64 v[55:56], v[99:100], v[53:54], -v[55:56]
	v_mul_f64 v[99:100], v[99:100], v[97:98]
	v_add_f64 v[33:34], v[33:34], -v[55:56]
	v_fma_f64 v[99:100], v[101:102], v[53:54], v[99:100]
	v_add_f64 v[35:36], v[35:36], -v[99:100]
	ds_read2_b64 v[99:102], v125 offset0:70 offset1:71
	s_waitcnt lgkmcnt(0)
	v_mul_f64 v[55:56], v[101:102], v[97:98]
	v_fma_f64 v[55:56], v[99:100], v[53:54], -v[55:56]
	v_mul_f64 v[99:100], v[99:100], v[97:98]
	v_add_f64 v[29:30], v[29:30], -v[55:56]
	v_fma_f64 v[99:100], v[101:102], v[53:54], v[99:100]
	v_add_f64 v[31:32], v[31:32], -v[99:100]
	ds_read2_b64 v[99:102], v125 offset0:72 offset1:73
	s_waitcnt lgkmcnt(0)
	v_mul_f64 v[55:56], v[101:102], v[97:98]
	v_fma_f64 v[55:56], v[99:100], v[53:54], -v[55:56]
	v_mul_f64 v[99:100], v[99:100], v[97:98]
	v_add_f64 v[25:26], v[25:26], -v[55:56]
	v_fma_f64 v[99:100], v[101:102], v[53:54], v[99:100]
	v_add_f64 v[27:28], v[27:28], -v[99:100]
	ds_read2_b64 v[99:102], v125 offset0:74 offset1:75
	s_waitcnt lgkmcnt(0)
	v_mul_f64 v[55:56], v[101:102], v[97:98]
	v_fma_f64 v[55:56], v[99:100], v[53:54], -v[55:56]
	v_mul_f64 v[99:100], v[99:100], v[97:98]
	v_add_f64 v[21:22], v[21:22], -v[55:56]
	v_fma_f64 v[99:100], v[101:102], v[53:54], v[99:100]
	v_add_f64 v[23:24], v[23:24], -v[99:100]
	ds_read2_b64 v[99:102], v125 offset0:76 offset1:77
	s_waitcnt lgkmcnt(0)
	v_mul_f64 v[55:56], v[101:102], v[97:98]
	v_fma_f64 v[55:56], v[99:100], v[53:54], -v[55:56]
	v_mul_f64 v[99:100], v[99:100], v[97:98]
	v_add_f64 v[17:18], v[17:18], -v[55:56]
	v_fma_f64 v[99:100], v[101:102], v[53:54], v[99:100]
	v_add_f64 v[19:20], v[19:20], -v[99:100]
	ds_read2_b64 v[99:102], v125 offset0:78 offset1:79
	s_waitcnt lgkmcnt(0)
	v_mul_f64 v[55:56], v[101:102], v[97:98]
	v_fma_f64 v[55:56], v[99:100], v[53:54], -v[55:56]
	v_mul_f64 v[99:100], v[99:100], v[97:98]
	v_add_f64 v[13:14], v[13:14], -v[55:56]
	v_fma_f64 v[99:100], v[101:102], v[53:54], v[99:100]
	v_add_f64 v[15:16], v[15:16], -v[99:100]
	ds_read2_b64 v[99:102], v125 offset0:80 offset1:81
	s_waitcnt lgkmcnt(0)
	v_mul_f64 v[55:56], v[101:102], v[97:98]
	v_fma_f64 v[55:56], v[99:100], v[53:54], -v[55:56]
	v_mul_f64 v[99:100], v[99:100], v[97:98]
	v_add_f64 v[9:10], v[9:10], -v[55:56]
	v_fma_f64 v[99:100], v[101:102], v[53:54], v[99:100]
	v_add_f64 v[11:12], v[11:12], -v[99:100]
	ds_read2_b64 v[99:102], v125 offset0:82 offset1:83
	s_waitcnt lgkmcnt(0)
	v_mul_f64 v[55:56], v[101:102], v[97:98]
	v_fma_f64 v[55:56], v[99:100], v[53:54], -v[55:56]
	v_mul_f64 v[99:100], v[99:100], v[97:98]
	v_add_f64 v[5:6], v[5:6], -v[55:56]
	v_fma_f64 v[99:100], v[101:102], v[53:54], v[99:100]
	v_add_f64 v[7:8], v[7:8], -v[99:100]
	ds_read2_b64 v[99:102], v125 offset0:84 offset1:85
	s_waitcnt lgkmcnt(0)
	v_mul_f64 v[55:56], v[101:102], v[97:98]
	v_fma_f64 v[55:56], v[99:100], v[53:54], -v[55:56]
	v_mul_f64 v[99:100], v[99:100], v[97:98]
	v_add_f64 v[1:2], v[1:2], -v[55:56]
	v_fma_f64 v[99:100], v[101:102], v[53:54], v[99:100]
	v_add_f64 v[3:4], v[3:4], -v[99:100]
	ds_read2_b64 v[99:102], v125 offset0:86 offset1:87
	s_waitcnt lgkmcnt(0)
	v_mul_f64 v[55:56], v[101:102], v[97:98]
	v_fma_f64 v[55:56], v[99:100], v[53:54], -v[55:56]
	v_mul_f64 v[99:100], v[99:100], v[97:98]
	v_add_f64 v[65:66], v[65:66], -v[55:56]
	v_fma_f64 v[99:100], v[101:102], v[53:54], v[99:100]
	v_mov_b32_e32 v55, v97
	v_mov_b32_e32 v56, v98
	v_add_f64 v[67:68], v[67:68], -v[99:100]
.LBB87_271:
	s_or_b64 exec, exec, s[2:3]
	v_cmp_eq_u32_e32 vcc, 30, v0
	s_waitcnt vmcnt(0)
	s_barrier
	s_and_saveexec_b64 s[4:5], vcc
	s_cbranch_execz .LBB87_278
; %bb.272:
	ds_write2_b64 v127, v[49:50], v[51:52] offset1:1
	ds_write2_b64 v125, v[45:46], v[47:48] offset0:62 offset1:63
	ds_write2_b64 v125, v[41:42], v[43:44] offset0:64 offset1:65
	;; [unrolled: 1-line block ×13, first 2 shown]
	ds_read2_b64 v[97:100], v127 offset1:1
	s_waitcnt lgkmcnt(0)
	v_cmp_neq_f64_e32 vcc, 0, v[97:98]
	v_cmp_neq_f64_e64 s[2:3], 0, v[99:100]
	s_or_b64 s[2:3], vcc, s[2:3]
	s_and_b64 exec, exec, s[2:3]
	s_cbranch_execz .LBB87_278
; %bb.273:
	v_cmp_ngt_f64_e64 s[2:3], |v[97:98]|, |v[99:100]|
                                        ; implicit-def: $vgpr101_vgpr102
	s_and_saveexec_b64 s[6:7], s[2:3]
	s_xor_b64 s[2:3], exec, s[6:7]
                                        ; implicit-def: $vgpr103_vgpr104
	s_cbranch_execz .LBB87_275
; %bb.274:
	v_div_scale_f64 v[101:102], s[6:7], v[99:100], v[99:100], v[97:98]
	v_rcp_f64_e32 v[103:104], v[101:102]
	v_fma_f64 v[105:106], -v[101:102], v[103:104], 1.0
	v_fma_f64 v[103:104], v[103:104], v[105:106], v[103:104]
	v_div_scale_f64 v[105:106], vcc, v[97:98], v[99:100], v[97:98]
	v_fma_f64 v[107:108], -v[101:102], v[103:104], 1.0
	v_fma_f64 v[103:104], v[103:104], v[107:108], v[103:104]
	v_mul_f64 v[107:108], v[105:106], v[103:104]
	v_fma_f64 v[101:102], -v[101:102], v[107:108], v[105:106]
	v_div_fmas_f64 v[101:102], v[101:102], v[103:104], v[107:108]
	v_div_fixup_f64 v[101:102], v[101:102], v[99:100], v[97:98]
	v_fma_f64 v[97:98], v[97:98], v[101:102], v[99:100]
	v_div_scale_f64 v[99:100], s[6:7], v[97:98], v[97:98], 1.0
	v_div_scale_f64 v[107:108], vcc, 1.0, v[97:98], 1.0
	v_rcp_f64_e32 v[103:104], v[99:100]
	v_fma_f64 v[105:106], -v[99:100], v[103:104], 1.0
	v_fma_f64 v[103:104], v[103:104], v[105:106], v[103:104]
	v_fma_f64 v[105:106], -v[99:100], v[103:104], 1.0
	v_fma_f64 v[103:104], v[103:104], v[105:106], v[103:104]
	v_mul_f64 v[105:106], v[107:108], v[103:104]
	v_fma_f64 v[99:100], -v[99:100], v[105:106], v[107:108]
	v_div_fmas_f64 v[99:100], v[99:100], v[103:104], v[105:106]
	v_div_fixup_f64 v[103:104], v[99:100], v[97:98], 1.0
                                        ; implicit-def: $vgpr97_vgpr98
	v_mul_f64 v[101:102], v[101:102], v[103:104]
	v_xor_b32_e32 v104, 0x80000000, v104
.LBB87_275:
	s_andn2_saveexec_b64 s[2:3], s[2:3]
	s_cbranch_execz .LBB87_277
; %bb.276:
	v_div_scale_f64 v[101:102], s[6:7], v[97:98], v[97:98], v[99:100]
	v_rcp_f64_e32 v[103:104], v[101:102]
	v_fma_f64 v[105:106], -v[101:102], v[103:104], 1.0
	v_fma_f64 v[103:104], v[103:104], v[105:106], v[103:104]
	v_div_scale_f64 v[105:106], vcc, v[99:100], v[97:98], v[99:100]
	v_fma_f64 v[107:108], -v[101:102], v[103:104], 1.0
	v_fma_f64 v[103:104], v[103:104], v[107:108], v[103:104]
	v_mul_f64 v[107:108], v[105:106], v[103:104]
	v_fma_f64 v[101:102], -v[101:102], v[107:108], v[105:106]
	v_div_fmas_f64 v[101:102], v[101:102], v[103:104], v[107:108]
	v_div_fixup_f64 v[103:104], v[101:102], v[97:98], v[99:100]
	v_fma_f64 v[97:98], v[99:100], v[103:104], v[97:98]
	v_div_scale_f64 v[99:100], s[6:7], v[97:98], v[97:98], 1.0
	v_div_scale_f64 v[107:108], vcc, 1.0, v[97:98], 1.0
	v_rcp_f64_e32 v[101:102], v[99:100]
	v_fma_f64 v[105:106], -v[99:100], v[101:102], 1.0
	v_fma_f64 v[101:102], v[101:102], v[105:106], v[101:102]
	v_fma_f64 v[105:106], -v[99:100], v[101:102], 1.0
	v_fma_f64 v[101:102], v[101:102], v[105:106], v[101:102]
	v_mul_f64 v[105:106], v[107:108], v[101:102]
	v_fma_f64 v[99:100], -v[99:100], v[105:106], v[107:108]
	v_div_fmas_f64 v[99:100], v[99:100], v[101:102], v[105:106]
	v_div_fixup_f64 v[101:102], v[99:100], v[97:98], 1.0
	v_mul_f64 v[103:104], v[103:104], -v[101:102]
.LBB87_277:
	s_or_b64 exec, exec, s[2:3]
	ds_write2_b64 v127, v[101:102], v[103:104] offset1:1
.LBB87_278:
	s_or_b64 exec, exec, s[4:5]
	s_waitcnt lgkmcnt(0)
	s_barrier
	ds_read2_b64 v[61:64], v127 offset1:1
	v_cmp_lt_u32_e32 vcc, 30, v0
	s_waitcnt lgkmcnt(0)
	buffer_store_dword v61, off, s[20:23], 0 offset:1160 ; 4-byte Folded Spill
	s_nop 0
	buffer_store_dword v62, off, s[20:23], 0 offset:1164 ; 4-byte Folded Spill
	buffer_store_dword v63, off, s[20:23], 0 offset:1168 ; 4-byte Folded Spill
	;; [unrolled: 1-line block ×3, first 2 shown]
	s_and_saveexec_b64 s[2:3], vcc
	s_cbranch_execz .LBB87_280
; %bb.279:
	buffer_load_dword v61, off, s[20:23], 0 offset:1160 ; 4-byte Folded Reload
	buffer_load_dword v62, off, s[20:23], 0 offset:1164 ; 4-byte Folded Reload
	;; [unrolled: 1-line block ×4, first 2 shown]
	ds_read2_b64 v[99:102], v125 offset0:62 offset1:63
	s_waitcnt vmcnt(2)
	v_mul_f64 v[97:98], v[61:62], v[51:52]
	s_waitcnt vmcnt(0)
	v_mul_f64 v[51:52], v[63:64], v[51:52]
	v_fma_f64 v[97:98], v[63:64], v[49:50], v[97:98]
	v_fma_f64 v[49:50], v[61:62], v[49:50], -v[51:52]
	s_waitcnt lgkmcnt(0)
	v_mul_f64 v[51:52], v[101:102], v[97:98]
	v_fma_f64 v[51:52], v[99:100], v[49:50], -v[51:52]
	v_mul_f64 v[99:100], v[99:100], v[97:98]
	v_add_f64 v[45:46], v[45:46], -v[51:52]
	v_fma_f64 v[99:100], v[101:102], v[49:50], v[99:100]
	v_add_f64 v[47:48], v[47:48], -v[99:100]
	ds_read2_b64 v[99:102], v125 offset0:64 offset1:65
	s_waitcnt lgkmcnt(0)
	v_mul_f64 v[51:52], v[101:102], v[97:98]
	v_fma_f64 v[51:52], v[99:100], v[49:50], -v[51:52]
	v_mul_f64 v[99:100], v[99:100], v[97:98]
	v_add_f64 v[41:42], v[41:42], -v[51:52]
	v_fma_f64 v[99:100], v[101:102], v[49:50], v[99:100]
	v_add_f64 v[43:44], v[43:44], -v[99:100]
	ds_read2_b64 v[99:102], v125 offset0:66 offset1:67
	;; [unrolled: 8-line block ×12, first 2 shown]
	s_waitcnt lgkmcnt(0)
	v_mul_f64 v[51:52], v[101:102], v[97:98]
	v_fma_f64 v[51:52], v[99:100], v[49:50], -v[51:52]
	v_mul_f64 v[99:100], v[99:100], v[97:98]
	v_add_f64 v[65:66], v[65:66], -v[51:52]
	v_fma_f64 v[99:100], v[101:102], v[49:50], v[99:100]
	v_mov_b32_e32 v51, v97
	v_mov_b32_e32 v52, v98
	v_add_f64 v[67:68], v[67:68], -v[99:100]
.LBB87_280:
	s_or_b64 exec, exec, s[2:3]
	v_cmp_eq_u32_e32 vcc, 31, v0
	s_waitcnt vmcnt(0)
	s_barrier
	s_and_saveexec_b64 s[4:5], vcc
	s_cbranch_execz .LBB87_287
; %bb.281:
	ds_write2_b64 v127, v[45:46], v[47:48] offset1:1
	ds_write2_b64 v125, v[41:42], v[43:44] offset0:64 offset1:65
	ds_write2_b64 v125, v[37:38], v[39:40] offset0:66 offset1:67
	;; [unrolled: 1-line block ×12, first 2 shown]
	ds_read2_b64 v[97:100], v127 offset1:1
	s_waitcnt lgkmcnt(0)
	v_cmp_neq_f64_e32 vcc, 0, v[97:98]
	v_cmp_neq_f64_e64 s[2:3], 0, v[99:100]
	s_or_b64 s[2:3], vcc, s[2:3]
	s_and_b64 exec, exec, s[2:3]
	s_cbranch_execz .LBB87_287
; %bb.282:
	v_cmp_ngt_f64_e64 s[2:3], |v[97:98]|, |v[99:100]|
                                        ; implicit-def: $vgpr101_vgpr102
	s_and_saveexec_b64 s[6:7], s[2:3]
	s_xor_b64 s[2:3], exec, s[6:7]
                                        ; implicit-def: $vgpr103_vgpr104
	s_cbranch_execz .LBB87_284
; %bb.283:
	v_div_scale_f64 v[101:102], s[6:7], v[99:100], v[99:100], v[97:98]
	v_rcp_f64_e32 v[103:104], v[101:102]
	v_fma_f64 v[105:106], -v[101:102], v[103:104], 1.0
	v_fma_f64 v[103:104], v[103:104], v[105:106], v[103:104]
	v_div_scale_f64 v[105:106], vcc, v[97:98], v[99:100], v[97:98]
	v_fma_f64 v[107:108], -v[101:102], v[103:104], 1.0
	v_fma_f64 v[103:104], v[103:104], v[107:108], v[103:104]
	v_mul_f64 v[107:108], v[105:106], v[103:104]
	v_fma_f64 v[101:102], -v[101:102], v[107:108], v[105:106]
	v_div_fmas_f64 v[101:102], v[101:102], v[103:104], v[107:108]
	v_div_fixup_f64 v[101:102], v[101:102], v[99:100], v[97:98]
	v_fma_f64 v[97:98], v[97:98], v[101:102], v[99:100]
	v_div_scale_f64 v[99:100], s[6:7], v[97:98], v[97:98], 1.0
	v_div_scale_f64 v[107:108], vcc, 1.0, v[97:98], 1.0
	v_rcp_f64_e32 v[103:104], v[99:100]
	v_fma_f64 v[105:106], -v[99:100], v[103:104], 1.0
	v_fma_f64 v[103:104], v[103:104], v[105:106], v[103:104]
	v_fma_f64 v[105:106], -v[99:100], v[103:104], 1.0
	v_fma_f64 v[103:104], v[103:104], v[105:106], v[103:104]
	v_mul_f64 v[105:106], v[107:108], v[103:104]
	v_fma_f64 v[99:100], -v[99:100], v[105:106], v[107:108]
	v_div_fmas_f64 v[99:100], v[99:100], v[103:104], v[105:106]
	v_div_fixup_f64 v[103:104], v[99:100], v[97:98], 1.0
                                        ; implicit-def: $vgpr97_vgpr98
	v_mul_f64 v[101:102], v[101:102], v[103:104]
	v_xor_b32_e32 v104, 0x80000000, v104
.LBB87_284:
	s_andn2_saveexec_b64 s[2:3], s[2:3]
	s_cbranch_execz .LBB87_286
; %bb.285:
	v_div_scale_f64 v[101:102], s[6:7], v[97:98], v[97:98], v[99:100]
	v_rcp_f64_e32 v[103:104], v[101:102]
	v_fma_f64 v[105:106], -v[101:102], v[103:104], 1.0
	v_fma_f64 v[103:104], v[103:104], v[105:106], v[103:104]
	v_div_scale_f64 v[105:106], vcc, v[99:100], v[97:98], v[99:100]
	v_fma_f64 v[107:108], -v[101:102], v[103:104], 1.0
	v_fma_f64 v[103:104], v[103:104], v[107:108], v[103:104]
	v_mul_f64 v[107:108], v[105:106], v[103:104]
	v_fma_f64 v[101:102], -v[101:102], v[107:108], v[105:106]
	v_div_fmas_f64 v[101:102], v[101:102], v[103:104], v[107:108]
	v_div_fixup_f64 v[103:104], v[101:102], v[97:98], v[99:100]
	v_fma_f64 v[97:98], v[99:100], v[103:104], v[97:98]
	v_div_scale_f64 v[99:100], s[6:7], v[97:98], v[97:98], 1.0
	v_div_scale_f64 v[107:108], vcc, 1.0, v[97:98], 1.0
	v_rcp_f64_e32 v[101:102], v[99:100]
	v_fma_f64 v[105:106], -v[99:100], v[101:102], 1.0
	v_fma_f64 v[101:102], v[101:102], v[105:106], v[101:102]
	v_fma_f64 v[105:106], -v[99:100], v[101:102], 1.0
	v_fma_f64 v[101:102], v[101:102], v[105:106], v[101:102]
	v_mul_f64 v[105:106], v[107:108], v[101:102]
	v_fma_f64 v[99:100], -v[99:100], v[105:106], v[107:108]
	v_div_fmas_f64 v[99:100], v[99:100], v[101:102], v[105:106]
	v_div_fixup_f64 v[101:102], v[99:100], v[97:98], 1.0
	v_mul_f64 v[103:104], v[103:104], -v[101:102]
.LBB87_286:
	s_or_b64 exec, exec, s[2:3]
	ds_write2_b64 v127, v[101:102], v[103:104] offset1:1
.LBB87_287:
	s_or_b64 exec, exec, s[4:5]
	s_waitcnt lgkmcnt(0)
	s_barrier
	ds_read2_b64 v[61:64], v127 offset1:1
	v_cmp_lt_u32_e32 vcc, 31, v0
	s_waitcnt lgkmcnt(0)
	buffer_store_dword v61, off, s[20:23], 0 offset:1176 ; 4-byte Folded Spill
	s_nop 0
	buffer_store_dword v62, off, s[20:23], 0 offset:1180 ; 4-byte Folded Spill
	buffer_store_dword v63, off, s[20:23], 0 offset:1184 ; 4-byte Folded Spill
	;; [unrolled: 1-line block ×3, first 2 shown]
	s_and_saveexec_b64 s[2:3], vcc
	s_cbranch_execz .LBB87_289
; %bb.288:
	buffer_load_dword v61, off, s[20:23], 0 offset:1176 ; 4-byte Folded Reload
	buffer_load_dword v62, off, s[20:23], 0 offset:1180 ; 4-byte Folded Reload
	buffer_load_dword v63, off, s[20:23], 0 offset:1184 ; 4-byte Folded Reload
	buffer_load_dword v64, off, s[20:23], 0 offset:1188 ; 4-byte Folded Reload
	ds_read2_b64 v[99:102], v125 offset0:64 offset1:65
	s_waitcnt vmcnt(2)
	v_mul_f64 v[97:98], v[61:62], v[47:48]
	s_waitcnt vmcnt(0)
	v_mul_f64 v[47:48], v[63:64], v[47:48]
	v_fma_f64 v[97:98], v[63:64], v[45:46], v[97:98]
	v_fma_f64 v[45:46], v[61:62], v[45:46], -v[47:48]
	s_waitcnt lgkmcnt(0)
	v_mul_f64 v[47:48], v[101:102], v[97:98]
	v_fma_f64 v[47:48], v[99:100], v[45:46], -v[47:48]
	v_mul_f64 v[99:100], v[99:100], v[97:98]
	v_add_f64 v[41:42], v[41:42], -v[47:48]
	v_fma_f64 v[99:100], v[101:102], v[45:46], v[99:100]
	v_add_f64 v[43:44], v[43:44], -v[99:100]
	ds_read2_b64 v[99:102], v125 offset0:66 offset1:67
	s_waitcnt lgkmcnt(0)
	v_mul_f64 v[47:48], v[101:102], v[97:98]
	v_fma_f64 v[47:48], v[99:100], v[45:46], -v[47:48]
	v_mul_f64 v[99:100], v[99:100], v[97:98]
	v_add_f64 v[37:38], v[37:38], -v[47:48]
	v_fma_f64 v[99:100], v[101:102], v[45:46], v[99:100]
	v_add_f64 v[39:40], v[39:40], -v[99:100]
	ds_read2_b64 v[99:102], v125 offset0:68 offset1:69
	s_waitcnt lgkmcnt(0)
	v_mul_f64 v[47:48], v[101:102], v[97:98]
	v_fma_f64 v[47:48], v[99:100], v[45:46], -v[47:48]
	v_mul_f64 v[99:100], v[99:100], v[97:98]
	v_add_f64 v[33:34], v[33:34], -v[47:48]
	v_fma_f64 v[99:100], v[101:102], v[45:46], v[99:100]
	v_add_f64 v[35:36], v[35:36], -v[99:100]
	ds_read2_b64 v[99:102], v125 offset0:70 offset1:71
	s_waitcnt lgkmcnt(0)
	v_mul_f64 v[47:48], v[101:102], v[97:98]
	v_fma_f64 v[47:48], v[99:100], v[45:46], -v[47:48]
	v_mul_f64 v[99:100], v[99:100], v[97:98]
	v_add_f64 v[29:30], v[29:30], -v[47:48]
	v_fma_f64 v[99:100], v[101:102], v[45:46], v[99:100]
	v_add_f64 v[31:32], v[31:32], -v[99:100]
	ds_read2_b64 v[99:102], v125 offset0:72 offset1:73
	s_waitcnt lgkmcnt(0)
	v_mul_f64 v[47:48], v[101:102], v[97:98]
	v_fma_f64 v[47:48], v[99:100], v[45:46], -v[47:48]
	v_mul_f64 v[99:100], v[99:100], v[97:98]
	v_add_f64 v[25:26], v[25:26], -v[47:48]
	v_fma_f64 v[99:100], v[101:102], v[45:46], v[99:100]
	v_add_f64 v[27:28], v[27:28], -v[99:100]
	ds_read2_b64 v[99:102], v125 offset0:74 offset1:75
	s_waitcnt lgkmcnt(0)
	v_mul_f64 v[47:48], v[101:102], v[97:98]
	v_fma_f64 v[47:48], v[99:100], v[45:46], -v[47:48]
	v_mul_f64 v[99:100], v[99:100], v[97:98]
	v_add_f64 v[21:22], v[21:22], -v[47:48]
	v_fma_f64 v[99:100], v[101:102], v[45:46], v[99:100]
	v_add_f64 v[23:24], v[23:24], -v[99:100]
	ds_read2_b64 v[99:102], v125 offset0:76 offset1:77
	s_waitcnt lgkmcnt(0)
	v_mul_f64 v[47:48], v[101:102], v[97:98]
	v_fma_f64 v[47:48], v[99:100], v[45:46], -v[47:48]
	v_mul_f64 v[99:100], v[99:100], v[97:98]
	v_add_f64 v[17:18], v[17:18], -v[47:48]
	v_fma_f64 v[99:100], v[101:102], v[45:46], v[99:100]
	v_add_f64 v[19:20], v[19:20], -v[99:100]
	ds_read2_b64 v[99:102], v125 offset0:78 offset1:79
	s_waitcnt lgkmcnt(0)
	v_mul_f64 v[47:48], v[101:102], v[97:98]
	v_fma_f64 v[47:48], v[99:100], v[45:46], -v[47:48]
	v_mul_f64 v[99:100], v[99:100], v[97:98]
	v_add_f64 v[13:14], v[13:14], -v[47:48]
	v_fma_f64 v[99:100], v[101:102], v[45:46], v[99:100]
	v_add_f64 v[15:16], v[15:16], -v[99:100]
	ds_read2_b64 v[99:102], v125 offset0:80 offset1:81
	s_waitcnt lgkmcnt(0)
	v_mul_f64 v[47:48], v[101:102], v[97:98]
	v_fma_f64 v[47:48], v[99:100], v[45:46], -v[47:48]
	v_mul_f64 v[99:100], v[99:100], v[97:98]
	v_add_f64 v[9:10], v[9:10], -v[47:48]
	v_fma_f64 v[99:100], v[101:102], v[45:46], v[99:100]
	v_add_f64 v[11:12], v[11:12], -v[99:100]
	ds_read2_b64 v[99:102], v125 offset0:82 offset1:83
	s_waitcnt lgkmcnt(0)
	v_mul_f64 v[47:48], v[101:102], v[97:98]
	v_fma_f64 v[47:48], v[99:100], v[45:46], -v[47:48]
	v_mul_f64 v[99:100], v[99:100], v[97:98]
	v_add_f64 v[5:6], v[5:6], -v[47:48]
	v_fma_f64 v[99:100], v[101:102], v[45:46], v[99:100]
	v_add_f64 v[7:8], v[7:8], -v[99:100]
	ds_read2_b64 v[99:102], v125 offset0:84 offset1:85
	s_waitcnt lgkmcnt(0)
	v_mul_f64 v[47:48], v[101:102], v[97:98]
	v_fma_f64 v[47:48], v[99:100], v[45:46], -v[47:48]
	v_mul_f64 v[99:100], v[99:100], v[97:98]
	v_add_f64 v[1:2], v[1:2], -v[47:48]
	v_fma_f64 v[99:100], v[101:102], v[45:46], v[99:100]
	v_add_f64 v[3:4], v[3:4], -v[99:100]
	ds_read2_b64 v[99:102], v125 offset0:86 offset1:87
	s_waitcnt lgkmcnt(0)
	v_mul_f64 v[47:48], v[101:102], v[97:98]
	v_fma_f64 v[47:48], v[99:100], v[45:46], -v[47:48]
	v_mul_f64 v[99:100], v[99:100], v[97:98]
	v_add_f64 v[65:66], v[65:66], -v[47:48]
	v_fma_f64 v[99:100], v[101:102], v[45:46], v[99:100]
	v_mov_b32_e32 v47, v97
	v_mov_b32_e32 v48, v98
	v_add_f64 v[67:68], v[67:68], -v[99:100]
.LBB87_289:
	s_or_b64 exec, exec, s[2:3]
	v_cmp_eq_u32_e32 vcc, 32, v0
	s_waitcnt vmcnt(0)
	s_barrier
	s_and_saveexec_b64 s[4:5], vcc
	s_cbranch_execz .LBB87_296
; %bb.290:
	ds_write2_b64 v127, v[41:42], v[43:44] offset1:1
	ds_write2_b64 v125, v[37:38], v[39:40] offset0:66 offset1:67
	ds_write2_b64 v125, v[33:34], v[35:36] offset0:68 offset1:69
	;; [unrolled: 1-line block ×11, first 2 shown]
	ds_read2_b64 v[97:100], v127 offset1:1
	s_waitcnt lgkmcnt(0)
	v_cmp_neq_f64_e32 vcc, 0, v[97:98]
	v_cmp_neq_f64_e64 s[2:3], 0, v[99:100]
	s_or_b64 s[2:3], vcc, s[2:3]
	s_and_b64 exec, exec, s[2:3]
	s_cbranch_execz .LBB87_296
; %bb.291:
	v_cmp_ngt_f64_e64 s[2:3], |v[97:98]|, |v[99:100]|
                                        ; implicit-def: $vgpr101_vgpr102
	s_and_saveexec_b64 s[6:7], s[2:3]
	s_xor_b64 s[2:3], exec, s[6:7]
                                        ; implicit-def: $vgpr103_vgpr104
	s_cbranch_execz .LBB87_293
; %bb.292:
	v_div_scale_f64 v[101:102], s[6:7], v[99:100], v[99:100], v[97:98]
	v_rcp_f64_e32 v[103:104], v[101:102]
	v_fma_f64 v[105:106], -v[101:102], v[103:104], 1.0
	v_fma_f64 v[103:104], v[103:104], v[105:106], v[103:104]
	v_div_scale_f64 v[105:106], vcc, v[97:98], v[99:100], v[97:98]
	v_fma_f64 v[107:108], -v[101:102], v[103:104], 1.0
	v_fma_f64 v[103:104], v[103:104], v[107:108], v[103:104]
	v_mul_f64 v[107:108], v[105:106], v[103:104]
	v_fma_f64 v[101:102], -v[101:102], v[107:108], v[105:106]
	v_div_fmas_f64 v[101:102], v[101:102], v[103:104], v[107:108]
	v_div_fixup_f64 v[101:102], v[101:102], v[99:100], v[97:98]
	v_fma_f64 v[97:98], v[97:98], v[101:102], v[99:100]
	v_div_scale_f64 v[99:100], s[6:7], v[97:98], v[97:98], 1.0
	v_div_scale_f64 v[107:108], vcc, 1.0, v[97:98], 1.0
	v_rcp_f64_e32 v[103:104], v[99:100]
	v_fma_f64 v[105:106], -v[99:100], v[103:104], 1.0
	v_fma_f64 v[103:104], v[103:104], v[105:106], v[103:104]
	v_fma_f64 v[105:106], -v[99:100], v[103:104], 1.0
	v_fma_f64 v[103:104], v[103:104], v[105:106], v[103:104]
	v_mul_f64 v[105:106], v[107:108], v[103:104]
	v_fma_f64 v[99:100], -v[99:100], v[105:106], v[107:108]
	v_div_fmas_f64 v[99:100], v[99:100], v[103:104], v[105:106]
	v_div_fixup_f64 v[103:104], v[99:100], v[97:98], 1.0
                                        ; implicit-def: $vgpr97_vgpr98
	v_mul_f64 v[101:102], v[101:102], v[103:104]
	v_xor_b32_e32 v104, 0x80000000, v104
.LBB87_293:
	s_andn2_saveexec_b64 s[2:3], s[2:3]
	s_cbranch_execz .LBB87_295
; %bb.294:
	v_div_scale_f64 v[101:102], s[6:7], v[97:98], v[97:98], v[99:100]
	v_rcp_f64_e32 v[103:104], v[101:102]
	v_fma_f64 v[105:106], -v[101:102], v[103:104], 1.0
	v_fma_f64 v[103:104], v[103:104], v[105:106], v[103:104]
	v_div_scale_f64 v[105:106], vcc, v[99:100], v[97:98], v[99:100]
	v_fma_f64 v[107:108], -v[101:102], v[103:104], 1.0
	v_fma_f64 v[103:104], v[103:104], v[107:108], v[103:104]
	v_mul_f64 v[107:108], v[105:106], v[103:104]
	v_fma_f64 v[101:102], -v[101:102], v[107:108], v[105:106]
	v_div_fmas_f64 v[101:102], v[101:102], v[103:104], v[107:108]
	v_div_fixup_f64 v[103:104], v[101:102], v[97:98], v[99:100]
	v_fma_f64 v[97:98], v[99:100], v[103:104], v[97:98]
	v_div_scale_f64 v[99:100], s[6:7], v[97:98], v[97:98], 1.0
	v_div_scale_f64 v[107:108], vcc, 1.0, v[97:98], 1.0
	v_rcp_f64_e32 v[101:102], v[99:100]
	v_fma_f64 v[105:106], -v[99:100], v[101:102], 1.0
	v_fma_f64 v[101:102], v[101:102], v[105:106], v[101:102]
	v_fma_f64 v[105:106], -v[99:100], v[101:102], 1.0
	v_fma_f64 v[101:102], v[101:102], v[105:106], v[101:102]
	v_mul_f64 v[105:106], v[107:108], v[101:102]
	v_fma_f64 v[99:100], -v[99:100], v[105:106], v[107:108]
	v_div_fmas_f64 v[99:100], v[99:100], v[101:102], v[105:106]
	v_div_fixup_f64 v[101:102], v[99:100], v[97:98], 1.0
	v_mul_f64 v[103:104], v[103:104], -v[101:102]
.LBB87_295:
	s_or_b64 exec, exec, s[2:3]
	ds_write2_b64 v127, v[101:102], v[103:104] offset1:1
.LBB87_296:
	s_or_b64 exec, exec, s[4:5]
	s_waitcnt lgkmcnt(0)
	s_barrier
	ds_read2_b64 v[61:64], v127 offset1:1
	v_cmp_lt_u32_e32 vcc, 32, v0
	s_waitcnt lgkmcnt(0)
	buffer_store_dword v61, off, s[20:23], 0 offset:1192 ; 4-byte Folded Spill
	s_nop 0
	buffer_store_dword v62, off, s[20:23], 0 offset:1196 ; 4-byte Folded Spill
	buffer_store_dword v63, off, s[20:23], 0 offset:1200 ; 4-byte Folded Spill
	;; [unrolled: 1-line block ×3, first 2 shown]
	s_and_saveexec_b64 s[2:3], vcc
	s_cbranch_execz .LBB87_298
; %bb.297:
	buffer_load_dword v61, off, s[20:23], 0 offset:1192 ; 4-byte Folded Reload
	buffer_load_dword v62, off, s[20:23], 0 offset:1196 ; 4-byte Folded Reload
	;; [unrolled: 1-line block ×4, first 2 shown]
	ds_read2_b64 v[99:102], v125 offset0:66 offset1:67
	s_waitcnt vmcnt(2)
	v_mul_f64 v[97:98], v[61:62], v[43:44]
	s_waitcnt vmcnt(0)
	v_mul_f64 v[43:44], v[63:64], v[43:44]
	v_fma_f64 v[97:98], v[63:64], v[41:42], v[97:98]
	v_fma_f64 v[41:42], v[61:62], v[41:42], -v[43:44]
	s_waitcnt lgkmcnt(0)
	v_mul_f64 v[43:44], v[101:102], v[97:98]
	v_fma_f64 v[43:44], v[99:100], v[41:42], -v[43:44]
	v_mul_f64 v[99:100], v[99:100], v[97:98]
	v_add_f64 v[37:38], v[37:38], -v[43:44]
	v_fma_f64 v[99:100], v[101:102], v[41:42], v[99:100]
	v_add_f64 v[39:40], v[39:40], -v[99:100]
	ds_read2_b64 v[99:102], v125 offset0:68 offset1:69
	s_waitcnt lgkmcnt(0)
	v_mul_f64 v[43:44], v[101:102], v[97:98]
	v_fma_f64 v[43:44], v[99:100], v[41:42], -v[43:44]
	v_mul_f64 v[99:100], v[99:100], v[97:98]
	v_add_f64 v[33:34], v[33:34], -v[43:44]
	v_fma_f64 v[99:100], v[101:102], v[41:42], v[99:100]
	v_add_f64 v[35:36], v[35:36], -v[99:100]
	ds_read2_b64 v[99:102], v125 offset0:70 offset1:71
	;; [unrolled: 8-line block ×10, first 2 shown]
	s_waitcnt lgkmcnt(0)
	v_mul_f64 v[43:44], v[101:102], v[97:98]
	v_fma_f64 v[43:44], v[99:100], v[41:42], -v[43:44]
	v_mul_f64 v[99:100], v[99:100], v[97:98]
	v_add_f64 v[65:66], v[65:66], -v[43:44]
	v_fma_f64 v[99:100], v[101:102], v[41:42], v[99:100]
	v_mov_b32_e32 v43, v97
	v_mov_b32_e32 v44, v98
	v_add_f64 v[67:68], v[67:68], -v[99:100]
.LBB87_298:
	s_or_b64 exec, exec, s[2:3]
	v_cmp_eq_u32_e32 vcc, 33, v0
	s_waitcnt vmcnt(0)
	s_barrier
	s_and_saveexec_b64 s[4:5], vcc
	s_cbranch_execz .LBB87_305
; %bb.299:
	ds_write2_b64 v127, v[37:38], v[39:40] offset1:1
	ds_write2_b64 v125, v[33:34], v[35:36] offset0:68 offset1:69
	ds_write2_b64 v125, v[29:30], v[31:32] offset0:70 offset1:71
	;; [unrolled: 1-line block ×10, first 2 shown]
	ds_read2_b64 v[97:100], v127 offset1:1
	s_waitcnt lgkmcnt(0)
	v_cmp_neq_f64_e32 vcc, 0, v[97:98]
	v_cmp_neq_f64_e64 s[2:3], 0, v[99:100]
	s_or_b64 s[2:3], vcc, s[2:3]
	s_and_b64 exec, exec, s[2:3]
	s_cbranch_execz .LBB87_305
; %bb.300:
	v_cmp_ngt_f64_e64 s[2:3], |v[97:98]|, |v[99:100]|
                                        ; implicit-def: $vgpr101_vgpr102
	s_and_saveexec_b64 s[6:7], s[2:3]
	s_xor_b64 s[2:3], exec, s[6:7]
                                        ; implicit-def: $vgpr103_vgpr104
	s_cbranch_execz .LBB87_302
; %bb.301:
	v_div_scale_f64 v[101:102], s[6:7], v[99:100], v[99:100], v[97:98]
	v_rcp_f64_e32 v[103:104], v[101:102]
	v_fma_f64 v[105:106], -v[101:102], v[103:104], 1.0
	v_fma_f64 v[103:104], v[103:104], v[105:106], v[103:104]
	v_div_scale_f64 v[105:106], vcc, v[97:98], v[99:100], v[97:98]
	v_fma_f64 v[107:108], -v[101:102], v[103:104], 1.0
	v_fma_f64 v[103:104], v[103:104], v[107:108], v[103:104]
	v_mul_f64 v[107:108], v[105:106], v[103:104]
	v_fma_f64 v[101:102], -v[101:102], v[107:108], v[105:106]
	v_div_fmas_f64 v[101:102], v[101:102], v[103:104], v[107:108]
	v_div_fixup_f64 v[101:102], v[101:102], v[99:100], v[97:98]
	v_fma_f64 v[97:98], v[97:98], v[101:102], v[99:100]
	v_div_scale_f64 v[99:100], s[6:7], v[97:98], v[97:98], 1.0
	v_div_scale_f64 v[107:108], vcc, 1.0, v[97:98], 1.0
	v_rcp_f64_e32 v[103:104], v[99:100]
	v_fma_f64 v[105:106], -v[99:100], v[103:104], 1.0
	v_fma_f64 v[103:104], v[103:104], v[105:106], v[103:104]
	v_fma_f64 v[105:106], -v[99:100], v[103:104], 1.0
	v_fma_f64 v[103:104], v[103:104], v[105:106], v[103:104]
	v_mul_f64 v[105:106], v[107:108], v[103:104]
	v_fma_f64 v[99:100], -v[99:100], v[105:106], v[107:108]
	v_div_fmas_f64 v[99:100], v[99:100], v[103:104], v[105:106]
	v_div_fixup_f64 v[103:104], v[99:100], v[97:98], 1.0
                                        ; implicit-def: $vgpr97_vgpr98
	v_mul_f64 v[101:102], v[101:102], v[103:104]
	v_xor_b32_e32 v104, 0x80000000, v104
.LBB87_302:
	s_andn2_saveexec_b64 s[2:3], s[2:3]
	s_cbranch_execz .LBB87_304
; %bb.303:
	v_div_scale_f64 v[101:102], s[6:7], v[97:98], v[97:98], v[99:100]
	v_rcp_f64_e32 v[103:104], v[101:102]
	v_fma_f64 v[105:106], -v[101:102], v[103:104], 1.0
	v_fma_f64 v[103:104], v[103:104], v[105:106], v[103:104]
	v_div_scale_f64 v[105:106], vcc, v[99:100], v[97:98], v[99:100]
	v_fma_f64 v[107:108], -v[101:102], v[103:104], 1.0
	v_fma_f64 v[103:104], v[103:104], v[107:108], v[103:104]
	v_mul_f64 v[107:108], v[105:106], v[103:104]
	v_fma_f64 v[101:102], -v[101:102], v[107:108], v[105:106]
	v_div_fmas_f64 v[101:102], v[101:102], v[103:104], v[107:108]
	v_div_fixup_f64 v[103:104], v[101:102], v[97:98], v[99:100]
	v_fma_f64 v[97:98], v[99:100], v[103:104], v[97:98]
	v_div_scale_f64 v[99:100], s[6:7], v[97:98], v[97:98], 1.0
	v_div_scale_f64 v[107:108], vcc, 1.0, v[97:98], 1.0
	v_rcp_f64_e32 v[101:102], v[99:100]
	v_fma_f64 v[105:106], -v[99:100], v[101:102], 1.0
	v_fma_f64 v[101:102], v[101:102], v[105:106], v[101:102]
	v_fma_f64 v[105:106], -v[99:100], v[101:102], 1.0
	v_fma_f64 v[101:102], v[101:102], v[105:106], v[101:102]
	v_mul_f64 v[105:106], v[107:108], v[101:102]
	v_fma_f64 v[99:100], -v[99:100], v[105:106], v[107:108]
	v_div_fmas_f64 v[99:100], v[99:100], v[101:102], v[105:106]
	v_div_fixup_f64 v[101:102], v[99:100], v[97:98], 1.0
	v_mul_f64 v[103:104], v[103:104], -v[101:102]
.LBB87_304:
	s_or_b64 exec, exec, s[2:3]
	ds_write2_b64 v127, v[101:102], v[103:104] offset1:1
.LBB87_305:
	s_or_b64 exec, exec, s[4:5]
	s_waitcnt lgkmcnt(0)
	s_barrier
	ds_read2_b64 v[61:64], v127 offset1:1
	v_cmp_lt_u32_e32 vcc, 33, v0
	s_waitcnt lgkmcnt(0)
	buffer_store_dword v61, off, s[20:23], 0 offset:1208 ; 4-byte Folded Spill
	s_nop 0
	buffer_store_dword v62, off, s[20:23], 0 offset:1212 ; 4-byte Folded Spill
	buffer_store_dword v63, off, s[20:23], 0 offset:1216 ; 4-byte Folded Spill
	;; [unrolled: 1-line block ×3, first 2 shown]
	s_and_saveexec_b64 s[2:3], vcc
	s_cbranch_execz .LBB87_307
; %bb.306:
	buffer_load_dword v61, off, s[20:23], 0 offset:1208 ; 4-byte Folded Reload
	buffer_load_dword v62, off, s[20:23], 0 offset:1212 ; 4-byte Folded Reload
	buffer_load_dword v63, off, s[20:23], 0 offset:1216 ; 4-byte Folded Reload
	buffer_load_dword v64, off, s[20:23], 0 offset:1220 ; 4-byte Folded Reload
	ds_read2_b64 v[99:102], v125 offset0:68 offset1:69
	s_waitcnt vmcnt(2)
	v_mul_f64 v[97:98], v[61:62], v[39:40]
	s_waitcnt vmcnt(0)
	v_mul_f64 v[39:40], v[63:64], v[39:40]
	v_fma_f64 v[97:98], v[63:64], v[37:38], v[97:98]
	v_fma_f64 v[37:38], v[61:62], v[37:38], -v[39:40]
	s_waitcnt lgkmcnt(0)
	v_mul_f64 v[39:40], v[101:102], v[97:98]
	v_fma_f64 v[39:40], v[99:100], v[37:38], -v[39:40]
	v_mul_f64 v[99:100], v[99:100], v[97:98]
	v_add_f64 v[33:34], v[33:34], -v[39:40]
	v_fma_f64 v[99:100], v[101:102], v[37:38], v[99:100]
	v_add_f64 v[35:36], v[35:36], -v[99:100]
	ds_read2_b64 v[99:102], v125 offset0:70 offset1:71
	s_waitcnt lgkmcnt(0)
	v_mul_f64 v[39:40], v[101:102], v[97:98]
	v_fma_f64 v[39:40], v[99:100], v[37:38], -v[39:40]
	v_mul_f64 v[99:100], v[99:100], v[97:98]
	v_add_f64 v[29:30], v[29:30], -v[39:40]
	v_fma_f64 v[99:100], v[101:102], v[37:38], v[99:100]
	v_add_f64 v[31:32], v[31:32], -v[99:100]
	ds_read2_b64 v[99:102], v125 offset0:72 offset1:73
	;; [unrolled: 8-line block ×9, first 2 shown]
	s_waitcnt lgkmcnt(0)
	v_mul_f64 v[39:40], v[101:102], v[97:98]
	v_fma_f64 v[39:40], v[99:100], v[37:38], -v[39:40]
	v_mul_f64 v[99:100], v[99:100], v[97:98]
	v_add_f64 v[65:66], v[65:66], -v[39:40]
	v_fma_f64 v[99:100], v[101:102], v[37:38], v[99:100]
	v_mov_b32_e32 v39, v97
	v_mov_b32_e32 v40, v98
	v_add_f64 v[67:68], v[67:68], -v[99:100]
.LBB87_307:
	s_or_b64 exec, exec, s[2:3]
	v_cmp_eq_u32_e32 vcc, 34, v0
	s_waitcnt vmcnt(0)
	s_barrier
	s_and_saveexec_b64 s[4:5], vcc
	s_cbranch_execz .LBB87_314
; %bb.308:
	ds_write2_b64 v127, v[33:34], v[35:36] offset1:1
	ds_write2_b64 v125, v[29:30], v[31:32] offset0:70 offset1:71
	ds_write2_b64 v125, v[25:26], v[27:28] offset0:72 offset1:73
	ds_write2_b64 v125, v[21:22], v[23:24] offset0:74 offset1:75
	ds_write2_b64 v125, v[17:18], v[19:20] offset0:76 offset1:77
	ds_write2_b64 v125, v[13:14], v[15:16] offset0:78 offset1:79
	ds_write2_b64 v125, v[9:10], v[11:12] offset0:80 offset1:81
	ds_write2_b64 v125, v[5:6], v[7:8] offset0:82 offset1:83
	ds_write2_b64 v125, v[1:2], v[3:4] offset0:84 offset1:85
	ds_write2_b64 v125, v[65:66], v[67:68] offset0:86 offset1:87
	ds_read2_b64 v[97:100], v127 offset1:1
	s_waitcnt lgkmcnt(0)
	v_cmp_neq_f64_e32 vcc, 0, v[97:98]
	v_cmp_neq_f64_e64 s[2:3], 0, v[99:100]
	s_or_b64 s[2:3], vcc, s[2:3]
	s_and_b64 exec, exec, s[2:3]
	s_cbranch_execz .LBB87_314
; %bb.309:
	v_cmp_ngt_f64_e64 s[2:3], |v[97:98]|, |v[99:100]|
                                        ; implicit-def: $vgpr101_vgpr102
	s_and_saveexec_b64 s[6:7], s[2:3]
	s_xor_b64 s[2:3], exec, s[6:7]
                                        ; implicit-def: $vgpr103_vgpr104
	s_cbranch_execz .LBB87_311
; %bb.310:
	v_div_scale_f64 v[101:102], s[6:7], v[99:100], v[99:100], v[97:98]
	v_rcp_f64_e32 v[103:104], v[101:102]
	v_fma_f64 v[105:106], -v[101:102], v[103:104], 1.0
	v_fma_f64 v[103:104], v[103:104], v[105:106], v[103:104]
	v_div_scale_f64 v[105:106], vcc, v[97:98], v[99:100], v[97:98]
	v_fma_f64 v[107:108], -v[101:102], v[103:104], 1.0
	v_fma_f64 v[103:104], v[103:104], v[107:108], v[103:104]
	v_mul_f64 v[107:108], v[105:106], v[103:104]
	v_fma_f64 v[101:102], -v[101:102], v[107:108], v[105:106]
	v_div_fmas_f64 v[101:102], v[101:102], v[103:104], v[107:108]
	v_div_fixup_f64 v[101:102], v[101:102], v[99:100], v[97:98]
	v_fma_f64 v[97:98], v[97:98], v[101:102], v[99:100]
	v_div_scale_f64 v[99:100], s[6:7], v[97:98], v[97:98], 1.0
	v_div_scale_f64 v[107:108], vcc, 1.0, v[97:98], 1.0
	v_rcp_f64_e32 v[103:104], v[99:100]
	v_fma_f64 v[105:106], -v[99:100], v[103:104], 1.0
	v_fma_f64 v[103:104], v[103:104], v[105:106], v[103:104]
	v_fma_f64 v[105:106], -v[99:100], v[103:104], 1.0
	v_fma_f64 v[103:104], v[103:104], v[105:106], v[103:104]
	v_mul_f64 v[105:106], v[107:108], v[103:104]
	v_fma_f64 v[99:100], -v[99:100], v[105:106], v[107:108]
	v_div_fmas_f64 v[99:100], v[99:100], v[103:104], v[105:106]
	v_div_fixup_f64 v[103:104], v[99:100], v[97:98], 1.0
                                        ; implicit-def: $vgpr97_vgpr98
	v_mul_f64 v[101:102], v[101:102], v[103:104]
	v_xor_b32_e32 v104, 0x80000000, v104
.LBB87_311:
	s_andn2_saveexec_b64 s[2:3], s[2:3]
	s_cbranch_execz .LBB87_313
; %bb.312:
	v_div_scale_f64 v[101:102], s[6:7], v[97:98], v[97:98], v[99:100]
	v_rcp_f64_e32 v[103:104], v[101:102]
	v_fma_f64 v[105:106], -v[101:102], v[103:104], 1.0
	v_fma_f64 v[103:104], v[103:104], v[105:106], v[103:104]
	v_div_scale_f64 v[105:106], vcc, v[99:100], v[97:98], v[99:100]
	v_fma_f64 v[107:108], -v[101:102], v[103:104], 1.0
	v_fma_f64 v[103:104], v[103:104], v[107:108], v[103:104]
	v_mul_f64 v[107:108], v[105:106], v[103:104]
	v_fma_f64 v[101:102], -v[101:102], v[107:108], v[105:106]
	v_div_fmas_f64 v[101:102], v[101:102], v[103:104], v[107:108]
	v_div_fixup_f64 v[103:104], v[101:102], v[97:98], v[99:100]
	v_fma_f64 v[97:98], v[99:100], v[103:104], v[97:98]
	v_div_scale_f64 v[99:100], s[6:7], v[97:98], v[97:98], 1.0
	v_div_scale_f64 v[107:108], vcc, 1.0, v[97:98], 1.0
	v_rcp_f64_e32 v[101:102], v[99:100]
	v_fma_f64 v[105:106], -v[99:100], v[101:102], 1.0
	v_fma_f64 v[101:102], v[101:102], v[105:106], v[101:102]
	v_fma_f64 v[105:106], -v[99:100], v[101:102], 1.0
	v_fma_f64 v[101:102], v[101:102], v[105:106], v[101:102]
	v_mul_f64 v[105:106], v[107:108], v[101:102]
	v_fma_f64 v[99:100], -v[99:100], v[105:106], v[107:108]
	v_div_fmas_f64 v[99:100], v[99:100], v[101:102], v[105:106]
	v_div_fixup_f64 v[101:102], v[99:100], v[97:98], 1.0
	v_mul_f64 v[103:104], v[103:104], -v[101:102]
.LBB87_313:
	s_or_b64 exec, exec, s[2:3]
	ds_write2_b64 v127, v[101:102], v[103:104] offset1:1
.LBB87_314:
	s_or_b64 exec, exec, s[4:5]
	s_waitcnt lgkmcnt(0)
	s_barrier
	ds_read2_b64 v[61:64], v127 offset1:1
	v_cmp_lt_u32_e32 vcc, 34, v0
	s_waitcnt lgkmcnt(0)
	buffer_store_dword v61, off, s[20:23], 0 offset:1224 ; 4-byte Folded Spill
	s_nop 0
	buffer_store_dword v62, off, s[20:23], 0 offset:1228 ; 4-byte Folded Spill
	buffer_store_dword v63, off, s[20:23], 0 offset:1232 ; 4-byte Folded Spill
	;; [unrolled: 1-line block ×3, first 2 shown]
	s_and_saveexec_b64 s[2:3], vcc
	s_cbranch_execz .LBB87_316
; %bb.315:
	buffer_load_dword v61, off, s[20:23], 0 offset:1224 ; 4-byte Folded Reload
	buffer_load_dword v62, off, s[20:23], 0 offset:1228 ; 4-byte Folded Reload
	buffer_load_dword v63, off, s[20:23], 0 offset:1232 ; 4-byte Folded Reload
	buffer_load_dword v64, off, s[20:23], 0 offset:1236 ; 4-byte Folded Reload
	ds_read2_b64 v[99:102], v125 offset0:70 offset1:71
	s_waitcnt vmcnt(2)
	v_mul_f64 v[97:98], v[61:62], v[35:36]
	s_waitcnt vmcnt(0)
	v_mul_f64 v[35:36], v[63:64], v[35:36]
	v_fma_f64 v[97:98], v[63:64], v[33:34], v[97:98]
	v_fma_f64 v[33:34], v[61:62], v[33:34], -v[35:36]
	s_waitcnt lgkmcnt(0)
	v_mul_f64 v[35:36], v[101:102], v[97:98]
	v_fma_f64 v[35:36], v[99:100], v[33:34], -v[35:36]
	v_mul_f64 v[99:100], v[99:100], v[97:98]
	v_add_f64 v[29:30], v[29:30], -v[35:36]
	v_fma_f64 v[99:100], v[101:102], v[33:34], v[99:100]
	v_add_f64 v[31:32], v[31:32], -v[99:100]
	ds_read2_b64 v[99:102], v125 offset0:72 offset1:73
	s_waitcnt lgkmcnt(0)
	v_mul_f64 v[35:36], v[101:102], v[97:98]
	v_fma_f64 v[35:36], v[99:100], v[33:34], -v[35:36]
	v_mul_f64 v[99:100], v[99:100], v[97:98]
	v_add_f64 v[25:26], v[25:26], -v[35:36]
	v_fma_f64 v[99:100], v[101:102], v[33:34], v[99:100]
	v_add_f64 v[27:28], v[27:28], -v[99:100]
	ds_read2_b64 v[99:102], v125 offset0:74 offset1:75
	;; [unrolled: 8-line block ×8, first 2 shown]
	s_waitcnt lgkmcnt(0)
	v_mul_f64 v[35:36], v[101:102], v[97:98]
	v_fma_f64 v[35:36], v[99:100], v[33:34], -v[35:36]
	v_mul_f64 v[99:100], v[99:100], v[97:98]
	v_add_f64 v[65:66], v[65:66], -v[35:36]
	v_fma_f64 v[99:100], v[101:102], v[33:34], v[99:100]
	v_mov_b32_e32 v35, v97
	v_mov_b32_e32 v36, v98
	v_add_f64 v[67:68], v[67:68], -v[99:100]
.LBB87_316:
	s_or_b64 exec, exec, s[2:3]
	v_cmp_eq_u32_e32 vcc, 35, v0
	s_waitcnt vmcnt(0)
	s_barrier
	s_and_saveexec_b64 s[4:5], vcc
	s_cbranch_execz .LBB87_323
; %bb.317:
	ds_write2_b64 v127, v[29:30], v[31:32] offset1:1
	ds_write2_b64 v125, v[25:26], v[27:28] offset0:72 offset1:73
	ds_write2_b64 v125, v[21:22], v[23:24] offset0:74 offset1:75
	;; [unrolled: 1-line block ×8, first 2 shown]
	ds_read2_b64 v[97:100], v127 offset1:1
	s_waitcnt lgkmcnt(0)
	v_cmp_neq_f64_e32 vcc, 0, v[97:98]
	v_cmp_neq_f64_e64 s[2:3], 0, v[99:100]
	s_or_b64 s[2:3], vcc, s[2:3]
	s_and_b64 exec, exec, s[2:3]
	s_cbranch_execz .LBB87_323
; %bb.318:
	v_cmp_ngt_f64_e64 s[2:3], |v[97:98]|, |v[99:100]|
                                        ; implicit-def: $vgpr101_vgpr102
	s_and_saveexec_b64 s[6:7], s[2:3]
	s_xor_b64 s[2:3], exec, s[6:7]
                                        ; implicit-def: $vgpr103_vgpr104
	s_cbranch_execz .LBB87_320
; %bb.319:
	v_div_scale_f64 v[101:102], s[6:7], v[99:100], v[99:100], v[97:98]
	v_rcp_f64_e32 v[103:104], v[101:102]
	v_fma_f64 v[105:106], -v[101:102], v[103:104], 1.0
	v_fma_f64 v[103:104], v[103:104], v[105:106], v[103:104]
	v_div_scale_f64 v[105:106], vcc, v[97:98], v[99:100], v[97:98]
	v_fma_f64 v[107:108], -v[101:102], v[103:104], 1.0
	v_fma_f64 v[103:104], v[103:104], v[107:108], v[103:104]
	v_mul_f64 v[107:108], v[105:106], v[103:104]
	v_fma_f64 v[101:102], -v[101:102], v[107:108], v[105:106]
	v_div_fmas_f64 v[101:102], v[101:102], v[103:104], v[107:108]
	v_div_fixup_f64 v[101:102], v[101:102], v[99:100], v[97:98]
	v_fma_f64 v[97:98], v[97:98], v[101:102], v[99:100]
	v_div_scale_f64 v[99:100], s[6:7], v[97:98], v[97:98], 1.0
	v_div_scale_f64 v[107:108], vcc, 1.0, v[97:98], 1.0
	v_rcp_f64_e32 v[103:104], v[99:100]
	v_fma_f64 v[105:106], -v[99:100], v[103:104], 1.0
	v_fma_f64 v[103:104], v[103:104], v[105:106], v[103:104]
	v_fma_f64 v[105:106], -v[99:100], v[103:104], 1.0
	v_fma_f64 v[103:104], v[103:104], v[105:106], v[103:104]
	v_mul_f64 v[105:106], v[107:108], v[103:104]
	v_fma_f64 v[99:100], -v[99:100], v[105:106], v[107:108]
	v_div_fmas_f64 v[99:100], v[99:100], v[103:104], v[105:106]
	v_div_fixup_f64 v[103:104], v[99:100], v[97:98], 1.0
                                        ; implicit-def: $vgpr97_vgpr98
	v_mul_f64 v[101:102], v[101:102], v[103:104]
	v_xor_b32_e32 v104, 0x80000000, v104
.LBB87_320:
	s_andn2_saveexec_b64 s[2:3], s[2:3]
	s_cbranch_execz .LBB87_322
; %bb.321:
	v_div_scale_f64 v[101:102], s[6:7], v[97:98], v[97:98], v[99:100]
	v_rcp_f64_e32 v[103:104], v[101:102]
	v_fma_f64 v[105:106], -v[101:102], v[103:104], 1.0
	v_fma_f64 v[103:104], v[103:104], v[105:106], v[103:104]
	v_div_scale_f64 v[105:106], vcc, v[99:100], v[97:98], v[99:100]
	v_fma_f64 v[107:108], -v[101:102], v[103:104], 1.0
	v_fma_f64 v[103:104], v[103:104], v[107:108], v[103:104]
	v_mul_f64 v[107:108], v[105:106], v[103:104]
	v_fma_f64 v[101:102], -v[101:102], v[107:108], v[105:106]
	v_div_fmas_f64 v[101:102], v[101:102], v[103:104], v[107:108]
	v_div_fixup_f64 v[103:104], v[101:102], v[97:98], v[99:100]
	v_fma_f64 v[97:98], v[99:100], v[103:104], v[97:98]
	v_div_scale_f64 v[99:100], s[6:7], v[97:98], v[97:98], 1.0
	v_div_scale_f64 v[107:108], vcc, 1.0, v[97:98], 1.0
	v_rcp_f64_e32 v[101:102], v[99:100]
	v_fma_f64 v[105:106], -v[99:100], v[101:102], 1.0
	v_fma_f64 v[101:102], v[101:102], v[105:106], v[101:102]
	v_fma_f64 v[105:106], -v[99:100], v[101:102], 1.0
	v_fma_f64 v[101:102], v[101:102], v[105:106], v[101:102]
	v_mul_f64 v[105:106], v[107:108], v[101:102]
	v_fma_f64 v[99:100], -v[99:100], v[105:106], v[107:108]
	v_div_fmas_f64 v[99:100], v[99:100], v[101:102], v[105:106]
	v_div_fixup_f64 v[101:102], v[99:100], v[97:98], 1.0
	v_mul_f64 v[103:104], v[103:104], -v[101:102]
.LBB87_322:
	s_or_b64 exec, exec, s[2:3]
	ds_write2_b64 v127, v[101:102], v[103:104] offset1:1
.LBB87_323:
	s_or_b64 exec, exec, s[4:5]
	s_waitcnt lgkmcnt(0)
	s_barrier
	ds_read2_b64 v[61:64], v127 offset1:1
	v_cmp_lt_u32_e32 vcc, 35, v0
	s_waitcnt lgkmcnt(0)
	buffer_store_dword v61, off, s[20:23], 0 offset:1240 ; 4-byte Folded Spill
	s_nop 0
	buffer_store_dword v62, off, s[20:23], 0 offset:1244 ; 4-byte Folded Spill
	buffer_store_dword v63, off, s[20:23], 0 offset:1248 ; 4-byte Folded Spill
	;; [unrolled: 1-line block ×3, first 2 shown]
	s_and_saveexec_b64 s[2:3], vcc
	s_cbranch_execz .LBB87_325
; %bb.324:
	buffer_load_dword v61, off, s[20:23], 0 offset:1240 ; 4-byte Folded Reload
	buffer_load_dword v62, off, s[20:23], 0 offset:1244 ; 4-byte Folded Reload
	;; [unrolled: 1-line block ×4, first 2 shown]
	ds_read2_b64 v[99:102], v125 offset0:72 offset1:73
	s_waitcnt vmcnt(2)
	v_mul_f64 v[97:98], v[61:62], v[31:32]
	s_waitcnt vmcnt(0)
	v_mul_f64 v[31:32], v[63:64], v[31:32]
	v_fma_f64 v[97:98], v[63:64], v[29:30], v[97:98]
	v_fma_f64 v[29:30], v[61:62], v[29:30], -v[31:32]
	s_waitcnt lgkmcnt(0)
	v_mul_f64 v[31:32], v[101:102], v[97:98]
	v_fma_f64 v[31:32], v[99:100], v[29:30], -v[31:32]
	v_mul_f64 v[99:100], v[99:100], v[97:98]
	v_add_f64 v[25:26], v[25:26], -v[31:32]
	v_fma_f64 v[99:100], v[101:102], v[29:30], v[99:100]
	v_add_f64 v[27:28], v[27:28], -v[99:100]
	ds_read2_b64 v[99:102], v125 offset0:74 offset1:75
	s_waitcnt lgkmcnt(0)
	v_mul_f64 v[31:32], v[101:102], v[97:98]
	v_fma_f64 v[31:32], v[99:100], v[29:30], -v[31:32]
	v_mul_f64 v[99:100], v[99:100], v[97:98]
	v_add_f64 v[21:22], v[21:22], -v[31:32]
	v_fma_f64 v[99:100], v[101:102], v[29:30], v[99:100]
	v_add_f64 v[23:24], v[23:24], -v[99:100]
	ds_read2_b64 v[99:102], v125 offset0:76 offset1:77
	s_waitcnt lgkmcnt(0)
	v_mul_f64 v[31:32], v[101:102], v[97:98]
	v_fma_f64 v[31:32], v[99:100], v[29:30], -v[31:32]
	v_mul_f64 v[99:100], v[99:100], v[97:98]
	v_add_f64 v[17:18], v[17:18], -v[31:32]
	v_fma_f64 v[99:100], v[101:102], v[29:30], v[99:100]
	v_add_f64 v[19:20], v[19:20], -v[99:100]
	ds_read2_b64 v[99:102], v125 offset0:78 offset1:79
	s_waitcnt lgkmcnt(0)
	v_mul_f64 v[31:32], v[101:102], v[97:98]
	v_fma_f64 v[31:32], v[99:100], v[29:30], -v[31:32]
	v_mul_f64 v[99:100], v[99:100], v[97:98]
	v_add_f64 v[13:14], v[13:14], -v[31:32]
	v_fma_f64 v[99:100], v[101:102], v[29:30], v[99:100]
	v_add_f64 v[15:16], v[15:16], -v[99:100]
	ds_read2_b64 v[99:102], v125 offset0:80 offset1:81
	s_waitcnt lgkmcnt(0)
	v_mul_f64 v[31:32], v[101:102], v[97:98]
	v_fma_f64 v[31:32], v[99:100], v[29:30], -v[31:32]
	v_mul_f64 v[99:100], v[99:100], v[97:98]
	v_add_f64 v[9:10], v[9:10], -v[31:32]
	v_fma_f64 v[99:100], v[101:102], v[29:30], v[99:100]
	v_add_f64 v[11:12], v[11:12], -v[99:100]
	ds_read2_b64 v[99:102], v125 offset0:82 offset1:83
	s_waitcnt lgkmcnt(0)
	v_mul_f64 v[31:32], v[101:102], v[97:98]
	v_fma_f64 v[31:32], v[99:100], v[29:30], -v[31:32]
	v_mul_f64 v[99:100], v[99:100], v[97:98]
	v_add_f64 v[5:6], v[5:6], -v[31:32]
	v_fma_f64 v[99:100], v[101:102], v[29:30], v[99:100]
	v_add_f64 v[7:8], v[7:8], -v[99:100]
	ds_read2_b64 v[99:102], v125 offset0:84 offset1:85
	s_waitcnt lgkmcnt(0)
	v_mul_f64 v[31:32], v[101:102], v[97:98]
	v_fma_f64 v[31:32], v[99:100], v[29:30], -v[31:32]
	v_mul_f64 v[99:100], v[99:100], v[97:98]
	v_add_f64 v[1:2], v[1:2], -v[31:32]
	v_fma_f64 v[99:100], v[101:102], v[29:30], v[99:100]
	v_add_f64 v[3:4], v[3:4], -v[99:100]
	ds_read2_b64 v[99:102], v125 offset0:86 offset1:87
	s_waitcnt lgkmcnt(0)
	v_mul_f64 v[31:32], v[101:102], v[97:98]
	v_fma_f64 v[31:32], v[99:100], v[29:30], -v[31:32]
	v_mul_f64 v[99:100], v[99:100], v[97:98]
	v_add_f64 v[65:66], v[65:66], -v[31:32]
	v_fma_f64 v[99:100], v[101:102], v[29:30], v[99:100]
	v_mov_b32_e32 v31, v97
	v_mov_b32_e32 v32, v98
	v_add_f64 v[67:68], v[67:68], -v[99:100]
.LBB87_325:
	s_or_b64 exec, exec, s[2:3]
	v_cmp_eq_u32_e32 vcc, 36, v0
	s_waitcnt vmcnt(0)
	s_barrier
	s_and_saveexec_b64 s[4:5], vcc
	s_cbranch_execz .LBB87_332
; %bb.326:
	ds_write2_b64 v127, v[25:26], v[27:28] offset1:1
	ds_write2_b64 v125, v[21:22], v[23:24] offset0:74 offset1:75
	ds_write2_b64 v125, v[17:18], v[19:20] offset0:76 offset1:77
	;; [unrolled: 1-line block ×7, first 2 shown]
	ds_read2_b64 v[97:100], v127 offset1:1
	s_waitcnt lgkmcnt(0)
	v_cmp_neq_f64_e32 vcc, 0, v[97:98]
	v_cmp_neq_f64_e64 s[2:3], 0, v[99:100]
	s_or_b64 s[2:3], vcc, s[2:3]
	s_and_b64 exec, exec, s[2:3]
	s_cbranch_execz .LBB87_332
; %bb.327:
	v_cmp_ngt_f64_e64 s[2:3], |v[97:98]|, |v[99:100]|
                                        ; implicit-def: $vgpr101_vgpr102
	s_and_saveexec_b64 s[6:7], s[2:3]
	s_xor_b64 s[2:3], exec, s[6:7]
                                        ; implicit-def: $vgpr103_vgpr104
	s_cbranch_execz .LBB87_329
; %bb.328:
	v_div_scale_f64 v[101:102], s[6:7], v[99:100], v[99:100], v[97:98]
	v_rcp_f64_e32 v[103:104], v[101:102]
	v_fma_f64 v[105:106], -v[101:102], v[103:104], 1.0
	v_fma_f64 v[103:104], v[103:104], v[105:106], v[103:104]
	v_div_scale_f64 v[105:106], vcc, v[97:98], v[99:100], v[97:98]
	v_fma_f64 v[107:108], -v[101:102], v[103:104], 1.0
	v_fma_f64 v[103:104], v[103:104], v[107:108], v[103:104]
	v_mul_f64 v[107:108], v[105:106], v[103:104]
	v_fma_f64 v[101:102], -v[101:102], v[107:108], v[105:106]
	v_div_fmas_f64 v[101:102], v[101:102], v[103:104], v[107:108]
	v_div_fixup_f64 v[101:102], v[101:102], v[99:100], v[97:98]
	v_fma_f64 v[97:98], v[97:98], v[101:102], v[99:100]
	v_div_scale_f64 v[99:100], s[6:7], v[97:98], v[97:98], 1.0
	v_div_scale_f64 v[107:108], vcc, 1.0, v[97:98], 1.0
	v_rcp_f64_e32 v[103:104], v[99:100]
	v_fma_f64 v[105:106], -v[99:100], v[103:104], 1.0
	v_fma_f64 v[103:104], v[103:104], v[105:106], v[103:104]
	v_fma_f64 v[105:106], -v[99:100], v[103:104], 1.0
	v_fma_f64 v[103:104], v[103:104], v[105:106], v[103:104]
	v_mul_f64 v[105:106], v[107:108], v[103:104]
	v_fma_f64 v[99:100], -v[99:100], v[105:106], v[107:108]
	v_div_fmas_f64 v[99:100], v[99:100], v[103:104], v[105:106]
	v_div_fixup_f64 v[103:104], v[99:100], v[97:98], 1.0
                                        ; implicit-def: $vgpr97_vgpr98
	v_mul_f64 v[101:102], v[101:102], v[103:104]
	v_xor_b32_e32 v104, 0x80000000, v104
.LBB87_329:
	s_andn2_saveexec_b64 s[2:3], s[2:3]
	s_cbranch_execz .LBB87_331
; %bb.330:
	v_div_scale_f64 v[101:102], s[6:7], v[97:98], v[97:98], v[99:100]
	v_rcp_f64_e32 v[103:104], v[101:102]
	v_fma_f64 v[105:106], -v[101:102], v[103:104], 1.0
	v_fma_f64 v[103:104], v[103:104], v[105:106], v[103:104]
	v_div_scale_f64 v[105:106], vcc, v[99:100], v[97:98], v[99:100]
	v_fma_f64 v[107:108], -v[101:102], v[103:104], 1.0
	v_fma_f64 v[103:104], v[103:104], v[107:108], v[103:104]
	v_mul_f64 v[107:108], v[105:106], v[103:104]
	v_fma_f64 v[101:102], -v[101:102], v[107:108], v[105:106]
	v_div_fmas_f64 v[101:102], v[101:102], v[103:104], v[107:108]
	v_div_fixup_f64 v[103:104], v[101:102], v[97:98], v[99:100]
	v_fma_f64 v[97:98], v[99:100], v[103:104], v[97:98]
	v_div_scale_f64 v[99:100], s[6:7], v[97:98], v[97:98], 1.0
	v_div_scale_f64 v[107:108], vcc, 1.0, v[97:98], 1.0
	v_rcp_f64_e32 v[101:102], v[99:100]
	v_fma_f64 v[105:106], -v[99:100], v[101:102], 1.0
	v_fma_f64 v[101:102], v[101:102], v[105:106], v[101:102]
	v_fma_f64 v[105:106], -v[99:100], v[101:102], 1.0
	v_fma_f64 v[101:102], v[101:102], v[105:106], v[101:102]
	v_mul_f64 v[105:106], v[107:108], v[101:102]
	v_fma_f64 v[99:100], -v[99:100], v[105:106], v[107:108]
	v_div_fmas_f64 v[99:100], v[99:100], v[101:102], v[105:106]
	v_div_fixup_f64 v[101:102], v[99:100], v[97:98], 1.0
	v_mul_f64 v[103:104], v[103:104], -v[101:102]
.LBB87_331:
	s_or_b64 exec, exec, s[2:3]
	ds_write2_b64 v127, v[101:102], v[103:104] offset1:1
.LBB87_332:
	s_or_b64 exec, exec, s[4:5]
	s_waitcnt lgkmcnt(0)
	s_barrier
	ds_read2_b64 v[61:64], v127 offset1:1
	v_cmp_lt_u32_e32 vcc, 36, v0
	s_waitcnt lgkmcnt(0)
	buffer_store_dword v61, off, s[20:23], 0 offset:1256 ; 4-byte Folded Spill
	s_nop 0
	buffer_store_dword v62, off, s[20:23], 0 offset:1260 ; 4-byte Folded Spill
	buffer_store_dword v63, off, s[20:23], 0 offset:1264 ; 4-byte Folded Spill
	;; [unrolled: 1-line block ×3, first 2 shown]
	s_and_saveexec_b64 s[2:3], vcc
	s_cbranch_execz .LBB87_334
; %bb.333:
	buffer_load_dword v61, off, s[20:23], 0 offset:1256 ; 4-byte Folded Reload
	buffer_load_dword v62, off, s[20:23], 0 offset:1260 ; 4-byte Folded Reload
	;; [unrolled: 1-line block ×4, first 2 shown]
	ds_read2_b64 v[99:102], v125 offset0:74 offset1:75
	s_waitcnt vmcnt(2)
	v_mul_f64 v[97:98], v[61:62], v[27:28]
	s_waitcnt vmcnt(0)
	v_mul_f64 v[27:28], v[63:64], v[27:28]
	v_fma_f64 v[97:98], v[63:64], v[25:26], v[97:98]
	v_fma_f64 v[25:26], v[61:62], v[25:26], -v[27:28]
	s_waitcnt lgkmcnt(0)
	v_mul_f64 v[27:28], v[101:102], v[97:98]
	v_fma_f64 v[27:28], v[99:100], v[25:26], -v[27:28]
	v_mul_f64 v[99:100], v[99:100], v[97:98]
	v_add_f64 v[21:22], v[21:22], -v[27:28]
	v_fma_f64 v[99:100], v[101:102], v[25:26], v[99:100]
	v_add_f64 v[23:24], v[23:24], -v[99:100]
	ds_read2_b64 v[99:102], v125 offset0:76 offset1:77
	s_waitcnt lgkmcnt(0)
	v_mul_f64 v[27:28], v[101:102], v[97:98]
	v_fma_f64 v[27:28], v[99:100], v[25:26], -v[27:28]
	v_mul_f64 v[99:100], v[99:100], v[97:98]
	v_add_f64 v[17:18], v[17:18], -v[27:28]
	v_fma_f64 v[99:100], v[101:102], v[25:26], v[99:100]
	v_add_f64 v[19:20], v[19:20], -v[99:100]
	ds_read2_b64 v[99:102], v125 offset0:78 offset1:79
	s_waitcnt lgkmcnt(0)
	v_mul_f64 v[27:28], v[101:102], v[97:98]
	v_fma_f64 v[27:28], v[99:100], v[25:26], -v[27:28]
	v_mul_f64 v[99:100], v[99:100], v[97:98]
	v_add_f64 v[13:14], v[13:14], -v[27:28]
	v_fma_f64 v[99:100], v[101:102], v[25:26], v[99:100]
	v_add_f64 v[15:16], v[15:16], -v[99:100]
	ds_read2_b64 v[99:102], v125 offset0:80 offset1:81
	s_waitcnt lgkmcnt(0)
	v_mul_f64 v[27:28], v[101:102], v[97:98]
	v_fma_f64 v[27:28], v[99:100], v[25:26], -v[27:28]
	v_mul_f64 v[99:100], v[99:100], v[97:98]
	v_add_f64 v[9:10], v[9:10], -v[27:28]
	v_fma_f64 v[99:100], v[101:102], v[25:26], v[99:100]
	v_add_f64 v[11:12], v[11:12], -v[99:100]
	ds_read2_b64 v[99:102], v125 offset0:82 offset1:83
	s_waitcnt lgkmcnt(0)
	v_mul_f64 v[27:28], v[101:102], v[97:98]
	v_fma_f64 v[27:28], v[99:100], v[25:26], -v[27:28]
	v_mul_f64 v[99:100], v[99:100], v[97:98]
	v_add_f64 v[5:6], v[5:6], -v[27:28]
	v_fma_f64 v[99:100], v[101:102], v[25:26], v[99:100]
	v_add_f64 v[7:8], v[7:8], -v[99:100]
	ds_read2_b64 v[99:102], v125 offset0:84 offset1:85
	s_waitcnt lgkmcnt(0)
	v_mul_f64 v[27:28], v[101:102], v[97:98]
	v_fma_f64 v[27:28], v[99:100], v[25:26], -v[27:28]
	v_mul_f64 v[99:100], v[99:100], v[97:98]
	v_add_f64 v[1:2], v[1:2], -v[27:28]
	v_fma_f64 v[99:100], v[101:102], v[25:26], v[99:100]
	v_add_f64 v[3:4], v[3:4], -v[99:100]
	ds_read2_b64 v[99:102], v125 offset0:86 offset1:87
	s_waitcnt lgkmcnt(0)
	v_mul_f64 v[27:28], v[101:102], v[97:98]
	v_fma_f64 v[27:28], v[99:100], v[25:26], -v[27:28]
	v_mul_f64 v[99:100], v[99:100], v[97:98]
	v_add_f64 v[65:66], v[65:66], -v[27:28]
	v_fma_f64 v[99:100], v[101:102], v[25:26], v[99:100]
	v_mov_b32_e32 v27, v97
	v_mov_b32_e32 v28, v98
	v_add_f64 v[67:68], v[67:68], -v[99:100]
.LBB87_334:
	s_or_b64 exec, exec, s[2:3]
	v_cmp_eq_u32_e32 vcc, 37, v0
	s_waitcnt vmcnt(0)
	s_barrier
	s_and_saveexec_b64 s[4:5], vcc
	s_cbranch_execz .LBB87_341
; %bb.335:
	ds_write2_b64 v127, v[21:22], v[23:24] offset1:1
	ds_write2_b64 v125, v[17:18], v[19:20] offset0:76 offset1:77
	ds_write2_b64 v125, v[13:14], v[15:16] offset0:78 offset1:79
	;; [unrolled: 1-line block ×6, first 2 shown]
	ds_read2_b64 v[97:100], v127 offset1:1
	s_waitcnt lgkmcnt(0)
	v_cmp_neq_f64_e32 vcc, 0, v[97:98]
	v_cmp_neq_f64_e64 s[2:3], 0, v[99:100]
	s_or_b64 s[2:3], vcc, s[2:3]
	s_and_b64 exec, exec, s[2:3]
	s_cbranch_execz .LBB87_341
; %bb.336:
	v_cmp_ngt_f64_e64 s[2:3], |v[97:98]|, |v[99:100]|
                                        ; implicit-def: $vgpr101_vgpr102
	s_and_saveexec_b64 s[6:7], s[2:3]
	s_xor_b64 s[2:3], exec, s[6:7]
                                        ; implicit-def: $vgpr103_vgpr104
	s_cbranch_execz .LBB87_338
; %bb.337:
	v_div_scale_f64 v[101:102], s[6:7], v[99:100], v[99:100], v[97:98]
	v_rcp_f64_e32 v[103:104], v[101:102]
	v_fma_f64 v[105:106], -v[101:102], v[103:104], 1.0
	v_fma_f64 v[103:104], v[103:104], v[105:106], v[103:104]
	v_div_scale_f64 v[105:106], vcc, v[97:98], v[99:100], v[97:98]
	v_fma_f64 v[107:108], -v[101:102], v[103:104], 1.0
	v_fma_f64 v[103:104], v[103:104], v[107:108], v[103:104]
	v_mul_f64 v[107:108], v[105:106], v[103:104]
	v_fma_f64 v[101:102], -v[101:102], v[107:108], v[105:106]
	v_div_fmas_f64 v[101:102], v[101:102], v[103:104], v[107:108]
	v_div_fixup_f64 v[101:102], v[101:102], v[99:100], v[97:98]
	v_fma_f64 v[97:98], v[97:98], v[101:102], v[99:100]
	v_div_scale_f64 v[99:100], s[6:7], v[97:98], v[97:98], 1.0
	v_div_scale_f64 v[107:108], vcc, 1.0, v[97:98], 1.0
	v_rcp_f64_e32 v[103:104], v[99:100]
	v_fma_f64 v[105:106], -v[99:100], v[103:104], 1.0
	v_fma_f64 v[103:104], v[103:104], v[105:106], v[103:104]
	v_fma_f64 v[105:106], -v[99:100], v[103:104], 1.0
	v_fma_f64 v[103:104], v[103:104], v[105:106], v[103:104]
	v_mul_f64 v[105:106], v[107:108], v[103:104]
	v_fma_f64 v[99:100], -v[99:100], v[105:106], v[107:108]
	v_div_fmas_f64 v[99:100], v[99:100], v[103:104], v[105:106]
	v_div_fixup_f64 v[103:104], v[99:100], v[97:98], 1.0
                                        ; implicit-def: $vgpr97_vgpr98
	v_mul_f64 v[101:102], v[101:102], v[103:104]
	v_xor_b32_e32 v104, 0x80000000, v104
.LBB87_338:
	s_andn2_saveexec_b64 s[2:3], s[2:3]
	s_cbranch_execz .LBB87_340
; %bb.339:
	v_div_scale_f64 v[101:102], s[6:7], v[97:98], v[97:98], v[99:100]
	v_rcp_f64_e32 v[103:104], v[101:102]
	v_fma_f64 v[105:106], -v[101:102], v[103:104], 1.0
	v_fma_f64 v[103:104], v[103:104], v[105:106], v[103:104]
	v_div_scale_f64 v[105:106], vcc, v[99:100], v[97:98], v[99:100]
	v_fma_f64 v[107:108], -v[101:102], v[103:104], 1.0
	v_fma_f64 v[103:104], v[103:104], v[107:108], v[103:104]
	v_mul_f64 v[107:108], v[105:106], v[103:104]
	v_fma_f64 v[101:102], -v[101:102], v[107:108], v[105:106]
	v_div_fmas_f64 v[101:102], v[101:102], v[103:104], v[107:108]
	v_div_fixup_f64 v[103:104], v[101:102], v[97:98], v[99:100]
	v_fma_f64 v[97:98], v[99:100], v[103:104], v[97:98]
	v_div_scale_f64 v[99:100], s[6:7], v[97:98], v[97:98], 1.0
	v_div_scale_f64 v[107:108], vcc, 1.0, v[97:98], 1.0
	v_rcp_f64_e32 v[101:102], v[99:100]
	v_fma_f64 v[105:106], -v[99:100], v[101:102], 1.0
	v_fma_f64 v[101:102], v[101:102], v[105:106], v[101:102]
	v_fma_f64 v[105:106], -v[99:100], v[101:102], 1.0
	v_fma_f64 v[101:102], v[101:102], v[105:106], v[101:102]
	v_mul_f64 v[105:106], v[107:108], v[101:102]
	v_fma_f64 v[99:100], -v[99:100], v[105:106], v[107:108]
	v_div_fmas_f64 v[99:100], v[99:100], v[101:102], v[105:106]
	v_div_fixup_f64 v[101:102], v[99:100], v[97:98], 1.0
	v_mul_f64 v[103:104], v[103:104], -v[101:102]
.LBB87_340:
	s_or_b64 exec, exec, s[2:3]
	ds_write2_b64 v127, v[101:102], v[103:104] offset1:1
.LBB87_341:
	s_or_b64 exec, exec, s[4:5]
	s_waitcnt lgkmcnt(0)
	s_barrier
	ds_read2_b64 v[61:64], v127 offset1:1
	v_cmp_lt_u32_e32 vcc, 37, v0
	s_waitcnt lgkmcnt(0)
	buffer_store_dword v61, off, s[20:23], 0 offset:1272 ; 4-byte Folded Spill
	s_nop 0
	buffer_store_dword v62, off, s[20:23], 0 offset:1276 ; 4-byte Folded Spill
	buffer_store_dword v63, off, s[20:23], 0 offset:1280 ; 4-byte Folded Spill
	;; [unrolled: 1-line block ×3, first 2 shown]
	s_and_saveexec_b64 s[2:3], vcc
	s_cbranch_execz .LBB87_343
; %bb.342:
	buffer_load_dword v61, off, s[20:23], 0 offset:1272 ; 4-byte Folded Reload
	buffer_load_dword v62, off, s[20:23], 0 offset:1276 ; 4-byte Folded Reload
	buffer_load_dword v63, off, s[20:23], 0 offset:1280 ; 4-byte Folded Reload
	buffer_load_dword v64, off, s[20:23], 0 offset:1284 ; 4-byte Folded Reload
	ds_read2_b64 v[99:102], v125 offset0:76 offset1:77
	s_waitcnt vmcnt(2)
	v_mul_f64 v[97:98], v[61:62], v[23:24]
	s_waitcnt vmcnt(0)
	v_mul_f64 v[23:24], v[63:64], v[23:24]
	v_fma_f64 v[97:98], v[63:64], v[21:22], v[97:98]
	v_fma_f64 v[21:22], v[61:62], v[21:22], -v[23:24]
	s_waitcnt lgkmcnt(0)
	v_mul_f64 v[23:24], v[101:102], v[97:98]
	v_fma_f64 v[23:24], v[99:100], v[21:22], -v[23:24]
	v_mul_f64 v[99:100], v[99:100], v[97:98]
	v_add_f64 v[17:18], v[17:18], -v[23:24]
	v_fma_f64 v[99:100], v[101:102], v[21:22], v[99:100]
	v_add_f64 v[19:20], v[19:20], -v[99:100]
	ds_read2_b64 v[99:102], v125 offset0:78 offset1:79
	s_waitcnt lgkmcnt(0)
	v_mul_f64 v[23:24], v[101:102], v[97:98]
	v_fma_f64 v[23:24], v[99:100], v[21:22], -v[23:24]
	v_mul_f64 v[99:100], v[99:100], v[97:98]
	v_add_f64 v[13:14], v[13:14], -v[23:24]
	v_fma_f64 v[99:100], v[101:102], v[21:22], v[99:100]
	v_add_f64 v[15:16], v[15:16], -v[99:100]
	ds_read2_b64 v[99:102], v125 offset0:80 offset1:81
	;; [unrolled: 8-line block ×5, first 2 shown]
	s_waitcnt lgkmcnt(0)
	v_mul_f64 v[23:24], v[101:102], v[97:98]
	v_fma_f64 v[23:24], v[99:100], v[21:22], -v[23:24]
	v_mul_f64 v[99:100], v[99:100], v[97:98]
	v_add_f64 v[65:66], v[65:66], -v[23:24]
	v_fma_f64 v[99:100], v[101:102], v[21:22], v[99:100]
	v_mov_b32_e32 v23, v97
	v_mov_b32_e32 v24, v98
	v_add_f64 v[67:68], v[67:68], -v[99:100]
.LBB87_343:
	s_or_b64 exec, exec, s[2:3]
	v_cmp_eq_u32_e32 vcc, 38, v0
	s_waitcnt vmcnt(0)
	s_barrier
	s_and_saveexec_b64 s[4:5], vcc
	s_cbranch_execz .LBB87_350
; %bb.344:
	ds_write2_b64 v127, v[17:18], v[19:20] offset1:1
	ds_write2_b64 v125, v[13:14], v[15:16] offset0:78 offset1:79
	ds_write2_b64 v125, v[9:10], v[11:12] offset0:80 offset1:81
	;; [unrolled: 1-line block ×5, first 2 shown]
	ds_read2_b64 v[97:100], v127 offset1:1
	s_waitcnt lgkmcnt(0)
	v_cmp_neq_f64_e32 vcc, 0, v[97:98]
	v_cmp_neq_f64_e64 s[2:3], 0, v[99:100]
	s_or_b64 s[2:3], vcc, s[2:3]
	s_and_b64 exec, exec, s[2:3]
	s_cbranch_execz .LBB87_350
; %bb.345:
	v_cmp_ngt_f64_e64 s[2:3], |v[97:98]|, |v[99:100]|
                                        ; implicit-def: $vgpr101_vgpr102
	s_and_saveexec_b64 s[6:7], s[2:3]
	s_xor_b64 s[2:3], exec, s[6:7]
                                        ; implicit-def: $vgpr103_vgpr104
	s_cbranch_execz .LBB87_347
; %bb.346:
	v_div_scale_f64 v[101:102], s[6:7], v[99:100], v[99:100], v[97:98]
	v_rcp_f64_e32 v[103:104], v[101:102]
	v_fma_f64 v[105:106], -v[101:102], v[103:104], 1.0
	v_fma_f64 v[103:104], v[103:104], v[105:106], v[103:104]
	v_div_scale_f64 v[105:106], vcc, v[97:98], v[99:100], v[97:98]
	v_fma_f64 v[107:108], -v[101:102], v[103:104], 1.0
	v_fma_f64 v[103:104], v[103:104], v[107:108], v[103:104]
	v_mul_f64 v[107:108], v[105:106], v[103:104]
	v_fma_f64 v[101:102], -v[101:102], v[107:108], v[105:106]
	v_div_fmas_f64 v[101:102], v[101:102], v[103:104], v[107:108]
	v_div_fixup_f64 v[101:102], v[101:102], v[99:100], v[97:98]
	v_fma_f64 v[97:98], v[97:98], v[101:102], v[99:100]
	v_div_scale_f64 v[99:100], s[6:7], v[97:98], v[97:98], 1.0
	v_div_scale_f64 v[107:108], vcc, 1.0, v[97:98], 1.0
	v_rcp_f64_e32 v[103:104], v[99:100]
	v_fma_f64 v[105:106], -v[99:100], v[103:104], 1.0
	v_fma_f64 v[103:104], v[103:104], v[105:106], v[103:104]
	v_fma_f64 v[105:106], -v[99:100], v[103:104], 1.0
	v_fma_f64 v[103:104], v[103:104], v[105:106], v[103:104]
	v_mul_f64 v[105:106], v[107:108], v[103:104]
	v_fma_f64 v[99:100], -v[99:100], v[105:106], v[107:108]
	v_div_fmas_f64 v[99:100], v[99:100], v[103:104], v[105:106]
	v_div_fixup_f64 v[103:104], v[99:100], v[97:98], 1.0
                                        ; implicit-def: $vgpr97_vgpr98
	v_mul_f64 v[101:102], v[101:102], v[103:104]
	v_xor_b32_e32 v104, 0x80000000, v104
.LBB87_347:
	s_andn2_saveexec_b64 s[2:3], s[2:3]
	s_cbranch_execz .LBB87_349
; %bb.348:
	v_div_scale_f64 v[101:102], s[6:7], v[97:98], v[97:98], v[99:100]
	v_rcp_f64_e32 v[103:104], v[101:102]
	v_fma_f64 v[105:106], -v[101:102], v[103:104], 1.0
	v_fma_f64 v[103:104], v[103:104], v[105:106], v[103:104]
	v_div_scale_f64 v[105:106], vcc, v[99:100], v[97:98], v[99:100]
	v_fma_f64 v[107:108], -v[101:102], v[103:104], 1.0
	v_fma_f64 v[103:104], v[103:104], v[107:108], v[103:104]
	v_mul_f64 v[107:108], v[105:106], v[103:104]
	v_fma_f64 v[101:102], -v[101:102], v[107:108], v[105:106]
	v_div_fmas_f64 v[101:102], v[101:102], v[103:104], v[107:108]
	v_div_fixup_f64 v[103:104], v[101:102], v[97:98], v[99:100]
	v_fma_f64 v[97:98], v[99:100], v[103:104], v[97:98]
	v_div_scale_f64 v[99:100], s[6:7], v[97:98], v[97:98], 1.0
	v_div_scale_f64 v[107:108], vcc, 1.0, v[97:98], 1.0
	v_rcp_f64_e32 v[101:102], v[99:100]
	v_fma_f64 v[105:106], -v[99:100], v[101:102], 1.0
	v_fma_f64 v[101:102], v[101:102], v[105:106], v[101:102]
	v_fma_f64 v[105:106], -v[99:100], v[101:102], 1.0
	v_fma_f64 v[101:102], v[101:102], v[105:106], v[101:102]
	v_mul_f64 v[105:106], v[107:108], v[101:102]
	v_fma_f64 v[99:100], -v[99:100], v[105:106], v[107:108]
	v_div_fmas_f64 v[99:100], v[99:100], v[101:102], v[105:106]
	v_div_fixup_f64 v[101:102], v[99:100], v[97:98], 1.0
	v_mul_f64 v[103:104], v[103:104], -v[101:102]
.LBB87_349:
	s_or_b64 exec, exec, s[2:3]
	ds_write2_b64 v127, v[101:102], v[103:104] offset1:1
.LBB87_350:
	s_or_b64 exec, exec, s[4:5]
	s_waitcnt lgkmcnt(0)
	s_barrier
	ds_read2_b64 v[61:64], v127 offset1:1
	v_cmp_lt_u32_e32 vcc, 38, v0
	s_waitcnt lgkmcnt(0)
	buffer_store_dword v61, off, s[20:23], 0 offset:1288 ; 4-byte Folded Spill
	s_nop 0
	buffer_store_dword v62, off, s[20:23], 0 offset:1292 ; 4-byte Folded Spill
	buffer_store_dword v63, off, s[20:23], 0 offset:1296 ; 4-byte Folded Spill
	;; [unrolled: 1-line block ×3, first 2 shown]
	s_and_saveexec_b64 s[2:3], vcc
	s_cbranch_execz .LBB87_352
; %bb.351:
	buffer_load_dword v61, off, s[20:23], 0 offset:1288 ; 4-byte Folded Reload
	buffer_load_dword v62, off, s[20:23], 0 offset:1292 ; 4-byte Folded Reload
	;; [unrolled: 1-line block ×4, first 2 shown]
	s_waitcnt vmcnt(2)
	v_mul_f64 v[97:98], v[61:62], v[19:20]
	s_waitcnt vmcnt(0)
	v_mul_f64 v[19:20], v[63:64], v[19:20]
	v_fma_f64 v[101:102], v[63:64], v[17:18], v[97:98]
	ds_read2_b64 v[97:100], v125 offset0:78 offset1:79
	v_fma_f64 v[17:18], v[61:62], v[17:18], -v[19:20]
	s_waitcnt lgkmcnt(0)
	v_mul_f64 v[19:20], v[99:100], v[101:102]
	v_fma_f64 v[19:20], v[97:98], v[17:18], -v[19:20]
	v_mul_f64 v[97:98], v[97:98], v[101:102]
	v_add_f64 v[13:14], v[13:14], -v[19:20]
	v_fma_f64 v[97:98], v[99:100], v[17:18], v[97:98]
	v_add_f64 v[15:16], v[15:16], -v[97:98]
	ds_read2_b64 v[97:100], v125 offset0:80 offset1:81
	s_waitcnt lgkmcnt(0)
	v_mul_f64 v[19:20], v[99:100], v[101:102]
	v_fma_f64 v[19:20], v[97:98], v[17:18], -v[19:20]
	v_mul_f64 v[97:98], v[97:98], v[101:102]
	v_add_f64 v[9:10], v[9:10], -v[19:20]
	v_fma_f64 v[97:98], v[99:100], v[17:18], v[97:98]
	v_add_f64 v[11:12], v[11:12], -v[97:98]
	ds_read2_b64 v[97:100], v125 offset0:82 offset1:83
	s_waitcnt lgkmcnt(0)
	v_mul_f64 v[19:20], v[99:100], v[101:102]
	v_fma_f64 v[19:20], v[97:98], v[17:18], -v[19:20]
	v_mul_f64 v[97:98], v[97:98], v[101:102]
	v_add_f64 v[5:6], v[5:6], -v[19:20]
	v_fma_f64 v[97:98], v[99:100], v[17:18], v[97:98]
	v_add_f64 v[7:8], v[7:8], -v[97:98]
	ds_read2_b64 v[97:100], v125 offset0:84 offset1:85
	s_waitcnt lgkmcnt(0)
	v_mul_f64 v[19:20], v[99:100], v[101:102]
	v_fma_f64 v[19:20], v[97:98], v[17:18], -v[19:20]
	v_mul_f64 v[97:98], v[97:98], v[101:102]
	v_add_f64 v[1:2], v[1:2], -v[19:20]
	v_fma_f64 v[97:98], v[99:100], v[17:18], v[97:98]
	v_add_f64 v[3:4], v[3:4], -v[97:98]
	ds_read2_b64 v[97:100], v125 offset0:86 offset1:87
	s_waitcnt lgkmcnt(0)
	v_mul_f64 v[19:20], v[99:100], v[101:102]
	v_fma_f64 v[19:20], v[97:98], v[17:18], -v[19:20]
	v_mul_f64 v[97:98], v[97:98], v[101:102]
	v_add_f64 v[65:66], v[65:66], -v[19:20]
	v_fma_f64 v[97:98], v[99:100], v[17:18], v[97:98]
	v_mov_b32_e32 v19, v101
	v_mov_b32_e32 v20, v102
	v_add_f64 v[67:68], v[67:68], -v[97:98]
.LBB87_352:
	s_or_b64 exec, exec, s[2:3]
	v_cmp_eq_u32_e32 vcc, 39, v0
	s_waitcnt vmcnt(0)
	s_barrier
	s_and_saveexec_b64 s[4:5], vcc
	s_cbranch_execz .LBB87_359
; %bb.353:
	ds_write2_b64 v127, v[13:14], v[15:16] offset1:1
	ds_write2_b64 v125, v[9:10], v[11:12] offset0:80 offset1:81
	ds_write2_b64 v125, v[5:6], v[7:8] offset0:82 offset1:83
	;; [unrolled: 1-line block ×4, first 2 shown]
	ds_read2_b64 v[97:100], v127 offset1:1
	s_waitcnt lgkmcnt(0)
	v_cmp_neq_f64_e32 vcc, 0, v[97:98]
	v_cmp_neq_f64_e64 s[2:3], 0, v[99:100]
	s_or_b64 s[2:3], vcc, s[2:3]
	s_and_b64 exec, exec, s[2:3]
	s_cbranch_execz .LBB87_359
; %bb.354:
	v_cmp_ngt_f64_e64 s[2:3], |v[97:98]|, |v[99:100]|
                                        ; implicit-def: $vgpr101_vgpr102
	s_and_saveexec_b64 s[6:7], s[2:3]
	s_xor_b64 s[2:3], exec, s[6:7]
                                        ; implicit-def: $vgpr103_vgpr104
	s_cbranch_execz .LBB87_356
; %bb.355:
	v_div_scale_f64 v[101:102], s[6:7], v[99:100], v[99:100], v[97:98]
	v_rcp_f64_e32 v[103:104], v[101:102]
	v_fma_f64 v[105:106], -v[101:102], v[103:104], 1.0
	v_fma_f64 v[103:104], v[103:104], v[105:106], v[103:104]
	v_div_scale_f64 v[105:106], vcc, v[97:98], v[99:100], v[97:98]
	v_fma_f64 v[107:108], -v[101:102], v[103:104], 1.0
	v_fma_f64 v[103:104], v[103:104], v[107:108], v[103:104]
	v_mul_f64 v[107:108], v[105:106], v[103:104]
	v_fma_f64 v[101:102], -v[101:102], v[107:108], v[105:106]
	v_div_fmas_f64 v[101:102], v[101:102], v[103:104], v[107:108]
	v_div_fixup_f64 v[101:102], v[101:102], v[99:100], v[97:98]
	v_fma_f64 v[97:98], v[97:98], v[101:102], v[99:100]
	v_div_scale_f64 v[99:100], s[6:7], v[97:98], v[97:98], 1.0
	v_div_scale_f64 v[107:108], vcc, 1.0, v[97:98], 1.0
	v_rcp_f64_e32 v[103:104], v[99:100]
	v_fma_f64 v[105:106], -v[99:100], v[103:104], 1.0
	v_fma_f64 v[103:104], v[103:104], v[105:106], v[103:104]
	v_fma_f64 v[105:106], -v[99:100], v[103:104], 1.0
	v_fma_f64 v[103:104], v[103:104], v[105:106], v[103:104]
	v_mul_f64 v[105:106], v[107:108], v[103:104]
	v_fma_f64 v[99:100], -v[99:100], v[105:106], v[107:108]
	v_div_fmas_f64 v[99:100], v[99:100], v[103:104], v[105:106]
	v_div_fixup_f64 v[103:104], v[99:100], v[97:98], 1.0
                                        ; implicit-def: $vgpr97_vgpr98
	v_mul_f64 v[101:102], v[101:102], v[103:104]
	v_xor_b32_e32 v104, 0x80000000, v104
.LBB87_356:
	s_andn2_saveexec_b64 s[2:3], s[2:3]
	s_cbranch_execz .LBB87_358
; %bb.357:
	v_div_scale_f64 v[101:102], s[6:7], v[97:98], v[97:98], v[99:100]
	v_rcp_f64_e32 v[103:104], v[101:102]
	v_fma_f64 v[105:106], -v[101:102], v[103:104], 1.0
	v_fma_f64 v[103:104], v[103:104], v[105:106], v[103:104]
	v_div_scale_f64 v[105:106], vcc, v[99:100], v[97:98], v[99:100]
	v_fma_f64 v[107:108], -v[101:102], v[103:104], 1.0
	v_fma_f64 v[103:104], v[103:104], v[107:108], v[103:104]
	v_mul_f64 v[107:108], v[105:106], v[103:104]
	v_fma_f64 v[101:102], -v[101:102], v[107:108], v[105:106]
	v_div_fmas_f64 v[101:102], v[101:102], v[103:104], v[107:108]
	v_div_fixup_f64 v[103:104], v[101:102], v[97:98], v[99:100]
	v_fma_f64 v[97:98], v[99:100], v[103:104], v[97:98]
	v_div_scale_f64 v[99:100], s[6:7], v[97:98], v[97:98], 1.0
	v_div_scale_f64 v[107:108], vcc, 1.0, v[97:98], 1.0
	v_rcp_f64_e32 v[101:102], v[99:100]
	v_fma_f64 v[105:106], -v[99:100], v[101:102], 1.0
	v_fma_f64 v[101:102], v[101:102], v[105:106], v[101:102]
	v_fma_f64 v[105:106], -v[99:100], v[101:102], 1.0
	v_fma_f64 v[101:102], v[101:102], v[105:106], v[101:102]
	v_mul_f64 v[105:106], v[107:108], v[101:102]
	v_fma_f64 v[99:100], -v[99:100], v[105:106], v[107:108]
	v_div_fmas_f64 v[99:100], v[99:100], v[101:102], v[105:106]
	v_div_fixup_f64 v[101:102], v[99:100], v[97:98], 1.0
	v_mul_f64 v[103:104], v[103:104], -v[101:102]
.LBB87_358:
	s_or_b64 exec, exec, s[2:3]
	ds_write2_b64 v127, v[101:102], v[103:104] offset1:1
.LBB87_359:
	s_or_b64 exec, exec, s[4:5]
	s_waitcnt lgkmcnt(0)
	s_barrier
	ds_read2_b64 v[61:64], v127 offset1:1
	v_cmp_lt_u32_e32 vcc, 39, v0
	s_waitcnt lgkmcnt(0)
	buffer_store_dword v61, off, s[20:23], 0 offset:1304 ; 4-byte Folded Spill
	s_nop 0
	buffer_store_dword v62, off, s[20:23], 0 offset:1308 ; 4-byte Folded Spill
	buffer_store_dword v63, off, s[20:23], 0 offset:1312 ; 4-byte Folded Spill
	;; [unrolled: 1-line block ×3, first 2 shown]
	s_and_saveexec_b64 s[2:3], vcc
	s_cbranch_execz .LBB87_361
; %bb.360:
	buffer_load_dword v61, off, s[20:23], 0 offset:1304 ; 4-byte Folded Reload
	buffer_load_dword v62, off, s[20:23], 0 offset:1308 ; 4-byte Folded Reload
	;; [unrolled: 1-line block ×4, first 2 shown]
	s_waitcnt vmcnt(2)
	v_mul_f64 v[97:98], v[61:62], v[15:16]
	s_waitcnt vmcnt(0)
	v_mul_f64 v[15:16], v[63:64], v[15:16]
	v_fma_f64 v[101:102], v[63:64], v[13:14], v[97:98]
	ds_read2_b64 v[97:100], v125 offset0:80 offset1:81
	v_fma_f64 v[13:14], v[61:62], v[13:14], -v[15:16]
	s_waitcnt lgkmcnt(0)
	v_mul_f64 v[15:16], v[99:100], v[101:102]
	v_fma_f64 v[15:16], v[97:98], v[13:14], -v[15:16]
	v_mul_f64 v[97:98], v[97:98], v[101:102]
	v_add_f64 v[9:10], v[9:10], -v[15:16]
	v_fma_f64 v[97:98], v[99:100], v[13:14], v[97:98]
	v_add_f64 v[11:12], v[11:12], -v[97:98]
	ds_read2_b64 v[97:100], v125 offset0:82 offset1:83
	s_waitcnt lgkmcnt(0)
	v_mul_f64 v[15:16], v[99:100], v[101:102]
	v_fma_f64 v[15:16], v[97:98], v[13:14], -v[15:16]
	v_mul_f64 v[97:98], v[97:98], v[101:102]
	v_add_f64 v[5:6], v[5:6], -v[15:16]
	v_fma_f64 v[97:98], v[99:100], v[13:14], v[97:98]
	v_add_f64 v[7:8], v[7:8], -v[97:98]
	ds_read2_b64 v[97:100], v125 offset0:84 offset1:85
	;; [unrolled: 8-line block ×3, first 2 shown]
	s_waitcnt lgkmcnt(0)
	v_mul_f64 v[15:16], v[99:100], v[101:102]
	v_fma_f64 v[15:16], v[97:98], v[13:14], -v[15:16]
	v_mul_f64 v[97:98], v[97:98], v[101:102]
	v_add_f64 v[65:66], v[65:66], -v[15:16]
	v_fma_f64 v[97:98], v[99:100], v[13:14], v[97:98]
	v_mov_b32_e32 v15, v101
	v_mov_b32_e32 v16, v102
	v_add_f64 v[67:68], v[67:68], -v[97:98]
.LBB87_361:
	s_or_b64 exec, exec, s[2:3]
	v_cmp_eq_u32_e32 vcc, 40, v0
	s_waitcnt vmcnt(0)
	s_barrier
	s_and_saveexec_b64 s[4:5], vcc
	s_cbranch_execz .LBB87_368
; %bb.362:
	ds_write2_b64 v127, v[9:10], v[11:12] offset1:1
	ds_write2_b64 v125, v[5:6], v[7:8] offset0:82 offset1:83
	ds_write2_b64 v125, v[1:2], v[3:4] offset0:84 offset1:85
	;; [unrolled: 1-line block ×3, first 2 shown]
	ds_read2_b64 v[97:100], v127 offset1:1
	s_waitcnt lgkmcnt(0)
	v_cmp_neq_f64_e32 vcc, 0, v[97:98]
	v_cmp_neq_f64_e64 s[2:3], 0, v[99:100]
	s_or_b64 s[2:3], vcc, s[2:3]
	s_and_b64 exec, exec, s[2:3]
	s_cbranch_execz .LBB87_368
; %bb.363:
	v_cmp_ngt_f64_e64 s[2:3], |v[97:98]|, |v[99:100]|
                                        ; implicit-def: $vgpr101_vgpr102
	s_and_saveexec_b64 s[6:7], s[2:3]
	s_xor_b64 s[2:3], exec, s[6:7]
                                        ; implicit-def: $vgpr103_vgpr104
	s_cbranch_execz .LBB87_365
; %bb.364:
	v_div_scale_f64 v[101:102], s[6:7], v[99:100], v[99:100], v[97:98]
	v_rcp_f64_e32 v[103:104], v[101:102]
	v_fma_f64 v[105:106], -v[101:102], v[103:104], 1.0
	v_fma_f64 v[103:104], v[103:104], v[105:106], v[103:104]
	v_div_scale_f64 v[105:106], vcc, v[97:98], v[99:100], v[97:98]
	v_fma_f64 v[107:108], -v[101:102], v[103:104], 1.0
	v_fma_f64 v[103:104], v[103:104], v[107:108], v[103:104]
	v_mul_f64 v[107:108], v[105:106], v[103:104]
	v_fma_f64 v[101:102], -v[101:102], v[107:108], v[105:106]
	v_div_fmas_f64 v[101:102], v[101:102], v[103:104], v[107:108]
	v_div_fixup_f64 v[101:102], v[101:102], v[99:100], v[97:98]
	v_fma_f64 v[97:98], v[97:98], v[101:102], v[99:100]
	v_div_scale_f64 v[99:100], s[6:7], v[97:98], v[97:98], 1.0
	v_div_scale_f64 v[107:108], vcc, 1.0, v[97:98], 1.0
	v_rcp_f64_e32 v[103:104], v[99:100]
	v_fma_f64 v[105:106], -v[99:100], v[103:104], 1.0
	v_fma_f64 v[103:104], v[103:104], v[105:106], v[103:104]
	v_fma_f64 v[105:106], -v[99:100], v[103:104], 1.0
	v_fma_f64 v[103:104], v[103:104], v[105:106], v[103:104]
	v_mul_f64 v[105:106], v[107:108], v[103:104]
	v_fma_f64 v[99:100], -v[99:100], v[105:106], v[107:108]
	v_div_fmas_f64 v[99:100], v[99:100], v[103:104], v[105:106]
	v_div_fixup_f64 v[103:104], v[99:100], v[97:98], 1.0
                                        ; implicit-def: $vgpr97_vgpr98
	v_mul_f64 v[101:102], v[101:102], v[103:104]
	v_xor_b32_e32 v104, 0x80000000, v104
.LBB87_365:
	s_andn2_saveexec_b64 s[2:3], s[2:3]
	s_cbranch_execz .LBB87_367
; %bb.366:
	v_div_scale_f64 v[101:102], s[6:7], v[97:98], v[97:98], v[99:100]
	v_rcp_f64_e32 v[103:104], v[101:102]
	v_fma_f64 v[105:106], -v[101:102], v[103:104], 1.0
	v_fma_f64 v[103:104], v[103:104], v[105:106], v[103:104]
	v_div_scale_f64 v[105:106], vcc, v[99:100], v[97:98], v[99:100]
	v_fma_f64 v[107:108], -v[101:102], v[103:104], 1.0
	v_fma_f64 v[103:104], v[103:104], v[107:108], v[103:104]
	v_mul_f64 v[107:108], v[105:106], v[103:104]
	v_fma_f64 v[101:102], -v[101:102], v[107:108], v[105:106]
	v_div_fmas_f64 v[101:102], v[101:102], v[103:104], v[107:108]
	v_div_fixup_f64 v[103:104], v[101:102], v[97:98], v[99:100]
	v_fma_f64 v[97:98], v[99:100], v[103:104], v[97:98]
	v_div_scale_f64 v[99:100], s[6:7], v[97:98], v[97:98], 1.0
	v_div_scale_f64 v[107:108], vcc, 1.0, v[97:98], 1.0
	v_rcp_f64_e32 v[101:102], v[99:100]
	v_fma_f64 v[105:106], -v[99:100], v[101:102], 1.0
	v_fma_f64 v[101:102], v[101:102], v[105:106], v[101:102]
	v_fma_f64 v[105:106], -v[99:100], v[101:102], 1.0
	v_fma_f64 v[101:102], v[101:102], v[105:106], v[101:102]
	v_mul_f64 v[105:106], v[107:108], v[101:102]
	v_fma_f64 v[99:100], -v[99:100], v[105:106], v[107:108]
	v_div_fmas_f64 v[99:100], v[99:100], v[101:102], v[105:106]
	v_div_fixup_f64 v[101:102], v[99:100], v[97:98], 1.0
	v_mul_f64 v[103:104], v[103:104], -v[101:102]
.LBB87_367:
	s_or_b64 exec, exec, s[2:3]
	ds_write2_b64 v127, v[101:102], v[103:104] offset1:1
.LBB87_368:
	s_or_b64 exec, exec, s[4:5]
	s_waitcnt lgkmcnt(0)
	s_barrier
	ds_read2_b64 v[61:64], v127 offset1:1
	v_cmp_lt_u32_e32 vcc, 40, v0
	s_waitcnt lgkmcnt(0)
	buffer_store_dword v61, off, s[20:23], 0 offset:1320 ; 4-byte Folded Spill
	s_nop 0
	buffer_store_dword v62, off, s[20:23], 0 offset:1324 ; 4-byte Folded Spill
	buffer_store_dword v63, off, s[20:23], 0 offset:1328 ; 4-byte Folded Spill
	;; [unrolled: 1-line block ×3, first 2 shown]
	s_and_saveexec_b64 s[2:3], vcc
	s_cbranch_execz .LBB87_370
; %bb.369:
	buffer_load_dword v61, off, s[20:23], 0 offset:1320 ; 4-byte Folded Reload
	buffer_load_dword v62, off, s[20:23], 0 offset:1324 ; 4-byte Folded Reload
	;; [unrolled: 1-line block ×4, first 2 shown]
	s_waitcnt vmcnt(2)
	v_mul_f64 v[97:98], v[61:62], v[11:12]
	s_waitcnt vmcnt(0)
	v_mul_f64 v[11:12], v[63:64], v[11:12]
	v_fma_f64 v[101:102], v[63:64], v[9:10], v[97:98]
	ds_read2_b64 v[97:100], v125 offset0:82 offset1:83
	v_fma_f64 v[9:10], v[61:62], v[9:10], -v[11:12]
	s_waitcnt lgkmcnt(0)
	v_mul_f64 v[11:12], v[99:100], v[101:102]
	v_fma_f64 v[11:12], v[97:98], v[9:10], -v[11:12]
	v_mul_f64 v[97:98], v[97:98], v[101:102]
	v_add_f64 v[5:6], v[5:6], -v[11:12]
	v_fma_f64 v[97:98], v[99:100], v[9:10], v[97:98]
	v_add_f64 v[7:8], v[7:8], -v[97:98]
	ds_read2_b64 v[97:100], v125 offset0:84 offset1:85
	s_waitcnt lgkmcnt(0)
	v_mul_f64 v[11:12], v[99:100], v[101:102]
	v_fma_f64 v[11:12], v[97:98], v[9:10], -v[11:12]
	v_mul_f64 v[97:98], v[97:98], v[101:102]
	v_add_f64 v[1:2], v[1:2], -v[11:12]
	v_fma_f64 v[97:98], v[99:100], v[9:10], v[97:98]
	v_add_f64 v[3:4], v[3:4], -v[97:98]
	ds_read2_b64 v[97:100], v125 offset0:86 offset1:87
	s_waitcnt lgkmcnt(0)
	v_mul_f64 v[11:12], v[99:100], v[101:102]
	v_fma_f64 v[11:12], v[97:98], v[9:10], -v[11:12]
	v_mul_f64 v[97:98], v[97:98], v[101:102]
	v_add_f64 v[65:66], v[65:66], -v[11:12]
	v_fma_f64 v[97:98], v[99:100], v[9:10], v[97:98]
	v_mov_b32_e32 v11, v101
	v_mov_b32_e32 v12, v102
	v_add_f64 v[67:68], v[67:68], -v[97:98]
.LBB87_370:
	s_or_b64 exec, exec, s[2:3]
	v_cmp_eq_u32_e32 vcc, 41, v0
	s_waitcnt vmcnt(0)
	s_barrier
	s_and_saveexec_b64 s[4:5], vcc
	s_cbranch_execz .LBB87_377
; %bb.371:
	ds_write2_b64 v127, v[5:6], v[7:8] offset1:1
	ds_write2_b64 v125, v[1:2], v[3:4] offset0:84 offset1:85
	ds_write2_b64 v125, v[65:66], v[67:68] offset0:86 offset1:87
	ds_read2_b64 v[97:100], v127 offset1:1
	s_waitcnt lgkmcnt(0)
	v_cmp_neq_f64_e32 vcc, 0, v[97:98]
	v_cmp_neq_f64_e64 s[2:3], 0, v[99:100]
	s_or_b64 s[2:3], vcc, s[2:3]
	s_and_b64 exec, exec, s[2:3]
	s_cbranch_execz .LBB87_377
; %bb.372:
	v_cmp_ngt_f64_e64 s[2:3], |v[97:98]|, |v[99:100]|
                                        ; implicit-def: $vgpr101_vgpr102
	s_and_saveexec_b64 s[6:7], s[2:3]
	s_xor_b64 s[2:3], exec, s[6:7]
                                        ; implicit-def: $vgpr103_vgpr104
	s_cbranch_execz .LBB87_374
; %bb.373:
	v_div_scale_f64 v[101:102], s[6:7], v[99:100], v[99:100], v[97:98]
	v_rcp_f64_e32 v[103:104], v[101:102]
	v_fma_f64 v[105:106], -v[101:102], v[103:104], 1.0
	v_fma_f64 v[103:104], v[103:104], v[105:106], v[103:104]
	v_div_scale_f64 v[105:106], vcc, v[97:98], v[99:100], v[97:98]
	v_fma_f64 v[107:108], -v[101:102], v[103:104], 1.0
	v_fma_f64 v[103:104], v[103:104], v[107:108], v[103:104]
	v_mul_f64 v[107:108], v[105:106], v[103:104]
	v_fma_f64 v[101:102], -v[101:102], v[107:108], v[105:106]
	v_div_fmas_f64 v[101:102], v[101:102], v[103:104], v[107:108]
	v_div_fixup_f64 v[101:102], v[101:102], v[99:100], v[97:98]
	v_fma_f64 v[97:98], v[97:98], v[101:102], v[99:100]
	v_div_scale_f64 v[99:100], s[6:7], v[97:98], v[97:98], 1.0
	v_div_scale_f64 v[107:108], vcc, 1.0, v[97:98], 1.0
	v_rcp_f64_e32 v[103:104], v[99:100]
	v_fma_f64 v[105:106], -v[99:100], v[103:104], 1.0
	v_fma_f64 v[103:104], v[103:104], v[105:106], v[103:104]
	v_fma_f64 v[105:106], -v[99:100], v[103:104], 1.0
	v_fma_f64 v[103:104], v[103:104], v[105:106], v[103:104]
	v_mul_f64 v[105:106], v[107:108], v[103:104]
	v_fma_f64 v[99:100], -v[99:100], v[105:106], v[107:108]
	v_div_fmas_f64 v[99:100], v[99:100], v[103:104], v[105:106]
	v_div_fixup_f64 v[103:104], v[99:100], v[97:98], 1.0
                                        ; implicit-def: $vgpr97_vgpr98
	v_mul_f64 v[101:102], v[101:102], v[103:104]
	v_xor_b32_e32 v104, 0x80000000, v104
.LBB87_374:
	s_andn2_saveexec_b64 s[2:3], s[2:3]
	s_cbranch_execz .LBB87_376
; %bb.375:
	v_div_scale_f64 v[101:102], s[6:7], v[97:98], v[97:98], v[99:100]
	v_rcp_f64_e32 v[103:104], v[101:102]
	v_fma_f64 v[105:106], -v[101:102], v[103:104], 1.0
	v_fma_f64 v[103:104], v[103:104], v[105:106], v[103:104]
	v_div_scale_f64 v[105:106], vcc, v[99:100], v[97:98], v[99:100]
	v_fma_f64 v[107:108], -v[101:102], v[103:104], 1.0
	v_fma_f64 v[103:104], v[103:104], v[107:108], v[103:104]
	v_mul_f64 v[107:108], v[105:106], v[103:104]
	v_fma_f64 v[101:102], -v[101:102], v[107:108], v[105:106]
	v_div_fmas_f64 v[101:102], v[101:102], v[103:104], v[107:108]
	v_div_fixup_f64 v[103:104], v[101:102], v[97:98], v[99:100]
	v_fma_f64 v[97:98], v[99:100], v[103:104], v[97:98]
	v_div_scale_f64 v[99:100], s[6:7], v[97:98], v[97:98], 1.0
	v_div_scale_f64 v[107:108], vcc, 1.0, v[97:98], 1.0
	v_rcp_f64_e32 v[101:102], v[99:100]
	v_fma_f64 v[105:106], -v[99:100], v[101:102], 1.0
	v_fma_f64 v[101:102], v[101:102], v[105:106], v[101:102]
	v_fma_f64 v[105:106], -v[99:100], v[101:102], 1.0
	v_fma_f64 v[101:102], v[101:102], v[105:106], v[101:102]
	v_mul_f64 v[105:106], v[107:108], v[101:102]
	v_fma_f64 v[99:100], -v[99:100], v[105:106], v[107:108]
	v_div_fmas_f64 v[99:100], v[99:100], v[101:102], v[105:106]
	v_div_fixup_f64 v[101:102], v[99:100], v[97:98], 1.0
	v_mul_f64 v[103:104], v[103:104], -v[101:102]
.LBB87_376:
	s_or_b64 exec, exec, s[2:3]
	ds_write2_b64 v127, v[101:102], v[103:104] offset1:1
.LBB87_377:
	s_or_b64 exec, exec, s[4:5]
	s_waitcnt lgkmcnt(0)
	s_barrier
	ds_read2_b64 v[61:64], v127 offset1:1
	v_cmp_lt_u32_e32 vcc, 41, v0
	s_and_saveexec_b64 s[2:3], vcc
	s_cbranch_execz .LBB87_379
; %bb.378:
	s_waitcnt lgkmcnt(0)
	v_mul_f64 v[97:98], v[61:62], v[7:8]
	v_mul_f64 v[7:8], v[63:64], v[7:8]
	v_fma_f64 v[105:106], v[63:64], v[5:6], v[97:98]
	ds_read2_b64 v[97:100], v125 offset0:84 offset1:85
	v_fma_f64 v[5:6], v[61:62], v[5:6], -v[7:8]
	s_waitcnt lgkmcnt(0)
	v_mul_f64 v[7:8], v[99:100], v[105:106]
	v_fma_f64 v[7:8], v[97:98], v[5:6], -v[7:8]
	v_mul_f64 v[97:98], v[97:98], v[105:106]
	v_add_f64 v[1:2], v[1:2], -v[7:8]
	v_fma_f64 v[97:98], v[99:100], v[5:6], v[97:98]
	v_add_f64 v[3:4], v[3:4], -v[97:98]
	ds_read2_b64 v[97:100], v125 offset0:86 offset1:87
	s_waitcnt lgkmcnt(0)
	v_mul_f64 v[7:8], v[99:100], v[105:106]
	v_fma_f64 v[7:8], v[97:98], v[5:6], -v[7:8]
	v_mul_f64 v[97:98], v[97:98], v[105:106]
	v_add_f64 v[65:66], v[65:66], -v[7:8]
	v_fma_f64 v[97:98], v[99:100], v[5:6], v[97:98]
	v_mov_b32_e32 v7, v105
	v_mov_b32_e32 v8, v106
	v_add_f64 v[67:68], v[67:68], -v[97:98]
.LBB87_379:
	s_or_b64 exec, exec, s[2:3]
	v_cmp_eq_u32_e32 vcc, 42, v0
	s_waitcnt lgkmcnt(0)
	s_barrier
	s_and_saveexec_b64 s[4:5], vcc
	s_cbranch_execz .LBB87_386
; %bb.380:
	ds_write2_b64 v127, v[1:2], v[3:4] offset1:1
	ds_write2_b64 v125, v[65:66], v[67:68] offset0:86 offset1:87
	ds_read2_b64 v[97:100], v127 offset1:1
	s_waitcnt lgkmcnt(0)
	v_cmp_neq_f64_e32 vcc, 0, v[97:98]
	v_cmp_neq_f64_e64 s[2:3], 0, v[99:100]
	s_or_b64 s[2:3], vcc, s[2:3]
	s_and_b64 exec, exec, s[2:3]
	s_cbranch_execz .LBB87_386
; %bb.381:
	v_cmp_ngt_f64_e64 s[2:3], |v[97:98]|, |v[99:100]|
                                        ; implicit-def: $vgpr105_vgpr106
	s_and_saveexec_b64 s[6:7], s[2:3]
	s_xor_b64 s[2:3], exec, s[6:7]
                                        ; implicit-def: $vgpr107_vgpr108
	s_cbranch_execz .LBB87_383
; %bb.382:
	v_div_scale_f64 v[105:106], s[6:7], v[99:100], v[99:100], v[97:98]
	v_mov_b32_e32 v69, v93
	v_mov_b32_e32 v70, v94
	;; [unrolled: 1-line block ×4, first 2 shown]
	v_div_scale_f64 v[95:96], vcc, v[97:98], v[99:100], v[97:98]
	v_rcp_f64_e32 v[107:108], v[105:106]
	v_fma_f64 v[93:94], -v[105:106], v[107:108], 1.0
	v_fma_f64 v[93:94], v[107:108], v[93:94], v[107:108]
	v_fma_f64 v[107:108], -v[105:106], v[93:94], 1.0
	v_fma_f64 v[93:94], v[93:94], v[107:108], v[93:94]
	v_mul_f64 v[107:108], v[95:96], v[93:94]
	v_fma_f64 v[95:96], -v[105:106], v[107:108], v[95:96]
	v_div_fmas_f64 v[93:94], v[95:96], v[93:94], v[107:108]
	v_div_fixup_f64 v[93:94], v[93:94], v[99:100], v[97:98]
	v_fma_f64 v[95:96], v[97:98], v[93:94], v[99:100]
	v_div_scale_f64 v[97:98], s[6:7], v[95:96], v[95:96], 1.0
	v_div_scale_f64 v[107:108], vcc, 1.0, v[95:96], 1.0
	v_rcp_f64_e32 v[99:100], v[97:98]
	v_fma_f64 v[105:106], -v[97:98], v[99:100], 1.0
	v_fma_f64 v[99:100], v[99:100], v[105:106], v[99:100]
	v_fma_f64 v[105:106], -v[97:98], v[99:100], 1.0
	v_fma_f64 v[99:100], v[99:100], v[105:106], v[99:100]
	v_mul_f64 v[105:106], v[107:108], v[99:100]
	v_fma_f64 v[97:98], -v[97:98], v[105:106], v[107:108]
	v_div_fmas_f64 v[97:98], v[97:98], v[99:100], v[105:106]
	v_div_fixup_f64 v[107:108], v[97:98], v[95:96], 1.0
                                        ; implicit-def: $vgpr97_vgpr98
	v_mul_f64 v[105:106], v[93:94], v[107:108]
	v_mov_b32_e32 v96, v72
	v_mov_b32_e32 v95, v71
	;; [unrolled: 1-line block ×4, first 2 shown]
	v_xor_b32_e32 v108, 0x80000000, v108
.LBB87_383:
	s_andn2_saveexec_b64 s[2:3], s[2:3]
	s_cbranch_execz .LBB87_385
; %bb.384:
	v_mov_b32_e32 v69, v93
	v_mov_b32_e32 v70, v94
	;; [unrolled: 1-line block ×4, first 2 shown]
	v_div_scale_f64 v[93:94], s[6:7], v[97:98], v[97:98], v[99:100]
	v_rcp_f64_e32 v[95:96], v[93:94]
	v_fma_f64 v[105:106], -v[93:94], v[95:96], 1.0
	v_fma_f64 v[95:96], v[95:96], v[105:106], v[95:96]
	v_div_scale_f64 v[105:106], vcc, v[99:100], v[97:98], v[99:100]
	v_fma_f64 v[107:108], -v[93:94], v[95:96], 1.0
	v_fma_f64 v[95:96], v[95:96], v[107:108], v[95:96]
	v_mul_f64 v[107:108], v[105:106], v[95:96]
	v_fma_f64 v[93:94], -v[93:94], v[107:108], v[105:106]
	v_div_fmas_f64 v[93:94], v[93:94], v[95:96], v[107:108]
	v_div_fixup_f64 v[93:94], v[93:94], v[97:98], v[99:100]
	v_fma_f64 v[95:96], v[99:100], v[93:94], v[97:98]
	v_div_scale_f64 v[97:98], s[6:7], v[95:96], v[95:96], 1.0
	v_div_scale_f64 v[107:108], vcc, 1.0, v[95:96], 1.0
	v_rcp_f64_e32 v[99:100], v[97:98]
	v_fma_f64 v[105:106], -v[97:98], v[99:100], 1.0
	v_fma_f64 v[99:100], v[99:100], v[105:106], v[99:100]
	v_fma_f64 v[105:106], -v[97:98], v[99:100], 1.0
	v_fma_f64 v[99:100], v[99:100], v[105:106], v[99:100]
	v_mul_f64 v[105:106], v[107:108], v[99:100]
	v_fma_f64 v[97:98], -v[97:98], v[105:106], v[107:108]
	v_div_fmas_f64 v[97:98], v[97:98], v[99:100], v[105:106]
	v_div_fixup_f64 v[105:106], v[97:98], v[95:96], 1.0
	v_mul_f64 v[107:108], v[93:94], -v[105:106]
	v_mov_b32_e32 v96, v72
	v_mov_b32_e32 v95, v71
	;; [unrolled: 1-line block ×4, first 2 shown]
.LBB87_385:
	s_or_b64 exec, exec, s[2:3]
	ds_write2_b64 v127, v[105:106], v[107:108] offset1:1
.LBB87_386:
	s_or_b64 exec, exec, s[4:5]
	s_waitcnt lgkmcnt(0)
	s_barrier
	ds_read2_b64 v[97:100], v127 offset1:1
	v_cmp_lt_u32_e32 vcc, 42, v0
	s_and_saveexec_b64 s[2:3], vcc
	s_cbranch_execz .LBB87_388
; %bb.387:
	v_mov_b32_e32 v69, v117
	v_mov_b32_e32 v70, v118
	;; [unrolled: 1-line block ×8, first 2 shown]
	s_waitcnt lgkmcnt(0)
	v_mul_f64 v[93:94], v[97:98], v[3:4]
	v_mul_f64 v[3:4], v[99:100], v[3:4]
	ds_read2_b64 v[105:108], v125 offset0:86 offset1:87
	v_fma_f64 v[93:94], v[99:100], v[1:2], v[93:94]
	v_fma_f64 v[1:2], v[97:98], v[1:2], -v[3:4]
	s_waitcnt lgkmcnt(0)
	v_mul_f64 v[3:4], v[107:108], v[93:94]
	v_mul_f64 v[95:96], v[105:106], v[93:94]
	v_fma_f64 v[3:4], v[105:106], v[1:2], -v[3:4]
	v_fma_f64 v[95:96], v[107:108], v[1:2], v[95:96]
	v_add_f64 v[65:66], v[65:66], -v[3:4]
	v_add_f64 v[67:68], v[67:68], -v[95:96]
	v_mov_b32_e32 v3, v93
	v_mov_b32_e32 v4, v94
	;; [unrolled: 1-line block ×10, first 2 shown]
.LBB87_388:
	s_or_b64 exec, exec, s[2:3]
	s_waitcnt lgkmcnt(0)
	s_barrier
	v_cmp_eq_u32_e32 vcc, 43, v0
	s_mov_b64 s[4:5], exec
	s_and_b64 s[2:3], s[4:5], vcc
	buffer_store_dword v65, off, s[20:23], 0 offset:368 ; 4-byte Folded Spill
	s_nop 0
	buffer_store_dword v66, off, s[20:23], 0 offset:372 ; 4-byte Folded Spill
	buffer_store_dword v67, off, s[20:23], 0 offset:376 ; 4-byte Folded Spill
	;; [unrolled: 1-line block ×3, first 2 shown]
	s_mov_b64 exec, s[2:3]
	s_cbranch_execz .LBB87_395
; %bb.389:
	v_cmp_neq_f64_e32 vcc, 0, v[65:66]
	v_cmp_neq_f64_e64 s[2:3], 0, v[67:68]
	ds_write2_b64 v127, v[65:66], v[67:68] offset1:1
	s_or_b64 s[2:3], vcc, s[2:3]
	s_and_b64 exec, exec, s[2:3]
	s_cbranch_execz .LBB87_395
; %bb.390:
	v_cmp_ngt_f64_e64 s[2:3], |v[65:66]|, |v[67:68]|
                                        ; implicit-def: $vgpr105_vgpr106
	s_and_saveexec_b64 s[6:7], s[2:3]
	s_xor_b64 s[2:3], exec, s[6:7]
                                        ; implicit-def: $vgpr107_vgpr108
	s_cbranch_execz .LBB87_392
; %bb.391:
	v_mov_b32_e32 v69, v93
	v_mov_b32_e32 v70, v94
	;; [unrolled: 1-line block ×4, first 2 shown]
	v_div_scale_f64 v[93:94], s[6:7], v[67:68], v[67:68], v[65:66]
	v_mov_b32_e32 v101, v121
	v_mov_b32_e32 v102, v122
	;; [unrolled: 1-line block ×12, first 2 shown]
	v_rcp_f64_e32 v[95:96], v[93:94]
	v_fma_f64 v[105:106], -v[93:94], v[95:96], 1.0
	v_fma_f64 v[95:96], v[95:96], v[105:106], v[95:96]
	v_div_scale_f64 v[105:106], vcc, v[65:66], v[67:68], v[65:66]
	v_fma_f64 v[107:108], -v[93:94], v[95:96], 1.0
	v_fma_f64 v[95:96], v[95:96], v[107:108], v[95:96]
	v_mul_f64 v[107:108], v[105:106], v[95:96]
	v_fma_f64 v[93:94], -v[93:94], v[107:108], v[105:106]
	v_div_fmas_f64 v[93:94], v[93:94], v[95:96], v[107:108]
	v_div_fixup_f64 v[93:94], v[93:94], v[67:68], v[65:66]
	v_fma_f64 v[95:96], v[65:66], v[93:94], v[67:68]
	v_mov_b32_e32 v65, v117
	v_mov_b32_e32 v66, v118
	;; [unrolled: 1-line block ×7, first 2 shown]
	v_div_scale_f64 v[105:106], s[6:7], v[95:96], v[95:96], 1.0
	v_div_scale_f64 v[89:90], vcc, 1.0, v[95:96], 1.0
	v_mov_b32_e32 v119, v109
	v_mov_b32_e32 v112, v4
	;; [unrolled: 1-line block ×12, first 2 shown]
	v_rcp_f64_e32 v[107:108], v[105:106]
	v_mov_b32_e32 v5, v9
	v_mov_b32_e32 v87, v85
	;; [unrolled: 1-line block ×15, first 2 shown]
	v_fma_f64 v[125:126], -v[105:106], v[107:108], 1.0
	v_mov_b32_e32 v17, v21
	v_mov_b32_e32 v18, v22
	;; [unrolled: 1-line block ×7, first 2 shown]
	v_fma_f64 v[107:108], v[107:108], v[125:126], v[107:108]
	v_mov_b32_e32 v24, v28
	v_mov_b32_e32 v25, v29
	;; [unrolled: 1-line block ×7, first 2 shown]
	v_fma_f64 v[125:126], -v[105:106], v[107:108], 1.0
	v_mov_b32_e32 v31, v35
	v_mov_b32_e32 v32, v36
	v_mov_b32_e32 v33, v37
	v_mov_b32_e32 v34, v38
	v_mov_b32_e32 v35, v39
	v_mov_b32_e32 v36, v40
	v_mov_b32_e32 v37, v113
	v_fma_f64 v[91:92], v[107:108], v[125:126], v[107:108]
	v_mov_b32_e32 v38, v114
	v_mov_b32_e32 v39, v115
	;; [unrolled: 1-line block ×7, first 2 shown]
	v_mul_f64 v[107:108], v[89:90], v[91:92]
	v_mov_b32_e32 v41, v45
	v_mov_b32_e32 v42, v46
	;; [unrolled: 1-line block ×21, first 2 shown]
	v_fma_f64 v[89:90], -v[105:106], v[107:108], v[89:90]
	v_mov_b32_e32 v115, v39
	v_mov_b32_e32 v114, v38
	v_mov_b32_e32 v113, v37
	v_mov_b32_e32 v40, v36
	v_mov_b32_e32 v39, v35
	v_mov_b32_e32 v38, v34
	v_mov_b32_e32 v37, v33
	v_mov_b32_e32 v36, v32
	v_mov_b32_e32 v35, v31
	v_mov_b32_e32 v34, v30
	v_mov_b32_e32 v33, v29
	v_mov_b32_e32 v32, v28
	v_mov_b32_e32 v31, v27
	v_mov_b32_e32 v30, v26
	v_mov_b32_e32 v29, v25
	v_mov_b32_e32 v28, v24
	v_mov_b32_e32 v27, v23
	v_mov_b32_e32 v26, v22
	v_mov_b32_e32 v25, v21
	v_mov_b32_e32 v24, v20
	v_mov_b32_e32 v23, v19
	v_mov_b32_e32 v22, v18
	v_mov_b32_e32 v21, v17
	v_mov_b32_e32 v20, v16
	v_mov_b32_e32 v19, v15
	v_mov_b32_e32 v18, v14
	v_mov_b32_e32 v17, v13
	v_mov_b32_e32 v16, v12
	v_mov_b32_e32 v15, v11
	v_mov_b32_e32 v14, v10
	v_mov_b32_e32 v13, v9
	v_mov_b32_e32 v12, v8
	v_div_fmas_f64 v[89:90], v[89:90], v[91:92], v[107:108]
	v_mov_b32_e32 v92, v86
	v_mov_b32_e32 v11, v7
	;; [unrolled: 1-line block ×25, first 2 shown]
	buffer_load_dword v65, off, s[20:23], 0 offset:368 ; 4-byte Folded Reload
	buffer_load_dword v66, off, s[20:23], 0 offset:372 ; 4-byte Folded Reload
	;; [unrolled: 1-line block ×4, first 2 shown]
	v_div_fixup_f64 v[107:108], v[89:90], v[95:96], 1.0
	v_mov_b32_e32 v124, v104
	v_mov_b32_e32 v123, v103
	;; [unrolled: 1-line block ×4, first 2 shown]
	v_mul_f64 v[105:106], v[93:94], v[107:108]
	v_mov_b32_e32 v96, v72
	v_mov_b32_e32 v95, v71
	;; [unrolled: 1-line block ×4, first 2 shown]
	v_xor_b32_e32 v108, 0x80000000, v108
.LBB87_392:
	s_andn2_saveexec_b64 s[2:3], s[2:3]
	s_cbranch_execz .LBB87_394
; %bb.393:
	s_waitcnt vmcnt(0)
	v_div_scale_f64 v[89:90], s[6:7], v[65:66], v[65:66], v[67:68]
	v_mov_b32_e32 v126, v92
	v_mov_b32_e32 v125, v91
	;; [unrolled: 1-line block ×6, first 2 shown]
	v_rcp_f64_e32 v[91:92], v[89:90]
	v_fma_f64 v[93:94], -v[89:90], v[91:92], 1.0
	v_fma_f64 v[91:92], v[91:92], v[93:94], v[91:92]
	v_div_scale_f64 v[93:94], vcc, v[67:68], v[65:66], v[67:68]
	v_fma_f64 v[95:96], -v[89:90], v[91:92], 1.0
	v_fma_f64 v[91:92], v[91:92], v[95:96], v[91:92]
	v_mul_f64 v[95:96], v[93:94], v[91:92]
	v_fma_f64 v[89:90], -v[89:90], v[95:96], v[93:94]
	v_div_fmas_f64 v[89:90], v[89:90], v[91:92], v[95:96]
	v_div_fixup_f64 v[89:90], v[89:90], v[65:66], v[67:68]
	v_fma_f64 v[91:92], v[67:68], v[89:90], v[65:66]
	v_div_scale_f64 v[93:94], s[6:7], v[91:92], v[91:92], 1.0
	v_div_scale_f64 v[107:108], vcc, 1.0, v[91:92], 1.0
	v_rcp_f64_e32 v[95:96], v[93:94]
	v_fma_f64 v[105:106], -v[93:94], v[95:96], 1.0
	v_fma_f64 v[95:96], v[95:96], v[105:106], v[95:96]
	v_fma_f64 v[105:106], -v[93:94], v[95:96], 1.0
	v_fma_f64 v[95:96], v[95:96], v[105:106], v[95:96]
	v_mul_f64 v[105:106], v[107:108], v[95:96]
	v_fma_f64 v[93:94], -v[93:94], v[105:106], v[107:108]
	v_div_fmas_f64 v[93:94], v[93:94], v[95:96], v[105:106]
	v_div_fixup_f64 v[105:106], v[93:94], v[91:92], 1.0
	v_mov_b32_e32 v96, v72
	v_mov_b32_e32 v91, v125
	v_mov_b32_e32 v95, v71
	v_mov_b32_e32 v94, v70
	v_mov_b32_e32 v93, v69
	v_mov_b32_e32 v92, v126
	v_mul_f64 v[107:108], v[89:90], -v[105:106]
.LBB87_394:
	s_or_b64 exec, exec, s[2:3]
	ds_write2_b64 v127, v[105:106], v[107:108] offset1:1
.LBB87_395:
	s_or_b64 exec, exec, s[4:5]
	s_waitcnt vmcnt(0) lgkmcnt(0)
	s_barrier
	ds_read2_b64 v[105:108], v127 offset1:1
	s_waitcnt lgkmcnt(0)
	s_barrier
	s_and_saveexec_b64 s[2:3], s[0:1]
	s_cbranch_execz .LBB87_398
; %bb.396:
	buffer_load_dword v65, off, s[20:23], 0 offset:680 ; 4-byte Folded Reload
	buffer_load_dword v66, off, s[20:23], 0 offset:684 ; 4-byte Folded Reload
	;; [unrolled: 1-line block ×4, first 2 shown]
	s_waitcnt vmcnt(2)
	v_cmp_eq_f64_e32 vcc, 0, v[65:66]
	s_waitcnt vmcnt(0)
	v_cmp_eq_f64_e64 s[0:1], 0, v[67:68]
	buffer_load_dword v65, off, s[20:23], 0 offset:696 ; 4-byte Folded Reload
	buffer_load_dword v66, off, s[20:23], 0 offset:700 ; 4-byte Folded Reload
	;; [unrolled: 1-line block ×4, first 2 shown]
	s_and_b64 s[4:5], vcc, s[0:1]
	v_cndmask_b32_e64 v89, 0, 1, s[4:5]
	s_waitcnt vmcnt(2)
	v_cmp_neq_f64_e32 vcc, 0, v[65:66]
	s_waitcnt vmcnt(0)
	v_cmp_neq_f64_e64 s[0:1], 0, v[67:68]
	buffer_load_dword v65, off, s[20:23], 0 offset:712 ; 4-byte Folded Reload
	buffer_load_dword v66, off, s[20:23], 0 offset:716 ; 4-byte Folded Reload
	;; [unrolled: 1-line block ×4, first 2 shown]
	s_or_b64 s[0:1], vcc, s[0:1]
	s_or_b64 vcc, s[0:1], s[4:5]
	v_cndmask_b32_e32 v89, 2, v89, vcc
	s_waitcnt vmcnt(2)
	v_cmp_eq_f64_e32 vcc, 0, v[65:66]
	s_waitcnt vmcnt(0)
	v_cmp_eq_f64_e64 s[0:1], 0, v[67:68]
	buffer_load_dword v65, off, s[20:23], 0 offset:728 ; 4-byte Folded Reload
	buffer_load_dword v66, off, s[20:23], 0 offset:732 ; 4-byte Folded Reload
	buffer_load_dword v67, off, s[20:23], 0 offset:736 ; 4-byte Folded Reload
	buffer_load_dword v68, off, s[20:23], 0 offset:740 ; 4-byte Folded Reload
	s_and_b64 s[0:1], vcc, s[0:1]
	v_cmp_eq_u32_e32 vcc, 0, v89
	s_and_b64 s[0:1], s[0:1], vcc
	v_cndmask_b32_e64 v89, v89, 3, s[0:1]
	s_waitcnt vmcnt(2)
	v_cmp_eq_f64_e32 vcc, 0, v[65:66]
	s_waitcnt vmcnt(0)
	v_cmp_eq_f64_e64 s[0:1], 0, v[67:68]
	buffer_load_dword v65, off, s[20:23], 0 offset:744 ; 4-byte Folded Reload
	buffer_load_dword v66, off, s[20:23], 0 offset:748 ; 4-byte Folded Reload
	buffer_load_dword v67, off, s[20:23], 0 offset:752 ; 4-byte Folded Reload
	buffer_load_dword v68, off, s[20:23], 0 offset:756 ; 4-byte Folded Reload
	s_and_b64 s[0:1], vcc, s[0:1]
	v_cmp_eq_u32_e32 vcc, 0, v89
	s_and_b64 s[0:1], s[0:1], vcc
	v_cndmask_b32_e64 v89, v89, 4, s[0:1]
	s_waitcnt vmcnt(2)
	v_cmp_eq_f64_e32 vcc, 0, v[65:66]
	s_waitcnt vmcnt(0)
	v_cmp_eq_f64_e64 s[0:1], 0, v[67:68]
	buffer_load_dword v65, off, s[20:23], 0 offset:760 ; 4-byte Folded Reload
	buffer_load_dword v66, off, s[20:23], 0 offset:764 ; 4-byte Folded Reload
	buffer_load_dword v67, off, s[20:23], 0 offset:768 ; 4-byte Folded Reload
	buffer_load_dword v68, off, s[20:23], 0 offset:772 ; 4-byte Folded Reload
	s_and_b64 s[0:1], vcc, s[0:1]
	v_cmp_eq_u32_e32 vcc, 0, v89
	s_and_b64 s[0:1], s[0:1], vcc
	v_cndmask_b32_e64 v89, v89, 5, s[0:1]
	s_waitcnt vmcnt(2)
	v_cmp_eq_f64_e32 vcc, 0, v[65:66]
	s_waitcnt vmcnt(0)
	v_cmp_eq_f64_e64 s[0:1], 0, v[67:68]
	buffer_load_dword v65, off, s[20:23], 0 offset:776 ; 4-byte Folded Reload
	buffer_load_dword v66, off, s[20:23], 0 offset:780 ; 4-byte Folded Reload
	buffer_load_dword v67, off, s[20:23], 0 offset:784 ; 4-byte Folded Reload
	buffer_load_dword v68, off, s[20:23], 0 offset:788 ; 4-byte Folded Reload
	s_and_b64 s[0:1], vcc, s[0:1]
	v_cmp_eq_u32_e32 vcc, 0, v89
	s_and_b64 s[0:1], s[0:1], vcc
	v_cndmask_b32_e64 v89, v89, 6, s[0:1]
	s_waitcnt vmcnt(2)
	v_cmp_eq_f64_e32 vcc, 0, v[65:66]
	s_waitcnt vmcnt(0)
	v_cmp_eq_f64_e64 s[0:1], 0, v[67:68]
	buffer_load_dword v65, off, s[20:23], 0 offset:792 ; 4-byte Folded Reload
	buffer_load_dword v66, off, s[20:23], 0 offset:796 ; 4-byte Folded Reload
	buffer_load_dword v67, off, s[20:23], 0 offset:800 ; 4-byte Folded Reload
	buffer_load_dword v68, off, s[20:23], 0 offset:804 ; 4-byte Folded Reload
	s_and_b64 s[0:1], vcc, s[0:1]
	v_cmp_eq_u32_e32 vcc, 0, v89
	s_and_b64 s[0:1], s[0:1], vcc
	v_cndmask_b32_e64 v89, v89, 7, s[0:1]
	s_waitcnt vmcnt(2)
	v_cmp_eq_f64_e32 vcc, 0, v[65:66]
	s_waitcnt vmcnt(0)
	v_cmp_eq_f64_e64 s[0:1], 0, v[67:68]
	buffer_load_dword v65, off, s[20:23], 0 offset:808 ; 4-byte Folded Reload
	buffer_load_dword v66, off, s[20:23], 0 offset:812 ; 4-byte Folded Reload
	buffer_load_dword v67, off, s[20:23], 0 offset:816 ; 4-byte Folded Reload
	buffer_load_dword v68, off, s[20:23], 0 offset:820 ; 4-byte Folded Reload
	s_and_b64 s[0:1], vcc, s[0:1]
	v_cmp_eq_u32_e32 vcc, 0, v89
	s_and_b64 s[0:1], s[0:1], vcc
	v_cndmask_b32_e64 v89, v89, 8, s[0:1]
	s_waitcnt vmcnt(2)
	v_cmp_eq_f64_e32 vcc, 0, v[65:66]
	s_waitcnt vmcnt(0)
	v_cmp_eq_f64_e64 s[0:1], 0, v[67:68]
	buffer_load_dword v65, off, s[20:23], 0 offset:824 ; 4-byte Folded Reload
	buffer_load_dword v66, off, s[20:23], 0 offset:828 ; 4-byte Folded Reload
	buffer_load_dword v67, off, s[20:23], 0 offset:832 ; 4-byte Folded Reload
	buffer_load_dword v68, off, s[20:23], 0 offset:836 ; 4-byte Folded Reload
	s_and_b64 s[0:1], vcc, s[0:1]
	v_cmp_eq_u32_e32 vcc, 0, v89
	s_and_b64 s[0:1], s[0:1], vcc
	v_cndmask_b32_e64 v89, v89, 9, s[0:1]
	s_waitcnt vmcnt(2)
	v_cmp_eq_f64_e32 vcc, 0, v[65:66]
	s_waitcnt vmcnt(0)
	v_cmp_eq_f64_e64 s[0:1], 0, v[67:68]
	buffer_load_dword v65, off, s[20:23], 0 offset:840 ; 4-byte Folded Reload
	buffer_load_dword v66, off, s[20:23], 0 offset:844 ; 4-byte Folded Reload
	buffer_load_dword v67, off, s[20:23], 0 offset:848 ; 4-byte Folded Reload
	buffer_load_dword v68, off, s[20:23], 0 offset:852 ; 4-byte Folded Reload
	s_and_b64 s[0:1], vcc, s[0:1]
	v_cmp_eq_u32_e32 vcc, 0, v89
	s_and_b64 s[0:1], s[0:1], vcc
	v_cndmask_b32_e64 v89, v89, 10, s[0:1]
	s_waitcnt vmcnt(2)
	v_cmp_eq_f64_e32 vcc, 0, v[65:66]
	s_waitcnt vmcnt(0)
	v_cmp_eq_f64_e64 s[0:1], 0, v[67:68]
	buffer_load_dword v65, off, s[20:23], 0 offset:856 ; 4-byte Folded Reload
	buffer_load_dword v66, off, s[20:23], 0 offset:860 ; 4-byte Folded Reload
	buffer_load_dword v67, off, s[20:23], 0 offset:864 ; 4-byte Folded Reload
	buffer_load_dword v68, off, s[20:23], 0 offset:868 ; 4-byte Folded Reload
	s_and_b64 s[0:1], vcc, s[0:1]
	v_cmp_eq_u32_e32 vcc, 0, v89
	s_and_b64 s[0:1], s[0:1], vcc
	v_cndmask_b32_e64 v89, v89, 11, s[0:1]
	s_waitcnt vmcnt(2)
	v_cmp_eq_f64_e32 vcc, 0, v[65:66]
	s_waitcnt vmcnt(0)
	v_cmp_eq_f64_e64 s[0:1], 0, v[67:68]
	buffer_load_dword v65, off, s[20:23], 0 offset:872 ; 4-byte Folded Reload
	buffer_load_dword v66, off, s[20:23], 0 offset:876 ; 4-byte Folded Reload
	buffer_load_dword v67, off, s[20:23], 0 offset:880 ; 4-byte Folded Reload
	buffer_load_dword v68, off, s[20:23], 0 offset:884 ; 4-byte Folded Reload
	s_and_b64 s[0:1], vcc, s[0:1]
	v_cmp_eq_u32_e32 vcc, 0, v89
	s_and_b64 s[0:1], s[0:1], vcc
	v_cndmask_b32_e64 v89, v89, 12, s[0:1]
	s_waitcnt vmcnt(2)
	v_cmp_eq_f64_e32 vcc, 0, v[65:66]
	s_waitcnt vmcnt(0)
	v_cmp_eq_f64_e64 s[0:1], 0, v[67:68]
	buffer_load_dword v65, off, s[20:23], 0 offset:888 ; 4-byte Folded Reload
	buffer_load_dword v66, off, s[20:23], 0 offset:892 ; 4-byte Folded Reload
	buffer_load_dword v67, off, s[20:23], 0 offset:896 ; 4-byte Folded Reload
	buffer_load_dword v68, off, s[20:23], 0 offset:900 ; 4-byte Folded Reload
	s_and_b64 s[0:1], vcc, s[0:1]
	v_cmp_eq_u32_e32 vcc, 0, v89
	s_and_b64 s[0:1], s[0:1], vcc
	v_cndmask_b32_e64 v89, v89, 13, s[0:1]
	s_waitcnt vmcnt(2)
	v_cmp_eq_f64_e32 vcc, 0, v[65:66]
	s_waitcnt vmcnt(0)
	v_cmp_eq_f64_e64 s[0:1], 0, v[67:68]
	buffer_load_dword v65, off, s[20:23], 0 offset:904 ; 4-byte Folded Reload
	buffer_load_dword v66, off, s[20:23], 0 offset:908 ; 4-byte Folded Reload
	buffer_load_dword v67, off, s[20:23], 0 offset:912 ; 4-byte Folded Reload
	buffer_load_dword v68, off, s[20:23], 0 offset:916 ; 4-byte Folded Reload
	s_and_b64 s[0:1], vcc, s[0:1]
	v_cmp_eq_u32_e32 vcc, 0, v89
	s_and_b64 s[0:1], s[0:1], vcc
	v_cndmask_b32_e64 v89, v89, 14, s[0:1]
	s_waitcnt vmcnt(2)
	v_cmp_eq_f64_e32 vcc, 0, v[65:66]
	s_waitcnt vmcnt(0)
	v_cmp_eq_f64_e64 s[0:1], 0, v[67:68]
	buffer_load_dword v65, off, s[20:23], 0 offset:920 ; 4-byte Folded Reload
	buffer_load_dword v66, off, s[20:23], 0 offset:924 ; 4-byte Folded Reload
	buffer_load_dword v67, off, s[20:23], 0 offset:928 ; 4-byte Folded Reload
	buffer_load_dword v68, off, s[20:23], 0 offset:932 ; 4-byte Folded Reload
	s_and_b64 s[0:1], vcc, s[0:1]
	v_cmp_eq_u32_e32 vcc, 0, v89
	s_and_b64 s[0:1], s[0:1], vcc
	v_cndmask_b32_e64 v89, v89, 15, s[0:1]
	s_waitcnt vmcnt(2)
	v_cmp_eq_f64_e32 vcc, 0, v[65:66]
	s_waitcnt vmcnt(0)
	v_cmp_eq_f64_e64 s[0:1], 0, v[67:68]
	buffer_load_dword v65, off, s[20:23], 0 offset:936 ; 4-byte Folded Reload
	buffer_load_dword v66, off, s[20:23], 0 offset:940 ; 4-byte Folded Reload
	buffer_load_dword v67, off, s[20:23], 0 offset:944 ; 4-byte Folded Reload
	buffer_load_dword v68, off, s[20:23], 0 offset:948 ; 4-byte Folded Reload
	s_and_b64 s[0:1], vcc, s[0:1]
	v_cmp_eq_u32_e32 vcc, 0, v89
	s_and_b64 s[0:1], s[0:1], vcc
	v_cndmask_b32_e64 v89, v89, 16, s[0:1]
	s_waitcnt vmcnt(2)
	v_cmp_eq_f64_e32 vcc, 0, v[65:66]
	s_waitcnt vmcnt(0)
	v_cmp_eq_f64_e64 s[0:1], 0, v[67:68]
	buffer_load_dword v65, off, s[20:23], 0 offset:952 ; 4-byte Folded Reload
	buffer_load_dword v66, off, s[20:23], 0 offset:956 ; 4-byte Folded Reload
	buffer_load_dword v67, off, s[20:23], 0 offset:960 ; 4-byte Folded Reload
	buffer_load_dword v68, off, s[20:23], 0 offset:964 ; 4-byte Folded Reload
	s_and_b64 s[0:1], vcc, s[0:1]
	v_cmp_eq_u32_e32 vcc, 0, v89
	s_and_b64 s[0:1], s[0:1], vcc
	v_cndmask_b32_e64 v89, v89, 17, s[0:1]
	s_waitcnt vmcnt(2)
	v_cmp_eq_f64_e32 vcc, 0, v[65:66]
	s_waitcnt vmcnt(0)
	v_cmp_eq_f64_e64 s[0:1], 0, v[67:68]
	buffer_load_dword v65, off, s[20:23], 0 offset:968 ; 4-byte Folded Reload
	buffer_load_dword v66, off, s[20:23], 0 offset:972 ; 4-byte Folded Reload
	buffer_load_dword v67, off, s[20:23], 0 offset:976 ; 4-byte Folded Reload
	buffer_load_dword v68, off, s[20:23], 0 offset:980 ; 4-byte Folded Reload
	s_and_b64 s[0:1], vcc, s[0:1]
	v_cmp_eq_u32_e32 vcc, 0, v89
	s_and_b64 s[0:1], s[0:1], vcc
	v_cndmask_b32_e64 v89, v89, 18, s[0:1]
	s_waitcnt vmcnt(2)
	v_cmp_eq_f64_e32 vcc, 0, v[65:66]
	s_waitcnt vmcnt(0)
	v_cmp_eq_f64_e64 s[0:1], 0, v[67:68]
	buffer_load_dword v65, off, s[20:23], 0 offset:984 ; 4-byte Folded Reload
	buffer_load_dword v66, off, s[20:23], 0 offset:988 ; 4-byte Folded Reload
	buffer_load_dword v67, off, s[20:23], 0 offset:992 ; 4-byte Folded Reload
	buffer_load_dword v68, off, s[20:23], 0 offset:996 ; 4-byte Folded Reload
	s_and_b64 s[0:1], vcc, s[0:1]
	v_cmp_eq_u32_e32 vcc, 0, v89
	s_and_b64 s[0:1], s[0:1], vcc
	v_cndmask_b32_e64 v89, v89, 19, s[0:1]
	s_waitcnt vmcnt(2)
	v_cmp_eq_f64_e32 vcc, 0, v[65:66]
	s_waitcnt vmcnt(0)
	v_cmp_eq_f64_e64 s[0:1], 0, v[67:68]
	buffer_load_dword v65, off, s[20:23], 0 offset:1000 ; 4-byte Folded Reload
	buffer_load_dword v66, off, s[20:23], 0 offset:1004 ; 4-byte Folded Reload
	buffer_load_dword v67, off, s[20:23], 0 offset:1008 ; 4-byte Folded Reload
	buffer_load_dword v68, off, s[20:23], 0 offset:1012 ; 4-byte Folded Reload
	s_and_b64 s[0:1], vcc, s[0:1]
	v_cmp_eq_u32_e32 vcc, 0, v89
	s_and_b64 s[0:1], s[0:1], vcc
	v_cndmask_b32_e64 v89, v89, 20, s[0:1]
	s_waitcnt vmcnt(2)
	v_cmp_eq_f64_e32 vcc, 0, v[65:66]
	s_waitcnt vmcnt(0)
	v_cmp_eq_f64_e64 s[0:1], 0, v[67:68]
	buffer_load_dword v65, off, s[20:23], 0 offset:1016 ; 4-byte Folded Reload
	buffer_load_dword v66, off, s[20:23], 0 offset:1020 ; 4-byte Folded Reload
	buffer_load_dword v67, off, s[20:23], 0 offset:1024 ; 4-byte Folded Reload
	buffer_load_dword v68, off, s[20:23], 0 offset:1028 ; 4-byte Folded Reload
	s_and_b64 s[0:1], vcc, s[0:1]
	v_cmp_eq_u32_e32 vcc, 0, v89
	s_and_b64 s[0:1], s[0:1], vcc
	v_cndmask_b32_e64 v89, v89, 21, s[0:1]
	s_waitcnt vmcnt(2)
	v_cmp_eq_f64_e32 vcc, 0, v[65:66]
	s_waitcnt vmcnt(0)
	v_cmp_eq_f64_e64 s[0:1], 0, v[67:68]
	buffer_load_dword v65, off, s[20:23], 0 offset:1032 ; 4-byte Folded Reload
	buffer_load_dword v66, off, s[20:23], 0 offset:1036 ; 4-byte Folded Reload
	buffer_load_dword v67, off, s[20:23], 0 offset:1040 ; 4-byte Folded Reload
	buffer_load_dword v68, off, s[20:23], 0 offset:1044 ; 4-byte Folded Reload
	s_and_b64 s[0:1], vcc, s[0:1]
	v_cmp_eq_u32_e32 vcc, 0, v89
	s_and_b64 s[0:1], s[0:1], vcc
	v_cndmask_b32_e64 v89, v89, 22, s[0:1]
	s_waitcnt vmcnt(2)
	v_cmp_eq_f64_e32 vcc, 0, v[65:66]
	s_waitcnt vmcnt(0)
	v_cmp_eq_f64_e64 s[0:1], 0, v[67:68]
	buffer_load_dword v65, off, s[20:23], 0 offset:1048 ; 4-byte Folded Reload
	buffer_load_dword v66, off, s[20:23], 0 offset:1052 ; 4-byte Folded Reload
	buffer_load_dword v67, off, s[20:23], 0 offset:1056 ; 4-byte Folded Reload
	buffer_load_dword v68, off, s[20:23], 0 offset:1060 ; 4-byte Folded Reload
	s_and_b64 s[0:1], vcc, s[0:1]
	v_cmp_eq_u32_e32 vcc, 0, v89
	s_and_b64 s[0:1], s[0:1], vcc
	v_cndmask_b32_e64 v89, v89, 23, s[0:1]
	s_waitcnt vmcnt(2)
	v_cmp_eq_f64_e32 vcc, 0, v[65:66]
	s_waitcnt vmcnt(0)
	v_cmp_eq_f64_e64 s[0:1], 0, v[67:68]
	buffer_load_dword v65, off, s[20:23], 0 offset:1064 ; 4-byte Folded Reload
	buffer_load_dword v66, off, s[20:23], 0 offset:1068 ; 4-byte Folded Reload
	buffer_load_dword v67, off, s[20:23], 0 offset:1072 ; 4-byte Folded Reload
	buffer_load_dword v68, off, s[20:23], 0 offset:1076 ; 4-byte Folded Reload
	s_and_b64 s[0:1], vcc, s[0:1]
	v_cmp_eq_u32_e32 vcc, 0, v89
	s_and_b64 s[0:1], s[0:1], vcc
	v_cndmask_b32_e64 v89, v89, 24, s[0:1]
	s_waitcnt vmcnt(2)
	v_cmp_eq_f64_e32 vcc, 0, v[65:66]
	s_waitcnt vmcnt(0)
	v_cmp_eq_f64_e64 s[0:1], 0, v[67:68]
	buffer_load_dword v65, off, s[20:23], 0 offset:1080 ; 4-byte Folded Reload
	buffer_load_dword v66, off, s[20:23], 0 offset:1084 ; 4-byte Folded Reload
	buffer_load_dword v67, off, s[20:23], 0 offset:1088 ; 4-byte Folded Reload
	buffer_load_dword v68, off, s[20:23], 0 offset:1092 ; 4-byte Folded Reload
	s_and_b64 s[0:1], vcc, s[0:1]
	v_cmp_eq_u32_e32 vcc, 0, v89
	s_and_b64 s[0:1], s[0:1], vcc
	v_cndmask_b32_e64 v89, v89, 25, s[0:1]
	s_waitcnt vmcnt(2)
	v_cmp_eq_f64_e32 vcc, 0, v[65:66]
	s_waitcnt vmcnt(0)
	v_cmp_eq_f64_e64 s[0:1], 0, v[67:68]
	buffer_load_dword v65, off, s[20:23], 0 offset:1096 ; 4-byte Folded Reload
	buffer_load_dword v66, off, s[20:23], 0 offset:1100 ; 4-byte Folded Reload
	buffer_load_dword v67, off, s[20:23], 0 offset:1104 ; 4-byte Folded Reload
	buffer_load_dword v68, off, s[20:23], 0 offset:1108 ; 4-byte Folded Reload
	s_and_b64 s[0:1], vcc, s[0:1]
	v_cmp_eq_u32_e32 vcc, 0, v89
	s_and_b64 s[0:1], s[0:1], vcc
	v_cndmask_b32_e64 v89, v89, 26, s[0:1]
	s_waitcnt vmcnt(2)
	v_cmp_eq_f64_e32 vcc, 0, v[65:66]
	s_waitcnt vmcnt(0)
	v_cmp_eq_f64_e64 s[0:1], 0, v[67:68]
	buffer_load_dword v65, off, s[20:23], 0 offset:1112 ; 4-byte Folded Reload
	buffer_load_dword v66, off, s[20:23], 0 offset:1116 ; 4-byte Folded Reload
	buffer_load_dword v67, off, s[20:23], 0 offset:1120 ; 4-byte Folded Reload
	buffer_load_dword v68, off, s[20:23], 0 offset:1124 ; 4-byte Folded Reload
	s_and_b64 s[0:1], vcc, s[0:1]
	v_cmp_eq_u32_e32 vcc, 0, v89
	s_and_b64 s[0:1], s[0:1], vcc
	v_cndmask_b32_e64 v89, v89, 27, s[0:1]
	s_waitcnt vmcnt(2)
	v_cmp_eq_f64_e32 vcc, 0, v[65:66]
	s_waitcnt vmcnt(0)
	v_cmp_eq_f64_e64 s[0:1], 0, v[67:68]
	buffer_load_dword v65, off, s[20:23], 0 offset:1128 ; 4-byte Folded Reload
	buffer_load_dword v66, off, s[20:23], 0 offset:1132 ; 4-byte Folded Reload
	buffer_load_dword v67, off, s[20:23], 0 offset:1136 ; 4-byte Folded Reload
	buffer_load_dword v68, off, s[20:23], 0 offset:1140 ; 4-byte Folded Reload
	s_and_b64 s[0:1], vcc, s[0:1]
	v_cmp_eq_u32_e32 vcc, 0, v89
	s_and_b64 s[0:1], s[0:1], vcc
	v_cndmask_b32_e64 v89, v89, 28, s[0:1]
	s_waitcnt vmcnt(2)
	v_cmp_eq_f64_e32 vcc, 0, v[65:66]
	s_waitcnt vmcnt(0)
	v_cmp_eq_f64_e64 s[0:1], 0, v[67:68]
	buffer_load_dword v65, off, s[20:23], 0 offset:1144 ; 4-byte Folded Reload
	buffer_load_dword v66, off, s[20:23], 0 offset:1148 ; 4-byte Folded Reload
	buffer_load_dword v67, off, s[20:23], 0 offset:1152 ; 4-byte Folded Reload
	buffer_load_dword v68, off, s[20:23], 0 offset:1156 ; 4-byte Folded Reload
	s_and_b64 s[0:1], vcc, s[0:1]
	v_cmp_eq_u32_e32 vcc, 0, v89
	s_and_b64 s[0:1], s[0:1], vcc
	v_cndmask_b32_e64 v89, v89, 29, s[0:1]
	s_waitcnt vmcnt(2)
	v_cmp_eq_f64_e32 vcc, 0, v[65:66]
	s_waitcnt vmcnt(0)
	v_cmp_eq_f64_e64 s[0:1], 0, v[67:68]
	buffer_load_dword v65, off, s[20:23], 0 offset:1160 ; 4-byte Folded Reload
	buffer_load_dword v66, off, s[20:23], 0 offset:1164 ; 4-byte Folded Reload
	buffer_load_dword v67, off, s[20:23], 0 offset:1168 ; 4-byte Folded Reload
	buffer_load_dword v68, off, s[20:23], 0 offset:1172 ; 4-byte Folded Reload
	s_and_b64 s[0:1], vcc, s[0:1]
	v_cmp_eq_u32_e32 vcc, 0, v89
	s_and_b64 s[0:1], s[0:1], vcc
	v_cndmask_b32_e64 v89, v89, 30, s[0:1]
	s_waitcnt vmcnt(2)
	v_cmp_eq_f64_e32 vcc, 0, v[65:66]
	s_waitcnt vmcnt(0)
	v_cmp_eq_f64_e64 s[0:1], 0, v[67:68]
	buffer_load_dword v65, off, s[20:23], 0 offset:1176 ; 4-byte Folded Reload
	buffer_load_dword v66, off, s[20:23], 0 offset:1180 ; 4-byte Folded Reload
	buffer_load_dword v67, off, s[20:23], 0 offset:1184 ; 4-byte Folded Reload
	buffer_load_dword v68, off, s[20:23], 0 offset:1188 ; 4-byte Folded Reload
	s_and_b64 s[0:1], vcc, s[0:1]
	v_cmp_eq_u32_e32 vcc, 0, v89
	s_and_b64 s[0:1], s[0:1], vcc
	v_cndmask_b32_e64 v89, v89, 31, s[0:1]
	s_waitcnt vmcnt(2)
	v_cmp_eq_f64_e32 vcc, 0, v[65:66]
	s_waitcnt vmcnt(0)
	v_cmp_eq_f64_e64 s[0:1], 0, v[67:68]
	buffer_load_dword v65, off, s[20:23], 0 offset:1192 ; 4-byte Folded Reload
	buffer_load_dword v66, off, s[20:23], 0 offset:1196 ; 4-byte Folded Reload
	buffer_load_dword v67, off, s[20:23], 0 offset:1200 ; 4-byte Folded Reload
	buffer_load_dword v68, off, s[20:23], 0 offset:1204 ; 4-byte Folded Reload
	s_and_b64 s[0:1], vcc, s[0:1]
	v_cmp_eq_u32_e32 vcc, 0, v89
	s_and_b64 s[0:1], s[0:1], vcc
	v_cndmask_b32_e64 v89, v89, 32, s[0:1]
	s_waitcnt vmcnt(2)
	v_cmp_eq_f64_e32 vcc, 0, v[65:66]
	s_waitcnt vmcnt(0)
	v_cmp_eq_f64_e64 s[0:1], 0, v[67:68]
	buffer_load_dword v65, off, s[20:23], 0 offset:1208 ; 4-byte Folded Reload
	buffer_load_dword v66, off, s[20:23], 0 offset:1212 ; 4-byte Folded Reload
	buffer_load_dword v67, off, s[20:23], 0 offset:1216 ; 4-byte Folded Reload
	buffer_load_dword v68, off, s[20:23], 0 offset:1220 ; 4-byte Folded Reload
	s_and_b64 s[0:1], vcc, s[0:1]
	v_cmp_eq_u32_e32 vcc, 0, v89
	s_and_b64 s[0:1], s[0:1], vcc
	v_cndmask_b32_e64 v89, v89, 33, s[0:1]
	s_waitcnt vmcnt(2)
	v_cmp_eq_f64_e32 vcc, 0, v[65:66]
	s_waitcnt vmcnt(0)
	v_cmp_eq_f64_e64 s[0:1], 0, v[67:68]
	buffer_load_dword v65, off, s[20:23], 0 offset:1224 ; 4-byte Folded Reload
	buffer_load_dword v66, off, s[20:23], 0 offset:1228 ; 4-byte Folded Reload
	buffer_load_dword v67, off, s[20:23], 0 offset:1232 ; 4-byte Folded Reload
	buffer_load_dword v68, off, s[20:23], 0 offset:1236 ; 4-byte Folded Reload
	s_and_b64 s[0:1], vcc, s[0:1]
	v_cmp_eq_u32_e32 vcc, 0, v89
	s_and_b64 s[0:1], s[0:1], vcc
	v_cndmask_b32_e64 v89, v89, 34, s[0:1]
	s_waitcnt vmcnt(2)
	v_cmp_eq_f64_e32 vcc, 0, v[65:66]
	s_waitcnt vmcnt(0)
	v_cmp_eq_f64_e64 s[0:1], 0, v[67:68]
	buffer_load_dword v65, off, s[20:23], 0 offset:1240 ; 4-byte Folded Reload
	buffer_load_dword v66, off, s[20:23], 0 offset:1244 ; 4-byte Folded Reload
	buffer_load_dword v67, off, s[20:23], 0 offset:1248 ; 4-byte Folded Reload
	buffer_load_dword v68, off, s[20:23], 0 offset:1252 ; 4-byte Folded Reload
	s_and_b64 s[0:1], vcc, s[0:1]
	v_cmp_eq_u32_e32 vcc, 0, v89
	s_and_b64 s[0:1], s[0:1], vcc
	v_cndmask_b32_e64 v89, v89, 35, s[0:1]
	s_waitcnt vmcnt(2)
	v_cmp_eq_f64_e32 vcc, 0, v[65:66]
	s_waitcnt vmcnt(0)
	v_cmp_eq_f64_e64 s[0:1], 0, v[67:68]
	buffer_load_dword v65, off, s[20:23], 0 offset:1256 ; 4-byte Folded Reload
	buffer_load_dword v66, off, s[20:23], 0 offset:1260 ; 4-byte Folded Reload
	buffer_load_dword v67, off, s[20:23], 0 offset:1264 ; 4-byte Folded Reload
	buffer_load_dword v68, off, s[20:23], 0 offset:1268 ; 4-byte Folded Reload
	s_and_b64 s[0:1], vcc, s[0:1]
	v_cmp_eq_u32_e32 vcc, 0, v89
	s_and_b64 s[0:1], s[0:1], vcc
	v_cndmask_b32_e64 v89, v89, 36, s[0:1]
	s_waitcnt vmcnt(2)
	v_cmp_eq_f64_e32 vcc, 0, v[65:66]
	s_waitcnt vmcnt(0)
	v_cmp_eq_f64_e64 s[0:1], 0, v[67:68]
	buffer_load_dword v65, off, s[20:23], 0 offset:1272 ; 4-byte Folded Reload
	buffer_load_dword v66, off, s[20:23], 0 offset:1276 ; 4-byte Folded Reload
	buffer_load_dword v67, off, s[20:23], 0 offset:1280 ; 4-byte Folded Reload
	buffer_load_dword v68, off, s[20:23], 0 offset:1284 ; 4-byte Folded Reload
	s_and_b64 s[0:1], vcc, s[0:1]
	v_cmp_eq_u32_e32 vcc, 0, v89
	s_and_b64 s[0:1], s[0:1], vcc
	v_cndmask_b32_e64 v89, v89, 37, s[0:1]
	s_waitcnt vmcnt(2)
	v_cmp_eq_f64_e32 vcc, 0, v[65:66]
	s_waitcnt vmcnt(0)
	v_cmp_eq_f64_e64 s[0:1], 0, v[67:68]
	buffer_load_dword v65, off, s[20:23], 0 offset:1288 ; 4-byte Folded Reload
	buffer_load_dword v66, off, s[20:23], 0 offset:1292 ; 4-byte Folded Reload
	buffer_load_dword v67, off, s[20:23], 0 offset:1296 ; 4-byte Folded Reload
	buffer_load_dword v68, off, s[20:23], 0 offset:1300 ; 4-byte Folded Reload
	s_and_b64 s[0:1], vcc, s[0:1]
	v_cmp_eq_u32_e32 vcc, 0, v89
	s_and_b64 s[0:1], s[0:1], vcc
	v_cndmask_b32_e64 v89, v89, 38, s[0:1]
	s_waitcnt vmcnt(2)
	v_cmp_eq_f64_e32 vcc, 0, v[65:66]
	s_waitcnt vmcnt(0)
	v_cmp_eq_f64_e64 s[0:1], 0, v[67:68]
	buffer_load_dword v65, off, s[20:23], 0 offset:1304 ; 4-byte Folded Reload
	buffer_load_dword v66, off, s[20:23], 0 offset:1308 ; 4-byte Folded Reload
	buffer_load_dword v67, off, s[20:23], 0 offset:1312 ; 4-byte Folded Reload
	buffer_load_dword v68, off, s[20:23], 0 offset:1316 ; 4-byte Folded Reload
	s_and_b64 s[0:1], vcc, s[0:1]
	v_cmp_eq_u32_e32 vcc, 0, v89
	s_and_b64 s[0:1], s[0:1], vcc
	v_cndmask_b32_e64 v89, v89, 39, s[0:1]
	s_waitcnt vmcnt(2)
	v_cmp_eq_f64_e32 vcc, 0, v[65:66]
	s_waitcnt vmcnt(0)
	v_cmp_eq_f64_e64 s[0:1], 0, v[67:68]
	buffer_load_dword v65, off, s[20:23], 0 offset:1320 ; 4-byte Folded Reload
	buffer_load_dword v66, off, s[20:23], 0 offset:1324 ; 4-byte Folded Reload
	buffer_load_dword v67, off, s[20:23], 0 offset:1328 ; 4-byte Folded Reload
	buffer_load_dword v68, off, s[20:23], 0 offset:1332 ; 4-byte Folded Reload
	s_and_b64 s[0:1], vcc, s[0:1]
	v_cmp_eq_u32_e32 vcc, 0, v89
	s_and_b64 s[0:1], s[0:1], vcc
	v_cndmask_b32_e64 v89, v89, 40, s[0:1]
	s_waitcnt vmcnt(2)
	v_cmp_eq_f64_e32 vcc, 0, v[65:66]
	s_waitcnt vmcnt(0)
	v_cmp_eq_f64_e64 s[0:1], 0, v[67:68]
	s_and_b64 s[0:1], vcc, s[0:1]
	v_cmp_eq_u32_e32 vcc, 0, v89
	s_and_b64 s[0:1], s[0:1], vcc
	v_cndmask_b32_e64 v89, v89, 41, s[0:1]
	v_cmp_eq_f64_e32 vcc, 0, v[61:62]
	v_cmp_eq_f64_e64 s[0:1], 0, v[63:64]
	s_and_b64 s[0:1], vcc, s[0:1]
	v_cmp_eq_u32_e32 vcc, 0, v89
	s_and_b64 s[0:1], s[0:1], vcc
	v_cndmask_b32_e64 v89, v89, 42, s[0:1]
	v_cmp_eq_f64_e32 vcc, 0, v[97:98]
	;; [unrolled: 6-line block ×3, first 2 shown]
	v_cmp_eq_f64_e64 s[0:1], 0, v[107:108]
	s_and_b64 s[0:1], vcc, s[0:1]
	v_cmp_eq_u32_e32 vcc, 0, v89
	s_and_b64 s[0:1], s[0:1], vcc
	v_cndmask_b32_e64 v99, v89, 44, s[0:1]
	v_lshlrev_b64 v[89:90], 2, v[87:88]
	v_cmp_ne_u32_e64 s[0:1], 0, v99
	v_add_co_u32_e32 v97, vcc, s10, v89
	v_mov_b32_e32 v89, s11
	v_addc_co_u32_e32 v98, vcc, v89, v90, vcc
	global_load_dword v89, v[97:98], off
	s_waitcnt vmcnt(0)
	v_cmp_eq_u32_e32 vcc, 0, v89
	s_and_b64 s[0:1], vcc, s[0:1]
	s_and_b64 exec, exec, s[0:1]
	s_cbranch_execz .LBB87_398
; %bb.397:
	v_add_u32_e32 v89, s13, v99
	global_store_dword v[97:98], v89, off
.LBB87_398:
	s_or_b64 exec, exec, s[2:3]
	buffer_load_dword v61, off, s[20:23], 0 offset:664 ; 4-byte Folded Reload
	buffer_load_dword v62, off, s[20:23], 0 offset:668 ; 4-byte Folded Reload
	;; [unrolled: 1-line block ×6, first 2 shown]
	v_cmp_lt_u32_e32 vcc, 43, v0
	s_waitcnt vmcnt(0)
	global_store_dwordx4 v[61:62], v[63:66], off
	buffer_load_dword v61, off, s[20:23], 0 offset:672 ; 4-byte Folded Reload
	s_nop 0
	buffer_load_dword v62, off, s[20:23], 0 offset:676 ; 4-byte Folded Reload
	buffer_load_dword v63, off, s[20:23], 0 offset:336 ; 4-byte Folded Reload
	;; [unrolled: 1-line block ×5, first 2 shown]
	s_waitcnt vmcnt(0)
	global_store_dwordx4 v[61:62], v[63:66], off
	buffer_load_dword v61, off, s[20:23], 0 offset:320 ; 4-byte Folded Reload
	s_nop 0
	buffer_load_dword v62, off, s[20:23], 0 offset:324 ; 4-byte Folded Reload
	buffer_load_dword v63, off, s[20:23], 0 offset:328 ; 4-byte Folded Reload
	;; [unrolled: 1-line block ×3, first 2 shown]
	s_waitcnt vmcnt(0)
	global_store_dwordx4 v[91:92], v[61:64], off
	buffer_load_dword v87, off, s[20:23], 0 offset:384 ; 4-byte Folded Reload
	buffer_load_dword v88, off, s[20:23], 0 offset:388 ; 4-byte Folded Reload
	s_nop 0
	buffer_load_dword v61, off, s[20:23], 0 offset:304 ; 4-byte Folded Reload
	buffer_load_dword v62, off, s[20:23], 0 offset:308 ; 4-byte Folded Reload
	;; [unrolled: 1-line block ×4, first 2 shown]
	s_waitcnt vmcnt(0)
	global_store_dwordx4 v[87:88], v[61:64], off
	buffer_load_dword v61, off, s[20:23], 0 offset:288 ; 4-byte Folded Reload
	s_nop 0
	buffer_load_dword v62, off, s[20:23], 0 offset:292 ; 4-byte Folded Reload
	buffer_load_dword v63, off, s[20:23], 0 offset:296 ; 4-byte Folded Reload
	buffer_load_dword v64, off, s[20:23], 0 offset:300 ; 4-byte Folded Reload
	s_waitcnt vmcnt(0)
	global_store_dwordx4 v[85:86], v[61:64], off
	buffer_load_dword v85, off, s[20:23], 0 offset:392 ; 4-byte Folded Reload
	s_nop 0
	buffer_load_dword v86, off, s[20:23], 0 offset:396 ; 4-byte Folded Reload
	buffer_load_dword v61, off, s[20:23], 0 offset:272 ; 4-byte Folded Reload
	buffer_load_dword v62, off, s[20:23], 0 offset:276 ; 4-byte Folded Reload
	buffer_load_dword v63, off, s[20:23], 0 offset:280 ; 4-byte Folded Reload
	buffer_load_dword v64, off, s[20:23], 0 offset:284 ; 4-byte Folded Reload
	s_waitcnt vmcnt(0)
	global_store_dwordx4 v[85:86], v[61:64], off
	buffer_load_dword v85, off, s[20:23], 0 offset:400 ; 4-byte Folded Reload
	s_nop 0
	buffer_load_dword v86, off, s[20:23], 0 offset:404 ; 4-byte Folded Reload
	buffer_load_dword v61, off, s[20:23], 0 offset:256 ; 4-byte Folded Reload
	;; [unrolled: 9-line block ×4, first 2 shown]
	buffer_load_dword v64, off, s[20:23], 0 offset:380 ; 4-byte Folded Reload
	s_waitcnt vmcnt(0)
	v_mul_f64 v[89:90], v[105:106], v[63:64]
	v_mul_f64 v[91:92], v[107:108], v[63:64]
	v_fma_f64 v[89:90], v[107:108], v[61:62], v[89:90]
	v_fma_f64 v[91:92], v[105:106], v[61:62], -v[91:92]
	v_cndmask_b32_e32 v100, v64, v90, vcc
	v_cndmask_b32_e32 v99, v63, v89, vcc
	;; [unrolled: 1-line block ×4, first 2 shown]
	buffer_load_dword v85, off, s[20:23], 0 offset:416 ; 4-byte Folded Reload
	buffer_load_dword v86, off, s[20:23], 0 offset:420 ; 4-byte Folded Reload
	;; [unrolled: 1-line block ×6, first 2 shown]
	s_waitcnt vmcnt(0)
	global_store_dwordx4 v[85:86], v[61:64], off
	buffer_load_dword v85, off, s[20:23], 0 offset:424 ; 4-byte Folded Reload
	s_nop 0
	buffer_load_dword v86, off, s[20:23], 0 offset:428 ; 4-byte Folded Reload
	buffer_load_dword v61, off, s[20:23], 0 offset:208 ; 4-byte Folded Reload
	buffer_load_dword v62, off, s[20:23], 0 offset:212 ; 4-byte Folded Reload
	buffer_load_dword v63, off, s[20:23], 0 offset:216 ; 4-byte Folded Reload
	buffer_load_dword v64, off, s[20:23], 0 offset:220 ; 4-byte Folded Reload
	s_waitcnt vmcnt(0)
	global_store_dwordx4 v[85:86], v[61:64], off
	buffer_load_dword v85, off, s[20:23], 0 offset:432 ; 4-byte Folded Reload
	s_nop 0
	buffer_load_dword v86, off, s[20:23], 0 offset:436 ; 4-byte Folded Reload
	buffer_load_dword v61, off, s[20:23], 0 offset:192 ; 4-byte Folded Reload
	buffer_load_dword v62, off, s[20:23], 0 offset:196 ; 4-byte Folded Reload
	buffer_load_dword v63, off, s[20:23], 0 offset:200 ; 4-byte Folded Reload
	buffer_load_dword v64, off, s[20:23], 0 offset:204 ; 4-byte Folded Reload
	;; [unrolled: 9-line block ×11, first 2 shown]
	s_waitcnt vmcnt(0)
	global_store_dwordx4 v[85:86], v[61:64], off
	buffer_load_dword v85, off, s[20:23], 0 offset:512 ; 4-byte Folded Reload
	s_nop 0
	buffer_load_dword v86, off, s[20:23], 0 offset:516 ; 4-byte Folded Reload
	s_waitcnt vmcnt(0)
	global_store_dwordx4 v[85:86], v[117:120], off
	buffer_load_dword v85, off, s[20:23], 0 offset:520 ; 4-byte Folded Reload
	s_nop 0
	buffer_load_dword v86, off, s[20:23], 0 offset:524 ; 4-byte Folded Reload
	;; [unrolled: 5-line block ×3, first 2 shown]
	s_waitcnt vmcnt(0)
	global_store_dwordx4 v[85:86], v[109:112], off
	buffer_load_dword v69, off, s[20:23], 0 offset:656 ; 4-byte Folded Reload
	buffer_load_dword v70, off, s[20:23], 0 offset:660 ; 4-byte Folded Reload
	s_waitcnt vmcnt(0)
	global_store_dwordx4 v[69:70], v[113:116], off
	buffer_load_dword v69, off, s[20:23], 0 offset:648 ; 4-byte Folded Reload
	s_nop 0
	buffer_load_dword v70, off, s[20:23], 0 offset:652 ; 4-byte Folded Reload
	s_waitcnt vmcnt(0)
	global_store_dwordx4 v[69:70], v[93:96], off
	buffer_load_dword v73, off, s[20:23], 0 offset:536 ; 4-byte Folded Reload
	buffer_load_dword v74, off, s[20:23], 0 offset:540 ; 4-byte Folded Reload
	s_nop 0
	buffer_load_dword v69, off, s[20:23], 0 offset:32 ; 4-byte Folded Reload
	buffer_load_dword v70, off, s[20:23], 0 offset:36 ; 4-byte Folded Reload
	;; [unrolled: 1-line block ×4, first 2 shown]
	s_waitcnt vmcnt(0)
	global_store_dwordx4 v[73:74], v[69:72], off
	buffer_load_dword v65, off, s[20:23], 0 offset:16 ; 4-byte Folded Reload
	buffer_load_dword v66, off, s[20:23], 0 offset:20 ; 4-byte Folded Reload
	buffer_load_dword v67, off, s[20:23], 0 offset:24 ; 4-byte Folded Reload
	buffer_load_dword v68, off, s[20:23], 0 offset:28 ; 4-byte Folded Reload
	s_waitcnt vmcnt(0)
	global_store_dwordx4 v[81:82], v[65:68], off
	buffer_load_dword v61, off, s[20:23], 0 ; 4-byte Folded Reload
	buffer_load_dword v62, off, s[20:23], 0 offset:4 ; 4-byte Folded Reload
	buffer_load_dword v63, off, s[20:23], 0 offset:8 ; 4-byte Folded Reload
	;; [unrolled: 1-line block ×3, first 2 shown]
	s_waitcnt vmcnt(0)
	global_store_dwordx4 v[83:84], v[61:64], off
	buffer_load_dword v61, off, s[20:23], 0 offset:544 ; 4-byte Folded Reload
	s_nop 0
	buffer_load_dword v62, off, s[20:23], 0 offset:548 ; 4-byte Folded Reload
	s_waitcnt vmcnt(0)
	global_store_dwordx4 v[61:62], v[57:60], off
	global_store_dwordx4 v[77:78], v[53:56], off
	;; [unrolled: 1-line block ×4, first 2 shown]
	buffer_load_dword v45, off, s[20:23], 0 offset:552 ; 4-byte Folded Reload
	s_nop 0
	buffer_load_dword v46, off, s[20:23], 0 offset:556 ; 4-byte Folded Reload
	s_waitcnt vmcnt(0)
	global_store_dwordx4 v[45:46], v[41:44], off
	buffer_load_dword v41, off, s[20:23], 0 offset:560 ; 4-byte Folded Reload
	s_nop 0
	buffer_load_dword v42, off, s[20:23], 0 offset:564 ; 4-byte Folded Reload
	s_waitcnt vmcnt(0)
	global_store_dwordx4 v[41:42], v[37:40], off
	buffer_load_dword v37, off, s[20:23], 0 offset:568 ; 4-byte Folded Reload
	s_nop 0
	buffer_load_dword v38, off, s[20:23], 0 offset:572 ; 4-byte Folded Reload
	s_waitcnt vmcnt(0)
	global_store_dwordx4 v[37:38], v[33:36], off
	buffer_load_dword v33, off, s[20:23], 0 offset:576 ; 4-byte Folded Reload
	s_nop 0
	buffer_load_dword v34, off, s[20:23], 0 offset:580 ; 4-byte Folded Reload
	s_waitcnt vmcnt(0)
	global_store_dwordx4 v[33:34], v[29:32], off
	buffer_load_dword v29, off, s[20:23], 0 offset:584 ; 4-byte Folded Reload
	s_nop 0
	buffer_load_dword v30, off, s[20:23], 0 offset:588 ; 4-byte Folded Reload
	s_waitcnt vmcnt(0)
	global_store_dwordx4 v[29:30], v[25:28], off
	buffer_load_dword v25, off, s[20:23], 0 offset:592 ; 4-byte Folded Reload
	s_nop 0
	buffer_load_dword v26, off, s[20:23], 0 offset:596 ; 4-byte Folded Reload
	s_waitcnt vmcnt(0)
	global_store_dwordx4 v[25:26], v[21:24], off
	buffer_load_dword v21, off, s[20:23], 0 offset:600 ; 4-byte Folded Reload
	s_nop 0
	buffer_load_dword v22, off, s[20:23], 0 offset:604 ; 4-byte Folded Reload
	s_waitcnt vmcnt(0)
	global_store_dwordx4 v[21:22], v[17:20], off
	buffer_load_dword v17, off, s[20:23], 0 offset:608 ; 4-byte Folded Reload
	s_nop 0
	buffer_load_dword v18, off, s[20:23], 0 offset:612 ; 4-byte Folded Reload
	s_waitcnt vmcnt(0)
	global_store_dwordx4 v[17:18], v[13:16], off
	buffer_load_dword v13, off, s[20:23], 0 offset:616 ; 4-byte Folded Reload
	s_nop 0
	buffer_load_dword v14, off, s[20:23], 0 offset:620 ; 4-byte Folded Reload
	s_waitcnt vmcnt(0)
	global_store_dwordx4 v[13:14], v[9:12], off
	buffer_load_dword v9, off, s[20:23], 0 offset:624 ; 4-byte Folded Reload
	s_nop 0
	buffer_load_dword v10, off, s[20:23], 0 offset:628 ; 4-byte Folded Reload
	s_waitcnt vmcnt(0)
	global_store_dwordx4 v[9:10], v[5:8], off
	buffer_load_dword v5, off, s[20:23], 0 offset:632 ; 4-byte Folded Reload
	s_nop 0
	buffer_load_dword v6, off, s[20:23], 0 offset:636 ; 4-byte Folded Reload
	s_waitcnt vmcnt(0)
	global_store_dwordx4 v[5:6], v[1:4], off
	buffer_load_dword v0, off, s[20:23], 0 offset:640 ; 4-byte Folded Reload
	s_nop 0
	buffer_load_dword v1, off, s[20:23], 0 offset:644 ; 4-byte Folded Reload
	s_waitcnt vmcnt(0)
	global_store_dwordx4 v[0:1], v[97:100], off
.LBB87_399:
	s_endpgm
	.section	.rodata,"a",@progbits
	.p2align	6, 0x0
	.amdhsa_kernel _ZN9rocsolver6v33100L23getf2_npvt_small_kernelILi44E19rocblas_complex_numIdEiiPS3_EEvT1_T3_lS5_lPT2_S5_S5_
		.amdhsa_group_segment_fixed_size 0
		.amdhsa_private_segment_fixed_size 1340
		.amdhsa_kernarg_size 312
		.amdhsa_user_sgpr_count 6
		.amdhsa_user_sgpr_private_segment_buffer 1
		.amdhsa_user_sgpr_dispatch_ptr 0
		.amdhsa_user_sgpr_queue_ptr 0
		.amdhsa_user_sgpr_kernarg_segment_ptr 1
		.amdhsa_user_sgpr_dispatch_id 0
		.amdhsa_user_sgpr_flat_scratch_init 0
		.amdhsa_user_sgpr_private_segment_size 0
		.amdhsa_uses_dynamic_stack 0
		.amdhsa_system_sgpr_private_segment_wavefront_offset 1
		.amdhsa_system_sgpr_workgroup_id_x 1
		.amdhsa_system_sgpr_workgroup_id_y 1
		.amdhsa_system_sgpr_workgroup_id_z 0
		.amdhsa_system_sgpr_workgroup_info 0
		.amdhsa_system_vgpr_workitem_id 1
		.amdhsa_next_free_vgpr 128
		.amdhsa_next_free_sgpr 24
		.amdhsa_reserve_vcc 1
		.amdhsa_reserve_flat_scratch 0
		.amdhsa_float_round_mode_32 0
		.amdhsa_float_round_mode_16_64 0
		.amdhsa_float_denorm_mode_32 3
		.amdhsa_float_denorm_mode_16_64 3
		.amdhsa_dx10_clamp 1
		.amdhsa_ieee_mode 1
		.amdhsa_fp16_overflow 0
		.amdhsa_exception_fp_ieee_invalid_op 0
		.amdhsa_exception_fp_denorm_src 0
		.amdhsa_exception_fp_ieee_div_zero 0
		.amdhsa_exception_fp_ieee_overflow 0
		.amdhsa_exception_fp_ieee_underflow 0
		.amdhsa_exception_fp_ieee_inexact 0
		.amdhsa_exception_int_div_zero 0
	.end_amdhsa_kernel
	.section	.text._ZN9rocsolver6v33100L23getf2_npvt_small_kernelILi44E19rocblas_complex_numIdEiiPS3_EEvT1_T3_lS5_lPT2_S5_S5_,"axG",@progbits,_ZN9rocsolver6v33100L23getf2_npvt_small_kernelILi44E19rocblas_complex_numIdEiiPS3_EEvT1_T3_lS5_lPT2_S5_S5_,comdat
.Lfunc_end87:
	.size	_ZN9rocsolver6v33100L23getf2_npvt_small_kernelILi44E19rocblas_complex_numIdEiiPS3_EEvT1_T3_lS5_lPT2_S5_S5_, .Lfunc_end87-_ZN9rocsolver6v33100L23getf2_npvt_small_kernelILi44E19rocblas_complex_numIdEiiPS3_EEvT1_T3_lS5_lPT2_S5_S5_
                                        ; -- End function
	.set _ZN9rocsolver6v33100L23getf2_npvt_small_kernelILi44E19rocblas_complex_numIdEiiPS3_EEvT1_T3_lS5_lPT2_S5_S5_.num_vgpr, 128
	.set _ZN9rocsolver6v33100L23getf2_npvt_small_kernelILi44E19rocblas_complex_numIdEiiPS3_EEvT1_T3_lS5_lPT2_S5_S5_.num_agpr, 0
	.set _ZN9rocsolver6v33100L23getf2_npvt_small_kernelILi44E19rocblas_complex_numIdEiiPS3_EEvT1_T3_lS5_lPT2_S5_S5_.numbered_sgpr, 24
	.set _ZN9rocsolver6v33100L23getf2_npvt_small_kernelILi44E19rocblas_complex_numIdEiiPS3_EEvT1_T3_lS5_lPT2_S5_S5_.num_named_barrier, 0
	.set _ZN9rocsolver6v33100L23getf2_npvt_small_kernelILi44E19rocblas_complex_numIdEiiPS3_EEvT1_T3_lS5_lPT2_S5_S5_.private_seg_size, 1340
	.set _ZN9rocsolver6v33100L23getf2_npvt_small_kernelILi44E19rocblas_complex_numIdEiiPS3_EEvT1_T3_lS5_lPT2_S5_S5_.uses_vcc, 1
	.set _ZN9rocsolver6v33100L23getf2_npvt_small_kernelILi44E19rocblas_complex_numIdEiiPS3_EEvT1_T3_lS5_lPT2_S5_S5_.uses_flat_scratch, 0
	.set _ZN9rocsolver6v33100L23getf2_npvt_small_kernelILi44E19rocblas_complex_numIdEiiPS3_EEvT1_T3_lS5_lPT2_S5_S5_.has_dyn_sized_stack, 0
	.set _ZN9rocsolver6v33100L23getf2_npvt_small_kernelILi44E19rocblas_complex_numIdEiiPS3_EEvT1_T3_lS5_lPT2_S5_S5_.has_recursion, 0
	.set _ZN9rocsolver6v33100L23getf2_npvt_small_kernelILi44E19rocblas_complex_numIdEiiPS3_EEvT1_T3_lS5_lPT2_S5_S5_.has_indirect_call, 0
	.section	.AMDGPU.csdata,"",@progbits
; Kernel info:
; codeLenInByte = 135792
; TotalNumSgprs: 28
; NumVgprs: 128
; ScratchSize: 1340
; MemoryBound: 1
; FloatMode: 240
; IeeeMode: 1
; LDSByteSize: 0 bytes/workgroup (compile time only)
; SGPRBlocks: 3
; VGPRBlocks: 31
; NumSGPRsForWavesPerEU: 28
; NumVGPRsForWavesPerEU: 128
; Occupancy: 2
; WaveLimiterHint : 0
; COMPUTE_PGM_RSRC2:SCRATCH_EN: 1
; COMPUTE_PGM_RSRC2:USER_SGPR: 6
; COMPUTE_PGM_RSRC2:TRAP_HANDLER: 0
; COMPUTE_PGM_RSRC2:TGID_X_EN: 1
; COMPUTE_PGM_RSRC2:TGID_Y_EN: 1
; COMPUTE_PGM_RSRC2:TGID_Z_EN: 0
; COMPUTE_PGM_RSRC2:TIDIG_COMP_CNT: 1
	.section	.text._ZN9rocsolver6v33100L18getf2_small_kernelILi45E19rocblas_complex_numIdEiiPS3_EEvT1_T3_lS5_lPS5_llPT2_S5_S5_S7_l,"axG",@progbits,_ZN9rocsolver6v33100L18getf2_small_kernelILi45E19rocblas_complex_numIdEiiPS3_EEvT1_T3_lS5_lPS5_llPT2_S5_S5_S7_l,comdat
	.globl	_ZN9rocsolver6v33100L18getf2_small_kernelILi45E19rocblas_complex_numIdEiiPS3_EEvT1_T3_lS5_lPS5_llPT2_S5_S5_S7_l ; -- Begin function _ZN9rocsolver6v33100L18getf2_small_kernelILi45E19rocblas_complex_numIdEiiPS3_EEvT1_T3_lS5_lPS5_llPT2_S5_S5_S7_l
	.p2align	8
	.type	_ZN9rocsolver6v33100L18getf2_small_kernelILi45E19rocblas_complex_numIdEiiPS3_EEvT1_T3_lS5_lPS5_llPT2_S5_S5_S7_l,@function
_ZN9rocsolver6v33100L18getf2_small_kernelILi45E19rocblas_complex_numIdEiiPS3_EEvT1_T3_lS5_lPS5_llPT2_S5_S5_S7_l: ; @_ZN9rocsolver6v33100L18getf2_small_kernelILi45E19rocblas_complex_numIdEiiPS3_EEvT1_T3_lS5_lPS5_llPT2_S5_S5_S7_l
; %bb.0:
	s_mov_b64 s[26:27], s[2:3]
	s_mov_b64 s[24:25], s[0:1]
	s_load_dword s0, s[4:5], 0x6c
	s_load_dwordx2 s[16:17], s[4:5], 0x48
	s_add_u32 s24, s24, s8
	s_addc_u32 s25, s25, 0
	s_waitcnt lgkmcnt(0)
	s_lshr_b32 s0, s0, 16
	s_mul_i32 s7, s7, s0
	v_add_u32_e32 v6, s7, v1
	v_cmp_gt_i32_e32 vcc, s16, v6
	s_and_saveexec_b64 s[0:1], vcc
	s_cbranch_execnz .LBB88_1
; %bb.947:
	s_getpc_b64 s[28:29]
.Lpost_getpc2:
	s_add_u32 s28, s28, (.LBB88_946-.Lpost_getpc2)&4294967295
	s_addc_u32 s29, s29, (.LBB88_946-.Lpost_getpc2)>>32
	s_setpc_b64 s[28:29]
.LBB88_1:
	s_load_dwordx4 s[0:3], s[4:5], 0x50
	v_mov_b32_e32 v2, 0
	v_ashrrev_i32_e32 v7, 31, v6
	v_mov_b32_e32 v3, 0
	buffer_store_dword v2, off, s[24:27], 0 offset:288 ; 4-byte Folded Spill
	s_nop 0
	buffer_store_dword v3, off, s[24:27], 0 offset:292 ; 4-byte Folded Spill
	s_waitcnt lgkmcnt(0)
	s_cmp_eq_u64 s[0:1], 0
	s_cselect_b64 s[6:7], -1, 0
	s_and_b64 vcc, exec, s[6:7]
	s_cbranch_vccnz .LBB88_3
; %bb.2:
	v_mul_lo_u32 v4, s3, v6
	v_mul_lo_u32 v5, s2, v7
	v_mad_u64_u32 v[2:3], s[2:3], s2, v6, 0
	v_add3_u32 v3, v3, v5, v4
	v_lshlrev_b64 v[2:3], 2, v[2:3]
	v_mov_b32_e32 v4, s1
	v_add_co_u32_e32 v2, vcc, s0, v2
	v_addc_co_u32_e32 v3, vcc, v4, v3, vcc
	buffer_store_dword v2, off, s[24:27], 0 offset:288 ; 4-byte Folded Spill
	s_nop 0
	buffer_store_dword v3, off, s[24:27], 0 offset:292 ; 4-byte Folded Spill
.LBB88_3:
	s_load_dwordx8 s[8:15], s[4:5], 0x20
	s_load_dwordx4 s[20:23], s[4:5], 0x8
	s_load_dword s2, s[4:5], 0x18
	v_lshlrev_b32_e32 v62, 4, v0
	s_waitcnt lgkmcnt(0)
	v_mul_lo_u32 v4, s9, v6
	v_mul_lo_u32 v5, s8, v7
	buffer_store_dword v6, off, s[24:27], 0 offset:344 ; 4-byte Folded Spill
	s_nop 0
	buffer_store_dword v7, off, s[24:27], 0 offset:348 ; 4-byte Folded Spill
	s_add_i32 s16, s2, s2
	s_ashr_i32 s3, s2, 31
	v_mad_u64_u32 v[2:3], s[0:1], s8, v6, 0
	v_mov_b32_e32 v6, s21
	s_lshl_b64 s[0:1], s[22:23], 4
	v_add3_u32 v3, v3, v5, v4
	v_lshlrev_b64 v[2:3], 4, v[2:3]
	v_mov_b32_e32 v4, s1
	v_add_co_u32_e32 v2, vcc, s20, v2
	v_addc_co_u32_e32 v3, vcc, v6, v3, vcc
	v_add_co_u32_e32 v127, vcc, s0, v2
	v_addc_co_u32_e32 v93, vcc, v3, v4, vcc
	v_add_u32_e32 v4, s16, v0
	v_ashrrev_i32_e32 v5, 31, v4
	v_lshlrev_b64 v[2:3], 4, v[4:5]
	v_add_u32_e32 v6, s2, v4
	v_ashrrev_i32_e32 v7, 31, v6
	v_add_co_u32_e32 v2, vcc, v127, v2
	v_lshlrev_b64 v[4:5], 4, v[6:7]
	v_add_u32_e32 v8, s2, v6
	v_addc_co_u32_e32 v3, vcc, v93, v3, vcc
	v_ashrrev_i32_e32 v9, 31, v8
	v_add_co_u32_e32 v4, vcc, v127, v4
	v_lshlrev_b64 v[6:7], 4, v[8:9]
	v_add_u32_e32 v10, s2, v8
	v_addc_co_u32_e32 v5, vcc, v93, v5, vcc
	;; [unrolled: 5-line block ×27, first 2 shown]
	v_ashrrev_i32_e32 v59, 31, v58
	v_add_co_u32_e32 v56, vcc, v127, v56
	v_lshlrev_b64 v[59:60], 4, v[58:59]
	v_addc_co_u32_e32 v57, vcc, v93, v57, vcc
	v_add_u32_e32 v58, s2, v58
	v_add_co_u32_e32 v117, vcc, v127, v59
	v_ashrrev_i32_e32 v59, 31, v58
	v_addc_co_u32_e32 v118, vcc, v93, v60, vcc
	v_lshlrev_b64 v[59:60], 4, v[58:59]
	v_add_u32_e32 v58, s2, v58
	v_add_co_u32_e32 v119, vcc, v127, v59
	v_ashrrev_i32_e32 v59, 31, v58
	v_addc_co_u32_e32 v120, vcc, v93, v60, vcc
	v_lshlrev_b64 v[59:60], 4, v[58:59]
	;; [unrolled: 5-line block ×12, first 2 shown]
	v_add_u32_e32 v58, s2, v58
	v_add_co_u32_e32 v103, vcc, v127, v59
	v_ashrrev_i32_e32 v59, 31, v58
	s_lshl_b64 s[8:9], s[2:3], 4
	s_load_dword s3, s[4:5], 0x0
	v_addc_co_u32_e32 v104, vcc, v93, v60, vcc
	v_lshlrev_b64 v[59:60], 4, v[58:59]
	v_add_u32_e32 v58, s2, v58
	v_add_co_u32_e32 v97, vcc, v127, v59
	v_ashrrev_i32_e32 v59, 31, v58
	v_lshlrev_b64 v[58:59], 4, v[58:59]
	v_addc_co_u32_e32 v98, vcc, v93, v60, vcc
	s_waitcnt lgkmcnt(0)
	s_max_i32 s0, s3, 45
	v_add_co_u32_e32 v99, vcc, v127, v58
	v_mul_lo_u32 v95, s0, v1
	v_addc_co_u32_e32 v100, vcc, v93, v59, vcc
	v_add_co_u32_e32 v60, vcc, v127, v62
	v_addc_co_u32_e32 v61, vcc, 0, v93, vcc
	v_mov_b32_e32 v59, s9
	v_add_co_u32_e32 v58, vcc, s8, v60
	v_lshl_add_u32 v94, v95, 4, 0
	v_addc_co_u32_e32 v59, vcc, v61, v59, vcc
	v_add_u32_e32 v1, v94, v62
	global_load_dwordx4 v[60:63], v[60:61], off
	s_nop 0
	global_load_dwordx4 v[64:67], v[58:59], off
	s_waitcnt vmcnt(0)
	buffer_store_dword v64, off, s[24:27], 0 offset:312 ; 4-byte Folded Spill
	s_nop 0
	buffer_store_dword v65, off, s[24:27], 0 offset:316 ; 4-byte Folded Spill
	buffer_store_dword v66, off, s[24:27], 0 offset:320 ; 4-byte Folded Spill
	;; [unrolled: 1-line block ×4, first 2 shown]
	s_nop 0
	buffer_store_dword v61, off, s[24:27], 0 offset:332 ; 4-byte Folded Spill
	buffer_store_dword v62, off, s[24:27], 0 offset:336 ; 4-byte Folded Spill
	;; [unrolled: 1-line block ×3, first 2 shown]
	s_load_dwordx2 s[4:5], s[4:5], 0x40
	s_cmp_lt_i32 s3, 2
	ds_write2_b64 v1, v[60:61], v[62:63] offset1:1
	global_load_dwordx4 v[58:61], v[2:3], off
	s_waitcnt vmcnt(0)
	buffer_store_dword v58, off, s[24:27], 0 offset:296 ; 4-byte Folded Spill
	s_nop 0
	buffer_store_dword v59, off, s[24:27], 0 offset:300 ; 4-byte Folded Spill
	buffer_store_dword v60, off, s[24:27], 0 offset:304 ; 4-byte Folded Spill
	buffer_store_dword v61, off, s[24:27], 0 offset:308 ; 4-byte Folded Spill
	global_load_dwordx4 v[1:4], v[4:5], off
	s_waitcnt vmcnt(0)
	buffer_store_dword v1, off, s[24:27], 0 offset:272 ; 4-byte Folded Spill
	s_nop 0
	buffer_store_dword v2, off, s[24:27], 0 offset:276 ; 4-byte Folded Spill
	buffer_store_dword v3, off, s[24:27], 0 offset:280 ; 4-byte Folded Spill
	buffer_store_dword v4, off, s[24:27], 0 offset:284 ; 4-byte Folded Spill
	;; [unrolled: 7-line block ×18, first 2 shown]
	global_load_dwordx4 v[1:4], v[38:39], off
	s_waitcnt vmcnt(0)
	buffer_store_dword v1, off, s[24:27], 0 ; 4-byte Folded Spill
	s_nop 0
	buffer_store_dword v2, off, s[24:27], 0 offset:4 ; 4-byte Folded Spill
	buffer_store_dword v3, off, s[24:27], 0 offset:8 ; 4-byte Folded Spill
	;; [unrolled: 1-line block ×3, first 2 shown]
	global_load_dwordx4 v[111:114], v[40:41], off
	global_load_dwordx4 v[89:92], v[42:43], off
	;; [unrolled: 1-line block ×8, first 2 shown]
	s_nop 0
	global_load_dwordx4 v[57:60], v[56:57], off
	s_nop 0
	global_load_dwordx4 v[53:56], v[117:118], off
	global_load_dwordx4 v[49:52], v[119:120], off
	;; [unrolled: 1-line block ×15, first 2 shown]
	s_waitcnt vmcnt(0) lgkmcnt(0)
	s_barrier
	ds_read2_b64 v[117:120], v94 offset1:1
	v_lshlrev_b32_e32 v101, 4, v95
	v_mov_b32_e32 v97, 0
	s_cbranch_scc1 .LBB88_6
; %bb.4:
	v_add3_u32 v95, v101, 0, 16
	s_mov_b32 s0, 1
	v_mov_b32_e32 v97, 0
.LBB88_5:                               ; =>This Inner Loop Header: Depth=1
	s_waitcnt lgkmcnt(0)
	v_cmp_gt_f64_e32 vcc, 0, v[117:118]
	v_xor_b32_e32 v96, 0x80000000, v118
	ds_read2_b64 v[102:105], v95 offset1:1
	v_mov_b32_e32 v98, v117
	v_mov_b32_e32 v106, v119
	v_add_u32_e32 v95, 16, v95
	s_waitcnt lgkmcnt(0)
	v_mov_b32_e32 v108, v104
	v_cndmask_b32_e32 v99, v118, v96, vcc
	v_cmp_gt_f64_e32 vcc, 0, v[119:120]
	v_xor_b32_e32 v96, 0x80000000, v120
	v_cndmask_b32_e32 v107, v120, v96, vcc
	v_cmp_gt_f64_e32 vcc, 0, v[102:103]
	v_xor_b32_e32 v96, 0x80000000, v103
	v_add_f64 v[98:99], v[98:99], v[106:107]
	v_mov_b32_e32 v106, v102
	v_cndmask_b32_e32 v107, v103, v96, vcc
	v_cmp_gt_f64_e32 vcc, 0, v[104:105]
	v_xor_b32_e32 v96, 0x80000000, v105
	v_cndmask_b32_e32 v109, v105, v96, vcc
	v_add_f64 v[106:107], v[106:107], v[108:109]
	v_mov_b32_e32 v96, s0
	s_add_i32 s0, s0, 1
	s_cmp_eq_u32 s3, s0
	v_cmp_lt_f64_e32 vcc, v[98:99], v[106:107]
	v_cndmask_b32_e32 v118, v118, v103, vcc
	v_cndmask_b32_e32 v117, v117, v102, vcc
	;; [unrolled: 1-line block ×5, first 2 shown]
	s_cbranch_scc0 .LBB88_5
.LBB88_6:
	buffer_load_dword v115, off, s[24:27], 0 offset:344 ; 4-byte Folded Reload
	buffer_load_dword v116, off, s[24:27], 0 offset:348 ; 4-byte Folded Reload
	s_waitcnt lgkmcnt(0)
	v_cmp_neq_f64_e32 vcc, 0, v[117:118]
	v_cmp_neq_f64_e64 s[0:1], 0, v[119:120]
	v_mov_b32_e32 v95, 1
	v_mov_b32_e32 v102, 1
	s_or_b64 s[18:19], vcc, s[0:1]
	s_and_saveexec_b64 s[0:1], s[18:19]
	s_cbranch_execz .LBB88_12
; %bb.7:
	v_cmp_ngt_f64_e64 s[18:19], |v[117:118]|, |v[119:120]|
	s_and_saveexec_b64 s[20:21], s[18:19]
	s_xor_b64 s[18:19], exec, s[20:21]
	s_cbranch_execz .LBB88_9
; %bb.8:
	v_div_scale_f64 v[95:96], s[20:21], v[119:120], v[119:120], v[117:118]
	v_rcp_f64_e32 v[98:99], v[95:96]
	v_fma_f64 v[102:103], -v[95:96], v[98:99], 1.0
	v_fma_f64 v[98:99], v[98:99], v[102:103], v[98:99]
	v_div_scale_f64 v[102:103], vcc, v[117:118], v[119:120], v[117:118]
	v_fma_f64 v[104:105], -v[95:96], v[98:99], 1.0
	v_fma_f64 v[98:99], v[98:99], v[104:105], v[98:99]
	v_mul_f64 v[104:105], v[102:103], v[98:99]
	v_fma_f64 v[95:96], -v[95:96], v[104:105], v[102:103]
	v_div_fmas_f64 v[95:96], v[95:96], v[98:99], v[104:105]
	v_div_fixup_f64 v[95:96], v[95:96], v[119:120], v[117:118]
	v_fma_f64 v[98:99], v[117:118], v[95:96], v[119:120]
	v_div_scale_f64 v[102:103], s[20:21], v[98:99], v[98:99], 1.0
	v_div_scale_f64 v[108:109], vcc, 1.0, v[98:99], 1.0
	v_rcp_f64_e32 v[104:105], v[102:103]
	v_fma_f64 v[106:107], -v[102:103], v[104:105], 1.0
	v_fma_f64 v[104:105], v[104:105], v[106:107], v[104:105]
	v_fma_f64 v[106:107], -v[102:103], v[104:105], 1.0
	v_fma_f64 v[104:105], v[104:105], v[106:107], v[104:105]
	v_mul_f64 v[106:107], v[108:109], v[104:105]
	v_fma_f64 v[102:103], -v[102:103], v[106:107], v[108:109]
	v_div_fmas_f64 v[102:103], v[102:103], v[104:105], v[106:107]
	v_div_fixup_f64 v[119:120], v[102:103], v[98:99], 1.0
	v_mul_f64 v[117:118], v[95:96], v[119:120]
	v_xor_b32_e32 v120, 0x80000000, v120
.LBB88_9:
	s_andn2_saveexec_b64 s[18:19], s[18:19]
	s_cbranch_execz .LBB88_11
; %bb.10:
	v_div_scale_f64 v[95:96], s[20:21], v[117:118], v[117:118], v[119:120]
	v_rcp_f64_e32 v[98:99], v[95:96]
	v_fma_f64 v[102:103], -v[95:96], v[98:99], 1.0
	v_fma_f64 v[98:99], v[98:99], v[102:103], v[98:99]
	v_div_scale_f64 v[102:103], vcc, v[119:120], v[117:118], v[119:120]
	v_fma_f64 v[104:105], -v[95:96], v[98:99], 1.0
	v_fma_f64 v[98:99], v[98:99], v[104:105], v[98:99]
	v_mul_f64 v[104:105], v[102:103], v[98:99]
	v_fma_f64 v[95:96], -v[95:96], v[104:105], v[102:103]
	v_div_fmas_f64 v[95:96], v[95:96], v[98:99], v[104:105]
	v_div_fixup_f64 v[95:96], v[95:96], v[117:118], v[119:120]
	v_fma_f64 v[98:99], v[119:120], v[95:96], v[117:118]
	v_div_scale_f64 v[102:103], s[20:21], v[98:99], v[98:99], 1.0
	v_div_scale_f64 v[108:109], vcc, 1.0, v[98:99], 1.0
	v_rcp_f64_e32 v[104:105], v[102:103]
	v_fma_f64 v[106:107], -v[102:103], v[104:105], 1.0
	v_fma_f64 v[104:105], v[104:105], v[106:107], v[104:105]
	v_fma_f64 v[106:107], -v[102:103], v[104:105], 1.0
	v_fma_f64 v[104:105], v[104:105], v[106:107], v[104:105]
	v_mul_f64 v[106:107], v[108:109], v[104:105]
	v_fma_f64 v[102:103], -v[102:103], v[106:107], v[108:109]
	v_div_fmas_f64 v[102:103], v[102:103], v[104:105], v[106:107]
	v_div_fixup_f64 v[117:118], v[102:103], v[98:99], 1.0
	v_mul_f64 v[119:120], v[95:96], -v[117:118]
.LBB88_11:
	s_or_b64 exec, exec, s[18:19]
	v_mov_b32_e32 v102, 0
	v_mov_b32_e32 v95, 2
.LBB88_12:
	s_or_b64 exec, exec, s[0:1]
	v_cmp_ne_u32_e32 vcc, v0, v97
	s_and_saveexec_b64 s[0:1], vcc
	s_xor_b64 s[0:1], exec, s[0:1]
	s_cbranch_execz .LBB88_18
; %bb.13:
	v_cmp_eq_u32_e32 vcc, 0, v0
	s_and_saveexec_b64 s[18:19], vcc
	s_cbranch_execz .LBB88_17
; %bb.14:
	v_cmp_ne_u32_e32 vcc, 0, v97
	s_xor_b64 s[20:21], s[6:7], -1
	s_and_b64 s[22:23], s[20:21], vcc
	s_and_saveexec_b64 s[20:21], s[22:23]
	s_cbranch_execz .LBB88_16
; %bb.15:
	buffer_load_dword v85, off, s[24:27], 0 offset:288 ; 4-byte Folded Reload
	buffer_load_dword v86, off, s[24:27], 0 offset:292 ; 4-byte Folded Reload
	v_ashrrev_i32_e32 v98, 31, v97
	v_lshlrev_b64 v[98:99], 2, v[97:98]
	s_waitcnt vmcnt(1)
	v_add_co_u32_e32 v98, vcc, v85, v98
	s_waitcnt vmcnt(0)
	v_addc_co_u32_e32 v99, vcc, v86, v99, vcc
	global_load_dword v0, v[98:99], off
	global_load_dword v96, v[85:86], off
	s_waitcnt vmcnt(1)
	global_store_dword v[85:86], v0, off
	s_waitcnt vmcnt(1)
	global_store_dword v[98:99], v96, off
.LBB88_16:
	s_or_b64 exec, exec, s[20:21]
	v_mov_b32_e32 v0, v97
.LBB88_17:
	s_or_b64 exec, exec, s[18:19]
.LBB88_18:
	s_or_saveexec_b64 s[0:1], s[0:1]
	v_mov_b32_e32 v96, v0
	s_xor_b64 exec, exec, s[0:1]
	s_cbranch_execz .LBB88_20
; %bb.19:
	buffer_load_dword v85, off, s[24:27], 0 offset:312 ; 4-byte Folded Reload
	buffer_load_dword v86, off, s[24:27], 0 offset:316 ; 4-byte Folded Reload
	;; [unrolled: 1-line block ×4, first 2 shown]
	v_mov_b32_e32 v96, 0
	s_waitcnt vmcnt(0)
	ds_write2_b64 v94, v[85:86], v[87:88] offset0:2 offset1:3
	buffer_load_dword v85, off, s[24:27], 0 offset:296 ; 4-byte Folded Reload
	buffer_load_dword v86, off, s[24:27], 0 offset:300 ; 4-byte Folded Reload
	buffer_load_dword v87, off, s[24:27], 0 offset:304 ; 4-byte Folded Reload
	buffer_load_dword v88, off, s[24:27], 0 offset:308 ; 4-byte Folded Reload
	s_waitcnt vmcnt(0)
	ds_write2_b64 v94, v[85:86], v[87:88] offset0:4 offset1:5
	buffer_load_dword v85, off, s[24:27], 0 offset:272 ; 4-byte Folded Reload
	buffer_load_dword v86, off, s[24:27], 0 offset:276 ; 4-byte Folded Reload
	buffer_load_dword v87, off, s[24:27], 0 offset:280 ; 4-byte Folded Reload
	buffer_load_dword v88, off, s[24:27], 0 offset:284 ; 4-byte Folded Reload
	s_waitcnt vmcnt(0)
	ds_write2_b64 v94, v[85:86], v[87:88] offset0:6 offset1:7
	buffer_load_dword v85, off, s[24:27], 0 offset:256 ; 4-byte Folded Reload
	buffer_load_dword v86, off, s[24:27], 0 offset:260 ; 4-byte Folded Reload
	buffer_load_dword v87, off, s[24:27], 0 offset:264 ; 4-byte Folded Reload
	buffer_load_dword v88, off, s[24:27], 0 offset:268 ; 4-byte Folded Reload
	s_waitcnt vmcnt(0)
	ds_write2_b64 v94, v[85:86], v[87:88] offset0:8 offset1:9
	buffer_load_dword v85, off, s[24:27], 0 offset:240 ; 4-byte Folded Reload
	buffer_load_dword v86, off, s[24:27], 0 offset:244 ; 4-byte Folded Reload
	buffer_load_dword v87, off, s[24:27], 0 offset:248 ; 4-byte Folded Reload
	buffer_load_dword v88, off, s[24:27], 0 offset:252 ; 4-byte Folded Reload
	s_waitcnt vmcnt(0)
	ds_write2_b64 v94, v[85:86], v[87:88] offset0:10 offset1:11
	buffer_load_dword v85, off, s[24:27], 0 offset:224 ; 4-byte Folded Reload
	buffer_load_dword v86, off, s[24:27], 0 offset:228 ; 4-byte Folded Reload
	buffer_load_dword v87, off, s[24:27], 0 offset:232 ; 4-byte Folded Reload
	buffer_load_dword v88, off, s[24:27], 0 offset:236 ; 4-byte Folded Reload
	s_waitcnt vmcnt(0)
	ds_write2_b64 v94, v[85:86], v[87:88] offset0:12 offset1:13
	buffer_load_dword v85, off, s[24:27], 0 offset:208 ; 4-byte Folded Reload
	buffer_load_dword v86, off, s[24:27], 0 offset:212 ; 4-byte Folded Reload
	buffer_load_dword v87, off, s[24:27], 0 offset:216 ; 4-byte Folded Reload
	buffer_load_dword v88, off, s[24:27], 0 offset:220 ; 4-byte Folded Reload
	s_waitcnt vmcnt(0)
	ds_write2_b64 v94, v[85:86], v[87:88] offset0:14 offset1:15
	buffer_load_dword v85, off, s[24:27], 0 offset:192 ; 4-byte Folded Reload
	buffer_load_dword v86, off, s[24:27], 0 offset:196 ; 4-byte Folded Reload
	buffer_load_dword v87, off, s[24:27], 0 offset:200 ; 4-byte Folded Reload
	buffer_load_dword v88, off, s[24:27], 0 offset:204 ; 4-byte Folded Reload
	s_waitcnt vmcnt(0)
	ds_write2_b64 v94, v[85:86], v[87:88] offset0:16 offset1:17
	buffer_load_dword v85, off, s[24:27], 0 offset:176 ; 4-byte Folded Reload
	buffer_load_dword v86, off, s[24:27], 0 offset:180 ; 4-byte Folded Reload
	buffer_load_dword v87, off, s[24:27], 0 offset:184 ; 4-byte Folded Reload
	buffer_load_dword v88, off, s[24:27], 0 offset:188 ; 4-byte Folded Reload
	s_waitcnt vmcnt(0)
	ds_write2_b64 v94, v[85:86], v[87:88] offset0:18 offset1:19
	buffer_load_dword v85, off, s[24:27], 0 offset:160 ; 4-byte Folded Reload
	buffer_load_dword v86, off, s[24:27], 0 offset:164 ; 4-byte Folded Reload
	buffer_load_dword v87, off, s[24:27], 0 offset:168 ; 4-byte Folded Reload
	buffer_load_dword v88, off, s[24:27], 0 offset:172 ; 4-byte Folded Reload
	s_waitcnt vmcnt(0)
	ds_write2_b64 v94, v[85:86], v[87:88] offset0:20 offset1:21
	buffer_load_dword v85, off, s[24:27], 0 offset:144 ; 4-byte Folded Reload
	buffer_load_dword v86, off, s[24:27], 0 offset:148 ; 4-byte Folded Reload
	buffer_load_dword v87, off, s[24:27], 0 offset:152 ; 4-byte Folded Reload
	buffer_load_dword v88, off, s[24:27], 0 offset:156 ; 4-byte Folded Reload
	s_waitcnt vmcnt(0)
	ds_write2_b64 v94, v[85:86], v[87:88] offset0:22 offset1:23
	buffer_load_dword v85, off, s[24:27], 0 offset:128 ; 4-byte Folded Reload
	buffer_load_dword v86, off, s[24:27], 0 offset:132 ; 4-byte Folded Reload
	buffer_load_dword v87, off, s[24:27], 0 offset:136 ; 4-byte Folded Reload
	buffer_load_dword v88, off, s[24:27], 0 offset:140 ; 4-byte Folded Reload
	s_waitcnt vmcnt(0)
	ds_write2_b64 v94, v[85:86], v[87:88] offset0:24 offset1:25
	buffer_load_dword v85, off, s[24:27], 0 offset:112 ; 4-byte Folded Reload
	buffer_load_dword v86, off, s[24:27], 0 offset:116 ; 4-byte Folded Reload
	buffer_load_dword v87, off, s[24:27], 0 offset:120 ; 4-byte Folded Reload
	buffer_load_dword v88, off, s[24:27], 0 offset:124 ; 4-byte Folded Reload
	s_waitcnt vmcnt(0)
	ds_write2_b64 v94, v[85:86], v[87:88] offset0:26 offset1:27
	buffer_load_dword v85, off, s[24:27], 0 offset:96 ; 4-byte Folded Reload
	buffer_load_dword v86, off, s[24:27], 0 offset:100 ; 4-byte Folded Reload
	buffer_load_dword v87, off, s[24:27], 0 offset:104 ; 4-byte Folded Reload
	buffer_load_dword v88, off, s[24:27], 0 offset:108 ; 4-byte Folded Reload
	s_waitcnt vmcnt(0)
	ds_write2_b64 v94, v[85:86], v[87:88] offset0:28 offset1:29
	buffer_load_dword v85, off, s[24:27], 0 offset:80 ; 4-byte Folded Reload
	buffer_load_dword v86, off, s[24:27], 0 offset:84 ; 4-byte Folded Reload
	buffer_load_dword v87, off, s[24:27], 0 offset:88 ; 4-byte Folded Reload
	buffer_load_dword v88, off, s[24:27], 0 offset:92 ; 4-byte Folded Reload
	s_waitcnt vmcnt(0)
	ds_write2_b64 v94, v[85:86], v[87:88] offset0:30 offset1:31
	buffer_load_dword v85, off, s[24:27], 0 offset:64 ; 4-byte Folded Reload
	buffer_load_dword v86, off, s[24:27], 0 offset:68 ; 4-byte Folded Reload
	buffer_load_dword v87, off, s[24:27], 0 offset:72 ; 4-byte Folded Reload
	buffer_load_dword v88, off, s[24:27], 0 offset:76 ; 4-byte Folded Reload
	s_waitcnt vmcnt(0)
	ds_write2_b64 v94, v[85:86], v[87:88] offset0:32 offset1:33
	buffer_load_dword v85, off, s[24:27], 0 offset:48 ; 4-byte Folded Reload
	buffer_load_dword v86, off, s[24:27], 0 offset:52 ; 4-byte Folded Reload
	buffer_load_dword v87, off, s[24:27], 0 offset:56 ; 4-byte Folded Reload
	buffer_load_dword v88, off, s[24:27], 0 offset:60 ; 4-byte Folded Reload
	s_waitcnt vmcnt(0)
	ds_write2_b64 v94, v[85:86], v[87:88] offset0:34 offset1:35
	buffer_load_dword v85, off, s[24:27], 0 offset:32 ; 4-byte Folded Reload
	buffer_load_dword v86, off, s[24:27], 0 offset:36 ; 4-byte Folded Reload
	buffer_load_dword v87, off, s[24:27], 0 offset:40 ; 4-byte Folded Reload
	buffer_load_dword v88, off, s[24:27], 0 offset:44 ; 4-byte Folded Reload
	s_waitcnt vmcnt(0)
	ds_write2_b64 v94, v[85:86], v[87:88] offset0:36 offset1:37
	buffer_load_dword v85, off, s[24:27], 0 offset:16 ; 4-byte Folded Reload
	buffer_load_dword v86, off, s[24:27], 0 offset:20 ; 4-byte Folded Reload
	buffer_load_dword v87, off, s[24:27], 0 offset:24 ; 4-byte Folded Reload
	buffer_load_dword v88, off, s[24:27], 0 offset:28 ; 4-byte Folded Reload
	s_waitcnt vmcnt(0)
	ds_write2_b64 v94, v[85:86], v[87:88] offset0:38 offset1:39
	buffer_load_dword v85, off, s[24:27], 0 ; 4-byte Folded Reload
	buffer_load_dword v86, off, s[24:27], 0 offset:4 ; 4-byte Folded Reload
	buffer_load_dword v87, off, s[24:27], 0 offset:8 ; 4-byte Folded Reload
	;; [unrolled: 1-line block ×3, first 2 shown]
	s_waitcnt vmcnt(0)
	ds_write2_b64 v94, v[85:86], v[87:88] offset0:40 offset1:41
	ds_write2_b64 v94, v[111:112], v[113:114] offset0:42 offset1:43
	;; [unrolled: 1-line block ×25, first 2 shown]
.LBB88_20:
	s_or_b64 exec, exec, s[0:1]
	v_cmp_lt_i32_e32 vcc, 0, v96
	s_waitcnt vmcnt(0) lgkmcnt(0)
	s_barrier
	s_and_saveexec_b64 s[0:1], vcc
	s_cbranch_execz .LBB88_22
; %bb.21:
	buffer_load_dword v105, off, s[24:27], 0 offset:328 ; 4-byte Folded Reload
	buffer_load_dword v106, off, s[24:27], 0 offset:332 ; 4-byte Folded Reload
	;; [unrolled: 1-line block ×4, first 2 shown]
	s_waitcnt vmcnt(0)
	v_mul_f64 v[97:98], v[119:120], v[107:108]
	v_fma_f64 v[125:126], v[117:118], v[105:106], -v[97:98]
	v_mul_f64 v[97:98], v[117:118], v[107:108]
	v_fma_f64 v[107:108], v[119:120], v[105:106], v[97:98]
	ds_read2_b64 v[97:100], v94 offset0:2 offset1:3
	buffer_load_dword v85, off, s[24:27], 0 offset:312 ; 4-byte Folded Reload
	buffer_load_dword v86, off, s[24:27], 0 offset:316 ; 4-byte Folded Reload
	buffer_load_dword v87, off, s[24:27], 0 offset:320 ; 4-byte Folded Reload
	buffer_load_dword v88, off, s[24:27], 0 offset:324 ; 4-byte Folded Reload
	s_waitcnt lgkmcnt(0)
	v_mul_f64 v[103:104], v[99:100], v[107:108]
	v_fma_f64 v[103:104], v[97:98], v[125:126], -v[103:104]
	v_mul_f64 v[97:98], v[97:98], v[107:108]
	v_fma_f64 v[97:98], v[99:100], v[125:126], v[97:98]
	s_waitcnt vmcnt(2)
	v_add_f64 v[85:86], v[85:86], -v[103:104]
	s_waitcnt vmcnt(0)
	v_add_f64 v[87:88], v[87:88], -v[97:98]
	buffer_store_dword v85, off, s[24:27], 0 offset:312 ; 4-byte Folded Spill
	s_nop 0
	buffer_store_dword v86, off, s[24:27], 0 offset:316 ; 4-byte Folded Spill
	buffer_store_dword v87, off, s[24:27], 0 offset:320 ; 4-byte Folded Spill
	buffer_store_dword v88, off, s[24:27], 0 offset:324 ; 4-byte Folded Spill
	ds_read2_b64 v[97:100], v94 offset0:4 offset1:5
	buffer_load_dword v85, off, s[24:27], 0 offset:296 ; 4-byte Folded Reload
	buffer_load_dword v86, off, s[24:27], 0 offset:300 ; 4-byte Folded Reload
	buffer_load_dword v87, off, s[24:27], 0 offset:304 ; 4-byte Folded Reload
	buffer_load_dword v88, off, s[24:27], 0 offset:308 ; 4-byte Folded Reload
	s_waitcnt lgkmcnt(0)
	v_mul_f64 v[103:104], v[99:100], v[107:108]
	v_fma_f64 v[103:104], v[97:98], v[125:126], -v[103:104]
	v_mul_f64 v[97:98], v[97:98], v[107:108]
	v_fma_f64 v[97:98], v[99:100], v[125:126], v[97:98]
	s_waitcnt vmcnt(2)
	v_add_f64 v[85:86], v[85:86], -v[103:104]
	s_waitcnt vmcnt(0)
	v_add_f64 v[87:88], v[87:88], -v[97:98]
	buffer_store_dword v85, off, s[24:27], 0 offset:296 ; 4-byte Folded Spill
	s_nop 0
	buffer_store_dword v86, off, s[24:27], 0 offset:300 ; 4-byte Folded Spill
	buffer_store_dword v87, off, s[24:27], 0 offset:304 ; 4-byte Folded Spill
	buffer_store_dword v88, off, s[24:27], 0 offset:308 ; 4-byte Folded Spill
	ds_read2_b64 v[97:100], v94 offset0:6 offset1:7
	buffer_load_dword v85, off, s[24:27], 0 offset:272 ; 4-byte Folded Reload
	buffer_load_dword v86, off, s[24:27], 0 offset:276 ; 4-byte Folded Reload
	buffer_load_dword v87, off, s[24:27], 0 offset:280 ; 4-byte Folded Reload
	buffer_load_dword v88, off, s[24:27], 0 offset:284 ; 4-byte Folded Reload
	s_waitcnt lgkmcnt(0)
	v_mul_f64 v[103:104], v[99:100], v[107:108]
	v_fma_f64 v[103:104], v[97:98], v[125:126], -v[103:104]
	v_mul_f64 v[97:98], v[97:98], v[107:108]
	v_fma_f64 v[97:98], v[99:100], v[125:126], v[97:98]
	s_waitcnt vmcnt(2)
	v_add_f64 v[85:86], v[85:86], -v[103:104]
	s_waitcnt vmcnt(0)
	v_add_f64 v[87:88], v[87:88], -v[97:98]
	buffer_store_dword v85, off, s[24:27], 0 offset:272 ; 4-byte Folded Spill
	s_nop 0
	buffer_store_dword v86, off, s[24:27], 0 offset:276 ; 4-byte Folded Spill
	buffer_store_dword v87, off, s[24:27], 0 offset:280 ; 4-byte Folded Spill
	buffer_store_dword v88, off, s[24:27], 0 offset:284 ; 4-byte Folded Spill
	ds_read2_b64 v[97:100], v94 offset0:8 offset1:9
	buffer_load_dword v85, off, s[24:27], 0 offset:256 ; 4-byte Folded Reload
	buffer_load_dword v86, off, s[24:27], 0 offset:260 ; 4-byte Folded Reload
	buffer_load_dword v87, off, s[24:27], 0 offset:264 ; 4-byte Folded Reload
	buffer_load_dword v88, off, s[24:27], 0 offset:268 ; 4-byte Folded Reload
	s_waitcnt lgkmcnt(0)
	v_mul_f64 v[103:104], v[99:100], v[107:108]
	v_fma_f64 v[103:104], v[97:98], v[125:126], -v[103:104]
	v_mul_f64 v[97:98], v[97:98], v[107:108]
	v_fma_f64 v[97:98], v[99:100], v[125:126], v[97:98]
	s_waitcnt vmcnt(2)
	v_add_f64 v[85:86], v[85:86], -v[103:104]
	s_waitcnt vmcnt(0)
	v_add_f64 v[87:88], v[87:88], -v[97:98]
	buffer_store_dword v85, off, s[24:27], 0 offset:256 ; 4-byte Folded Spill
	s_nop 0
	buffer_store_dword v86, off, s[24:27], 0 offset:260 ; 4-byte Folded Spill
	buffer_store_dword v87, off, s[24:27], 0 offset:264 ; 4-byte Folded Spill
	buffer_store_dword v88, off, s[24:27], 0 offset:268 ; 4-byte Folded Spill
	ds_read2_b64 v[97:100], v94 offset0:10 offset1:11
	buffer_load_dword v85, off, s[24:27], 0 offset:240 ; 4-byte Folded Reload
	buffer_load_dword v86, off, s[24:27], 0 offset:244 ; 4-byte Folded Reload
	buffer_load_dword v87, off, s[24:27], 0 offset:248 ; 4-byte Folded Reload
	buffer_load_dword v88, off, s[24:27], 0 offset:252 ; 4-byte Folded Reload
	s_waitcnt lgkmcnt(0)
	v_mul_f64 v[103:104], v[99:100], v[107:108]
	v_fma_f64 v[103:104], v[97:98], v[125:126], -v[103:104]
	v_mul_f64 v[97:98], v[97:98], v[107:108]
	v_fma_f64 v[97:98], v[99:100], v[125:126], v[97:98]
	s_waitcnt vmcnt(2)
	v_add_f64 v[85:86], v[85:86], -v[103:104]
	s_waitcnt vmcnt(0)
	v_add_f64 v[87:88], v[87:88], -v[97:98]
	buffer_store_dword v85, off, s[24:27], 0 offset:240 ; 4-byte Folded Spill
	s_nop 0
	buffer_store_dword v86, off, s[24:27], 0 offset:244 ; 4-byte Folded Spill
	buffer_store_dword v87, off, s[24:27], 0 offset:248 ; 4-byte Folded Spill
	buffer_store_dword v88, off, s[24:27], 0 offset:252 ; 4-byte Folded Spill
	ds_read2_b64 v[97:100], v94 offset0:12 offset1:13
	buffer_load_dword v85, off, s[24:27], 0 offset:224 ; 4-byte Folded Reload
	buffer_load_dword v86, off, s[24:27], 0 offset:228 ; 4-byte Folded Reload
	buffer_load_dword v87, off, s[24:27], 0 offset:232 ; 4-byte Folded Reload
	buffer_load_dword v88, off, s[24:27], 0 offset:236 ; 4-byte Folded Reload
	s_waitcnt lgkmcnt(0)
	v_mul_f64 v[103:104], v[99:100], v[107:108]
	v_fma_f64 v[103:104], v[97:98], v[125:126], -v[103:104]
	v_mul_f64 v[97:98], v[97:98], v[107:108]
	v_fma_f64 v[97:98], v[99:100], v[125:126], v[97:98]
	s_waitcnt vmcnt(2)
	v_add_f64 v[85:86], v[85:86], -v[103:104]
	s_waitcnt vmcnt(0)
	v_add_f64 v[87:88], v[87:88], -v[97:98]
	buffer_store_dword v85, off, s[24:27], 0 offset:224 ; 4-byte Folded Spill
	s_nop 0
	buffer_store_dword v86, off, s[24:27], 0 offset:228 ; 4-byte Folded Spill
	buffer_store_dword v87, off, s[24:27], 0 offset:232 ; 4-byte Folded Spill
	buffer_store_dword v88, off, s[24:27], 0 offset:236 ; 4-byte Folded Spill
	ds_read2_b64 v[97:100], v94 offset0:14 offset1:15
	buffer_load_dword v85, off, s[24:27], 0 offset:208 ; 4-byte Folded Reload
	buffer_load_dword v86, off, s[24:27], 0 offset:212 ; 4-byte Folded Reload
	buffer_load_dword v87, off, s[24:27], 0 offset:216 ; 4-byte Folded Reload
	buffer_load_dword v88, off, s[24:27], 0 offset:220 ; 4-byte Folded Reload
	s_waitcnt lgkmcnt(0)
	v_mul_f64 v[103:104], v[99:100], v[107:108]
	v_fma_f64 v[103:104], v[97:98], v[125:126], -v[103:104]
	v_mul_f64 v[97:98], v[97:98], v[107:108]
	v_fma_f64 v[97:98], v[99:100], v[125:126], v[97:98]
	s_waitcnt vmcnt(2)
	v_add_f64 v[85:86], v[85:86], -v[103:104]
	s_waitcnt vmcnt(0)
	v_add_f64 v[87:88], v[87:88], -v[97:98]
	buffer_store_dword v85, off, s[24:27], 0 offset:208 ; 4-byte Folded Spill
	s_nop 0
	buffer_store_dword v86, off, s[24:27], 0 offset:212 ; 4-byte Folded Spill
	buffer_store_dword v87, off, s[24:27], 0 offset:216 ; 4-byte Folded Spill
	buffer_store_dword v88, off, s[24:27], 0 offset:220 ; 4-byte Folded Spill
	ds_read2_b64 v[97:100], v94 offset0:16 offset1:17
	buffer_load_dword v85, off, s[24:27], 0 offset:192 ; 4-byte Folded Reload
	buffer_load_dword v86, off, s[24:27], 0 offset:196 ; 4-byte Folded Reload
	buffer_load_dword v87, off, s[24:27], 0 offset:200 ; 4-byte Folded Reload
	buffer_load_dword v88, off, s[24:27], 0 offset:204 ; 4-byte Folded Reload
	s_waitcnt lgkmcnt(0)
	v_mul_f64 v[103:104], v[99:100], v[107:108]
	v_fma_f64 v[103:104], v[97:98], v[125:126], -v[103:104]
	v_mul_f64 v[97:98], v[97:98], v[107:108]
	v_fma_f64 v[97:98], v[99:100], v[125:126], v[97:98]
	s_waitcnt vmcnt(2)
	v_add_f64 v[85:86], v[85:86], -v[103:104]
	s_waitcnt vmcnt(0)
	v_add_f64 v[87:88], v[87:88], -v[97:98]
	buffer_store_dword v85, off, s[24:27], 0 offset:192 ; 4-byte Folded Spill
	s_nop 0
	buffer_store_dword v86, off, s[24:27], 0 offset:196 ; 4-byte Folded Spill
	buffer_store_dword v87, off, s[24:27], 0 offset:200 ; 4-byte Folded Spill
	buffer_store_dword v88, off, s[24:27], 0 offset:204 ; 4-byte Folded Spill
	ds_read2_b64 v[97:100], v94 offset0:18 offset1:19
	buffer_load_dword v85, off, s[24:27], 0 offset:176 ; 4-byte Folded Reload
	buffer_load_dword v86, off, s[24:27], 0 offset:180 ; 4-byte Folded Reload
	buffer_load_dword v87, off, s[24:27], 0 offset:184 ; 4-byte Folded Reload
	buffer_load_dword v88, off, s[24:27], 0 offset:188 ; 4-byte Folded Reload
	s_waitcnt lgkmcnt(0)
	v_mul_f64 v[103:104], v[99:100], v[107:108]
	v_fma_f64 v[103:104], v[97:98], v[125:126], -v[103:104]
	v_mul_f64 v[97:98], v[97:98], v[107:108]
	v_fma_f64 v[97:98], v[99:100], v[125:126], v[97:98]
	s_waitcnt vmcnt(2)
	v_add_f64 v[85:86], v[85:86], -v[103:104]
	s_waitcnt vmcnt(0)
	v_add_f64 v[87:88], v[87:88], -v[97:98]
	buffer_store_dword v85, off, s[24:27], 0 offset:176 ; 4-byte Folded Spill
	s_nop 0
	buffer_store_dword v86, off, s[24:27], 0 offset:180 ; 4-byte Folded Spill
	buffer_store_dword v87, off, s[24:27], 0 offset:184 ; 4-byte Folded Spill
	buffer_store_dword v88, off, s[24:27], 0 offset:188 ; 4-byte Folded Spill
	ds_read2_b64 v[97:100], v94 offset0:20 offset1:21
	buffer_load_dword v85, off, s[24:27], 0 offset:160 ; 4-byte Folded Reload
	buffer_load_dword v86, off, s[24:27], 0 offset:164 ; 4-byte Folded Reload
	buffer_load_dword v87, off, s[24:27], 0 offset:168 ; 4-byte Folded Reload
	buffer_load_dword v88, off, s[24:27], 0 offset:172 ; 4-byte Folded Reload
	s_waitcnt lgkmcnt(0)
	v_mul_f64 v[103:104], v[99:100], v[107:108]
	v_fma_f64 v[103:104], v[97:98], v[125:126], -v[103:104]
	v_mul_f64 v[97:98], v[97:98], v[107:108]
	v_fma_f64 v[97:98], v[99:100], v[125:126], v[97:98]
	s_waitcnt vmcnt(2)
	v_add_f64 v[85:86], v[85:86], -v[103:104]
	s_waitcnt vmcnt(0)
	v_add_f64 v[87:88], v[87:88], -v[97:98]
	buffer_store_dword v85, off, s[24:27], 0 offset:160 ; 4-byte Folded Spill
	s_nop 0
	buffer_store_dword v86, off, s[24:27], 0 offset:164 ; 4-byte Folded Spill
	buffer_store_dword v87, off, s[24:27], 0 offset:168 ; 4-byte Folded Spill
	buffer_store_dword v88, off, s[24:27], 0 offset:172 ; 4-byte Folded Spill
	ds_read2_b64 v[97:100], v94 offset0:22 offset1:23
	buffer_load_dword v85, off, s[24:27], 0 offset:144 ; 4-byte Folded Reload
	buffer_load_dword v86, off, s[24:27], 0 offset:148 ; 4-byte Folded Reload
	buffer_load_dword v87, off, s[24:27], 0 offset:152 ; 4-byte Folded Reload
	buffer_load_dword v88, off, s[24:27], 0 offset:156 ; 4-byte Folded Reload
	s_waitcnt lgkmcnt(0)
	v_mul_f64 v[103:104], v[99:100], v[107:108]
	v_fma_f64 v[103:104], v[97:98], v[125:126], -v[103:104]
	v_mul_f64 v[97:98], v[97:98], v[107:108]
	v_fma_f64 v[97:98], v[99:100], v[125:126], v[97:98]
	s_waitcnt vmcnt(2)
	v_add_f64 v[85:86], v[85:86], -v[103:104]
	s_waitcnt vmcnt(0)
	v_add_f64 v[87:88], v[87:88], -v[97:98]
	buffer_store_dword v85, off, s[24:27], 0 offset:144 ; 4-byte Folded Spill
	s_nop 0
	buffer_store_dword v86, off, s[24:27], 0 offset:148 ; 4-byte Folded Spill
	buffer_store_dword v87, off, s[24:27], 0 offset:152 ; 4-byte Folded Spill
	buffer_store_dword v88, off, s[24:27], 0 offset:156 ; 4-byte Folded Spill
	ds_read2_b64 v[97:100], v94 offset0:24 offset1:25
	buffer_load_dword v85, off, s[24:27], 0 offset:128 ; 4-byte Folded Reload
	buffer_load_dword v86, off, s[24:27], 0 offset:132 ; 4-byte Folded Reload
	buffer_load_dword v87, off, s[24:27], 0 offset:136 ; 4-byte Folded Reload
	buffer_load_dword v88, off, s[24:27], 0 offset:140 ; 4-byte Folded Reload
	s_waitcnt lgkmcnt(0)
	v_mul_f64 v[103:104], v[99:100], v[107:108]
	v_fma_f64 v[103:104], v[97:98], v[125:126], -v[103:104]
	v_mul_f64 v[97:98], v[97:98], v[107:108]
	v_fma_f64 v[97:98], v[99:100], v[125:126], v[97:98]
	s_waitcnt vmcnt(2)
	v_add_f64 v[85:86], v[85:86], -v[103:104]
	s_waitcnt vmcnt(0)
	v_add_f64 v[87:88], v[87:88], -v[97:98]
	buffer_store_dword v85, off, s[24:27], 0 offset:128 ; 4-byte Folded Spill
	s_nop 0
	buffer_store_dword v86, off, s[24:27], 0 offset:132 ; 4-byte Folded Spill
	buffer_store_dword v87, off, s[24:27], 0 offset:136 ; 4-byte Folded Spill
	buffer_store_dword v88, off, s[24:27], 0 offset:140 ; 4-byte Folded Spill
	ds_read2_b64 v[97:100], v94 offset0:26 offset1:27
	buffer_load_dword v85, off, s[24:27], 0 offset:112 ; 4-byte Folded Reload
	buffer_load_dword v86, off, s[24:27], 0 offset:116 ; 4-byte Folded Reload
	buffer_load_dword v87, off, s[24:27], 0 offset:120 ; 4-byte Folded Reload
	buffer_load_dword v88, off, s[24:27], 0 offset:124 ; 4-byte Folded Reload
	s_waitcnt lgkmcnt(0)
	v_mul_f64 v[103:104], v[99:100], v[107:108]
	v_fma_f64 v[103:104], v[97:98], v[125:126], -v[103:104]
	v_mul_f64 v[97:98], v[97:98], v[107:108]
	v_fma_f64 v[97:98], v[99:100], v[125:126], v[97:98]
	s_waitcnt vmcnt(2)
	v_add_f64 v[85:86], v[85:86], -v[103:104]
	s_waitcnt vmcnt(0)
	v_add_f64 v[87:88], v[87:88], -v[97:98]
	buffer_store_dword v85, off, s[24:27], 0 offset:112 ; 4-byte Folded Spill
	s_nop 0
	buffer_store_dword v86, off, s[24:27], 0 offset:116 ; 4-byte Folded Spill
	buffer_store_dword v87, off, s[24:27], 0 offset:120 ; 4-byte Folded Spill
	buffer_store_dword v88, off, s[24:27], 0 offset:124 ; 4-byte Folded Spill
	ds_read2_b64 v[97:100], v94 offset0:28 offset1:29
	buffer_load_dword v85, off, s[24:27], 0 offset:96 ; 4-byte Folded Reload
	buffer_load_dword v86, off, s[24:27], 0 offset:100 ; 4-byte Folded Reload
	buffer_load_dword v87, off, s[24:27], 0 offset:104 ; 4-byte Folded Reload
	buffer_load_dword v88, off, s[24:27], 0 offset:108 ; 4-byte Folded Reload
	s_waitcnt lgkmcnt(0)
	v_mul_f64 v[103:104], v[99:100], v[107:108]
	v_fma_f64 v[103:104], v[97:98], v[125:126], -v[103:104]
	v_mul_f64 v[97:98], v[97:98], v[107:108]
	v_fma_f64 v[97:98], v[99:100], v[125:126], v[97:98]
	s_waitcnt vmcnt(2)
	v_add_f64 v[85:86], v[85:86], -v[103:104]
	s_waitcnt vmcnt(0)
	v_add_f64 v[87:88], v[87:88], -v[97:98]
	buffer_store_dword v85, off, s[24:27], 0 offset:96 ; 4-byte Folded Spill
	s_nop 0
	buffer_store_dword v86, off, s[24:27], 0 offset:100 ; 4-byte Folded Spill
	buffer_store_dword v87, off, s[24:27], 0 offset:104 ; 4-byte Folded Spill
	buffer_store_dword v88, off, s[24:27], 0 offset:108 ; 4-byte Folded Spill
	ds_read2_b64 v[97:100], v94 offset0:30 offset1:31
	buffer_load_dword v85, off, s[24:27], 0 offset:80 ; 4-byte Folded Reload
	buffer_load_dword v86, off, s[24:27], 0 offset:84 ; 4-byte Folded Reload
	buffer_load_dword v87, off, s[24:27], 0 offset:88 ; 4-byte Folded Reload
	buffer_load_dword v88, off, s[24:27], 0 offset:92 ; 4-byte Folded Reload
	s_waitcnt lgkmcnt(0)
	v_mul_f64 v[103:104], v[99:100], v[107:108]
	v_fma_f64 v[103:104], v[97:98], v[125:126], -v[103:104]
	v_mul_f64 v[97:98], v[97:98], v[107:108]
	v_fma_f64 v[97:98], v[99:100], v[125:126], v[97:98]
	s_waitcnt vmcnt(2)
	v_add_f64 v[85:86], v[85:86], -v[103:104]
	s_waitcnt vmcnt(0)
	v_add_f64 v[87:88], v[87:88], -v[97:98]
	buffer_store_dword v85, off, s[24:27], 0 offset:80 ; 4-byte Folded Spill
	s_nop 0
	buffer_store_dword v86, off, s[24:27], 0 offset:84 ; 4-byte Folded Spill
	buffer_store_dword v87, off, s[24:27], 0 offset:88 ; 4-byte Folded Spill
	buffer_store_dword v88, off, s[24:27], 0 offset:92 ; 4-byte Folded Spill
	ds_read2_b64 v[97:100], v94 offset0:32 offset1:33
	buffer_load_dword v85, off, s[24:27], 0 offset:64 ; 4-byte Folded Reload
	buffer_load_dword v86, off, s[24:27], 0 offset:68 ; 4-byte Folded Reload
	buffer_load_dword v87, off, s[24:27], 0 offset:72 ; 4-byte Folded Reload
	buffer_load_dword v88, off, s[24:27], 0 offset:76 ; 4-byte Folded Reload
	s_waitcnt lgkmcnt(0)
	v_mul_f64 v[103:104], v[99:100], v[107:108]
	v_fma_f64 v[103:104], v[97:98], v[125:126], -v[103:104]
	v_mul_f64 v[97:98], v[97:98], v[107:108]
	v_fma_f64 v[97:98], v[99:100], v[125:126], v[97:98]
	s_waitcnt vmcnt(2)
	v_add_f64 v[85:86], v[85:86], -v[103:104]
	s_waitcnt vmcnt(0)
	v_add_f64 v[87:88], v[87:88], -v[97:98]
	buffer_store_dword v85, off, s[24:27], 0 offset:64 ; 4-byte Folded Spill
	s_nop 0
	buffer_store_dword v86, off, s[24:27], 0 offset:68 ; 4-byte Folded Spill
	buffer_store_dword v87, off, s[24:27], 0 offset:72 ; 4-byte Folded Spill
	buffer_store_dword v88, off, s[24:27], 0 offset:76 ; 4-byte Folded Spill
	ds_read2_b64 v[97:100], v94 offset0:34 offset1:35
	buffer_load_dword v85, off, s[24:27], 0 offset:48 ; 4-byte Folded Reload
	buffer_load_dword v86, off, s[24:27], 0 offset:52 ; 4-byte Folded Reload
	buffer_load_dword v87, off, s[24:27], 0 offset:56 ; 4-byte Folded Reload
	buffer_load_dword v88, off, s[24:27], 0 offset:60 ; 4-byte Folded Reload
	s_waitcnt lgkmcnt(0)
	v_mul_f64 v[103:104], v[99:100], v[107:108]
	v_fma_f64 v[103:104], v[97:98], v[125:126], -v[103:104]
	v_mul_f64 v[97:98], v[97:98], v[107:108]
	v_fma_f64 v[97:98], v[99:100], v[125:126], v[97:98]
	s_waitcnt vmcnt(2)
	v_add_f64 v[85:86], v[85:86], -v[103:104]
	s_waitcnt vmcnt(0)
	v_add_f64 v[87:88], v[87:88], -v[97:98]
	buffer_store_dword v85, off, s[24:27], 0 offset:48 ; 4-byte Folded Spill
	s_nop 0
	buffer_store_dword v86, off, s[24:27], 0 offset:52 ; 4-byte Folded Spill
	buffer_store_dword v87, off, s[24:27], 0 offset:56 ; 4-byte Folded Spill
	buffer_store_dword v88, off, s[24:27], 0 offset:60 ; 4-byte Folded Spill
	ds_read2_b64 v[97:100], v94 offset0:36 offset1:37
	buffer_load_dword v85, off, s[24:27], 0 offset:32 ; 4-byte Folded Reload
	buffer_load_dword v86, off, s[24:27], 0 offset:36 ; 4-byte Folded Reload
	buffer_load_dword v87, off, s[24:27], 0 offset:40 ; 4-byte Folded Reload
	buffer_load_dword v88, off, s[24:27], 0 offset:44 ; 4-byte Folded Reload
	s_waitcnt lgkmcnt(0)
	v_mul_f64 v[103:104], v[99:100], v[107:108]
	v_fma_f64 v[103:104], v[97:98], v[125:126], -v[103:104]
	v_mul_f64 v[97:98], v[97:98], v[107:108]
	v_fma_f64 v[97:98], v[99:100], v[125:126], v[97:98]
	s_waitcnt vmcnt(2)
	v_add_f64 v[85:86], v[85:86], -v[103:104]
	s_waitcnt vmcnt(0)
	v_add_f64 v[87:88], v[87:88], -v[97:98]
	buffer_store_dword v85, off, s[24:27], 0 offset:32 ; 4-byte Folded Spill
	s_nop 0
	buffer_store_dword v86, off, s[24:27], 0 offset:36 ; 4-byte Folded Spill
	buffer_store_dword v87, off, s[24:27], 0 offset:40 ; 4-byte Folded Spill
	buffer_store_dword v88, off, s[24:27], 0 offset:44 ; 4-byte Folded Spill
	ds_read2_b64 v[97:100], v94 offset0:38 offset1:39
	buffer_load_dword v85, off, s[24:27], 0 offset:16 ; 4-byte Folded Reload
	buffer_load_dword v86, off, s[24:27], 0 offset:20 ; 4-byte Folded Reload
	buffer_load_dword v87, off, s[24:27], 0 offset:24 ; 4-byte Folded Reload
	buffer_load_dword v88, off, s[24:27], 0 offset:28 ; 4-byte Folded Reload
	s_waitcnt lgkmcnt(0)
	v_mul_f64 v[103:104], v[99:100], v[107:108]
	v_fma_f64 v[103:104], v[97:98], v[125:126], -v[103:104]
	v_mul_f64 v[97:98], v[97:98], v[107:108]
	v_fma_f64 v[97:98], v[99:100], v[125:126], v[97:98]
	s_waitcnt vmcnt(2)
	v_add_f64 v[85:86], v[85:86], -v[103:104]
	s_waitcnt vmcnt(0)
	v_add_f64 v[87:88], v[87:88], -v[97:98]
	buffer_store_dword v85, off, s[24:27], 0 offset:16 ; 4-byte Folded Spill
	s_nop 0
	buffer_store_dword v86, off, s[24:27], 0 offset:20 ; 4-byte Folded Spill
	buffer_store_dword v87, off, s[24:27], 0 offset:24 ; 4-byte Folded Spill
	buffer_store_dword v88, off, s[24:27], 0 offset:28 ; 4-byte Folded Spill
	ds_read2_b64 v[97:100], v94 offset0:40 offset1:41
	buffer_load_dword v85, off, s[24:27], 0 ; 4-byte Folded Reload
	buffer_load_dword v86, off, s[24:27], 0 offset:4 ; 4-byte Folded Reload
	buffer_load_dword v87, off, s[24:27], 0 offset:8 ; 4-byte Folded Reload
	;; [unrolled: 1-line block ×3, first 2 shown]
	s_waitcnt lgkmcnt(0)
	v_mul_f64 v[103:104], v[99:100], v[107:108]
	v_fma_f64 v[103:104], v[97:98], v[125:126], -v[103:104]
	v_mul_f64 v[97:98], v[97:98], v[107:108]
	v_fma_f64 v[97:98], v[99:100], v[125:126], v[97:98]
	s_waitcnt vmcnt(2)
	v_add_f64 v[85:86], v[85:86], -v[103:104]
	s_waitcnt vmcnt(0)
	v_add_f64 v[87:88], v[87:88], -v[97:98]
	buffer_store_dword v85, off, s[24:27], 0 ; 4-byte Folded Spill
	s_nop 0
	buffer_store_dword v86, off, s[24:27], 0 offset:4 ; 4-byte Folded Spill
	buffer_store_dword v87, off, s[24:27], 0 offset:8 ; 4-byte Folded Spill
	;; [unrolled: 1-line block ×3, first 2 shown]
	ds_read2_b64 v[97:100], v94 offset0:42 offset1:43
	s_waitcnt lgkmcnt(0)
	v_mul_f64 v[103:104], v[99:100], v[107:108]
	v_fma_f64 v[103:104], v[97:98], v[125:126], -v[103:104]
	v_mul_f64 v[97:98], v[97:98], v[107:108]
	v_add_f64 v[111:112], v[111:112], -v[103:104]
	v_fma_f64 v[97:98], v[99:100], v[125:126], v[97:98]
	v_add_f64 v[113:114], v[113:114], -v[97:98]
	ds_read2_b64 v[97:100], v94 offset0:44 offset1:45
	s_waitcnt lgkmcnt(0)
	v_mul_f64 v[103:104], v[99:100], v[107:108]
	v_fma_f64 v[103:104], v[97:98], v[125:126], -v[103:104]
	v_mul_f64 v[97:98], v[97:98], v[107:108]
	v_add_f64 v[89:90], v[89:90], -v[103:104]
	v_fma_f64 v[97:98], v[99:100], v[125:126], v[97:98]
	v_add_f64 v[91:92], v[91:92], -v[97:98]
	;; [unrolled: 8-line block ×22, first 2 shown]
	ds_read2_b64 v[97:100], v94 offset0:86 offset1:87
	s_waitcnt lgkmcnt(0)
	v_mul_f64 v[103:104], v[99:100], v[107:108]
	v_fma_f64 v[103:104], v[97:98], v[125:126], -v[103:104]
	v_mul_f64 v[97:98], v[97:98], v[107:108]
	v_add_f64 v[1:2], v[1:2], -v[103:104]
	v_fma_f64 v[97:98], v[99:100], v[125:126], v[97:98]
	ds_read2_b64 v[103:106], v94 offset0:88 offset1:89
	s_waitcnt lgkmcnt(0)
	v_mul_f64 v[99:100], v[103:104], v[107:108]
	v_add_f64 v[3:4], v[3:4], -v[97:98]
	v_mul_f64 v[97:98], v[105:106], v[107:108]
	v_fma_f64 v[99:100], v[105:106], v[125:126], v[99:100]
	v_mov_b32_e32 v105, v125
	v_mov_b32_e32 v106, v126
	v_fma_f64 v[97:98], v[103:104], v[125:126], -v[97:98]
	buffer_store_dword v105, off, s[24:27], 0 offset:328 ; 4-byte Folded Spill
	s_nop 0
	buffer_store_dword v106, off, s[24:27], 0 offset:332 ; 4-byte Folded Spill
	buffer_store_dword v107, off, s[24:27], 0 offset:336 ; 4-byte Folded Spill
	;; [unrolled: 1-line block ×3, first 2 shown]
	v_add_f64 v[123:124], v[123:124], -v[99:100]
	v_add_f64 v[121:122], v[121:122], -v[97:98]
.LBB88_22:
	s_or_b64 exec, exec, s[0:1]
	s_waitcnt vmcnt(0)
	s_barrier
	buffer_load_dword v85, off, s[24:27], 0 offset:312 ; 4-byte Folded Reload
	buffer_load_dword v86, off, s[24:27], 0 offset:316 ; 4-byte Folded Reload
	;; [unrolled: 1-line block ×4, first 2 shown]
	v_lshl_add_u32 v97, v96, 4, v94
	s_cmp_lt_i32 s3, 3
	s_waitcnt vmcnt(0)
	ds_write2_b64 v97, v[85:86], v[87:88] offset1:1
	s_waitcnt lgkmcnt(0)
	s_barrier
	ds_read2_b64 v[117:120], v94 offset0:2 offset1:3
	v_mov_b32_e32 v97, 1
	s_cbranch_scc1 .LBB88_25
; %bb.23:
	v_add3_u32 v98, v101, 0, 32
	s_mov_b32 s0, 2
	v_mov_b32_e32 v97, 1
.LBB88_24:                              ; =>This Inner Loop Header: Depth=1
	s_waitcnt lgkmcnt(0)
	v_cmp_gt_f64_e32 vcc, 0, v[117:118]
	v_xor_b32_e32 v99, 0x80000000, v118
	ds_read2_b64 v[103:106], v98 offset1:1
	v_xor_b32_e32 v107, 0x80000000, v120
	v_add_u32_e32 v98, 16, v98
	s_waitcnt lgkmcnt(0)
	v_xor_b32_e32 v109, 0x80000000, v106
	v_cndmask_b32_e32 v100, v118, v99, vcc
	v_cmp_gt_f64_e32 vcc, 0, v[119:120]
	v_mov_b32_e32 v99, v117
	v_cndmask_b32_e32 v108, v120, v107, vcc
	v_cmp_gt_f64_e32 vcc, 0, v[103:104]
	v_mov_b32_e32 v107, v119
	v_add_f64 v[99:100], v[99:100], v[107:108]
	v_xor_b32_e32 v107, 0x80000000, v104
	v_cndmask_b32_e32 v108, v104, v107, vcc
	v_cmp_gt_f64_e32 vcc, 0, v[105:106]
	v_mov_b32_e32 v107, v103
	v_cndmask_b32_e32 v110, v106, v109, vcc
	v_mov_b32_e32 v109, v105
	v_add_f64 v[107:108], v[107:108], v[109:110]
	v_cmp_lt_f64_e32 vcc, v[99:100], v[107:108]
	v_mov_b32_e32 v99, s0
	s_add_i32 s0, s0, 1
	s_cmp_lg_u32 s3, s0
	v_cndmask_b32_e32 v118, v118, v104, vcc
	v_cndmask_b32_e32 v117, v117, v103, vcc
	;; [unrolled: 1-line block ×5, first 2 shown]
	s_cbranch_scc1 .LBB88_24
.LBB88_25:
	s_waitcnt lgkmcnt(0)
	v_cmp_neq_f64_e32 vcc, 0, v[117:118]
	v_cmp_neq_f64_e64 s[0:1], 0, v[119:120]
	s_or_b64 s[18:19], vcc, s[0:1]
	s_and_saveexec_b64 s[0:1], s[18:19]
	s_cbranch_execz .LBB88_31
; %bb.26:
	v_cmp_ngt_f64_e64 s[18:19], |v[117:118]|, |v[119:120]|
	s_and_saveexec_b64 s[20:21], s[18:19]
	s_xor_b64 s[18:19], exec, s[20:21]
	s_cbranch_execz .LBB88_28
; %bb.27:
	v_div_scale_f64 v[98:99], s[20:21], v[119:120], v[119:120], v[117:118]
	v_rcp_f64_e32 v[103:104], v[98:99]
	v_fma_f64 v[105:106], -v[98:99], v[103:104], 1.0
	v_fma_f64 v[103:104], v[103:104], v[105:106], v[103:104]
	v_div_scale_f64 v[105:106], vcc, v[117:118], v[119:120], v[117:118]
	v_fma_f64 v[107:108], -v[98:99], v[103:104], 1.0
	v_fma_f64 v[103:104], v[103:104], v[107:108], v[103:104]
	v_mul_f64 v[107:108], v[105:106], v[103:104]
	v_fma_f64 v[98:99], -v[98:99], v[107:108], v[105:106]
	v_div_fmas_f64 v[98:99], v[98:99], v[103:104], v[107:108]
	v_div_fixup_f64 v[98:99], v[98:99], v[119:120], v[117:118]
	v_fma_f64 v[103:104], v[117:118], v[98:99], v[119:120]
	v_mov_b32_e32 v120, v114
	v_mov_b32_e32 v119, v113
	v_mov_b32_e32 v118, v112
	v_mov_b32_e32 v117, v111
	v_div_scale_f64 v[105:106], s[20:21], v[103:104], v[103:104], 1.0
	v_div_scale_f64 v[111:112], vcc, 1.0, v[103:104], 1.0
	v_rcp_f64_e32 v[107:108], v[105:106]
	v_fma_f64 v[109:110], -v[105:106], v[107:108], 1.0
	v_fma_f64 v[107:108], v[107:108], v[109:110], v[107:108]
	v_fma_f64 v[109:110], -v[105:106], v[107:108], 1.0
	v_fma_f64 v[107:108], v[107:108], v[109:110], v[107:108]
	v_mul_f64 v[109:110], v[111:112], v[107:108]
	v_fma_f64 v[105:106], -v[105:106], v[109:110], v[111:112]
	v_mov_b32_e32 v111, v117
	v_mov_b32_e32 v112, v118
	;; [unrolled: 1-line block ×4, first 2 shown]
	v_div_fmas_f64 v[105:106], v[105:106], v[107:108], v[109:110]
	v_div_fixup_f64 v[119:120], v[105:106], v[103:104], 1.0
	v_mul_f64 v[117:118], v[98:99], v[119:120]
	v_xor_b32_e32 v120, 0x80000000, v120
.LBB88_28:
	s_andn2_saveexec_b64 s[18:19], s[18:19]
	s_cbranch_execz .LBB88_30
; %bb.29:
	v_div_scale_f64 v[98:99], s[20:21], v[117:118], v[117:118], v[119:120]
	v_rcp_f64_e32 v[103:104], v[98:99]
	v_fma_f64 v[105:106], -v[98:99], v[103:104], 1.0
	v_fma_f64 v[103:104], v[103:104], v[105:106], v[103:104]
	v_div_scale_f64 v[105:106], vcc, v[119:120], v[117:118], v[119:120]
	v_fma_f64 v[107:108], -v[98:99], v[103:104], 1.0
	v_fma_f64 v[103:104], v[103:104], v[107:108], v[103:104]
	v_mul_f64 v[107:108], v[105:106], v[103:104]
	v_fma_f64 v[98:99], -v[98:99], v[107:108], v[105:106]
	v_div_fmas_f64 v[98:99], v[98:99], v[103:104], v[107:108]
	v_div_fixup_f64 v[98:99], v[98:99], v[117:118], v[119:120]
	v_fma_f64 v[103:104], v[119:120], v[98:99], v[117:118]
	v_mov_b32_e32 v120, v114
	v_mov_b32_e32 v119, v113
	;; [unrolled: 1-line block ×4, first 2 shown]
	v_div_scale_f64 v[105:106], s[20:21], v[103:104], v[103:104], 1.0
	v_div_scale_f64 v[111:112], vcc, 1.0, v[103:104], 1.0
	v_rcp_f64_e32 v[107:108], v[105:106]
	v_fma_f64 v[109:110], -v[105:106], v[107:108], 1.0
	v_fma_f64 v[107:108], v[107:108], v[109:110], v[107:108]
	v_fma_f64 v[109:110], -v[105:106], v[107:108], 1.0
	v_fma_f64 v[107:108], v[107:108], v[109:110], v[107:108]
	v_mul_f64 v[109:110], v[111:112], v[107:108]
	v_fma_f64 v[105:106], -v[105:106], v[109:110], v[111:112]
	v_mov_b32_e32 v111, v117
	v_mov_b32_e32 v112, v118
	;; [unrolled: 1-line block ×4, first 2 shown]
	v_div_fmas_f64 v[105:106], v[105:106], v[107:108], v[109:110]
	v_div_fixup_f64 v[117:118], v[105:106], v[103:104], 1.0
	v_mul_f64 v[119:120], v[98:99], -v[117:118]
.LBB88_30:
	s_or_b64 exec, exec, s[18:19]
	v_mov_b32_e32 v95, v102
.LBB88_31:
	s_or_b64 exec, exec, s[0:1]
	v_cmp_ne_u32_e32 vcc, v96, v97
	s_and_saveexec_b64 s[0:1], vcc
	s_xor_b64 s[0:1], exec, s[0:1]
	s_cbranch_execz .LBB88_37
; %bb.32:
	v_cmp_eq_u32_e32 vcc, 1, v96
	s_and_saveexec_b64 s[18:19], vcc
	s_cbranch_execz .LBB88_36
; %bb.33:
	v_cmp_ne_u32_e32 vcc, 1, v97
	s_xor_b64 s[20:21], s[6:7], -1
	s_and_b64 s[22:23], s[20:21], vcc
	s_and_saveexec_b64 s[20:21], s[22:23]
	s_cbranch_execz .LBB88_35
; %bb.34:
	buffer_load_dword v85, off, s[24:27], 0 offset:288 ; 4-byte Folded Reload
	buffer_load_dword v86, off, s[24:27], 0 offset:292 ; 4-byte Folded Reload
	v_ashrrev_i32_e32 v98, 31, v97
	v_lshlrev_b64 v[98:99], 2, v[97:98]
	s_waitcnt vmcnt(1)
	v_add_co_u32_e32 v98, vcc, v85, v98
	s_waitcnt vmcnt(0)
	v_addc_co_u32_e32 v99, vcc, v86, v99, vcc
	global_load_dword v0, v[98:99], off
	global_load_dword v96, v[85:86], off offset:4
	s_waitcnt vmcnt(1)
	global_store_dword v[85:86], v0, off offset:4
	s_waitcnt vmcnt(1)
	global_store_dword v[98:99], v96, off
.LBB88_35:
	s_or_b64 exec, exec, s[20:21]
	v_mov_b32_e32 v96, v97
	v_mov_b32_e32 v0, v97
.LBB88_36:
	s_or_b64 exec, exec, s[18:19]
.LBB88_37:
	s_andn2_saveexec_b64 s[0:1], s[0:1]
	s_cbranch_execz .LBB88_39
; %bb.38:
	buffer_load_dword v85, off, s[24:27], 0 offset:296 ; 4-byte Folded Reload
	buffer_load_dword v86, off, s[24:27], 0 offset:300 ; 4-byte Folded Reload
	;; [unrolled: 1-line block ×4, first 2 shown]
	v_mov_b32_e32 v96, 1
	s_waitcnt vmcnt(0)
	ds_write2_b64 v94, v[85:86], v[87:88] offset0:4 offset1:5
	buffer_load_dword v85, off, s[24:27], 0 offset:272 ; 4-byte Folded Reload
	buffer_load_dword v86, off, s[24:27], 0 offset:276 ; 4-byte Folded Reload
	buffer_load_dword v87, off, s[24:27], 0 offset:280 ; 4-byte Folded Reload
	buffer_load_dword v88, off, s[24:27], 0 offset:284 ; 4-byte Folded Reload
	s_waitcnt vmcnt(0)
	ds_write2_b64 v94, v[85:86], v[87:88] offset0:6 offset1:7
	buffer_load_dword v85, off, s[24:27], 0 offset:256 ; 4-byte Folded Reload
	buffer_load_dword v86, off, s[24:27], 0 offset:260 ; 4-byte Folded Reload
	buffer_load_dword v87, off, s[24:27], 0 offset:264 ; 4-byte Folded Reload
	buffer_load_dword v88, off, s[24:27], 0 offset:268 ; 4-byte Folded Reload
	s_waitcnt vmcnt(0)
	ds_write2_b64 v94, v[85:86], v[87:88] offset0:8 offset1:9
	buffer_load_dword v85, off, s[24:27], 0 offset:240 ; 4-byte Folded Reload
	buffer_load_dword v86, off, s[24:27], 0 offset:244 ; 4-byte Folded Reload
	buffer_load_dword v87, off, s[24:27], 0 offset:248 ; 4-byte Folded Reload
	buffer_load_dword v88, off, s[24:27], 0 offset:252 ; 4-byte Folded Reload
	s_waitcnt vmcnt(0)
	ds_write2_b64 v94, v[85:86], v[87:88] offset0:10 offset1:11
	buffer_load_dword v85, off, s[24:27], 0 offset:224 ; 4-byte Folded Reload
	buffer_load_dword v86, off, s[24:27], 0 offset:228 ; 4-byte Folded Reload
	buffer_load_dword v87, off, s[24:27], 0 offset:232 ; 4-byte Folded Reload
	buffer_load_dword v88, off, s[24:27], 0 offset:236 ; 4-byte Folded Reload
	s_waitcnt vmcnt(0)
	ds_write2_b64 v94, v[85:86], v[87:88] offset0:12 offset1:13
	buffer_load_dword v85, off, s[24:27], 0 offset:208 ; 4-byte Folded Reload
	buffer_load_dword v86, off, s[24:27], 0 offset:212 ; 4-byte Folded Reload
	buffer_load_dword v87, off, s[24:27], 0 offset:216 ; 4-byte Folded Reload
	buffer_load_dword v88, off, s[24:27], 0 offset:220 ; 4-byte Folded Reload
	s_waitcnt vmcnt(0)
	ds_write2_b64 v94, v[85:86], v[87:88] offset0:14 offset1:15
	buffer_load_dword v85, off, s[24:27], 0 offset:192 ; 4-byte Folded Reload
	buffer_load_dword v86, off, s[24:27], 0 offset:196 ; 4-byte Folded Reload
	buffer_load_dword v87, off, s[24:27], 0 offset:200 ; 4-byte Folded Reload
	buffer_load_dword v88, off, s[24:27], 0 offset:204 ; 4-byte Folded Reload
	s_waitcnt vmcnt(0)
	ds_write2_b64 v94, v[85:86], v[87:88] offset0:16 offset1:17
	buffer_load_dword v85, off, s[24:27], 0 offset:176 ; 4-byte Folded Reload
	buffer_load_dword v86, off, s[24:27], 0 offset:180 ; 4-byte Folded Reload
	buffer_load_dword v87, off, s[24:27], 0 offset:184 ; 4-byte Folded Reload
	buffer_load_dword v88, off, s[24:27], 0 offset:188 ; 4-byte Folded Reload
	s_waitcnt vmcnt(0)
	ds_write2_b64 v94, v[85:86], v[87:88] offset0:18 offset1:19
	buffer_load_dword v85, off, s[24:27], 0 offset:160 ; 4-byte Folded Reload
	buffer_load_dword v86, off, s[24:27], 0 offset:164 ; 4-byte Folded Reload
	buffer_load_dword v87, off, s[24:27], 0 offset:168 ; 4-byte Folded Reload
	buffer_load_dword v88, off, s[24:27], 0 offset:172 ; 4-byte Folded Reload
	s_waitcnt vmcnt(0)
	ds_write2_b64 v94, v[85:86], v[87:88] offset0:20 offset1:21
	buffer_load_dword v85, off, s[24:27], 0 offset:144 ; 4-byte Folded Reload
	buffer_load_dword v86, off, s[24:27], 0 offset:148 ; 4-byte Folded Reload
	buffer_load_dword v87, off, s[24:27], 0 offset:152 ; 4-byte Folded Reload
	buffer_load_dword v88, off, s[24:27], 0 offset:156 ; 4-byte Folded Reload
	s_waitcnt vmcnt(0)
	ds_write2_b64 v94, v[85:86], v[87:88] offset0:22 offset1:23
	buffer_load_dword v85, off, s[24:27], 0 offset:128 ; 4-byte Folded Reload
	buffer_load_dword v86, off, s[24:27], 0 offset:132 ; 4-byte Folded Reload
	buffer_load_dword v87, off, s[24:27], 0 offset:136 ; 4-byte Folded Reload
	buffer_load_dword v88, off, s[24:27], 0 offset:140 ; 4-byte Folded Reload
	s_waitcnt vmcnt(0)
	ds_write2_b64 v94, v[85:86], v[87:88] offset0:24 offset1:25
	buffer_load_dword v85, off, s[24:27], 0 offset:112 ; 4-byte Folded Reload
	buffer_load_dword v86, off, s[24:27], 0 offset:116 ; 4-byte Folded Reload
	buffer_load_dword v87, off, s[24:27], 0 offset:120 ; 4-byte Folded Reload
	buffer_load_dword v88, off, s[24:27], 0 offset:124 ; 4-byte Folded Reload
	s_waitcnt vmcnt(0)
	ds_write2_b64 v94, v[85:86], v[87:88] offset0:26 offset1:27
	buffer_load_dword v85, off, s[24:27], 0 offset:96 ; 4-byte Folded Reload
	buffer_load_dword v86, off, s[24:27], 0 offset:100 ; 4-byte Folded Reload
	buffer_load_dword v87, off, s[24:27], 0 offset:104 ; 4-byte Folded Reload
	buffer_load_dword v88, off, s[24:27], 0 offset:108 ; 4-byte Folded Reload
	s_waitcnt vmcnt(0)
	ds_write2_b64 v94, v[85:86], v[87:88] offset0:28 offset1:29
	buffer_load_dword v85, off, s[24:27], 0 offset:80 ; 4-byte Folded Reload
	buffer_load_dword v86, off, s[24:27], 0 offset:84 ; 4-byte Folded Reload
	buffer_load_dword v87, off, s[24:27], 0 offset:88 ; 4-byte Folded Reload
	buffer_load_dword v88, off, s[24:27], 0 offset:92 ; 4-byte Folded Reload
	s_waitcnt vmcnt(0)
	ds_write2_b64 v94, v[85:86], v[87:88] offset0:30 offset1:31
	buffer_load_dword v85, off, s[24:27], 0 offset:64 ; 4-byte Folded Reload
	buffer_load_dword v86, off, s[24:27], 0 offset:68 ; 4-byte Folded Reload
	buffer_load_dword v87, off, s[24:27], 0 offset:72 ; 4-byte Folded Reload
	buffer_load_dword v88, off, s[24:27], 0 offset:76 ; 4-byte Folded Reload
	s_waitcnt vmcnt(0)
	ds_write2_b64 v94, v[85:86], v[87:88] offset0:32 offset1:33
	buffer_load_dword v85, off, s[24:27], 0 offset:48 ; 4-byte Folded Reload
	buffer_load_dword v86, off, s[24:27], 0 offset:52 ; 4-byte Folded Reload
	buffer_load_dword v87, off, s[24:27], 0 offset:56 ; 4-byte Folded Reload
	buffer_load_dword v88, off, s[24:27], 0 offset:60 ; 4-byte Folded Reload
	s_waitcnt vmcnt(0)
	ds_write2_b64 v94, v[85:86], v[87:88] offset0:34 offset1:35
	buffer_load_dword v85, off, s[24:27], 0 offset:32 ; 4-byte Folded Reload
	buffer_load_dword v86, off, s[24:27], 0 offset:36 ; 4-byte Folded Reload
	buffer_load_dword v87, off, s[24:27], 0 offset:40 ; 4-byte Folded Reload
	buffer_load_dword v88, off, s[24:27], 0 offset:44 ; 4-byte Folded Reload
	s_waitcnt vmcnt(0)
	ds_write2_b64 v94, v[85:86], v[87:88] offset0:36 offset1:37
	buffer_load_dword v85, off, s[24:27], 0 offset:16 ; 4-byte Folded Reload
	buffer_load_dword v86, off, s[24:27], 0 offset:20 ; 4-byte Folded Reload
	buffer_load_dword v87, off, s[24:27], 0 offset:24 ; 4-byte Folded Reload
	buffer_load_dword v88, off, s[24:27], 0 offset:28 ; 4-byte Folded Reload
	s_waitcnt vmcnt(0)
	ds_write2_b64 v94, v[85:86], v[87:88] offset0:38 offset1:39
	buffer_load_dword v85, off, s[24:27], 0 ; 4-byte Folded Reload
	buffer_load_dword v86, off, s[24:27], 0 offset:4 ; 4-byte Folded Reload
	buffer_load_dword v87, off, s[24:27], 0 offset:8 ; 4-byte Folded Reload
	;; [unrolled: 1-line block ×3, first 2 shown]
	s_waitcnt vmcnt(0)
	ds_write2_b64 v94, v[85:86], v[87:88] offset0:40 offset1:41
	ds_write2_b64 v94, v[111:112], v[113:114] offset0:42 offset1:43
	;; [unrolled: 1-line block ×25, first 2 shown]
.LBB88_39:
	s_or_b64 exec, exec, s[0:1]
	v_cmp_lt_i32_e32 vcc, 1, v96
	s_waitcnt vmcnt(0) lgkmcnt(0)
	s_barrier
	s_and_saveexec_b64 s[0:1], vcc
	s_cbranch_execz .LBB88_41
; %bb.40:
	buffer_load_dword v104, off, s[24:27], 0 offset:312 ; 4-byte Folded Reload
	buffer_load_dword v105, off, s[24:27], 0 offset:316 ; 4-byte Folded Reload
	;; [unrolled: 1-line block ×4, first 2 shown]
	s_waitcnt vmcnt(0)
	v_mul_f64 v[97:98], v[119:120], v[106:107]
	v_fma_f64 v[125:126], v[117:118], v[104:105], -v[97:98]
	v_mul_f64 v[97:98], v[117:118], v[106:107]
	v_fma_f64 v[106:107], v[119:120], v[104:105], v[97:98]
	ds_read2_b64 v[97:100], v94 offset0:4 offset1:5
	buffer_load_dword v85, off, s[24:27], 0 offset:296 ; 4-byte Folded Reload
	buffer_load_dword v86, off, s[24:27], 0 offset:300 ; 4-byte Folded Reload
	buffer_load_dword v87, off, s[24:27], 0 offset:304 ; 4-byte Folded Reload
	buffer_load_dword v88, off, s[24:27], 0 offset:308 ; 4-byte Folded Reload
	s_waitcnt lgkmcnt(0)
	v_mul_f64 v[102:103], v[99:100], v[106:107]
	v_fma_f64 v[102:103], v[97:98], v[125:126], -v[102:103]
	v_mul_f64 v[97:98], v[97:98], v[106:107]
	v_fma_f64 v[97:98], v[99:100], v[125:126], v[97:98]
	s_waitcnt vmcnt(2)
	v_add_f64 v[85:86], v[85:86], -v[102:103]
	s_waitcnt vmcnt(0)
	v_add_f64 v[87:88], v[87:88], -v[97:98]
	buffer_store_dword v85, off, s[24:27], 0 offset:296 ; 4-byte Folded Spill
	s_nop 0
	buffer_store_dword v86, off, s[24:27], 0 offset:300 ; 4-byte Folded Spill
	buffer_store_dword v87, off, s[24:27], 0 offset:304 ; 4-byte Folded Spill
	buffer_store_dword v88, off, s[24:27], 0 offset:308 ; 4-byte Folded Spill
	ds_read2_b64 v[97:100], v94 offset0:6 offset1:7
	buffer_load_dword v85, off, s[24:27], 0 offset:272 ; 4-byte Folded Reload
	buffer_load_dword v86, off, s[24:27], 0 offset:276 ; 4-byte Folded Reload
	buffer_load_dword v87, off, s[24:27], 0 offset:280 ; 4-byte Folded Reload
	buffer_load_dword v88, off, s[24:27], 0 offset:284 ; 4-byte Folded Reload
	s_waitcnt lgkmcnt(0)
	v_mul_f64 v[102:103], v[99:100], v[106:107]
	v_fma_f64 v[102:103], v[97:98], v[125:126], -v[102:103]
	v_mul_f64 v[97:98], v[97:98], v[106:107]
	v_fma_f64 v[97:98], v[99:100], v[125:126], v[97:98]
	s_waitcnt vmcnt(2)
	v_add_f64 v[85:86], v[85:86], -v[102:103]
	s_waitcnt vmcnt(0)
	v_add_f64 v[87:88], v[87:88], -v[97:98]
	buffer_store_dword v85, off, s[24:27], 0 offset:272 ; 4-byte Folded Spill
	s_nop 0
	buffer_store_dword v86, off, s[24:27], 0 offset:276 ; 4-byte Folded Spill
	buffer_store_dword v87, off, s[24:27], 0 offset:280 ; 4-byte Folded Spill
	buffer_store_dword v88, off, s[24:27], 0 offset:284 ; 4-byte Folded Spill
	;; [unrolled: 19-line block ×18, first 2 shown]
	ds_read2_b64 v[97:100], v94 offset0:40 offset1:41
	buffer_load_dword v85, off, s[24:27], 0 ; 4-byte Folded Reload
	buffer_load_dword v86, off, s[24:27], 0 offset:4 ; 4-byte Folded Reload
	buffer_load_dword v87, off, s[24:27], 0 offset:8 ; 4-byte Folded Reload
	;; [unrolled: 1-line block ×3, first 2 shown]
	s_waitcnt lgkmcnt(0)
	v_mul_f64 v[102:103], v[99:100], v[106:107]
	v_fma_f64 v[102:103], v[97:98], v[125:126], -v[102:103]
	v_mul_f64 v[97:98], v[97:98], v[106:107]
	v_fma_f64 v[97:98], v[99:100], v[125:126], v[97:98]
	s_waitcnt vmcnt(2)
	v_add_f64 v[85:86], v[85:86], -v[102:103]
	s_waitcnt vmcnt(0)
	v_add_f64 v[87:88], v[87:88], -v[97:98]
	buffer_store_dword v85, off, s[24:27], 0 ; 4-byte Folded Spill
	s_nop 0
	buffer_store_dword v86, off, s[24:27], 0 offset:4 ; 4-byte Folded Spill
	buffer_store_dword v87, off, s[24:27], 0 offset:8 ; 4-byte Folded Spill
	;; [unrolled: 1-line block ×3, first 2 shown]
	ds_read2_b64 v[97:100], v94 offset0:42 offset1:43
	s_waitcnt lgkmcnt(0)
	v_mul_f64 v[102:103], v[99:100], v[106:107]
	v_fma_f64 v[102:103], v[97:98], v[125:126], -v[102:103]
	v_mul_f64 v[97:98], v[97:98], v[106:107]
	v_add_f64 v[111:112], v[111:112], -v[102:103]
	v_fma_f64 v[97:98], v[99:100], v[125:126], v[97:98]
	v_add_f64 v[113:114], v[113:114], -v[97:98]
	ds_read2_b64 v[97:100], v94 offset0:44 offset1:45
	s_waitcnt lgkmcnt(0)
	v_mul_f64 v[102:103], v[99:100], v[106:107]
	v_fma_f64 v[102:103], v[97:98], v[125:126], -v[102:103]
	v_mul_f64 v[97:98], v[97:98], v[106:107]
	v_add_f64 v[89:90], v[89:90], -v[102:103]
	v_fma_f64 v[97:98], v[99:100], v[125:126], v[97:98]
	v_add_f64 v[91:92], v[91:92], -v[97:98]
	;; [unrolled: 8-line block ×22, first 2 shown]
	ds_read2_b64 v[97:100], v94 offset0:86 offset1:87
	s_waitcnt lgkmcnt(0)
	v_mul_f64 v[102:103], v[99:100], v[106:107]
	v_fma_f64 v[102:103], v[97:98], v[125:126], -v[102:103]
	v_mul_f64 v[97:98], v[97:98], v[106:107]
	v_add_f64 v[1:2], v[1:2], -v[102:103]
	v_fma_f64 v[97:98], v[99:100], v[125:126], v[97:98]
	ds_read2_b64 v[102:105], v94 offset0:88 offset1:89
	s_waitcnt lgkmcnt(0)
	v_mul_f64 v[99:100], v[102:103], v[106:107]
	v_add_f64 v[3:4], v[3:4], -v[97:98]
	v_mul_f64 v[97:98], v[104:105], v[106:107]
	v_fma_f64 v[99:100], v[104:105], v[125:126], v[99:100]
	v_mov_b32_e32 v104, v125
	v_mov_b32_e32 v105, v126
	v_fma_f64 v[97:98], v[102:103], v[125:126], -v[97:98]
	buffer_store_dword v104, off, s[24:27], 0 offset:312 ; 4-byte Folded Spill
	s_nop 0
	buffer_store_dword v105, off, s[24:27], 0 offset:316 ; 4-byte Folded Spill
	buffer_store_dword v106, off, s[24:27], 0 offset:320 ; 4-byte Folded Spill
	;; [unrolled: 1-line block ×3, first 2 shown]
	v_add_f64 v[123:124], v[123:124], -v[99:100]
	v_add_f64 v[121:122], v[121:122], -v[97:98]
.LBB88_41:
	s_or_b64 exec, exec, s[0:1]
	s_waitcnt vmcnt(0)
	s_barrier
	buffer_load_dword v85, off, s[24:27], 0 offset:296 ; 4-byte Folded Reload
	buffer_load_dword v86, off, s[24:27], 0 offset:300 ; 4-byte Folded Reload
	;; [unrolled: 1-line block ×4, first 2 shown]
	v_lshl_add_u32 v97, v96, 4, v94
	s_cmp_lt_i32 s3, 4
	s_waitcnt vmcnt(0)
	ds_write2_b64 v97, v[85:86], v[87:88] offset1:1
	s_waitcnt lgkmcnt(0)
	s_barrier
	ds_read2_b64 v[117:120], v94 offset0:4 offset1:5
	v_mov_b32_e32 v97, 2
	s_cbranch_scc1 .LBB88_44
; %bb.42:
	v_add3_u32 v98, v101, 0, 48
	s_mov_b32 s0, 3
	v_mov_b32_e32 v97, 2
.LBB88_43:                              ; =>This Inner Loop Header: Depth=1
	s_waitcnt lgkmcnt(0)
	v_cmp_gt_f64_e32 vcc, 0, v[117:118]
	v_xor_b32_e32 v99, 0x80000000, v118
	ds_read2_b64 v[102:105], v98 offset1:1
	v_xor_b32_e32 v106, 0x80000000, v120
	v_add_u32_e32 v98, 16, v98
	s_waitcnt lgkmcnt(0)
	v_xor_b32_e32 v108, 0x80000000, v105
	v_cndmask_b32_e32 v100, v118, v99, vcc
	v_cmp_gt_f64_e32 vcc, 0, v[119:120]
	v_mov_b32_e32 v99, v117
	v_cndmask_b32_e32 v107, v120, v106, vcc
	v_cmp_gt_f64_e32 vcc, 0, v[102:103]
	v_mov_b32_e32 v106, v119
	v_add_f64 v[99:100], v[99:100], v[106:107]
	v_xor_b32_e32 v106, 0x80000000, v103
	v_cndmask_b32_e32 v107, v103, v106, vcc
	v_cmp_gt_f64_e32 vcc, 0, v[104:105]
	v_mov_b32_e32 v106, v102
	v_cndmask_b32_e32 v109, v105, v108, vcc
	v_mov_b32_e32 v108, v104
	v_add_f64 v[106:107], v[106:107], v[108:109]
	v_cmp_lt_f64_e32 vcc, v[99:100], v[106:107]
	v_mov_b32_e32 v99, s0
	s_add_i32 s0, s0, 1
	s_cmp_lg_u32 s3, s0
	v_cndmask_b32_e32 v118, v118, v103, vcc
	v_cndmask_b32_e32 v117, v117, v102, vcc
	;; [unrolled: 1-line block ×5, first 2 shown]
	s_cbranch_scc1 .LBB88_43
.LBB88_44:
	s_waitcnt lgkmcnt(0)
	v_cmp_eq_f64_e32 vcc, 0, v[117:118]
	v_cmp_eq_f64_e64 s[0:1], 0, v[119:120]
	s_and_b64 s[0:1], vcc, s[0:1]
	s_and_saveexec_b64 s[18:19], s[0:1]
	s_xor_b64 s[0:1], exec, s[18:19]
; %bb.45:
	v_cmp_ne_u32_e32 vcc, 0, v95
	v_cndmask_b32_e32 v95, 3, v95, vcc
; %bb.46:
	s_andn2_saveexec_b64 s[0:1], s[0:1]
	s_cbranch_execz .LBB88_52
; %bb.47:
	v_cmp_ngt_f64_e64 s[18:19], |v[117:118]|, |v[119:120]|
	s_and_saveexec_b64 s[20:21], s[18:19]
	s_xor_b64 s[18:19], exec, s[20:21]
	s_cbranch_execz .LBB88_49
; %bb.48:
	v_div_scale_f64 v[98:99], s[20:21], v[119:120], v[119:120], v[117:118]
	v_rcp_f64_e32 v[102:103], v[98:99]
	v_fma_f64 v[104:105], -v[98:99], v[102:103], 1.0
	v_fma_f64 v[102:103], v[102:103], v[104:105], v[102:103]
	v_div_scale_f64 v[104:105], vcc, v[117:118], v[119:120], v[117:118]
	v_fma_f64 v[106:107], -v[98:99], v[102:103], 1.0
	v_fma_f64 v[102:103], v[102:103], v[106:107], v[102:103]
	v_mul_f64 v[106:107], v[104:105], v[102:103]
	v_fma_f64 v[98:99], -v[98:99], v[106:107], v[104:105]
	v_div_fmas_f64 v[98:99], v[98:99], v[102:103], v[106:107]
	v_div_fixup_f64 v[98:99], v[98:99], v[119:120], v[117:118]
	v_fma_f64 v[102:103], v[117:118], v[98:99], v[119:120]
	v_mov_b32_e32 v120, v114
	v_mov_b32_e32 v119, v113
	;; [unrolled: 1-line block ×4, first 2 shown]
	v_div_scale_f64 v[104:105], s[20:21], v[102:103], v[102:103], 1.0
	v_div_scale_f64 v[110:111], vcc, 1.0, v[102:103], 1.0
	v_rcp_f64_e32 v[106:107], v[104:105]
	v_fma_f64 v[108:109], -v[104:105], v[106:107], 1.0
	v_fma_f64 v[106:107], v[106:107], v[108:109], v[106:107]
	v_fma_f64 v[108:109], -v[104:105], v[106:107], 1.0
	v_fma_f64 v[106:107], v[106:107], v[108:109], v[106:107]
	v_mul_f64 v[108:109], v[110:111], v[106:107]
	v_fma_f64 v[104:105], -v[104:105], v[108:109], v[110:111]
	v_mov_b32_e32 v111, v117
	v_mov_b32_e32 v112, v118
	;; [unrolled: 1-line block ×4, first 2 shown]
	v_div_fmas_f64 v[104:105], v[104:105], v[106:107], v[108:109]
	v_div_fixup_f64 v[119:120], v[104:105], v[102:103], 1.0
	v_mul_f64 v[117:118], v[98:99], v[119:120]
	v_xor_b32_e32 v120, 0x80000000, v120
.LBB88_49:
	s_andn2_saveexec_b64 s[18:19], s[18:19]
	s_cbranch_execz .LBB88_51
; %bb.50:
	v_div_scale_f64 v[98:99], s[20:21], v[117:118], v[117:118], v[119:120]
	v_rcp_f64_e32 v[102:103], v[98:99]
	v_fma_f64 v[104:105], -v[98:99], v[102:103], 1.0
	v_fma_f64 v[102:103], v[102:103], v[104:105], v[102:103]
	v_div_scale_f64 v[104:105], vcc, v[119:120], v[117:118], v[119:120]
	v_fma_f64 v[106:107], -v[98:99], v[102:103], 1.0
	v_fma_f64 v[102:103], v[102:103], v[106:107], v[102:103]
	v_mul_f64 v[106:107], v[104:105], v[102:103]
	v_fma_f64 v[98:99], -v[98:99], v[106:107], v[104:105]
	v_div_fmas_f64 v[98:99], v[98:99], v[102:103], v[106:107]
	v_div_fixup_f64 v[98:99], v[98:99], v[117:118], v[119:120]
	v_fma_f64 v[102:103], v[119:120], v[98:99], v[117:118]
	v_mov_b32_e32 v120, v114
	v_mov_b32_e32 v119, v113
	;; [unrolled: 1-line block ×4, first 2 shown]
	v_div_scale_f64 v[104:105], s[20:21], v[102:103], v[102:103], 1.0
	v_div_scale_f64 v[110:111], vcc, 1.0, v[102:103], 1.0
	v_rcp_f64_e32 v[106:107], v[104:105]
	v_fma_f64 v[108:109], -v[104:105], v[106:107], 1.0
	v_fma_f64 v[106:107], v[106:107], v[108:109], v[106:107]
	v_fma_f64 v[108:109], -v[104:105], v[106:107], 1.0
	v_fma_f64 v[106:107], v[106:107], v[108:109], v[106:107]
	v_mul_f64 v[108:109], v[110:111], v[106:107]
	v_fma_f64 v[104:105], -v[104:105], v[108:109], v[110:111]
	v_mov_b32_e32 v111, v117
	v_mov_b32_e32 v112, v118
	;; [unrolled: 1-line block ×4, first 2 shown]
	v_div_fmas_f64 v[104:105], v[104:105], v[106:107], v[108:109]
	v_div_fixup_f64 v[117:118], v[104:105], v[102:103], 1.0
	v_mul_f64 v[119:120], v[98:99], -v[117:118]
.LBB88_51:
	s_or_b64 exec, exec, s[18:19]
.LBB88_52:
	s_or_b64 exec, exec, s[0:1]
	v_cmp_ne_u32_e32 vcc, v96, v97
	s_and_saveexec_b64 s[0:1], vcc
	s_xor_b64 s[0:1], exec, s[0:1]
	s_cbranch_execz .LBB88_58
; %bb.53:
	v_cmp_eq_u32_e32 vcc, 2, v96
	s_and_saveexec_b64 s[18:19], vcc
	s_cbranch_execz .LBB88_57
; %bb.54:
	v_cmp_ne_u32_e32 vcc, 2, v97
	s_xor_b64 s[20:21], s[6:7], -1
	s_and_b64 s[22:23], s[20:21], vcc
	s_and_saveexec_b64 s[20:21], s[22:23]
	s_cbranch_execz .LBB88_56
; %bb.55:
	buffer_load_dword v85, off, s[24:27], 0 offset:288 ; 4-byte Folded Reload
	buffer_load_dword v86, off, s[24:27], 0 offset:292 ; 4-byte Folded Reload
	v_ashrrev_i32_e32 v98, 31, v97
	v_lshlrev_b64 v[98:99], 2, v[97:98]
	s_waitcnt vmcnt(1)
	v_add_co_u32_e32 v98, vcc, v85, v98
	s_waitcnt vmcnt(0)
	v_addc_co_u32_e32 v99, vcc, v86, v99, vcc
	global_load_dword v0, v[98:99], off
	global_load_dword v96, v[85:86], off offset:8
	s_waitcnt vmcnt(1)
	global_store_dword v[85:86], v0, off offset:8
	s_waitcnt vmcnt(1)
	global_store_dword v[98:99], v96, off
.LBB88_56:
	s_or_b64 exec, exec, s[20:21]
	v_mov_b32_e32 v96, v97
	v_mov_b32_e32 v0, v97
.LBB88_57:
	s_or_b64 exec, exec, s[18:19]
.LBB88_58:
	s_andn2_saveexec_b64 s[0:1], s[0:1]
	s_cbranch_execz .LBB88_60
; %bb.59:
	buffer_load_dword v85, off, s[24:27], 0 offset:272 ; 4-byte Folded Reload
	buffer_load_dword v86, off, s[24:27], 0 offset:276 ; 4-byte Folded Reload
	;; [unrolled: 1-line block ×4, first 2 shown]
	v_mov_b32_e32 v96, 2
	s_waitcnt vmcnt(0)
	ds_write2_b64 v94, v[85:86], v[87:88] offset0:6 offset1:7
	buffer_load_dword v85, off, s[24:27], 0 offset:256 ; 4-byte Folded Reload
	buffer_load_dword v86, off, s[24:27], 0 offset:260 ; 4-byte Folded Reload
	buffer_load_dword v87, off, s[24:27], 0 offset:264 ; 4-byte Folded Reload
	buffer_load_dword v88, off, s[24:27], 0 offset:268 ; 4-byte Folded Reload
	s_waitcnt vmcnt(0)
	ds_write2_b64 v94, v[85:86], v[87:88] offset0:8 offset1:9
	buffer_load_dword v85, off, s[24:27], 0 offset:240 ; 4-byte Folded Reload
	buffer_load_dword v86, off, s[24:27], 0 offset:244 ; 4-byte Folded Reload
	buffer_load_dword v87, off, s[24:27], 0 offset:248 ; 4-byte Folded Reload
	buffer_load_dword v88, off, s[24:27], 0 offset:252 ; 4-byte Folded Reload
	;; [unrolled: 6-line block ×16, first 2 shown]
	s_waitcnt vmcnt(0)
	ds_write2_b64 v94, v[85:86], v[87:88] offset0:38 offset1:39
	buffer_load_dword v85, off, s[24:27], 0 ; 4-byte Folded Reload
	buffer_load_dword v86, off, s[24:27], 0 offset:4 ; 4-byte Folded Reload
	buffer_load_dword v87, off, s[24:27], 0 offset:8 ; 4-byte Folded Reload
	;; [unrolled: 1-line block ×3, first 2 shown]
	s_waitcnt vmcnt(0)
	ds_write2_b64 v94, v[85:86], v[87:88] offset0:40 offset1:41
	ds_write2_b64 v94, v[111:112], v[113:114] offset0:42 offset1:43
	;; [unrolled: 1-line block ×25, first 2 shown]
.LBB88_60:
	s_or_b64 exec, exec, s[0:1]
	v_cmp_lt_i32_e32 vcc, 2, v96
	s_waitcnt vmcnt(0) lgkmcnt(0)
	s_barrier
	s_and_saveexec_b64 s[0:1], vcc
	s_cbranch_execz .LBB88_62
; %bb.61:
	buffer_load_dword v102, off, s[24:27], 0 offset:296 ; 4-byte Folded Reload
	buffer_load_dword v103, off, s[24:27], 0 offset:300 ; 4-byte Folded Reload
	buffer_load_dword v104, off, s[24:27], 0 offset:304 ; 4-byte Folded Reload
	buffer_load_dword v105, off, s[24:27], 0 offset:308 ; 4-byte Folded Reload
	s_waitcnt vmcnt(0)
	v_mul_f64 v[97:98], v[119:120], v[104:105]
	v_fma_f64 v[125:126], v[117:118], v[102:103], -v[97:98]
	v_mul_f64 v[97:98], v[117:118], v[104:105]
	v_fma_f64 v[104:105], v[119:120], v[102:103], v[97:98]
	ds_read2_b64 v[97:100], v94 offset0:6 offset1:7
	buffer_load_dword v85, off, s[24:27], 0 offset:272 ; 4-byte Folded Reload
	buffer_load_dword v86, off, s[24:27], 0 offset:276 ; 4-byte Folded Reload
	buffer_load_dword v87, off, s[24:27], 0 offset:280 ; 4-byte Folded Reload
	buffer_load_dword v88, off, s[24:27], 0 offset:284 ; 4-byte Folded Reload
	s_waitcnt lgkmcnt(0)
	v_mul_f64 v[102:103], v[99:100], v[104:105]
	v_fma_f64 v[102:103], v[97:98], v[125:126], -v[102:103]
	v_mul_f64 v[97:98], v[97:98], v[104:105]
	v_fma_f64 v[97:98], v[99:100], v[125:126], v[97:98]
	s_waitcnt vmcnt(2)
	v_add_f64 v[85:86], v[85:86], -v[102:103]
	s_waitcnt vmcnt(0)
	v_add_f64 v[87:88], v[87:88], -v[97:98]
	buffer_store_dword v85, off, s[24:27], 0 offset:272 ; 4-byte Folded Spill
	s_nop 0
	buffer_store_dword v86, off, s[24:27], 0 offset:276 ; 4-byte Folded Spill
	buffer_store_dword v87, off, s[24:27], 0 offset:280 ; 4-byte Folded Spill
	buffer_store_dword v88, off, s[24:27], 0 offset:284 ; 4-byte Folded Spill
	ds_read2_b64 v[97:100], v94 offset0:8 offset1:9
	buffer_load_dword v85, off, s[24:27], 0 offset:256 ; 4-byte Folded Reload
	buffer_load_dword v86, off, s[24:27], 0 offset:260 ; 4-byte Folded Reload
	buffer_load_dword v87, off, s[24:27], 0 offset:264 ; 4-byte Folded Reload
	buffer_load_dword v88, off, s[24:27], 0 offset:268 ; 4-byte Folded Reload
	s_waitcnt lgkmcnt(0)
	v_mul_f64 v[102:103], v[99:100], v[104:105]
	v_fma_f64 v[102:103], v[97:98], v[125:126], -v[102:103]
	v_mul_f64 v[97:98], v[97:98], v[104:105]
	v_fma_f64 v[97:98], v[99:100], v[125:126], v[97:98]
	s_waitcnt vmcnt(2)
	v_add_f64 v[85:86], v[85:86], -v[102:103]
	s_waitcnt vmcnt(0)
	v_add_f64 v[87:88], v[87:88], -v[97:98]
	buffer_store_dword v85, off, s[24:27], 0 offset:256 ; 4-byte Folded Spill
	s_nop 0
	buffer_store_dword v86, off, s[24:27], 0 offset:260 ; 4-byte Folded Spill
	buffer_store_dword v87, off, s[24:27], 0 offset:264 ; 4-byte Folded Spill
	buffer_store_dword v88, off, s[24:27], 0 offset:268 ; 4-byte Folded Spill
	;; [unrolled: 19-line block ×17, first 2 shown]
	ds_read2_b64 v[97:100], v94 offset0:40 offset1:41
	buffer_load_dword v85, off, s[24:27], 0 ; 4-byte Folded Reload
	buffer_load_dword v86, off, s[24:27], 0 offset:4 ; 4-byte Folded Reload
	buffer_load_dword v87, off, s[24:27], 0 offset:8 ; 4-byte Folded Reload
	;; [unrolled: 1-line block ×3, first 2 shown]
	s_waitcnt lgkmcnt(0)
	v_mul_f64 v[102:103], v[99:100], v[104:105]
	v_fma_f64 v[102:103], v[97:98], v[125:126], -v[102:103]
	v_mul_f64 v[97:98], v[97:98], v[104:105]
	v_fma_f64 v[97:98], v[99:100], v[125:126], v[97:98]
	s_waitcnt vmcnt(2)
	v_add_f64 v[85:86], v[85:86], -v[102:103]
	s_waitcnt vmcnt(0)
	v_add_f64 v[87:88], v[87:88], -v[97:98]
	buffer_store_dword v85, off, s[24:27], 0 ; 4-byte Folded Spill
	s_nop 0
	buffer_store_dword v86, off, s[24:27], 0 offset:4 ; 4-byte Folded Spill
	buffer_store_dword v87, off, s[24:27], 0 offset:8 ; 4-byte Folded Spill
	;; [unrolled: 1-line block ×3, first 2 shown]
	ds_read2_b64 v[97:100], v94 offset0:42 offset1:43
	s_waitcnt lgkmcnt(0)
	v_mul_f64 v[102:103], v[99:100], v[104:105]
	v_fma_f64 v[102:103], v[97:98], v[125:126], -v[102:103]
	v_mul_f64 v[97:98], v[97:98], v[104:105]
	v_add_f64 v[111:112], v[111:112], -v[102:103]
	v_fma_f64 v[97:98], v[99:100], v[125:126], v[97:98]
	v_add_f64 v[113:114], v[113:114], -v[97:98]
	ds_read2_b64 v[97:100], v94 offset0:44 offset1:45
	s_waitcnt lgkmcnt(0)
	v_mul_f64 v[102:103], v[99:100], v[104:105]
	v_fma_f64 v[102:103], v[97:98], v[125:126], -v[102:103]
	v_mul_f64 v[97:98], v[97:98], v[104:105]
	v_add_f64 v[89:90], v[89:90], -v[102:103]
	v_fma_f64 v[97:98], v[99:100], v[125:126], v[97:98]
	v_add_f64 v[91:92], v[91:92], -v[97:98]
	;; [unrolled: 8-line block ×23, first 2 shown]
	ds_read2_b64 v[97:100], v94 offset0:88 offset1:89
	s_waitcnt lgkmcnt(0)
	v_mul_f64 v[102:103], v[99:100], v[104:105]
	v_fma_f64 v[102:103], v[97:98], v[125:126], -v[102:103]
	v_mul_f64 v[97:98], v[97:98], v[104:105]
	v_add_f64 v[121:122], v[121:122], -v[102:103]
	v_fma_f64 v[97:98], v[99:100], v[125:126], v[97:98]
	v_mov_b32_e32 v102, v125
	v_mov_b32_e32 v103, v126
	buffer_store_dword v102, off, s[24:27], 0 offset:296 ; 4-byte Folded Spill
	s_nop 0
	buffer_store_dword v103, off, s[24:27], 0 offset:300 ; 4-byte Folded Spill
	buffer_store_dword v104, off, s[24:27], 0 offset:304 ; 4-byte Folded Spill
	buffer_store_dword v105, off, s[24:27], 0 offset:308 ; 4-byte Folded Spill
	v_add_f64 v[123:124], v[123:124], -v[97:98]
.LBB88_62:
	s_or_b64 exec, exec, s[0:1]
	s_waitcnt vmcnt(0)
	s_barrier
	buffer_load_dword v85, off, s[24:27], 0 offset:272 ; 4-byte Folded Reload
	buffer_load_dword v86, off, s[24:27], 0 offset:276 ; 4-byte Folded Reload
	;; [unrolled: 1-line block ×4, first 2 shown]
	v_lshl_add_u32 v97, v96, 4, v94
	s_mov_b32 s0, 4
	s_cmp_lt_i32 s3, 5
	s_waitcnt vmcnt(0)
	ds_write2_b64 v97, v[85:86], v[87:88] offset1:1
	s_waitcnt lgkmcnt(0)
	s_barrier
	ds_read2_b64 v[117:120], v94 offset0:6 offset1:7
	v_mov_b32_e32 v97, 3
	s_cbranch_scc1 .LBB88_65
; %bb.63:
	v_add3_u32 v98, v101, 0, 64
	v_mov_b32_e32 v97, 3
.LBB88_64:                              ; =>This Inner Loop Header: Depth=1
	s_waitcnt lgkmcnt(0)
	v_cmp_gt_f64_e32 vcc, 0, v[117:118]
	v_xor_b32_e32 v103, 0x80000000, v118
	ds_read2_b64 v[99:102], v98 offset1:1
	v_xor_b32_e32 v105, 0x80000000, v120
	v_add_u32_e32 v98, 16, v98
	s_waitcnt lgkmcnt(0)
	v_xor_b32_e32 v107, 0x80000000, v102
	v_cndmask_b32_e32 v104, v118, v103, vcc
	v_cmp_gt_f64_e32 vcc, 0, v[119:120]
	v_mov_b32_e32 v103, v117
	v_cndmask_b32_e32 v106, v120, v105, vcc
	v_cmp_gt_f64_e32 vcc, 0, v[99:100]
	v_mov_b32_e32 v105, v119
	v_add_f64 v[103:104], v[103:104], v[105:106]
	v_xor_b32_e32 v105, 0x80000000, v100
	v_cndmask_b32_e32 v106, v100, v105, vcc
	v_cmp_gt_f64_e32 vcc, 0, v[101:102]
	v_mov_b32_e32 v105, v99
	v_cndmask_b32_e32 v108, v102, v107, vcc
	v_mov_b32_e32 v107, v101
	v_add_f64 v[105:106], v[105:106], v[107:108]
	v_cmp_lt_f64_e32 vcc, v[103:104], v[105:106]
	v_cndmask_b32_e32 v117, v117, v99, vcc
	v_mov_b32_e32 v99, s0
	s_add_i32 s0, s0, 1
	v_cndmask_b32_e32 v118, v118, v100, vcc
	v_cndmask_b32_e32 v120, v120, v102, vcc
	;; [unrolled: 1-line block ×4, first 2 shown]
	s_cmp_lg_u32 s3, s0
	s_cbranch_scc1 .LBB88_64
.LBB88_65:
	s_waitcnt lgkmcnt(0)
	v_cmp_eq_f64_e32 vcc, 0, v[117:118]
	v_cmp_eq_f64_e64 s[0:1], 0, v[119:120]
	s_and_b64 s[0:1], vcc, s[0:1]
	s_and_saveexec_b64 s[18:19], s[0:1]
	s_xor_b64 s[0:1], exec, s[18:19]
; %bb.66:
	v_cmp_ne_u32_e32 vcc, 0, v95
	v_cndmask_b32_e32 v95, 4, v95, vcc
; %bb.67:
	s_andn2_saveexec_b64 s[0:1], s[0:1]
	s_cbranch_execz .LBB88_73
; %bb.68:
	v_cmp_ngt_f64_e64 s[18:19], |v[117:118]|, |v[119:120]|
	s_and_saveexec_b64 s[20:21], s[18:19]
	s_xor_b64 s[18:19], exec, s[20:21]
	s_cbranch_execz .LBB88_70
; %bb.69:
	v_div_scale_f64 v[98:99], s[20:21], v[119:120], v[119:120], v[117:118]
	v_rcp_f64_e32 v[100:101], v[98:99]
	v_fma_f64 v[102:103], -v[98:99], v[100:101], 1.0
	v_fma_f64 v[100:101], v[100:101], v[102:103], v[100:101]
	v_div_scale_f64 v[102:103], vcc, v[117:118], v[119:120], v[117:118]
	v_fma_f64 v[104:105], -v[98:99], v[100:101], 1.0
	v_fma_f64 v[100:101], v[100:101], v[104:105], v[100:101]
	v_mul_f64 v[104:105], v[102:103], v[100:101]
	v_fma_f64 v[98:99], -v[98:99], v[104:105], v[102:103]
	v_div_fmas_f64 v[98:99], v[98:99], v[100:101], v[104:105]
	v_div_fixup_f64 v[98:99], v[98:99], v[119:120], v[117:118]
	v_fma_f64 v[100:101], v[117:118], v[98:99], v[119:120]
	v_div_scale_f64 v[102:103], s[20:21], v[100:101], v[100:101], 1.0
	v_div_scale_f64 v[108:109], vcc, 1.0, v[100:101], 1.0
	v_rcp_f64_e32 v[104:105], v[102:103]
	v_fma_f64 v[106:107], -v[102:103], v[104:105], 1.0
	v_fma_f64 v[104:105], v[104:105], v[106:107], v[104:105]
	v_fma_f64 v[106:107], -v[102:103], v[104:105], 1.0
	v_fma_f64 v[104:105], v[104:105], v[106:107], v[104:105]
	v_mul_f64 v[106:107], v[108:109], v[104:105]
	v_fma_f64 v[102:103], -v[102:103], v[106:107], v[108:109]
	v_div_fmas_f64 v[102:103], v[102:103], v[104:105], v[106:107]
	v_div_fixup_f64 v[119:120], v[102:103], v[100:101], 1.0
	v_mul_f64 v[117:118], v[98:99], v[119:120]
	v_xor_b32_e32 v120, 0x80000000, v120
.LBB88_70:
	s_andn2_saveexec_b64 s[18:19], s[18:19]
	s_cbranch_execz .LBB88_72
; %bb.71:
	v_div_scale_f64 v[98:99], s[20:21], v[117:118], v[117:118], v[119:120]
	v_rcp_f64_e32 v[100:101], v[98:99]
	v_fma_f64 v[102:103], -v[98:99], v[100:101], 1.0
	v_fma_f64 v[100:101], v[100:101], v[102:103], v[100:101]
	v_div_scale_f64 v[102:103], vcc, v[119:120], v[117:118], v[119:120]
	v_fma_f64 v[104:105], -v[98:99], v[100:101], 1.0
	v_fma_f64 v[100:101], v[100:101], v[104:105], v[100:101]
	v_mul_f64 v[104:105], v[102:103], v[100:101]
	v_fma_f64 v[98:99], -v[98:99], v[104:105], v[102:103]
	v_div_fmas_f64 v[98:99], v[98:99], v[100:101], v[104:105]
	v_div_fixup_f64 v[98:99], v[98:99], v[117:118], v[119:120]
	v_fma_f64 v[100:101], v[119:120], v[98:99], v[117:118]
	v_div_scale_f64 v[102:103], s[20:21], v[100:101], v[100:101], 1.0
	v_div_scale_f64 v[108:109], vcc, 1.0, v[100:101], 1.0
	v_rcp_f64_e32 v[104:105], v[102:103]
	v_fma_f64 v[106:107], -v[102:103], v[104:105], 1.0
	v_fma_f64 v[104:105], v[104:105], v[106:107], v[104:105]
	v_fma_f64 v[106:107], -v[102:103], v[104:105], 1.0
	v_fma_f64 v[104:105], v[104:105], v[106:107], v[104:105]
	v_mul_f64 v[106:107], v[108:109], v[104:105]
	v_fma_f64 v[102:103], -v[102:103], v[106:107], v[108:109]
	v_div_fmas_f64 v[102:103], v[102:103], v[104:105], v[106:107]
	v_div_fixup_f64 v[117:118], v[102:103], v[100:101], 1.0
	v_mul_f64 v[119:120], v[98:99], -v[117:118]
.LBB88_72:
	s_or_b64 exec, exec, s[18:19]
.LBB88_73:
	s_or_b64 exec, exec, s[0:1]
	v_cmp_ne_u32_e32 vcc, v96, v97
	s_and_saveexec_b64 s[0:1], vcc
	s_xor_b64 s[0:1], exec, s[0:1]
	s_cbranch_execz .LBB88_79
; %bb.74:
	v_cmp_eq_u32_e32 vcc, 3, v96
	s_and_saveexec_b64 s[18:19], vcc
	s_cbranch_execz .LBB88_78
; %bb.75:
	v_cmp_ne_u32_e32 vcc, 3, v97
	s_xor_b64 s[20:21], s[6:7], -1
	s_and_b64 s[22:23], s[20:21], vcc
	s_and_saveexec_b64 s[20:21], s[22:23]
	s_cbranch_execz .LBB88_77
; %bb.76:
	buffer_load_dword v85, off, s[24:27], 0 offset:288 ; 4-byte Folded Reload
	buffer_load_dword v86, off, s[24:27], 0 offset:292 ; 4-byte Folded Reload
	v_ashrrev_i32_e32 v98, 31, v97
	v_lshlrev_b64 v[98:99], 2, v[97:98]
	s_waitcnt vmcnt(1)
	v_add_co_u32_e32 v98, vcc, v85, v98
	s_waitcnt vmcnt(0)
	v_addc_co_u32_e32 v99, vcc, v86, v99, vcc
	global_load_dword v0, v[98:99], off
	global_load_dword v96, v[85:86], off offset:12
	s_waitcnt vmcnt(1)
	global_store_dword v[85:86], v0, off offset:12
	s_waitcnt vmcnt(1)
	global_store_dword v[98:99], v96, off
.LBB88_77:
	s_or_b64 exec, exec, s[20:21]
	v_mov_b32_e32 v96, v97
	v_mov_b32_e32 v0, v97
.LBB88_78:
	s_or_b64 exec, exec, s[18:19]
.LBB88_79:
	s_andn2_saveexec_b64 s[0:1], s[0:1]
	s_cbranch_execz .LBB88_81
; %bb.80:
	buffer_load_dword v85, off, s[24:27], 0 offset:256 ; 4-byte Folded Reload
	buffer_load_dword v86, off, s[24:27], 0 offset:260 ; 4-byte Folded Reload
	;; [unrolled: 1-line block ×4, first 2 shown]
	v_mov_b32_e32 v96, 3
	s_waitcnt vmcnt(0)
	ds_write2_b64 v94, v[85:86], v[87:88] offset0:8 offset1:9
	buffer_load_dword v85, off, s[24:27], 0 offset:240 ; 4-byte Folded Reload
	buffer_load_dword v86, off, s[24:27], 0 offset:244 ; 4-byte Folded Reload
	buffer_load_dword v87, off, s[24:27], 0 offset:248 ; 4-byte Folded Reload
	buffer_load_dword v88, off, s[24:27], 0 offset:252 ; 4-byte Folded Reload
	s_waitcnt vmcnt(0)
	ds_write2_b64 v94, v[85:86], v[87:88] offset0:10 offset1:11
	buffer_load_dword v85, off, s[24:27], 0 offset:224 ; 4-byte Folded Reload
	buffer_load_dword v86, off, s[24:27], 0 offset:228 ; 4-byte Folded Reload
	buffer_load_dword v87, off, s[24:27], 0 offset:232 ; 4-byte Folded Reload
	buffer_load_dword v88, off, s[24:27], 0 offset:236 ; 4-byte Folded Reload
	;; [unrolled: 6-line block ×15, first 2 shown]
	s_waitcnt vmcnt(0)
	ds_write2_b64 v94, v[85:86], v[87:88] offset0:38 offset1:39
	buffer_load_dword v85, off, s[24:27], 0 ; 4-byte Folded Reload
	buffer_load_dword v86, off, s[24:27], 0 offset:4 ; 4-byte Folded Reload
	buffer_load_dword v87, off, s[24:27], 0 offset:8 ; 4-byte Folded Reload
	;; [unrolled: 1-line block ×3, first 2 shown]
	s_waitcnt vmcnt(0)
	ds_write2_b64 v94, v[85:86], v[87:88] offset0:40 offset1:41
	ds_write2_b64 v94, v[111:112], v[113:114] offset0:42 offset1:43
	;; [unrolled: 1-line block ×25, first 2 shown]
.LBB88_81:
	s_or_b64 exec, exec, s[0:1]
	v_cmp_lt_i32_e32 vcc, 3, v96
	s_waitcnt vmcnt(0) lgkmcnt(0)
	s_barrier
	s_and_saveexec_b64 s[0:1], vcc
	s_cbranch_execz .LBB88_83
; %bb.82:
	buffer_load_dword v101, off, s[24:27], 0 offset:272 ; 4-byte Folded Reload
	buffer_load_dword v102, off, s[24:27], 0 offset:276 ; 4-byte Folded Reload
	;; [unrolled: 1-line block ×4, first 2 shown]
	s_waitcnt vmcnt(0)
	v_mul_f64 v[97:98], v[119:120], v[103:104]
	v_fma_f64 v[125:126], v[117:118], v[101:102], -v[97:98]
	v_mul_f64 v[97:98], v[117:118], v[103:104]
	v_fma_f64 v[103:104], v[119:120], v[101:102], v[97:98]
	ds_read2_b64 v[97:100], v94 offset0:8 offset1:9
	buffer_load_dword v85, off, s[24:27], 0 offset:256 ; 4-byte Folded Reload
	buffer_load_dword v86, off, s[24:27], 0 offset:260 ; 4-byte Folded Reload
	buffer_load_dword v87, off, s[24:27], 0 offset:264 ; 4-byte Folded Reload
	buffer_load_dword v88, off, s[24:27], 0 offset:268 ; 4-byte Folded Reload
	s_waitcnt lgkmcnt(0)
	v_mul_f64 v[101:102], v[99:100], v[103:104]
	v_fma_f64 v[101:102], v[97:98], v[125:126], -v[101:102]
	v_mul_f64 v[97:98], v[97:98], v[103:104]
	v_fma_f64 v[97:98], v[99:100], v[125:126], v[97:98]
	s_waitcnt vmcnt(2)
	v_add_f64 v[85:86], v[85:86], -v[101:102]
	s_waitcnt vmcnt(0)
	v_add_f64 v[87:88], v[87:88], -v[97:98]
	buffer_store_dword v85, off, s[24:27], 0 offset:256 ; 4-byte Folded Spill
	s_nop 0
	buffer_store_dword v86, off, s[24:27], 0 offset:260 ; 4-byte Folded Spill
	buffer_store_dword v87, off, s[24:27], 0 offset:264 ; 4-byte Folded Spill
	buffer_store_dword v88, off, s[24:27], 0 offset:268 ; 4-byte Folded Spill
	ds_read2_b64 v[97:100], v94 offset0:10 offset1:11
	buffer_load_dword v85, off, s[24:27], 0 offset:240 ; 4-byte Folded Reload
	buffer_load_dword v86, off, s[24:27], 0 offset:244 ; 4-byte Folded Reload
	buffer_load_dword v87, off, s[24:27], 0 offset:248 ; 4-byte Folded Reload
	buffer_load_dword v88, off, s[24:27], 0 offset:252 ; 4-byte Folded Reload
	s_waitcnt lgkmcnt(0)
	v_mul_f64 v[101:102], v[99:100], v[103:104]
	v_fma_f64 v[101:102], v[97:98], v[125:126], -v[101:102]
	v_mul_f64 v[97:98], v[97:98], v[103:104]
	v_fma_f64 v[97:98], v[99:100], v[125:126], v[97:98]
	s_waitcnt vmcnt(2)
	v_add_f64 v[85:86], v[85:86], -v[101:102]
	s_waitcnt vmcnt(0)
	v_add_f64 v[87:88], v[87:88], -v[97:98]
	buffer_store_dword v85, off, s[24:27], 0 offset:240 ; 4-byte Folded Spill
	s_nop 0
	buffer_store_dword v86, off, s[24:27], 0 offset:244 ; 4-byte Folded Spill
	buffer_store_dword v87, off, s[24:27], 0 offset:248 ; 4-byte Folded Spill
	buffer_store_dword v88, off, s[24:27], 0 offset:252 ; 4-byte Folded Spill
	;; [unrolled: 19-line block ×16, first 2 shown]
	ds_read2_b64 v[97:100], v94 offset0:40 offset1:41
	buffer_load_dword v85, off, s[24:27], 0 ; 4-byte Folded Reload
	buffer_load_dword v86, off, s[24:27], 0 offset:4 ; 4-byte Folded Reload
	buffer_load_dword v87, off, s[24:27], 0 offset:8 ; 4-byte Folded Reload
	;; [unrolled: 1-line block ×3, first 2 shown]
	s_waitcnt lgkmcnt(0)
	v_mul_f64 v[101:102], v[99:100], v[103:104]
	v_fma_f64 v[101:102], v[97:98], v[125:126], -v[101:102]
	v_mul_f64 v[97:98], v[97:98], v[103:104]
	v_fma_f64 v[97:98], v[99:100], v[125:126], v[97:98]
	s_waitcnt vmcnt(2)
	v_add_f64 v[85:86], v[85:86], -v[101:102]
	s_waitcnt vmcnt(0)
	v_add_f64 v[87:88], v[87:88], -v[97:98]
	buffer_store_dword v85, off, s[24:27], 0 ; 4-byte Folded Spill
	s_nop 0
	buffer_store_dword v86, off, s[24:27], 0 offset:4 ; 4-byte Folded Spill
	buffer_store_dword v87, off, s[24:27], 0 offset:8 ; 4-byte Folded Spill
	;; [unrolled: 1-line block ×3, first 2 shown]
	ds_read2_b64 v[97:100], v94 offset0:42 offset1:43
	s_waitcnt lgkmcnt(0)
	v_mul_f64 v[101:102], v[99:100], v[103:104]
	v_fma_f64 v[101:102], v[97:98], v[125:126], -v[101:102]
	v_mul_f64 v[97:98], v[97:98], v[103:104]
	v_add_f64 v[111:112], v[111:112], -v[101:102]
	v_fma_f64 v[97:98], v[99:100], v[125:126], v[97:98]
	v_add_f64 v[113:114], v[113:114], -v[97:98]
	ds_read2_b64 v[97:100], v94 offset0:44 offset1:45
	s_waitcnt lgkmcnt(0)
	v_mul_f64 v[101:102], v[99:100], v[103:104]
	v_fma_f64 v[101:102], v[97:98], v[125:126], -v[101:102]
	v_mul_f64 v[97:98], v[97:98], v[103:104]
	v_add_f64 v[89:90], v[89:90], -v[101:102]
	v_fma_f64 v[97:98], v[99:100], v[125:126], v[97:98]
	v_add_f64 v[91:92], v[91:92], -v[97:98]
	;; [unrolled: 8-line block ×23, first 2 shown]
	ds_read2_b64 v[97:100], v94 offset0:88 offset1:89
	s_waitcnt lgkmcnt(0)
	v_mul_f64 v[101:102], v[99:100], v[103:104]
	v_fma_f64 v[101:102], v[97:98], v[125:126], -v[101:102]
	v_mul_f64 v[97:98], v[97:98], v[103:104]
	v_add_f64 v[121:122], v[121:122], -v[101:102]
	v_fma_f64 v[97:98], v[99:100], v[125:126], v[97:98]
	v_mov_b32_e32 v101, v125
	v_mov_b32_e32 v102, v126
	buffer_store_dword v101, off, s[24:27], 0 offset:272 ; 4-byte Folded Spill
	s_nop 0
	buffer_store_dword v102, off, s[24:27], 0 offset:276 ; 4-byte Folded Spill
	buffer_store_dword v103, off, s[24:27], 0 offset:280 ; 4-byte Folded Spill
	;; [unrolled: 1-line block ×3, first 2 shown]
	v_add_f64 v[123:124], v[123:124], -v[97:98]
.LBB88_83:
	s_or_b64 exec, exec, s[0:1]
	s_waitcnt vmcnt(0)
	s_barrier
	buffer_load_dword v85, off, s[24:27], 0 offset:256 ; 4-byte Folded Reload
	buffer_load_dword v86, off, s[24:27], 0 offset:260 ; 4-byte Folded Reload
	;; [unrolled: 1-line block ×4, first 2 shown]
	v_lshl_add_u32 v97, v96, 4, v94
	s_cmp_lt_i32 s3, 6
	s_waitcnt vmcnt(0)
	ds_write2_b64 v97, v[85:86], v[87:88] offset1:1
	s_waitcnt lgkmcnt(0)
	s_barrier
	ds_read2_b64 v[117:120], v94 offset0:8 offset1:9
	v_mov_b32_e32 v97, 4
	s_cbranch_scc1 .LBB88_86
; %bb.84:
	v_mov_b32_e32 v97, 4
	v_add_u32_e32 v98, 0x50, v94
	s_mov_b32 s0, 5
.LBB88_85:                              ; =>This Inner Loop Header: Depth=1
	s_waitcnt lgkmcnt(0)
	v_cmp_gt_f64_e32 vcc, 0, v[117:118]
	v_xor_b32_e32 v103, 0x80000000, v118
	ds_read2_b64 v[99:102], v98 offset1:1
	v_xor_b32_e32 v105, 0x80000000, v120
	v_add_u32_e32 v98, 16, v98
	s_waitcnt lgkmcnt(0)
	v_xor_b32_e32 v107, 0x80000000, v102
	v_cndmask_b32_e32 v104, v118, v103, vcc
	v_cmp_gt_f64_e32 vcc, 0, v[119:120]
	v_mov_b32_e32 v103, v117
	v_cndmask_b32_e32 v106, v120, v105, vcc
	v_cmp_gt_f64_e32 vcc, 0, v[99:100]
	v_mov_b32_e32 v105, v119
	v_add_f64 v[103:104], v[103:104], v[105:106]
	v_xor_b32_e32 v105, 0x80000000, v100
	v_cndmask_b32_e32 v106, v100, v105, vcc
	v_cmp_gt_f64_e32 vcc, 0, v[101:102]
	v_mov_b32_e32 v105, v99
	v_cndmask_b32_e32 v108, v102, v107, vcc
	v_mov_b32_e32 v107, v101
	v_add_f64 v[105:106], v[105:106], v[107:108]
	v_cmp_lt_f64_e32 vcc, v[103:104], v[105:106]
	v_cndmask_b32_e32 v117, v117, v99, vcc
	v_mov_b32_e32 v99, s0
	s_add_i32 s0, s0, 1
	v_cndmask_b32_e32 v118, v118, v100, vcc
	v_cndmask_b32_e32 v120, v120, v102, vcc
	;; [unrolled: 1-line block ×4, first 2 shown]
	s_cmp_lg_u32 s3, s0
	s_cbranch_scc1 .LBB88_85
.LBB88_86:
	s_waitcnt lgkmcnt(0)
	v_cmp_eq_f64_e32 vcc, 0, v[117:118]
	v_cmp_eq_f64_e64 s[0:1], 0, v[119:120]
	s_and_b64 s[0:1], vcc, s[0:1]
	s_and_saveexec_b64 s[18:19], s[0:1]
	s_xor_b64 s[0:1], exec, s[18:19]
; %bb.87:
	v_cmp_ne_u32_e32 vcc, 0, v95
	v_cndmask_b32_e32 v95, 5, v95, vcc
; %bb.88:
	s_andn2_saveexec_b64 s[0:1], s[0:1]
	s_cbranch_execz .LBB88_94
; %bb.89:
	v_cmp_ngt_f64_e64 s[18:19], |v[117:118]|, |v[119:120]|
	s_and_saveexec_b64 s[20:21], s[18:19]
	s_xor_b64 s[18:19], exec, s[20:21]
	s_cbranch_execz .LBB88_91
; %bb.90:
	v_div_scale_f64 v[98:99], s[20:21], v[119:120], v[119:120], v[117:118]
	v_rcp_f64_e32 v[100:101], v[98:99]
	v_fma_f64 v[102:103], -v[98:99], v[100:101], 1.0
	v_fma_f64 v[100:101], v[100:101], v[102:103], v[100:101]
	v_div_scale_f64 v[102:103], vcc, v[117:118], v[119:120], v[117:118]
	v_fma_f64 v[104:105], -v[98:99], v[100:101], 1.0
	v_fma_f64 v[100:101], v[100:101], v[104:105], v[100:101]
	v_mul_f64 v[104:105], v[102:103], v[100:101]
	v_fma_f64 v[98:99], -v[98:99], v[104:105], v[102:103]
	v_div_fmas_f64 v[98:99], v[98:99], v[100:101], v[104:105]
	v_div_fixup_f64 v[98:99], v[98:99], v[119:120], v[117:118]
	v_fma_f64 v[100:101], v[117:118], v[98:99], v[119:120]
	v_div_scale_f64 v[102:103], s[20:21], v[100:101], v[100:101], 1.0
	v_div_scale_f64 v[108:109], vcc, 1.0, v[100:101], 1.0
	v_rcp_f64_e32 v[104:105], v[102:103]
	v_fma_f64 v[106:107], -v[102:103], v[104:105], 1.0
	v_fma_f64 v[104:105], v[104:105], v[106:107], v[104:105]
	v_fma_f64 v[106:107], -v[102:103], v[104:105], 1.0
	v_fma_f64 v[104:105], v[104:105], v[106:107], v[104:105]
	v_mul_f64 v[106:107], v[108:109], v[104:105]
	v_fma_f64 v[102:103], -v[102:103], v[106:107], v[108:109]
	v_div_fmas_f64 v[102:103], v[102:103], v[104:105], v[106:107]
	v_div_fixup_f64 v[119:120], v[102:103], v[100:101], 1.0
	v_mul_f64 v[117:118], v[98:99], v[119:120]
	v_xor_b32_e32 v120, 0x80000000, v120
.LBB88_91:
	s_andn2_saveexec_b64 s[18:19], s[18:19]
	s_cbranch_execz .LBB88_93
; %bb.92:
	v_div_scale_f64 v[98:99], s[20:21], v[117:118], v[117:118], v[119:120]
	v_rcp_f64_e32 v[100:101], v[98:99]
	v_fma_f64 v[102:103], -v[98:99], v[100:101], 1.0
	v_fma_f64 v[100:101], v[100:101], v[102:103], v[100:101]
	v_div_scale_f64 v[102:103], vcc, v[119:120], v[117:118], v[119:120]
	v_fma_f64 v[104:105], -v[98:99], v[100:101], 1.0
	v_fma_f64 v[100:101], v[100:101], v[104:105], v[100:101]
	v_mul_f64 v[104:105], v[102:103], v[100:101]
	v_fma_f64 v[98:99], -v[98:99], v[104:105], v[102:103]
	v_div_fmas_f64 v[98:99], v[98:99], v[100:101], v[104:105]
	v_div_fixup_f64 v[98:99], v[98:99], v[117:118], v[119:120]
	v_fma_f64 v[100:101], v[119:120], v[98:99], v[117:118]
	v_div_scale_f64 v[102:103], s[20:21], v[100:101], v[100:101], 1.0
	v_div_scale_f64 v[108:109], vcc, 1.0, v[100:101], 1.0
	v_rcp_f64_e32 v[104:105], v[102:103]
	v_fma_f64 v[106:107], -v[102:103], v[104:105], 1.0
	v_fma_f64 v[104:105], v[104:105], v[106:107], v[104:105]
	v_fma_f64 v[106:107], -v[102:103], v[104:105], 1.0
	v_fma_f64 v[104:105], v[104:105], v[106:107], v[104:105]
	v_mul_f64 v[106:107], v[108:109], v[104:105]
	v_fma_f64 v[102:103], -v[102:103], v[106:107], v[108:109]
	v_div_fmas_f64 v[102:103], v[102:103], v[104:105], v[106:107]
	v_div_fixup_f64 v[117:118], v[102:103], v[100:101], 1.0
	v_mul_f64 v[119:120], v[98:99], -v[117:118]
.LBB88_93:
	s_or_b64 exec, exec, s[18:19]
.LBB88_94:
	s_or_b64 exec, exec, s[0:1]
	v_cmp_ne_u32_e32 vcc, v96, v97
	s_and_saveexec_b64 s[0:1], vcc
	s_xor_b64 s[0:1], exec, s[0:1]
	s_cbranch_execz .LBB88_100
; %bb.95:
	v_cmp_eq_u32_e32 vcc, 4, v96
	s_and_saveexec_b64 s[18:19], vcc
	s_cbranch_execz .LBB88_99
; %bb.96:
	v_cmp_ne_u32_e32 vcc, 4, v97
	s_xor_b64 s[20:21], s[6:7], -1
	s_and_b64 s[22:23], s[20:21], vcc
	s_and_saveexec_b64 s[20:21], s[22:23]
	s_cbranch_execz .LBB88_98
; %bb.97:
	buffer_load_dword v85, off, s[24:27], 0 offset:288 ; 4-byte Folded Reload
	buffer_load_dword v86, off, s[24:27], 0 offset:292 ; 4-byte Folded Reload
	v_ashrrev_i32_e32 v98, 31, v97
	v_lshlrev_b64 v[98:99], 2, v[97:98]
	s_waitcnt vmcnt(1)
	v_add_co_u32_e32 v98, vcc, v85, v98
	s_waitcnt vmcnt(0)
	v_addc_co_u32_e32 v99, vcc, v86, v99, vcc
	global_load_dword v0, v[98:99], off
	global_load_dword v96, v[85:86], off offset:16
	s_waitcnt vmcnt(1)
	global_store_dword v[85:86], v0, off offset:16
	s_waitcnt vmcnt(1)
	global_store_dword v[98:99], v96, off
.LBB88_98:
	s_or_b64 exec, exec, s[20:21]
	v_mov_b32_e32 v96, v97
	v_mov_b32_e32 v0, v97
.LBB88_99:
	s_or_b64 exec, exec, s[18:19]
.LBB88_100:
	s_andn2_saveexec_b64 s[0:1], s[0:1]
	s_cbranch_execz .LBB88_102
; %bb.101:
	buffer_load_dword v85, off, s[24:27], 0 offset:240 ; 4-byte Folded Reload
	buffer_load_dword v86, off, s[24:27], 0 offset:244 ; 4-byte Folded Reload
	;; [unrolled: 1-line block ×4, first 2 shown]
	v_mov_b32_e32 v96, 4
	s_waitcnt vmcnt(0)
	ds_write2_b64 v94, v[85:86], v[87:88] offset0:10 offset1:11
	buffer_load_dword v85, off, s[24:27], 0 offset:224 ; 4-byte Folded Reload
	buffer_load_dword v86, off, s[24:27], 0 offset:228 ; 4-byte Folded Reload
	buffer_load_dword v87, off, s[24:27], 0 offset:232 ; 4-byte Folded Reload
	buffer_load_dword v88, off, s[24:27], 0 offset:236 ; 4-byte Folded Reload
	s_waitcnt vmcnt(0)
	ds_write2_b64 v94, v[85:86], v[87:88] offset0:12 offset1:13
	buffer_load_dword v85, off, s[24:27], 0 offset:208 ; 4-byte Folded Reload
	buffer_load_dword v86, off, s[24:27], 0 offset:212 ; 4-byte Folded Reload
	buffer_load_dword v87, off, s[24:27], 0 offset:216 ; 4-byte Folded Reload
	buffer_load_dword v88, off, s[24:27], 0 offset:220 ; 4-byte Folded Reload
	;; [unrolled: 6-line block ×14, first 2 shown]
	s_waitcnt vmcnt(0)
	ds_write2_b64 v94, v[85:86], v[87:88] offset0:38 offset1:39
	buffer_load_dword v85, off, s[24:27], 0 ; 4-byte Folded Reload
	buffer_load_dword v86, off, s[24:27], 0 offset:4 ; 4-byte Folded Reload
	buffer_load_dword v87, off, s[24:27], 0 offset:8 ; 4-byte Folded Reload
	;; [unrolled: 1-line block ×3, first 2 shown]
	s_waitcnt vmcnt(0)
	ds_write2_b64 v94, v[85:86], v[87:88] offset0:40 offset1:41
	ds_write2_b64 v94, v[111:112], v[113:114] offset0:42 offset1:43
	;; [unrolled: 1-line block ×25, first 2 shown]
.LBB88_102:
	s_or_b64 exec, exec, s[0:1]
	v_cmp_lt_i32_e32 vcc, 4, v96
	s_waitcnt vmcnt(0) lgkmcnt(0)
	s_barrier
	s_and_saveexec_b64 s[0:1], vcc
	s_cbranch_execz .LBB88_104
; %bb.103:
	buffer_load_dword v101, off, s[24:27], 0 offset:256 ; 4-byte Folded Reload
	buffer_load_dword v102, off, s[24:27], 0 offset:260 ; 4-byte Folded Reload
	;; [unrolled: 1-line block ×4, first 2 shown]
	s_waitcnt vmcnt(0)
	v_mul_f64 v[97:98], v[119:120], v[103:104]
	v_fma_f64 v[125:126], v[117:118], v[101:102], -v[97:98]
	v_mul_f64 v[97:98], v[117:118], v[103:104]
	v_fma_f64 v[103:104], v[119:120], v[101:102], v[97:98]
	ds_read2_b64 v[97:100], v94 offset0:10 offset1:11
	buffer_load_dword v85, off, s[24:27], 0 offset:240 ; 4-byte Folded Reload
	buffer_load_dword v86, off, s[24:27], 0 offset:244 ; 4-byte Folded Reload
	buffer_load_dword v87, off, s[24:27], 0 offset:248 ; 4-byte Folded Reload
	buffer_load_dword v88, off, s[24:27], 0 offset:252 ; 4-byte Folded Reload
	s_waitcnt lgkmcnt(0)
	v_mul_f64 v[101:102], v[99:100], v[103:104]
	v_fma_f64 v[101:102], v[97:98], v[125:126], -v[101:102]
	v_mul_f64 v[97:98], v[97:98], v[103:104]
	v_fma_f64 v[97:98], v[99:100], v[125:126], v[97:98]
	s_waitcnt vmcnt(2)
	v_add_f64 v[85:86], v[85:86], -v[101:102]
	s_waitcnt vmcnt(0)
	v_add_f64 v[87:88], v[87:88], -v[97:98]
	buffer_store_dword v85, off, s[24:27], 0 offset:240 ; 4-byte Folded Spill
	s_nop 0
	buffer_store_dword v86, off, s[24:27], 0 offset:244 ; 4-byte Folded Spill
	buffer_store_dword v87, off, s[24:27], 0 offset:248 ; 4-byte Folded Spill
	buffer_store_dword v88, off, s[24:27], 0 offset:252 ; 4-byte Folded Spill
	ds_read2_b64 v[97:100], v94 offset0:12 offset1:13
	buffer_load_dword v85, off, s[24:27], 0 offset:224 ; 4-byte Folded Reload
	buffer_load_dword v86, off, s[24:27], 0 offset:228 ; 4-byte Folded Reload
	buffer_load_dword v87, off, s[24:27], 0 offset:232 ; 4-byte Folded Reload
	buffer_load_dword v88, off, s[24:27], 0 offset:236 ; 4-byte Folded Reload
	s_waitcnt lgkmcnt(0)
	v_mul_f64 v[101:102], v[99:100], v[103:104]
	v_fma_f64 v[101:102], v[97:98], v[125:126], -v[101:102]
	v_mul_f64 v[97:98], v[97:98], v[103:104]
	v_fma_f64 v[97:98], v[99:100], v[125:126], v[97:98]
	s_waitcnt vmcnt(2)
	v_add_f64 v[85:86], v[85:86], -v[101:102]
	s_waitcnt vmcnt(0)
	v_add_f64 v[87:88], v[87:88], -v[97:98]
	buffer_store_dword v85, off, s[24:27], 0 offset:224 ; 4-byte Folded Spill
	s_nop 0
	buffer_store_dword v86, off, s[24:27], 0 offset:228 ; 4-byte Folded Spill
	buffer_store_dword v87, off, s[24:27], 0 offset:232 ; 4-byte Folded Spill
	buffer_store_dword v88, off, s[24:27], 0 offset:236 ; 4-byte Folded Spill
	;; [unrolled: 19-line block ×15, first 2 shown]
	ds_read2_b64 v[97:100], v94 offset0:40 offset1:41
	buffer_load_dword v85, off, s[24:27], 0 ; 4-byte Folded Reload
	buffer_load_dword v86, off, s[24:27], 0 offset:4 ; 4-byte Folded Reload
	buffer_load_dword v87, off, s[24:27], 0 offset:8 ; 4-byte Folded Reload
	;; [unrolled: 1-line block ×3, first 2 shown]
	s_waitcnt lgkmcnt(0)
	v_mul_f64 v[101:102], v[99:100], v[103:104]
	v_fma_f64 v[101:102], v[97:98], v[125:126], -v[101:102]
	v_mul_f64 v[97:98], v[97:98], v[103:104]
	v_fma_f64 v[97:98], v[99:100], v[125:126], v[97:98]
	s_waitcnt vmcnt(2)
	v_add_f64 v[85:86], v[85:86], -v[101:102]
	s_waitcnt vmcnt(0)
	v_add_f64 v[87:88], v[87:88], -v[97:98]
	buffer_store_dword v85, off, s[24:27], 0 ; 4-byte Folded Spill
	s_nop 0
	buffer_store_dword v86, off, s[24:27], 0 offset:4 ; 4-byte Folded Spill
	buffer_store_dword v87, off, s[24:27], 0 offset:8 ; 4-byte Folded Spill
	;; [unrolled: 1-line block ×3, first 2 shown]
	ds_read2_b64 v[97:100], v94 offset0:42 offset1:43
	s_waitcnt lgkmcnt(0)
	v_mul_f64 v[101:102], v[99:100], v[103:104]
	v_fma_f64 v[101:102], v[97:98], v[125:126], -v[101:102]
	v_mul_f64 v[97:98], v[97:98], v[103:104]
	v_add_f64 v[111:112], v[111:112], -v[101:102]
	v_fma_f64 v[97:98], v[99:100], v[125:126], v[97:98]
	v_add_f64 v[113:114], v[113:114], -v[97:98]
	ds_read2_b64 v[97:100], v94 offset0:44 offset1:45
	s_waitcnt lgkmcnt(0)
	v_mul_f64 v[101:102], v[99:100], v[103:104]
	v_fma_f64 v[101:102], v[97:98], v[125:126], -v[101:102]
	v_mul_f64 v[97:98], v[97:98], v[103:104]
	v_add_f64 v[89:90], v[89:90], -v[101:102]
	v_fma_f64 v[97:98], v[99:100], v[125:126], v[97:98]
	v_add_f64 v[91:92], v[91:92], -v[97:98]
	;; [unrolled: 8-line block ×23, first 2 shown]
	ds_read2_b64 v[97:100], v94 offset0:88 offset1:89
	s_waitcnt lgkmcnt(0)
	v_mul_f64 v[101:102], v[99:100], v[103:104]
	v_fma_f64 v[101:102], v[97:98], v[125:126], -v[101:102]
	v_mul_f64 v[97:98], v[97:98], v[103:104]
	v_add_f64 v[121:122], v[121:122], -v[101:102]
	v_fma_f64 v[97:98], v[99:100], v[125:126], v[97:98]
	v_mov_b32_e32 v101, v125
	v_mov_b32_e32 v102, v126
	buffer_store_dword v101, off, s[24:27], 0 offset:256 ; 4-byte Folded Spill
	s_nop 0
	buffer_store_dword v102, off, s[24:27], 0 offset:260 ; 4-byte Folded Spill
	buffer_store_dword v103, off, s[24:27], 0 offset:264 ; 4-byte Folded Spill
	;; [unrolled: 1-line block ×3, first 2 shown]
	v_add_f64 v[123:124], v[123:124], -v[97:98]
.LBB88_104:
	s_or_b64 exec, exec, s[0:1]
	s_waitcnt vmcnt(0)
	s_barrier
	buffer_load_dword v85, off, s[24:27], 0 offset:240 ; 4-byte Folded Reload
	buffer_load_dword v86, off, s[24:27], 0 offset:244 ; 4-byte Folded Reload
	;; [unrolled: 1-line block ×4, first 2 shown]
	v_lshl_add_u32 v97, v96, 4, v94
	s_cmp_lt_i32 s3, 7
	s_waitcnt vmcnt(0)
	ds_write2_b64 v97, v[85:86], v[87:88] offset1:1
	s_waitcnt lgkmcnt(0)
	s_barrier
	ds_read2_b64 v[117:120], v94 offset0:10 offset1:11
	v_mov_b32_e32 v97, 5
	s_cbranch_scc1 .LBB88_107
; %bb.105:
	v_add_u32_e32 v98, 0x60, v94
	s_mov_b32 s0, 6
	v_mov_b32_e32 v97, 5
.LBB88_106:                             ; =>This Inner Loop Header: Depth=1
	s_waitcnt lgkmcnt(0)
	v_cmp_gt_f64_e32 vcc, 0, v[117:118]
	v_xor_b32_e32 v103, 0x80000000, v118
	ds_read2_b64 v[99:102], v98 offset1:1
	v_xor_b32_e32 v105, 0x80000000, v120
	v_add_u32_e32 v98, 16, v98
	s_waitcnt lgkmcnt(0)
	v_xor_b32_e32 v107, 0x80000000, v102
	v_cndmask_b32_e32 v104, v118, v103, vcc
	v_cmp_gt_f64_e32 vcc, 0, v[119:120]
	v_mov_b32_e32 v103, v117
	v_cndmask_b32_e32 v106, v120, v105, vcc
	v_cmp_gt_f64_e32 vcc, 0, v[99:100]
	v_mov_b32_e32 v105, v119
	v_add_f64 v[103:104], v[103:104], v[105:106]
	v_xor_b32_e32 v105, 0x80000000, v100
	v_cndmask_b32_e32 v106, v100, v105, vcc
	v_cmp_gt_f64_e32 vcc, 0, v[101:102]
	v_mov_b32_e32 v105, v99
	v_cndmask_b32_e32 v108, v102, v107, vcc
	v_mov_b32_e32 v107, v101
	v_add_f64 v[105:106], v[105:106], v[107:108]
	v_cmp_lt_f64_e32 vcc, v[103:104], v[105:106]
	v_cndmask_b32_e32 v117, v117, v99, vcc
	v_mov_b32_e32 v99, s0
	s_add_i32 s0, s0, 1
	v_cndmask_b32_e32 v118, v118, v100, vcc
	v_cndmask_b32_e32 v120, v120, v102, vcc
	;; [unrolled: 1-line block ×4, first 2 shown]
	s_cmp_lg_u32 s3, s0
	s_cbranch_scc1 .LBB88_106
.LBB88_107:
	s_waitcnt lgkmcnt(0)
	v_cmp_eq_f64_e32 vcc, 0, v[117:118]
	v_cmp_eq_f64_e64 s[0:1], 0, v[119:120]
	s_and_b64 s[0:1], vcc, s[0:1]
	s_and_saveexec_b64 s[18:19], s[0:1]
	s_xor_b64 s[0:1], exec, s[18:19]
; %bb.108:
	v_cmp_ne_u32_e32 vcc, 0, v95
	v_cndmask_b32_e32 v95, 6, v95, vcc
; %bb.109:
	s_andn2_saveexec_b64 s[0:1], s[0:1]
	s_cbranch_execz .LBB88_115
; %bb.110:
	v_cmp_ngt_f64_e64 s[18:19], |v[117:118]|, |v[119:120]|
	s_and_saveexec_b64 s[20:21], s[18:19]
	s_xor_b64 s[18:19], exec, s[20:21]
	s_cbranch_execz .LBB88_112
; %bb.111:
	v_div_scale_f64 v[98:99], s[20:21], v[119:120], v[119:120], v[117:118]
	v_rcp_f64_e32 v[100:101], v[98:99]
	v_fma_f64 v[102:103], -v[98:99], v[100:101], 1.0
	v_fma_f64 v[100:101], v[100:101], v[102:103], v[100:101]
	v_div_scale_f64 v[102:103], vcc, v[117:118], v[119:120], v[117:118]
	v_fma_f64 v[104:105], -v[98:99], v[100:101], 1.0
	v_fma_f64 v[100:101], v[100:101], v[104:105], v[100:101]
	v_mul_f64 v[104:105], v[102:103], v[100:101]
	v_fma_f64 v[98:99], -v[98:99], v[104:105], v[102:103]
	v_div_fmas_f64 v[98:99], v[98:99], v[100:101], v[104:105]
	v_div_fixup_f64 v[98:99], v[98:99], v[119:120], v[117:118]
	v_fma_f64 v[100:101], v[117:118], v[98:99], v[119:120]
	v_div_scale_f64 v[102:103], s[20:21], v[100:101], v[100:101], 1.0
	v_div_scale_f64 v[108:109], vcc, 1.0, v[100:101], 1.0
	v_rcp_f64_e32 v[104:105], v[102:103]
	v_fma_f64 v[106:107], -v[102:103], v[104:105], 1.0
	v_fma_f64 v[104:105], v[104:105], v[106:107], v[104:105]
	v_fma_f64 v[106:107], -v[102:103], v[104:105], 1.0
	v_fma_f64 v[104:105], v[104:105], v[106:107], v[104:105]
	v_mul_f64 v[106:107], v[108:109], v[104:105]
	v_fma_f64 v[102:103], -v[102:103], v[106:107], v[108:109]
	v_div_fmas_f64 v[102:103], v[102:103], v[104:105], v[106:107]
	v_div_fixup_f64 v[119:120], v[102:103], v[100:101], 1.0
	v_mul_f64 v[117:118], v[98:99], v[119:120]
	v_xor_b32_e32 v120, 0x80000000, v120
.LBB88_112:
	s_andn2_saveexec_b64 s[18:19], s[18:19]
	s_cbranch_execz .LBB88_114
; %bb.113:
	v_div_scale_f64 v[98:99], s[20:21], v[117:118], v[117:118], v[119:120]
	v_rcp_f64_e32 v[100:101], v[98:99]
	v_fma_f64 v[102:103], -v[98:99], v[100:101], 1.0
	v_fma_f64 v[100:101], v[100:101], v[102:103], v[100:101]
	v_div_scale_f64 v[102:103], vcc, v[119:120], v[117:118], v[119:120]
	v_fma_f64 v[104:105], -v[98:99], v[100:101], 1.0
	v_fma_f64 v[100:101], v[100:101], v[104:105], v[100:101]
	v_mul_f64 v[104:105], v[102:103], v[100:101]
	v_fma_f64 v[98:99], -v[98:99], v[104:105], v[102:103]
	v_div_fmas_f64 v[98:99], v[98:99], v[100:101], v[104:105]
	v_div_fixup_f64 v[98:99], v[98:99], v[117:118], v[119:120]
	v_fma_f64 v[100:101], v[119:120], v[98:99], v[117:118]
	v_div_scale_f64 v[102:103], s[20:21], v[100:101], v[100:101], 1.0
	v_div_scale_f64 v[108:109], vcc, 1.0, v[100:101], 1.0
	v_rcp_f64_e32 v[104:105], v[102:103]
	v_fma_f64 v[106:107], -v[102:103], v[104:105], 1.0
	v_fma_f64 v[104:105], v[104:105], v[106:107], v[104:105]
	v_fma_f64 v[106:107], -v[102:103], v[104:105], 1.0
	v_fma_f64 v[104:105], v[104:105], v[106:107], v[104:105]
	v_mul_f64 v[106:107], v[108:109], v[104:105]
	v_fma_f64 v[102:103], -v[102:103], v[106:107], v[108:109]
	v_div_fmas_f64 v[102:103], v[102:103], v[104:105], v[106:107]
	v_div_fixup_f64 v[117:118], v[102:103], v[100:101], 1.0
	v_mul_f64 v[119:120], v[98:99], -v[117:118]
.LBB88_114:
	s_or_b64 exec, exec, s[18:19]
.LBB88_115:
	s_or_b64 exec, exec, s[0:1]
	v_cmp_ne_u32_e32 vcc, v96, v97
	s_and_saveexec_b64 s[0:1], vcc
	s_xor_b64 s[0:1], exec, s[0:1]
	s_cbranch_execz .LBB88_121
; %bb.116:
	v_cmp_eq_u32_e32 vcc, 5, v96
	s_and_saveexec_b64 s[18:19], vcc
	s_cbranch_execz .LBB88_120
; %bb.117:
	v_cmp_ne_u32_e32 vcc, 5, v97
	s_xor_b64 s[20:21], s[6:7], -1
	s_and_b64 s[22:23], s[20:21], vcc
	s_and_saveexec_b64 s[20:21], s[22:23]
	s_cbranch_execz .LBB88_119
; %bb.118:
	buffer_load_dword v85, off, s[24:27], 0 offset:288 ; 4-byte Folded Reload
	buffer_load_dword v86, off, s[24:27], 0 offset:292 ; 4-byte Folded Reload
	v_ashrrev_i32_e32 v98, 31, v97
	v_lshlrev_b64 v[98:99], 2, v[97:98]
	s_waitcnt vmcnt(1)
	v_add_co_u32_e32 v98, vcc, v85, v98
	s_waitcnt vmcnt(0)
	v_addc_co_u32_e32 v99, vcc, v86, v99, vcc
	global_load_dword v0, v[98:99], off
	global_load_dword v96, v[85:86], off offset:20
	s_waitcnt vmcnt(1)
	global_store_dword v[85:86], v0, off offset:20
	s_waitcnt vmcnt(1)
	global_store_dword v[98:99], v96, off
.LBB88_119:
	s_or_b64 exec, exec, s[20:21]
	v_mov_b32_e32 v96, v97
	v_mov_b32_e32 v0, v97
.LBB88_120:
	s_or_b64 exec, exec, s[18:19]
.LBB88_121:
	s_andn2_saveexec_b64 s[0:1], s[0:1]
	s_cbranch_execz .LBB88_123
; %bb.122:
	buffer_load_dword v85, off, s[24:27], 0 offset:224 ; 4-byte Folded Reload
	buffer_load_dword v86, off, s[24:27], 0 offset:228 ; 4-byte Folded Reload
	;; [unrolled: 1-line block ×4, first 2 shown]
	v_mov_b32_e32 v96, 5
	s_waitcnt vmcnt(0)
	ds_write2_b64 v94, v[85:86], v[87:88] offset0:12 offset1:13
	buffer_load_dword v85, off, s[24:27], 0 offset:208 ; 4-byte Folded Reload
	buffer_load_dword v86, off, s[24:27], 0 offset:212 ; 4-byte Folded Reload
	buffer_load_dword v87, off, s[24:27], 0 offset:216 ; 4-byte Folded Reload
	buffer_load_dword v88, off, s[24:27], 0 offset:220 ; 4-byte Folded Reload
	s_waitcnt vmcnt(0)
	ds_write2_b64 v94, v[85:86], v[87:88] offset0:14 offset1:15
	buffer_load_dword v85, off, s[24:27], 0 offset:192 ; 4-byte Folded Reload
	buffer_load_dword v86, off, s[24:27], 0 offset:196 ; 4-byte Folded Reload
	buffer_load_dword v87, off, s[24:27], 0 offset:200 ; 4-byte Folded Reload
	buffer_load_dword v88, off, s[24:27], 0 offset:204 ; 4-byte Folded Reload
	;; [unrolled: 6-line block ×13, first 2 shown]
	s_waitcnt vmcnt(0)
	ds_write2_b64 v94, v[85:86], v[87:88] offset0:38 offset1:39
	buffer_load_dword v85, off, s[24:27], 0 ; 4-byte Folded Reload
	buffer_load_dword v86, off, s[24:27], 0 offset:4 ; 4-byte Folded Reload
	buffer_load_dword v87, off, s[24:27], 0 offset:8 ; 4-byte Folded Reload
	;; [unrolled: 1-line block ×3, first 2 shown]
	s_waitcnt vmcnt(0)
	ds_write2_b64 v94, v[85:86], v[87:88] offset0:40 offset1:41
	ds_write2_b64 v94, v[111:112], v[113:114] offset0:42 offset1:43
	;; [unrolled: 1-line block ×25, first 2 shown]
.LBB88_123:
	s_or_b64 exec, exec, s[0:1]
	v_cmp_lt_i32_e32 vcc, 5, v96
	s_waitcnt vmcnt(0) lgkmcnt(0)
	s_barrier
	s_and_saveexec_b64 s[0:1], vcc
	s_cbranch_execz .LBB88_125
; %bb.124:
	buffer_load_dword v101, off, s[24:27], 0 offset:240 ; 4-byte Folded Reload
	buffer_load_dword v102, off, s[24:27], 0 offset:244 ; 4-byte Folded Reload
	;; [unrolled: 1-line block ×4, first 2 shown]
	s_waitcnt vmcnt(0)
	v_mul_f64 v[97:98], v[119:120], v[103:104]
	v_fma_f64 v[125:126], v[117:118], v[101:102], -v[97:98]
	v_mul_f64 v[97:98], v[117:118], v[103:104]
	v_fma_f64 v[103:104], v[119:120], v[101:102], v[97:98]
	ds_read2_b64 v[97:100], v94 offset0:12 offset1:13
	buffer_load_dword v85, off, s[24:27], 0 offset:224 ; 4-byte Folded Reload
	buffer_load_dword v86, off, s[24:27], 0 offset:228 ; 4-byte Folded Reload
	buffer_load_dword v87, off, s[24:27], 0 offset:232 ; 4-byte Folded Reload
	buffer_load_dword v88, off, s[24:27], 0 offset:236 ; 4-byte Folded Reload
	s_waitcnt lgkmcnt(0)
	v_mul_f64 v[101:102], v[99:100], v[103:104]
	v_fma_f64 v[101:102], v[97:98], v[125:126], -v[101:102]
	v_mul_f64 v[97:98], v[97:98], v[103:104]
	v_fma_f64 v[97:98], v[99:100], v[125:126], v[97:98]
	s_waitcnt vmcnt(2)
	v_add_f64 v[85:86], v[85:86], -v[101:102]
	s_waitcnt vmcnt(0)
	v_add_f64 v[87:88], v[87:88], -v[97:98]
	buffer_store_dword v85, off, s[24:27], 0 offset:224 ; 4-byte Folded Spill
	s_nop 0
	buffer_store_dword v86, off, s[24:27], 0 offset:228 ; 4-byte Folded Spill
	buffer_store_dword v87, off, s[24:27], 0 offset:232 ; 4-byte Folded Spill
	buffer_store_dword v88, off, s[24:27], 0 offset:236 ; 4-byte Folded Spill
	ds_read2_b64 v[97:100], v94 offset0:14 offset1:15
	buffer_load_dword v85, off, s[24:27], 0 offset:208 ; 4-byte Folded Reload
	buffer_load_dword v86, off, s[24:27], 0 offset:212 ; 4-byte Folded Reload
	buffer_load_dword v87, off, s[24:27], 0 offset:216 ; 4-byte Folded Reload
	buffer_load_dword v88, off, s[24:27], 0 offset:220 ; 4-byte Folded Reload
	s_waitcnt lgkmcnt(0)
	v_mul_f64 v[101:102], v[99:100], v[103:104]
	v_fma_f64 v[101:102], v[97:98], v[125:126], -v[101:102]
	v_mul_f64 v[97:98], v[97:98], v[103:104]
	v_fma_f64 v[97:98], v[99:100], v[125:126], v[97:98]
	s_waitcnt vmcnt(2)
	v_add_f64 v[85:86], v[85:86], -v[101:102]
	s_waitcnt vmcnt(0)
	v_add_f64 v[87:88], v[87:88], -v[97:98]
	buffer_store_dword v85, off, s[24:27], 0 offset:208 ; 4-byte Folded Spill
	s_nop 0
	buffer_store_dword v86, off, s[24:27], 0 offset:212 ; 4-byte Folded Spill
	buffer_store_dword v87, off, s[24:27], 0 offset:216 ; 4-byte Folded Spill
	buffer_store_dword v88, off, s[24:27], 0 offset:220 ; 4-byte Folded Spill
	;; [unrolled: 19-line block ×14, first 2 shown]
	ds_read2_b64 v[97:100], v94 offset0:40 offset1:41
	buffer_load_dword v85, off, s[24:27], 0 ; 4-byte Folded Reload
	buffer_load_dword v86, off, s[24:27], 0 offset:4 ; 4-byte Folded Reload
	buffer_load_dword v87, off, s[24:27], 0 offset:8 ; 4-byte Folded Reload
	;; [unrolled: 1-line block ×3, first 2 shown]
	s_waitcnt lgkmcnt(0)
	v_mul_f64 v[101:102], v[99:100], v[103:104]
	v_fma_f64 v[101:102], v[97:98], v[125:126], -v[101:102]
	v_mul_f64 v[97:98], v[97:98], v[103:104]
	v_fma_f64 v[97:98], v[99:100], v[125:126], v[97:98]
	s_waitcnt vmcnt(2)
	v_add_f64 v[85:86], v[85:86], -v[101:102]
	s_waitcnt vmcnt(0)
	v_add_f64 v[87:88], v[87:88], -v[97:98]
	buffer_store_dword v85, off, s[24:27], 0 ; 4-byte Folded Spill
	s_nop 0
	buffer_store_dword v86, off, s[24:27], 0 offset:4 ; 4-byte Folded Spill
	buffer_store_dword v87, off, s[24:27], 0 offset:8 ; 4-byte Folded Spill
	;; [unrolled: 1-line block ×3, first 2 shown]
	ds_read2_b64 v[97:100], v94 offset0:42 offset1:43
	s_waitcnt lgkmcnt(0)
	v_mul_f64 v[101:102], v[99:100], v[103:104]
	v_fma_f64 v[101:102], v[97:98], v[125:126], -v[101:102]
	v_mul_f64 v[97:98], v[97:98], v[103:104]
	v_add_f64 v[111:112], v[111:112], -v[101:102]
	v_fma_f64 v[97:98], v[99:100], v[125:126], v[97:98]
	v_add_f64 v[113:114], v[113:114], -v[97:98]
	ds_read2_b64 v[97:100], v94 offset0:44 offset1:45
	s_waitcnt lgkmcnt(0)
	v_mul_f64 v[101:102], v[99:100], v[103:104]
	v_fma_f64 v[101:102], v[97:98], v[125:126], -v[101:102]
	v_mul_f64 v[97:98], v[97:98], v[103:104]
	v_add_f64 v[89:90], v[89:90], -v[101:102]
	v_fma_f64 v[97:98], v[99:100], v[125:126], v[97:98]
	v_add_f64 v[91:92], v[91:92], -v[97:98]
	;; [unrolled: 8-line block ×23, first 2 shown]
	ds_read2_b64 v[97:100], v94 offset0:88 offset1:89
	s_waitcnt lgkmcnt(0)
	v_mul_f64 v[101:102], v[99:100], v[103:104]
	v_fma_f64 v[101:102], v[97:98], v[125:126], -v[101:102]
	v_mul_f64 v[97:98], v[97:98], v[103:104]
	v_add_f64 v[121:122], v[121:122], -v[101:102]
	v_fma_f64 v[97:98], v[99:100], v[125:126], v[97:98]
	v_mov_b32_e32 v101, v125
	v_mov_b32_e32 v102, v126
	buffer_store_dword v101, off, s[24:27], 0 offset:240 ; 4-byte Folded Spill
	s_nop 0
	buffer_store_dword v102, off, s[24:27], 0 offset:244 ; 4-byte Folded Spill
	buffer_store_dword v103, off, s[24:27], 0 offset:248 ; 4-byte Folded Spill
	;; [unrolled: 1-line block ×3, first 2 shown]
	v_add_f64 v[123:124], v[123:124], -v[97:98]
.LBB88_125:
	s_or_b64 exec, exec, s[0:1]
	s_waitcnt vmcnt(0)
	s_barrier
	buffer_load_dword v85, off, s[24:27], 0 offset:224 ; 4-byte Folded Reload
	buffer_load_dword v86, off, s[24:27], 0 offset:228 ; 4-byte Folded Reload
	;; [unrolled: 1-line block ×4, first 2 shown]
	v_lshl_add_u32 v97, v96, 4, v94
	s_cmp_lt_i32 s3, 8
	s_waitcnt vmcnt(0)
	ds_write2_b64 v97, v[85:86], v[87:88] offset1:1
	s_waitcnt lgkmcnt(0)
	s_barrier
	ds_read2_b64 v[117:120], v94 offset0:12 offset1:13
	v_mov_b32_e32 v97, 6
	s_cbranch_scc1 .LBB88_128
; %bb.126:
	v_add_u32_e32 v98, 0x70, v94
	s_mov_b32 s0, 7
	v_mov_b32_e32 v97, 6
.LBB88_127:                             ; =>This Inner Loop Header: Depth=1
	s_waitcnt lgkmcnt(0)
	v_cmp_gt_f64_e32 vcc, 0, v[117:118]
	v_xor_b32_e32 v103, 0x80000000, v118
	ds_read2_b64 v[99:102], v98 offset1:1
	v_xor_b32_e32 v105, 0x80000000, v120
	v_add_u32_e32 v98, 16, v98
	s_waitcnt lgkmcnt(0)
	v_xor_b32_e32 v107, 0x80000000, v102
	v_cndmask_b32_e32 v104, v118, v103, vcc
	v_cmp_gt_f64_e32 vcc, 0, v[119:120]
	v_mov_b32_e32 v103, v117
	v_cndmask_b32_e32 v106, v120, v105, vcc
	v_cmp_gt_f64_e32 vcc, 0, v[99:100]
	v_mov_b32_e32 v105, v119
	v_add_f64 v[103:104], v[103:104], v[105:106]
	v_xor_b32_e32 v105, 0x80000000, v100
	v_cndmask_b32_e32 v106, v100, v105, vcc
	v_cmp_gt_f64_e32 vcc, 0, v[101:102]
	v_mov_b32_e32 v105, v99
	v_cndmask_b32_e32 v108, v102, v107, vcc
	v_mov_b32_e32 v107, v101
	v_add_f64 v[105:106], v[105:106], v[107:108]
	v_cmp_lt_f64_e32 vcc, v[103:104], v[105:106]
	v_cndmask_b32_e32 v117, v117, v99, vcc
	v_mov_b32_e32 v99, s0
	s_add_i32 s0, s0, 1
	v_cndmask_b32_e32 v118, v118, v100, vcc
	v_cndmask_b32_e32 v120, v120, v102, vcc
	;; [unrolled: 1-line block ×4, first 2 shown]
	s_cmp_lg_u32 s3, s0
	s_cbranch_scc1 .LBB88_127
.LBB88_128:
	s_waitcnt lgkmcnt(0)
	v_cmp_eq_f64_e32 vcc, 0, v[117:118]
	v_cmp_eq_f64_e64 s[0:1], 0, v[119:120]
	s_and_b64 s[0:1], vcc, s[0:1]
	s_and_saveexec_b64 s[18:19], s[0:1]
	s_xor_b64 s[0:1], exec, s[18:19]
; %bb.129:
	v_cmp_ne_u32_e32 vcc, 0, v95
	v_cndmask_b32_e32 v95, 7, v95, vcc
; %bb.130:
	s_andn2_saveexec_b64 s[0:1], s[0:1]
	s_cbranch_execz .LBB88_136
; %bb.131:
	v_cmp_ngt_f64_e64 s[18:19], |v[117:118]|, |v[119:120]|
	s_and_saveexec_b64 s[20:21], s[18:19]
	s_xor_b64 s[18:19], exec, s[20:21]
	s_cbranch_execz .LBB88_133
; %bb.132:
	v_div_scale_f64 v[98:99], s[20:21], v[119:120], v[119:120], v[117:118]
	v_rcp_f64_e32 v[100:101], v[98:99]
	v_fma_f64 v[102:103], -v[98:99], v[100:101], 1.0
	v_fma_f64 v[100:101], v[100:101], v[102:103], v[100:101]
	v_div_scale_f64 v[102:103], vcc, v[117:118], v[119:120], v[117:118]
	v_fma_f64 v[104:105], -v[98:99], v[100:101], 1.0
	v_fma_f64 v[100:101], v[100:101], v[104:105], v[100:101]
	v_mul_f64 v[104:105], v[102:103], v[100:101]
	v_fma_f64 v[98:99], -v[98:99], v[104:105], v[102:103]
	v_div_fmas_f64 v[98:99], v[98:99], v[100:101], v[104:105]
	v_div_fixup_f64 v[98:99], v[98:99], v[119:120], v[117:118]
	v_fma_f64 v[100:101], v[117:118], v[98:99], v[119:120]
	v_div_scale_f64 v[102:103], s[20:21], v[100:101], v[100:101], 1.0
	v_div_scale_f64 v[108:109], vcc, 1.0, v[100:101], 1.0
	v_rcp_f64_e32 v[104:105], v[102:103]
	v_fma_f64 v[106:107], -v[102:103], v[104:105], 1.0
	v_fma_f64 v[104:105], v[104:105], v[106:107], v[104:105]
	v_fma_f64 v[106:107], -v[102:103], v[104:105], 1.0
	v_fma_f64 v[104:105], v[104:105], v[106:107], v[104:105]
	v_mul_f64 v[106:107], v[108:109], v[104:105]
	v_fma_f64 v[102:103], -v[102:103], v[106:107], v[108:109]
	v_div_fmas_f64 v[102:103], v[102:103], v[104:105], v[106:107]
	v_div_fixup_f64 v[119:120], v[102:103], v[100:101], 1.0
	v_mul_f64 v[117:118], v[98:99], v[119:120]
	v_xor_b32_e32 v120, 0x80000000, v120
.LBB88_133:
	s_andn2_saveexec_b64 s[18:19], s[18:19]
	s_cbranch_execz .LBB88_135
; %bb.134:
	v_div_scale_f64 v[98:99], s[20:21], v[117:118], v[117:118], v[119:120]
	v_rcp_f64_e32 v[100:101], v[98:99]
	v_fma_f64 v[102:103], -v[98:99], v[100:101], 1.0
	v_fma_f64 v[100:101], v[100:101], v[102:103], v[100:101]
	v_div_scale_f64 v[102:103], vcc, v[119:120], v[117:118], v[119:120]
	v_fma_f64 v[104:105], -v[98:99], v[100:101], 1.0
	v_fma_f64 v[100:101], v[100:101], v[104:105], v[100:101]
	v_mul_f64 v[104:105], v[102:103], v[100:101]
	v_fma_f64 v[98:99], -v[98:99], v[104:105], v[102:103]
	v_div_fmas_f64 v[98:99], v[98:99], v[100:101], v[104:105]
	v_div_fixup_f64 v[98:99], v[98:99], v[117:118], v[119:120]
	v_fma_f64 v[100:101], v[119:120], v[98:99], v[117:118]
	v_div_scale_f64 v[102:103], s[20:21], v[100:101], v[100:101], 1.0
	v_div_scale_f64 v[108:109], vcc, 1.0, v[100:101], 1.0
	v_rcp_f64_e32 v[104:105], v[102:103]
	v_fma_f64 v[106:107], -v[102:103], v[104:105], 1.0
	v_fma_f64 v[104:105], v[104:105], v[106:107], v[104:105]
	v_fma_f64 v[106:107], -v[102:103], v[104:105], 1.0
	v_fma_f64 v[104:105], v[104:105], v[106:107], v[104:105]
	v_mul_f64 v[106:107], v[108:109], v[104:105]
	v_fma_f64 v[102:103], -v[102:103], v[106:107], v[108:109]
	v_div_fmas_f64 v[102:103], v[102:103], v[104:105], v[106:107]
	v_div_fixup_f64 v[117:118], v[102:103], v[100:101], 1.0
	v_mul_f64 v[119:120], v[98:99], -v[117:118]
.LBB88_135:
	s_or_b64 exec, exec, s[18:19]
.LBB88_136:
	s_or_b64 exec, exec, s[0:1]
	v_cmp_ne_u32_e32 vcc, v96, v97
	s_and_saveexec_b64 s[0:1], vcc
	s_xor_b64 s[0:1], exec, s[0:1]
	s_cbranch_execz .LBB88_142
; %bb.137:
	v_cmp_eq_u32_e32 vcc, 6, v96
	s_and_saveexec_b64 s[18:19], vcc
	s_cbranch_execz .LBB88_141
; %bb.138:
	v_cmp_ne_u32_e32 vcc, 6, v97
	s_xor_b64 s[20:21], s[6:7], -1
	s_and_b64 s[22:23], s[20:21], vcc
	s_and_saveexec_b64 s[20:21], s[22:23]
	s_cbranch_execz .LBB88_140
; %bb.139:
	buffer_load_dword v85, off, s[24:27], 0 offset:288 ; 4-byte Folded Reload
	buffer_load_dword v86, off, s[24:27], 0 offset:292 ; 4-byte Folded Reload
	v_ashrrev_i32_e32 v98, 31, v97
	v_lshlrev_b64 v[98:99], 2, v[97:98]
	s_waitcnt vmcnt(1)
	v_add_co_u32_e32 v98, vcc, v85, v98
	s_waitcnt vmcnt(0)
	v_addc_co_u32_e32 v99, vcc, v86, v99, vcc
	global_load_dword v0, v[98:99], off
	global_load_dword v96, v[85:86], off offset:24
	s_waitcnt vmcnt(1)
	global_store_dword v[85:86], v0, off offset:24
	s_waitcnt vmcnt(1)
	global_store_dword v[98:99], v96, off
.LBB88_140:
	s_or_b64 exec, exec, s[20:21]
	v_mov_b32_e32 v96, v97
	v_mov_b32_e32 v0, v97
.LBB88_141:
	s_or_b64 exec, exec, s[18:19]
.LBB88_142:
	s_andn2_saveexec_b64 s[0:1], s[0:1]
	s_cbranch_execz .LBB88_144
; %bb.143:
	buffer_load_dword v85, off, s[24:27], 0 offset:208 ; 4-byte Folded Reload
	buffer_load_dword v86, off, s[24:27], 0 offset:212 ; 4-byte Folded Reload
	;; [unrolled: 1-line block ×4, first 2 shown]
	v_mov_b32_e32 v96, 6
	s_waitcnt vmcnt(0)
	ds_write2_b64 v94, v[85:86], v[87:88] offset0:14 offset1:15
	buffer_load_dword v85, off, s[24:27], 0 offset:192 ; 4-byte Folded Reload
	buffer_load_dword v86, off, s[24:27], 0 offset:196 ; 4-byte Folded Reload
	buffer_load_dword v87, off, s[24:27], 0 offset:200 ; 4-byte Folded Reload
	buffer_load_dword v88, off, s[24:27], 0 offset:204 ; 4-byte Folded Reload
	s_waitcnt vmcnt(0)
	ds_write2_b64 v94, v[85:86], v[87:88] offset0:16 offset1:17
	buffer_load_dword v85, off, s[24:27], 0 offset:176 ; 4-byte Folded Reload
	buffer_load_dword v86, off, s[24:27], 0 offset:180 ; 4-byte Folded Reload
	buffer_load_dword v87, off, s[24:27], 0 offset:184 ; 4-byte Folded Reload
	buffer_load_dword v88, off, s[24:27], 0 offset:188 ; 4-byte Folded Reload
	;; [unrolled: 6-line block ×12, first 2 shown]
	s_waitcnt vmcnt(0)
	ds_write2_b64 v94, v[85:86], v[87:88] offset0:38 offset1:39
	buffer_load_dword v85, off, s[24:27], 0 ; 4-byte Folded Reload
	buffer_load_dword v86, off, s[24:27], 0 offset:4 ; 4-byte Folded Reload
	buffer_load_dword v87, off, s[24:27], 0 offset:8 ; 4-byte Folded Reload
	;; [unrolled: 1-line block ×3, first 2 shown]
	s_waitcnt vmcnt(0)
	ds_write2_b64 v94, v[85:86], v[87:88] offset0:40 offset1:41
	ds_write2_b64 v94, v[111:112], v[113:114] offset0:42 offset1:43
	;; [unrolled: 1-line block ×25, first 2 shown]
.LBB88_144:
	s_or_b64 exec, exec, s[0:1]
	v_cmp_lt_i32_e32 vcc, 6, v96
	s_waitcnt vmcnt(0) lgkmcnt(0)
	s_barrier
	s_and_saveexec_b64 s[0:1], vcc
	s_cbranch_execz .LBB88_146
; %bb.145:
	buffer_load_dword v101, off, s[24:27], 0 offset:224 ; 4-byte Folded Reload
	buffer_load_dword v102, off, s[24:27], 0 offset:228 ; 4-byte Folded Reload
	;; [unrolled: 1-line block ×4, first 2 shown]
	s_waitcnt vmcnt(0)
	v_mul_f64 v[97:98], v[119:120], v[103:104]
	v_fma_f64 v[125:126], v[117:118], v[101:102], -v[97:98]
	v_mul_f64 v[97:98], v[117:118], v[103:104]
	v_fma_f64 v[103:104], v[119:120], v[101:102], v[97:98]
	ds_read2_b64 v[97:100], v94 offset0:14 offset1:15
	buffer_load_dword v85, off, s[24:27], 0 offset:208 ; 4-byte Folded Reload
	buffer_load_dword v86, off, s[24:27], 0 offset:212 ; 4-byte Folded Reload
	buffer_load_dword v87, off, s[24:27], 0 offset:216 ; 4-byte Folded Reload
	buffer_load_dword v88, off, s[24:27], 0 offset:220 ; 4-byte Folded Reload
	s_waitcnt lgkmcnt(0)
	v_mul_f64 v[101:102], v[99:100], v[103:104]
	v_fma_f64 v[101:102], v[97:98], v[125:126], -v[101:102]
	v_mul_f64 v[97:98], v[97:98], v[103:104]
	v_fma_f64 v[97:98], v[99:100], v[125:126], v[97:98]
	s_waitcnt vmcnt(2)
	v_add_f64 v[85:86], v[85:86], -v[101:102]
	s_waitcnt vmcnt(0)
	v_add_f64 v[87:88], v[87:88], -v[97:98]
	buffer_store_dword v85, off, s[24:27], 0 offset:208 ; 4-byte Folded Spill
	s_nop 0
	buffer_store_dword v86, off, s[24:27], 0 offset:212 ; 4-byte Folded Spill
	buffer_store_dword v87, off, s[24:27], 0 offset:216 ; 4-byte Folded Spill
	buffer_store_dword v88, off, s[24:27], 0 offset:220 ; 4-byte Folded Spill
	ds_read2_b64 v[97:100], v94 offset0:16 offset1:17
	buffer_load_dword v85, off, s[24:27], 0 offset:192 ; 4-byte Folded Reload
	buffer_load_dword v86, off, s[24:27], 0 offset:196 ; 4-byte Folded Reload
	buffer_load_dword v87, off, s[24:27], 0 offset:200 ; 4-byte Folded Reload
	buffer_load_dword v88, off, s[24:27], 0 offset:204 ; 4-byte Folded Reload
	s_waitcnt lgkmcnt(0)
	v_mul_f64 v[101:102], v[99:100], v[103:104]
	v_fma_f64 v[101:102], v[97:98], v[125:126], -v[101:102]
	v_mul_f64 v[97:98], v[97:98], v[103:104]
	v_fma_f64 v[97:98], v[99:100], v[125:126], v[97:98]
	s_waitcnt vmcnt(2)
	v_add_f64 v[85:86], v[85:86], -v[101:102]
	s_waitcnt vmcnt(0)
	v_add_f64 v[87:88], v[87:88], -v[97:98]
	buffer_store_dword v85, off, s[24:27], 0 offset:192 ; 4-byte Folded Spill
	s_nop 0
	buffer_store_dword v86, off, s[24:27], 0 offset:196 ; 4-byte Folded Spill
	buffer_store_dword v87, off, s[24:27], 0 offset:200 ; 4-byte Folded Spill
	buffer_store_dword v88, off, s[24:27], 0 offset:204 ; 4-byte Folded Spill
	;; [unrolled: 19-line block ×13, first 2 shown]
	ds_read2_b64 v[97:100], v94 offset0:40 offset1:41
	buffer_load_dword v85, off, s[24:27], 0 ; 4-byte Folded Reload
	buffer_load_dword v86, off, s[24:27], 0 offset:4 ; 4-byte Folded Reload
	buffer_load_dword v87, off, s[24:27], 0 offset:8 ; 4-byte Folded Reload
	;; [unrolled: 1-line block ×3, first 2 shown]
	s_waitcnt lgkmcnt(0)
	v_mul_f64 v[101:102], v[99:100], v[103:104]
	v_fma_f64 v[101:102], v[97:98], v[125:126], -v[101:102]
	v_mul_f64 v[97:98], v[97:98], v[103:104]
	v_fma_f64 v[97:98], v[99:100], v[125:126], v[97:98]
	s_waitcnt vmcnt(2)
	v_add_f64 v[85:86], v[85:86], -v[101:102]
	s_waitcnt vmcnt(0)
	v_add_f64 v[87:88], v[87:88], -v[97:98]
	buffer_store_dword v85, off, s[24:27], 0 ; 4-byte Folded Spill
	s_nop 0
	buffer_store_dword v86, off, s[24:27], 0 offset:4 ; 4-byte Folded Spill
	buffer_store_dword v87, off, s[24:27], 0 offset:8 ; 4-byte Folded Spill
	;; [unrolled: 1-line block ×3, first 2 shown]
	ds_read2_b64 v[97:100], v94 offset0:42 offset1:43
	s_waitcnt lgkmcnt(0)
	v_mul_f64 v[101:102], v[99:100], v[103:104]
	v_fma_f64 v[101:102], v[97:98], v[125:126], -v[101:102]
	v_mul_f64 v[97:98], v[97:98], v[103:104]
	v_add_f64 v[111:112], v[111:112], -v[101:102]
	v_fma_f64 v[97:98], v[99:100], v[125:126], v[97:98]
	v_add_f64 v[113:114], v[113:114], -v[97:98]
	ds_read2_b64 v[97:100], v94 offset0:44 offset1:45
	s_waitcnt lgkmcnt(0)
	v_mul_f64 v[101:102], v[99:100], v[103:104]
	v_fma_f64 v[101:102], v[97:98], v[125:126], -v[101:102]
	v_mul_f64 v[97:98], v[97:98], v[103:104]
	v_add_f64 v[89:90], v[89:90], -v[101:102]
	v_fma_f64 v[97:98], v[99:100], v[125:126], v[97:98]
	v_add_f64 v[91:92], v[91:92], -v[97:98]
	;; [unrolled: 8-line block ×23, first 2 shown]
	ds_read2_b64 v[97:100], v94 offset0:88 offset1:89
	s_waitcnt lgkmcnt(0)
	v_mul_f64 v[101:102], v[99:100], v[103:104]
	v_fma_f64 v[101:102], v[97:98], v[125:126], -v[101:102]
	v_mul_f64 v[97:98], v[97:98], v[103:104]
	v_add_f64 v[121:122], v[121:122], -v[101:102]
	v_fma_f64 v[97:98], v[99:100], v[125:126], v[97:98]
	v_mov_b32_e32 v101, v125
	v_mov_b32_e32 v102, v126
	buffer_store_dword v101, off, s[24:27], 0 offset:224 ; 4-byte Folded Spill
	s_nop 0
	buffer_store_dword v102, off, s[24:27], 0 offset:228 ; 4-byte Folded Spill
	buffer_store_dword v103, off, s[24:27], 0 offset:232 ; 4-byte Folded Spill
	buffer_store_dword v104, off, s[24:27], 0 offset:236 ; 4-byte Folded Spill
	v_add_f64 v[123:124], v[123:124], -v[97:98]
.LBB88_146:
	s_or_b64 exec, exec, s[0:1]
	s_waitcnt vmcnt(0)
	s_barrier
	buffer_load_dword v85, off, s[24:27], 0 offset:208 ; 4-byte Folded Reload
	buffer_load_dword v86, off, s[24:27], 0 offset:212 ; 4-byte Folded Reload
	;; [unrolled: 1-line block ×4, first 2 shown]
	v_lshl_add_u32 v97, v96, 4, v94
	s_cmp_lt_i32 s3, 9
	s_waitcnt vmcnt(0)
	ds_write2_b64 v97, v[85:86], v[87:88] offset1:1
	s_waitcnt lgkmcnt(0)
	s_barrier
	ds_read2_b64 v[117:120], v94 offset0:14 offset1:15
	v_mov_b32_e32 v97, 7
	s_cbranch_scc1 .LBB88_149
; %bb.147:
	v_add_u32_e32 v98, 0x80, v94
	s_mov_b32 s0, 8
	v_mov_b32_e32 v97, 7
.LBB88_148:                             ; =>This Inner Loop Header: Depth=1
	s_waitcnt lgkmcnt(0)
	v_cmp_gt_f64_e32 vcc, 0, v[117:118]
	v_xor_b32_e32 v103, 0x80000000, v118
	ds_read2_b64 v[99:102], v98 offset1:1
	v_xor_b32_e32 v105, 0x80000000, v120
	v_add_u32_e32 v98, 16, v98
	s_waitcnt lgkmcnt(0)
	v_xor_b32_e32 v107, 0x80000000, v102
	v_cndmask_b32_e32 v104, v118, v103, vcc
	v_cmp_gt_f64_e32 vcc, 0, v[119:120]
	v_mov_b32_e32 v103, v117
	v_cndmask_b32_e32 v106, v120, v105, vcc
	v_cmp_gt_f64_e32 vcc, 0, v[99:100]
	v_mov_b32_e32 v105, v119
	v_add_f64 v[103:104], v[103:104], v[105:106]
	v_xor_b32_e32 v105, 0x80000000, v100
	v_cndmask_b32_e32 v106, v100, v105, vcc
	v_cmp_gt_f64_e32 vcc, 0, v[101:102]
	v_mov_b32_e32 v105, v99
	v_cndmask_b32_e32 v108, v102, v107, vcc
	v_mov_b32_e32 v107, v101
	v_add_f64 v[105:106], v[105:106], v[107:108]
	v_cmp_lt_f64_e32 vcc, v[103:104], v[105:106]
	v_cndmask_b32_e32 v117, v117, v99, vcc
	v_mov_b32_e32 v99, s0
	s_add_i32 s0, s0, 1
	v_cndmask_b32_e32 v118, v118, v100, vcc
	v_cndmask_b32_e32 v120, v120, v102, vcc
	v_cndmask_b32_e32 v119, v119, v101, vcc
	v_cndmask_b32_e32 v97, v97, v99, vcc
	s_cmp_lg_u32 s3, s0
	s_cbranch_scc1 .LBB88_148
.LBB88_149:
	s_waitcnt lgkmcnt(0)
	v_cmp_eq_f64_e32 vcc, 0, v[117:118]
	v_cmp_eq_f64_e64 s[0:1], 0, v[119:120]
	s_and_b64 s[0:1], vcc, s[0:1]
	s_and_saveexec_b64 s[18:19], s[0:1]
	s_xor_b64 s[0:1], exec, s[18:19]
; %bb.150:
	v_cmp_ne_u32_e32 vcc, 0, v95
	v_cndmask_b32_e32 v95, 8, v95, vcc
; %bb.151:
	s_andn2_saveexec_b64 s[0:1], s[0:1]
	s_cbranch_execz .LBB88_157
; %bb.152:
	v_cmp_ngt_f64_e64 s[18:19], |v[117:118]|, |v[119:120]|
	s_and_saveexec_b64 s[20:21], s[18:19]
	s_xor_b64 s[18:19], exec, s[20:21]
	s_cbranch_execz .LBB88_154
; %bb.153:
	v_div_scale_f64 v[98:99], s[20:21], v[119:120], v[119:120], v[117:118]
	v_rcp_f64_e32 v[100:101], v[98:99]
	v_fma_f64 v[102:103], -v[98:99], v[100:101], 1.0
	v_fma_f64 v[100:101], v[100:101], v[102:103], v[100:101]
	v_div_scale_f64 v[102:103], vcc, v[117:118], v[119:120], v[117:118]
	v_fma_f64 v[104:105], -v[98:99], v[100:101], 1.0
	v_fma_f64 v[100:101], v[100:101], v[104:105], v[100:101]
	v_mul_f64 v[104:105], v[102:103], v[100:101]
	v_fma_f64 v[98:99], -v[98:99], v[104:105], v[102:103]
	v_div_fmas_f64 v[98:99], v[98:99], v[100:101], v[104:105]
	v_div_fixup_f64 v[98:99], v[98:99], v[119:120], v[117:118]
	v_fma_f64 v[100:101], v[117:118], v[98:99], v[119:120]
	v_div_scale_f64 v[102:103], s[20:21], v[100:101], v[100:101], 1.0
	v_div_scale_f64 v[108:109], vcc, 1.0, v[100:101], 1.0
	v_rcp_f64_e32 v[104:105], v[102:103]
	v_fma_f64 v[106:107], -v[102:103], v[104:105], 1.0
	v_fma_f64 v[104:105], v[104:105], v[106:107], v[104:105]
	v_fma_f64 v[106:107], -v[102:103], v[104:105], 1.0
	v_fma_f64 v[104:105], v[104:105], v[106:107], v[104:105]
	v_mul_f64 v[106:107], v[108:109], v[104:105]
	v_fma_f64 v[102:103], -v[102:103], v[106:107], v[108:109]
	v_div_fmas_f64 v[102:103], v[102:103], v[104:105], v[106:107]
	v_div_fixup_f64 v[119:120], v[102:103], v[100:101], 1.0
	v_mul_f64 v[117:118], v[98:99], v[119:120]
	v_xor_b32_e32 v120, 0x80000000, v120
.LBB88_154:
	s_andn2_saveexec_b64 s[18:19], s[18:19]
	s_cbranch_execz .LBB88_156
; %bb.155:
	v_div_scale_f64 v[98:99], s[20:21], v[117:118], v[117:118], v[119:120]
	v_rcp_f64_e32 v[100:101], v[98:99]
	v_fma_f64 v[102:103], -v[98:99], v[100:101], 1.0
	v_fma_f64 v[100:101], v[100:101], v[102:103], v[100:101]
	v_div_scale_f64 v[102:103], vcc, v[119:120], v[117:118], v[119:120]
	v_fma_f64 v[104:105], -v[98:99], v[100:101], 1.0
	v_fma_f64 v[100:101], v[100:101], v[104:105], v[100:101]
	v_mul_f64 v[104:105], v[102:103], v[100:101]
	v_fma_f64 v[98:99], -v[98:99], v[104:105], v[102:103]
	v_div_fmas_f64 v[98:99], v[98:99], v[100:101], v[104:105]
	v_div_fixup_f64 v[98:99], v[98:99], v[117:118], v[119:120]
	v_fma_f64 v[100:101], v[119:120], v[98:99], v[117:118]
	v_div_scale_f64 v[102:103], s[20:21], v[100:101], v[100:101], 1.0
	v_div_scale_f64 v[108:109], vcc, 1.0, v[100:101], 1.0
	v_rcp_f64_e32 v[104:105], v[102:103]
	v_fma_f64 v[106:107], -v[102:103], v[104:105], 1.0
	v_fma_f64 v[104:105], v[104:105], v[106:107], v[104:105]
	v_fma_f64 v[106:107], -v[102:103], v[104:105], 1.0
	v_fma_f64 v[104:105], v[104:105], v[106:107], v[104:105]
	v_mul_f64 v[106:107], v[108:109], v[104:105]
	v_fma_f64 v[102:103], -v[102:103], v[106:107], v[108:109]
	v_div_fmas_f64 v[102:103], v[102:103], v[104:105], v[106:107]
	v_div_fixup_f64 v[117:118], v[102:103], v[100:101], 1.0
	v_mul_f64 v[119:120], v[98:99], -v[117:118]
.LBB88_156:
	s_or_b64 exec, exec, s[18:19]
.LBB88_157:
	s_or_b64 exec, exec, s[0:1]
	v_cmp_ne_u32_e32 vcc, v96, v97
	s_and_saveexec_b64 s[0:1], vcc
	s_xor_b64 s[0:1], exec, s[0:1]
	s_cbranch_execz .LBB88_163
; %bb.158:
	v_cmp_eq_u32_e32 vcc, 7, v96
	s_and_saveexec_b64 s[18:19], vcc
	s_cbranch_execz .LBB88_162
; %bb.159:
	v_cmp_ne_u32_e32 vcc, 7, v97
	s_xor_b64 s[20:21], s[6:7], -1
	s_and_b64 s[22:23], s[20:21], vcc
	s_and_saveexec_b64 s[20:21], s[22:23]
	s_cbranch_execz .LBB88_161
; %bb.160:
	buffer_load_dword v85, off, s[24:27], 0 offset:288 ; 4-byte Folded Reload
	buffer_load_dword v86, off, s[24:27], 0 offset:292 ; 4-byte Folded Reload
	v_ashrrev_i32_e32 v98, 31, v97
	v_lshlrev_b64 v[98:99], 2, v[97:98]
	s_waitcnt vmcnt(1)
	v_add_co_u32_e32 v98, vcc, v85, v98
	s_waitcnt vmcnt(0)
	v_addc_co_u32_e32 v99, vcc, v86, v99, vcc
	global_load_dword v0, v[98:99], off
	global_load_dword v96, v[85:86], off offset:28
	s_waitcnt vmcnt(1)
	global_store_dword v[85:86], v0, off offset:28
	s_waitcnt vmcnt(1)
	global_store_dword v[98:99], v96, off
.LBB88_161:
	s_or_b64 exec, exec, s[20:21]
	v_mov_b32_e32 v96, v97
	v_mov_b32_e32 v0, v97
.LBB88_162:
	s_or_b64 exec, exec, s[18:19]
.LBB88_163:
	s_andn2_saveexec_b64 s[0:1], s[0:1]
	s_cbranch_execz .LBB88_165
; %bb.164:
	buffer_load_dword v85, off, s[24:27], 0 offset:192 ; 4-byte Folded Reload
	buffer_load_dword v86, off, s[24:27], 0 offset:196 ; 4-byte Folded Reload
	;; [unrolled: 1-line block ×4, first 2 shown]
	v_mov_b32_e32 v96, 7
	s_waitcnt vmcnt(0)
	ds_write2_b64 v94, v[85:86], v[87:88] offset0:16 offset1:17
	buffer_load_dword v85, off, s[24:27], 0 offset:176 ; 4-byte Folded Reload
	buffer_load_dword v86, off, s[24:27], 0 offset:180 ; 4-byte Folded Reload
	buffer_load_dword v87, off, s[24:27], 0 offset:184 ; 4-byte Folded Reload
	buffer_load_dword v88, off, s[24:27], 0 offset:188 ; 4-byte Folded Reload
	s_waitcnt vmcnt(0)
	ds_write2_b64 v94, v[85:86], v[87:88] offset0:18 offset1:19
	buffer_load_dword v85, off, s[24:27], 0 offset:160 ; 4-byte Folded Reload
	buffer_load_dword v86, off, s[24:27], 0 offset:164 ; 4-byte Folded Reload
	buffer_load_dword v87, off, s[24:27], 0 offset:168 ; 4-byte Folded Reload
	buffer_load_dword v88, off, s[24:27], 0 offset:172 ; 4-byte Folded Reload
	;; [unrolled: 6-line block ×11, first 2 shown]
	s_waitcnt vmcnt(0)
	ds_write2_b64 v94, v[85:86], v[87:88] offset0:38 offset1:39
	buffer_load_dword v85, off, s[24:27], 0 ; 4-byte Folded Reload
	buffer_load_dword v86, off, s[24:27], 0 offset:4 ; 4-byte Folded Reload
	buffer_load_dword v87, off, s[24:27], 0 offset:8 ; 4-byte Folded Reload
	;; [unrolled: 1-line block ×3, first 2 shown]
	s_waitcnt vmcnt(0)
	ds_write2_b64 v94, v[85:86], v[87:88] offset0:40 offset1:41
	ds_write2_b64 v94, v[111:112], v[113:114] offset0:42 offset1:43
	;; [unrolled: 1-line block ×25, first 2 shown]
.LBB88_165:
	s_or_b64 exec, exec, s[0:1]
	v_cmp_lt_i32_e32 vcc, 7, v96
	s_waitcnt vmcnt(0) lgkmcnt(0)
	s_barrier
	s_and_saveexec_b64 s[0:1], vcc
	s_cbranch_execz .LBB88_167
; %bb.166:
	buffer_load_dword v101, off, s[24:27], 0 offset:208 ; 4-byte Folded Reload
	buffer_load_dword v102, off, s[24:27], 0 offset:212 ; 4-byte Folded Reload
	;; [unrolled: 1-line block ×4, first 2 shown]
	s_waitcnt vmcnt(0)
	v_mul_f64 v[97:98], v[119:120], v[103:104]
	v_fma_f64 v[125:126], v[117:118], v[101:102], -v[97:98]
	v_mul_f64 v[97:98], v[117:118], v[103:104]
	v_fma_f64 v[103:104], v[119:120], v[101:102], v[97:98]
	ds_read2_b64 v[97:100], v94 offset0:16 offset1:17
	buffer_load_dword v85, off, s[24:27], 0 offset:192 ; 4-byte Folded Reload
	buffer_load_dword v86, off, s[24:27], 0 offset:196 ; 4-byte Folded Reload
	buffer_load_dword v87, off, s[24:27], 0 offset:200 ; 4-byte Folded Reload
	buffer_load_dword v88, off, s[24:27], 0 offset:204 ; 4-byte Folded Reload
	s_waitcnt lgkmcnt(0)
	v_mul_f64 v[101:102], v[99:100], v[103:104]
	v_fma_f64 v[101:102], v[97:98], v[125:126], -v[101:102]
	v_mul_f64 v[97:98], v[97:98], v[103:104]
	v_fma_f64 v[97:98], v[99:100], v[125:126], v[97:98]
	s_waitcnt vmcnt(2)
	v_add_f64 v[85:86], v[85:86], -v[101:102]
	s_waitcnt vmcnt(0)
	v_add_f64 v[87:88], v[87:88], -v[97:98]
	buffer_store_dword v85, off, s[24:27], 0 offset:192 ; 4-byte Folded Spill
	s_nop 0
	buffer_store_dword v86, off, s[24:27], 0 offset:196 ; 4-byte Folded Spill
	buffer_store_dword v87, off, s[24:27], 0 offset:200 ; 4-byte Folded Spill
	buffer_store_dword v88, off, s[24:27], 0 offset:204 ; 4-byte Folded Spill
	ds_read2_b64 v[97:100], v94 offset0:18 offset1:19
	buffer_load_dword v85, off, s[24:27], 0 offset:176 ; 4-byte Folded Reload
	buffer_load_dword v86, off, s[24:27], 0 offset:180 ; 4-byte Folded Reload
	buffer_load_dword v87, off, s[24:27], 0 offset:184 ; 4-byte Folded Reload
	buffer_load_dword v88, off, s[24:27], 0 offset:188 ; 4-byte Folded Reload
	s_waitcnt lgkmcnt(0)
	v_mul_f64 v[101:102], v[99:100], v[103:104]
	v_fma_f64 v[101:102], v[97:98], v[125:126], -v[101:102]
	v_mul_f64 v[97:98], v[97:98], v[103:104]
	v_fma_f64 v[97:98], v[99:100], v[125:126], v[97:98]
	s_waitcnt vmcnt(2)
	v_add_f64 v[85:86], v[85:86], -v[101:102]
	s_waitcnt vmcnt(0)
	v_add_f64 v[87:88], v[87:88], -v[97:98]
	buffer_store_dword v85, off, s[24:27], 0 offset:176 ; 4-byte Folded Spill
	s_nop 0
	buffer_store_dword v86, off, s[24:27], 0 offset:180 ; 4-byte Folded Spill
	buffer_store_dword v87, off, s[24:27], 0 offset:184 ; 4-byte Folded Spill
	buffer_store_dword v88, off, s[24:27], 0 offset:188 ; 4-byte Folded Spill
	;; [unrolled: 19-line block ×12, first 2 shown]
	ds_read2_b64 v[97:100], v94 offset0:40 offset1:41
	buffer_load_dword v85, off, s[24:27], 0 ; 4-byte Folded Reload
	buffer_load_dword v86, off, s[24:27], 0 offset:4 ; 4-byte Folded Reload
	buffer_load_dword v87, off, s[24:27], 0 offset:8 ; 4-byte Folded Reload
	;; [unrolled: 1-line block ×3, first 2 shown]
	s_waitcnt lgkmcnt(0)
	v_mul_f64 v[101:102], v[99:100], v[103:104]
	v_fma_f64 v[101:102], v[97:98], v[125:126], -v[101:102]
	v_mul_f64 v[97:98], v[97:98], v[103:104]
	v_fma_f64 v[97:98], v[99:100], v[125:126], v[97:98]
	s_waitcnt vmcnt(2)
	v_add_f64 v[85:86], v[85:86], -v[101:102]
	s_waitcnt vmcnt(0)
	v_add_f64 v[87:88], v[87:88], -v[97:98]
	buffer_store_dword v85, off, s[24:27], 0 ; 4-byte Folded Spill
	s_nop 0
	buffer_store_dword v86, off, s[24:27], 0 offset:4 ; 4-byte Folded Spill
	buffer_store_dword v87, off, s[24:27], 0 offset:8 ; 4-byte Folded Spill
	;; [unrolled: 1-line block ×3, first 2 shown]
	ds_read2_b64 v[97:100], v94 offset0:42 offset1:43
	s_waitcnt lgkmcnt(0)
	v_mul_f64 v[101:102], v[99:100], v[103:104]
	v_fma_f64 v[101:102], v[97:98], v[125:126], -v[101:102]
	v_mul_f64 v[97:98], v[97:98], v[103:104]
	v_add_f64 v[111:112], v[111:112], -v[101:102]
	v_fma_f64 v[97:98], v[99:100], v[125:126], v[97:98]
	v_add_f64 v[113:114], v[113:114], -v[97:98]
	ds_read2_b64 v[97:100], v94 offset0:44 offset1:45
	s_waitcnt lgkmcnt(0)
	v_mul_f64 v[101:102], v[99:100], v[103:104]
	v_fma_f64 v[101:102], v[97:98], v[125:126], -v[101:102]
	v_mul_f64 v[97:98], v[97:98], v[103:104]
	v_add_f64 v[89:90], v[89:90], -v[101:102]
	v_fma_f64 v[97:98], v[99:100], v[125:126], v[97:98]
	v_add_f64 v[91:92], v[91:92], -v[97:98]
	;; [unrolled: 8-line block ×23, first 2 shown]
	ds_read2_b64 v[97:100], v94 offset0:88 offset1:89
	s_waitcnt lgkmcnt(0)
	v_mul_f64 v[101:102], v[99:100], v[103:104]
	v_fma_f64 v[101:102], v[97:98], v[125:126], -v[101:102]
	v_mul_f64 v[97:98], v[97:98], v[103:104]
	v_add_f64 v[121:122], v[121:122], -v[101:102]
	v_fma_f64 v[97:98], v[99:100], v[125:126], v[97:98]
	v_mov_b32_e32 v101, v125
	v_mov_b32_e32 v102, v126
	buffer_store_dword v101, off, s[24:27], 0 offset:208 ; 4-byte Folded Spill
	s_nop 0
	buffer_store_dword v102, off, s[24:27], 0 offset:212 ; 4-byte Folded Spill
	buffer_store_dword v103, off, s[24:27], 0 offset:216 ; 4-byte Folded Spill
	buffer_store_dword v104, off, s[24:27], 0 offset:220 ; 4-byte Folded Spill
	v_add_f64 v[123:124], v[123:124], -v[97:98]
.LBB88_167:
	s_or_b64 exec, exec, s[0:1]
	s_waitcnt vmcnt(0)
	s_barrier
	buffer_load_dword v85, off, s[24:27], 0 offset:192 ; 4-byte Folded Reload
	buffer_load_dword v86, off, s[24:27], 0 offset:196 ; 4-byte Folded Reload
	;; [unrolled: 1-line block ×4, first 2 shown]
	v_lshl_add_u32 v97, v96, 4, v94
	s_cmp_lt_i32 s3, 10
	s_waitcnt vmcnt(0)
	ds_write2_b64 v97, v[85:86], v[87:88] offset1:1
	s_waitcnt lgkmcnt(0)
	s_barrier
	ds_read2_b64 v[117:120], v94 offset0:16 offset1:17
	v_mov_b32_e32 v97, 8
	s_cbranch_scc1 .LBB88_170
; %bb.168:
	v_add_u32_e32 v98, 0x90, v94
	s_mov_b32 s0, 9
	v_mov_b32_e32 v97, 8
.LBB88_169:                             ; =>This Inner Loop Header: Depth=1
	s_waitcnt lgkmcnt(0)
	v_cmp_gt_f64_e32 vcc, 0, v[117:118]
	v_xor_b32_e32 v103, 0x80000000, v118
	ds_read2_b64 v[99:102], v98 offset1:1
	v_xor_b32_e32 v105, 0x80000000, v120
	v_add_u32_e32 v98, 16, v98
	s_waitcnt lgkmcnt(0)
	v_xor_b32_e32 v107, 0x80000000, v102
	v_cndmask_b32_e32 v104, v118, v103, vcc
	v_cmp_gt_f64_e32 vcc, 0, v[119:120]
	v_mov_b32_e32 v103, v117
	v_cndmask_b32_e32 v106, v120, v105, vcc
	v_cmp_gt_f64_e32 vcc, 0, v[99:100]
	v_mov_b32_e32 v105, v119
	v_add_f64 v[103:104], v[103:104], v[105:106]
	v_xor_b32_e32 v105, 0x80000000, v100
	v_cndmask_b32_e32 v106, v100, v105, vcc
	v_cmp_gt_f64_e32 vcc, 0, v[101:102]
	v_mov_b32_e32 v105, v99
	v_cndmask_b32_e32 v108, v102, v107, vcc
	v_mov_b32_e32 v107, v101
	v_add_f64 v[105:106], v[105:106], v[107:108]
	v_cmp_lt_f64_e32 vcc, v[103:104], v[105:106]
	v_cndmask_b32_e32 v117, v117, v99, vcc
	v_mov_b32_e32 v99, s0
	s_add_i32 s0, s0, 1
	v_cndmask_b32_e32 v118, v118, v100, vcc
	v_cndmask_b32_e32 v120, v120, v102, vcc
	;; [unrolled: 1-line block ×4, first 2 shown]
	s_cmp_lg_u32 s3, s0
	s_cbranch_scc1 .LBB88_169
.LBB88_170:
	s_waitcnt lgkmcnt(0)
	v_cmp_eq_f64_e32 vcc, 0, v[117:118]
	v_cmp_eq_f64_e64 s[0:1], 0, v[119:120]
	s_and_b64 s[0:1], vcc, s[0:1]
	s_and_saveexec_b64 s[18:19], s[0:1]
	s_xor_b64 s[0:1], exec, s[18:19]
; %bb.171:
	v_cmp_ne_u32_e32 vcc, 0, v95
	v_cndmask_b32_e32 v95, 9, v95, vcc
; %bb.172:
	s_andn2_saveexec_b64 s[0:1], s[0:1]
	s_cbranch_execz .LBB88_178
; %bb.173:
	v_cmp_ngt_f64_e64 s[18:19], |v[117:118]|, |v[119:120]|
	s_and_saveexec_b64 s[20:21], s[18:19]
	s_xor_b64 s[18:19], exec, s[20:21]
	s_cbranch_execz .LBB88_175
; %bb.174:
	v_div_scale_f64 v[98:99], s[20:21], v[119:120], v[119:120], v[117:118]
	v_rcp_f64_e32 v[100:101], v[98:99]
	v_fma_f64 v[102:103], -v[98:99], v[100:101], 1.0
	v_fma_f64 v[100:101], v[100:101], v[102:103], v[100:101]
	v_div_scale_f64 v[102:103], vcc, v[117:118], v[119:120], v[117:118]
	v_fma_f64 v[104:105], -v[98:99], v[100:101], 1.0
	v_fma_f64 v[100:101], v[100:101], v[104:105], v[100:101]
	v_mul_f64 v[104:105], v[102:103], v[100:101]
	v_fma_f64 v[98:99], -v[98:99], v[104:105], v[102:103]
	v_div_fmas_f64 v[98:99], v[98:99], v[100:101], v[104:105]
	v_div_fixup_f64 v[98:99], v[98:99], v[119:120], v[117:118]
	v_fma_f64 v[100:101], v[117:118], v[98:99], v[119:120]
	v_div_scale_f64 v[102:103], s[20:21], v[100:101], v[100:101], 1.0
	v_div_scale_f64 v[108:109], vcc, 1.0, v[100:101], 1.0
	v_rcp_f64_e32 v[104:105], v[102:103]
	v_fma_f64 v[106:107], -v[102:103], v[104:105], 1.0
	v_fma_f64 v[104:105], v[104:105], v[106:107], v[104:105]
	v_fma_f64 v[106:107], -v[102:103], v[104:105], 1.0
	v_fma_f64 v[104:105], v[104:105], v[106:107], v[104:105]
	v_mul_f64 v[106:107], v[108:109], v[104:105]
	v_fma_f64 v[102:103], -v[102:103], v[106:107], v[108:109]
	v_div_fmas_f64 v[102:103], v[102:103], v[104:105], v[106:107]
	v_div_fixup_f64 v[119:120], v[102:103], v[100:101], 1.0
	v_mul_f64 v[117:118], v[98:99], v[119:120]
	v_xor_b32_e32 v120, 0x80000000, v120
.LBB88_175:
	s_andn2_saveexec_b64 s[18:19], s[18:19]
	s_cbranch_execz .LBB88_177
; %bb.176:
	v_div_scale_f64 v[98:99], s[20:21], v[117:118], v[117:118], v[119:120]
	v_rcp_f64_e32 v[100:101], v[98:99]
	v_fma_f64 v[102:103], -v[98:99], v[100:101], 1.0
	v_fma_f64 v[100:101], v[100:101], v[102:103], v[100:101]
	v_div_scale_f64 v[102:103], vcc, v[119:120], v[117:118], v[119:120]
	v_fma_f64 v[104:105], -v[98:99], v[100:101], 1.0
	v_fma_f64 v[100:101], v[100:101], v[104:105], v[100:101]
	v_mul_f64 v[104:105], v[102:103], v[100:101]
	v_fma_f64 v[98:99], -v[98:99], v[104:105], v[102:103]
	v_div_fmas_f64 v[98:99], v[98:99], v[100:101], v[104:105]
	v_div_fixup_f64 v[98:99], v[98:99], v[117:118], v[119:120]
	v_fma_f64 v[100:101], v[119:120], v[98:99], v[117:118]
	v_div_scale_f64 v[102:103], s[20:21], v[100:101], v[100:101], 1.0
	v_div_scale_f64 v[108:109], vcc, 1.0, v[100:101], 1.0
	v_rcp_f64_e32 v[104:105], v[102:103]
	v_fma_f64 v[106:107], -v[102:103], v[104:105], 1.0
	v_fma_f64 v[104:105], v[104:105], v[106:107], v[104:105]
	v_fma_f64 v[106:107], -v[102:103], v[104:105], 1.0
	v_fma_f64 v[104:105], v[104:105], v[106:107], v[104:105]
	v_mul_f64 v[106:107], v[108:109], v[104:105]
	v_fma_f64 v[102:103], -v[102:103], v[106:107], v[108:109]
	v_div_fmas_f64 v[102:103], v[102:103], v[104:105], v[106:107]
	v_div_fixup_f64 v[117:118], v[102:103], v[100:101], 1.0
	v_mul_f64 v[119:120], v[98:99], -v[117:118]
.LBB88_177:
	s_or_b64 exec, exec, s[18:19]
.LBB88_178:
	s_or_b64 exec, exec, s[0:1]
	v_cmp_ne_u32_e32 vcc, v96, v97
	s_and_saveexec_b64 s[0:1], vcc
	s_xor_b64 s[0:1], exec, s[0:1]
	s_cbranch_execz .LBB88_184
; %bb.179:
	v_cmp_eq_u32_e32 vcc, 8, v96
	s_and_saveexec_b64 s[18:19], vcc
	s_cbranch_execz .LBB88_183
; %bb.180:
	v_cmp_ne_u32_e32 vcc, 8, v97
	s_xor_b64 s[20:21], s[6:7], -1
	s_and_b64 s[22:23], s[20:21], vcc
	s_and_saveexec_b64 s[20:21], s[22:23]
	s_cbranch_execz .LBB88_182
; %bb.181:
	buffer_load_dword v85, off, s[24:27], 0 offset:288 ; 4-byte Folded Reload
	buffer_load_dword v86, off, s[24:27], 0 offset:292 ; 4-byte Folded Reload
	v_ashrrev_i32_e32 v98, 31, v97
	v_lshlrev_b64 v[98:99], 2, v[97:98]
	s_waitcnt vmcnt(1)
	v_add_co_u32_e32 v98, vcc, v85, v98
	s_waitcnt vmcnt(0)
	v_addc_co_u32_e32 v99, vcc, v86, v99, vcc
	global_load_dword v0, v[98:99], off
	global_load_dword v96, v[85:86], off offset:32
	s_waitcnt vmcnt(1)
	global_store_dword v[85:86], v0, off offset:32
	s_waitcnt vmcnt(1)
	global_store_dword v[98:99], v96, off
.LBB88_182:
	s_or_b64 exec, exec, s[20:21]
	v_mov_b32_e32 v96, v97
	v_mov_b32_e32 v0, v97
.LBB88_183:
	s_or_b64 exec, exec, s[18:19]
.LBB88_184:
	s_andn2_saveexec_b64 s[0:1], s[0:1]
	s_cbranch_execz .LBB88_186
; %bb.185:
	buffer_load_dword v85, off, s[24:27], 0 offset:176 ; 4-byte Folded Reload
	buffer_load_dword v86, off, s[24:27], 0 offset:180 ; 4-byte Folded Reload
	;; [unrolled: 1-line block ×4, first 2 shown]
	v_mov_b32_e32 v96, 8
	s_waitcnt vmcnt(0)
	ds_write2_b64 v94, v[85:86], v[87:88] offset0:18 offset1:19
	buffer_load_dword v85, off, s[24:27], 0 offset:160 ; 4-byte Folded Reload
	buffer_load_dword v86, off, s[24:27], 0 offset:164 ; 4-byte Folded Reload
	buffer_load_dword v87, off, s[24:27], 0 offset:168 ; 4-byte Folded Reload
	buffer_load_dword v88, off, s[24:27], 0 offset:172 ; 4-byte Folded Reload
	s_waitcnt vmcnt(0)
	ds_write2_b64 v94, v[85:86], v[87:88] offset0:20 offset1:21
	buffer_load_dword v85, off, s[24:27], 0 offset:144 ; 4-byte Folded Reload
	buffer_load_dword v86, off, s[24:27], 0 offset:148 ; 4-byte Folded Reload
	buffer_load_dword v87, off, s[24:27], 0 offset:152 ; 4-byte Folded Reload
	buffer_load_dword v88, off, s[24:27], 0 offset:156 ; 4-byte Folded Reload
	;; [unrolled: 6-line block ×10, first 2 shown]
	s_waitcnt vmcnt(0)
	ds_write2_b64 v94, v[85:86], v[87:88] offset0:38 offset1:39
	buffer_load_dword v85, off, s[24:27], 0 ; 4-byte Folded Reload
	buffer_load_dword v86, off, s[24:27], 0 offset:4 ; 4-byte Folded Reload
	buffer_load_dword v87, off, s[24:27], 0 offset:8 ; 4-byte Folded Reload
	;; [unrolled: 1-line block ×3, first 2 shown]
	s_waitcnt vmcnt(0)
	ds_write2_b64 v94, v[85:86], v[87:88] offset0:40 offset1:41
	ds_write2_b64 v94, v[111:112], v[113:114] offset0:42 offset1:43
	;; [unrolled: 1-line block ×25, first 2 shown]
.LBB88_186:
	s_or_b64 exec, exec, s[0:1]
	v_cmp_lt_i32_e32 vcc, 8, v96
	s_waitcnt vmcnt(0) lgkmcnt(0)
	s_barrier
	s_and_saveexec_b64 s[0:1], vcc
	s_cbranch_execz .LBB88_188
; %bb.187:
	buffer_load_dword v101, off, s[24:27], 0 offset:192 ; 4-byte Folded Reload
	buffer_load_dword v102, off, s[24:27], 0 offset:196 ; 4-byte Folded Reload
	;; [unrolled: 1-line block ×4, first 2 shown]
	s_waitcnt vmcnt(0)
	v_mul_f64 v[97:98], v[119:120], v[103:104]
	v_fma_f64 v[125:126], v[117:118], v[101:102], -v[97:98]
	v_mul_f64 v[97:98], v[117:118], v[103:104]
	v_fma_f64 v[103:104], v[119:120], v[101:102], v[97:98]
	ds_read2_b64 v[97:100], v94 offset0:18 offset1:19
	buffer_load_dword v85, off, s[24:27], 0 offset:176 ; 4-byte Folded Reload
	buffer_load_dword v86, off, s[24:27], 0 offset:180 ; 4-byte Folded Reload
	buffer_load_dword v87, off, s[24:27], 0 offset:184 ; 4-byte Folded Reload
	buffer_load_dword v88, off, s[24:27], 0 offset:188 ; 4-byte Folded Reload
	s_waitcnt lgkmcnt(0)
	v_mul_f64 v[101:102], v[99:100], v[103:104]
	v_fma_f64 v[101:102], v[97:98], v[125:126], -v[101:102]
	v_mul_f64 v[97:98], v[97:98], v[103:104]
	v_fma_f64 v[97:98], v[99:100], v[125:126], v[97:98]
	s_waitcnt vmcnt(2)
	v_add_f64 v[85:86], v[85:86], -v[101:102]
	s_waitcnt vmcnt(0)
	v_add_f64 v[87:88], v[87:88], -v[97:98]
	buffer_store_dword v85, off, s[24:27], 0 offset:176 ; 4-byte Folded Spill
	s_nop 0
	buffer_store_dword v86, off, s[24:27], 0 offset:180 ; 4-byte Folded Spill
	buffer_store_dword v87, off, s[24:27], 0 offset:184 ; 4-byte Folded Spill
	buffer_store_dword v88, off, s[24:27], 0 offset:188 ; 4-byte Folded Spill
	ds_read2_b64 v[97:100], v94 offset0:20 offset1:21
	buffer_load_dword v85, off, s[24:27], 0 offset:160 ; 4-byte Folded Reload
	buffer_load_dword v86, off, s[24:27], 0 offset:164 ; 4-byte Folded Reload
	buffer_load_dword v87, off, s[24:27], 0 offset:168 ; 4-byte Folded Reload
	buffer_load_dword v88, off, s[24:27], 0 offset:172 ; 4-byte Folded Reload
	s_waitcnt lgkmcnt(0)
	v_mul_f64 v[101:102], v[99:100], v[103:104]
	v_fma_f64 v[101:102], v[97:98], v[125:126], -v[101:102]
	v_mul_f64 v[97:98], v[97:98], v[103:104]
	v_fma_f64 v[97:98], v[99:100], v[125:126], v[97:98]
	s_waitcnt vmcnt(2)
	v_add_f64 v[85:86], v[85:86], -v[101:102]
	s_waitcnt vmcnt(0)
	v_add_f64 v[87:88], v[87:88], -v[97:98]
	buffer_store_dword v85, off, s[24:27], 0 offset:160 ; 4-byte Folded Spill
	s_nop 0
	buffer_store_dword v86, off, s[24:27], 0 offset:164 ; 4-byte Folded Spill
	buffer_store_dword v87, off, s[24:27], 0 offset:168 ; 4-byte Folded Spill
	buffer_store_dword v88, off, s[24:27], 0 offset:172 ; 4-byte Folded Spill
	;; [unrolled: 19-line block ×11, first 2 shown]
	ds_read2_b64 v[97:100], v94 offset0:40 offset1:41
	buffer_load_dword v85, off, s[24:27], 0 ; 4-byte Folded Reload
	buffer_load_dword v86, off, s[24:27], 0 offset:4 ; 4-byte Folded Reload
	buffer_load_dword v87, off, s[24:27], 0 offset:8 ; 4-byte Folded Reload
	;; [unrolled: 1-line block ×3, first 2 shown]
	s_waitcnt lgkmcnt(0)
	v_mul_f64 v[101:102], v[99:100], v[103:104]
	v_fma_f64 v[101:102], v[97:98], v[125:126], -v[101:102]
	v_mul_f64 v[97:98], v[97:98], v[103:104]
	v_fma_f64 v[97:98], v[99:100], v[125:126], v[97:98]
	s_waitcnt vmcnt(2)
	v_add_f64 v[85:86], v[85:86], -v[101:102]
	s_waitcnt vmcnt(0)
	v_add_f64 v[87:88], v[87:88], -v[97:98]
	buffer_store_dword v85, off, s[24:27], 0 ; 4-byte Folded Spill
	s_nop 0
	buffer_store_dword v86, off, s[24:27], 0 offset:4 ; 4-byte Folded Spill
	buffer_store_dword v87, off, s[24:27], 0 offset:8 ; 4-byte Folded Spill
	;; [unrolled: 1-line block ×3, first 2 shown]
	ds_read2_b64 v[97:100], v94 offset0:42 offset1:43
	s_waitcnt lgkmcnt(0)
	v_mul_f64 v[101:102], v[99:100], v[103:104]
	v_fma_f64 v[101:102], v[97:98], v[125:126], -v[101:102]
	v_mul_f64 v[97:98], v[97:98], v[103:104]
	v_add_f64 v[111:112], v[111:112], -v[101:102]
	v_fma_f64 v[97:98], v[99:100], v[125:126], v[97:98]
	v_add_f64 v[113:114], v[113:114], -v[97:98]
	ds_read2_b64 v[97:100], v94 offset0:44 offset1:45
	s_waitcnt lgkmcnt(0)
	v_mul_f64 v[101:102], v[99:100], v[103:104]
	v_fma_f64 v[101:102], v[97:98], v[125:126], -v[101:102]
	v_mul_f64 v[97:98], v[97:98], v[103:104]
	v_add_f64 v[89:90], v[89:90], -v[101:102]
	v_fma_f64 v[97:98], v[99:100], v[125:126], v[97:98]
	v_add_f64 v[91:92], v[91:92], -v[97:98]
	;; [unrolled: 8-line block ×23, first 2 shown]
	ds_read2_b64 v[97:100], v94 offset0:88 offset1:89
	s_waitcnt lgkmcnt(0)
	v_mul_f64 v[101:102], v[99:100], v[103:104]
	v_fma_f64 v[101:102], v[97:98], v[125:126], -v[101:102]
	v_mul_f64 v[97:98], v[97:98], v[103:104]
	v_add_f64 v[121:122], v[121:122], -v[101:102]
	v_fma_f64 v[97:98], v[99:100], v[125:126], v[97:98]
	v_mov_b32_e32 v101, v125
	v_mov_b32_e32 v102, v126
	buffer_store_dword v101, off, s[24:27], 0 offset:192 ; 4-byte Folded Spill
	s_nop 0
	buffer_store_dword v102, off, s[24:27], 0 offset:196 ; 4-byte Folded Spill
	buffer_store_dword v103, off, s[24:27], 0 offset:200 ; 4-byte Folded Spill
	buffer_store_dword v104, off, s[24:27], 0 offset:204 ; 4-byte Folded Spill
	v_add_f64 v[123:124], v[123:124], -v[97:98]
.LBB88_188:
	s_or_b64 exec, exec, s[0:1]
	s_waitcnt vmcnt(0)
	s_barrier
	buffer_load_dword v85, off, s[24:27], 0 offset:176 ; 4-byte Folded Reload
	buffer_load_dword v86, off, s[24:27], 0 offset:180 ; 4-byte Folded Reload
	;; [unrolled: 1-line block ×4, first 2 shown]
	v_lshl_add_u32 v97, v96, 4, v94
	s_cmp_lt_i32 s3, 11
	s_waitcnt vmcnt(0)
	ds_write2_b64 v97, v[85:86], v[87:88] offset1:1
	s_waitcnt lgkmcnt(0)
	s_barrier
	ds_read2_b64 v[117:120], v94 offset0:18 offset1:19
	v_mov_b32_e32 v97, 9
	s_cbranch_scc1 .LBB88_191
; %bb.189:
	v_add_u32_e32 v98, 0xa0, v94
	s_mov_b32 s0, 10
	v_mov_b32_e32 v97, 9
.LBB88_190:                             ; =>This Inner Loop Header: Depth=1
	s_waitcnt lgkmcnt(0)
	v_cmp_gt_f64_e32 vcc, 0, v[117:118]
	v_xor_b32_e32 v103, 0x80000000, v118
	ds_read2_b64 v[99:102], v98 offset1:1
	v_xor_b32_e32 v105, 0x80000000, v120
	v_add_u32_e32 v98, 16, v98
	s_waitcnt lgkmcnt(0)
	v_xor_b32_e32 v107, 0x80000000, v102
	v_cndmask_b32_e32 v104, v118, v103, vcc
	v_cmp_gt_f64_e32 vcc, 0, v[119:120]
	v_mov_b32_e32 v103, v117
	v_cndmask_b32_e32 v106, v120, v105, vcc
	v_cmp_gt_f64_e32 vcc, 0, v[99:100]
	v_mov_b32_e32 v105, v119
	v_add_f64 v[103:104], v[103:104], v[105:106]
	v_xor_b32_e32 v105, 0x80000000, v100
	v_cndmask_b32_e32 v106, v100, v105, vcc
	v_cmp_gt_f64_e32 vcc, 0, v[101:102]
	v_mov_b32_e32 v105, v99
	v_cndmask_b32_e32 v108, v102, v107, vcc
	v_mov_b32_e32 v107, v101
	v_add_f64 v[105:106], v[105:106], v[107:108]
	v_cmp_lt_f64_e32 vcc, v[103:104], v[105:106]
	v_cndmask_b32_e32 v117, v117, v99, vcc
	v_mov_b32_e32 v99, s0
	s_add_i32 s0, s0, 1
	v_cndmask_b32_e32 v118, v118, v100, vcc
	v_cndmask_b32_e32 v120, v120, v102, vcc
	;; [unrolled: 1-line block ×4, first 2 shown]
	s_cmp_lg_u32 s3, s0
	s_cbranch_scc1 .LBB88_190
.LBB88_191:
	s_waitcnt lgkmcnt(0)
	v_cmp_eq_f64_e32 vcc, 0, v[117:118]
	v_cmp_eq_f64_e64 s[0:1], 0, v[119:120]
	s_and_b64 s[0:1], vcc, s[0:1]
	s_and_saveexec_b64 s[18:19], s[0:1]
	s_xor_b64 s[0:1], exec, s[18:19]
; %bb.192:
	v_cmp_ne_u32_e32 vcc, 0, v95
	v_cndmask_b32_e32 v95, 10, v95, vcc
; %bb.193:
	s_andn2_saveexec_b64 s[0:1], s[0:1]
	s_cbranch_execz .LBB88_199
; %bb.194:
	v_cmp_ngt_f64_e64 s[18:19], |v[117:118]|, |v[119:120]|
	s_and_saveexec_b64 s[20:21], s[18:19]
	s_xor_b64 s[18:19], exec, s[20:21]
	s_cbranch_execz .LBB88_196
; %bb.195:
	v_div_scale_f64 v[98:99], s[20:21], v[119:120], v[119:120], v[117:118]
	v_rcp_f64_e32 v[100:101], v[98:99]
	v_fma_f64 v[102:103], -v[98:99], v[100:101], 1.0
	v_fma_f64 v[100:101], v[100:101], v[102:103], v[100:101]
	v_div_scale_f64 v[102:103], vcc, v[117:118], v[119:120], v[117:118]
	v_fma_f64 v[104:105], -v[98:99], v[100:101], 1.0
	v_fma_f64 v[100:101], v[100:101], v[104:105], v[100:101]
	v_mul_f64 v[104:105], v[102:103], v[100:101]
	v_fma_f64 v[98:99], -v[98:99], v[104:105], v[102:103]
	v_div_fmas_f64 v[98:99], v[98:99], v[100:101], v[104:105]
	v_div_fixup_f64 v[98:99], v[98:99], v[119:120], v[117:118]
	v_fma_f64 v[100:101], v[117:118], v[98:99], v[119:120]
	v_div_scale_f64 v[102:103], s[20:21], v[100:101], v[100:101], 1.0
	v_div_scale_f64 v[108:109], vcc, 1.0, v[100:101], 1.0
	v_rcp_f64_e32 v[104:105], v[102:103]
	v_fma_f64 v[106:107], -v[102:103], v[104:105], 1.0
	v_fma_f64 v[104:105], v[104:105], v[106:107], v[104:105]
	v_fma_f64 v[106:107], -v[102:103], v[104:105], 1.0
	v_fma_f64 v[104:105], v[104:105], v[106:107], v[104:105]
	v_mul_f64 v[106:107], v[108:109], v[104:105]
	v_fma_f64 v[102:103], -v[102:103], v[106:107], v[108:109]
	v_div_fmas_f64 v[102:103], v[102:103], v[104:105], v[106:107]
	v_div_fixup_f64 v[119:120], v[102:103], v[100:101], 1.0
	v_mul_f64 v[117:118], v[98:99], v[119:120]
	v_xor_b32_e32 v120, 0x80000000, v120
.LBB88_196:
	s_andn2_saveexec_b64 s[18:19], s[18:19]
	s_cbranch_execz .LBB88_198
; %bb.197:
	v_div_scale_f64 v[98:99], s[20:21], v[117:118], v[117:118], v[119:120]
	v_rcp_f64_e32 v[100:101], v[98:99]
	v_fma_f64 v[102:103], -v[98:99], v[100:101], 1.0
	v_fma_f64 v[100:101], v[100:101], v[102:103], v[100:101]
	v_div_scale_f64 v[102:103], vcc, v[119:120], v[117:118], v[119:120]
	v_fma_f64 v[104:105], -v[98:99], v[100:101], 1.0
	v_fma_f64 v[100:101], v[100:101], v[104:105], v[100:101]
	v_mul_f64 v[104:105], v[102:103], v[100:101]
	v_fma_f64 v[98:99], -v[98:99], v[104:105], v[102:103]
	v_div_fmas_f64 v[98:99], v[98:99], v[100:101], v[104:105]
	v_div_fixup_f64 v[98:99], v[98:99], v[117:118], v[119:120]
	v_fma_f64 v[100:101], v[119:120], v[98:99], v[117:118]
	v_div_scale_f64 v[102:103], s[20:21], v[100:101], v[100:101], 1.0
	v_div_scale_f64 v[108:109], vcc, 1.0, v[100:101], 1.0
	v_rcp_f64_e32 v[104:105], v[102:103]
	v_fma_f64 v[106:107], -v[102:103], v[104:105], 1.0
	v_fma_f64 v[104:105], v[104:105], v[106:107], v[104:105]
	v_fma_f64 v[106:107], -v[102:103], v[104:105], 1.0
	v_fma_f64 v[104:105], v[104:105], v[106:107], v[104:105]
	v_mul_f64 v[106:107], v[108:109], v[104:105]
	v_fma_f64 v[102:103], -v[102:103], v[106:107], v[108:109]
	v_div_fmas_f64 v[102:103], v[102:103], v[104:105], v[106:107]
	v_div_fixup_f64 v[117:118], v[102:103], v[100:101], 1.0
	v_mul_f64 v[119:120], v[98:99], -v[117:118]
.LBB88_198:
	s_or_b64 exec, exec, s[18:19]
.LBB88_199:
	s_or_b64 exec, exec, s[0:1]
	v_cmp_ne_u32_e32 vcc, v96, v97
	s_and_saveexec_b64 s[0:1], vcc
	s_xor_b64 s[0:1], exec, s[0:1]
	s_cbranch_execz .LBB88_205
; %bb.200:
	v_cmp_eq_u32_e32 vcc, 9, v96
	s_and_saveexec_b64 s[18:19], vcc
	s_cbranch_execz .LBB88_204
; %bb.201:
	v_cmp_ne_u32_e32 vcc, 9, v97
	s_xor_b64 s[20:21], s[6:7], -1
	s_and_b64 s[22:23], s[20:21], vcc
	s_and_saveexec_b64 s[20:21], s[22:23]
	s_cbranch_execz .LBB88_203
; %bb.202:
	buffer_load_dword v85, off, s[24:27], 0 offset:288 ; 4-byte Folded Reload
	buffer_load_dword v86, off, s[24:27], 0 offset:292 ; 4-byte Folded Reload
	v_ashrrev_i32_e32 v98, 31, v97
	v_lshlrev_b64 v[98:99], 2, v[97:98]
	s_waitcnt vmcnt(1)
	v_add_co_u32_e32 v98, vcc, v85, v98
	s_waitcnt vmcnt(0)
	v_addc_co_u32_e32 v99, vcc, v86, v99, vcc
	global_load_dword v0, v[98:99], off
	global_load_dword v96, v[85:86], off offset:36
	s_waitcnt vmcnt(1)
	global_store_dword v[85:86], v0, off offset:36
	s_waitcnt vmcnt(1)
	global_store_dword v[98:99], v96, off
.LBB88_203:
	s_or_b64 exec, exec, s[20:21]
	v_mov_b32_e32 v96, v97
	v_mov_b32_e32 v0, v97
.LBB88_204:
	s_or_b64 exec, exec, s[18:19]
.LBB88_205:
	s_andn2_saveexec_b64 s[0:1], s[0:1]
	s_cbranch_execz .LBB88_207
; %bb.206:
	buffer_load_dword v85, off, s[24:27], 0 offset:160 ; 4-byte Folded Reload
	buffer_load_dword v86, off, s[24:27], 0 offset:164 ; 4-byte Folded Reload
	;; [unrolled: 1-line block ×4, first 2 shown]
	v_mov_b32_e32 v96, 9
	s_waitcnt vmcnt(0)
	ds_write2_b64 v94, v[85:86], v[87:88] offset0:20 offset1:21
	buffer_load_dword v85, off, s[24:27], 0 offset:144 ; 4-byte Folded Reload
	buffer_load_dword v86, off, s[24:27], 0 offset:148 ; 4-byte Folded Reload
	buffer_load_dword v87, off, s[24:27], 0 offset:152 ; 4-byte Folded Reload
	buffer_load_dword v88, off, s[24:27], 0 offset:156 ; 4-byte Folded Reload
	s_waitcnt vmcnt(0)
	ds_write2_b64 v94, v[85:86], v[87:88] offset0:22 offset1:23
	buffer_load_dword v85, off, s[24:27], 0 offset:128 ; 4-byte Folded Reload
	buffer_load_dword v86, off, s[24:27], 0 offset:132 ; 4-byte Folded Reload
	buffer_load_dword v87, off, s[24:27], 0 offset:136 ; 4-byte Folded Reload
	buffer_load_dword v88, off, s[24:27], 0 offset:140 ; 4-byte Folded Reload
	s_waitcnt vmcnt(0)
	ds_write2_b64 v94, v[85:86], v[87:88] offset0:24 offset1:25
	buffer_load_dword v85, off, s[24:27], 0 offset:112 ; 4-byte Folded Reload
	buffer_load_dword v86, off, s[24:27], 0 offset:116 ; 4-byte Folded Reload
	buffer_load_dword v87, off, s[24:27], 0 offset:120 ; 4-byte Folded Reload
	buffer_load_dword v88, off, s[24:27], 0 offset:124 ; 4-byte Folded Reload
	s_waitcnt vmcnt(0)
	ds_write2_b64 v94, v[85:86], v[87:88] offset0:26 offset1:27
	buffer_load_dword v85, off, s[24:27], 0 offset:96 ; 4-byte Folded Reload
	buffer_load_dword v86, off, s[24:27], 0 offset:100 ; 4-byte Folded Reload
	buffer_load_dword v87, off, s[24:27], 0 offset:104 ; 4-byte Folded Reload
	buffer_load_dword v88, off, s[24:27], 0 offset:108 ; 4-byte Folded Reload
	s_waitcnt vmcnt(0)
	ds_write2_b64 v94, v[85:86], v[87:88] offset0:28 offset1:29
	buffer_load_dword v85, off, s[24:27], 0 offset:80 ; 4-byte Folded Reload
	buffer_load_dword v86, off, s[24:27], 0 offset:84 ; 4-byte Folded Reload
	buffer_load_dword v87, off, s[24:27], 0 offset:88 ; 4-byte Folded Reload
	buffer_load_dword v88, off, s[24:27], 0 offset:92 ; 4-byte Folded Reload
	s_waitcnt vmcnt(0)
	ds_write2_b64 v94, v[85:86], v[87:88] offset0:30 offset1:31
	buffer_load_dword v85, off, s[24:27], 0 offset:64 ; 4-byte Folded Reload
	buffer_load_dword v86, off, s[24:27], 0 offset:68 ; 4-byte Folded Reload
	buffer_load_dword v87, off, s[24:27], 0 offset:72 ; 4-byte Folded Reload
	buffer_load_dword v88, off, s[24:27], 0 offset:76 ; 4-byte Folded Reload
	s_waitcnt vmcnt(0)
	ds_write2_b64 v94, v[85:86], v[87:88] offset0:32 offset1:33
	buffer_load_dword v85, off, s[24:27], 0 offset:48 ; 4-byte Folded Reload
	buffer_load_dword v86, off, s[24:27], 0 offset:52 ; 4-byte Folded Reload
	buffer_load_dword v87, off, s[24:27], 0 offset:56 ; 4-byte Folded Reload
	buffer_load_dword v88, off, s[24:27], 0 offset:60 ; 4-byte Folded Reload
	s_waitcnt vmcnt(0)
	ds_write2_b64 v94, v[85:86], v[87:88] offset0:34 offset1:35
	buffer_load_dword v85, off, s[24:27], 0 offset:32 ; 4-byte Folded Reload
	buffer_load_dword v86, off, s[24:27], 0 offset:36 ; 4-byte Folded Reload
	buffer_load_dword v87, off, s[24:27], 0 offset:40 ; 4-byte Folded Reload
	buffer_load_dword v88, off, s[24:27], 0 offset:44 ; 4-byte Folded Reload
	s_waitcnt vmcnt(0)
	ds_write2_b64 v94, v[85:86], v[87:88] offset0:36 offset1:37
	buffer_load_dword v85, off, s[24:27], 0 offset:16 ; 4-byte Folded Reload
	buffer_load_dword v86, off, s[24:27], 0 offset:20 ; 4-byte Folded Reload
	buffer_load_dword v87, off, s[24:27], 0 offset:24 ; 4-byte Folded Reload
	buffer_load_dword v88, off, s[24:27], 0 offset:28 ; 4-byte Folded Reload
	s_waitcnt vmcnt(0)
	ds_write2_b64 v94, v[85:86], v[87:88] offset0:38 offset1:39
	buffer_load_dword v85, off, s[24:27], 0 ; 4-byte Folded Reload
	buffer_load_dword v86, off, s[24:27], 0 offset:4 ; 4-byte Folded Reload
	buffer_load_dword v87, off, s[24:27], 0 offset:8 ; 4-byte Folded Reload
	;; [unrolled: 1-line block ×3, first 2 shown]
	s_waitcnt vmcnt(0)
	ds_write2_b64 v94, v[85:86], v[87:88] offset0:40 offset1:41
	ds_write2_b64 v94, v[111:112], v[113:114] offset0:42 offset1:43
	;; [unrolled: 1-line block ×25, first 2 shown]
.LBB88_207:
	s_or_b64 exec, exec, s[0:1]
	v_cmp_lt_i32_e32 vcc, 9, v96
	s_waitcnt vmcnt(0) lgkmcnt(0)
	s_barrier
	s_and_saveexec_b64 s[0:1], vcc
	s_cbranch_execz .LBB88_209
; %bb.208:
	buffer_load_dword v101, off, s[24:27], 0 offset:176 ; 4-byte Folded Reload
	buffer_load_dword v102, off, s[24:27], 0 offset:180 ; 4-byte Folded Reload
	;; [unrolled: 1-line block ×4, first 2 shown]
	s_waitcnt vmcnt(0)
	v_mul_f64 v[97:98], v[119:120], v[103:104]
	v_fma_f64 v[125:126], v[117:118], v[101:102], -v[97:98]
	v_mul_f64 v[97:98], v[117:118], v[103:104]
	v_fma_f64 v[103:104], v[119:120], v[101:102], v[97:98]
	ds_read2_b64 v[97:100], v94 offset0:20 offset1:21
	buffer_load_dword v85, off, s[24:27], 0 offset:160 ; 4-byte Folded Reload
	buffer_load_dword v86, off, s[24:27], 0 offset:164 ; 4-byte Folded Reload
	buffer_load_dword v87, off, s[24:27], 0 offset:168 ; 4-byte Folded Reload
	buffer_load_dword v88, off, s[24:27], 0 offset:172 ; 4-byte Folded Reload
	s_waitcnt lgkmcnt(0)
	v_mul_f64 v[101:102], v[99:100], v[103:104]
	v_fma_f64 v[101:102], v[97:98], v[125:126], -v[101:102]
	v_mul_f64 v[97:98], v[97:98], v[103:104]
	v_fma_f64 v[97:98], v[99:100], v[125:126], v[97:98]
	s_waitcnt vmcnt(2)
	v_add_f64 v[85:86], v[85:86], -v[101:102]
	s_waitcnt vmcnt(0)
	v_add_f64 v[87:88], v[87:88], -v[97:98]
	buffer_store_dword v85, off, s[24:27], 0 offset:160 ; 4-byte Folded Spill
	s_nop 0
	buffer_store_dword v86, off, s[24:27], 0 offset:164 ; 4-byte Folded Spill
	buffer_store_dword v87, off, s[24:27], 0 offset:168 ; 4-byte Folded Spill
	buffer_store_dword v88, off, s[24:27], 0 offset:172 ; 4-byte Folded Spill
	ds_read2_b64 v[97:100], v94 offset0:22 offset1:23
	buffer_load_dword v85, off, s[24:27], 0 offset:144 ; 4-byte Folded Reload
	buffer_load_dword v86, off, s[24:27], 0 offset:148 ; 4-byte Folded Reload
	buffer_load_dword v87, off, s[24:27], 0 offset:152 ; 4-byte Folded Reload
	buffer_load_dword v88, off, s[24:27], 0 offset:156 ; 4-byte Folded Reload
	s_waitcnt lgkmcnt(0)
	v_mul_f64 v[101:102], v[99:100], v[103:104]
	v_fma_f64 v[101:102], v[97:98], v[125:126], -v[101:102]
	v_mul_f64 v[97:98], v[97:98], v[103:104]
	v_fma_f64 v[97:98], v[99:100], v[125:126], v[97:98]
	s_waitcnt vmcnt(2)
	v_add_f64 v[85:86], v[85:86], -v[101:102]
	s_waitcnt vmcnt(0)
	v_add_f64 v[87:88], v[87:88], -v[97:98]
	buffer_store_dword v85, off, s[24:27], 0 offset:144 ; 4-byte Folded Spill
	s_nop 0
	buffer_store_dword v86, off, s[24:27], 0 offset:148 ; 4-byte Folded Spill
	buffer_store_dword v87, off, s[24:27], 0 offset:152 ; 4-byte Folded Spill
	buffer_store_dword v88, off, s[24:27], 0 offset:156 ; 4-byte Folded Spill
	;; [unrolled: 19-line block ×10, first 2 shown]
	ds_read2_b64 v[97:100], v94 offset0:40 offset1:41
	buffer_load_dword v85, off, s[24:27], 0 ; 4-byte Folded Reload
	buffer_load_dword v86, off, s[24:27], 0 offset:4 ; 4-byte Folded Reload
	buffer_load_dword v87, off, s[24:27], 0 offset:8 ; 4-byte Folded Reload
	;; [unrolled: 1-line block ×3, first 2 shown]
	s_waitcnt lgkmcnt(0)
	v_mul_f64 v[101:102], v[99:100], v[103:104]
	v_fma_f64 v[101:102], v[97:98], v[125:126], -v[101:102]
	v_mul_f64 v[97:98], v[97:98], v[103:104]
	v_fma_f64 v[97:98], v[99:100], v[125:126], v[97:98]
	s_waitcnt vmcnt(2)
	v_add_f64 v[85:86], v[85:86], -v[101:102]
	s_waitcnt vmcnt(0)
	v_add_f64 v[87:88], v[87:88], -v[97:98]
	buffer_store_dword v85, off, s[24:27], 0 ; 4-byte Folded Spill
	s_nop 0
	buffer_store_dword v86, off, s[24:27], 0 offset:4 ; 4-byte Folded Spill
	buffer_store_dword v87, off, s[24:27], 0 offset:8 ; 4-byte Folded Spill
	;; [unrolled: 1-line block ×3, first 2 shown]
	ds_read2_b64 v[97:100], v94 offset0:42 offset1:43
	s_waitcnt lgkmcnt(0)
	v_mul_f64 v[101:102], v[99:100], v[103:104]
	v_fma_f64 v[101:102], v[97:98], v[125:126], -v[101:102]
	v_mul_f64 v[97:98], v[97:98], v[103:104]
	v_add_f64 v[111:112], v[111:112], -v[101:102]
	v_fma_f64 v[97:98], v[99:100], v[125:126], v[97:98]
	v_add_f64 v[113:114], v[113:114], -v[97:98]
	ds_read2_b64 v[97:100], v94 offset0:44 offset1:45
	s_waitcnt lgkmcnt(0)
	v_mul_f64 v[101:102], v[99:100], v[103:104]
	v_fma_f64 v[101:102], v[97:98], v[125:126], -v[101:102]
	v_mul_f64 v[97:98], v[97:98], v[103:104]
	v_add_f64 v[89:90], v[89:90], -v[101:102]
	v_fma_f64 v[97:98], v[99:100], v[125:126], v[97:98]
	v_add_f64 v[91:92], v[91:92], -v[97:98]
	ds_read2_b64 v[97:100], v94 offset0:46 offset1:47
	s_waitcnt lgkmcnt(0)
	v_mul_f64 v[101:102], v[99:100], v[103:104]
	v_fma_f64 v[101:102], v[97:98], v[125:126], -v[101:102]
	v_mul_f64 v[97:98], v[97:98], v[103:104]
	v_add_f64 v[81:82], v[81:82], -v[101:102]
	v_fma_f64 v[97:98], v[99:100], v[125:126], v[97:98]
	v_add_f64 v[83:84], v[83:84], -v[97:98]
	ds_read2_b64 v[97:100], v94 offset0:48 offset1:49
	s_waitcnt lgkmcnt(0)
	v_mul_f64 v[101:102], v[99:100], v[103:104]
	v_fma_f64 v[101:102], v[97:98], v[125:126], -v[101:102]
	v_mul_f64 v[97:98], v[97:98], v[103:104]
	v_add_f64 v[77:78], v[77:78], -v[101:102]
	v_fma_f64 v[97:98], v[99:100], v[125:126], v[97:98]
	v_add_f64 v[79:80], v[79:80], -v[97:98]
	ds_read2_b64 v[97:100], v94 offset0:50 offset1:51
	s_waitcnt lgkmcnt(0)
	v_mul_f64 v[101:102], v[99:100], v[103:104]
	v_fma_f64 v[101:102], v[97:98], v[125:126], -v[101:102]
	v_mul_f64 v[97:98], v[97:98], v[103:104]
	v_add_f64 v[73:74], v[73:74], -v[101:102]
	v_fma_f64 v[97:98], v[99:100], v[125:126], v[97:98]
	v_add_f64 v[75:76], v[75:76], -v[97:98]
	ds_read2_b64 v[97:100], v94 offset0:52 offset1:53
	s_waitcnt lgkmcnt(0)
	v_mul_f64 v[101:102], v[99:100], v[103:104]
	v_fma_f64 v[101:102], v[97:98], v[125:126], -v[101:102]
	v_mul_f64 v[97:98], v[97:98], v[103:104]
	v_add_f64 v[69:70], v[69:70], -v[101:102]
	v_fma_f64 v[97:98], v[99:100], v[125:126], v[97:98]
	v_add_f64 v[71:72], v[71:72], -v[97:98]
	ds_read2_b64 v[97:100], v94 offset0:54 offset1:55
	s_waitcnt lgkmcnt(0)
	v_mul_f64 v[101:102], v[99:100], v[103:104]
	v_fma_f64 v[101:102], v[97:98], v[125:126], -v[101:102]
	v_mul_f64 v[97:98], v[97:98], v[103:104]
	v_add_f64 v[65:66], v[65:66], -v[101:102]
	v_fma_f64 v[97:98], v[99:100], v[125:126], v[97:98]
	v_add_f64 v[67:68], v[67:68], -v[97:98]
	ds_read2_b64 v[97:100], v94 offset0:56 offset1:57
	s_waitcnt lgkmcnt(0)
	v_mul_f64 v[101:102], v[99:100], v[103:104]
	v_fma_f64 v[101:102], v[97:98], v[125:126], -v[101:102]
	v_mul_f64 v[97:98], v[97:98], v[103:104]
	v_add_f64 v[61:62], v[61:62], -v[101:102]
	v_fma_f64 v[97:98], v[99:100], v[125:126], v[97:98]
	v_add_f64 v[63:64], v[63:64], -v[97:98]
	ds_read2_b64 v[97:100], v94 offset0:58 offset1:59
	s_waitcnt lgkmcnt(0)
	v_mul_f64 v[101:102], v[99:100], v[103:104]
	v_fma_f64 v[101:102], v[97:98], v[125:126], -v[101:102]
	v_mul_f64 v[97:98], v[97:98], v[103:104]
	v_add_f64 v[57:58], v[57:58], -v[101:102]
	v_fma_f64 v[97:98], v[99:100], v[125:126], v[97:98]
	v_add_f64 v[59:60], v[59:60], -v[97:98]
	ds_read2_b64 v[97:100], v94 offset0:60 offset1:61
	s_waitcnt lgkmcnt(0)
	v_mul_f64 v[101:102], v[99:100], v[103:104]
	v_fma_f64 v[101:102], v[97:98], v[125:126], -v[101:102]
	v_mul_f64 v[97:98], v[97:98], v[103:104]
	v_add_f64 v[53:54], v[53:54], -v[101:102]
	v_fma_f64 v[97:98], v[99:100], v[125:126], v[97:98]
	v_add_f64 v[55:56], v[55:56], -v[97:98]
	ds_read2_b64 v[97:100], v94 offset0:62 offset1:63
	s_waitcnt lgkmcnt(0)
	v_mul_f64 v[101:102], v[99:100], v[103:104]
	v_fma_f64 v[101:102], v[97:98], v[125:126], -v[101:102]
	v_mul_f64 v[97:98], v[97:98], v[103:104]
	v_add_f64 v[49:50], v[49:50], -v[101:102]
	v_fma_f64 v[97:98], v[99:100], v[125:126], v[97:98]
	v_add_f64 v[51:52], v[51:52], -v[97:98]
	ds_read2_b64 v[97:100], v94 offset0:64 offset1:65
	s_waitcnt lgkmcnt(0)
	v_mul_f64 v[101:102], v[99:100], v[103:104]
	v_fma_f64 v[101:102], v[97:98], v[125:126], -v[101:102]
	v_mul_f64 v[97:98], v[97:98], v[103:104]
	v_add_f64 v[45:46], v[45:46], -v[101:102]
	v_fma_f64 v[97:98], v[99:100], v[125:126], v[97:98]
	v_add_f64 v[47:48], v[47:48], -v[97:98]
	ds_read2_b64 v[97:100], v94 offset0:66 offset1:67
	s_waitcnt lgkmcnt(0)
	v_mul_f64 v[101:102], v[99:100], v[103:104]
	v_fma_f64 v[101:102], v[97:98], v[125:126], -v[101:102]
	v_mul_f64 v[97:98], v[97:98], v[103:104]
	v_add_f64 v[41:42], v[41:42], -v[101:102]
	v_fma_f64 v[97:98], v[99:100], v[125:126], v[97:98]
	v_add_f64 v[43:44], v[43:44], -v[97:98]
	ds_read2_b64 v[97:100], v94 offset0:68 offset1:69
	s_waitcnt lgkmcnt(0)
	v_mul_f64 v[101:102], v[99:100], v[103:104]
	v_fma_f64 v[101:102], v[97:98], v[125:126], -v[101:102]
	v_mul_f64 v[97:98], v[97:98], v[103:104]
	v_add_f64 v[37:38], v[37:38], -v[101:102]
	v_fma_f64 v[97:98], v[99:100], v[125:126], v[97:98]
	v_add_f64 v[39:40], v[39:40], -v[97:98]
	ds_read2_b64 v[97:100], v94 offset0:70 offset1:71
	s_waitcnt lgkmcnt(0)
	v_mul_f64 v[101:102], v[99:100], v[103:104]
	v_fma_f64 v[101:102], v[97:98], v[125:126], -v[101:102]
	v_mul_f64 v[97:98], v[97:98], v[103:104]
	v_add_f64 v[33:34], v[33:34], -v[101:102]
	v_fma_f64 v[97:98], v[99:100], v[125:126], v[97:98]
	v_add_f64 v[35:36], v[35:36], -v[97:98]
	ds_read2_b64 v[97:100], v94 offset0:72 offset1:73
	s_waitcnt lgkmcnt(0)
	v_mul_f64 v[101:102], v[99:100], v[103:104]
	v_fma_f64 v[101:102], v[97:98], v[125:126], -v[101:102]
	v_mul_f64 v[97:98], v[97:98], v[103:104]
	v_add_f64 v[29:30], v[29:30], -v[101:102]
	v_fma_f64 v[97:98], v[99:100], v[125:126], v[97:98]
	v_add_f64 v[31:32], v[31:32], -v[97:98]
	ds_read2_b64 v[97:100], v94 offset0:74 offset1:75
	s_waitcnt lgkmcnt(0)
	v_mul_f64 v[101:102], v[99:100], v[103:104]
	v_fma_f64 v[101:102], v[97:98], v[125:126], -v[101:102]
	v_mul_f64 v[97:98], v[97:98], v[103:104]
	v_add_f64 v[25:26], v[25:26], -v[101:102]
	v_fma_f64 v[97:98], v[99:100], v[125:126], v[97:98]
	v_add_f64 v[27:28], v[27:28], -v[97:98]
	ds_read2_b64 v[97:100], v94 offset0:76 offset1:77
	s_waitcnt lgkmcnt(0)
	v_mul_f64 v[101:102], v[99:100], v[103:104]
	v_fma_f64 v[101:102], v[97:98], v[125:126], -v[101:102]
	v_mul_f64 v[97:98], v[97:98], v[103:104]
	v_add_f64 v[21:22], v[21:22], -v[101:102]
	v_fma_f64 v[97:98], v[99:100], v[125:126], v[97:98]
	v_add_f64 v[23:24], v[23:24], -v[97:98]
	ds_read2_b64 v[97:100], v94 offset0:78 offset1:79
	s_waitcnt lgkmcnt(0)
	v_mul_f64 v[101:102], v[99:100], v[103:104]
	v_fma_f64 v[101:102], v[97:98], v[125:126], -v[101:102]
	v_mul_f64 v[97:98], v[97:98], v[103:104]
	v_add_f64 v[17:18], v[17:18], -v[101:102]
	v_fma_f64 v[97:98], v[99:100], v[125:126], v[97:98]
	v_add_f64 v[19:20], v[19:20], -v[97:98]
	ds_read2_b64 v[97:100], v94 offset0:80 offset1:81
	s_waitcnt lgkmcnt(0)
	v_mul_f64 v[101:102], v[99:100], v[103:104]
	v_fma_f64 v[101:102], v[97:98], v[125:126], -v[101:102]
	v_mul_f64 v[97:98], v[97:98], v[103:104]
	v_add_f64 v[13:14], v[13:14], -v[101:102]
	v_fma_f64 v[97:98], v[99:100], v[125:126], v[97:98]
	v_add_f64 v[15:16], v[15:16], -v[97:98]
	ds_read2_b64 v[97:100], v94 offset0:82 offset1:83
	s_waitcnt lgkmcnt(0)
	v_mul_f64 v[101:102], v[99:100], v[103:104]
	v_fma_f64 v[101:102], v[97:98], v[125:126], -v[101:102]
	v_mul_f64 v[97:98], v[97:98], v[103:104]
	v_add_f64 v[9:10], v[9:10], -v[101:102]
	v_fma_f64 v[97:98], v[99:100], v[125:126], v[97:98]
	v_add_f64 v[11:12], v[11:12], -v[97:98]
	ds_read2_b64 v[97:100], v94 offset0:84 offset1:85
	s_waitcnt lgkmcnt(0)
	v_mul_f64 v[101:102], v[99:100], v[103:104]
	v_fma_f64 v[101:102], v[97:98], v[125:126], -v[101:102]
	v_mul_f64 v[97:98], v[97:98], v[103:104]
	v_add_f64 v[5:6], v[5:6], -v[101:102]
	v_fma_f64 v[97:98], v[99:100], v[125:126], v[97:98]
	v_add_f64 v[7:8], v[7:8], -v[97:98]
	ds_read2_b64 v[97:100], v94 offset0:86 offset1:87
	s_waitcnt lgkmcnt(0)
	v_mul_f64 v[101:102], v[99:100], v[103:104]
	v_fma_f64 v[101:102], v[97:98], v[125:126], -v[101:102]
	v_mul_f64 v[97:98], v[97:98], v[103:104]
	v_add_f64 v[1:2], v[1:2], -v[101:102]
	v_fma_f64 v[97:98], v[99:100], v[125:126], v[97:98]
	v_add_f64 v[3:4], v[3:4], -v[97:98]
	ds_read2_b64 v[97:100], v94 offset0:88 offset1:89
	s_waitcnt lgkmcnt(0)
	v_mul_f64 v[101:102], v[99:100], v[103:104]
	v_fma_f64 v[101:102], v[97:98], v[125:126], -v[101:102]
	v_mul_f64 v[97:98], v[97:98], v[103:104]
	v_add_f64 v[121:122], v[121:122], -v[101:102]
	v_fma_f64 v[97:98], v[99:100], v[125:126], v[97:98]
	v_mov_b32_e32 v101, v125
	v_mov_b32_e32 v102, v126
	buffer_store_dword v101, off, s[24:27], 0 offset:176 ; 4-byte Folded Spill
	s_nop 0
	buffer_store_dword v102, off, s[24:27], 0 offset:180 ; 4-byte Folded Spill
	buffer_store_dword v103, off, s[24:27], 0 offset:184 ; 4-byte Folded Spill
	;; [unrolled: 1-line block ×3, first 2 shown]
	v_add_f64 v[123:124], v[123:124], -v[97:98]
.LBB88_209:
	s_or_b64 exec, exec, s[0:1]
	s_waitcnt vmcnt(0)
	s_barrier
	buffer_load_dword v85, off, s[24:27], 0 offset:160 ; 4-byte Folded Reload
	buffer_load_dword v86, off, s[24:27], 0 offset:164 ; 4-byte Folded Reload
	;; [unrolled: 1-line block ×4, first 2 shown]
	v_lshl_add_u32 v97, v96, 4, v94
	s_cmp_lt_i32 s3, 12
	s_waitcnt vmcnt(0)
	ds_write2_b64 v97, v[85:86], v[87:88] offset1:1
	s_waitcnt lgkmcnt(0)
	s_barrier
	ds_read2_b64 v[117:120], v94 offset0:20 offset1:21
	v_mov_b32_e32 v97, 10
	s_cbranch_scc1 .LBB88_212
; %bb.210:
	v_add_u32_e32 v98, 0xb0, v94
	s_mov_b32 s0, 11
	v_mov_b32_e32 v97, 10
.LBB88_211:                             ; =>This Inner Loop Header: Depth=1
	s_waitcnt lgkmcnt(0)
	v_cmp_gt_f64_e32 vcc, 0, v[117:118]
	v_xor_b32_e32 v103, 0x80000000, v118
	ds_read2_b64 v[99:102], v98 offset1:1
	v_xor_b32_e32 v105, 0x80000000, v120
	v_add_u32_e32 v98, 16, v98
	s_waitcnt lgkmcnt(0)
	v_xor_b32_e32 v107, 0x80000000, v102
	v_cndmask_b32_e32 v104, v118, v103, vcc
	v_cmp_gt_f64_e32 vcc, 0, v[119:120]
	v_mov_b32_e32 v103, v117
	v_cndmask_b32_e32 v106, v120, v105, vcc
	v_cmp_gt_f64_e32 vcc, 0, v[99:100]
	v_mov_b32_e32 v105, v119
	v_add_f64 v[103:104], v[103:104], v[105:106]
	v_xor_b32_e32 v105, 0x80000000, v100
	v_cndmask_b32_e32 v106, v100, v105, vcc
	v_cmp_gt_f64_e32 vcc, 0, v[101:102]
	v_mov_b32_e32 v105, v99
	v_cndmask_b32_e32 v108, v102, v107, vcc
	v_mov_b32_e32 v107, v101
	v_add_f64 v[105:106], v[105:106], v[107:108]
	v_cmp_lt_f64_e32 vcc, v[103:104], v[105:106]
	v_cndmask_b32_e32 v117, v117, v99, vcc
	v_mov_b32_e32 v99, s0
	s_add_i32 s0, s0, 1
	v_cndmask_b32_e32 v118, v118, v100, vcc
	v_cndmask_b32_e32 v120, v120, v102, vcc
	;; [unrolled: 1-line block ×4, first 2 shown]
	s_cmp_lg_u32 s3, s0
	s_cbranch_scc1 .LBB88_211
.LBB88_212:
	s_waitcnt lgkmcnt(0)
	v_cmp_eq_f64_e32 vcc, 0, v[117:118]
	v_cmp_eq_f64_e64 s[0:1], 0, v[119:120]
	s_and_b64 s[0:1], vcc, s[0:1]
	s_and_saveexec_b64 s[18:19], s[0:1]
	s_xor_b64 s[0:1], exec, s[18:19]
; %bb.213:
	v_cmp_ne_u32_e32 vcc, 0, v95
	v_cndmask_b32_e32 v95, 11, v95, vcc
; %bb.214:
	s_andn2_saveexec_b64 s[0:1], s[0:1]
	s_cbranch_execz .LBB88_220
; %bb.215:
	v_cmp_ngt_f64_e64 s[18:19], |v[117:118]|, |v[119:120]|
	s_and_saveexec_b64 s[20:21], s[18:19]
	s_xor_b64 s[18:19], exec, s[20:21]
	s_cbranch_execz .LBB88_217
; %bb.216:
	v_div_scale_f64 v[98:99], s[20:21], v[119:120], v[119:120], v[117:118]
	v_rcp_f64_e32 v[100:101], v[98:99]
	v_fma_f64 v[102:103], -v[98:99], v[100:101], 1.0
	v_fma_f64 v[100:101], v[100:101], v[102:103], v[100:101]
	v_div_scale_f64 v[102:103], vcc, v[117:118], v[119:120], v[117:118]
	v_fma_f64 v[104:105], -v[98:99], v[100:101], 1.0
	v_fma_f64 v[100:101], v[100:101], v[104:105], v[100:101]
	v_mul_f64 v[104:105], v[102:103], v[100:101]
	v_fma_f64 v[98:99], -v[98:99], v[104:105], v[102:103]
	v_div_fmas_f64 v[98:99], v[98:99], v[100:101], v[104:105]
	v_div_fixup_f64 v[98:99], v[98:99], v[119:120], v[117:118]
	v_fma_f64 v[100:101], v[117:118], v[98:99], v[119:120]
	v_div_scale_f64 v[102:103], s[20:21], v[100:101], v[100:101], 1.0
	v_div_scale_f64 v[108:109], vcc, 1.0, v[100:101], 1.0
	v_rcp_f64_e32 v[104:105], v[102:103]
	v_fma_f64 v[106:107], -v[102:103], v[104:105], 1.0
	v_fma_f64 v[104:105], v[104:105], v[106:107], v[104:105]
	v_fma_f64 v[106:107], -v[102:103], v[104:105], 1.0
	v_fma_f64 v[104:105], v[104:105], v[106:107], v[104:105]
	v_mul_f64 v[106:107], v[108:109], v[104:105]
	v_fma_f64 v[102:103], -v[102:103], v[106:107], v[108:109]
	v_div_fmas_f64 v[102:103], v[102:103], v[104:105], v[106:107]
	v_div_fixup_f64 v[119:120], v[102:103], v[100:101], 1.0
	v_mul_f64 v[117:118], v[98:99], v[119:120]
	v_xor_b32_e32 v120, 0x80000000, v120
.LBB88_217:
	s_andn2_saveexec_b64 s[18:19], s[18:19]
	s_cbranch_execz .LBB88_219
; %bb.218:
	v_div_scale_f64 v[98:99], s[20:21], v[117:118], v[117:118], v[119:120]
	v_rcp_f64_e32 v[100:101], v[98:99]
	v_fma_f64 v[102:103], -v[98:99], v[100:101], 1.0
	v_fma_f64 v[100:101], v[100:101], v[102:103], v[100:101]
	v_div_scale_f64 v[102:103], vcc, v[119:120], v[117:118], v[119:120]
	v_fma_f64 v[104:105], -v[98:99], v[100:101], 1.0
	v_fma_f64 v[100:101], v[100:101], v[104:105], v[100:101]
	v_mul_f64 v[104:105], v[102:103], v[100:101]
	v_fma_f64 v[98:99], -v[98:99], v[104:105], v[102:103]
	v_div_fmas_f64 v[98:99], v[98:99], v[100:101], v[104:105]
	v_div_fixup_f64 v[98:99], v[98:99], v[117:118], v[119:120]
	v_fma_f64 v[100:101], v[119:120], v[98:99], v[117:118]
	v_div_scale_f64 v[102:103], s[20:21], v[100:101], v[100:101], 1.0
	v_div_scale_f64 v[108:109], vcc, 1.0, v[100:101], 1.0
	v_rcp_f64_e32 v[104:105], v[102:103]
	v_fma_f64 v[106:107], -v[102:103], v[104:105], 1.0
	v_fma_f64 v[104:105], v[104:105], v[106:107], v[104:105]
	v_fma_f64 v[106:107], -v[102:103], v[104:105], 1.0
	v_fma_f64 v[104:105], v[104:105], v[106:107], v[104:105]
	v_mul_f64 v[106:107], v[108:109], v[104:105]
	v_fma_f64 v[102:103], -v[102:103], v[106:107], v[108:109]
	v_div_fmas_f64 v[102:103], v[102:103], v[104:105], v[106:107]
	v_div_fixup_f64 v[117:118], v[102:103], v[100:101], 1.0
	v_mul_f64 v[119:120], v[98:99], -v[117:118]
.LBB88_219:
	s_or_b64 exec, exec, s[18:19]
.LBB88_220:
	s_or_b64 exec, exec, s[0:1]
	v_cmp_ne_u32_e32 vcc, v96, v97
	s_and_saveexec_b64 s[0:1], vcc
	s_xor_b64 s[0:1], exec, s[0:1]
	s_cbranch_execz .LBB88_226
; %bb.221:
	v_cmp_eq_u32_e32 vcc, 10, v96
	s_and_saveexec_b64 s[18:19], vcc
	s_cbranch_execz .LBB88_225
; %bb.222:
	v_cmp_ne_u32_e32 vcc, 10, v97
	s_xor_b64 s[20:21], s[6:7], -1
	s_and_b64 s[22:23], s[20:21], vcc
	s_and_saveexec_b64 s[20:21], s[22:23]
	s_cbranch_execz .LBB88_224
; %bb.223:
	buffer_load_dword v85, off, s[24:27], 0 offset:288 ; 4-byte Folded Reload
	buffer_load_dword v86, off, s[24:27], 0 offset:292 ; 4-byte Folded Reload
	v_ashrrev_i32_e32 v98, 31, v97
	v_lshlrev_b64 v[98:99], 2, v[97:98]
	s_waitcnt vmcnt(1)
	v_add_co_u32_e32 v98, vcc, v85, v98
	s_waitcnt vmcnt(0)
	v_addc_co_u32_e32 v99, vcc, v86, v99, vcc
	global_load_dword v0, v[98:99], off
	global_load_dword v96, v[85:86], off offset:40
	s_waitcnt vmcnt(1)
	global_store_dword v[85:86], v0, off offset:40
	s_waitcnt vmcnt(1)
	global_store_dword v[98:99], v96, off
.LBB88_224:
	s_or_b64 exec, exec, s[20:21]
	v_mov_b32_e32 v96, v97
	v_mov_b32_e32 v0, v97
.LBB88_225:
	s_or_b64 exec, exec, s[18:19]
.LBB88_226:
	s_andn2_saveexec_b64 s[0:1], s[0:1]
	s_cbranch_execz .LBB88_228
; %bb.227:
	buffer_load_dword v85, off, s[24:27], 0 offset:144 ; 4-byte Folded Reload
	buffer_load_dword v86, off, s[24:27], 0 offset:148 ; 4-byte Folded Reload
	;; [unrolled: 1-line block ×4, first 2 shown]
	v_mov_b32_e32 v96, 10
	s_waitcnt vmcnt(0)
	ds_write2_b64 v94, v[85:86], v[87:88] offset0:22 offset1:23
	buffer_load_dword v85, off, s[24:27], 0 offset:128 ; 4-byte Folded Reload
	buffer_load_dword v86, off, s[24:27], 0 offset:132 ; 4-byte Folded Reload
	buffer_load_dword v87, off, s[24:27], 0 offset:136 ; 4-byte Folded Reload
	buffer_load_dword v88, off, s[24:27], 0 offset:140 ; 4-byte Folded Reload
	s_waitcnt vmcnt(0)
	ds_write2_b64 v94, v[85:86], v[87:88] offset0:24 offset1:25
	buffer_load_dword v85, off, s[24:27], 0 offset:112 ; 4-byte Folded Reload
	buffer_load_dword v86, off, s[24:27], 0 offset:116 ; 4-byte Folded Reload
	buffer_load_dword v87, off, s[24:27], 0 offset:120 ; 4-byte Folded Reload
	buffer_load_dword v88, off, s[24:27], 0 offset:124 ; 4-byte Folded Reload
	;; [unrolled: 6-line block ×8, first 2 shown]
	s_waitcnt vmcnt(0)
	ds_write2_b64 v94, v[85:86], v[87:88] offset0:38 offset1:39
	buffer_load_dword v85, off, s[24:27], 0 ; 4-byte Folded Reload
	buffer_load_dword v86, off, s[24:27], 0 offset:4 ; 4-byte Folded Reload
	buffer_load_dword v87, off, s[24:27], 0 offset:8 ; 4-byte Folded Reload
	buffer_load_dword v88, off, s[24:27], 0 offset:12 ; 4-byte Folded Reload
	s_waitcnt vmcnt(0)
	ds_write2_b64 v94, v[85:86], v[87:88] offset0:40 offset1:41
	ds_write2_b64 v94, v[111:112], v[113:114] offset0:42 offset1:43
	;; [unrolled: 1-line block ×25, first 2 shown]
.LBB88_228:
	s_or_b64 exec, exec, s[0:1]
	v_cmp_lt_i32_e32 vcc, 10, v96
	s_waitcnt vmcnt(0) lgkmcnt(0)
	s_barrier
	s_and_saveexec_b64 s[0:1], vcc
	s_cbranch_execz .LBB88_230
; %bb.229:
	buffer_load_dword v101, off, s[24:27], 0 offset:160 ; 4-byte Folded Reload
	buffer_load_dword v102, off, s[24:27], 0 offset:164 ; 4-byte Folded Reload
	;; [unrolled: 1-line block ×4, first 2 shown]
	s_waitcnt vmcnt(0)
	v_mul_f64 v[97:98], v[119:120], v[103:104]
	v_fma_f64 v[125:126], v[117:118], v[101:102], -v[97:98]
	v_mul_f64 v[97:98], v[117:118], v[103:104]
	v_fma_f64 v[103:104], v[119:120], v[101:102], v[97:98]
	ds_read2_b64 v[97:100], v94 offset0:22 offset1:23
	buffer_load_dword v85, off, s[24:27], 0 offset:144 ; 4-byte Folded Reload
	buffer_load_dword v86, off, s[24:27], 0 offset:148 ; 4-byte Folded Reload
	buffer_load_dword v87, off, s[24:27], 0 offset:152 ; 4-byte Folded Reload
	buffer_load_dword v88, off, s[24:27], 0 offset:156 ; 4-byte Folded Reload
	s_waitcnt lgkmcnt(0)
	v_mul_f64 v[101:102], v[99:100], v[103:104]
	v_fma_f64 v[101:102], v[97:98], v[125:126], -v[101:102]
	v_mul_f64 v[97:98], v[97:98], v[103:104]
	v_fma_f64 v[97:98], v[99:100], v[125:126], v[97:98]
	s_waitcnt vmcnt(2)
	v_add_f64 v[85:86], v[85:86], -v[101:102]
	s_waitcnt vmcnt(0)
	v_add_f64 v[87:88], v[87:88], -v[97:98]
	buffer_store_dword v85, off, s[24:27], 0 offset:144 ; 4-byte Folded Spill
	s_nop 0
	buffer_store_dword v86, off, s[24:27], 0 offset:148 ; 4-byte Folded Spill
	buffer_store_dword v87, off, s[24:27], 0 offset:152 ; 4-byte Folded Spill
	buffer_store_dword v88, off, s[24:27], 0 offset:156 ; 4-byte Folded Spill
	ds_read2_b64 v[97:100], v94 offset0:24 offset1:25
	buffer_load_dword v85, off, s[24:27], 0 offset:128 ; 4-byte Folded Reload
	buffer_load_dword v86, off, s[24:27], 0 offset:132 ; 4-byte Folded Reload
	buffer_load_dword v87, off, s[24:27], 0 offset:136 ; 4-byte Folded Reload
	buffer_load_dword v88, off, s[24:27], 0 offset:140 ; 4-byte Folded Reload
	s_waitcnt lgkmcnt(0)
	v_mul_f64 v[101:102], v[99:100], v[103:104]
	v_fma_f64 v[101:102], v[97:98], v[125:126], -v[101:102]
	v_mul_f64 v[97:98], v[97:98], v[103:104]
	v_fma_f64 v[97:98], v[99:100], v[125:126], v[97:98]
	s_waitcnt vmcnt(2)
	v_add_f64 v[85:86], v[85:86], -v[101:102]
	s_waitcnt vmcnt(0)
	v_add_f64 v[87:88], v[87:88], -v[97:98]
	buffer_store_dword v85, off, s[24:27], 0 offset:128 ; 4-byte Folded Spill
	s_nop 0
	buffer_store_dword v86, off, s[24:27], 0 offset:132 ; 4-byte Folded Spill
	buffer_store_dword v87, off, s[24:27], 0 offset:136 ; 4-byte Folded Spill
	buffer_store_dword v88, off, s[24:27], 0 offset:140 ; 4-byte Folded Spill
	;; [unrolled: 19-line block ×9, first 2 shown]
	ds_read2_b64 v[97:100], v94 offset0:40 offset1:41
	buffer_load_dword v85, off, s[24:27], 0 ; 4-byte Folded Reload
	buffer_load_dword v86, off, s[24:27], 0 offset:4 ; 4-byte Folded Reload
	buffer_load_dword v87, off, s[24:27], 0 offset:8 ; 4-byte Folded Reload
	;; [unrolled: 1-line block ×3, first 2 shown]
	s_waitcnt lgkmcnt(0)
	v_mul_f64 v[101:102], v[99:100], v[103:104]
	v_fma_f64 v[101:102], v[97:98], v[125:126], -v[101:102]
	v_mul_f64 v[97:98], v[97:98], v[103:104]
	v_fma_f64 v[97:98], v[99:100], v[125:126], v[97:98]
	s_waitcnt vmcnt(2)
	v_add_f64 v[85:86], v[85:86], -v[101:102]
	s_waitcnt vmcnt(0)
	v_add_f64 v[87:88], v[87:88], -v[97:98]
	buffer_store_dword v85, off, s[24:27], 0 ; 4-byte Folded Spill
	s_nop 0
	buffer_store_dword v86, off, s[24:27], 0 offset:4 ; 4-byte Folded Spill
	buffer_store_dword v87, off, s[24:27], 0 offset:8 ; 4-byte Folded Spill
	;; [unrolled: 1-line block ×3, first 2 shown]
	ds_read2_b64 v[97:100], v94 offset0:42 offset1:43
	s_waitcnt lgkmcnt(0)
	v_mul_f64 v[101:102], v[99:100], v[103:104]
	v_fma_f64 v[101:102], v[97:98], v[125:126], -v[101:102]
	v_mul_f64 v[97:98], v[97:98], v[103:104]
	v_add_f64 v[111:112], v[111:112], -v[101:102]
	v_fma_f64 v[97:98], v[99:100], v[125:126], v[97:98]
	v_add_f64 v[113:114], v[113:114], -v[97:98]
	ds_read2_b64 v[97:100], v94 offset0:44 offset1:45
	s_waitcnt lgkmcnt(0)
	v_mul_f64 v[101:102], v[99:100], v[103:104]
	v_fma_f64 v[101:102], v[97:98], v[125:126], -v[101:102]
	v_mul_f64 v[97:98], v[97:98], v[103:104]
	v_add_f64 v[89:90], v[89:90], -v[101:102]
	v_fma_f64 v[97:98], v[99:100], v[125:126], v[97:98]
	v_add_f64 v[91:92], v[91:92], -v[97:98]
	;; [unrolled: 8-line block ×23, first 2 shown]
	ds_read2_b64 v[97:100], v94 offset0:88 offset1:89
	s_waitcnt lgkmcnt(0)
	v_mul_f64 v[101:102], v[99:100], v[103:104]
	v_fma_f64 v[101:102], v[97:98], v[125:126], -v[101:102]
	v_mul_f64 v[97:98], v[97:98], v[103:104]
	v_add_f64 v[121:122], v[121:122], -v[101:102]
	v_fma_f64 v[97:98], v[99:100], v[125:126], v[97:98]
	v_mov_b32_e32 v101, v125
	v_mov_b32_e32 v102, v126
	buffer_store_dword v101, off, s[24:27], 0 offset:160 ; 4-byte Folded Spill
	s_nop 0
	buffer_store_dword v102, off, s[24:27], 0 offset:164 ; 4-byte Folded Spill
	buffer_store_dword v103, off, s[24:27], 0 offset:168 ; 4-byte Folded Spill
	buffer_store_dword v104, off, s[24:27], 0 offset:172 ; 4-byte Folded Spill
	v_add_f64 v[123:124], v[123:124], -v[97:98]
.LBB88_230:
	s_or_b64 exec, exec, s[0:1]
	s_waitcnt vmcnt(0)
	s_barrier
	buffer_load_dword v85, off, s[24:27], 0 offset:144 ; 4-byte Folded Reload
	buffer_load_dword v86, off, s[24:27], 0 offset:148 ; 4-byte Folded Reload
	;; [unrolled: 1-line block ×4, first 2 shown]
	v_lshl_add_u32 v97, v96, 4, v94
	s_cmp_lt_i32 s3, 13
	s_waitcnt vmcnt(0)
	ds_write2_b64 v97, v[85:86], v[87:88] offset1:1
	s_waitcnt lgkmcnt(0)
	s_barrier
	ds_read2_b64 v[117:120], v94 offset0:22 offset1:23
	v_mov_b32_e32 v97, 11
	s_cbranch_scc1 .LBB88_233
; %bb.231:
	v_add_u32_e32 v98, 0xc0, v94
	s_mov_b32 s0, 12
	v_mov_b32_e32 v97, 11
.LBB88_232:                             ; =>This Inner Loop Header: Depth=1
	s_waitcnt lgkmcnt(0)
	v_cmp_gt_f64_e32 vcc, 0, v[117:118]
	v_xor_b32_e32 v103, 0x80000000, v118
	ds_read2_b64 v[99:102], v98 offset1:1
	v_xor_b32_e32 v105, 0x80000000, v120
	v_add_u32_e32 v98, 16, v98
	s_waitcnt lgkmcnt(0)
	v_xor_b32_e32 v107, 0x80000000, v102
	v_cndmask_b32_e32 v104, v118, v103, vcc
	v_cmp_gt_f64_e32 vcc, 0, v[119:120]
	v_mov_b32_e32 v103, v117
	v_cndmask_b32_e32 v106, v120, v105, vcc
	v_cmp_gt_f64_e32 vcc, 0, v[99:100]
	v_mov_b32_e32 v105, v119
	v_add_f64 v[103:104], v[103:104], v[105:106]
	v_xor_b32_e32 v105, 0x80000000, v100
	v_cndmask_b32_e32 v106, v100, v105, vcc
	v_cmp_gt_f64_e32 vcc, 0, v[101:102]
	v_mov_b32_e32 v105, v99
	v_cndmask_b32_e32 v108, v102, v107, vcc
	v_mov_b32_e32 v107, v101
	v_add_f64 v[105:106], v[105:106], v[107:108]
	v_cmp_lt_f64_e32 vcc, v[103:104], v[105:106]
	v_cndmask_b32_e32 v117, v117, v99, vcc
	v_mov_b32_e32 v99, s0
	s_add_i32 s0, s0, 1
	v_cndmask_b32_e32 v118, v118, v100, vcc
	v_cndmask_b32_e32 v120, v120, v102, vcc
	v_cndmask_b32_e32 v119, v119, v101, vcc
	v_cndmask_b32_e32 v97, v97, v99, vcc
	s_cmp_lg_u32 s3, s0
	s_cbranch_scc1 .LBB88_232
.LBB88_233:
	s_waitcnt lgkmcnt(0)
	v_cmp_eq_f64_e32 vcc, 0, v[117:118]
	v_cmp_eq_f64_e64 s[0:1], 0, v[119:120]
	s_and_b64 s[0:1], vcc, s[0:1]
	s_and_saveexec_b64 s[18:19], s[0:1]
	s_xor_b64 s[0:1], exec, s[18:19]
; %bb.234:
	v_cmp_ne_u32_e32 vcc, 0, v95
	v_cndmask_b32_e32 v95, 12, v95, vcc
; %bb.235:
	s_andn2_saveexec_b64 s[0:1], s[0:1]
	s_cbranch_execz .LBB88_241
; %bb.236:
	v_cmp_ngt_f64_e64 s[18:19], |v[117:118]|, |v[119:120]|
	s_and_saveexec_b64 s[20:21], s[18:19]
	s_xor_b64 s[18:19], exec, s[20:21]
	s_cbranch_execz .LBB88_238
; %bb.237:
	v_div_scale_f64 v[98:99], s[20:21], v[119:120], v[119:120], v[117:118]
	v_rcp_f64_e32 v[100:101], v[98:99]
	v_fma_f64 v[102:103], -v[98:99], v[100:101], 1.0
	v_fma_f64 v[100:101], v[100:101], v[102:103], v[100:101]
	v_div_scale_f64 v[102:103], vcc, v[117:118], v[119:120], v[117:118]
	v_fma_f64 v[104:105], -v[98:99], v[100:101], 1.0
	v_fma_f64 v[100:101], v[100:101], v[104:105], v[100:101]
	v_mul_f64 v[104:105], v[102:103], v[100:101]
	v_fma_f64 v[98:99], -v[98:99], v[104:105], v[102:103]
	v_div_fmas_f64 v[98:99], v[98:99], v[100:101], v[104:105]
	v_div_fixup_f64 v[98:99], v[98:99], v[119:120], v[117:118]
	v_fma_f64 v[100:101], v[117:118], v[98:99], v[119:120]
	v_div_scale_f64 v[102:103], s[20:21], v[100:101], v[100:101], 1.0
	v_div_scale_f64 v[108:109], vcc, 1.0, v[100:101], 1.0
	v_rcp_f64_e32 v[104:105], v[102:103]
	v_fma_f64 v[106:107], -v[102:103], v[104:105], 1.0
	v_fma_f64 v[104:105], v[104:105], v[106:107], v[104:105]
	v_fma_f64 v[106:107], -v[102:103], v[104:105], 1.0
	v_fma_f64 v[104:105], v[104:105], v[106:107], v[104:105]
	v_mul_f64 v[106:107], v[108:109], v[104:105]
	v_fma_f64 v[102:103], -v[102:103], v[106:107], v[108:109]
	v_div_fmas_f64 v[102:103], v[102:103], v[104:105], v[106:107]
	v_div_fixup_f64 v[119:120], v[102:103], v[100:101], 1.0
	v_mul_f64 v[117:118], v[98:99], v[119:120]
	v_xor_b32_e32 v120, 0x80000000, v120
.LBB88_238:
	s_andn2_saveexec_b64 s[18:19], s[18:19]
	s_cbranch_execz .LBB88_240
; %bb.239:
	v_div_scale_f64 v[98:99], s[20:21], v[117:118], v[117:118], v[119:120]
	v_rcp_f64_e32 v[100:101], v[98:99]
	v_fma_f64 v[102:103], -v[98:99], v[100:101], 1.0
	v_fma_f64 v[100:101], v[100:101], v[102:103], v[100:101]
	v_div_scale_f64 v[102:103], vcc, v[119:120], v[117:118], v[119:120]
	v_fma_f64 v[104:105], -v[98:99], v[100:101], 1.0
	v_fma_f64 v[100:101], v[100:101], v[104:105], v[100:101]
	v_mul_f64 v[104:105], v[102:103], v[100:101]
	v_fma_f64 v[98:99], -v[98:99], v[104:105], v[102:103]
	v_div_fmas_f64 v[98:99], v[98:99], v[100:101], v[104:105]
	v_div_fixup_f64 v[98:99], v[98:99], v[117:118], v[119:120]
	v_fma_f64 v[100:101], v[119:120], v[98:99], v[117:118]
	v_div_scale_f64 v[102:103], s[20:21], v[100:101], v[100:101], 1.0
	v_div_scale_f64 v[108:109], vcc, 1.0, v[100:101], 1.0
	v_rcp_f64_e32 v[104:105], v[102:103]
	v_fma_f64 v[106:107], -v[102:103], v[104:105], 1.0
	v_fma_f64 v[104:105], v[104:105], v[106:107], v[104:105]
	v_fma_f64 v[106:107], -v[102:103], v[104:105], 1.0
	v_fma_f64 v[104:105], v[104:105], v[106:107], v[104:105]
	v_mul_f64 v[106:107], v[108:109], v[104:105]
	v_fma_f64 v[102:103], -v[102:103], v[106:107], v[108:109]
	v_div_fmas_f64 v[102:103], v[102:103], v[104:105], v[106:107]
	v_div_fixup_f64 v[117:118], v[102:103], v[100:101], 1.0
	v_mul_f64 v[119:120], v[98:99], -v[117:118]
.LBB88_240:
	s_or_b64 exec, exec, s[18:19]
.LBB88_241:
	s_or_b64 exec, exec, s[0:1]
	v_cmp_ne_u32_e32 vcc, v96, v97
	s_and_saveexec_b64 s[0:1], vcc
	s_xor_b64 s[0:1], exec, s[0:1]
	s_cbranch_execz .LBB88_247
; %bb.242:
	v_cmp_eq_u32_e32 vcc, 11, v96
	s_and_saveexec_b64 s[18:19], vcc
	s_cbranch_execz .LBB88_246
; %bb.243:
	v_cmp_ne_u32_e32 vcc, 11, v97
	s_xor_b64 s[20:21], s[6:7], -1
	s_and_b64 s[22:23], s[20:21], vcc
	s_and_saveexec_b64 s[20:21], s[22:23]
	s_cbranch_execz .LBB88_245
; %bb.244:
	buffer_load_dword v85, off, s[24:27], 0 offset:288 ; 4-byte Folded Reload
	buffer_load_dword v86, off, s[24:27], 0 offset:292 ; 4-byte Folded Reload
	v_ashrrev_i32_e32 v98, 31, v97
	v_lshlrev_b64 v[98:99], 2, v[97:98]
	s_waitcnt vmcnt(1)
	v_add_co_u32_e32 v98, vcc, v85, v98
	s_waitcnt vmcnt(0)
	v_addc_co_u32_e32 v99, vcc, v86, v99, vcc
	global_load_dword v0, v[98:99], off
	global_load_dword v96, v[85:86], off offset:44
	s_waitcnt vmcnt(1)
	global_store_dword v[85:86], v0, off offset:44
	s_waitcnt vmcnt(1)
	global_store_dword v[98:99], v96, off
.LBB88_245:
	s_or_b64 exec, exec, s[20:21]
	v_mov_b32_e32 v96, v97
	v_mov_b32_e32 v0, v97
.LBB88_246:
	s_or_b64 exec, exec, s[18:19]
.LBB88_247:
	s_andn2_saveexec_b64 s[0:1], s[0:1]
	s_cbranch_execz .LBB88_249
; %bb.248:
	buffer_load_dword v85, off, s[24:27], 0 offset:128 ; 4-byte Folded Reload
	buffer_load_dword v86, off, s[24:27], 0 offset:132 ; 4-byte Folded Reload
	;; [unrolled: 1-line block ×4, first 2 shown]
	v_mov_b32_e32 v96, 11
	s_waitcnt vmcnt(0)
	ds_write2_b64 v94, v[85:86], v[87:88] offset0:24 offset1:25
	buffer_load_dword v85, off, s[24:27], 0 offset:112 ; 4-byte Folded Reload
	buffer_load_dword v86, off, s[24:27], 0 offset:116 ; 4-byte Folded Reload
	buffer_load_dword v87, off, s[24:27], 0 offset:120 ; 4-byte Folded Reload
	buffer_load_dword v88, off, s[24:27], 0 offset:124 ; 4-byte Folded Reload
	s_waitcnt vmcnt(0)
	ds_write2_b64 v94, v[85:86], v[87:88] offset0:26 offset1:27
	buffer_load_dword v85, off, s[24:27], 0 offset:96 ; 4-byte Folded Reload
	buffer_load_dword v86, off, s[24:27], 0 offset:100 ; 4-byte Folded Reload
	buffer_load_dword v87, off, s[24:27], 0 offset:104 ; 4-byte Folded Reload
	buffer_load_dword v88, off, s[24:27], 0 offset:108 ; 4-byte Folded Reload
	;; [unrolled: 6-line block ×7, first 2 shown]
	s_waitcnt vmcnt(0)
	ds_write2_b64 v94, v[85:86], v[87:88] offset0:38 offset1:39
	buffer_load_dword v85, off, s[24:27], 0 ; 4-byte Folded Reload
	buffer_load_dword v86, off, s[24:27], 0 offset:4 ; 4-byte Folded Reload
	buffer_load_dword v87, off, s[24:27], 0 offset:8 ; 4-byte Folded Reload
	;; [unrolled: 1-line block ×3, first 2 shown]
	s_waitcnt vmcnt(0)
	ds_write2_b64 v94, v[85:86], v[87:88] offset0:40 offset1:41
	ds_write2_b64 v94, v[111:112], v[113:114] offset0:42 offset1:43
	;; [unrolled: 1-line block ×25, first 2 shown]
.LBB88_249:
	s_or_b64 exec, exec, s[0:1]
	v_cmp_lt_i32_e32 vcc, 11, v96
	s_waitcnt vmcnt(0) lgkmcnt(0)
	s_barrier
	s_and_saveexec_b64 s[0:1], vcc
	s_cbranch_execz .LBB88_251
; %bb.250:
	buffer_load_dword v101, off, s[24:27], 0 offset:144 ; 4-byte Folded Reload
	buffer_load_dword v102, off, s[24:27], 0 offset:148 ; 4-byte Folded Reload
	;; [unrolled: 1-line block ×4, first 2 shown]
	s_waitcnt vmcnt(0)
	v_mul_f64 v[97:98], v[119:120], v[103:104]
	v_fma_f64 v[125:126], v[117:118], v[101:102], -v[97:98]
	v_mul_f64 v[97:98], v[117:118], v[103:104]
	v_fma_f64 v[103:104], v[119:120], v[101:102], v[97:98]
	ds_read2_b64 v[97:100], v94 offset0:24 offset1:25
	buffer_load_dword v85, off, s[24:27], 0 offset:128 ; 4-byte Folded Reload
	buffer_load_dword v86, off, s[24:27], 0 offset:132 ; 4-byte Folded Reload
	buffer_load_dword v87, off, s[24:27], 0 offset:136 ; 4-byte Folded Reload
	buffer_load_dword v88, off, s[24:27], 0 offset:140 ; 4-byte Folded Reload
	s_waitcnt lgkmcnt(0)
	v_mul_f64 v[101:102], v[99:100], v[103:104]
	v_fma_f64 v[101:102], v[97:98], v[125:126], -v[101:102]
	v_mul_f64 v[97:98], v[97:98], v[103:104]
	v_fma_f64 v[97:98], v[99:100], v[125:126], v[97:98]
	s_waitcnt vmcnt(2)
	v_add_f64 v[85:86], v[85:86], -v[101:102]
	s_waitcnt vmcnt(0)
	v_add_f64 v[87:88], v[87:88], -v[97:98]
	buffer_store_dword v85, off, s[24:27], 0 offset:128 ; 4-byte Folded Spill
	s_nop 0
	buffer_store_dword v86, off, s[24:27], 0 offset:132 ; 4-byte Folded Spill
	buffer_store_dword v87, off, s[24:27], 0 offset:136 ; 4-byte Folded Spill
	buffer_store_dword v88, off, s[24:27], 0 offset:140 ; 4-byte Folded Spill
	ds_read2_b64 v[97:100], v94 offset0:26 offset1:27
	buffer_load_dword v85, off, s[24:27], 0 offset:112 ; 4-byte Folded Reload
	buffer_load_dword v86, off, s[24:27], 0 offset:116 ; 4-byte Folded Reload
	buffer_load_dword v87, off, s[24:27], 0 offset:120 ; 4-byte Folded Reload
	buffer_load_dword v88, off, s[24:27], 0 offset:124 ; 4-byte Folded Reload
	s_waitcnt lgkmcnt(0)
	v_mul_f64 v[101:102], v[99:100], v[103:104]
	v_fma_f64 v[101:102], v[97:98], v[125:126], -v[101:102]
	v_mul_f64 v[97:98], v[97:98], v[103:104]
	v_fma_f64 v[97:98], v[99:100], v[125:126], v[97:98]
	s_waitcnt vmcnt(2)
	v_add_f64 v[85:86], v[85:86], -v[101:102]
	s_waitcnt vmcnt(0)
	v_add_f64 v[87:88], v[87:88], -v[97:98]
	buffer_store_dword v85, off, s[24:27], 0 offset:112 ; 4-byte Folded Spill
	s_nop 0
	buffer_store_dword v86, off, s[24:27], 0 offset:116 ; 4-byte Folded Spill
	buffer_store_dword v87, off, s[24:27], 0 offset:120 ; 4-byte Folded Spill
	buffer_store_dword v88, off, s[24:27], 0 offset:124 ; 4-byte Folded Spill
	;; [unrolled: 19-line block ×8, first 2 shown]
	ds_read2_b64 v[97:100], v94 offset0:40 offset1:41
	buffer_load_dword v85, off, s[24:27], 0 ; 4-byte Folded Reload
	buffer_load_dword v86, off, s[24:27], 0 offset:4 ; 4-byte Folded Reload
	buffer_load_dword v87, off, s[24:27], 0 offset:8 ; 4-byte Folded Reload
	;; [unrolled: 1-line block ×3, first 2 shown]
	s_waitcnt lgkmcnt(0)
	v_mul_f64 v[101:102], v[99:100], v[103:104]
	v_fma_f64 v[101:102], v[97:98], v[125:126], -v[101:102]
	v_mul_f64 v[97:98], v[97:98], v[103:104]
	v_fma_f64 v[97:98], v[99:100], v[125:126], v[97:98]
	s_waitcnt vmcnt(2)
	v_add_f64 v[85:86], v[85:86], -v[101:102]
	s_waitcnt vmcnt(0)
	v_add_f64 v[87:88], v[87:88], -v[97:98]
	buffer_store_dword v85, off, s[24:27], 0 ; 4-byte Folded Spill
	s_nop 0
	buffer_store_dword v86, off, s[24:27], 0 offset:4 ; 4-byte Folded Spill
	buffer_store_dword v87, off, s[24:27], 0 offset:8 ; 4-byte Folded Spill
	;; [unrolled: 1-line block ×3, first 2 shown]
	ds_read2_b64 v[97:100], v94 offset0:42 offset1:43
	s_waitcnt lgkmcnt(0)
	v_mul_f64 v[101:102], v[99:100], v[103:104]
	v_fma_f64 v[101:102], v[97:98], v[125:126], -v[101:102]
	v_mul_f64 v[97:98], v[97:98], v[103:104]
	v_add_f64 v[111:112], v[111:112], -v[101:102]
	v_fma_f64 v[97:98], v[99:100], v[125:126], v[97:98]
	v_add_f64 v[113:114], v[113:114], -v[97:98]
	ds_read2_b64 v[97:100], v94 offset0:44 offset1:45
	s_waitcnt lgkmcnt(0)
	v_mul_f64 v[101:102], v[99:100], v[103:104]
	v_fma_f64 v[101:102], v[97:98], v[125:126], -v[101:102]
	v_mul_f64 v[97:98], v[97:98], v[103:104]
	v_add_f64 v[89:90], v[89:90], -v[101:102]
	v_fma_f64 v[97:98], v[99:100], v[125:126], v[97:98]
	v_add_f64 v[91:92], v[91:92], -v[97:98]
	;; [unrolled: 8-line block ×23, first 2 shown]
	ds_read2_b64 v[97:100], v94 offset0:88 offset1:89
	s_waitcnt lgkmcnt(0)
	v_mul_f64 v[101:102], v[99:100], v[103:104]
	v_fma_f64 v[101:102], v[97:98], v[125:126], -v[101:102]
	v_mul_f64 v[97:98], v[97:98], v[103:104]
	v_add_f64 v[121:122], v[121:122], -v[101:102]
	v_fma_f64 v[97:98], v[99:100], v[125:126], v[97:98]
	v_mov_b32_e32 v101, v125
	v_mov_b32_e32 v102, v126
	buffer_store_dword v101, off, s[24:27], 0 offset:144 ; 4-byte Folded Spill
	s_nop 0
	buffer_store_dword v102, off, s[24:27], 0 offset:148 ; 4-byte Folded Spill
	buffer_store_dword v103, off, s[24:27], 0 offset:152 ; 4-byte Folded Spill
	;; [unrolled: 1-line block ×3, first 2 shown]
	v_add_f64 v[123:124], v[123:124], -v[97:98]
.LBB88_251:
	s_or_b64 exec, exec, s[0:1]
	s_waitcnt vmcnt(0)
	s_barrier
	buffer_load_dword v85, off, s[24:27], 0 offset:128 ; 4-byte Folded Reload
	buffer_load_dword v86, off, s[24:27], 0 offset:132 ; 4-byte Folded Reload
	;; [unrolled: 1-line block ×4, first 2 shown]
	v_lshl_add_u32 v97, v96, 4, v94
	s_cmp_lt_i32 s3, 14
	s_waitcnt vmcnt(0)
	ds_write2_b64 v97, v[85:86], v[87:88] offset1:1
	s_waitcnt lgkmcnt(0)
	s_barrier
	ds_read2_b64 v[117:120], v94 offset0:24 offset1:25
	v_mov_b32_e32 v97, 12
	s_cbranch_scc1 .LBB88_254
; %bb.252:
	v_add_u32_e32 v98, 0xd0, v94
	s_mov_b32 s0, 13
	v_mov_b32_e32 v97, 12
.LBB88_253:                             ; =>This Inner Loop Header: Depth=1
	s_waitcnt lgkmcnt(0)
	v_cmp_gt_f64_e32 vcc, 0, v[117:118]
	v_xor_b32_e32 v103, 0x80000000, v118
	ds_read2_b64 v[99:102], v98 offset1:1
	v_xor_b32_e32 v105, 0x80000000, v120
	v_add_u32_e32 v98, 16, v98
	s_waitcnt lgkmcnt(0)
	v_xor_b32_e32 v107, 0x80000000, v102
	v_cndmask_b32_e32 v104, v118, v103, vcc
	v_cmp_gt_f64_e32 vcc, 0, v[119:120]
	v_mov_b32_e32 v103, v117
	v_cndmask_b32_e32 v106, v120, v105, vcc
	v_cmp_gt_f64_e32 vcc, 0, v[99:100]
	v_mov_b32_e32 v105, v119
	v_add_f64 v[103:104], v[103:104], v[105:106]
	v_xor_b32_e32 v105, 0x80000000, v100
	v_cndmask_b32_e32 v106, v100, v105, vcc
	v_cmp_gt_f64_e32 vcc, 0, v[101:102]
	v_mov_b32_e32 v105, v99
	v_cndmask_b32_e32 v108, v102, v107, vcc
	v_mov_b32_e32 v107, v101
	v_add_f64 v[105:106], v[105:106], v[107:108]
	v_cmp_lt_f64_e32 vcc, v[103:104], v[105:106]
	v_cndmask_b32_e32 v117, v117, v99, vcc
	v_mov_b32_e32 v99, s0
	s_add_i32 s0, s0, 1
	v_cndmask_b32_e32 v118, v118, v100, vcc
	v_cndmask_b32_e32 v120, v120, v102, vcc
	;; [unrolled: 1-line block ×4, first 2 shown]
	s_cmp_lg_u32 s3, s0
	s_cbranch_scc1 .LBB88_253
.LBB88_254:
	s_waitcnt lgkmcnt(0)
	v_cmp_eq_f64_e32 vcc, 0, v[117:118]
	v_cmp_eq_f64_e64 s[0:1], 0, v[119:120]
	s_and_b64 s[0:1], vcc, s[0:1]
	s_and_saveexec_b64 s[18:19], s[0:1]
	s_xor_b64 s[0:1], exec, s[18:19]
; %bb.255:
	v_cmp_ne_u32_e32 vcc, 0, v95
	v_cndmask_b32_e32 v95, 13, v95, vcc
; %bb.256:
	s_andn2_saveexec_b64 s[0:1], s[0:1]
	s_cbranch_execz .LBB88_262
; %bb.257:
	v_cmp_ngt_f64_e64 s[18:19], |v[117:118]|, |v[119:120]|
	s_and_saveexec_b64 s[20:21], s[18:19]
	s_xor_b64 s[18:19], exec, s[20:21]
	s_cbranch_execz .LBB88_259
; %bb.258:
	v_div_scale_f64 v[98:99], s[20:21], v[119:120], v[119:120], v[117:118]
	v_rcp_f64_e32 v[100:101], v[98:99]
	v_fma_f64 v[102:103], -v[98:99], v[100:101], 1.0
	v_fma_f64 v[100:101], v[100:101], v[102:103], v[100:101]
	v_div_scale_f64 v[102:103], vcc, v[117:118], v[119:120], v[117:118]
	v_fma_f64 v[104:105], -v[98:99], v[100:101], 1.0
	v_fma_f64 v[100:101], v[100:101], v[104:105], v[100:101]
	v_mul_f64 v[104:105], v[102:103], v[100:101]
	v_fma_f64 v[98:99], -v[98:99], v[104:105], v[102:103]
	v_div_fmas_f64 v[98:99], v[98:99], v[100:101], v[104:105]
	v_div_fixup_f64 v[98:99], v[98:99], v[119:120], v[117:118]
	v_fma_f64 v[100:101], v[117:118], v[98:99], v[119:120]
	v_div_scale_f64 v[102:103], s[20:21], v[100:101], v[100:101], 1.0
	v_div_scale_f64 v[108:109], vcc, 1.0, v[100:101], 1.0
	v_rcp_f64_e32 v[104:105], v[102:103]
	v_fma_f64 v[106:107], -v[102:103], v[104:105], 1.0
	v_fma_f64 v[104:105], v[104:105], v[106:107], v[104:105]
	v_fma_f64 v[106:107], -v[102:103], v[104:105], 1.0
	v_fma_f64 v[104:105], v[104:105], v[106:107], v[104:105]
	v_mul_f64 v[106:107], v[108:109], v[104:105]
	v_fma_f64 v[102:103], -v[102:103], v[106:107], v[108:109]
	v_div_fmas_f64 v[102:103], v[102:103], v[104:105], v[106:107]
	v_div_fixup_f64 v[119:120], v[102:103], v[100:101], 1.0
	v_mul_f64 v[117:118], v[98:99], v[119:120]
	v_xor_b32_e32 v120, 0x80000000, v120
.LBB88_259:
	s_andn2_saveexec_b64 s[18:19], s[18:19]
	s_cbranch_execz .LBB88_261
; %bb.260:
	v_div_scale_f64 v[98:99], s[20:21], v[117:118], v[117:118], v[119:120]
	v_rcp_f64_e32 v[100:101], v[98:99]
	v_fma_f64 v[102:103], -v[98:99], v[100:101], 1.0
	v_fma_f64 v[100:101], v[100:101], v[102:103], v[100:101]
	v_div_scale_f64 v[102:103], vcc, v[119:120], v[117:118], v[119:120]
	v_fma_f64 v[104:105], -v[98:99], v[100:101], 1.0
	v_fma_f64 v[100:101], v[100:101], v[104:105], v[100:101]
	v_mul_f64 v[104:105], v[102:103], v[100:101]
	v_fma_f64 v[98:99], -v[98:99], v[104:105], v[102:103]
	v_div_fmas_f64 v[98:99], v[98:99], v[100:101], v[104:105]
	v_div_fixup_f64 v[98:99], v[98:99], v[117:118], v[119:120]
	v_fma_f64 v[100:101], v[119:120], v[98:99], v[117:118]
	v_div_scale_f64 v[102:103], s[20:21], v[100:101], v[100:101], 1.0
	v_div_scale_f64 v[108:109], vcc, 1.0, v[100:101], 1.0
	v_rcp_f64_e32 v[104:105], v[102:103]
	v_fma_f64 v[106:107], -v[102:103], v[104:105], 1.0
	v_fma_f64 v[104:105], v[104:105], v[106:107], v[104:105]
	v_fma_f64 v[106:107], -v[102:103], v[104:105], 1.0
	v_fma_f64 v[104:105], v[104:105], v[106:107], v[104:105]
	v_mul_f64 v[106:107], v[108:109], v[104:105]
	v_fma_f64 v[102:103], -v[102:103], v[106:107], v[108:109]
	v_div_fmas_f64 v[102:103], v[102:103], v[104:105], v[106:107]
	v_div_fixup_f64 v[117:118], v[102:103], v[100:101], 1.0
	v_mul_f64 v[119:120], v[98:99], -v[117:118]
.LBB88_261:
	s_or_b64 exec, exec, s[18:19]
.LBB88_262:
	s_or_b64 exec, exec, s[0:1]
	v_cmp_ne_u32_e32 vcc, v96, v97
	s_and_saveexec_b64 s[0:1], vcc
	s_xor_b64 s[0:1], exec, s[0:1]
	s_cbranch_execz .LBB88_268
; %bb.263:
	v_cmp_eq_u32_e32 vcc, 12, v96
	s_and_saveexec_b64 s[18:19], vcc
	s_cbranch_execz .LBB88_267
; %bb.264:
	v_cmp_ne_u32_e32 vcc, 12, v97
	s_xor_b64 s[20:21], s[6:7], -1
	s_and_b64 s[22:23], s[20:21], vcc
	s_and_saveexec_b64 s[20:21], s[22:23]
	s_cbranch_execz .LBB88_266
; %bb.265:
	buffer_load_dword v85, off, s[24:27], 0 offset:288 ; 4-byte Folded Reload
	buffer_load_dword v86, off, s[24:27], 0 offset:292 ; 4-byte Folded Reload
	v_ashrrev_i32_e32 v98, 31, v97
	v_lshlrev_b64 v[98:99], 2, v[97:98]
	s_waitcnt vmcnt(1)
	v_add_co_u32_e32 v98, vcc, v85, v98
	s_waitcnt vmcnt(0)
	v_addc_co_u32_e32 v99, vcc, v86, v99, vcc
	global_load_dword v0, v[98:99], off
	global_load_dword v96, v[85:86], off offset:48
	s_waitcnt vmcnt(1)
	global_store_dword v[85:86], v0, off offset:48
	s_waitcnt vmcnt(1)
	global_store_dword v[98:99], v96, off
.LBB88_266:
	s_or_b64 exec, exec, s[20:21]
	v_mov_b32_e32 v96, v97
	v_mov_b32_e32 v0, v97
.LBB88_267:
	s_or_b64 exec, exec, s[18:19]
.LBB88_268:
	s_andn2_saveexec_b64 s[0:1], s[0:1]
	s_cbranch_execz .LBB88_270
; %bb.269:
	buffer_load_dword v85, off, s[24:27], 0 offset:112 ; 4-byte Folded Reload
	buffer_load_dword v86, off, s[24:27], 0 offset:116 ; 4-byte Folded Reload
	;; [unrolled: 1-line block ×4, first 2 shown]
	v_mov_b32_e32 v96, 12
	s_waitcnt vmcnt(0)
	ds_write2_b64 v94, v[85:86], v[87:88] offset0:26 offset1:27
	buffer_load_dword v85, off, s[24:27], 0 offset:96 ; 4-byte Folded Reload
	buffer_load_dword v86, off, s[24:27], 0 offset:100 ; 4-byte Folded Reload
	buffer_load_dword v87, off, s[24:27], 0 offset:104 ; 4-byte Folded Reload
	buffer_load_dword v88, off, s[24:27], 0 offset:108 ; 4-byte Folded Reload
	s_waitcnt vmcnt(0)
	ds_write2_b64 v94, v[85:86], v[87:88] offset0:28 offset1:29
	buffer_load_dword v85, off, s[24:27], 0 offset:80 ; 4-byte Folded Reload
	buffer_load_dword v86, off, s[24:27], 0 offset:84 ; 4-byte Folded Reload
	buffer_load_dword v87, off, s[24:27], 0 offset:88 ; 4-byte Folded Reload
	buffer_load_dword v88, off, s[24:27], 0 offset:92 ; 4-byte Folded Reload
	;; [unrolled: 6-line block ×6, first 2 shown]
	s_waitcnt vmcnt(0)
	ds_write2_b64 v94, v[85:86], v[87:88] offset0:38 offset1:39
	buffer_load_dword v85, off, s[24:27], 0 ; 4-byte Folded Reload
	buffer_load_dword v86, off, s[24:27], 0 offset:4 ; 4-byte Folded Reload
	buffer_load_dword v87, off, s[24:27], 0 offset:8 ; 4-byte Folded Reload
	;; [unrolled: 1-line block ×3, first 2 shown]
	s_waitcnt vmcnt(0)
	ds_write2_b64 v94, v[85:86], v[87:88] offset0:40 offset1:41
	ds_write2_b64 v94, v[111:112], v[113:114] offset0:42 offset1:43
	;; [unrolled: 1-line block ×25, first 2 shown]
.LBB88_270:
	s_or_b64 exec, exec, s[0:1]
	v_cmp_lt_i32_e32 vcc, 12, v96
	s_waitcnt vmcnt(0) lgkmcnt(0)
	s_barrier
	s_and_saveexec_b64 s[0:1], vcc
	s_cbranch_execz .LBB88_272
; %bb.271:
	buffer_load_dword v101, off, s[24:27], 0 offset:128 ; 4-byte Folded Reload
	buffer_load_dword v102, off, s[24:27], 0 offset:132 ; 4-byte Folded Reload
	;; [unrolled: 1-line block ×4, first 2 shown]
	s_waitcnt vmcnt(0)
	v_mul_f64 v[97:98], v[119:120], v[103:104]
	v_fma_f64 v[125:126], v[117:118], v[101:102], -v[97:98]
	v_mul_f64 v[97:98], v[117:118], v[103:104]
	v_fma_f64 v[103:104], v[119:120], v[101:102], v[97:98]
	ds_read2_b64 v[97:100], v94 offset0:26 offset1:27
	buffer_load_dword v85, off, s[24:27], 0 offset:112 ; 4-byte Folded Reload
	buffer_load_dword v86, off, s[24:27], 0 offset:116 ; 4-byte Folded Reload
	buffer_load_dword v87, off, s[24:27], 0 offset:120 ; 4-byte Folded Reload
	buffer_load_dword v88, off, s[24:27], 0 offset:124 ; 4-byte Folded Reload
	s_waitcnt lgkmcnt(0)
	v_mul_f64 v[101:102], v[99:100], v[103:104]
	v_fma_f64 v[101:102], v[97:98], v[125:126], -v[101:102]
	v_mul_f64 v[97:98], v[97:98], v[103:104]
	v_fma_f64 v[97:98], v[99:100], v[125:126], v[97:98]
	s_waitcnt vmcnt(2)
	v_add_f64 v[85:86], v[85:86], -v[101:102]
	s_waitcnt vmcnt(0)
	v_add_f64 v[87:88], v[87:88], -v[97:98]
	buffer_store_dword v85, off, s[24:27], 0 offset:112 ; 4-byte Folded Spill
	s_nop 0
	buffer_store_dword v86, off, s[24:27], 0 offset:116 ; 4-byte Folded Spill
	buffer_store_dword v87, off, s[24:27], 0 offset:120 ; 4-byte Folded Spill
	buffer_store_dword v88, off, s[24:27], 0 offset:124 ; 4-byte Folded Spill
	ds_read2_b64 v[97:100], v94 offset0:28 offset1:29
	buffer_load_dword v85, off, s[24:27], 0 offset:96 ; 4-byte Folded Reload
	buffer_load_dword v86, off, s[24:27], 0 offset:100 ; 4-byte Folded Reload
	buffer_load_dword v87, off, s[24:27], 0 offset:104 ; 4-byte Folded Reload
	buffer_load_dword v88, off, s[24:27], 0 offset:108 ; 4-byte Folded Reload
	s_waitcnt lgkmcnt(0)
	v_mul_f64 v[101:102], v[99:100], v[103:104]
	v_fma_f64 v[101:102], v[97:98], v[125:126], -v[101:102]
	v_mul_f64 v[97:98], v[97:98], v[103:104]
	v_fma_f64 v[97:98], v[99:100], v[125:126], v[97:98]
	s_waitcnt vmcnt(2)
	v_add_f64 v[85:86], v[85:86], -v[101:102]
	s_waitcnt vmcnt(0)
	v_add_f64 v[87:88], v[87:88], -v[97:98]
	buffer_store_dword v85, off, s[24:27], 0 offset:96 ; 4-byte Folded Spill
	s_nop 0
	buffer_store_dword v86, off, s[24:27], 0 offset:100 ; 4-byte Folded Spill
	buffer_store_dword v87, off, s[24:27], 0 offset:104 ; 4-byte Folded Spill
	buffer_store_dword v88, off, s[24:27], 0 offset:108 ; 4-byte Folded Spill
	;; [unrolled: 19-line block ×7, first 2 shown]
	ds_read2_b64 v[97:100], v94 offset0:40 offset1:41
	buffer_load_dword v85, off, s[24:27], 0 ; 4-byte Folded Reload
	buffer_load_dword v86, off, s[24:27], 0 offset:4 ; 4-byte Folded Reload
	buffer_load_dword v87, off, s[24:27], 0 offset:8 ; 4-byte Folded Reload
	;; [unrolled: 1-line block ×3, first 2 shown]
	s_waitcnt lgkmcnt(0)
	v_mul_f64 v[101:102], v[99:100], v[103:104]
	v_fma_f64 v[101:102], v[97:98], v[125:126], -v[101:102]
	v_mul_f64 v[97:98], v[97:98], v[103:104]
	v_fma_f64 v[97:98], v[99:100], v[125:126], v[97:98]
	s_waitcnt vmcnt(2)
	v_add_f64 v[85:86], v[85:86], -v[101:102]
	s_waitcnt vmcnt(0)
	v_add_f64 v[87:88], v[87:88], -v[97:98]
	buffer_store_dword v85, off, s[24:27], 0 ; 4-byte Folded Spill
	s_nop 0
	buffer_store_dword v86, off, s[24:27], 0 offset:4 ; 4-byte Folded Spill
	buffer_store_dword v87, off, s[24:27], 0 offset:8 ; 4-byte Folded Spill
	;; [unrolled: 1-line block ×3, first 2 shown]
	ds_read2_b64 v[97:100], v94 offset0:42 offset1:43
	s_waitcnt lgkmcnt(0)
	v_mul_f64 v[101:102], v[99:100], v[103:104]
	v_fma_f64 v[101:102], v[97:98], v[125:126], -v[101:102]
	v_mul_f64 v[97:98], v[97:98], v[103:104]
	v_add_f64 v[111:112], v[111:112], -v[101:102]
	v_fma_f64 v[97:98], v[99:100], v[125:126], v[97:98]
	v_add_f64 v[113:114], v[113:114], -v[97:98]
	ds_read2_b64 v[97:100], v94 offset0:44 offset1:45
	s_waitcnt lgkmcnt(0)
	v_mul_f64 v[101:102], v[99:100], v[103:104]
	v_fma_f64 v[101:102], v[97:98], v[125:126], -v[101:102]
	v_mul_f64 v[97:98], v[97:98], v[103:104]
	v_add_f64 v[89:90], v[89:90], -v[101:102]
	v_fma_f64 v[97:98], v[99:100], v[125:126], v[97:98]
	v_add_f64 v[91:92], v[91:92], -v[97:98]
	;; [unrolled: 8-line block ×23, first 2 shown]
	ds_read2_b64 v[97:100], v94 offset0:88 offset1:89
	s_waitcnt lgkmcnt(0)
	v_mul_f64 v[101:102], v[99:100], v[103:104]
	v_fma_f64 v[101:102], v[97:98], v[125:126], -v[101:102]
	v_mul_f64 v[97:98], v[97:98], v[103:104]
	v_add_f64 v[121:122], v[121:122], -v[101:102]
	v_fma_f64 v[97:98], v[99:100], v[125:126], v[97:98]
	v_mov_b32_e32 v101, v125
	v_mov_b32_e32 v102, v126
	buffer_store_dword v101, off, s[24:27], 0 offset:128 ; 4-byte Folded Spill
	s_nop 0
	buffer_store_dword v102, off, s[24:27], 0 offset:132 ; 4-byte Folded Spill
	buffer_store_dword v103, off, s[24:27], 0 offset:136 ; 4-byte Folded Spill
	buffer_store_dword v104, off, s[24:27], 0 offset:140 ; 4-byte Folded Spill
	v_add_f64 v[123:124], v[123:124], -v[97:98]
.LBB88_272:
	s_or_b64 exec, exec, s[0:1]
	s_waitcnt vmcnt(0)
	s_barrier
	buffer_load_dword v85, off, s[24:27], 0 offset:112 ; 4-byte Folded Reload
	buffer_load_dword v86, off, s[24:27], 0 offset:116 ; 4-byte Folded Reload
	;; [unrolled: 1-line block ×4, first 2 shown]
	v_lshl_add_u32 v97, v96, 4, v94
	s_cmp_lt_i32 s3, 15
	s_waitcnt vmcnt(0)
	ds_write2_b64 v97, v[85:86], v[87:88] offset1:1
	s_waitcnt lgkmcnt(0)
	s_barrier
	ds_read2_b64 v[117:120], v94 offset0:26 offset1:27
	v_mov_b32_e32 v97, 13
	s_cbranch_scc1 .LBB88_275
; %bb.273:
	v_add_u32_e32 v98, 0xe0, v94
	s_mov_b32 s0, 14
	v_mov_b32_e32 v97, 13
.LBB88_274:                             ; =>This Inner Loop Header: Depth=1
	s_waitcnt lgkmcnt(0)
	v_cmp_gt_f64_e32 vcc, 0, v[117:118]
	v_xor_b32_e32 v103, 0x80000000, v118
	ds_read2_b64 v[99:102], v98 offset1:1
	v_xor_b32_e32 v105, 0x80000000, v120
	v_add_u32_e32 v98, 16, v98
	s_waitcnt lgkmcnt(0)
	v_xor_b32_e32 v107, 0x80000000, v102
	v_cndmask_b32_e32 v104, v118, v103, vcc
	v_cmp_gt_f64_e32 vcc, 0, v[119:120]
	v_mov_b32_e32 v103, v117
	v_cndmask_b32_e32 v106, v120, v105, vcc
	v_cmp_gt_f64_e32 vcc, 0, v[99:100]
	v_mov_b32_e32 v105, v119
	v_add_f64 v[103:104], v[103:104], v[105:106]
	v_xor_b32_e32 v105, 0x80000000, v100
	v_cndmask_b32_e32 v106, v100, v105, vcc
	v_cmp_gt_f64_e32 vcc, 0, v[101:102]
	v_mov_b32_e32 v105, v99
	v_cndmask_b32_e32 v108, v102, v107, vcc
	v_mov_b32_e32 v107, v101
	v_add_f64 v[105:106], v[105:106], v[107:108]
	v_cmp_lt_f64_e32 vcc, v[103:104], v[105:106]
	v_cndmask_b32_e32 v117, v117, v99, vcc
	v_mov_b32_e32 v99, s0
	s_add_i32 s0, s0, 1
	v_cndmask_b32_e32 v118, v118, v100, vcc
	v_cndmask_b32_e32 v120, v120, v102, vcc
	;; [unrolled: 1-line block ×4, first 2 shown]
	s_cmp_lg_u32 s3, s0
	s_cbranch_scc1 .LBB88_274
.LBB88_275:
	s_waitcnt lgkmcnt(0)
	v_cmp_eq_f64_e32 vcc, 0, v[117:118]
	v_cmp_eq_f64_e64 s[0:1], 0, v[119:120]
	s_and_b64 s[0:1], vcc, s[0:1]
	s_and_saveexec_b64 s[18:19], s[0:1]
	s_xor_b64 s[0:1], exec, s[18:19]
; %bb.276:
	v_cmp_ne_u32_e32 vcc, 0, v95
	v_cndmask_b32_e32 v95, 14, v95, vcc
; %bb.277:
	s_andn2_saveexec_b64 s[0:1], s[0:1]
	s_cbranch_execz .LBB88_283
; %bb.278:
	v_cmp_ngt_f64_e64 s[18:19], |v[117:118]|, |v[119:120]|
	s_and_saveexec_b64 s[20:21], s[18:19]
	s_xor_b64 s[18:19], exec, s[20:21]
	s_cbranch_execz .LBB88_280
; %bb.279:
	v_div_scale_f64 v[98:99], s[20:21], v[119:120], v[119:120], v[117:118]
	v_rcp_f64_e32 v[100:101], v[98:99]
	v_fma_f64 v[102:103], -v[98:99], v[100:101], 1.0
	v_fma_f64 v[100:101], v[100:101], v[102:103], v[100:101]
	v_div_scale_f64 v[102:103], vcc, v[117:118], v[119:120], v[117:118]
	v_fma_f64 v[104:105], -v[98:99], v[100:101], 1.0
	v_fma_f64 v[100:101], v[100:101], v[104:105], v[100:101]
	v_mul_f64 v[104:105], v[102:103], v[100:101]
	v_fma_f64 v[98:99], -v[98:99], v[104:105], v[102:103]
	v_div_fmas_f64 v[98:99], v[98:99], v[100:101], v[104:105]
	v_div_fixup_f64 v[98:99], v[98:99], v[119:120], v[117:118]
	v_fma_f64 v[100:101], v[117:118], v[98:99], v[119:120]
	v_div_scale_f64 v[102:103], s[20:21], v[100:101], v[100:101], 1.0
	v_div_scale_f64 v[108:109], vcc, 1.0, v[100:101], 1.0
	v_rcp_f64_e32 v[104:105], v[102:103]
	v_fma_f64 v[106:107], -v[102:103], v[104:105], 1.0
	v_fma_f64 v[104:105], v[104:105], v[106:107], v[104:105]
	v_fma_f64 v[106:107], -v[102:103], v[104:105], 1.0
	v_fma_f64 v[104:105], v[104:105], v[106:107], v[104:105]
	v_mul_f64 v[106:107], v[108:109], v[104:105]
	v_fma_f64 v[102:103], -v[102:103], v[106:107], v[108:109]
	v_div_fmas_f64 v[102:103], v[102:103], v[104:105], v[106:107]
	v_div_fixup_f64 v[119:120], v[102:103], v[100:101], 1.0
	v_mul_f64 v[117:118], v[98:99], v[119:120]
	v_xor_b32_e32 v120, 0x80000000, v120
.LBB88_280:
	s_andn2_saveexec_b64 s[18:19], s[18:19]
	s_cbranch_execz .LBB88_282
; %bb.281:
	v_div_scale_f64 v[98:99], s[20:21], v[117:118], v[117:118], v[119:120]
	v_rcp_f64_e32 v[100:101], v[98:99]
	v_fma_f64 v[102:103], -v[98:99], v[100:101], 1.0
	v_fma_f64 v[100:101], v[100:101], v[102:103], v[100:101]
	v_div_scale_f64 v[102:103], vcc, v[119:120], v[117:118], v[119:120]
	v_fma_f64 v[104:105], -v[98:99], v[100:101], 1.0
	v_fma_f64 v[100:101], v[100:101], v[104:105], v[100:101]
	v_mul_f64 v[104:105], v[102:103], v[100:101]
	v_fma_f64 v[98:99], -v[98:99], v[104:105], v[102:103]
	v_div_fmas_f64 v[98:99], v[98:99], v[100:101], v[104:105]
	v_div_fixup_f64 v[98:99], v[98:99], v[117:118], v[119:120]
	v_fma_f64 v[100:101], v[119:120], v[98:99], v[117:118]
	v_div_scale_f64 v[102:103], s[20:21], v[100:101], v[100:101], 1.0
	v_div_scale_f64 v[108:109], vcc, 1.0, v[100:101], 1.0
	v_rcp_f64_e32 v[104:105], v[102:103]
	v_fma_f64 v[106:107], -v[102:103], v[104:105], 1.0
	v_fma_f64 v[104:105], v[104:105], v[106:107], v[104:105]
	v_fma_f64 v[106:107], -v[102:103], v[104:105], 1.0
	v_fma_f64 v[104:105], v[104:105], v[106:107], v[104:105]
	v_mul_f64 v[106:107], v[108:109], v[104:105]
	v_fma_f64 v[102:103], -v[102:103], v[106:107], v[108:109]
	v_div_fmas_f64 v[102:103], v[102:103], v[104:105], v[106:107]
	v_div_fixup_f64 v[117:118], v[102:103], v[100:101], 1.0
	v_mul_f64 v[119:120], v[98:99], -v[117:118]
.LBB88_282:
	s_or_b64 exec, exec, s[18:19]
.LBB88_283:
	s_or_b64 exec, exec, s[0:1]
	v_cmp_ne_u32_e32 vcc, v96, v97
	s_and_saveexec_b64 s[0:1], vcc
	s_xor_b64 s[0:1], exec, s[0:1]
	s_cbranch_execz .LBB88_289
; %bb.284:
	v_cmp_eq_u32_e32 vcc, 13, v96
	s_and_saveexec_b64 s[18:19], vcc
	s_cbranch_execz .LBB88_288
; %bb.285:
	v_cmp_ne_u32_e32 vcc, 13, v97
	s_xor_b64 s[20:21], s[6:7], -1
	s_and_b64 s[22:23], s[20:21], vcc
	s_and_saveexec_b64 s[20:21], s[22:23]
	s_cbranch_execz .LBB88_287
; %bb.286:
	buffer_load_dword v85, off, s[24:27], 0 offset:288 ; 4-byte Folded Reload
	buffer_load_dword v86, off, s[24:27], 0 offset:292 ; 4-byte Folded Reload
	v_ashrrev_i32_e32 v98, 31, v97
	v_lshlrev_b64 v[98:99], 2, v[97:98]
	s_waitcnt vmcnt(1)
	v_add_co_u32_e32 v98, vcc, v85, v98
	s_waitcnt vmcnt(0)
	v_addc_co_u32_e32 v99, vcc, v86, v99, vcc
	global_load_dword v0, v[98:99], off
	global_load_dword v96, v[85:86], off offset:52
	s_waitcnt vmcnt(1)
	global_store_dword v[85:86], v0, off offset:52
	s_waitcnt vmcnt(1)
	global_store_dword v[98:99], v96, off
.LBB88_287:
	s_or_b64 exec, exec, s[20:21]
	v_mov_b32_e32 v96, v97
	v_mov_b32_e32 v0, v97
.LBB88_288:
	s_or_b64 exec, exec, s[18:19]
.LBB88_289:
	s_andn2_saveexec_b64 s[0:1], s[0:1]
	s_cbranch_execz .LBB88_291
; %bb.290:
	buffer_load_dword v85, off, s[24:27], 0 offset:96 ; 4-byte Folded Reload
	buffer_load_dword v86, off, s[24:27], 0 offset:100 ; 4-byte Folded Reload
	;; [unrolled: 1-line block ×4, first 2 shown]
	v_mov_b32_e32 v96, 13
	s_waitcnt vmcnt(0)
	ds_write2_b64 v94, v[85:86], v[87:88] offset0:28 offset1:29
	buffer_load_dword v85, off, s[24:27], 0 offset:80 ; 4-byte Folded Reload
	buffer_load_dword v86, off, s[24:27], 0 offset:84 ; 4-byte Folded Reload
	buffer_load_dword v87, off, s[24:27], 0 offset:88 ; 4-byte Folded Reload
	buffer_load_dword v88, off, s[24:27], 0 offset:92 ; 4-byte Folded Reload
	s_waitcnt vmcnt(0)
	ds_write2_b64 v94, v[85:86], v[87:88] offset0:30 offset1:31
	buffer_load_dword v85, off, s[24:27], 0 offset:64 ; 4-byte Folded Reload
	buffer_load_dword v86, off, s[24:27], 0 offset:68 ; 4-byte Folded Reload
	buffer_load_dword v87, off, s[24:27], 0 offset:72 ; 4-byte Folded Reload
	buffer_load_dword v88, off, s[24:27], 0 offset:76 ; 4-byte Folded Reload
	;; [unrolled: 6-line block ×5, first 2 shown]
	s_waitcnt vmcnt(0)
	ds_write2_b64 v94, v[85:86], v[87:88] offset0:38 offset1:39
	buffer_load_dword v85, off, s[24:27], 0 ; 4-byte Folded Reload
	buffer_load_dword v86, off, s[24:27], 0 offset:4 ; 4-byte Folded Reload
	buffer_load_dword v87, off, s[24:27], 0 offset:8 ; 4-byte Folded Reload
	;; [unrolled: 1-line block ×3, first 2 shown]
	s_waitcnt vmcnt(0)
	ds_write2_b64 v94, v[85:86], v[87:88] offset0:40 offset1:41
	ds_write2_b64 v94, v[111:112], v[113:114] offset0:42 offset1:43
	;; [unrolled: 1-line block ×25, first 2 shown]
.LBB88_291:
	s_or_b64 exec, exec, s[0:1]
	v_cmp_lt_i32_e32 vcc, 13, v96
	s_waitcnt vmcnt(0) lgkmcnt(0)
	s_barrier
	s_and_saveexec_b64 s[0:1], vcc
	s_cbranch_execz .LBB88_293
; %bb.292:
	buffer_load_dword v101, off, s[24:27], 0 offset:112 ; 4-byte Folded Reload
	buffer_load_dword v102, off, s[24:27], 0 offset:116 ; 4-byte Folded Reload
	;; [unrolled: 1-line block ×4, first 2 shown]
	s_waitcnt vmcnt(0)
	v_mul_f64 v[97:98], v[119:120], v[103:104]
	v_fma_f64 v[125:126], v[117:118], v[101:102], -v[97:98]
	v_mul_f64 v[97:98], v[117:118], v[103:104]
	v_fma_f64 v[103:104], v[119:120], v[101:102], v[97:98]
	ds_read2_b64 v[97:100], v94 offset0:28 offset1:29
	buffer_load_dword v85, off, s[24:27], 0 offset:96 ; 4-byte Folded Reload
	buffer_load_dword v86, off, s[24:27], 0 offset:100 ; 4-byte Folded Reload
	buffer_load_dword v87, off, s[24:27], 0 offset:104 ; 4-byte Folded Reload
	buffer_load_dword v88, off, s[24:27], 0 offset:108 ; 4-byte Folded Reload
	s_waitcnt lgkmcnt(0)
	v_mul_f64 v[101:102], v[99:100], v[103:104]
	v_fma_f64 v[101:102], v[97:98], v[125:126], -v[101:102]
	v_mul_f64 v[97:98], v[97:98], v[103:104]
	v_fma_f64 v[97:98], v[99:100], v[125:126], v[97:98]
	s_waitcnt vmcnt(2)
	v_add_f64 v[85:86], v[85:86], -v[101:102]
	s_waitcnt vmcnt(0)
	v_add_f64 v[87:88], v[87:88], -v[97:98]
	buffer_store_dword v85, off, s[24:27], 0 offset:96 ; 4-byte Folded Spill
	s_nop 0
	buffer_store_dword v86, off, s[24:27], 0 offset:100 ; 4-byte Folded Spill
	buffer_store_dword v87, off, s[24:27], 0 offset:104 ; 4-byte Folded Spill
	buffer_store_dword v88, off, s[24:27], 0 offset:108 ; 4-byte Folded Spill
	ds_read2_b64 v[97:100], v94 offset0:30 offset1:31
	buffer_load_dword v85, off, s[24:27], 0 offset:80 ; 4-byte Folded Reload
	buffer_load_dword v86, off, s[24:27], 0 offset:84 ; 4-byte Folded Reload
	buffer_load_dword v87, off, s[24:27], 0 offset:88 ; 4-byte Folded Reload
	buffer_load_dword v88, off, s[24:27], 0 offset:92 ; 4-byte Folded Reload
	s_waitcnt lgkmcnt(0)
	v_mul_f64 v[101:102], v[99:100], v[103:104]
	v_fma_f64 v[101:102], v[97:98], v[125:126], -v[101:102]
	v_mul_f64 v[97:98], v[97:98], v[103:104]
	v_fma_f64 v[97:98], v[99:100], v[125:126], v[97:98]
	s_waitcnt vmcnt(2)
	v_add_f64 v[85:86], v[85:86], -v[101:102]
	s_waitcnt vmcnt(0)
	v_add_f64 v[87:88], v[87:88], -v[97:98]
	buffer_store_dword v85, off, s[24:27], 0 offset:80 ; 4-byte Folded Spill
	s_nop 0
	buffer_store_dword v86, off, s[24:27], 0 offset:84 ; 4-byte Folded Spill
	buffer_store_dword v87, off, s[24:27], 0 offset:88 ; 4-byte Folded Spill
	buffer_store_dword v88, off, s[24:27], 0 offset:92 ; 4-byte Folded Spill
	;; [unrolled: 19-line block ×6, first 2 shown]
	ds_read2_b64 v[97:100], v94 offset0:40 offset1:41
	buffer_load_dword v85, off, s[24:27], 0 ; 4-byte Folded Reload
	buffer_load_dword v86, off, s[24:27], 0 offset:4 ; 4-byte Folded Reload
	buffer_load_dword v87, off, s[24:27], 0 offset:8 ; 4-byte Folded Reload
	;; [unrolled: 1-line block ×3, first 2 shown]
	s_waitcnt lgkmcnt(0)
	v_mul_f64 v[101:102], v[99:100], v[103:104]
	v_fma_f64 v[101:102], v[97:98], v[125:126], -v[101:102]
	v_mul_f64 v[97:98], v[97:98], v[103:104]
	v_fma_f64 v[97:98], v[99:100], v[125:126], v[97:98]
	s_waitcnt vmcnt(2)
	v_add_f64 v[85:86], v[85:86], -v[101:102]
	s_waitcnt vmcnt(0)
	v_add_f64 v[87:88], v[87:88], -v[97:98]
	buffer_store_dword v85, off, s[24:27], 0 ; 4-byte Folded Spill
	s_nop 0
	buffer_store_dword v86, off, s[24:27], 0 offset:4 ; 4-byte Folded Spill
	buffer_store_dword v87, off, s[24:27], 0 offset:8 ; 4-byte Folded Spill
	;; [unrolled: 1-line block ×3, first 2 shown]
	ds_read2_b64 v[97:100], v94 offset0:42 offset1:43
	s_waitcnt lgkmcnt(0)
	v_mul_f64 v[101:102], v[99:100], v[103:104]
	v_fma_f64 v[101:102], v[97:98], v[125:126], -v[101:102]
	v_mul_f64 v[97:98], v[97:98], v[103:104]
	v_add_f64 v[111:112], v[111:112], -v[101:102]
	v_fma_f64 v[97:98], v[99:100], v[125:126], v[97:98]
	v_add_f64 v[113:114], v[113:114], -v[97:98]
	ds_read2_b64 v[97:100], v94 offset0:44 offset1:45
	s_waitcnt lgkmcnt(0)
	v_mul_f64 v[101:102], v[99:100], v[103:104]
	v_fma_f64 v[101:102], v[97:98], v[125:126], -v[101:102]
	v_mul_f64 v[97:98], v[97:98], v[103:104]
	v_add_f64 v[89:90], v[89:90], -v[101:102]
	v_fma_f64 v[97:98], v[99:100], v[125:126], v[97:98]
	v_add_f64 v[91:92], v[91:92], -v[97:98]
	;; [unrolled: 8-line block ×23, first 2 shown]
	ds_read2_b64 v[97:100], v94 offset0:88 offset1:89
	s_waitcnt lgkmcnt(0)
	v_mul_f64 v[101:102], v[99:100], v[103:104]
	v_fma_f64 v[101:102], v[97:98], v[125:126], -v[101:102]
	v_mul_f64 v[97:98], v[97:98], v[103:104]
	v_add_f64 v[121:122], v[121:122], -v[101:102]
	v_fma_f64 v[97:98], v[99:100], v[125:126], v[97:98]
	v_mov_b32_e32 v101, v125
	v_mov_b32_e32 v102, v126
	buffer_store_dword v101, off, s[24:27], 0 offset:112 ; 4-byte Folded Spill
	s_nop 0
	buffer_store_dword v102, off, s[24:27], 0 offset:116 ; 4-byte Folded Spill
	buffer_store_dword v103, off, s[24:27], 0 offset:120 ; 4-byte Folded Spill
	;; [unrolled: 1-line block ×3, first 2 shown]
	v_add_f64 v[123:124], v[123:124], -v[97:98]
.LBB88_293:
	s_or_b64 exec, exec, s[0:1]
	s_waitcnt vmcnt(0)
	s_barrier
	buffer_load_dword v85, off, s[24:27], 0 offset:96 ; 4-byte Folded Reload
	buffer_load_dword v86, off, s[24:27], 0 offset:100 ; 4-byte Folded Reload
	;; [unrolled: 1-line block ×4, first 2 shown]
	v_lshl_add_u32 v97, v96, 4, v94
	s_cmp_lt_i32 s3, 16
	s_waitcnt vmcnt(0)
	ds_write2_b64 v97, v[85:86], v[87:88] offset1:1
	s_waitcnt lgkmcnt(0)
	s_barrier
	ds_read2_b64 v[117:120], v94 offset0:28 offset1:29
	v_mov_b32_e32 v97, 14
	s_cbranch_scc1 .LBB88_296
; %bb.294:
	v_add_u32_e32 v98, 0xf0, v94
	s_mov_b32 s0, 15
	v_mov_b32_e32 v97, 14
.LBB88_295:                             ; =>This Inner Loop Header: Depth=1
	s_waitcnt lgkmcnt(0)
	v_cmp_gt_f64_e32 vcc, 0, v[117:118]
	v_xor_b32_e32 v103, 0x80000000, v118
	ds_read2_b64 v[99:102], v98 offset1:1
	v_xor_b32_e32 v105, 0x80000000, v120
	v_add_u32_e32 v98, 16, v98
	s_waitcnt lgkmcnt(0)
	v_xor_b32_e32 v107, 0x80000000, v102
	v_cndmask_b32_e32 v104, v118, v103, vcc
	v_cmp_gt_f64_e32 vcc, 0, v[119:120]
	v_mov_b32_e32 v103, v117
	v_cndmask_b32_e32 v106, v120, v105, vcc
	v_cmp_gt_f64_e32 vcc, 0, v[99:100]
	v_mov_b32_e32 v105, v119
	v_add_f64 v[103:104], v[103:104], v[105:106]
	v_xor_b32_e32 v105, 0x80000000, v100
	v_cndmask_b32_e32 v106, v100, v105, vcc
	v_cmp_gt_f64_e32 vcc, 0, v[101:102]
	v_mov_b32_e32 v105, v99
	v_cndmask_b32_e32 v108, v102, v107, vcc
	v_mov_b32_e32 v107, v101
	v_add_f64 v[105:106], v[105:106], v[107:108]
	v_cmp_lt_f64_e32 vcc, v[103:104], v[105:106]
	v_cndmask_b32_e32 v117, v117, v99, vcc
	v_mov_b32_e32 v99, s0
	s_add_i32 s0, s0, 1
	v_cndmask_b32_e32 v118, v118, v100, vcc
	v_cndmask_b32_e32 v120, v120, v102, vcc
	;; [unrolled: 1-line block ×4, first 2 shown]
	s_cmp_lg_u32 s3, s0
	s_cbranch_scc1 .LBB88_295
.LBB88_296:
	s_waitcnt lgkmcnt(0)
	v_cmp_eq_f64_e32 vcc, 0, v[117:118]
	v_cmp_eq_f64_e64 s[0:1], 0, v[119:120]
	s_and_b64 s[0:1], vcc, s[0:1]
	s_and_saveexec_b64 s[18:19], s[0:1]
	s_xor_b64 s[0:1], exec, s[18:19]
; %bb.297:
	v_cmp_ne_u32_e32 vcc, 0, v95
	v_cndmask_b32_e32 v95, 15, v95, vcc
; %bb.298:
	s_andn2_saveexec_b64 s[0:1], s[0:1]
	s_cbranch_execz .LBB88_304
; %bb.299:
	v_cmp_ngt_f64_e64 s[18:19], |v[117:118]|, |v[119:120]|
	s_and_saveexec_b64 s[20:21], s[18:19]
	s_xor_b64 s[18:19], exec, s[20:21]
	s_cbranch_execz .LBB88_301
; %bb.300:
	v_div_scale_f64 v[98:99], s[20:21], v[119:120], v[119:120], v[117:118]
	v_rcp_f64_e32 v[100:101], v[98:99]
	v_fma_f64 v[102:103], -v[98:99], v[100:101], 1.0
	v_fma_f64 v[100:101], v[100:101], v[102:103], v[100:101]
	v_div_scale_f64 v[102:103], vcc, v[117:118], v[119:120], v[117:118]
	v_fma_f64 v[104:105], -v[98:99], v[100:101], 1.0
	v_fma_f64 v[100:101], v[100:101], v[104:105], v[100:101]
	v_mul_f64 v[104:105], v[102:103], v[100:101]
	v_fma_f64 v[98:99], -v[98:99], v[104:105], v[102:103]
	v_div_fmas_f64 v[98:99], v[98:99], v[100:101], v[104:105]
	v_div_fixup_f64 v[98:99], v[98:99], v[119:120], v[117:118]
	v_fma_f64 v[100:101], v[117:118], v[98:99], v[119:120]
	v_div_scale_f64 v[102:103], s[20:21], v[100:101], v[100:101], 1.0
	v_div_scale_f64 v[108:109], vcc, 1.0, v[100:101], 1.0
	v_rcp_f64_e32 v[104:105], v[102:103]
	v_fma_f64 v[106:107], -v[102:103], v[104:105], 1.0
	v_fma_f64 v[104:105], v[104:105], v[106:107], v[104:105]
	v_fma_f64 v[106:107], -v[102:103], v[104:105], 1.0
	v_fma_f64 v[104:105], v[104:105], v[106:107], v[104:105]
	v_mul_f64 v[106:107], v[108:109], v[104:105]
	v_fma_f64 v[102:103], -v[102:103], v[106:107], v[108:109]
	v_div_fmas_f64 v[102:103], v[102:103], v[104:105], v[106:107]
	v_div_fixup_f64 v[119:120], v[102:103], v[100:101], 1.0
	v_mul_f64 v[117:118], v[98:99], v[119:120]
	v_xor_b32_e32 v120, 0x80000000, v120
.LBB88_301:
	s_andn2_saveexec_b64 s[18:19], s[18:19]
	s_cbranch_execz .LBB88_303
; %bb.302:
	v_div_scale_f64 v[98:99], s[20:21], v[117:118], v[117:118], v[119:120]
	v_rcp_f64_e32 v[100:101], v[98:99]
	v_fma_f64 v[102:103], -v[98:99], v[100:101], 1.0
	v_fma_f64 v[100:101], v[100:101], v[102:103], v[100:101]
	v_div_scale_f64 v[102:103], vcc, v[119:120], v[117:118], v[119:120]
	v_fma_f64 v[104:105], -v[98:99], v[100:101], 1.0
	v_fma_f64 v[100:101], v[100:101], v[104:105], v[100:101]
	v_mul_f64 v[104:105], v[102:103], v[100:101]
	v_fma_f64 v[98:99], -v[98:99], v[104:105], v[102:103]
	v_div_fmas_f64 v[98:99], v[98:99], v[100:101], v[104:105]
	v_div_fixup_f64 v[98:99], v[98:99], v[117:118], v[119:120]
	v_fma_f64 v[100:101], v[119:120], v[98:99], v[117:118]
	v_div_scale_f64 v[102:103], s[20:21], v[100:101], v[100:101], 1.0
	v_div_scale_f64 v[108:109], vcc, 1.0, v[100:101], 1.0
	v_rcp_f64_e32 v[104:105], v[102:103]
	v_fma_f64 v[106:107], -v[102:103], v[104:105], 1.0
	v_fma_f64 v[104:105], v[104:105], v[106:107], v[104:105]
	v_fma_f64 v[106:107], -v[102:103], v[104:105], 1.0
	v_fma_f64 v[104:105], v[104:105], v[106:107], v[104:105]
	v_mul_f64 v[106:107], v[108:109], v[104:105]
	v_fma_f64 v[102:103], -v[102:103], v[106:107], v[108:109]
	v_div_fmas_f64 v[102:103], v[102:103], v[104:105], v[106:107]
	v_div_fixup_f64 v[117:118], v[102:103], v[100:101], 1.0
	v_mul_f64 v[119:120], v[98:99], -v[117:118]
.LBB88_303:
	s_or_b64 exec, exec, s[18:19]
.LBB88_304:
	s_or_b64 exec, exec, s[0:1]
	v_cmp_ne_u32_e32 vcc, v96, v97
	s_and_saveexec_b64 s[0:1], vcc
	s_xor_b64 s[0:1], exec, s[0:1]
	s_cbranch_execz .LBB88_310
; %bb.305:
	v_cmp_eq_u32_e32 vcc, 14, v96
	s_and_saveexec_b64 s[18:19], vcc
	s_cbranch_execz .LBB88_309
; %bb.306:
	v_cmp_ne_u32_e32 vcc, 14, v97
	s_xor_b64 s[20:21], s[6:7], -1
	s_and_b64 s[22:23], s[20:21], vcc
	s_and_saveexec_b64 s[20:21], s[22:23]
	s_cbranch_execz .LBB88_308
; %bb.307:
	buffer_load_dword v85, off, s[24:27], 0 offset:288 ; 4-byte Folded Reload
	buffer_load_dword v86, off, s[24:27], 0 offset:292 ; 4-byte Folded Reload
	v_ashrrev_i32_e32 v98, 31, v97
	v_lshlrev_b64 v[98:99], 2, v[97:98]
	s_waitcnt vmcnt(1)
	v_add_co_u32_e32 v98, vcc, v85, v98
	s_waitcnt vmcnt(0)
	v_addc_co_u32_e32 v99, vcc, v86, v99, vcc
	global_load_dword v0, v[98:99], off
	global_load_dword v96, v[85:86], off offset:56
	s_waitcnt vmcnt(1)
	global_store_dword v[85:86], v0, off offset:56
	s_waitcnt vmcnt(1)
	global_store_dword v[98:99], v96, off
.LBB88_308:
	s_or_b64 exec, exec, s[20:21]
	v_mov_b32_e32 v96, v97
	v_mov_b32_e32 v0, v97
.LBB88_309:
	s_or_b64 exec, exec, s[18:19]
.LBB88_310:
	s_andn2_saveexec_b64 s[0:1], s[0:1]
	s_cbranch_execz .LBB88_312
; %bb.311:
	buffer_load_dword v85, off, s[24:27], 0 offset:80 ; 4-byte Folded Reload
	buffer_load_dword v86, off, s[24:27], 0 offset:84 ; 4-byte Folded Reload
	;; [unrolled: 1-line block ×4, first 2 shown]
	v_mov_b32_e32 v96, 14
	s_waitcnt vmcnt(0)
	ds_write2_b64 v94, v[85:86], v[87:88] offset0:30 offset1:31
	buffer_load_dword v85, off, s[24:27], 0 offset:64 ; 4-byte Folded Reload
	buffer_load_dword v86, off, s[24:27], 0 offset:68 ; 4-byte Folded Reload
	buffer_load_dword v87, off, s[24:27], 0 offset:72 ; 4-byte Folded Reload
	buffer_load_dword v88, off, s[24:27], 0 offset:76 ; 4-byte Folded Reload
	s_waitcnt vmcnt(0)
	ds_write2_b64 v94, v[85:86], v[87:88] offset0:32 offset1:33
	buffer_load_dword v85, off, s[24:27], 0 offset:48 ; 4-byte Folded Reload
	buffer_load_dword v86, off, s[24:27], 0 offset:52 ; 4-byte Folded Reload
	buffer_load_dword v87, off, s[24:27], 0 offset:56 ; 4-byte Folded Reload
	buffer_load_dword v88, off, s[24:27], 0 offset:60 ; 4-byte Folded Reload
	s_waitcnt vmcnt(0)
	ds_write2_b64 v94, v[85:86], v[87:88] offset0:34 offset1:35
	buffer_load_dword v85, off, s[24:27], 0 offset:32 ; 4-byte Folded Reload
	buffer_load_dword v86, off, s[24:27], 0 offset:36 ; 4-byte Folded Reload
	buffer_load_dword v87, off, s[24:27], 0 offset:40 ; 4-byte Folded Reload
	buffer_load_dword v88, off, s[24:27], 0 offset:44 ; 4-byte Folded Reload
	s_waitcnt vmcnt(0)
	ds_write2_b64 v94, v[85:86], v[87:88] offset0:36 offset1:37
	buffer_load_dword v85, off, s[24:27], 0 offset:16 ; 4-byte Folded Reload
	buffer_load_dword v86, off, s[24:27], 0 offset:20 ; 4-byte Folded Reload
	buffer_load_dword v87, off, s[24:27], 0 offset:24 ; 4-byte Folded Reload
	buffer_load_dword v88, off, s[24:27], 0 offset:28 ; 4-byte Folded Reload
	s_waitcnt vmcnt(0)
	ds_write2_b64 v94, v[85:86], v[87:88] offset0:38 offset1:39
	buffer_load_dword v85, off, s[24:27], 0 ; 4-byte Folded Reload
	buffer_load_dword v86, off, s[24:27], 0 offset:4 ; 4-byte Folded Reload
	buffer_load_dword v87, off, s[24:27], 0 offset:8 ; 4-byte Folded Reload
	;; [unrolled: 1-line block ×3, first 2 shown]
	s_waitcnt vmcnt(0)
	ds_write2_b64 v94, v[85:86], v[87:88] offset0:40 offset1:41
	ds_write2_b64 v94, v[111:112], v[113:114] offset0:42 offset1:43
	;; [unrolled: 1-line block ×25, first 2 shown]
.LBB88_312:
	s_or_b64 exec, exec, s[0:1]
	v_cmp_lt_i32_e32 vcc, 14, v96
	s_waitcnt vmcnt(0) lgkmcnt(0)
	s_barrier
	s_and_saveexec_b64 s[0:1], vcc
	s_cbranch_execz .LBB88_314
; %bb.313:
	buffer_load_dword v101, off, s[24:27], 0 offset:96 ; 4-byte Folded Reload
	buffer_load_dword v102, off, s[24:27], 0 offset:100 ; 4-byte Folded Reload
	;; [unrolled: 1-line block ×4, first 2 shown]
	s_waitcnt vmcnt(0)
	v_mul_f64 v[97:98], v[119:120], v[103:104]
	v_fma_f64 v[125:126], v[117:118], v[101:102], -v[97:98]
	v_mul_f64 v[97:98], v[117:118], v[103:104]
	v_fma_f64 v[103:104], v[119:120], v[101:102], v[97:98]
	ds_read2_b64 v[97:100], v94 offset0:30 offset1:31
	buffer_load_dword v85, off, s[24:27], 0 offset:80 ; 4-byte Folded Reload
	buffer_load_dword v86, off, s[24:27], 0 offset:84 ; 4-byte Folded Reload
	buffer_load_dword v87, off, s[24:27], 0 offset:88 ; 4-byte Folded Reload
	buffer_load_dword v88, off, s[24:27], 0 offset:92 ; 4-byte Folded Reload
	s_waitcnt lgkmcnt(0)
	v_mul_f64 v[101:102], v[99:100], v[103:104]
	v_fma_f64 v[101:102], v[97:98], v[125:126], -v[101:102]
	v_mul_f64 v[97:98], v[97:98], v[103:104]
	v_fma_f64 v[97:98], v[99:100], v[125:126], v[97:98]
	s_waitcnt vmcnt(2)
	v_add_f64 v[85:86], v[85:86], -v[101:102]
	s_waitcnt vmcnt(0)
	v_add_f64 v[87:88], v[87:88], -v[97:98]
	buffer_store_dword v85, off, s[24:27], 0 offset:80 ; 4-byte Folded Spill
	s_nop 0
	buffer_store_dword v86, off, s[24:27], 0 offset:84 ; 4-byte Folded Spill
	buffer_store_dword v87, off, s[24:27], 0 offset:88 ; 4-byte Folded Spill
	buffer_store_dword v88, off, s[24:27], 0 offset:92 ; 4-byte Folded Spill
	ds_read2_b64 v[97:100], v94 offset0:32 offset1:33
	buffer_load_dword v85, off, s[24:27], 0 offset:64 ; 4-byte Folded Reload
	buffer_load_dword v86, off, s[24:27], 0 offset:68 ; 4-byte Folded Reload
	buffer_load_dword v87, off, s[24:27], 0 offset:72 ; 4-byte Folded Reload
	buffer_load_dword v88, off, s[24:27], 0 offset:76 ; 4-byte Folded Reload
	s_waitcnt lgkmcnt(0)
	v_mul_f64 v[101:102], v[99:100], v[103:104]
	v_fma_f64 v[101:102], v[97:98], v[125:126], -v[101:102]
	v_mul_f64 v[97:98], v[97:98], v[103:104]
	v_fma_f64 v[97:98], v[99:100], v[125:126], v[97:98]
	s_waitcnt vmcnt(2)
	v_add_f64 v[85:86], v[85:86], -v[101:102]
	s_waitcnt vmcnt(0)
	v_add_f64 v[87:88], v[87:88], -v[97:98]
	buffer_store_dword v85, off, s[24:27], 0 offset:64 ; 4-byte Folded Spill
	s_nop 0
	buffer_store_dword v86, off, s[24:27], 0 offset:68 ; 4-byte Folded Spill
	buffer_store_dword v87, off, s[24:27], 0 offset:72 ; 4-byte Folded Spill
	buffer_store_dword v88, off, s[24:27], 0 offset:76 ; 4-byte Folded Spill
	;; [unrolled: 19-line block ×5, first 2 shown]
	ds_read2_b64 v[97:100], v94 offset0:40 offset1:41
	buffer_load_dword v85, off, s[24:27], 0 ; 4-byte Folded Reload
	buffer_load_dword v86, off, s[24:27], 0 offset:4 ; 4-byte Folded Reload
	buffer_load_dword v87, off, s[24:27], 0 offset:8 ; 4-byte Folded Reload
	buffer_load_dword v88, off, s[24:27], 0 offset:12 ; 4-byte Folded Reload
	s_waitcnt lgkmcnt(0)
	v_mul_f64 v[101:102], v[99:100], v[103:104]
	v_fma_f64 v[101:102], v[97:98], v[125:126], -v[101:102]
	v_mul_f64 v[97:98], v[97:98], v[103:104]
	v_fma_f64 v[97:98], v[99:100], v[125:126], v[97:98]
	s_waitcnt vmcnt(2)
	v_add_f64 v[85:86], v[85:86], -v[101:102]
	s_waitcnt vmcnt(0)
	v_add_f64 v[87:88], v[87:88], -v[97:98]
	buffer_store_dword v85, off, s[24:27], 0 ; 4-byte Folded Spill
	s_nop 0
	buffer_store_dword v86, off, s[24:27], 0 offset:4 ; 4-byte Folded Spill
	buffer_store_dword v87, off, s[24:27], 0 offset:8 ; 4-byte Folded Spill
	;; [unrolled: 1-line block ×3, first 2 shown]
	ds_read2_b64 v[97:100], v94 offset0:42 offset1:43
	s_waitcnt lgkmcnt(0)
	v_mul_f64 v[101:102], v[99:100], v[103:104]
	v_fma_f64 v[101:102], v[97:98], v[125:126], -v[101:102]
	v_mul_f64 v[97:98], v[97:98], v[103:104]
	v_add_f64 v[111:112], v[111:112], -v[101:102]
	v_fma_f64 v[97:98], v[99:100], v[125:126], v[97:98]
	v_add_f64 v[113:114], v[113:114], -v[97:98]
	ds_read2_b64 v[97:100], v94 offset0:44 offset1:45
	s_waitcnt lgkmcnt(0)
	v_mul_f64 v[101:102], v[99:100], v[103:104]
	v_fma_f64 v[101:102], v[97:98], v[125:126], -v[101:102]
	v_mul_f64 v[97:98], v[97:98], v[103:104]
	v_add_f64 v[89:90], v[89:90], -v[101:102]
	v_fma_f64 v[97:98], v[99:100], v[125:126], v[97:98]
	v_add_f64 v[91:92], v[91:92], -v[97:98]
	;; [unrolled: 8-line block ×23, first 2 shown]
	ds_read2_b64 v[97:100], v94 offset0:88 offset1:89
	s_waitcnt lgkmcnt(0)
	v_mul_f64 v[101:102], v[99:100], v[103:104]
	v_fma_f64 v[101:102], v[97:98], v[125:126], -v[101:102]
	v_mul_f64 v[97:98], v[97:98], v[103:104]
	v_add_f64 v[121:122], v[121:122], -v[101:102]
	v_fma_f64 v[97:98], v[99:100], v[125:126], v[97:98]
	v_mov_b32_e32 v101, v125
	v_mov_b32_e32 v102, v126
	buffer_store_dword v101, off, s[24:27], 0 offset:96 ; 4-byte Folded Spill
	s_nop 0
	buffer_store_dword v102, off, s[24:27], 0 offset:100 ; 4-byte Folded Spill
	buffer_store_dword v103, off, s[24:27], 0 offset:104 ; 4-byte Folded Spill
	;; [unrolled: 1-line block ×3, first 2 shown]
	v_add_f64 v[123:124], v[123:124], -v[97:98]
.LBB88_314:
	s_or_b64 exec, exec, s[0:1]
	s_waitcnt vmcnt(0)
	s_barrier
	buffer_load_dword v85, off, s[24:27], 0 offset:80 ; 4-byte Folded Reload
	buffer_load_dword v86, off, s[24:27], 0 offset:84 ; 4-byte Folded Reload
	;; [unrolled: 1-line block ×4, first 2 shown]
	v_lshl_add_u32 v97, v96, 4, v94
	s_cmp_lt_i32 s3, 17
	s_waitcnt vmcnt(0)
	ds_write2_b64 v97, v[85:86], v[87:88] offset1:1
	s_waitcnt lgkmcnt(0)
	s_barrier
	ds_read2_b64 v[117:120], v94 offset0:30 offset1:31
	v_mov_b32_e32 v97, 15
	s_cbranch_scc1 .LBB88_317
; %bb.315:
	v_add_u32_e32 v98, 0x100, v94
	s_mov_b32 s0, 16
	v_mov_b32_e32 v97, 15
.LBB88_316:                             ; =>This Inner Loop Header: Depth=1
	s_waitcnt lgkmcnt(0)
	v_cmp_gt_f64_e32 vcc, 0, v[117:118]
	v_xor_b32_e32 v103, 0x80000000, v118
	ds_read2_b64 v[99:102], v98 offset1:1
	v_xor_b32_e32 v105, 0x80000000, v120
	v_add_u32_e32 v98, 16, v98
	s_waitcnt lgkmcnt(0)
	v_xor_b32_e32 v107, 0x80000000, v102
	v_cndmask_b32_e32 v104, v118, v103, vcc
	v_cmp_gt_f64_e32 vcc, 0, v[119:120]
	v_mov_b32_e32 v103, v117
	v_cndmask_b32_e32 v106, v120, v105, vcc
	v_cmp_gt_f64_e32 vcc, 0, v[99:100]
	v_mov_b32_e32 v105, v119
	v_add_f64 v[103:104], v[103:104], v[105:106]
	v_xor_b32_e32 v105, 0x80000000, v100
	v_cndmask_b32_e32 v106, v100, v105, vcc
	v_cmp_gt_f64_e32 vcc, 0, v[101:102]
	v_mov_b32_e32 v105, v99
	v_cndmask_b32_e32 v108, v102, v107, vcc
	v_mov_b32_e32 v107, v101
	v_add_f64 v[105:106], v[105:106], v[107:108]
	v_cmp_lt_f64_e32 vcc, v[103:104], v[105:106]
	v_cndmask_b32_e32 v117, v117, v99, vcc
	v_mov_b32_e32 v99, s0
	s_add_i32 s0, s0, 1
	v_cndmask_b32_e32 v118, v118, v100, vcc
	v_cndmask_b32_e32 v120, v120, v102, vcc
	;; [unrolled: 1-line block ×4, first 2 shown]
	s_cmp_lg_u32 s3, s0
	s_cbranch_scc1 .LBB88_316
.LBB88_317:
	s_waitcnt lgkmcnt(0)
	v_cmp_eq_f64_e32 vcc, 0, v[117:118]
	v_cmp_eq_f64_e64 s[0:1], 0, v[119:120]
	s_and_b64 s[0:1], vcc, s[0:1]
	s_and_saveexec_b64 s[18:19], s[0:1]
	s_xor_b64 s[0:1], exec, s[18:19]
; %bb.318:
	v_cmp_ne_u32_e32 vcc, 0, v95
	v_cndmask_b32_e32 v95, 16, v95, vcc
; %bb.319:
	s_andn2_saveexec_b64 s[0:1], s[0:1]
	s_cbranch_execz .LBB88_325
; %bb.320:
	v_cmp_ngt_f64_e64 s[18:19], |v[117:118]|, |v[119:120]|
	s_and_saveexec_b64 s[20:21], s[18:19]
	s_xor_b64 s[18:19], exec, s[20:21]
	s_cbranch_execz .LBB88_322
; %bb.321:
	v_div_scale_f64 v[98:99], s[20:21], v[119:120], v[119:120], v[117:118]
	v_rcp_f64_e32 v[100:101], v[98:99]
	v_fma_f64 v[102:103], -v[98:99], v[100:101], 1.0
	v_fma_f64 v[100:101], v[100:101], v[102:103], v[100:101]
	v_div_scale_f64 v[102:103], vcc, v[117:118], v[119:120], v[117:118]
	v_fma_f64 v[104:105], -v[98:99], v[100:101], 1.0
	v_fma_f64 v[100:101], v[100:101], v[104:105], v[100:101]
	v_mul_f64 v[104:105], v[102:103], v[100:101]
	v_fma_f64 v[98:99], -v[98:99], v[104:105], v[102:103]
	v_div_fmas_f64 v[98:99], v[98:99], v[100:101], v[104:105]
	v_div_fixup_f64 v[98:99], v[98:99], v[119:120], v[117:118]
	v_fma_f64 v[100:101], v[117:118], v[98:99], v[119:120]
	v_div_scale_f64 v[102:103], s[20:21], v[100:101], v[100:101], 1.0
	v_div_scale_f64 v[108:109], vcc, 1.0, v[100:101], 1.0
	v_rcp_f64_e32 v[104:105], v[102:103]
	v_fma_f64 v[106:107], -v[102:103], v[104:105], 1.0
	v_fma_f64 v[104:105], v[104:105], v[106:107], v[104:105]
	v_fma_f64 v[106:107], -v[102:103], v[104:105], 1.0
	v_fma_f64 v[104:105], v[104:105], v[106:107], v[104:105]
	v_mul_f64 v[106:107], v[108:109], v[104:105]
	v_fma_f64 v[102:103], -v[102:103], v[106:107], v[108:109]
	v_div_fmas_f64 v[102:103], v[102:103], v[104:105], v[106:107]
	v_div_fixup_f64 v[119:120], v[102:103], v[100:101], 1.0
	v_mul_f64 v[117:118], v[98:99], v[119:120]
	v_xor_b32_e32 v120, 0x80000000, v120
.LBB88_322:
	s_andn2_saveexec_b64 s[18:19], s[18:19]
	s_cbranch_execz .LBB88_324
; %bb.323:
	v_div_scale_f64 v[98:99], s[20:21], v[117:118], v[117:118], v[119:120]
	v_rcp_f64_e32 v[100:101], v[98:99]
	v_fma_f64 v[102:103], -v[98:99], v[100:101], 1.0
	v_fma_f64 v[100:101], v[100:101], v[102:103], v[100:101]
	v_div_scale_f64 v[102:103], vcc, v[119:120], v[117:118], v[119:120]
	v_fma_f64 v[104:105], -v[98:99], v[100:101], 1.0
	v_fma_f64 v[100:101], v[100:101], v[104:105], v[100:101]
	v_mul_f64 v[104:105], v[102:103], v[100:101]
	v_fma_f64 v[98:99], -v[98:99], v[104:105], v[102:103]
	v_div_fmas_f64 v[98:99], v[98:99], v[100:101], v[104:105]
	v_div_fixup_f64 v[98:99], v[98:99], v[117:118], v[119:120]
	v_fma_f64 v[100:101], v[119:120], v[98:99], v[117:118]
	v_div_scale_f64 v[102:103], s[20:21], v[100:101], v[100:101], 1.0
	v_div_scale_f64 v[108:109], vcc, 1.0, v[100:101], 1.0
	v_rcp_f64_e32 v[104:105], v[102:103]
	v_fma_f64 v[106:107], -v[102:103], v[104:105], 1.0
	v_fma_f64 v[104:105], v[104:105], v[106:107], v[104:105]
	v_fma_f64 v[106:107], -v[102:103], v[104:105], 1.0
	v_fma_f64 v[104:105], v[104:105], v[106:107], v[104:105]
	v_mul_f64 v[106:107], v[108:109], v[104:105]
	v_fma_f64 v[102:103], -v[102:103], v[106:107], v[108:109]
	v_div_fmas_f64 v[102:103], v[102:103], v[104:105], v[106:107]
	v_div_fixup_f64 v[117:118], v[102:103], v[100:101], 1.0
	v_mul_f64 v[119:120], v[98:99], -v[117:118]
.LBB88_324:
	s_or_b64 exec, exec, s[18:19]
.LBB88_325:
	s_or_b64 exec, exec, s[0:1]
	v_cmp_ne_u32_e32 vcc, v96, v97
	s_and_saveexec_b64 s[0:1], vcc
	s_xor_b64 s[0:1], exec, s[0:1]
	s_cbranch_execz .LBB88_331
; %bb.326:
	v_cmp_eq_u32_e32 vcc, 15, v96
	s_and_saveexec_b64 s[18:19], vcc
	s_cbranch_execz .LBB88_330
; %bb.327:
	v_cmp_ne_u32_e32 vcc, 15, v97
	s_xor_b64 s[20:21], s[6:7], -1
	s_and_b64 s[22:23], s[20:21], vcc
	s_and_saveexec_b64 s[20:21], s[22:23]
	s_cbranch_execz .LBB88_329
; %bb.328:
	buffer_load_dword v85, off, s[24:27], 0 offset:288 ; 4-byte Folded Reload
	buffer_load_dword v86, off, s[24:27], 0 offset:292 ; 4-byte Folded Reload
	v_ashrrev_i32_e32 v98, 31, v97
	v_lshlrev_b64 v[98:99], 2, v[97:98]
	s_waitcnt vmcnt(1)
	v_add_co_u32_e32 v98, vcc, v85, v98
	s_waitcnt vmcnt(0)
	v_addc_co_u32_e32 v99, vcc, v86, v99, vcc
	global_load_dword v0, v[98:99], off
	global_load_dword v96, v[85:86], off offset:60
	s_waitcnt vmcnt(1)
	global_store_dword v[85:86], v0, off offset:60
	s_waitcnt vmcnt(1)
	global_store_dword v[98:99], v96, off
.LBB88_329:
	s_or_b64 exec, exec, s[20:21]
	v_mov_b32_e32 v96, v97
	v_mov_b32_e32 v0, v97
.LBB88_330:
	s_or_b64 exec, exec, s[18:19]
.LBB88_331:
	s_andn2_saveexec_b64 s[0:1], s[0:1]
	s_cbranch_execz .LBB88_333
; %bb.332:
	buffer_load_dword v85, off, s[24:27], 0 offset:64 ; 4-byte Folded Reload
	buffer_load_dword v86, off, s[24:27], 0 offset:68 ; 4-byte Folded Reload
	buffer_load_dword v87, off, s[24:27], 0 offset:72 ; 4-byte Folded Reload
	buffer_load_dword v88, off, s[24:27], 0 offset:76 ; 4-byte Folded Reload
	v_mov_b32_e32 v96, 15
	s_waitcnt vmcnt(0)
	ds_write2_b64 v94, v[85:86], v[87:88] offset0:32 offset1:33
	buffer_load_dword v85, off, s[24:27], 0 offset:48 ; 4-byte Folded Reload
	buffer_load_dword v86, off, s[24:27], 0 offset:52 ; 4-byte Folded Reload
	buffer_load_dword v87, off, s[24:27], 0 offset:56 ; 4-byte Folded Reload
	buffer_load_dword v88, off, s[24:27], 0 offset:60 ; 4-byte Folded Reload
	s_waitcnt vmcnt(0)
	ds_write2_b64 v94, v[85:86], v[87:88] offset0:34 offset1:35
	buffer_load_dword v85, off, s[24:27], 0 offset:32 ; 4-byte Folded Reload
	buffer_load_dword v86, off, s[24:27], 0 offset:36 ; 4-byte Folded Reload
	buffer_load_dword v87, off, s[24:27], 0 offset:40 ; 4-byte Folded Reload
	buffer_load_dword v88, off, s[24:27], 0 offset:44 ; 4-byte Folded Reload
	;; [unrolled: 6-line block ×3, first 2 shown]
	s_waitcnt vmcnt(0)
	ds_write2_b64 v94, v[85:86], v[87:88] offset0:38 offset1:39
	buffer_load_dword v85, off, s[24:27], 0 ; 4-byte Folded Reload
	buffer_load_dword v86, off, s[24:27], 0 offset:4 ; 4-byte Folded Reload
	buffer_load_dword v87, off, s[24:27], 0 offset:8 ; 4-byte Folded Reload
	;; [unrolled: 1-line block ×3, first 2 shown]
	s_waitcnt vmcnt(0)
	ds_write2_b64 v94, v[85:86], v[87:88] offset0:40 offset1:41
	ds_write2_b64 v94, v[111:112], v[113:114] offset0:42 offset1:43
	;; [unrolled: 1-line block ×25, first 2 shown]
.LBB88_333:
	s_or_b64 exec, exec, s[0:1]
	v_cmp_lt_i32_e32 vcc, 15, v96
	s_waitcnt vmcnt(0) lgkmcnt(0)
	s_barrier
	s_and_saveexec_b64 s[0:1], vcc
	s_cbranch_execz .LBB88_335
; %bb.334:
	buffer_load_dword v101, off, s[24:27], 0 offset:80 ; 4-byte Folded Reload
	buffer_load_dword v102, off, s[24:27], 0 offset:84 ; 4-byte Folded Reload
	;; [unrolled: 1-line block ×4, first 2 shown]
	s_waitcnt vmcnt(0)
	v_mul_f64 v[97:98], v[119:120], v[103:104]
	v_fma_f64 v[125:126], v[117:118], v[101:102], -v[97:98]
	v_mul_f64 v[97:98], v[117:118], v[103:104]
	v_fma_f64 v[103:104], v[119:120], v[101:102], v[97:98]
	ds_read2_b64 v[97:100], v94 offset0:32 offset1:33
	buffer_load_dword v85, off, s[24:27], 0 offset:64 ; 4-byte Folded Reload
	buffer_load_dword v86, off, s[24:27], 0 offset:68 ; 4-byte Folded Reload
	buffer_load_dword v87, off, s[24:27], 0 offset:72 ; 4-byte Folded Reload
	buffer_load_dword v88, off, s[24:27], 0 offset:76 ; 4-byte Folded Reload
	s_waitcnt lgkmcnt(0)
	v_mul_f64 v[101:102], v[99:100], v[103:104]
	v_fma_f64 v[101:102], v[97:98], v[125:126], -v[101:102]
	v_mul_f64 v[97:98], v[97:98], v[103:104]
	v_fma_f64 v[97:98], v[99:100], v[125:126], v[97:98]
	s_waitcnt vmcnt(2)
	v_add_f64 v[85:86], v[85:86], -v[101:102]
	s_waitcnt vmcnt(0)
	v_add_f64 v[87:88], v[87:88], -v[97:98]
	buffer_store_dword v85, off, s[24:27], 0 offset:64 ; 4-byte Folded Spill
	s_nop 0
	buffer_store_dword v86, off, s[24:27], 0 offset:68 ; 4-byte Folded Spill
	buffer_store_dword v87, off, s[24:27], 0 offset:72 ; 4-byte Folded Spill
	buffer_store_dword v88, off, s[24:27], 0 offset:76 ; 4-byte Folded Spill
	ds_read2_b64 v[97:100], v94 offset0:34 offset1:35
	buffer_load_dword v85, off, s[24:27], 0 offset:48 ; 4-byte Folded Reload
	buffer_load_dword v86, off, s[24:27], 0 offset:52 ; 4-byte Folded Reload
	buffer_load_dword v87, off, s[24:27], 0 offset:56 ; 4-byte Folded Reload
	buffer_load_dword v88, off, s[24:27], 0 offset:60 ; 4-byte Folded Reload
	s_waitcnt lgkmcnt(0)
	v_mul_f64 v[101:102], v[99:100], v[103:104]
	v_fma_f64 v[101:102], v[97:98], v[125:126], -v[101:102]
	v_mul_f64 v[97:98], v[97:98], v[103:104]
	v_fma_f64 v[97:98], v[99:100], v[125:126], v[97:98]
	s_waitcnt vmcnt(2)
	v_add_f64 v[85:86], v[85:86], -v[101:102]
	s_waitcnt vmcnt(0)
	v_add_f64 v[87:88], v[87:88], -v[97:98]
	buffer_store_dword v85, off, s[24:27], 0 offset:48 ; 4-byte Folded Spill
	s_nop 0
	buffer_store_dword v86, off, s[24:27], 0 offset:52 ; 4-byte Folded Spill
	buffer_store_dword v87, off, s[24:27], 0 offset:56 ; 4-byte Folded Spill
	buffer_store_dword v88, off, s[24:27], 0 offset:60 ; 4-byte Folded Spill
	;; [unrolled: 19-line block ×4, first 2 shown]
	ds_read2_b64 v[97:100], v94 offset0:40 offset1:41
	buffer_load_dword v85, off, s[24:27], 0 ; 4-byte Folded Reload
	buffer_load_dword v86, off, s[24:27], 0 offset:4 ; 4-byte Folded Reload
	buffer_load_dword v87, off, s[24:27], 0 offset:8 ; 4-byte Folded Reload
	;; [unrolled: 1-line block ×3, first 2 shown]
	s_waitcnt lgkmcnt(0)
	v_mul_f64 v[101:102], v[99:100], v[103:104]
	v_fma_f64 v[101:102], v[97:98], v[125:126], -v[101:102]
	v_mul_f64 v[97:98], v[97:98], v[103:104]
	v_fma_f64 v[97:98], v[99:100], v[125:126], v[97:98]
	s_waitcnt vmcnt(2)
	v_add_f64 v[85:86], v[85:86], -v[101:102]
	s_waitcnt vmcnt(0)
	v_add_f64 v[87:88], v[87:88], -v[97:98]
	buffer_store_dword v85, off, s[24:27], 0 ; 4-byte Folded Spill
	s_nop 0
	buffer_store_dword v86, off, s[24:27], 0 offset:4 ; 4-byte Folded Spill
	buffer_store_dword v87, off, s[24:27], 0 offset:8 ; 4-byte Folded Spill
	;; [unrolled: 1-line block ×3, first 2 shown]
	ds_read2_b64 v[97:100], v94 offset0:42 offset1:43
	s_waitcnt lgkmcnt(0)
	v_mul_f64 v[101:102], v[99:100], v[103:104]
	v_fma_f64 v[101:102], v[97:98], v[125:126], -v[101:102]
	v_mul_f64 v[97:98], v[97:98], v[103:104]
	v_add_f64 v[111:112], v[111:112], -v[101:102]
	v_fma_f64 v[97:98], v[99:100], v[125:126], v[97:98]
	v_add_f64 v[113:114], v[113:114], -v[97:98]
	ds_read2_b64 v[97:100], v94 offset0:44 offset1:45
	s_waitcnt lgkmcnt(0)
	v_mul_f64 v[101:102], v[99:100], v[103:104]
	v_fma_f64 v[101:102], v[97:98], v[125:126], -v[101:102]
	v_mul_f64 v[97:98], v[97:98], v[103:104]
	v_add_f64 v[89:90], v[89:90], -v[101:102]
	v_fma_f64 v[97:98], v[99:100], v[125:126], v[97:98]
	v_add_f64 v[91:92], v[91:92], -v[97:98]
	;; [unrolled: 8-line block ×23, first 2 shown]
	ds_read2_b64 v[97:100], v94 offset0:88 offset1:89
	s_waitcnt lgkmcnt(0)
	v_mul_f64 v[101:102], v[99:100], v[103:104]
	v_fma_f64 v[101:102], v[97:98], v[125:126], -v[101:102]
	v_mul_f64 v[97:98], v[97:98], v[103:104]
	v_add_f64 v[121:122], v[121:122], -v[101:102]
	v_fma_f64 v[97:98], v[99:100], v[125:126], v[97:98]
	v_mov_b32_e32 v101, v125
	v_mov_b32_e32 v102, v126
	buffer_store_dword v101, off, s[24:27], 0 offset:80 ; 4-byte Folded Spill
	s_nop 0
	buffer_store_dword v102, off, s[24:27], 0 offset:84 ; 4-byte Folded Spill
	buffer_store_dword v103, off, s[24:27], 0 offset:88 ; 4-byte Folded Spill
	;; [unrolled: 1-line block ×3, first 2 shown]
	v_add_f64 v[123:124], v[123:124], -v[97:98]
.LBB88_335:
	s_or_b64 exec, exec, s[0:1]
	s_waitcnt vmcnt(0)
	s_barrier
	buffer_load_dword v85, off, s[24:27], 0 offset:64 ; 4-byte Folded Reload
	buffer_load_dword v86, off, s[24:27], 0 offset:68 ; 4-byte Folded Reload
	;; [unrolled: 1-line block ×4, first 2 shown]
	v_lshl_add_u32 v97, v96, 4, v94
	s_cmp_lt_i32 s3, 18
	s_waitcnt vmcnt(0)
	ds_write2_b64 v97, v[85:86], v[87:88] offset1:1
	s_waitcnt lgkmcnt(0)
	s_barrier
	ds_read2_b64 v[117:120], v94 offset0:32 offset1:33
	v_mov_b32_e32 v97, 16
	s_cbranch_scc1 .LBB88_338
; %bb.336:
	v_add_u32_e32 v98, 0x110, v94
	s_mov_b32 s0, 17
	v_mov_b32_e32 v97, 16
.LBB88_337:                             ; =>This Inner Loop Header: Depth=1
	s_waitcnt lgkmcnt(0)
	v_cmp_gt_f64_e32 vcc, 0, v[117:118]
	v_xor_b32_e32 v103, 0x80000000, v118
	ds_read2_b64 v[99:102], v98 offset1:1
	v_xor_b32_e32 v105, 0x80000000, v120
	v_add_u32_e32 v98, 16, v98
	s_waitcnt lgkmcnt(0)
	v_xor_b32_e32 v107, 0x80000000, v102
	v_cndmask_b32_e32 v104, v118, v103, vcc
	v_cmp_gt_f64_e32 vcc, 0, v[119:120]
	v_mov_b32_e32 v103, v117
	v_cndmask_b32_e32 v106, v120, v105, vcc
	v_cmp_gt_f64_e32 vcc, 0, v[99:100]
	v_mov_b32_e32 v105, v119
	v_add_f64 v[103:104], v[103:104], v[105:106]
	v_xor_b32_e32 v105, 0x80000000, v100
	v_cndmask_b32_e32 v106, v100, v105, vcc
	v_cmp_gt_f64_e32 vcc, 0, v[101:102]
	v_mov_b32_e32 v105, v99
	v_cndmask_b32_e32 v108, v102, v107, vcc
	v_mov_b32_e32 v107, v101
	v_add_f64 v[105:106], v[105:106], v[107:108]
	v_cmp_lt_f64_e32 vcc, v[103:104], v[105:106]
	v_cndmask_b32_e32 v117, v117, v99, vcc
	v_mov_b32_e32 v99, s0
	s_add_i32 s0, s0, 1
	v_cndmask_b32_e32 v118, v118, v100, vcc
	v_cndmask_b32_e32 v120, v120, v102, vcc
	;; [unrolled: 1-line block ×4, first 2 shown]
	s_cmp_lg_u32 s3, s0
	s_cbranch_scc1 .LBB88_337
.LBB88_338:
	s_waitcnt lgkmcnt(0)
	v_cmp_eq_f64_e32 vcc, 0, v[117:118]
	v_cmp_eq_f64_e64 s[0:1], 0, v[119:120]
	s_and_b64 s[0:1], vcc, s[0:1]
	s_and_saveexec_b64 s[18:19], s[0:1]
	s_xor_b64 s[0:1], exec, s[18:19]
; %bb.339:
	v_cmp_ne_u32_e32 vcc, 0, v95
	v_cndmask_b32_e32 v95, 17, v95, vcc
; %bb.340:
	s_andn2_saveexec_b64 s[0:1], s[0:1]
	s_cbranch_execz .LBB88_346
; %bb.341:
	v_cmp_ngt_f64_e64 s[18:19], |v[117:118]|, |v[119:120]|
	s_and_saveexec_b64 s[20:21], s[18:19]
	s_xor_b64 s[18:19], exec, s[20:21]
	s_cbranch_execz .LBB88_343
; %bb.342:
	v_div_scale_f64 v[98:99], s[20:21], v[119:120], v[119:120], v[117:118]
	v_rcp_f64_e32 v[100:101], v[98:99]
	v_fma_f64 v[102:103], -v[98:99], v[100:101], 1.0
	v_fma_f64 v[100:101], v[100:101], v[102:103], v[100:101]
	v_div_scale_f64 v[102:103], vcc, v[117:118], v[119:120], v[117:118]
	v_fma_f64 v[104:105], -v[98:99], v[100:101], 1.0
	v_fma_f64 v[100:101], v[100:101], v[104:105], v[100:101]
	v_mul_f64 v[104:105], v[102:103], v[100:101]
	v_fma_f64 v[98:99], -v[98:99], v[104:105], v[102:103]
	v_div_fmas_f64 v[98:99], v[98:99], v[100:101], v[104:105]
	v_div_fixup_f64 v[98:99], v[98:99], v[119:120], v[117:118]
	v_fma_f64 v[100:101], v[117:118], v[98:99], v[119:120]
	v_div_scale_f64 v[102:103], s[20:21], v[100:101], v[100:101], 1.0
	v_div_scale_f64 v[108:109], vcc, 1.0, v[100:101], 1.0
	v_rcp_f64_e32 v[104:105], v[102:103]
	v_fma_f64 v[106:107], -v[102:103], v[104:105], 1.0
	v_fma_f64 v[104:105], v[104:105], v[106:107], v[104:105]
	v_fma_f64 v[106:107], -v[102:103], v[104:105], 1.0
	v_fma_f64 v[104:105], v[104:105], v[106:107], v[104:105]
	v_mul_f64 v[106:107], v[108:109], v[104:105]
	v_fma_f64 v[102:103], -v[102:103], v[106:107], v[108:109]
	v_div_fmas_f64 v[102:103], v[102:103], v[104:105], v[106:107]
	v_div_fixup_f64 v[119:120], v[102:103], v[100:101], 1.0
	v_mul_f64 v[117:118], v[98:99], v[119:120]
	v_xor_b32_e32 v120, 0x80000000, v120
.LBB88_343:
	s_andn2_saveexec_b64 s[18:19], s[18:19]
	s_cbranch_execz .LBB88_345
; %bb.344:
	v_div_scale_f64 v[98:99], s[20:21], v[117:118], v[117:118], v[119:120]
	v_rcp_f64_e32 v[100:101], v[98:99]
	v_fma_f64 v[102:103], -v[98:99], v[100:101], 1.0
	v_fma_f64 v[100:101], v[100:101], v[102:103], v[100:101]
	v_div_scale_f64 v[102:103], vcc, v[119:120], v[117:118], v[119:120]
	v_fma_f64 v[104:105], -v[98:99], v[100:101], 1.0
	v_fma_f64 v[100:101], v[100:101], v[104:105], v[100:101]
	v_mul_f64 v[104:105], v[102:103], v[100:101]
	v_fma_f64 v[98:99], -v[98:99], v[104:105], v[102:103]
	v_div_fmas_f64 v[98:99], v[98:99], v[100:101], v[104:105]
	v_div_fixup_f64 v[98:99], v[98:99], v[117:118], v[119:120]
	v_fma_f64 v[100:101], v[119:120], v[98:99], v[117:118]
	v_div_scale_f64 v[102:103], s[20:21], v[100:101], v[100:101], 1.0
	v_div_scale_f64 v[108:109], vcc, 1.0, v[100:101], 1.0
	v_rcp_f64_e32 v[104:105], v[102:103]
	v_fma_f64 v[106:107], -v[102:103], v[104:105], 1.0
	v_fma_f64 v[104:105], v[104:105], v[106:107], v[104:105]
	v_fma_f64 v[106:107], -v[102:103], v[104:105], 1.0
	v_fma_f64 v[104:105], v[104:105], v[106:107], v[104:105]
	v_mul_f64 v[106:107], v[108:109], v[104:105]
	v_fma_f64 v[102:103], -v[102:103], v[106:107], v[108:109]
	v_div_fmas_f64 v[102:103], v[102:103], v[104:105], v[106:107]
	v_div_fixup_f64 v[117:118], v[102:103], v[100:101], 1.0
	v_mul_f64 v[119:120], v[98:99], -v[117:118]
.LBB88_345:
	s_or_b64 exec, exec, s[18:19]
.LBB88_346:
	s_or_b64 exec, exec, s[0:1]
	v_cmp_ne_u32_e32 vcc, v96, v97
	s_and_saveexec_b64 s[0:1], vcc
	s_xor_b64 s[0:1], exec, s[0:1]
	s_cbranch_execz .LBB88_352
; %bb.347:
	v_cmp_eq_u32_e32 vcc, 16, v96
	s_and_saveexec_b64 s[18:19], vcc
	s_cbranch_execz .LBB88_351
; %bb.348:
	v_cmp_ne_u32_e32 vcc, 16, v97
	s_xor_b64 s[20:21], s[6:7], -1
	s_and_b64 s[22:23], s[20:21], vcc
	s_and_saveexec_b64 s[20:21], s[22:23]
	s_cbranch_execz .LBB88_350
; %bb.349:
	buffer_load_dword v85, off, s[24:27], 0 offset:288 ; 4-byte Folded Reload
	buffer_load_dword v86, off, s[24:27], 0 offset:292 ; 4-byte Folded Reload
	v_ashrrev_i32_e32 v98, 31, v97
	v_lshlrev_b64 v[98:99], 2, v[97:98]
	s_waitcnt vmcnt(1)
	v_add_co_u32_e32 v98, vcc, v85, v98
	s_waitcnt vmcnt(0)
	v_addc_co_u32_e32 v99, vcc, v86, v99, vcc
	global_load_dword v0, v[98:99], off
	global_load_dword v96, v[85:86], off offset:64
	s_waitcnt vmcnt(1)
	global_store_dword v[85:86], v0, off offset:64
	s_waitcnt vmcnt(1)
	global_store_dword v[98:99], v96, off
.LBB88_350:
	s_or_b64 exec, exec, s[20:21]
	v_mov_b32_e32 v96, v97
	v_mov_b32_e32 v0, v97
.LBB88_351:
	s_or_b64 exec, exec, s[18:19]
.LBB88_352:
	s_andn2_saveexec_b64 s[0:1], s[0:1]
	s_cbranch_execz .LBB88_354
; %bb.353:
	buffer_load_dword v85, off, s[24:27], 0 offset:48 ; 4-byte Folded Reload
	buffer_load_dword v86, off, s[24:27], 0 offset:52 ; 4-byte Folded Reload
	buffer_load_dword v87, off, s[24:27], 0 offset:56 ; 4-byte Folded Reload
	buffer_load_dword v88, off, s[24:27], 0 offset:60 ; 4-byte Folded Reload
	v_mov_b32_e32 v96, 16
	s_waitcnt vmcnt(0)
	ds_write2_b64 v94, v[85:86], v[87:88] offset0:34 offset1:35
	buffer_load_dword v85, off, s[24:27], 0 offset:32 ; 4-byte Folded Reload
	buffer_load_dword v86, off, s[24:27], 0 offset:36 ; 4-byte Folded Reload
	;; [unrolled: 1-line block ×4, first 2 shown]
	s_waitcnt vmcnt(0)
	ds_write2_b64 v94, v[85:86], v[87:88] offset0:36 offset1:37
	buffer_load_dword v85, off, s[24:27], 0 offset:16 ; 4-byte Folded Reload
	buffer_load_dword v86, off, s[24:27], 0 offset:20 ; 4-byte Folded Reload
	;; [unrolled: 1-line block ×4, first 2 shown]
	s_waitcnt vmcnt(0)
	ds_write2_b64 v94, v[85:86], v[87:88] offset0:38 offset1:39
	buffer_load_dword v85, off, s[24:27], 0 ; 4-byte Folded Reload
	buffer_load_dword v86, off, s[24:27], 0 offset:4 ; 4-byte Folded Reload
	buffer_load_dword v87, off, s[24:27], 0 offset:8 ; 4-byte Folded Reload
	;; [unrolled: 1-line block ×3, first 2 shown]
	s_waitcnt vmcnt(0)
	ds_write2_b64 v94, v[85:86], v[87:88] offset0:40 offset1:41
	ds_write2_b64 v94, v[111:112], v[113:114] offset0:42 offset1:43
	;; [unrolled: 1-line block ×25, first 2 shown]
.LBB88_354:
	s_or_b64 exec, exec, s[0:1]
	v_cmp_lt_i32_e32 vcc, 16, v96
	s_waitcnt vmcnt(0) lgkmcnt(0)
	s_barrier
	s_and_saveexec_b64 s[0:1], vcc
	s_cbranch_execz .LBB88_356
; %bb.355:
	buffer_load_dword v107, off, s[24:27], 0 offset:64 ; 4-byte Folded Reload
	buffer_load_dword v108, off, s[24:27], 0 offset:68 ; 4-byte Folded Reload
	;; [unrolled: 1-line block ×4, first 2 shown]
	v_mov_b32_e32 v103, v111
	v_mov_b32_e32 v104, v112
	;; [unrolled: 1-line block ×4, first 2 shown]
	s_waitcnt vmcnt(0)
	v_mul_f64 v[97:98], v[119:120], v[109:110]
	v_fma_f64 v[113:114], v[117:118], v[107:108], -v[97:98]
	v_mul_f64 v[97:98], v[117:118], v[109:110]
	v_fma_f64 v[109:110], v[119:120], v[107:108], v[97:98]
	ds_read2_b64 v[97:100], v94 offset0:34 offset1:35
	buffer_load_dword v85, off, s[24:27], 0 offset:48 ; 4-byte Folded Reload
	buffer_load_dword v86, off, s[24:27], 0 offset:52 ; 4-byte Folded Reload
	;; [unrolled: 1-line block ×4, first 2 shown]
	v_mov_b32_e32 v107, v113
	v_mov_b32_e32 v108, v114
	s_waitcnt lgkmcnt(0)
	v_mul_f64 v[101:102], v[99:100], v[109:110]
	v_fma_f64 v[101:102], v[97:98], v[113:114], -v[101:102]
	v_mul_f64 v[97:98], v[97:98], v[109:110]
	v_fma_f64 v[97:98], v[99:100], v[113:114], v[97:98]
	s_waitcnt vmcnt(2)
	v_add_f64 v[85:86], v[85:86], -v[101:102]
	s_waitcnt vmcnt(0)
	v_add_f64 v[87:88], v[87:88], -v[97:98]
	buffer_store_dword v85, off, s[24:27], 0 offset:48 ; 4-byte Folded Spill
	s_nop 0
	buffer_store_dword v86, off, s[24:27], 0 offset:52 ; 4-byte Folded Spill
	buffer_store_dword v87, off, s[24:27], 0 offset:56 ; 4-byte Folded Spill
	;; [unrolled: 1-line block ×3, first 2 shown]
	ds_read2_b64 v[97:100], v94 offset0:36 offset1:37
	buffer_load_dword v85, off, s[24:27], 0 offset:32 ; 4-byte Folded Reload
	buffer_load_dword v86, off, s[24:27], 0 offset:36 ; 4-byte Folded Reload
	;; [unrolled: 1-line block ×4, first 2 shown]
	s_waitcnt lgkmcnt(0)
	v_mul_f64 v[101:102], v[99:100], v[109:110]
	v_fma_f64 v[101:102], v[97:98], v[113:114], -v[101:102]
	v_mul_f64 v[97:98], v[97:98], v[109:110]
	v_fma_f64 v[97:98], v[99:100], v[113:114], v[97:98]
	s_waitcnt vmcnt(2)
	v_add_f64 v[85:86], v[85:86], -v[101:102]
	s_waitcnt vmcnt(0)
	v_add_f64 v[87:88], v[87:88], -v[97:98]
	buffer_store_dword v85, off, s[24:27], 0 offset:32 ; 4-byte Folded Spill
	s_nop 0
	buffer_store_dword v86, off, s[24:27], 0 offset:36 ; 4-byte Folded Spill
	buffer_store_dword v87, off, s[24:27], 0 offset:40 ; 4-byte Folded Spill
	;; [unrolled: 1-line block ×3, first 2 shown]
	ds_read2_b64 v[97:100], v94 offset0:38 offset1:39
	buffer_load_dword v85, off, s[24:27], 0 offset:16 ; 4-byte Folded Reload
	buffer_load_dword v86, off, s[24:27], 0 offset:20 ; 4-byte Folded Reload
	;; [unrolled: 1-line block ×4, first 2 shown]
	s_waitcnt lgkmcnt(0)
	v_mul_f64 v[101:102], v[99:100], v[109:110]
	v_fma_f64 v[101:102], v[97:98], v[113:114], -v[101:102]
	v_mul_f64 v[97:98], v[97:98], v[109:110]
	v_fma_f64 v[97:98], v[99:100], v[113:114], v[97:98]
	s_waitcnt vmcnt(2)
	v_add_f64 v[85:86], v[85:86], -v[101:102]
	s_waitcnt vmcnt(0)
	v_add_f64 v[87:88], v[87:88], -v[97:98]
	buffer_store_dword v85, off, s[24:27], 0 offset:16 ; 4-byte Folded Spill
	s_nop 0
	buffer_store_dword v86, off, s[24:27], 0 offset:20 ; 4-byte Folded Spill
	buffer_store_dword v87, off, s[24:27], 0 offset:24 ; 4-byte Folded Spill
	;; [unrolled: 1-line block ×3, first 2 shown]
	ds_read2_b64 v[97:100], v94 offset0:40 offset1:41
	buffer_load_dword v85, off, s[24:27], 0 ; 4-byte Folded Reload
	buffer_load_dword v86, off, s[24:27], 0 offset:4 ; 4-byte Folded Reload
	buffer_load_dword v87, off, s[24:27], 0 offset:8 ; 4-byte Folded Reload
	;; [unrolled: 1-line block ×3, first 2 shown]
	s_waitcnt lgkmcnt(0)
	v_mul_f64 v[101:102], v[99:100], v[109:110]
	v_fma_f64 v[101:102], v[97:98], v[113:114], -v[101:102]
	v_mul_f64 v[97:98], v[97:98], v[109:110]
	v_fma_f64 v[97:98], v[99:100], v[113:114], v[97:98]
	s_waitcnt vmcnt(2)
	v_add_f64 v[85:86], v[85:86], -v[101:102]
	s_waitcnt vmcnt(0)
	v_add_f64 v[87:88], v[87:88], -v[97:98]
	buffer_store_dword v85, off, s[24:27], 0 ; 4-byte Folded Spill
	s_nop 0
	buffer_store_dword v86, off, s[24:27], 0 offset:4 ; 4-byte Folded Spill
	buffer_store_dword v87, off, s[24:27], 0 offset:8 ; 4-byte Folded Spill
	;; [unrolled: 1-line block ×3, first 2 shown]
	ds_read2_b64 v[97:100], v94 offset0:42 offset1:43
	s_waitcnt lgkmcnt(0)
	v_mul_f64 v[101:102], v[99:100], v[109:110]
	v_fma_f64 v[101:102], v[97:98], v[113:114], -v[101:102]
	v_mul_f64 v[97:98], v[97:98], v[109:110]
	v_add_f64 v[103:104], v[103:104], -v[101:102]
	v_fma_f64 v[97:98], v[99:100], v[113:114], v[97:98]
	v_add_f64 v[105:106], v[105:106], -v[97:98]
	ds_read2_b64 v[97:100], v94 offset0:44 offset1:45
	s_waitcnt lgkmcnt(0)
	v_mul_f64 v[101:102], v[99:100], v[109:110]
	v_fma_f64 v[101:102], v[97:98], v[113:114], -v[101:102]
	v_mul_f64 v[97:98], v[97:98], v[109:110]
	v_add_f64 v[89:90], v[89:90], -v[101:102]
	v_fma_f64 v[97:98], v[99:100], v[113:114], v[97:98]
	v_add_f64 v[91:92], v[91:92], -v[97:98]
	;; [unrolled: 8-line block ×23, first 2 shown]
	ds_read2_b64 v[97:100], v94 offset0:88 offset1:89
	s_waitcnt lgkmcnt(0)
	v_mul_f64 v[101:102], v[99:100], v[109:110]
	v_fma_f64 v[101:102], v[97:98], v[113:114], -v[101:102]
	v_mul_f64 v[97:98], v[97:98], v[109:110]
	buffer_store_dword v107, off, s[24:27], 0 offset:64 ; 4-byte Folded Spill
	s_nop 0
	buffer_store_dword v108, off, s[24:27], 0 offset:68 ; 4-byte Folded Spill
	buffer_store_dword v109, off, s[24:27], 0 offset:72 ; 4-byte Folded Spill
	buffer_store_dword v110, off, s[24:27], 0 offset:76 ; 4-byte Folded Spill
	v_add_f64 v[121:122], v[121:122], -v[101:102]
	v_fma_f64 v[97:98], v[99:100], v[113:114], v[97:98]
	v_mov_b32_e32 v114, v106
	v_mov_b32_e32 v113, v105
	;; [unrolled: 1-line block ×4, first 2 shown]
	v_add_f64 v[123:124], v[123:124], -v[97:98]
.LBB88_356:
	s_or_b64 exec, exec, s[0:1]
	s_waitcnt vmcnt(0)
	s_barrier
	buffer_load_dword v85, off, s[24:27], 0 offset:48 ; 4-byte Folded Reload
	buffer_load_dword v86, off, s[24:27], 0 offset:52 ; 4-byte Folded Reload
	;; [unrolled: 1-line block ×4, first 2 shown]
	v_lshl_add_u32 v97, v96, 4, v94
	s_cmp_lt_i32 s3, 19
	s_waitcnt vmcnt(0)
	ds_write2_b64 v97, v[85:86], v[87:88] offset1:1
	s_waitcnt lgkmcnt(0)
	s_barrier
	ds_read2_b64 v[117:120], v94 offset0:34 offset1:35
	v_mov_b32_e32 v97, 17
	s_cbranch_scc1 .LBB88_359
; %bb.357:
	v_add_u32_e32 v98, 0x120, v94
	s_mov_b32 s0, 18
	v_mov_b32_e32 v97, 17
.LBB88_358:                             ; =>This Inner Loop Header: Depth=1
	s_waitcnt lgkmcnt(0)
	v_cmp_gt_f64_e32 vcc, 0, v[117:118]
	v_xor_b32_e32 v103, 0x80000000, v118
	ds_read2_b64 v[99:102], v98 offset1:1
	v_xor_b32_e32 v105, 0x80000000, v120
	v_add_u32_e32 v98, 16, v98
	s_waitcnt lgkmcnt(0)
	v_xor_b32_e32 v107, 0x80000000, v102
	v_cndmask_b32_e32 v104, v118, v103, vcc
	v_cmp_gt_f64_e32 vcc, 0, v[119:120]
	v_mov_b32_e32 v103, v117
	v_cndmask_b32_e32 v106, v120, v105, vcc
	v_cmp_gt_f64_e32 vcc, 0, v[99:100]
	v_mov_b32_e32 v105, v119
	v_add_f64 v[103:104], v[103:104], v[105:106]
	v_xor_b32_e32 v105, 0x80000000, v100
	v_cndmask_b32_e32 v106, v100, v105, vcc
	v_cmp_gt_f64_e32 vcc, 0, v[101:102]
	v_mov_b32_e32 v105, v99
	v_cndmask_b32_e32 v108, v102, v107, vcc
	v_mov_b32_e32 v107, v101
	v_add_f64 v[105:106], v[105:106], v[107:108]
	v_cmp_lt_f64_e32 vcc, v[103:104], v[105:106]
	v_cndmask_b32_e32 v117, v117, v99, vcc
	v_mov_b32_e32 v99, s0
	s_add_i32 s0, s0, 1
	v_cndmask_b32_e32 v118, v118, v100, vcc
	v_cndmask_b32_e32 v120, v120, v102, vcc
	;; [unrolled: 1-line block ×4, first 2 shown]
	s_cmp_lg_u32 s3, s0
	s_cbranch_scc1 .LBB88_358
.LBB88_359:
	s_waitcnt lgkmcnt(0)
	v_cmp_eq_f64_e32 vcc, 0, v[117:118]
	v_cmp_eq_f64_e64 s[0:1], 0, v[119:120]
	s_and_b64 s[0:1], vcc, s[0:1]
	s_and_saveexec_b64 s[18:19], s[0:1]
	s_xor_b64 s[0:1], exec, s[18:19]
; %bb.360:
	v_cmp_ne_u32_e32 vcc, 0, v95
	v_cndmask_b32_e32 v95, 18, v95, vcc
; %bb.361:
	s_andn2_saveexec_b64 s[0:1], s[0:1]
	s_cbranch_execz .LBB88_367
; %bb.362:
	v_cmp_ngt_f64_e64 s[18:19], |v[117:118]|, |v[119:120]|
	s_and_saveexec_b64 s[20:21], s[18:19]
	s_xor_b64 s[18:19], exec, s[20:21]
	s_cbranch_execz .LBB88_364
; %bb.363:
	v_div_scale_f64 v[98:99], s[20:21], v[119:120], v[119:120], v[117:118]
	v_rcp_f64_e32 v[100:101], v[98:99]
	v_fma_f64 v[102:103], -v[98:99], v[100:101], 1.0
	v_fma_f64 v[100:101], v[100:101], v[102:103], v[100:101]
	v_div_scale_f64 v[102:103], vcc, v[117:118], v[119:120], v[117:118]
	v_fma_f64 v[104:105], -v[98:99], v[100:101], 1.0
	v_fma_f64 v[100:101], v[100:101], v[104:105], v[100:101]
	v_mul_f64 v[104:105], v[102:103], v[100:101]
	v_fma_f64 v[98:99], -v[98:99], v[104:105], v[102:103]
	v_div_fmas_f64 v[98:99], v[98:99], v[100:101], v[104:105]
	v_div_fixup_f64 v[98:99], v[98:99], v[119:120], v[117:118]
	v_fma_f64 v[100:101], v[117:118], v[98:99], v[119:120]
	v_div_scale_f64 v[102:103], s[20:21], v[100:101], v[100:101], 1.0
	v_div_scale_f64 v[108:109], vcc, 1.0, v[100:101], 1.0
	v_rcp_f64_e32 v[104:105], v[102:103]
	v_fma_f64 v[106:107], -v[102:103], v[104:105], 1.0
	v_fma_f64 v[104:105], v[104:105], v[106:107], v[104:105]
	v_fma_f64 v[106:107], -v[102:103], v[104:105], 1.0
	v_fma_f64 v[104:105], v[104:105], v[106:107], v[104:105]
	v_mul_f64 v[106:107], v[108:109], v[104:105]
	v_fma_f64 v[102:103], -v[102:103], v[106:107], v[108:109]
	v_div_fmas_f64 v[102:103], v[102:103], v[104:105], v[106:107]
	v_div_fixup_f64 v[119:120], v[102:103], v[100:101], 1.0
	v_mul_f64 v[117:118], v[98:99], v[119:120]
	v_xor_b32_e32 v120, 0x80000000, v120
.LBB88_364:
	s_andn2_saveexec_b64 s[18:19], s[18:19]
	s_cbranch_execz .LBB88_366
; %bb.365:
	v_div_scale_f64 v[98:99], s[20:21], v[117:118], v[117:118], v[119:120]
	v_rcp_f64_e32 v[100:101], v[98:99]
	v_fma_f64 v[102:103], -v[98:99], v[100:101], 1.0
	v_fma_f64 v[100:101], v[100:101], v[102:103], v[100:101]
	v_div_scale_f64 v[102:103], vcc, v[119:120], v[117:118], v[119:120]
	v_fma_f64 v[104:105], -v[98:99], v[100:101], 1.0
	v_fma_f64 v[100:101], v[100:101], v[104:105], v[100:101]
	v_mul_f64 v[104:105], v[102:103], v[100:101]
	v_fma_f64 v[98:99], -v[98:99], v[104:105], v[102:103]
	v_div_fmas_f64 v[98:99], v[98:99], v[100:101], v[104:105]
	v_div_fixup_f64 v[98:99], v[98:99], v[117:118], v[119:120]
	v_fma_f64 v[100:101], v[119:120], v[98:99], v[117:118]
	v_div_scale_f64 v[102:103], s[20:21], v[100:101], v[100:101], 1.0
	v_div_scale_f64 v[108:109], vcc, 1.0, v[100:101], 1.0
	v_rcp_f64_e32 v[104:105], v[102:103]
	v_fma_f64 v[106:107], -v[102:103], v[104:105], 1.0
	v_fma_f64 v[104:105], v[104:105], v[106:107], v[104:105]
	v_fma_f64 v[106:107], -v[102:103], v[104:105], 1.0
	v_fma_f64 v[104:105], v[104:105], v[106:107], v[104:105]
	v_mul_f64 v[106:107], v[108:109], v[104:105]
	v_fma_f64 v[102:103], -v[102:103], v[106:107], v[108:109]
	v_div_fmas_f64 v[102:103], v[102:103], v[104:105], v[106:107]
	v_div_fixup_f64 v[117:118], v[102:103], v[100:101], 1.0
	v_mul_f64 v[119:120], v[98:99], -v[117:118]
.LBB88_366:
	s_or_b64 exec, exec, s[18:19]
.LBB88_367:
	s_or_b64 exec, exec, s[0:1]
	v_cmp_ne_u32_e32 vcc, v96, v97
	s_and_saveexec_b64 s[0:1], vcc
	s_xor_b64 s[0:1], exec, s[0:1]
	s_cbranch_execz .LBB88_373
; %bb.368:
	v_cmp_eq_u32_e32 vcc, 17, v96
	s_and_saveexec_b64 s[18:19], vcc
	s_cbranch_execz .LBB88_372
; %bb.369:
	v_cmp_ne_u32_e32 vcc, 17, v97
	s_xor_b64 s[20:21], s[6:7], -1
	s_and_b64 s[22:23], s[20:21], vcc
	s_and_saveexec_b64 s[20:21], s[22:23]
	s_cbranch_execz .LBB88_371
; %bb.370:
	buffer_load_dword v85, off, s[24:27], 0 offset:288 ; 4-byte Folded Reload
	buffer_load_dword v86, off, s[24:27], 0 offset:292 ; 4-byte Folded Reload
	v_ashrrev_i32_e32 v98, 31, v97
	v_lshlrev_b64 v[98:99], 2, v[97:98]
	s_waitcnt vmcnt(1)
	v_add_co_u32_e32 v98, vcc, v85, v98
	s_waitcnt vmcnt(0)
	v_addc_co_u32_e32 v99, vcc, v86, v99, vcc
	global_load_dword v0, v[98:99], off
	global_load_dword v96, v[85:86], off offset:68
	s_waitcnt vmcnt(1)
	global_store_dword v[85:86], v0, off offset:68
	s_waitcnt vmcnt(1)
	global_store_dword v[98:99], v96, off
.LBB88_371:
	s_or_b64 exec, exec, s[20:21]
	v_mov_b32_e32 v96, v97
	v_mov_b32_e32 v0, v97
.LBB88_372:
	s_or_b64 exec, exec, s[18:19]
.LBB88_373:
	s_andn2_saveexec_b64 s[0:1], s[0:1]
	s_cbranch_execz .LBB88_375
; %bb.374:
	buffer_load_dword v85, off, s[24:27], 0 offset:32 ; 4-byte Folded Reload
	buffer_load_dword v86, off, s[24:27], 0 offset:36 ; 4-byte Folded Reload
	;; [unrolled: 1-line block ×4, first 2 shown]
	v_mov_b32_e32 v96, 17
	s_waitcnt vmcnt(0)
	ds_write2_b64 v94, v[85:86], v[87:88] offset0:36 offset1:37
	buffer_load_dword v85, off, s[24:27], 0 offset:16 ; 4-byte Folded Reload
	buffer_load_dword v86, off, s[24:27], 0 offset:20 ; 4-byte Folded Reload
	;; [unrolled: 1-line block ×4, first 2 shown]
	s_waitcnt vmcnt(0)
	ds_write2_b64 v94, v[85:86], v[87:88] offset0:38 offset1:39
	buffer_load_dword v85, off, s[24:27], 0 ; 4-byte Folded Reload
	buffer_load_dword v86, off, s[24:27], 0 offset:4 ; 4-byte Folded Reload
	buffer_load_dword v87, off, s[24:27], 0 offset:8 ; 4-byte Folded Reload
	;; [unrolled: 1-line block ×3, first 2 shown]
	s_waitcnt vmcnt(0)
	ds_write2_b64 v94, v[85:86], v[87:88] offset0:40 offset1:41
	ds_write2_b64 v94, v[111:112], v[113:114] offset0:42 offset1:43
	;; [unrolled: 1-line block ×25, first 2 shown]
.LBB88_375:
	s_or_b64 exec, exec, s[0:1]
	v_cmp_lt_i32_e32 vcc, 17, v96
	s_waitcnt vmcnt(0) lgkmcnt(0)
	s_barrier
	s_and_saveexec_b64 s[0:1], vcc
	s_cbranch_execz .LBB88_377
; %bb.376:
	buffer_load_dword v103, off, s[24:27], 0 offset:48 ; 4-byte Folded Reload
	buffer_load_dword v104, off, s[24:27], 0 offset:52 ; 4-byte Folded Reload
	;; [unrolled: 1-line block ×4, first 2 shown]
	s_waitcnt vmcnt(0)
	v_mul_f64 v[99:100], v[117:118], v[105:106]
	v_mul_f64 v[97:98], v[119:120], v[105:106]
	v_fma_f64 v[105:106], v[119:120], v[103:104], v[99:100]
	ds_read2_b64 v[99:102], v94 offset0:36 offset1:37
	buffer_load_dword v85, off, s[24:27], 0 offset:32 ; 4-byte Folded Reload
	buffer_load_dword v86, off, s[24:27], 0 offset:36 ; 4-byte Folded Reload
	;; [unrolled: 1-line block ×4, first 2 shown]
	v_fma_f64 v[97:98], v[117:118], v[103:104], -v[97:98]
	s_waitcnt lgkmcnt(0)
	v_mul_f64 v[103:104], v[101:102], v[105:106]
	v_fma_f64 v[103:104], v[99:100], v[97:98], -v[103:104]
	v_mul_f64 v[99:100], v[99:100], v[105:106]
	v_fma_f64 v[99:100], v[101:102], v[97:98], v[99:100]
	s_waitcnt vmcnt(2)
	v_add_f64 v[85:86], v[85:86], -v[103:104]
	s_waitcnt vmcnt(0)
	v_add_f64 v[87:88], v[87:88], -v[99:100]
	buffer_store_dword v85, off, s[24:27], 0 offset:32 ; 4-byte Folded Spill
	s_nop 0
	buffer_store_dword v86, off, s[24:27], 0 offset:36 ; 4-byte Folded Spill
	buffer_store_dword v87, off, s[24:27], 0 offset:40 ; 4-byte Folded Spill
	;; [unrolled: 1-line block ×3, first 2 shown]
	ds_read2_b64 v[99:102], v94 offset0:38 offset1:39
	buffer_load_dword v85, off, s[24:27], 0 offset:16 ; 4-byte Folded Reload
	buffer_load_dword v86, off, s[24:27], 0 offset:20 ; 4-byte Folded Reload
	;; [unrolled: 1-line block ×4, first 2 shown]
	s_waitcnt lgkmcnt(0)
	v_mul_f64 v[103:104], v[101:102], v[105:106]
	v_fma_f64 v[103:104], v[99:100], v[97:98], -v[103:104]
	v_mul_f64 v[99:100], v[99:100], v[105:106]
	v_fma_f64 v[99:100], v[101:102], v[97:98], v[99:100]
	s_waitcnt vmcnt(2)
	v_add_f64 v[85:86], v[85:86], -v[103:104]
	s_waitcnt vmcnt(0)
	v_add_f64 v[87:88], v[87:88], -v[99:100]
	buffer_store_dword v85, off, s[24:27], 0 offset:16 ; 4-byte Folded Spill
	s_nop 0
	buffer_store_dword v86, off, s[24:27], 0 offset:20 ; 4-byte Folded Spill
	buffer_store_dword v87, off, s[24:27], 0 offset:24 ; 4-byte Folded Spill
	;; [unrolled: 1-line block ×3, first 2 shown]
	ds_read2_b64 v[99:102], v94 offset0:40 offset1:41
	buffer_load_dword v85, off, s[24:27], 0 ; 4-byte Folded Reload
	buffer_load_dword v86, off, s[24:27], 0 offset:4 ; 4-byte Folded Reload
	buffer_load_dword v87, off, s[24:27], 0 offset:8 ; 4-byte Folded Reload
	;; [unrolled: 1-line block ×3, first 2 shown]
	s_waitcnt lgkmcnt(0)
	v_mul_f64 v[103:104], v[101:102], v[105:106]
	v_fma_f64 v[103:104], v[99:100], v[97:98], -v[103:104]
	v_mul_f64 v[99:100], v[99:100], v[105:106]
	v_fma_f64 v[99:100], v[101:102], v[97:98], v[99:100]
	s_waitcnt vmcnt(2)
	v_add_f64 v[85:86], v[85:86], -v[103:104]
	s_waitcnt vmcnt(0)
	v_add_f64 v[87:88], v[87:88], -v[99:100]
	buffer_store_dword v85, off, s[24:27], 0 ; 4-byte Folded Spill
	s_nop 0
	buffer_store_dword v86, off, s[24:27], 0 offset:4 ; 4-byte Folded Spill
	buffer_store_dword v87, off, s[24:27], 0 offset:8 ; 4-byte Folded Spill
	;; [unrolled: 1-line block ×3, first 2 shown]
	ds_read2_b64 v[99:102], v94 offset0:42 offset1:43
	s_waitcnt lgkmcnt(0)
	v_mul_f64 v[103:104], v[101:102], v[105:106]
	v_fma_f64 v[103:104], v[99:100], v[97:98], -v[103:104]
	v_mul_f64 v[99:100], v[99:100], v[105:106]
	v_add_f64 v[111:112], v[111:112], -v[103:104]
	v_fma_f64 v[99:100], v[101:102], v[97:98], v[99:100]
	v_add_f64 v[113:114], v[113:114], -v[99:100]
	ds_read2_b64 v[99:102], v94 offset0:44 offset1:45
	s_waitcnt lgkmcnt(0)
	v_mul_f64 v[103:104], v[101:102], v[105:106]
	v_fma_f64 v[103:104], v[99:100], v[97:98], -v[103:104]
	v_mul_f64 v[99:100], v[99:100], v[105:106]
	v_add_f64 v[89:90], v[89:90], -v[103:104]
	v_fma_f64 v[99:100], v[101:102], v[97:98], v[99:100]
	v_add_f64 v[91:92], v[91:92], -v[99:100]
	;; [unrolled: 8-line block ×23, first 2 shown]
	ds_read2_b64 v[99:102], v94 offset0:88 offset1:89
	s_waitcnt lgkmcnt(0)
	v_mul_f64 v[103:104], v[101:102], v[105:106]
	v_fma_f64 v[103:104], v[99:100], v[97:98], -v[103:104]
	v_mul_f64 v[99:100], v[99:100], v[105:106]
	v_add_f64 v[121:122], v[121:122], -v[103:104]
	v_fma_f64 v[99:100], v[101:102], v[97:98], v[99:100]
	v_mov_b32_e32 v104, v98
	v_mov_b32_e32 v103, v97
	buffer_store_dword v103, off, s[24:27], 0 offset:48 ; 4-byte Folded Spill
	s_nop 0
	buffer_store_dword v104, off, s[24:27], 0 offset:52 ; 4-byte Folded Spill
	buffer_store_dword v105, off, s[24:27], 0 offset:56 ; 4-byte Folded Spill
	;; [unrolled: 1-line block ×3, first 2 shown]
	v_add_f64 v[123:124], v[123:124], -v[99:100]
.LBB88_377:
	s_or_b64 exec, exec, s[0:1]
	s_waitcnt vmcnt(0)
	s_barrier
	buffer_load_dword v85, off, s[24:27], 0 offset:32 ; 4-byte Folded Reload
	buffer_load_dword v86, off, s[24:27], 0 offset:36 ; 4-byte Folded Reload
	;; [unrolled: 1-line block ×4, first 2 shown]
	v_lshl_add_u32 v97, v96, 4, v94
	s_cmp_lt_i32 s3, 20
	s_waitcnt vmcnt(0)
	ds_write2_b64 v97, v[85:86], v[87:88] offset1:1
	s_waitcnt lgkmcnt(0)
	s_barrier
	ds_read2_b64 v[117:120], v94 offset0:36 offset1:37
	v_mov_b32_e32 v97, 18
	s_cbranch_scc1 .LBB88_380
; %bb.378:
	v_add_u32_e32 v98, 0x130, v94
	s_mov_b32 s0, 19
	v_mov_b32_e32 v97, 18
.LBB88_379:                             ; =>This Inner Loop Header: Depth=1
	s_waitcnt lgkmcnt(0)
	v_cmp_gt_f64_e32 vcc, 0, v[117:118]
	v_xor_b32_e32 v103, 0x80000000, v118
	ds_read2_b64 v[99:102], v98 offset1:1
	v_xor_b32_e32 v105, 0x80000000, v120
	v_add_u32_e32 v98, 16, v98
	s_waitcnt lgkmcnt(0)
	v_xor_b32_e32 v107, 0x80000000, v102
	v_cndmask_b32_e32 v104, v118, v103, vcc
	v_cmp_gt_f64_e32 vcc, 0, v[119:120]
	v_mov_b32_e32 v103, v117
	v_cndmask_b32_e32 v106, v120, v105, vcc
	v_cmp_gt_f64_e32 vcc, 0, v[99:100]
	v_mov_b32_e32 v105, v119
	v_add_f64 v[103:104], v[103:104], v[105:106]
	v_xor_b32_e32 v105, 0x80000000, v100
	v_cndmask_b32_e32 v106, v100, v105, vcc
	v_cmp_gt_f64_e32 vcc, 0, v[101:102]
	v_mov_b32_e32 v105, v99
	v_cndmask_b32_e32 v108, v102, v107, vcc
	v_mov_b32_e32 v107, v101
	v_add_f64 v[105:106], v[105:106], v[107:108]
	v_cmp_lt_f64_e32 vcc, v[103:104], v[105:106]
	v_cndmask_b32_e32 v117, v117, v99, vcc
	v_mov_b32_e32 v99, s0
	s_add_i32 s0, s0, 1
	v_cndmask_b32_e32 v118, v118, v100, vcc
	v_cndmask_b32_e32 v120, v120, v102, vcc
	;; [unrolled: 1-line block ×4, first 2 shown]
	s_cmp_lg_u32 s3, s0
	s_cbranch_scc1 .LBB88_379
.LBB88_380:
	s_waitcnt lgkmcnt(0)
	v_cmp_eq_f64_e32 vcc, 0, v[117:118]
	v_cmp_eq_f64_e64 s[0:1], 0, v[119:120]
	s_and_b64 s[0:1], vcc, s[0:1]
	s_and_saveexec_b64 s[18:19], s[0:1]
	s_xor_b64 s[0:1], exec, s[18:19]
; %bb.381:
	v_cmp_ne_u32_e32 vcc, 0, v95
	v_cndmask_b32_e32 v95, 19, v95, vcc
; %bb.382:
	s_andn2_saveexec_b64 s[0:1], s[0:1]
	s_cbranch_execz .LBB88_388
; %bb.383:
	v_cmp_ngt_f64_e64 s[18:19], |v[117:118]|, |v[119:120]|
	s_and_saveexec_b64 s[20:21], s[18:19]
	s_xor_b64 s[18:19], exec, s[20:21]
	s_cbranch_execz .LBB88_385
; %bb.384:
	v_div_scale_f64 v[98:99], s[20:21], v[119:120], v[119:120], v[117:118]
	v_rcp_f64_e32 v[100:101], v[98:99]
	v_fma_f64 v[102:103], -v[98:99], v[100:101], 1.0
	v_fma_f64 v[100:101], v[100:101], v[102:103], v[100:101]
	v_div_scale_f64 v[102:103], vcc, v[117:118], v[119:120], v[117:118]
	v_fma_f64 v[104:105], -v[98:99], v[100:101], 1.0
	v_fma_f64 v[100:101], v[100:101], v[104:105], v[100:101]
	v_mul_f64 v[104:105], v[102:103], v[100:101]
	v_fma_f64 v[98:99], -v[98:99], v[104:105], v[102:103]
	v_div_fmas_f64 v[98:99], v[98:99], v[100:101], v[104:105]
	v_div_fixup_f64 v[98:99], v[98:99], v[119:120], v[117:118]
	v_fma_f64 v[100:101], v[117:118], v[98:99], v[119:120]
	v_div_scale_f64 v[102:103], s[20:21], v[100:101], v[100:101], 1.0
	v_div_scale_f64 v[108:109], vcc, 1.0, v[100:101], 1.0
	v_rcp_f64_e32 v[104:105], v[102:103]
	v_fma_f64 v[106:107], -v[102:103], v[104:105], 1.0
	v_fma_f64 v[104:105], v[104:105], v[106:107], v[104:105]
	v_fma_f64 v[106:107], -v[102:103], v[104:105], 1.0
	v_fma_f64 v[104:105], v[104:105], v[106:107], v[104:105]
	v_mul_f64 v[106:107], v[108:109], v[104:105]
	v_fma_f64 v[102:103], -v[102:103], v[106:107], v[108:109]
	v_div_fmas_f64 v[102:103], v[102:103], v[104:105], v[106:107]
	v_div_fixup_f64 v[119:120], v[102:103], v[100:101], 1.0
	v_mul_f64 v[117:118], v[98:99], v[119:120]
	v_xor_b32_e32 v120, 0x80000000, v120
.LBB88_385:
	s_andn2_saveexec_b64 s[18:19], s[18:19]
	s_cbranch_execz .LBB88_387
; %bb.386:
	v_div_scale_f64 v[98:99], s[20:21], v[117:118], v[117:118], v[119:120]
	v_rcp_f64_e32 v[100:101], v[98:99]
	v_fma_f64 v[102:103], -v[98:99], v[100:101], 1.0
	v_fma_f64 v[100:101], v[100:101], v[102:103], v[100:101]
	v_div_scale_f64 v[102:103], vcc, v[119:120], v[117:118], v[119:120]
	v_fma_f64 v[104:105], -v[98:99], v[100:101], 1.0
	v_fma_f64 v[100:101], v[100:101], v[104:105], v[100:101]
	v_mul_f64 v[104:105], v[102:103], v[100:101]
	v_fma_f64 v[98:99], -v[98:99], v[104:105], v[102:103]
	v_div_fmas_f64 v[98:99], v[98:99], v[100:101], v[104:105]
	v_div_fixup_f64 v[98:99], v[98:99], v[117:118], v[119:120]
	v_fma_f64 v[100:101], v[119:120], v[98:99], v[117:118]
	v_div_scale_f64 v[102:103], s[20:21], v[100:101], v[100:101], 1.0
	v_div_scale_f64 v[108:109], vcc, 1.0, v[100:101], 1.0
	v_rcp_f64_e32 v[104:105], v[102:103]
	v_fma_f64 v[106:107], -v[102:103], v[104:105], 1.0
	v_fma_f64 v[104:105], v[104:105], v[106:107], v[104:105]
	v_fma_f64 v[106:107], -v[102:103], v[104:105], 1.0
	v_fma_f64 v[104:105], v[104:105], v[106:107], v[104:105]
	v_mul_f64 v[106:107], v[108:109], v[104:105]
	v_fma_f64 v[102:103], -v[102:103], v[106:107], v[108:109]
	v_div_fmas_f64 v[102:103], v[102:103], v[104:105], v[106:107]
	v_div_fixup_f64 v[117:118], v[102:103], v[100:101], 1.0
	v_mul_f64 v[119:120], v[98:99], -v[117:118]
.LBB88_387:
	s_or_b64 exec, exec, s[18:19]
.LBB88_388:
	s_or_b64 exec, exec, s[0:1]
	v_cmp_ne_u32_e32 vcc, v96, v97
	s_and_saveexec_b64 s[0:1], vcc
	s_xor_b64 s[0:1], exec, s[0:1]
	s_cbranch_execz .LBB88_394
; %bb.389:
	v_cmp_eq_u32_e32 vcc, 18, v96
	s_and_saveexec_b64 s[18:19], vcc
	s_cbranch_execz .LBB88_393
; %bb.390:
	v_cmp_ne_u32_e32 vcc, 18, v97
	s_xor_b64 s[20:21], s[6:7], -1
	s_and_b64 s[22:23], s[20:21], vcc
	s_and_saveexec_b64 s[20:21], s[22:23]
	s_cbranch_execz .LBB88_392
; %bb.391:
	buffer_load_dword v85, off, s[24:27], 0 offset:288 ; 4-byte Folded Reload
	buffer_load_dword v86, off, s[24:27], 0 offset:292 ; 4-byte Folded Reload
	v_ashrrev_i32_e32 v98, 31, v97
	v_lshlrev_b64 v[98:99], 2, v[97:98]
	s_waitcnt vmcnt(1)
	v_add_co_u32_e32 v98, vcc, v85, v98
	s_waitcnt vmcnt(0)
	v_addc_co_u32_e32 v99, vcc, v86, v99, vcc
	global_load_dword v0, v[98:99], off
	global_load_dword v96, v[85:86], off offset:72
	s_waitcnt vmcnt(1)
	global_store_dword v[85:86], v0, off offset:72
	s_waitcnt vmcnt(1)
	global_store_dword v[98:99], v96, off
.LBB88_392:
	s_or_b64 exec, exec, s[20:21]
	v_mov_b32_e32 v96, v97
	v_mov_b32_e32 v0, v97
.LBB88_393:
	s_or_b64 exec, exec, s[18:19]
.LBB88_394:
	s_andn2_saveexec_b64 s[0:1], s[0:1]
	s_cbranch_execz .LBB88_396
; %bb.395:
	buffer_load_dword v85, off, s[24:27], 0 offset:16 ; 4-byte Folded Reload
	buffer_load_dword v86, off, s[24:27], 0 offset:20 ; 4-byte Folded Reload
	;; [unrolled: 1-line block ×4, first 2 shown]
	v_mov_b32_e32 v96, 18
	s_waitcnt vmcnt(0)
	ds_write2_b64 v94, v[85:86], v[87:88] offset0:38 offset1:39
	buffer_load_dword v85, off, s[24:27], 0 ; 4-byte Folded Reload
	buffer_load_dword v86, off, s[24:27], 0 offset:4 ; 4-byte Folded Reload
	buffer_load_dword v87, off, s[24:27], 0 offset:8 ; 4-byte Folded Reload
	;; [unrolled: 1-line block ×3, first 2 shown]
	s_waitcnt vmcnt(0)
	ds_write2_b64 v94, v[85:86], v[87:88] offset0:40 offset1:41
	ds_write2_b64 v94, v[111:112], v[113:114] offset0:42 offset1:43
	;; [unrolled: 1-line block ×25, first 2 shown]
.LBB88_396:
	s_or_b64 exec, exec, s[0:1]
	v_cmp_lt_i32_e32 vcc, 18, v96
	s_waitcnt vmcnt(0) lgkmcnt(0)
	s_barrier
	s_and_saveexec_b64 s[0:1], vcc
	s_cbranch_execz .LBB88_398
; %bb.397:
	buffer_load_dword v103, off, s[24:27], 0 offset:32 ; 4-byte Folded Reload
	buffer_load_dword v104, off, s[24:27], 0 offset:36 ; 4-byte Folded Reload
	;; [unrolled: 1-line block ×4, first 2 shown]
	s_waitcnt vmcnt(0)
	v_mul_f64 v[99:100], v[117:118], v[105:106]
	v_mul_f64 v[97:98], v[119:120], v[105:106]
	v_fma_f64 v[105:106], v[119:120], v[103:104], v[99:100]
	ds_read2_b64 v[99:102], v94 offset0:38 offset1:39
	buffer_load_dword v85, off, s[24:27], 0 offset:16 ; 4-byte Folded Reload
	buffer_load_dword v86, off, s[24:27], 0 offset:20 ; 4-byte Folded Reload
	buffer_load_dword v87, off, s[24:27], 0 offset:24 ; 4-byte Folded Reload
	buffer_load_dword v88, off, s[24:27], 0 offset:28 ; 4-byte Folded Reload
	v_fma_f64 v[97:98], v[117:118], v[103:104], -v[97:98]
	s_waitcnt lgkmcnt(0)
	v_mul_f64 v[103:104], v[101:102], v[105:106]
	v_fma_f64 v[103:104], v[99:100], v[97:98], -v[103:104]
	v_mul_f64 v[99:100], v[99:100], v[105:106]
	v_fma_f64 v[99:100], v[101:102], v[97:98], v[99:100]
	s_waitcnt vmcnt(2)
	v_add_f64 v[85:86], v[85:86], -v[103:104]
	s_waitcnt vmcnt(0)
	v_add_f64 v[87:88], v[87:88], -v[99:100]
	buffer_store_dword v85, off, s[24:27], 0 offset:16 ; 4-byte Folded Spill
	s_nop 0
	buffer_store_dword v86, off, s[24:27], 0 offset:20 ; 4-byte Folded Spill
	buffer_store_dword v87, off, s[24:27], 0 offset:24 ; 4-byte Folded Spill
	;; [unrolled: 1-line block ×3, first 2 shown]
	ds_read2_b64 v[99:102], v94 offset0:40 offset1:41
	buffer_load_dword v85, off, s[24:27], 0 ; 4-byte Folded Reload
	buffer_load_dword v86, off, s[24:27], 0 offset:4 ; 4-byte Folded Reload
	buffer_load_dword v87, off, s[24:27], 0 offset:8 ; 4-byte Folded Reload
	;; [unrolled: 1-line block ×3, first 2 shown]
	s_waitcnt lgkmcnt(0)
	v_mul_f64 v[103:104], v[101:102], v[105:106]
	v_fma_f64 v[103:104], v[99:100], v[97:98], -v[103:104]
	v_mul_f64 v[99:100], v[99:100], v[105:106]
	v_fma_f64 v[99:100], v[101:102], v[97:98], v[99:100]
	s_waitcnt vmcnt(2)
	v_add_f64 v[85:86], v[85:86], -v[103:104]
	s_waitcnt vmcnt(0)
	v_add_f64 v[87:88], v[87:88], -v[99:100]
	buffer_store_dword v85, off, s[24:27], 0 ; 4-byte Folded Spill
	s_nop 0
	buffer_store_dword v86, off, s[24:27], 0 offset:4 ; 4-byte Folded Spill
	buffer_store_dword v87, off, s[24:27], 0 offset:8 ; 4-byte Folded Spill
	buffer_store_dword v88, off, s[24:27], 0 offset:12 ; 4-byte Folded Spill
	ds_read2_b64 v[99:102], v94 offset0:42 offset1:43
	s_waitcnt lgkmcnt(0)
	v_mul_f64 v[103:104], v[101:102], v[105:106]
	v_fma_f64 v[103:104], v[99:100], v[97:98], -v[103:104]
	v_mul_f64 v[99:100], v[99:100], v[105:106]
	v_add_f64 v[111:112], v[111:112], -v[103:104]
	v_fma_f64 v[99:100], v[101:102], v[97:98], v[99:100]
	v_add_f64 v[113:114], v[113:114], -v[99:100]
	ds_read2_b64 v[99:102], v94 offset0:44 offset1:45
	s_waitcnt lgkmcnt(0)
	v_mul_f64 v[103:104], v[101:102], v[105:106]
	v_fma_f64 v[103:104], v[99:100], v[97:98], -v[103:104]
	v_mul_f64 v[99:100], v[99:100], v[105:106]
	v_add_f64 v[89:90], v[89:90], -v[103:104]
	v_fma_f64 v[99:100], v[101:102], v[97:98], v[99:100]
	v_add_f64 v[91:92], v[91:92], -v[99:100]
	;; [unrolled: 8-line block ×23, first 2 shown]
	ds_read2_b64 v[99:102], v94 offset0:88 offset1:89
	s_waitcnt lgkmcnt(0)
	v_mul_f64 v[103:104], v[101:102], v[105:106]
	v_fma_f64 v[103:104], v[99:100], v[97:98], -v[103:104]
	v_mul_f64 v[99:100], v[99:100], v[105:106]
	v_add_f64 v[121:122], v[121:122], -v[103:104]
	v_fma_f64 v[99:100], v[101:102], v[97:98], v[99:100]
	v_mov_b32_e32 v104, v98
	v_mov_b32_e32 v103, v97
	buffer_store_dword v103, off, s[24:27], 0 offset:32 ; 4-byte Folded Spill
	s_nop 0
	buffer_store_dword v104, off, s[24:27], 0 offset:36 ; 4-byte Folded Spill
	buffer_store_dword v105, off, s[24:27], 0 offset:40 ; 4-byte Folded Spill
	;; [unrolled: 1-line block ×3, first 2 shown]
	v_add_f64 v[123:124], v[123:124], -v[99:100]
.LBB88_398:
	s_or_b64 exec, exec, s[0:1]
	s_waitcnt vmcnt(0)
	s_barrier
	buffer_load_dword v85, off, s[24:27], 0 offset:16 ; 4-byte Folded Reload
	buffer_load_dword v86, off, s[24:27], 0 offset:20 ; 4-byte Folded Reload
	;; [unrolled: 1-line block ×4, first 2 shown]
	v_lshl_add_u32 v97, v96, 4, v94
	s_cmp_lt_i32 s3, 21
	s_waitcnt vmcnt(0)
	ds_write2_b64 v97, v[85:86], v[87:88] offset1:1
	s_waitcnt lgkmcnt(0)
	s_barrier
	ds_read2_b64 v[117:120], v94 offset0:38 offset1:39
	v_mov_b32_e32 v97, 19
	s_cbranch_scc1 .LBB88_401
; %bb.399:
	v_add_u32_e32 v98, 0x140, v94
	s_mov_b32 s0, 20
	v_mov_b32_e32 v97, 19
.LBB88_400:                             ; =>This Inner Loop Header: Depth=1
	s_waitcnt lgkmcnt(0)
	v_cmp_gt_f64_e32 vcc, 0, v[117:118]
	v_xor_b32_e32 v103, 0x80000000, v118
	ds_read2_b64 v[99:102], v98 offset1:1
	v_xor_b32_e32 v105, 0x80000000, v120
	v_add_u32_e32 v98, 16, v98
	s_waitcnt lgkmcnt(0)
	v_xor_b32_e32 v107, 0x80000000, v102
	v_cndmask_b32_e32 v104, v118, v103, vcc
	v_cmp_gt_f64_e32 vcc, 0, v[119:120]
	v_mov_b32_e32 v103, v117
	v_cndmask_b32_e32 v106, v120, v105, vcc
	v_cmp_gt_f64_e32 vcc, 0, v[99:100]
	v_mov_b32_e32 v105, v119
	v_add_f64 v[103:104], v[103:104], v[105:106]
	v_xor_b32_e32 v105, 0x80000000, v100
	v_cndmask_b32_e32 v106, v100, v105, vcc
	v_cmp_gt_f64_e32 vcc, 0, v[101:102]
	v_mov_b32_e32 v105, v99
	v_cndmask_b32_e32 v108, v102, v107, vcc
	v_mov_b32_e32 v107, v101
	v_add_f64 v[105:106], v[105:106], v[107:108]
	v_cmp_lt_f64_e32 vcc, v[103:104], v[105:106]
	v_cndmask_b32_e32 v117, v117, v99, vcc
	v_mov_b32_e32 v99, s0
	s_add_i32 s0, s0, 1
	v_cndmask_b32_e32 v118, v118, v100, vcc
	v_cndmask_b32_e32 v120, v120, v102, vcc
	;; [unrolled: 1-line block ×4, first 2 shown]
	s_cmp_lg_u32 s3, s0
	s_cbranch_scc1 .LBB88_400
.LBB88_401:
	s_waitcnt lgkmcnt(0)
	v_cmp_eq_f64_e32 vcc, 0, v[117:118]
	v_cmp_eq_f64_e64 s[0:1], 0, v[119:120]
	s_and_b64 s[0:1], vcc, s[0:1]
	s_and_saveexec_b64 s[18:19], s[0:1]
	s_xor_b64 s[0:1], exec, s[18:19]
; %bb.402:
	v_cmp_ne_u32_e32 vcc, 0, v95
	v_cndmask_b32_e32 v95, 20, v95, vcc
; %bb.403:
	s_andn2_saveexec_b64 s[0:1], s[0:1]
	s_cbranch_execz .LBB88_409
; %bb.404:
	v_cmp_ngt_f64_e64 s[18:19], |v[117:118]|, |v[119:120]|
	s_and_saveexec_b64 s[20:21], s[18:19]
	s_xor_b64 s[18:19], exec, s[20:21]
	s_cbranch_execz .LBB88_406
; %bb.405:
	v_div_scale_f64 v[98:99], s[20:21], v[119:120], v[119:120], v[117:118]
	v_rcp_f64_e32 v[100:101], v[98:99]
	v_fma_f64 v[102:103], -v[98:99], v[100:101], 1.0
	v_fma_f64 v[100:101], v[100:101], v[102:103], v[100:101]
	v_div_scale_f64 v[102:103], vcc, v[117:118], v[119:120], v[117:118]
	v_fma_f64 v[104:105], -v[98:99], v[100:101], 1.0
	v_fma_f64 v[100:101], v[100:101], v[104:105], v[100:101]
	v_mul_f64 v[104:105], v[102:103], v[100:101]
	v_fma_f64 v[98:99], -v[98:99], v[104:105], v[102:103]
	v_div_fmas_f64 v[98:99], v[98:99], v[100:101], v[104:105]
	v_div_fixup_f64 v[98:99], v[98:99], v[119:120], v[117:118]
	v_fma_f64 v[100:101], v[117:118], v[98:99], v[119:120]
	v_div_scale_f64 v[102:103], s[20:21], v[100:101], v[100:101], 1.0
	v_div_scale_f64 v[108:109], vcc, 1.0, v[100:101], 1.0
	v_rcp_f64_e32 v[104:105], v[102:103]
	v_fma_f64 v[106:107], -v[102:103], v[104:105], 1.0
	v_fma_f64 v[104:105], v[104:105], v[106:107], v[104:105]
	v_fma_f64 v[106:107], -v[102:103], v[104:105], 1.0
	v_fma_f64 v[104:105], v[104:105], v[106:107], v[104:105]
	v_mul_f64 v[106:107], v[108:109], v[104:105]
	v_fma_f64 v[102:103], -v[102:103], v[106:107], v[108:109]
	v_div_fmas_f64 v[102:103], v[102:103], v[104:105], v[106:107]
	v_div_fixup_f64 v[119:120], v[102:103], v[100:101], 1.0
	v_mul_f64 v[117:118], v[98:99], v[119:120]
	v_xor_b32_e32 v120, 0x80000000, v120
.LBB88_406:
	s_andn2_saveexec_b64 s[18:19], s[18:19]
	s_cbranch_execz .LBB88_408
; %bb.407:
	v_div_scale_f64 v[98:99], s[20:21], v[117:118], v[117:118], v[119:120]
	v_rcp_f64_e32 v[100:101], v[98:99]
	v_fma_f64 v[102:103], -v[98:99], v[100:101], 1.0
	v_fma_f64 v[100:101], v[100:101], v[102:103], v[100:101]
	v_div_scale_f64 v[102:103], vcc, v[119:120], v[117:118], v[119:120]
	v_fma_f64 v[104:105], -v[98:99], v[100:101], 1.0
	v_fma_f64 v[100:101], v[100:101], v[104:105], v[100:101]
	v_mul_f64 v[104:105], v[102:103], v[100:101]
	v_fma_f64 v[98:99], -v[98:99], v[104:105], v[102:103]
	v_div_fmas_f64 v[98:99], v[98:99], v[100:101], v[104:105]
	v_div_fixup_f64 v[98:99], v[98:99], v[117:118], v[119:120]
	v_fma_f64 v[100:101], v[119:120], v[98:99], v[117:118]
	v_div_scale_f64 v[102:103], s[20:21], v[100:101], v[100:101], 1.0
	v_div_scale_f64 v[108:109], vcc, 1.0, v[100:101], 1.0
	v_rcp_f64_e32 v[104:105], v[102:103]
	v_fma_f64 v[106:107], -v[102:103], v[104:105], 1.0
	v_fma_f64 v[104:105], v[104:105], v[106:107], v[104:105]
	v_fma_f64 v[106:107], -v[102:103], v[104:105], 1.0
	v_fma_f64 v[104:105], v[104:105], v[106:107], v[104:105]
	v_mul_f64 v[106:107], v[108:109], v[104:105]
	v_fma_f64 v[102:103], -v[102:103], v[106:107], v[108:109]
	v_div_fmas_f64 v[102:103], v[102:103], v[104:105], v[106:107]
	v_div_fixup_f64 v[117:118], v[102:103], v[100:101], 1.0
	v_mul_f64 v[119:120], v[98:99], -v[117:118]
.LBB88_408:
	s_or_b64 exec, exec, s[18:19]
.LBB88_409:
	s_or_b64 exec, exec, s[0:1]
	v_cmp_ne_u32_e32 vcc, v96, v97
	s_and_saveexec_b64 s[0:1], vcc
	s_xor_b64 s[0:1], exec, s[0:1]
	s_cbranch_execz .LBB88_415
; %bb.410:
	v_cmp_eq_u32_e32 vcc, 19, v96
	s_and_saveexec_b64 s[18:19], vcc
	s_cbranch_execz .LBB88_414
; %bb.411:
	v_cmp_ne_u32_e32 vcc, 19, v97
	s_xor_b64 s[20:21], s[6:7], -1
	s_and_b64 s[22:23], s[20:21], vcc
	s_and_saveexec_b64 s[20:21], s[22:23]
	s_cbranch_execz .LBB88_413
; %bb.412:
	buffer_load_dword v85, off, s[24:27], 0 offset:288 ; 4-byte Folded Reload
	buffer_load_dword v86, off, s[24:27], 0 offset:292 ; 4-byte Folded Reload
	v_ashrrev_i32_e32 v98, 31, v97
	v_lshlrev_b64 v[98:99], 2, v[97:98]
	s_waitcnt vmcnt(1)
	v_add_co_u32_e32 v98, vcc, v85, v98
	s_waitcnt vmcnt(0)
	v_addc_co_u32_e32 v99, vcc, v86, v99, vcc
	global_load_dword v0, v[98:99], off
	global_load_dword v96, v[85:86], off offset:76
	s_waitcnt vmcnt(1)
	global_store_dword v[85:86], v0, off offset:76
	s_waitcnt vmcnt(1)
	global_store_dword v[98:99], v96, off
.LBB88_413:
	s_or_b64 exec, exec, s[20:21]
	v_mov_b32_e32 v96, v97
	v_mov_b32_e32 v0, v97
.LBB88_414:
	s_or_b64 exec, exec, s[18:19]
.LBB88_415:
	s_andn2_saveexec_b64 s[0:1], s[0:1]
	s_cbranch_execz .LBB88_417
; %bb.416:
	buffer_load_dword v85, off, s[24:27], 0 ; 4-byte Folded Reload
	buffer_load_dword v86, off, s[24:27], 0 offset:4 ; 4-byte Folded Reload
	buffer_load_dword v87, off, s[24:27], 0 offset:8 ; 4-byte Folded Reload
	;; [unrolled: 1-line block ×3, first 2 shown]
	v_mov_b32_e32 v96, 19
	s_waitcnt vmcnt(0)
	ds_write2_b64 v94, v[85:86], v[87:88] offset0:40 offset1:41
	ds_write2_b64 v94, v[111:112], v[113:114] offset0:42 offset1:43
	;; [unrolled: 1-line block ×25, first 2 shown]
.LBB88_417:
	s_or_b64 exec, exec, s[0:1]
	v_cmp_lt_i32_e32 vcc, 19, v96
	s_waitcnt vmcnt(0) lgkmcnt(0)
	s_barrier
	s_and_saveexec_b64 s[0:1], vcc
	s_cbranch_execz .LBB88_419
; %bb.418:
	buffer_load_dword v103, off, s[24:27], 0 offset:16 ; 4-byte Folded Reload
	buffer_load_dword v104, off, s[24:27], 0 offset:20 ; 4-byte Folded Reload
	;; [unrolled: 1-line block ×4, first 2 shown]
	s_waitcnt vmcnt(0)
	v_mul_f64 v[99:100], v[117:118], v[105:106]
	v_mul_f64 v[97:98], v[119:120], v[105:106]
	v_fma_f64 v[105:106], v[119:120], v[103:104], v[99:100]
	ds_read2_b64 v[99:102], v94 offset0:40 offset1:41
	buffer_load_dword v85, off, s[24:27], 0 ; 4-byte Folded Reload
	buffer_load_dword v86, off, s[24:27], 0 offset:4 ; 4-byte Folded Reload
	buffer_load_dword v87, off, s[24:27], 0 offset:8 ; 4-byte Folded Reload
	;; [unrolled: 1-line block ×3, first 2 shown]
	v_fma_f64 v[97:98], v[117:118], v[103:104], -v[97:98]
	s_waitcnt lgkmcnt(0)
	v_mul_f64 v[103:104], v[101:102], v[105:106]
	v_fma_f64 v[103:104], v[99:100], v[97:98], -v[103:104]
	v_mul_f64 v[99:100], v[99:100], v[105:106]
	v_fma_f64 v[99:100], v[101:102], v[97:98], v[99:100]
	s_waitcnt vmcnt(2)
	v_add_f64 v[85:86], v[85:86], -v[103:104]
	s_waitcnt vmcnt(0)
	v_add_f64 v[87:88], v[87:88], -v[99:100]
	buffer_store_dword v85, off, s[24:27], 0 ; 4-byte Folded Spill
	s_nop 0
	buffer_store_dword v86, off, s[24:27], 0 offset:4 ; 4-byte Folded Spill
	buffer_store_dword v87, off, s[24:27], 0 offset:8 ; 4-byte Folded Spill
	;; [unrolled: 1-line block ×3, first 2 shown]
	ds_read2_b64 v[99:102], v94 offset0:42 offset1:43
	s_waitcnt lgkmcnt(0)
	v_mul_f64 v[103:104], v[101:102], v[105:106]
	v_fma_f64 v[103:104], v[99:100], v[97:98], -v[103:104]
	v_mul_f64 v[99:100], v[99:100], v[105:106]
	v_add_f64 v[111:112], v[111:112], -v[103:104]
	v_fma_f64 v[99:100], v[101:102], v[97:98], v[99:100]
	v_add_f64 v[113:114], v[113:114], -v[99:100]
	ds_read2_b64 v[99:102], v94 offset0:44 offset1:45
	s_waitcnt lgkmcnt(0)
	v_mul_f64 v[103:104], v[101:102], v[105:106]
	v_fma_f64 v[103:104], v[99:100], v[97:98], -v[103:104]
	v_mul_f64 v[99:100], v[99:100], v[105:106]
	v_add_f64 v[89:90], v[89:90], -v[103:104]
	v_fma_f64 v[99:100], v[101:102], v[97:98], v[99:100]
	v_add_f64 v[91:92], v[91:92], -v[99:100]
	;; [unrolled: 8-line block ×23, first 2 shown]
	ds_read2_b64 v[99:102], v94 offset0:88 offset1:89
	s_waitcnt lgkmcnt(0)
	v_mul_f64 v[103:104], v[101:102], v[105:106]
	v_fma_f64 v[103:104], v[99:100], v[97:98], -v[103:104]
	v_mul_f64 v[99:100], v[99:100], v[105:106]
	v_add_f64 v[121:122], v[121:122], -v[103:104]
	v_fma_f64 v[99:100], v[101:102], v[97:98], v[99:100]
	v_mov_b32_e32 v104, v98
	v_mov_b32_e32 v103, v97
	buffer_store_dword v103, off, s[24:27], 0 offset:16 ; 4-byte Folded Spill
	s_nop 0
	buffer_store_dword v104, off, s[24:27], 0 offset:20 ; 4-byte Folded Spill
	buffer_store_dword v105, off, s[24:27], 0 offset:24 ; 4-byte Folded Spill
	;; [unrolled: 1-line block ×3, first 2 shown]
	v_add_f64 v[123:124], v[123:124], -v[99:100]
.LBB88_419:
	s_or_b64 exec, exec, s[0:1]
	s_waitcnt vmcnt(0)
	s_barrier
	buffer_load_dword v85, off, s[24:27], 0 ; 4-byte Folded Reload
	buffer_load_dword v86, off, s[24:27], 0 offset:4 ; 4-byte Folded Reload
	buffer_load_dword v87, off, s[24:27], 0 offset:8 ; 4-byte Folded Reload
	;; [unrolled: 1-line block ×3, first 2 shown]
	v_lshl_add_u32 v97, v96, 4, v94
	s_cmp_lt_i32 s3, 22
	s_waitcnt vmcnt(0)
	ds_write2_b64 v97, v[85:86], v[87:88] offset1:1
	s_waitcnt lgkmcnt(0)
	s_barrier
	ds_read2_b64 v[117:120], v94 offset0:40 offset1:41
	v_mov_b32_e32 v97, 20
	s_cbranch_scc1 .LBB88_422
; %bb.420:
	v_add_u32_e32 v98, 0x150, v94
	s_mov_b32 s0, 21
	v_mov_b32_e32 v97, 20
.LBB88_421:                             ; =>This Inner Loop Header: Depth=1
	s_waitcnt lgkmcnt(0)
	v_cmp_gt_f64_e32 vcc, 0, v[117:118]
	v_xor_b32_e32 v103, 0x80000000, v118
	ds_read2_b64 v[99:102], v98 offset1:1
	v_xor_b32_e32 v105, 0x80000000, v120
	v_add_u32_e32 v98, 16, v98
	s_waitcnt lgkmcnt(0)
	v_xor_b32_e32 v107, 0x80000000, v102
	v_cndmask_b32_e32 v104, v118, v103, vcc
	v_cmp_gt_f64_e32 vcc, 0, v[119:120]
	v_mov_b32_e32 v103, v117
	v_cndmask_b32_e32 v106, v120, v105, vcc
	v_cmp_gt_f64_e32 vcc, 0, v[99:100]
	v_mov_b32_e32 v105, v119
	v_add_f64 v[103:104], v[103:104], v[105:106]
	v_xor_b32_e32 v105, 0x80000000, v100
	v_cndmask_b32_e32 v106, v100, v105, vcc
	v_cmp_gt_f64_e32 vcc, 0, v[101:102]
	v_mov_b32_e32 v105, v99
	v_cndmask_b32_e32 v108, v102, v107, vcc
	v_mov_b32_e32 v107, v101
	v_add_f64 v[105:106], v[105:106], v[107:108]
	v_cmp_lt_f64_e32 vcc, v[103:104], v[105:106]
	v_cndmask_b32_e32 v117, v117, v99, vcc
	v_mov_b32_e32 v99, s0
	s_add_i32 s0, s0, 1
	v_cndmask_b32_e32 v118, v118, v100, vcc
	v_cndmask_b32_e32 v120, v120, v102, vcc
	;; [unrolled: 1-line block ×4, first 2 shown]
	s_cmp_lg_u32 s3, s0
	s_cbranch_scc1 .LBB88_421
.LBB88_422:
	s_waitcnt lgkmcnt(0)
	v_cmp_eq_f64_e32 vcc, 0, v[117:118]
	v_cmp_eq_f64_e64 s[0:1], 0, v[119:120]
	s_and_b64 s[0:1], vcc, s[0:1]
	s_and_saveexec_b64 s[18:19], s[0:1]
	s_xor_b64 s[0:1], exec, s[18:19]
; %bb.423:
	v_cmp_ne_u32_e32 vcc, 0, v95
	v_cndmask_b32_e32 v95, 21, v95, vcc
; %bb.424:
	s_andn2_saveexec_b64 s[0:1], s[0:1]
	s_cbranch_execz .LBB88_430
; %bb.425:
	v_cmp_ngt_f64_e64 s[18:19], |v[117:118]|, |v[119:120]|
	s_and_saveexec_b64 s[20:21], s[18:19]
	s_xor_b64 s[18:19], exec, s[20:21]
	s_cbranch_execz .LBB88_427
; %bb.426:
	v_div_scale_f64 v[98:99], s[20:21], v[119:120], v[119:120], v[117:118]
	v_rcp_f64_e32 v[100:101], v[98:99]
	v_fma_f64 v[102:103], -v[98:99], v[100:101], 1.0
	v_fma_f64 v[100:101], v[100:101], v[102:103], v[100:101]
	v_div_scale_f64 v[102:103], vcc, v[117:118], v[119:120], v[117:118]
	v_fma_f64 v[104:105], -v[98:99], v[100:101], 1.0
	v_fma_f64 v[100:101], v[100:101], v[104:105], v[100:101]
	v_mul_f64 v[104:105], v[102:103], v[100:101]
	v_fma_f64 v[98:99], -v[98:99], v[104:105], v[102:103]
	v_div_fmas_f64 v[98:99], v[98:99], v[100:101], v[104:105]
	v_div_fixup_f64 v[98:99], v[98:99], v[119:120], v[117:118]
	v_fma_f64 v[100:101], v[117:118], v[98:99], v[119:120]
	v_div_scale_f64 v[102:103], s[20:21], v[100:101], v[100:101], 1.0
	v_div_scale_f64 v[108:109], vcc, 1.0, v[100:101], 1.0
	v_rcp_f64_e32 v[104:105], v[102:103]
	v_fma_f64 v[106:107], -v[102:103], v[104:105], 1.0
	v_fma_f64 v[104:105], v[104:105], v[106:107], v[104:105]
	v_fma_f64 v[106:107], -v[102:103], v[104:105], 1.0
	v_fma_f64 v[104:105], v[104:105], v[106:107], v[104:105]
	v_mul_f64 v[106:107], v[108:109], v[104:105]
	v_fma_f64 v[102:103], -v[102:103], v[106:107], v[108:109]
	v_div_fmas_f64 v[102:103], v[102:103], v[104:105], v[106:107]
	v_div_fixup_f64 v[119:120], v[102:103], v[100:101], 1.0
	v_mul_f64 v[117:118], v[98:99], v[119:120]
	v_xor_b32_e32 v120, 0x80000000, v120
.LBB88_427:
	s_andn2_saveexec_b64 s[18:19], s[18:19]
	s_cbranch_execz .LBB88_429
; %bb.428:
	v_div_scale_f64 v[98:99], s[20:21], v[117:118], v[117:118], v[119:120]
	v_rcp_f64_e32 v[100:101], v[98:99]
	v_fma_f64 v[102:103], -v[98:99], v[100:101], 1.0
	v_fma_f64 v[100:101], v[100:101], v[102:103], v[100:101]
	v_div_scale_f64 v[102:103], vcc, v[119:120], v[117:118], v[119:120]
	v_fma_f64 v[104:105], -v[98:99], v[100:101], 1.0
	v_fma_f64 v[100:101], v[100:101], v[104:105], v[100:101]
	v_mul_f64 v[104:105], v[102:103], v[100:101]
	v_fma_f64 v[98:99], -v[98:99], v[104:105], v[102:103]
	v_div_fmas_f64 v[98:99], v[98:99], v[100:101], v[104:105]
	v_div_fixup_f64 v[98:99], v[98:99], v[117:118], v[119:120]
	v_fma_f64 v[100:101], v[119:120], v[98:99], v[117:118]
	v_div_scale_f64 v[102:103], s[20:21], v[100:101], v[100:101], 1.0
	v_div_scale_f64 v[108:109], vcc, 1.0, v[100:101], 1.0
	v_rcp_f64_e32 v[104:105], v[102:103]
	v_fma_f64 v[106:107], -v[102:103], v[104:105], 1.0
	v_fma_f64 v[104:105], v[104:105], v[106:107], v[104:105]
	v_fma_f64 v[106:107], -v[102:103], v[104:105], 1.0
	v_fma_f64 v[104:105], v[104:105], v[106:107], v[104:105]
	v_mul_f64 v[106:107], v[108:109], v[104:105]
	v_fma_f64 v[102:103], -v[102:103], v[106:107], v[108:109]
	v_div_fmas_f64 v[102:103], v[102:103], v[104:105], v[106:107]
	v_div_fixup_f64 v[117:118], v[102:103], v[100:101], 1.0
	v_mul_f64 v[119:120], v[98:99], -v[117:118]
.LBB88_429:
	s_or_b64 exec, exec, s[18:19]
.LBB88_430:
	s_or_b64 exec, exec, s[0:1]
	v_cmp_ne_u32_e32 vcc, v96, v97
	s_and_saveexec_b64 s[0:1], vcc
	s_xor_b64 s[0:1], exec, s[0:1]
	s_cbranch_execz .LBB88_436
; %bb.431:
	v_cmp_eq_u32_e32 vcc, 20, v96
	s_and_saveexec_b64 s[18:19], vcc
	s_cbranch_execz .LBB88_435
; %bb.432:
	v_cmp_ne_u32_e32 vcc, 20, v97
	s_xor_b64 s[20:21], s[6:7], -1
	s_and_b64 s[22:23], s[20:21], vcc
	s_and_saveexec_b64 s[20:21], s[22:23]
	s_cbranch_execz .LBB88_434
; %bb.433:
	buffer_load_dword v85, off, s[24:27], 0 offset:288 ; 4-byte Folded Reload
	buffer_load_dword v86, off, s[24:27], 0 offset:292 ; 4-byte Folded Reload
	v_ashrrev_i32_e32 v98, 31, v97
	v_lshlrev_b64 v[98:99], 2, v[97:98]
	s_waitcnt vmcnt(1)
	v_add_co_u32_e32 v98, vcc, v85, v98
	s_waitcnt vmcnt(0)
	v_addc_co_u32_e32 v99, vcc, v86, v99, vcc
	global_load_dword v0, v[98:99], off
	global_load_dword v96, v[85:86], off offset:80
	s_waitcnt vmcnt(1)
	global_store_dword v[85:86], v0, off offset:80
	s_waitcnt vmcnt(1)
	global_store_dword v[98:99], v96, off
.LBB88_434:
	s_or_b64 exec, exec, s[20:21]
	v_mov_b32_e32 v96, v97
	v_mov_b32_e32 v0, v97
.LBB88_435:
	s_or_b64 exec, exec, s[18:19]
.LBB88_436:
	s_andn2_saveexec_b64 s[0:1], s[0:1]
	s_cbranch_execz .LBB88_438
; %bb.437:
	v_mov_b32_e32 v96, 20
	ds_write2_b64 v94, v[111:112], v[113:114] offset0:42 offset1:43
	ds_write2_b64 v94, v[89:90], v[91:92] offset0:44 offset1:45
	;; [unrolled: 1-line block ×24, first 2 shown]
.LBB88_438:
	s_or_b64 exec, exec, s[0:1]
	v_cmp_lt_i32_e32 vcc, 20, v96
	s_waitcnt vmcnt(0) lgkmcnt(0)
	s_barrier
	s_and_saveexec_b64 s[0:1], vcc
	s_cbranch_execz .LBB88_440
; %bb.439:
	buffer_load_dword v85, off, s[24:27], 0 ; 4-byte Folded Reload
	buffer_load_dword v86, off, s[24:27], 0 offset:4 ; 4-byte Folded Reload
	buffer_load_dword v87, off, s[24:27], 0 offset:8 ; 4-byte Folded Reload
	;; [unrolled: 1-line block ×3, first 2 shown]
	s_waitcnt vmcnt(0)
	v_mul_f64 v[99:100], v[117:118], v[87:88]
	v_mul_f64 v[97:98], v[119:120], v[87:88]
	v_fma_f64 v[87:88], v[119:120], v[85:86], v[99:100]
	ds_read2_b64 v[99:102], v94 offset0:42 offset1:43
	v_fma_f64 v[97:98], v[117:118], v[85:86], -v[97:98]
	s_waitcnt lgkmcnt(0)
	v_mul_f64 v[103:104], v[101:102], v[87:88]
	v_mov_b32_e32 v85, v97
	v_mov_b32_e32 v86, v98
	v_fma_f64 v[103:104], v[99:100], v[97:98], -v[103:104]
	v_mul_f64 v[99:100], v[99:100], v[87:88]
	v_add_f64 v[111:112], v[111:112], -v[103:104]
	v_fma_f64 v[99:100], v[101:102], v[97:98], v[99:100]
	v_add_f64 v[113:114], v[113:114], -v[99:100]
	ds_read2_b64 v[99:102], v94 offset0:44 offset1:45
	s_waitcnt lgkmcnt(0)
	v_mul_f64 v[103:104], v[101:102], v[87:88]
	v_fma_f64 v[103:104], v[99:100], v[97:98], -v[103:104]
	v_mul_f64 v[99:100], v[99:100], v[87:88]
	v_add_f64 v[89:90], v[89:90], -v[103:104]
	v_fma_f64 v[99:100], v[101:102], v[97:98], v[99:100]
	v_add_f64 v[91:92], v[91:92], -v[99:100]
	ds_read2_b64 v[99:102], v94 offset0:46 offset1:47
	s_waitcnt lgkmcnt(0)
	v_mul_f64 v[103:104], v[101:102], v[87:88]
	;; [unrolled: 8-line block ×23, first 2 shown]
	v_fma_f64 v[103:104], v[99:100], v[97:98], -v[103:104]
	v_mul_f64 v[99:100], v[99:100], v[87:88]
	buffer_store_dword v85, off, s[24:27], 0 ; 4-byte Folded Spill
	s_nop 0
	buffer_store_dword v86, off, s[24:27], 0 offset:4 ; 4-byte Folded Spill
	buffer_store_dword v87, off, s[24:27], 0 offset:8 ; 4-byte Folded Spill
	;; [unrolled: 1-line block ×3, first 2 shown]
	v_add_f64 v[121:122], v[121:122], -v[103:104]
	v_fma_f64 v[99:100], v[101:102], v[97:98], v[99:100]
	v_add_f64 v[123:124], v[123:124], -v[99:100]
.LBB88_440:
	s_or_b64 exec, exec, s[0:1]
	v_lshl_add_u32 v97, v96, 4, v94
	s_waitcnt vmcnt(0)
	s_barrier
	ds_write2_b64 v97, v[111:112], v[113:114] offset1:1
	s_waitcnt lgkmcnt(0)
	s_barrier
	ds_read2_b64 v[117:120], v94 offset0:42 offset1:43
	s_cmp_lt_i32 s3, 23
	v_mov_b32_e32 v97, 21
	s_cbranch_scc1 .LBB88_443
; %bb.441:
	v_add_u32_e32 v98, 0x160, v94
	s_mov_b32 s0, 22
	v_mov_b32_e32 v97, 21
.LBB88_442:                             ; =>This Inner Loop Header: Depth=1
	s_waitcnt lgkmcnt(0)
	v_cmp_gt_f64_e32 vcc, 0, v[117:118]
	v_xor_b32_e32 v103, 0x80000000, v118
	ds_read2_b64 v[99:102], v98 offset1:1
	v_xor_b32_e32 v105, 0x80000000, v120
	v_add_u32_e32 v98, 16, v98
	s_waitcnt lgkmcnt(0)
	v_xor_b32_e32 v107, 0x80000000, v102
	v_cndmask_b32_e32 v104, v118, v103, vcc
	v_cmp_gt_f64_e32 vcc, 0, v[119:120]
	v_mov_b32_e32 v103, v117
	v_cndmask_b32_e32 v106, v120, v105, vcc
	v_cmp_gt_f64_e32 vcc, 0, v[99:100]
	v_mov_b32_e32 v105, v119
	v_add_f64 v[103:104], v[103:104], v[105:106]
	v_xor_b32_e32 v105, 0x80000000, v100
	v_cndmask_b32_e32 v106, v100, v105, vcc
	v_cmp_gt_f64_e32 vcc, 0, v[101:102]
	v_mov_b32_e32 v105, v99
	v_cndmask_b32_e32 v108, v102, v107, vcc
	v_mov_b32_e32 v107, v101
	v_add_f64 v[105:106], v[105:106], v[107:108]
	v_cmp_lt_f64_e32 vcc, v[103:104], v[105:106]
	v_cndmask_b32_e32 v117, v117, v99, vcc
	v_mov_b32_e32 v99, s0
	s_add_i32 s0, s0, 1
	v_cndmask_b32_e32 v118, v118, v100, vcc
	v_cndmask_b32_e32 v120, v120, v102, vcc
	;; [unrolled: 1-line block ×4, first 2 shown]
	s_cmp_lg_u32 s3, s0
	s_cbranch_scc1 .LBB88_442
.LBB88_443:
	s_waitcnt lgkmcnt(0)
	v_cmp_eq_f64_e32 vcc, 0, v[117:118]
	v_cmp_eq_f64_e64 s[0:1], 0, v[119:120]
	s_and_b64 s[0:1], vcc, s[0:1]
	s_and_saveexec_b64 s[18:19], s[0:1]
	s_xor_b64 s[0:1], exec, s[18:19]
; %bb.444:
	v_cmp_ne_u32_e32 vcc, 0, v95
	v_cndmask_b32_e32 v95, 22, v95, vcc
; %bb.445:
	s_andn2_saveexec_b64 s[0:1], s[0:1]
	s_cbranch_execz .LBB88_451
; %bb.446:
	v_cmp_ngt_f64_e64 s[18:19], |v[117:118]|, |v[119:120]|
	s_and_saveexec_b64 s[20:21], s[18:19]
	s_xor_b64 s[18:19], exec, s[20:21]
	s_cbranch_execz .LBB88_448
; %bb.447:
	v_div_scale_f64 v[98:99], s[20:21], v[119:120], v[119:120], v[117:118]
	v_rcp_f64_e32 v[100:101], v[98:99]
	v_fma_f64 v[102:103], -v[98:99], v[100:101], 1.0
	v_fma_f64 v[100:101], v[100:101], v[102:103], v[100:101]
	v_div_scale_f64 v[102:103], vcc, v[117:118], v[119:120], v[117:118]
	v_fma_f64 v[104:105], -v[98:99], v[100:101], 1.0
	v_fma_f64 v[100:101], v[100:101], v[104:105], v[100:101]
	v_mul_f64 v[104:105], v[102:103], v[100:101]
	v_fma_f64 v[98:99], -v[98:99], v[104:105], v[102:103]
	v_div_fmas_f64 v[98:99], v[98:99], v[100:101], v[104:105]
	v_div_fixup_f64 v[98:99], v[98:99], v[119:120], v[117:118]
	v_fma_f64 v[100:101], v[117:118], v[98:99], v[119:120]
	v_div_scale_f64 v[102:103], s[20:21], v[100:101], v[100:101], 1.0
	v_div_scale_f64 v[108:109], vcc, 1.0, v[100:101], 1.0
	v_rcp_f64_e32 v[104:105], v[102:103]
	v_fma_f64 v[106:107], -v[102:103], v[104:105], 1.0
	v_fma_f64 v[104:105], v[104:105], v[106:107], v[104:105]
	v_fma_f64 v[106:107], -v[102:103], v[104:105], 1.0
	v_fma_f64 v[104:105], v[104:105], v[106:107], v[104:105]
	v_mul_f64 v[106:107], v[108:109], v[104:105]
	v_fma_f64 v[102:103], -v[102:103], v[106:107], v[108:109]
	v_div_fmas_f64 v[102:103], v[102:103], v[104:105], v[106:107]
	v_div_fixup_f64 v[119:120], v[102:103], v[100:101], 1.0
	v_mul_f64 v[117:118], v[98:99], v[119:120]
	v_xor_b32_e32 v120, 0x80000000, v120
.LBB88_448:
	s_andn2_saveexec_b64 s[18:19], s[18:19]
	s_cbranch_execz .LBB88_450
; %bb.449:
	v_div_scale_f64 v[98:99], s[20:21], v[117:118], v[117:118], v[119:120]
	v_rcp_f64_e32 v[100:101], v[98:99]
	v_fma_f64 v[102:103], -v[98:99], v[100:101], 1.0
	v_fma_f64 v[100:101], v[100:101], v[102:103], v[100:101]
	v_div_scale_f64 v[102:103], vcc, v[119:120], v[117:118], v[119:120]
	v_fma_f64 v[104:105], -v[98:99], v[100:101], 1.0
	v_fma_f64 v[100:101], v[100:101], v[104:105], v[100:101]
	v_mul_f64 v[104:105], v[102:103], v[100:101]
	v_fma_f64 v[98:99], -v[98:99], v[104:105], v[102:103]
	v_div_fmas_f64 v[98:99], v[98:99], v[100:101], v[104:105]
	v_div_fixup_f64 v[98:99], v[98:99], v[117:118], v[119:120]
	v_fma_f64 v[100:101], v[119:120], v[98:99], v[117:118]
	v_div_scale_f64 v[102:103], s[20:21], v[100:101], v[100:101], 1.0
	v_div_scale_f64 v[108:109], vcc, 1.0, v[100:101], 1.0
	v_rcp_f64_e32 v[104:105], v[102:103]
	v_fma_f64 v[106:107], -v[102:103], v[104:105], 1.0
	v_fma_f64 v[104:105], v[104:105], v[106:107], v[104:105]
	v_fma_f64 v[106:107], -v[102:103], v[104:105], 1.0
	v_fma_f64 v[104:105], v[104:105], v[106:107], v[104:105]
	v_mul_f64 v[106:107], v[108:109], v[104:105]
	v_fma_f64 v[102:103], -v[102:103], v[106:107], v[108:109]
	v_div_fmas_f64 v[102:103], v[102:103], v[104:105], v[106:107]
	v_div_fixup_f64 v[117:118], v[102:103], v[100:101], 1.0
	v_mul_f64 v[119:120], v[98:99], -v[117:118]
.LBB88_450:
	s_or_b64 exec, exec, s[18:19]
.LBB88_451:
	s_or_b64 exec, exec, s[0:1]
	v_cmp_ne_u32_e32 vcc, v96, v97
	s_and_saveexec_b64 s[0:1], vcc
	s_xor_b64 s[0:1], exec, s[0:1]
	s_cbranch_execz .LBB88_457
; %bb.452:
	v_cmp_eq_u32_e32 vcc, 21, v96
	s_and_saveexec_b64 s[18:19], vcc
	s_cbranch_execz .LBB88_456
; %bb.453:
	v_cmp_ne_u32_e32 vcc, 21, v97
	s_xor_b64 s[20:21], s[6:7], -1
	s_and_b64 s[22:23], s[20:21], vcc
	s_and_saveexec_b64 s[20:21], s[22:23]
	s_cbranch_execz .LBB88_455
; %bb.454:
	buffer_load_dword v85, off, s[24:27], 0 offset:288 ; 4-byte Folded Reload
	buffer_load_dword v86, off, s[24:27], 0 offset:292 ; 4-byte Folded Reload
	v_ashrrev_i32_e32 v98, 31, v97
	v_lshlrev_b64 v[98:99], 2, v[97:98]
	s_waitcnt vmcnt(1)
	v_add_co_u32_e32 v98, vcc, v85, v98
	s_waitcnt vmcnt(0)
	v_addc_co_u32_e32 v99, vcc, v86, v99, vcc
	global_load_dword v0, v[98:99], off
	global_load_dword v96, v[85:86], off offset:84
	s_waitcnt vmcnt(1)
	global_store_dword v[85:86], v0, off offset:84
	s_waitcnt vmcnt(1)
	global_store_dword v[98:99], v96, off
.LBB88_455:
	s_or_b64 exec, exec, s[20:21]
	v_mov_b32_e32 v96, v97
	v_mov_b32_e32 v0, v97
.LBB88_456:
	s_or_b64 exec, exec, s[18:19]
.LBB88_457:
	s_andn2_saveexec_b64 s[0:1], s[0:1]
	s_cbranch_execz .LBB88_459
; %bb.458:
	v_mov_b32_e32 v96, 21
	ds_write2_b64 v94, v[89:90], v[91:92] offset0:44 offset1:45
	ds_write2_b64 v94, v[81:82], v[83:84] offset0:46 offset1:47
	;; [unrolled: 1-line block ×23, first 2 shown]
.LBB88_459:
	s_or_b64 exec, exec, s[0:1]
	v_cmp_lt_i32_e32 vcc, 21, v96
	s_waitcnt vmcnt(0) lgkmcnt(0)
	s_barrier
	s_and_saveexec_b64 s[0:1], vcc
	s_cbranch_execz .LBB88_461
; %bb.460:
	v_mov_b32_e32 v85, v89
	v_mov_b32_e32 v86, v90
	;; [unrolled: 1-line block ×4, first 2 shown]
	v_mul_f64 v[91:92], v[117:118], v[113:114]
	v_mul_f64 v[97:98], v[119:120], v[113:114]
	v_fma_f64 v[113:114], v[119:120], v[111:112], v[91:92]
	v_fma_f64 v[101:102], v[117:118], v[111:112], -v[97:98]
	ds_read2_b64 v[97:100], v94 offset0:44 offset1:45
	s_waitcnt lgkmcnt(0)
	v_mul_f64 v[89:90], v[99:100], v[113:114]
	v_mov_b32_e32 v112, v102
	v_mov_b32_e32 v111, v101
	v_fma_f64 v[89:90], v[97:98], v[101:102], -v[89:90]
	v_mul_f64 v[97:98], v[97:98], v[113:114]
	v_add_f64 v[85:86], v[85:86], -v[89:90]
	v_fma_f64 v[97:98], v[99:100], v[101:102], v[97:98]
	v_add_f64 v[87:88], v[87:88], -v[97:98]
	ds_read2_b64 v[97:100], v94 offset0:46 offset1:47
	s_waitcnt lgkmcnt(0)
	v_mul_f64 v[89:90], v[99:100], v[113:114]
	v_fma_f64 v[89:90], v[97:98], v[101:102], -v[89:90]
	v_mul_f64 v[97:98], v[97:98], v[113:114]
	v_add_f64 v[81:82], v[81:82], -v[89:90]
	v_fma_f64 v[97:98], v[99:100], v[101:102], v[97:98]
	v_add_f64 v[83:84], v[83:84], -v[97:98]
	ds_read2_b64 v[97:100], v94 offset0:48 offset1:49
	s_waitcnt lgkmcnt(0)
	v_mul_f64 v[89:90], v[99:100], v[113:114]
	;; [unrolled: 8-line block ×22, first 2 shown]
	v_fma_f64 v[89:90], v[97:98], v[101:102], -v[89:90]
	v_mul_f64 v[97:98], v[97:98], v[113:114]
	v_add_f64 v[121:122], v[121:122], -v[89:90]
	v_fma_f64 v[97:98], v[99:100], v[101:102], v[97:98]
	v_mov_b32_e32 v92, v88
	v_mov_b32_e32 v91, v87
	;; [unrolled: 1-line block ×4, first 2 shown]
	v_add_f64 v[123:124], v[123:124], -v[97:98]
.LBB88_461:
	s_or_b64 exec, exec, s[0:1]
	v_lshl_add_u32 v97, v96, 4, v94
	s_barrier
	ds_write2_b64 v97, v[89:90], v[91:92] offset1:1
	s_waitcnt lgkmcnt(0)
	s_barrier
	ds_read2_b64 v[117:120], v94 offset0:44 offset1:45
	s_cmp_lt_i32 s3, 24
	v_mov_b32_e32 v97, 22
	s_cbranch_scc1 .LBB88_464
; %bb.462:
	v_add_u32_e32 v98, 0x170, v94
	s_mov_b32 s0, 23
	v_mov_b32_e32 v97, 22
.LBB88_463:                             ; =>This Inner Loop Header: Depth=1
	s_waitcnt lgkmcnt(0)
	v_cmp_gt_f64_e32 vcc, 0, v[117:118]
	v_xor_b32_e32 v103, 0x80000000, v118
	ds_read2_b64 v[99:102], v98 offset1:1
	v_xor_b32_e32 v105, 0x80000000, v120
	v_add_u32_e32 v98, 16, v98
	s_waitcnt lgkmcnt(0)
	v_xor_b32_e32 v107, 0x80000000, v102
	v_cndmask_b32_e32 v104, v118, v103, vcc
	v_cmp_gt_f64_e32 vcc, 0, v[119:120]
	v_mov_b32_e32 v103, v117
	v_cndmask_b32_e32 v106, v120, v105, vcc
	v_cmp_gt_f64_e32 vcc, 0, v[99:100]
	v_mov_b32_e32 v105, v119
	v_add_f64 v[103:104], v[103:104], v[105:106]
	v_xor_b32_e32 v105, 0x80000000, v100
	v_cndmask_b32_e32 v106, v100, v105, vcc
	v_cmp_gt_f64_e32 vcc, 0, v[101:102]
	v_mov_b32_e32 v105, v99
	v_cndmask_b32_e32 v108, v102, v107, vcc
	v_mov_b32_e32 v107, v101
	v_add_f64 v[105:106], v[105:106], v[107:108]
	v_cmp_lt_f64_e32 vcc, v[103:104], v[105:106]
	v_cndmask_b32_e32 v117, v117, v99, vcc
	v_mov_b32_e32 v99, s0
	s_add_i32 s0, s0, 1
	v_cndmask_b32_e32 v118, v118, v100, vcc
	v_cndmask_b32_e32 v120, v120, v102, vcc
	v_cndmask_b32_e32 v119, v119, v101, vcc
	v_cndmask_b32_e32 v97, v97, v99, vcc
	s_cmp_lg_u32 s3, s0
	s_cbranch_scc1 .LBB88_463
.LBB88_464:
	s_waitcnt lgkmcnt(0)
	v_cmp_eq_f64_e32 vcc, 0, v[117:118]
	v_cmp_eq_f64_e64 s[0:1], 0, v[119:120]
	s_and_b64 s[0:1], vcc, s[0:1]
	s_and_saveexec_b64 s[18:19], s[0:1]
	s_xor_b64 s[0:1], exec, s[18:19]
; %bb.465:
	v_cmp_ne_u32_e32 vcc, 0, v95
	v_cndmask_b32_e32 v95, 23, v95, vcc
; %bb.466:
	s_andn2_saveexec_b64 s[0:1], s[0:1]
	s_cbranch_execz .LBB88_472
; %bb.467:
	v_cmp_ngt_f64_e64 s[18:19], |v[117:118]|, |v[119:120]|
	s_and_saveexec_b64 s[20:21], s[18:19]
	s_xor_b64 s[18:19], exec, s[20:21]
	s_cbranch_execz .LBB88_469
; %bb.468:
	v_div_scale_f64 v[98:99], s[20:21], v[119:120], v[119:120], v[117:118]
	v_rcp_f64_e32 v[100:101], v[98:99]
	v_fma_f64 v[102:103], -v[98:99], v[100:101], 1.0
	v_fma_f64 v[100:101], v[100:101], v[102:103], v[100:101]
	v_div_scale_f64 v[102:103], vcc, v[117:118], v[119:120], v[117:118]
	v_fma_f64 v[104:105], -v[98:99], v[100:101], 1.0
	v_fma_f64 v[100:101], v[100:101], v[104:105], v[100:101]
	v_mul_f64 v[104:105], v[102:103], v[100:101]
	v_fma_f64 v[98:99], -v[98:99], v[104:105], v[102:103]
	v_div_fmas_f64 v[98:99], v[98:99], v[100:101], v[104:105]
	v_div_fixup_f64 v[98:99], v[98:99], v[119:120], v[117:118]
	v_fma_f64 v[100:101], v[117:118], v[98:99], v[119:120]
	v_div_scale_f64 v[102:103], s[20:21], v[100:101], v[100:101], 1.0
	v_div_scale_f64 v[108:109], vcc, 1.0, v[100:101], 1.0
	v_rcp_f64_e32 v[104:105], v[102:103]
	v_fma_f64 v[106:107], -v[102:103], v[104:105], 1.0
	v_fma_f64 v[104:105], v[104:105], v[106:107], v[104:105]
	v_fma_f64 v[106:107], -v[102:103], v[104:105], 1.0
	v_fma_f64 v[104:105], v[104:105], v[106:107], v[104:105]
	v_mul_f64 v[106:107], v[108:109], v[104:105]
	v_fma_f64 v[102:103], -v[102:103], v[106:107], v[108:109]
	v_div_fmas_f64 v[102:103], v[102:103], v[104:105], v[106:107]
	v_div_fixup_f64 v[119:120], v[102:103], v[100:101], 1.0
	v_mul_f64 v[117:118], v[98:99], v[119:120]
	v_xor_b32_e32 v120, 0x80000000, v120
.LBB88_469:
	s_andn2_saveexec_b64 s[18:19], s[18:19]
	s_cbranch_execz .LBB88_471
; %bb.470:
	v_div_scale_f64 v[98:99], s[20:21], v[117:118], v[117:118], v[119:120]
	v_rcp_f64_e32 v[100:101], v[98:99]
	v_fma_f64 v[102:103], -v[98:99], v[100:101], 1.0
	v_fma_f64 v[100:101], v[100:101], v[102:103], v[100:101]
	v_div_scale_f64 v[102:103], vcc, v[119:120], v[117:118], v[119:120]
	v_fma_f64 v[104:105], -v[98:99], v[100:101], 1.0
	v_fma_f64 v[100:101], v[100:101], v[104:105], v[100:101]
	v_mul_f64 v[104:105], v[102:103], v[100:101]
	v_fma_f64 v[98:99], -v[98:99], v[104:105], v[102:103]
	v_div_fmas_f64 v[98:99], v[98:99], v[100:101], v[104:105]
	v_div_fixup_f64 v[98:99], v[98:99], v[117:118], v[119:120]
	v_fma_f64 v[100:101], v[119:120], v[98:99], v[117:118]
	v_div_scale_f64 v[102:103], s[20:21], v[100:101], v[100:101], 1.0
	v_div_scale_f64 v[108:109], vcc, 1.0, v[100:101], 1.0
	v_rcp_f64_e32 v[104:105], v[102:103]
	v_fma_f64 v[106:107], -v[102:103], v[104:105], 1.0
	v_fma_f64 v[104:105], v[104:105], v[106:107], v[104:105]
	v_fma_f64 v[106:107], -v[102:103], v[104:105], 1.0
	v_fma_f64 v[104:105], v[104:105], v[106:107], v[104:105]
	v_mul_f64 v[106:107], v[108:109], v[104:105]
	v_fma_f64 v[102:103], -v[102:103], v[106:107], v[108:109]
	v_div_fmas_f64 v[102:103], v[102:103], v[104:105], v[106:107]
	v_div_fixup_f64 v[117:118], v[102:103], v[100:101], 1.0
	v_mul_f64 v[119:120], v[98:99], -v[117:118]
.LBB88_471:
	s_or_b64 exec, exec, s[18:19]
.LBB88_472:
	s_or_b64 exec, exec, s[0:1]
	v_cmp_ne_u32_e32 vcc, v96, v97
	s_and_saveexec_b64 s[0:1], vcc
	s_xor_b64 s[0:1], exec, s[0:1]
	s_cbranch_execz .LBB88_478
; %bb.473:
	v_cmp_eq_u32_e32 vcc, 22, v96
	s_and_saveexec_b64 s[18:19], vcc
	s_cbranch_execz .LBB88_477
; %bb.474:
	v_cmp_ne_u32_e32 vcc, 22, v97
	s_xor_b64 s[20:21], s[6:7], -1
	s_and_b64 s[22:23], s[20:21], vcc
	s_and_saveexec_b64 s[20:21], s[22:23]
	s_cbranch_execz .LBB88_476
; %bb.475:
	buffer_load_dword v85, off, s[24:27], 0 offset:288 ; 4-byte Folded Reload
	buffer_load_dword v86, off, s[24:27], 0 offset:292 ; 4-byte Folded Reload
	v_ashrrev_i32_e32 v98, 31, v97
	v_lshlrev_b64 v[98:99], 2, v[97:98]
	s_waitcnt vmcnt(1)
	v_add_co_u32_e32 v98, vcc, v85, v98
	s_waitcnt vmcnt(0)
	v_addc_co_u32_e32 v99, vcc, v86, v99, vcc
	global_load_dword v0, v[98:99], off
	global_load_dword v96, v[85:86], off offset:88
	s_waitcnt vmcnt(1)
	global_store_dword v[85:86], v0, off offset:88
	s_waitcnt vmcnt(1)
	global_store_dword v[98:99], v96, off
.LBB88_476:
	s_or_b64 exec, exec, s[20:21]
	v_mov_b32_e32 v96, v97
	v_mov_b32_e32 v0, v97
.LBB88_477:
	s_or_b64 exec, exec, s[18:19]
.LBB88_478:
	s_andn2_saveexec_b64 s[0:1], s[0:1]
	s_cbranch_execz .LBB88_480
; %bb.479:
	v_mov_b32_e32 v96, 22
	ds_write2_b64 v94, v[81:82], v[83:84] offset0:46 offset1:47
	ds_write2_b64 v94, v[77:78], v[79:80] offset0:48 offset1:49
	;; [unrolled: 1-line block ×22, first 2 shown]
.LBB88_480:
	s_or_b64 exec, exec, s[0:1]
	v_cmp_lt_i32_e32 vcc, 22, v96
	s_waitcnt vmcnt(0) lgkmcnt(0)
	s_barrier
	s_and_saveexec_b64 s[0:1], vcc
	s_cbranch_execz .LBB88_482
; %bb.481:
	v_mul_f64 v[87:88], v[117:118], v[91:92]
	v_mul_f64 v[97:98], v[119:120], v[91:92]
	v_fma_f64 v[91:92], v[119:120], v[89:90], v[87:88]
	v_fma_f64 v[125:126], v[117:118], v[89:90], -v[97:98]
	ds_read2_b64 v[97:100], v94 offset0:46 offset1:47
	s_waitcnt lgkmcnt(0)
	v_mul_f64 v[85:86], v[99:100], v[91:92]
	v_mov_b32_e32 v89, v125
	v_mov_b32_e32 v90, v126
	v_fma_f64 v[85:86], v[97:98], v[125:126], -v[85:86]
	v_mul_f64 v[97:98], v[97:98], v[91:92]
	v_add_f64 v[81:82], v[81:82], -v[85:86]
	v_fma_f64 v[97:98], v[99:100], v[125:126], v[97:98]
	v_add_f64 v[83:84], v[83:84], -v[97:98]
	ds_read2_b64 v[97:100], v94 offset0:48 offset1:49
	s_waitcnt lgkmcnt(0)
	v_mul_f64 v[85:86], v[99:100], v[91:92]
	v_fma_f64 v[85:86], v[97:98], v[125:126], -v[85:86]
	v_mul_f64 v[97:98], v[97:98], v[91:92]
	v_add_f64 v[77:78], v[77:78], -v[85:86]
	v_fma_f64 v[97:98], v[99:100], v[125:126], v[97:98]
	v_add_f64 v[79:80], v[79:80], -v[97:98]
	ds_read2_b64 v[97:100], v94 offset0:50 offset1:51
	s_waitcnt lgkmcnt(0)
	v_mul_f64 v[85:86], v[99:100], v[91:92]
	;; [unrolled: 8-line block ×21, first 2 shown]
	v_fma_f64 v[85:86], v[97:98], v[125:126], -v[85:86]
	v_mul_f64 v[97:98], v[97:98], v[91:92]
	v_add_f64 v[121:122], v[121:122], -v[85:86]
	v_fma_f64 v[97:98], v[99:100], v[125:126], v[97:98]
	v_add_f64 v[123:124], v[123:124], -v[97:98]
.LBB88_482:
	s_or_b64 exec, exec, s[0:1]
	v_lshl_add_u32 v97, v96, 4, v94
	s_barrier
	ds_write2_b64 v97, v[81:82], v[83:84] offset1:1
	s_waitcnt lgkmcnt(0)
	s_barrier
	ds_read2_b64 v[117:120], v94 offset0:46 offset1:47
	s_cmp_lt_i32 s3, 25
	v_mov_b32_e32 v97, 23
	s_cbranch_scc1 .LBB88_485
; %bb.483:
	v_add_u32_e32 v98, 0x180, v94
	s_mov_b32 s0, 24
	v_mov_b32_e32 v97, 23
.LBB88_484:                             ; =>This Inner Loop Header: Depth=1
	s_waitcnt lgkmcnt(0)
	v_cmp_gt_f64_e32 vcc, 0, v[117:118]
	v_xor_b32_e32 v103, 0x80000000, v118
	ds_read2_b64 v[99:102], v98 offset1:1
	v_xor_b32_e32 v105, 0x80000000, v120
	v_add_u32_e32 v98, 16, v98
	s_waitcnt lgkmcnt(0)
	v_xor_b32_e32 v107, 0x80000000, v102
	v_cndmask_b32_e32 v104, v118, v103, vcc
	v_cmp_gt_f64_e32 vcc, 0, v[119:120]
	v_mov_b32_e32 v103, v117
	v_cndmask_b32_e32 v106, v120, v105, vcc
	v_cmp_gt_f64_e32 vcc, 0, v[99:100]
	v_mov_b32_e32 v105, v119
	v_add_f64 v[103:104], v[103:104], v[105:106]
	v_xor_b32_e32 v105, 0x80000000, v100
	v_cndmask_b32_e32 v106, v100, v105, vcc
	v_cmp_gt_f64_e32 vcc, 0, v[101:102]
	v_mov_b32_e32 v105, v99
	v_cndmask_b32_e32 v108, v102, v107, vcc
	v_mov_b32_e32 v107, v101
	v_add_f64 v[105:106], v[105:106], v[107:108]
	v_cmp_lt_f64_e32 vcc, v[103:104], v[105:106]
	v_cndmask_b32_e32 v117, v117, v99, vcc
	v_mov_b32_e32 v99, s0
	s_add_i32 s0, s0, 1
	v_cndmask_b32_e32 v118, v118, v100, vcc
	v_cndmask_b32_e32 v120, v120, v102, vcc
	;; [unrolled: 1-line block ×4, first 2 shown]
	s_cmp_lg_u32 s3, s0
	s_cbranch_scc1 .LBB88_484
.LBB88_485:
	s_waitcnt lgkmcnt(0)
	v_cmp_eq_f64_e32 vcc, 0, v[117:118]
	v_cmp_eq_f64_e64 s[0:1], 0, v[119:120]
	s_and_b64 s[0:1], vcc, s[0:1]
	s_and_saveexec_b64 s[18:19], s[0:1]
	s_xor_b64 s[0:1], exec, s[18:19]
; %bb.486:
	v_cmp_ne_u32_e32 vcc, 0, v95
	v_cndmask_b32_e32 v95, 24, v95, vcc
; %bb.487:
	s_andn2_saveexec_b64 s[0:1], s[0:1]
	s_cbranch_execz .LBB88_493
; %bb.488:
	v_cmp_ngt_f64_e64 s[18:19], |v[117:118]|, |v[119:120]|
	s_and_saveexec_b64 s[20:21], s[18:19]
	s_xor_b64 s[18:19], exec, s[20:21]
	s_cbranch_execz .LBB88_490
; %bb.489:
	v_div_scale_f64 v[98:99], s[20:21], v[119:120], v[119:120], v[117:118]
	v_rcp_f64_e32 v[100:101], v[98:99]
	v_fma_f64 v[102:103], -v[98:99], v[100:101], 1.0
	v_fma_f64 v[100:101], v[100:101], v[102:103], v[100:101]
	v_div_scale_f64 v[102:103], vcc, v[117:118], v[119:120], v[117:118]
	v_fma_f64 v[104:105], -v[98:99], v[100:101], 1.0
	v_fma_f64 v[100:101], v[100:101], v[104:105], v[100:101]
	v_mul_f64 v[104:105], v[102:103], v[100:101]
	v_fma_f64 v[98:99], -v[98:99], v[104:105], v[102:103]
	v_div_fmas_f64 v[98:99], v[98:99], v[100:101], v[104:105]
	v_div_fixup_f64 v[98:99], v[98:99], v[119:120], v[117:118]
	v_fma_f64 v[100:101], v[117:118], v[98:99], v[119:120]
	v_div_scale_f64 v[102:103], s[20:21], v[100:101], v[100:101], 1.0
	v_div_scale_f64 v[108:109], vcc, 1.0, v[100:101], 1.0
	v_rcp_f64_e32 v[104:105], v[102:103]
	v_fma_f64 v[106:107], -v[102:103], v[104:105], 1.0
	v_fma_f64 v[104:105], v[104:105], v[106:107], v[104:105]
	v_fma_f64 v[106:107], -v[102:103], v[104:105], 1.0
	v_fma_f64 v[104:105], v[104:105], v[106:107], v[104:105]
	v_mul_f64 v[106:107], v[108:109], v[104:105]
	v_fma_f64 v[102:103], -v[102:103], v[106:107], v[108:109]
	v_div_fmas_f64 v[102:103], v[102:103], v[104:105], v[106:107]
	v_div_fixup_f64 v[119:120], v[102:103], v[100:101], 1.0
	v_mul_f64 v[117:118], v[98:99], v[119:120]
	v_xor_b32_e32 v120, 0x80000000, v120
.LBB88_490:
	s_andn2_saveexec_b64 s[18:19], s[18:19]
	s_cbranch_execz .LBB88_492
; %bb.491:
	v_div_scale_f64 v[98:99], s[20:21], v[117:118], v[117:118], v[119:120]
	v_rcp_f64_e32 v[100:101], v[98:99]
	v_fma_f64 v[102:103], -v[98:99], v[100:101], 1.0
	v_fma_f64 v[100:101], v[100:101], v[102:103], v[100:101]
	v_div_scale_f64 v[102:103], vcc, v[119:120], v[117:118], v[119:120]
	v_fma_f64 v[104:105], -v[98:99], v[100:101], 1.0
	v_fma_f64 v[100:101], v[100:101], v[104:105], v[100:101]
	v_mul_f64 v[104:105], v[102:103], v[100:101]
	v_fma_f64 v[98:99], -v[98:99], v[104:105], v[102:103]
	v_div_fmas_f64 v[98:99], v[98:99], v[100:101], v[104:105]
	v_div_fixup_f64 v[98:99], v[98:99], v[117:118], v[119:120]
	v_fma_f64 v[100:101], v[119:120], v[98:99], v[117:118]
	v_div_scale_f64 v[102:103], s[20:21], v[100:101], v[100:101], 1.0
	v_div_scale_f64 v[108:109], vcc, 1.0, v[100:101], 1.0
	v_rcp_f64_e32 v[104:105], v[102:103]
	v_fma_f64 v[106:107], -v[102:103], v[104:105], 1.0
	v_fma_f64 v[104:105], v[104:105], v[106:107], v[104:105]
	v_fma_f64 v[106:107], -v[102:103], v[104:105], 1.0
	v_fma_f64 v[104:105], v[104:105], v[106:107], v[104:105]
	v_mul_f64 v[106:107], v[108:109], v[104:105]
	v_fma_f64 v[102:103], -v[102:103], v[106:107], v[108:109]
	v_div_fmas_f64 v[102:103], v[102:103], v[104:105], v[106:107]
	v_div_fixup_f64 v[117:118], v[102:103], v[100:101], 1.0
	v_mul_f64 v[119:120], v[98:99], -v[117:118]
.LBB88_492:
	s_or_b64 exec, exec, s[18:19]
.LBB88_493:
	s_or_b64 exec, exec, s[0:1]
	v_cmp_ne_u32_e32 vcc, v96, v97
	s_and_saveexec_b64 s[0:1], vcc
	s_xor_b64 s[0:1], exec, s[0:1]
	s_cbranch_execz .LBB88_499
; %bb.494:
	v_cmp_eq_u32_e32 vcc, 23, v96
	s_and_saveexec_b64 s[18:19], vcc
	s_cbranch_execz .LBB88_498
; %bb.495:
	v_cmp_ne_u32_e32 vcc, 23, v97
	s_xor_b64 s[20:21], s[6:7], -1
	s_and_b64 s[22:23], s[20:21], vcc
	s_and_saveexec_b64 s[20:21], s[22:23]
	s_cbranch_execz .LBB88_497
; %bb.496:
	buffer_load_dword v85, off, s[24:27], 0 offset:288 ; 4-byte Folded Reload
	buffer_load_dword v86, off, s[24:27], 0 offset:292 ; 4-byte Folded Reload
	v_ashrrev_i32_e32 v98, 31, v97
	v_lshlrev_b64 v[98:99], 2, v[97:98]
	s_waitcnt vmcnt(1)
	v_add_co_u32_e32 v98, vcc, v85, v98
	s_waitcnt vmcnt(0)
	v_addc_co_u32_e32 v99, vcc, v86, v99, vcc
	global_load_dword v0, v[98:99], off
	global_load_dword v96, v[85:86], off offset:92
	s_waitcnt vmcnt(1)
	global_store_dword v[85:86], v0, off offset:92
	s_waitcnt vmcnt(1)
	global_store_dword v[98:99], v96, off
.LBB88_497:
	s_or_b64 exec, exec, s[20:21]
	v_mov_b32_e32 v96, v97
	v_mov_b32_e32 v0, v97
.LBB88_498:
	s_or_b64 exec, exec, s[18:19]
.LBB88_499:
	s_andn2_saveexec_b64 s[0:1], s[0:1]
	s_cbranch_execz .LBB88_501
; %bb.500:
	v_mov_b32_e32 v96, 23
	ds_write2_b64 v94, v[77:78], v[79:80] offset0:48 offset1:49
	ds_write2_b64 v94, v[73:74], v[75:76] offset0:50 offset1:51
	ds_write2_b64 v94, v[69:70], v[71:72] offset0:52 offset1:53
	ds_write2_b64 v94, v[65:66], v[67:68] offset0:54 offset1:55
	ds_write2_b64 v94, v[61:62], v[63:64] offset0:56 offset1:57
	ds_write2_b64 v94, v[57:58], v[59:60] offset0:58 offset1:59
	ds_write2_b64 v94, v[53:54], v[55:56] offset0:60 offset1:61
	ds_write2_b64 v94, v[49:50], v[51:52] offset0:62 offset1:63
	ds_write2_b64 v94, v[45:46], v[47:48] offset0:64 offset1:65
	ds_write2_b64 v94, v[41:42], v[43:44] offset0:66 offset1:67
	ds_write2_b64 v94, v[37:38], v[39:40] offset0:68 offset1:69
	ds_write2_b64 v94, v[33:34], v[35:36] offset0:70 offset1:71
	ds_write2_b64 v94, v[29:30], v[31:32] offset0:72 offset1:73
	ds_write2_b64 v94, v[25:26], v[27:28] offset0:74 offset1:75
	ds_write2_b64 v94, v[21:22], v[23:24] offset0:76 offset1:77
	ds_write2_b64 v94, v[17:18], v[19:20] offset0:78 offset1:79
	ds_write2_b64 v94, v[13:14], v[15:16] offset0:80 offset1:81
	ds_write2_b64 v94, v[9:10], v[11:12] offset0:82 offset1:83
	ds_write2_b64 v94, v[5:6], v[7:8] offset0:84 offset1:85
	ds_write2_b64 v94, v[1:2], v[3:4] offset0:86 offset1:87
	ds_write2_b64 v94, v[121:122], v[123:124] offset0:88 offset1:89
.LBB88_501:
	s_or_b64 exec, exec, s[0:1]
	v_cmp_lt_i32_e32 vcc, 23, v96
	s_waitcnt vmcnt(0) lgkmcnt(0)
	s_barrier
	s_and_saveexec_b64 s[0:1], vcc
	s_cbranch_execz .LBB88_503
; %bb.502:
	v_mul_f64 v[97:98], v[119:120], v[83:84]
	v_mul_f64 v[83:84], v[117:118], v[83:84]
	v_fma_f64 v[125:126], v[117:118], v[81:82], -v[97:98]
	v_fma_f64 v[83:84], v[119:120], v[81:82], v[83:84]
	ds_read2_b64 v[97:100], v94 offset0:48 offset1:49
	s_waitcnt lgkmcnt(0)
	v_mul_f64 v[81:82], v[99:100], v[83:84]
	v_fma_f64 v[81:82], v[97:98], v[125:126], -v[81:82]
	v_mul_f64 v[97:98], v[97:98], v[83:84]
	v_add_f64 v[77:78], v[77:78], -v[81:82]
	v_fma_f64 v[97:98], v[99:100], v[125:126], v[97:98]
	v_add_f64 v[79:80], v[79:80], -v[97:98]
	ds_read2_b64 v[97:100], v94 offset0:50 offset1:51
	s_waitcnt lgkmcnt(0)
	v_mul_f64 v[81:82], v[99:100], v[83:84]
	v_fma_f64 v[81:82], v[97:98], v[125:126], -v[81:82]
	v_mul_f64 v[97:98], v[97:98], v[83:84]
	v_add_f64 v[73:74], v[73:74], -v[81:82]
	v_fma_f64 v[97:98], v[99:100], v[125:126], v[97:98]
	v_add_f64 v[75:76], v[75:76], -v[97:98]
	;; [unrolled: 8-line block ×20, first 2 shown]
	ds_read2_b64 v[97:100], v94 offset0:88 offset1:89
	s_waitcnt lgkmcnt(0)
	v_mul_f64 v[81:82], v[99:100], v[83:84]
	v_fma_f64 v[81:82], v[97:98], v[125:126], -v[81:82]
	v_mul_f64 v[97:98], v[97:98], v[83:84]
	v_add_f64 v[121:122], v[121:122], -v[81:82]
	v_fma_f64 v[97:98], v[99:100], v[125:126], v[97:98]
	v_mov_b32_e32 v81, v125
	v_mov_b32_e32 v82, v126
	v_add_f64 v[123:124], v[123:124], -v[97:98]
.LBB88_503:
	s_or_b64 exec, exec, s[0:1]
	v_lshl_add_u32 v97, v96, 4, v94
	s_barrier
	ds_write2_b64 v97, v[77:78], v[79:80] offset1:1
	s_waitcnt lgkmcnt(0)
	s_barrier
	ds_read2_b64 v[117:120], v94 offset0:48 offset1:49
	s_cmp_lt_i32 s3, 26
	v_mov_b32_e32 v97, 24
	s_cbranch_scc1 .LBB88_506
; %bb.504:
	v_add_u32_e32 v98, 0x190, v94
	s_mov_b32 s0, 25
	v_mov_b32_e32 v97, 24
.LBB88_505:                             ; =>This Inner Loop Header: Depth=1
	s_waitcnt lgkmcnt(0)
	v_cmp_gt_f64_e32 vcc, 0, v[117:118]
	v_xor_b32_e32 v103, 0x80000000, v118
	ds_read2_b64 v[99:102], v98 offset1:1
	v_xor_b32_e32 v105, 0x80000000, v120
	v_add_u32_e32 v98, 16, v98
	s_waitcnt lgkmcnt(0)
	v_xor_b32_e32 v107, 0x80000000, v102
	v_cndmask_b32_e32 v104, v118, v103, vcc
	v_cmp_gt_f64_e32 vcc, 0, v[119:120]
	v_mov_b32_e32 v103, v117
	v_cndmask_b32_e32 v106, v120, v105, vcc
	v_cmp_gt_f64_e32 vcc, 0, v[99:100]
	v_mov_b32_e32 v105, v119
	v_add_f64 v[103:104], v[103:104], v[105:106]
	v_xor_b32_e32 v105, 0x80000000, v100
	v_cndmask_b32_e32 v106, v100, v105, vcc
	v_cmp_gt_f64_e32 vcc, 0, v[101:102]
	v_mov_b32_e32 v105, v99
	v_cndmask_b32_e32 v108, v102, v107, vcc
	v_mov_b32_e32 v107, v101
	v_add_f64 v[105:106], v[105:106], v[107:108]
	v_cmp_lt_f64_e32 vcc, v[103:104], v[105:106]
	v_cndmask_b32_e32 v117, v117, v99, vcc
	v_mov_b32_e32 v99, s0
	s_add_i32 s0, s0, 1
	v_cndmask_b32_e32 v118, v118, v100, vcc
	v_cndmask_b32_e32 v120, v120, v102, vcc
	;; [unrolled: 1-line block ×4, first 2 shown]
	s_cmp_lg_u32 s3, s0
	s_cbranch_scc1 .LBB88_505
.LBB88_506:
	s_waitcnt lgkmcnt(0)
	v_cmp_eq_f64_e32 vcc, 0, v[117:118]
	v_cmp_eq_f64_e64 s[0:1], 0, v[119:120]
	s_and_b64 s[0:1], vcc, s[0:1]
	s_and_saveexec_b64 s[18:19], s[0:1]
	s_xor_b64 s[0:1], exec, s[18:19]
; %bb.507:
	v_cmp_ne_u32_e32 vcc, 0, v95
	v_cndmask_b32_e32 v95, 25, v95, vcc
; %bb.508:
	s_andn2_saveexec_b64 s[0:1], s[0:1]
	s_cbranch_execz .LBB88_514
; %bb.509:
	v_cmp_ngt_f64_e64 s[18:19], |v[117:118]|, |v[119:120]|
	s_and_saveexec_b64 s[20:21], s[18:19]
	s_xor_b64 s[18:19], exec, s[20:21]
	s_cbranch_execz .LBB88_511
; %bb.510:
	v_div_scale_f64 v[98:99], s[20:21], v[119:120], v[119:120], v[117:118]
	v_rcp_f64_e32 v[100:101], v[98:99]
	v_fma_f64 v[102:103], -v[98:99], v[100:101], 1.0
	v_fma_f64 v[100:101], v[100:101], v[102:103], v[100:101]
	v_div_scale_f64 v[102:103], vcc, v[117:118], v[119:120], v[117:118]
	v_fma_f64 v[104:105], -v[98:99], v[100:101], 1.0
	v_fma_f64 v[100:101], v[100:101], v[104:105], v[100:101]
	v_mul_f64 v[104:105], v[102:103], v[100:101]
	v_fma_f64 v[98:99], -v[98:99], v[104:105], v[102:103]
	v_div_fmas_f64 v[98:99], v[98:99], v[100:101], v[104:105]
	v_div_fixup_f64 v[98:99], v[98:99], v[119:120], v[117:118]
	v_fma_f64 v[100:101], v[117:118], v[98:99], v[119:120]
	v_div_scale_f64 v[102:103], s[20:21], v[100:101], v[100:101], 1.0
	v_div_scale_f64 v[108:109], vcc, 1.0, v[100:101], 1.0
	v_rcp_f64_e32 v[104:105], v[102:103]
	v_fma_f64 v[106:107], -v[102:103], v[104:105], 1.0
	v_fma_f64 v[104:105], v[104:105], v[106:107], v[104:105]
	v_fma_f64 v[106:107], -v[102:103], v[104:105], 1.0
	v_fma_f64 v[104:105], v[104:105], v[106:107], v[104:105]
	v_mul_f64 v[106:107], v[108:109], v[104:105]
	v_fma_f64 v[102:103], -v[102:103], v[106:107], v[108:109]
	v_div_fmas_f64 v[102:103], v[102:103], v[104:105], v[106:107]
	v_div_fixup_f64 v[119:120], v[102:103], v[100:101], 1.0
	v_mul_f64 v[117:118], v[98:99], v[119:120]
	v_xor_b32_e32 v120, 0x80000000, v120
.LBB88_511:
	s_andn2_saveexec_b64 s[18:19], s[18:19]
	s_cbranch_execz .LBB88_513
; %bb.512:
	v_div_scale_f64 v[98:99], s[20:21], v[117:118], v[117:118], v[119:120]
	v_rcp_f64_e32 v[100:101], v[98:99]
	v_fma_f64 v[102:103], -v[98:99], v[100:101], 1.0
	v_fma_f64 v[100:101], v[100:101], v[102:103], v[100:101]
	v_div_scale_f64 v[102:103], vcc, v[119:120], v[117:118], v[119:120]
	v_fma_f64 v[104:105], -v[98:99], v[100:101], 1.0
	v_fma_f64 v[100:101], v[100:101], v[104:105], v[100:101]
	v_mul_f64 v[104:105], v[102:103], v[100:101]
	v_fma_f64 v[98:99], -v[98:99], v[104:105], v[102:103]
	v_div_fmas_f64 v[98:99], v[98:99], v[100:101], v[104:105]
	v_div_fixup_f64 v[98:99], v[98:99], v[117:118], v[119:120]
	v_fma_f64 v[100:101], v[119:120], v[98:99], v[117:118]
	v_div_scale_f64 v[102:103], s[20:21], v[100:101], v[100:101], 1.0
	v_div_scale_f64 v[108:109], vcc, 1.0, v[100:101], 1.0
	v_rcp_f64_e32 v[104:105], v[102:103]
	v_fma_f64 v[106:107], -v[102:103], v[104:105], 1.0
	v_fma_f64 v[104:105], v[104:105], v[106:107], v[104:105]
	v_fma_f64 v[106:107], -v[102:103], v[104:105], 1.0
	v_fma_f64 v[104:105], v[104:105], v[106:107], v[104:105]
	v_mul_f64 v[106:107], v[108:109], v[104:105]
	v_fma_f64 v[102:103], -v[102:103], v[106:107], v[108:109]
	v_div_fmas_f64 v[102:103], v[102:103], v[104:105], v[106:107]
	v_div_fixup_f64 v[117:118], v[102:103], v[100:101], 1.0
	v_mul_f64 v[119:120], v[98:99], -v[117:118]
.LBB88_513:
	s_or_b64 exec, exec, s[18:19]
.LBB88_514:
	s_or_b64 exec, exec, s[0:1]
	v_cmp_ne_u32_e32 vcc, v96, v97
	s_and_saveexec_b64 s[0:1], vcc
	s_xor_b64 s[0:1], exec, s[0:1]
	s_cbranch_execz .LBB88_520
; %bb.515:
	v_cmp_eq_u32_e32 vcc, 24, v96
	s_and_saveexec_b64 s[18:19], vcc
	s_cbranch_execz .LBB88_519
; %bb.516:
	v_cmp_ne_u32_e32 vcc, 24, v97
	s_xor_b64 s[20:21], s[6:7], -1
	s_and_b64 s[22:23], s[20:21], vcc
	s_and_saveexec_b64 s[20:21], s[22:23]
	s_cbranch_execz .LBB88_518
; %bb.517:
	buffer_load_dword v85, off, s[24:27], 0 offset:288 ; 4-byte Folded Reload
	buffer_load_dword v86, off, s[24:27], 0 offset:292 ; 4-byte Folded Reload
	v_ashrrev_i32_e32 v98, 31, v97
	v_lshlrev_b64 v[98:99], 2, v[97:98]
	s_waitcnt vmcnt(1)
	v_add_co_u32_e32 v98, vcc, v85, v98
	s_waitcnt vmcnt(0)
	v_addc_co_u32_e32 v99, vcc, v86, v99, vcc
	global_load_dword v0, v[98:99], off
	global_load_dword v96, v[85:86], off offset:96
	s_waitcnt vmcnt(1)
	global_store_dword v[85:86], v0, off offset:96
	s_waitcnt vmcnt(1)
	global_store_dword v[98:99], v96, off
.LBB88_518:
	s_or_b64 exec, exec, s[20:21]
	v_mov_b32_e32 v96, v97
	v_mov_b32_e32 v0, v97
.LBB88_519:
	s_or_b64 exec, exec, s[18:19]
.LBB88_520:
	s_andn2_saveexec_b64 s[0:1], s[0:1]
	s_cbranch_execz .LBB88_522
; %bb.521:
	v_mov_b32_e32 v96, 24
	ds_write2_b64 v94, v[73:74], v[75:76] offset0:50 offset1:51
	ds_write2_b64 v94, v[69:70], v[71:72] offset0:52 offset1:53
	;; [unrolled: 1-line block ×20, first 2 shown]
.LBB88_522:
	s_or_b64 exec, exec, s[0:1]
	v_cmp_lt_i32_e32 vcc, 24, v96
	s_waitcnt vmcnt(0) lgkmcnt(0)
	s_barrier
	s_and_saveexec_b64 s[0:1], vcc
	s_cbranch_execz .LBB88_524
; %bb.523:
	v_mul_f64 v[97:98], v[119:120], v[79:80]
	v_mul_f64 v[79:80], v[117:118], v[79:80]
	v_fma_f64 v[101:102], v[117:118], v[77:78], -v[97:98]
	v_fma_f64 v[79:80], v[119:120], v[77:78], v[79:80]
	ds_read2_b64 v[97:100], v94 offset0:50 offset1:51
	s_waitcnt lgkmcnt(0)
	v_mul_f64 v[77:78], v[99:100], v[79:80]
	v_fma_f64 v[77:78], v[97:98], v[101:102], -v[77:78]
	v_mul_f64 v[97:98], v[97:98], v[79:80]
	v_add_f64 v[73:74], v[73:74], -v[77:78]
	v_fma_f64 v[97:98], v[99:100], v[101:102], v[97:98]
	v_add_f64 v[75:76], v[75:76], -v[97:98]
	ds_read2_b64 v[97:100], v94 offset0:52 offset1:53
	s_waitcnt lgkmcnt(0)
	v_mul_f64 v[77:78], v[99:100], v[79:80]
	v_fma_f64 v[77:78], v[97:98], v[101:102], -v[77:78]
	v_mul_f64 v[97:98], v[97:98], v[79:80]
	v_add_f64 v[69:70], v[69:70], -v[77:78]
	v_fma_f64 v[97:98], v[99:100], v[101:102], v[97:98]
	v_add_f64 v[71:72], v[71:72], -v[97:98]
	ds_read2_b64 v[97:100], v94 offset0:54 offset1:55
	s_waitcnt lgkmcnt(0)
	v_mul_f64 v[77:78], v[99:100], v[79:80]
	v_fma_f64 v[77:78], v[97:98], v[101:102], -v[77:78]
	v_mul_f64 v[97:98], v[97:98], v[79:80]
	v_add_f64 v[65:66], v[65:66], -v[77:78]
	v_fma_f64 v[97:98], v[99:100], v[101:102], v[97:98]
	v_add_f64 v[67:68], v[67:68], -v[97:98]
	ds_read2_b64 v[97:100], v94 offset0:56 offset1:57
	s_waitcnt lgkmcnt(0)
	v_mul_f64 v[77:78], v[99:100], v[79:80]
	v_fma_f64 v[77:78], v[97:98], v[101:102], -v[77:78]
	v_mul_f64 v[97:98], v[97:98], v[79:80]
	v_add_f64 v[61:62], v[61:62], -v[77:78]
	v_fma_f64 v[97:98], v[99:100], v[101:102], v[97:98]
	v_add_f64 v[63:64], v[63:64], -v[97:98]
	ds_read2_b64 v[97:100], v94 offset0:58 offset1:59
	s_waitcnt lgkmcnt(0)
	v_mul_f64 v[77:78], v[99:100], v[79:80]
	v_fma_f64 v[77:78], v[97:98], v[101:102], -v[77:78]
	v_mul_f64 v[97:98], v[97:98], v[79:80]
	v_add_f64 v[57:58], v[57:58], -v[77:78]
	v_fma_f64 v[97:98], v[99:100], v[101:102], v[97:98]
	v_add_f64 v[59:60], v[59:60], -v[97:98]
	ds_read2_b64 v[97:100], v94 offset0:60 offset1:61
	s_waitcnt lgkmcnt(0)
	v_mul_f64 v[77:78], v[99:100], v[79:80]
	v_fma_f64 v[77:78], v[97:98], v[101:102], -v[77:78]
	v_mul_f64 v[97:98], v[97:98], v[79:80]
	v_add_f64 v[53:54], v[53:54], -v[77:78]
	v_fma_f64 v[97:98], v[99:100], v[101:102], v[97:98]
	v_add_f64 v[55:56], v[55:56], -v[97:98]
	ds_read2_b64 v[97:100], v94 offset0:62 offset1:63
	s_waitcnt lgkmcnt(0)
	v_mul_f64 v[77:78], v[99:100], v[79:80]
	v_fma_f64 v[77:78], v[97:98], v[101:102], -v[77:78]
	v_mul_f64 v[97:98], v[97:98], v[79:80]
	v_add_f64 v[49:50], v[49:50], -v[77:78]
	v_fma_f64 v[97:98], v[99:100], v[101:102], v[97:98]
	v_add_f64 v[51:52], v[51:52], -v[97:98]
	ds_read2_b64 v[97:100], v94 offset0:64 offset1:65
	s_waitcnt lgkmcnt(0)
	v_mul_f64 v[77:78], v[99:100], v[79:80]
	v_fma_f64 v[77:78], v[97:98], v[101:102], -v[77:78]
	v_mul_f64 v[97:98], v[97:98], v[79:80]
	v_add_f64 v[45:46], v[45:46], -v[77:78]
	v_fma_f64 v[97:98], v[99:100], v[101:102], v[97:98]
	v_add_f64 v[47:48], v[47:48], -v[97:98]
	ds_read2_b64 v[97:100], v94 offset0:66 offset1:67
	s_waitcnt lgkmcnt(0)
	v_mul_f64 v[77:78], v[99:100], v[79:80]
	v_fma_f64 v[77:78], v[97:98], v[101:102], -v[77:78]
	v_mul_f64 v[97:98], v[97:98], v[79:80]
	v_add_f64 v[41:42], v[41:42], -v[77:78]
	v_fma_f64 v[97:98], v[99:100], v[101:102], v[97:98]
	v_add_f64 v[43:44], v[43:44], -v[97:98]
	ds_read2_b64 v[97:100], v94 offset0:68 offset1:69
	s_waitcnt lgkmcnt(0)
	v_mul_f64 v[77:78], v[99:100], v[79:80]
	v_fma_f64 v[77:78], v[97:98], v[101:102], -v[77:78]
	v_mul_f64 v[97:98], v[97:98], v[79:80]
	v_add_f64 v[37:38], v[37:38], -v[77:78]
	v_fma_f64 v[97:98], v[99:100], v[101:102], v[97:98]
	v_add_f64 v[39:40], v[39:40], -v[97:98]
	ds_read2_b64 v[97:100], v94 offset0:70 offset1:71
	s_waitcnt lgkmcnt(0)
	v_mul_f64 v[77:78], v[99:100], v[79:80]
	v_fma_f64 v[77:78], v[97:98], v[101:102], -v[77:78]
	v_mul_f64 v[97:98], v[97:98], v[79:80]
	v_add_f64 v[33:34], v[33:34], -v[77:78]
	v_fma_f64 v[97:98], v[99:100], v[101:102], v[97:98]
	v_add_f64 v[35:36], v[35:36], -v[97:98]
	ds_read2_b64 v[97:100], v94 offset0:72 offset1:73
	s_waitcnt lgkmcnt(0)
	v_mul_f64 v[77:78], v[99:100], v[79:80]
	v_fma_f64 v[77:78], v[97:98], v[101:102], -v[77:78]
	v_mul_f64 v[97:98], v[97:98], v[79:80]
	v_add_f64 v[29:30], v[29:30], -v[77:78]
	v_fma_f64 v[97:98], v[99:100], v[101:102], v[97:98]
	v_add_f64 v[31:32], v[31:32], -v[97:98]
	ds_read2_b64 v[97:100], v94 offset0:74 offset1:75
	s_waitcnt lgkmcnt(0)
	v_mul_f64 v[77:78], v[99:100], v[79:80]
	v_fma_f64 v[77:78], v[97:98], v[101:102], -v[77:78]
	v_mul_f64 v[97:98], v[97:98], v[79:80]
	v_add_f64 v[25:26], v[25:26], -v[77:78]
	v_fma_f64 v[97:98], v[99:100], v[101:102], v[97:98]
	v_add_f64 v[27:28], v[27:28], -v[97:98]
	ds_read2_b64 v[97:100], v94 offset0:76 offset1:77
	s_waitcnt lgkmcnt(0)
	v_mul_f64 v[77:78], v[99:100], v[79:80]
	v_fma_f64 v[77:78], v[97:98], v[101:102], -v[77:78]
	v_mul_f64 v[97:98], v[97:98], v[79:80]
	v_add_f64 v[21:22], v[21:22], -v[77:78]
	v_fma_f64 v[97:98], v[99:100], v[101:102], v[97:98]
	v_add_f64 v[23:24], v[23:24], -v[97:98]
	ds_read2_b64 v[97:100], v94 offset0:78 offset1:79
	s_waitcnt lgkmcnt(0)
	v_mul_f64 v[77:78], v[99:100], v[79:80]
	v_fma_f64 v[77:78], v[97:98], v[101:102], -v[77:78]
	v_mul_f64 v[97:98], v[97:98], v[79:80]
	v_add_f64 v[17:18], v[17:18], -v[77:78]
	v_fma_f64 v[97:98], v[99:100], v[101:102], v[97:98]
	v_add_f64 v[19:20], v[19:20], -v[97:98]
	ds_read2_b64 v[97:100], v94 offset0:80 offset1:81
	s_waitcnt lgkmcnt(0)
	v_mul_f64 v[77:78], v[99:100], v[79:80]
	v_fma_f64 v[77:78], v[97:98], v[101:102], -v[77:78]
	v_mul_f64 v[97:98], v[97:98], v[79:80]
	v_add_f64 v[13:14], v[13:14], -v[77:78]
	v_fma_f64 v[97:98], v[99:100], v[101:102], v[97:98]
	v_add_f64 v[15:16], v[15:16], -v[97:98]
	ds_read2_b64 v[97:100], v94 offset0:82 offset1:83
	s_waitcnt lgkmcnt(0)
	v_mul_f64 v[77:78], v[99:100], v[79:80]
	v_fma_f64 v[77:78], v[97:98], v[101:102], -v[77:78]
	v_mul_f64 v[97:98], v[97:98], v[79:80]
	v_add_f64 v[9:10], v[9:10], -v[77:78]
	v_fma_f64 v[97:98], v[99:100], v[101:102], v[97:98]
	v_add_f64 v[11:12], v[11:12], -v[97:98]
	ds_read2_b64 v[97:100], v94 offset0:84 offset1:85
	s_waitcnt lgkmcnt(0)
	v_mul_f64 v[77:78], v[99:100], v[79:80]
	v_fma_f64 v[77:78], v[97:98], v[101:102], -v[77:78]
	v_mul_f64 v[97:98], v[97:98], v[79:80]
	v_add_f64 v[5:6], v[5:6], -v[77:78]
	v_fma_f64 v[97:98], v[99:100], v[101:102], v[97:98]
	v_add_f64 v[7:8], v[7:8], -v[97:98]
	ds_read2_b64 v[97:100], v94 offset0:86 offset1:87
	s_waitcnt lgkmcnt(0)
	v_mul_f64 v[77:78], v[99:100], v[79:80]
	v_fma_f64 v[77:78], v[97:98], v[101:102], -v[77:78]
	v_mul_f64 v[97:98], v[97:98], v[79:80]
	v_add_f64 v[1:2], v[1:2], -v[77:78]
	v_fma_f64 v[97:98], v[99:100], v[101:102], v[97:98]
	v_add_f64 v[3:4], v[3:4], -v[97:98]
	ds_read2_b64 v[97:100], v94 offset0:88 offset1:89
	s_waitcnt lgkmcnt(0)
	v_mul_f64 v[77:78], v[99:100], v[79:80]
	v_fma_f64 v[77:78], v[97:98], v[101:102], -v[77:78]
	v_mul_f64 v[97:98], v[97:98], v[79:80]
	v_add_f64 v[121:122], v[121:122], -v[77:78]
	v_fma_f64 v[97:98], v[99:100], v[101:102], v[97:98]
	v_mov_b32_e32 v77, v101
	v_mov_b32_e32 v78, v102
	v_add_f64 v[123:124], v[123:124], -v[97:98]
.LBB88_524:
	s_or_b64 exec, exec, s[0:1]
	v_lshl_add_u32 v97, v96, 4, v94
	s_barrier
	ds_write2_b64 v97, v[73:74], v[75:76] offset1:1
	s_waitcnt lgkmcnt(0)
	s_barrier
	ds_read2_b64 v[117:120], v94 offset0:50 offset1:51
	s_cmp_lt_i32 s3, 27
	v_mov_b32_e32 v97, 25
	s_cbranch_scc1 .LBB88_527
; %bb.525:
	v_add_u32_e32 v98, 0x1a0, v94
	s_mov_b32 s0, 26
	v_mov_b32_e32 v97, 25
.LBB88_526:                             ; =>This Inner Loop Header: Depth=1
	s_waitcnt lgkmcnt(0)
	v_cmp_gt_f64_e32 vcc, 0, v[117:118]
	v_xor_b32_e32 v103, 0x80000000, v118
	ds_read2_b64 v[99:102], v98 offset1:1
	v_xor_b32_e32 v105, 0x80000000, v120
	v_add_u32_e32 v98, 16, v98
	s_waitcnt lgkmcnt(0)
	v_xor_b32_e32 v107, 0x80000000, v102
	v_cndmask_b32_e32 v104, v118, v103, vcc
	v_cmp_gt_f64_e32 vcc, 0, v[119:120]
	v_mov_b32_e32 v103, v117
	v_cndmask_b32_e32 v106, v120, v105, vcc
	v_cmp_gt_f64_e32 vcc, 0, v[99:100]
	v_mov_b32_e32 v105, v119
	v_add_f64 v[103:104], v[103:104], v[105:106]
	v_xor_b32_e32 v105, 0x80000000, v100
	v_cndmask_b32_e32 v106, v100, v105, vcc
	v_cmp_gt_f64_e32 vcc, 0, v[101:102]
	v_mov_b32_e32 v105, v99
	v_cndmask_b32_e32 v108, v102, v107, vcc
	v_mov_b32_e32 v107, v101
	v_add_f64 v[105:106], v[105:106], v[107:108]
	v_cmp_lt_f64_e32 vcc, v[103:104], v[105:106]
	v_cndmask_b32_e32 v117, v117, v99, vcc
	v_mov_b32_e32 v99, s0
	s_add_i32 s0, s0, 1
	v_cndmask_b32_e32 v118, v118, v100, vcc
	v_cndmask_b32_e32 v120, v120, v102, vcc
	;; [unrolled: 1-line block ×4, first 2 shown]
	s_cmp_lg_u32 s3, s0
	s_cbranch_scc1 .LBB88_526
.LBB88_527:
	s_waitcnt lgkmcnt(0)
	v_cmp_eq_f64_e32 vcc, 0, v[117:118]
	v_cmp_eq_f64_e64 s[0:1], 0, v[119:120]
	s_and_b64 s[0:1], vcc, s[0:1]
	s_and_saveexec_b64 s[18:19], s[0:1]
	s_xor_b64 s[0:1], exec, s[18:19]
; %bb.528:
	v_cmp_ne_u32_e32 vcc, 0, v95
	v_cndmask_b32_e32 v95, 26, v95, vcc
; %bb.529:
	s_andn2_saveexec_b64 s[0:1], s[0:1]
	s_cbranch_execz .LBB88_535
; %bb.530:
	v_cmp_ngt_f64_e64 s[18:19], |v[117:118]|, |v[119:120]|
	s_and_saveexec_b64 s[20:21], s[18:19]
	s_xor_b64 s[18:19], exec, s[20:21]
	s_cbranch_execz .LBB88_532
; %bb.531:
	v_div_scale_f64 v[98:99], s[20:21], v[119:120], v[119:120], v[117:118]
	v_rcp_f64_e32 v[100:101], v[98:99]
	v_fma_f64 v[102:103], -v[98:99], v[100:101], 1.0
	v_fma_f64 v[100:101], v[100:101], v[102:103], v[100:101]
	v_div_scale_f64 v[102:103], vcc, v[117:118], v[119:120], v[117:118]
	v_fma_f64 v[104:105], -v[98:99], v[100:101], 1.0
	v_fma_f64 v[100:101], v[100:101], v[104:105], v[100:101]
	v_mul_f64 v[104:105], v[102:103], v[100:101]
	v_fma_f64 v[98:99], -v[98:99], v[104:105], v[102:103]
	v_div_fmas_f64 v[98:99], v[98:99], v[100:101], v[104:105]
	v_div_fixup_f64 v[98:99], v[98:99], v[119:120], v[117:118]
	v_fma_f64 v[100:101], v[117:118], v[98:99], v[119:120]
	v_div_scale_f64 v[102:103], s[20:21], v[100:101], v[100:101], 1.0
	v_div_scale_f64 v[108:109], vcc, 1.0, v[100:101], 1.0
	v_rcp_f64_e32 v[104:105], v[102:103]
	v_fma_f64 v[106:107], -v[102:103], v[104:105], 1.0
	v_fma_f64 v[104:105], v[104:105], v[106:107], v[104:105]
	v_fma_f64 v[106:107], -v[102:103], v[104:105], 1.0
	v_fma_f64 v[104:105], v[104:105], v[106:107], v[104:105]
	v_mul_f64 v[106:107], v[108:109], v[104:105]
	v_fma_f64 v[102:103], -v[102:103], v[106:107], v[108:109]
	v_div_fmas_f64 v[102:103], v[102:103], v[104:105], v[106:107]
	v_div_fixup_f64 v[119:120], v[102:103], v[100:101], 1.0
	v_mul_f64 v[117:118], v[98:99], v[119:120]
	v_xor_b32_e32 v120, 0x80000000, v120
.LBB88_532:
	s_andn2_saveexec_b64 s[18:19], s[18:19]
	s_cbranch_execz .LBB88_534
; %bb.533:
	v_div_scale_f64 v[98:99], s[20:21], v[117:118], v[117:118], v[119:120]
	v_rcp_f64_e32 v[100:101], v[98:99]
	v_fma_f64 v[102:103], -v[98:99], v[100:101], 1.0
	v_fma_f64 v[100:101], v[100:101], v[102:103], v[100:101]
	v_div_scale_f64 v[102:103], vcc, v[119:120], v[117:118], v[119:120]
	v_fma_f64 v[104:105], -v[98:99], v[100:101], 1.0
	v_fma_f64 v[100:101], v[100:101], v[104:105], v[100:101]
	v_mul_f64 v[104:105], v[102:103], v[100:101]
	v_fma_f64 v[98:99], -v[98:99], v[104:105], v[102:103]
	v_div_fmas_f64 v[98:99], v[98:99], v[100:101], v[104:105]
	v_div_fixup_f64 v[98:99], v[98:99], v[117:118], v[119:120]
	v_fma_f64 v[100:101], v[119:120], v[98:99], v[117:118]
	v_div_scale_f64 v[102:103], s[20:21], v[100:101], v[100:101], 1.0
	v_div_scale_f64 v[108:109], vcc, 1.0, v[100:101], 1.0
	v_rcp_f64_e32 v[104:105], v[102:103]
	v_fma_f64 v[106:107], -v[102:103], v[104:105], 1.0
	v_fma_f64 v[104:105], v[104:105], v[106:107], v[104:105]
	v_fma_f64 v[106:107], -v[102:103], v[104:105], 1.0
	v_fma_f64 v[104:105], v[104:105], v[106:107], v[104:105]
	v_mul_f64 v[106:107], v[108:109], v[104:105]
	v_fma_f64 v[102:103], -v[102:103], v[106:107], v[108:109]
	v_div_fmas_f64 v[102:103], v[102:103], v[104:105], v[106:107]
	v_div_fixup_f64 v[117:118], v[102:103], v[100:101], 1.0
	v_mul_f64 v[119:120], v[98:99], -v[117:118]
.LBB88_534:
	s_or_b64 exec, exec, s[18:19]
.LBB88_535:
	s_or_b64 exec, exec, s[0:1]
	v_cmp_ne_u32_e32 vcc, v96, v97
	s_and_saveexec_b64 s[0:1], vcc
	s_xor_b64 s[0:1], exec, s[0:1]
	s_cbranch_execz .LBB88_541
; %bb.536:
	v_cmp_eq_u32_e32 vcc, 25, v96
	s_and_saveexec_b64 s[18:19], vcc
	s_cbranch_execz .LBB88_540
; %bb.537:
	v_cmp_ne_u32_e32 vcc, 25, v97
	s_xor_b64 s[20:21], s[6:7], -1
	s_and_b64 s[22:23], s[20:21], vcc
	s_and_saveexec_b64 s[20:21], s[22:23]
	s_cbranch_execz .LBB88_539
; %bb.538:
	buffer_load_dword v85, off, s[24:27], 0 offset:288 ; 4-byte Folded Reload
	buffer_load_dword v86, off, s[24:27], 0 offset:292 ; 4-byte Folded Reload
	v_ashrrev_i32_e32 v98, 31, v97
	v_lshlrev_b64 v[98:99], 2, v[97:98]
	s_waitcnt vmcnt(1)
	v_add_co_u32_e32 v98, vcc, v85, v98
	s_waitcnt vmcnt(0)
	v_addc_co_u32_e32 v99, vcc, v86, v99, vcc
	global_load_dword v0, v[98:99], off
	global_load_dword v96, v[85:86], off offset:100
	s_waitcnt vmcnt(1)
	global_store_dword v[85:86], v0, off offset:100
	s_waitcnt vmcnt(1)
	global_store_dword v[98:99], v96, off
.LBB88_539:
	s_or_b64 exec, exec, s[20:21]
	v_mov_b32_e32 v96, v97
	v_mov_b32_e32 v0, v97
.LBB88_540:
	s_or_b64 exec, exec, s[18:19]
.LBB88_541:
	s_andn2_saveexec_b64 s[0:1], s[0:1]
	s_cbranch_execz .LBB88_543
; %bb.542:
	v_mov_b32_e32 v96, 25
	ds_write2_b64 v94, v[69:70], v[71:72] offset0:52 offset1:53
	ds_write2_b64 v94, v[65:66], v[67:68] offset0:54 offset1:55
	;; [unrolled: 1-line block ×19, first 2 shown]
.LBB88_543:
	s_or_b64 exec, exec, s[0:1]
	v_cmp_lt_i32_e32 vcc, 25, v96
	s_waitcnt vmcnt(0) lgkmcnt(0)
	s_barrier
	s_and_saveexec_b64 s[0:1], vcc
	s_cbranch_execz .LBB88_545
; %bb.544:
	v_mul_f64 v[97:98], v[119:120], v[75:76]
	v_mul_f64 v[75:76], v[117:118], v[75:76]
	ds_read2_b64 v[99:102], v94 offset0:52 offset1:53
	v_fma_f64 v[97:98], v[117:118], v[73:74], -v[97:98]
	v_fma_f64 v[75:76], v[119:120], v[73:74], v[75:76]
	s_waitcnt lgkmcnt(0)
	v_mul_f64 v[73:74], v[101:102], v[75:76]
	v_fma_f64 v[73:74], v[99:100], v[97:98], -v[73:74]
	v_mul_f64 v[99:100], v[99:100], v[75:76]
	v_add_f64 v[69:70], v[69:70], -v[73:74]
	v_fma_f64 v[99:100], v[101:102], v[97:98], v[99:100]
	v_add_f64 v[71:72], v[71:72], -v[99:100]
	ds_read2_b64 v[99:102], v94 offset0:54 offset1:55
	s_waitcnt lgkmcnt(0)
	v_mul_f64 v[73:74], v[101:102], v[75:76]
	v_fma_f64 v[73:74], v[99:100], v[97:98], -v[73:74]
	v_mul_f64 v[99:100], v[99:100], v[75:76]
	v_add_f64 v[65:66], v[65:66], -v[73:74]
	v_fma_f64 v[99:100], v[101:102], v[97:98], v[99:100]
	v_add_f64 v[67:68], v[67:68], -v[99:100]
	ds_read2_b64 v[99:102], v94 offset0:56 offset1:57
	;; [unrolled: 8-line block ×18, first 2 shown]
	s_waitcnt lgkmcnt(0)
	v_mul_f64 v[73:74], v[101:102], v[75:76]
	v_fma_f64 v[73:74], v[99:100], v[97:98], -v[73:74]
	v_mul_f64 v[99:100], v[99:100], v[75:76]
	v_add_f64 v[121:122], v[121:122], -v[73:74]
	v_fma_f64 v[99:100], v[101:102], v[97:98], v[99:100]
	v_mov_b32_e32 v73, v97
	v_mov_b32_e32 v74, v98
	v_add_f64 v[123:124], v[123:124], -v[99:100]
.LBB88_545:
	s_or_b64 exec, exec, s[0:1]
	v_lshl_add_u32 v97, v96, 4, v94
	s_barrier
	ds_write2_b64 v97, v[69:70], v[71:72] offset1:1
	s_waitcnt lgkmcnt(0)
	s_barrier
	ds_read2_b64 v[117:120], v94 offset0:52 offset1:53
	s_cmp_lt_i32 s3, 28
	v_mov_b32_e32 v97, 26
	s_cbranch_scc1 .LBB88_548
; %bb.546:
	v_add_u32_e32 v98, 0x1b0, v94
	s_mov_b32 s0, 27
	v_mov_b32_e32 v97, 26
.LBB88_547:                             ; =>This Inner Loop Header: Depth=1
	s_waitcnt lgkmcnt(0)
	v_cmp_gt_f64_e32 vcc, 0, v[117:118]
	v_xor_b32_e32 v103, 0x80000000, v118
	ds_read2_b64 v[99:102], v98 offset1:1
	v_xor_b32_e32 v105, 0x80000000, v120
	v_add_u32_e32 v98, 16, v98
	s_waitcnt lgkmcnt(0)
	v_xor_b32_e32 v107, 0x80000000, v102
	v_cndmask_b32_e32 v104, v118, v103, vcc
	v_cmp_gt_f64_e32 vcc, 0, v[119:120]
	v_mov_b32_e32 v103, v117
	v_cndmask_b32_e32 v106, v120, v105, vcc
	v_cmp_gt_f64_e32 vcc, 0, v[99:100]
	v_mov_b32_e32 v105, v119
	v_add_f64 v[103:104], v[103:104], v[105:106]
	v_xor_b32_e32 v105, 0x80000000, v100
	v_cndmask_b32_e32 v106, v100, v105, vcc
	v_cmp_gt_f64_e32 vcc, 0, v[101:102]
	v_mov_b32_e32 v105, v99
	v_cndmask_b32_e32 v108, v102, v107, vcc
	v_mov_b32_e32 v107, v101
	v_add_f64 v[105:106], v[105:106], v[107:108]
	v_cmp_lt_f64_e32 vcc, v[103:104], v[105:106]
	v_cndmask_b32_e32 v117, v117, v99, vcc
	v_mov_b32_e32 v99, s0
	s_add_i32 s0, s0, 1
	v_cndmask_b32_e32 v118, v118, v100, vcc
	v_cndmask_b32_e32 v120, v120, v102, vcc
	;; [unrolled: 1-line block ×4, first 2 shown]
	s_cmp_lg_u32 s3, s0
	s_cbranch_scc1 .LBB88_547
.LBB88_548:
	s_waitcnt lgkmcnt(0)
	v_cmp_eq_f64_e32 vcc, 0, v[117:118]
	v_cmp_eq_f64_e64 s[0:1], 0, v[119:120]
	s_and_b64 s[0:1], vcc, s[0:1]
	s_and_saveexec_b64 s[18:19], s[0:1]
	s_xor_b64 s[0:1], exec, s[18:19]
; %bb.549:
	v_cmp_ne_u32_e32 vcc, 0, v95
	v_cndmask_b32_e32 v95, 27, v95, vcc
; %bb.550:
	s_andn2_saveexec_b64 s[0:1], s[0:1]
	s_cbranch_execz .LBB88_556
; %bb.551:
	v_cmp_ngt_f64_e64 s[18:19], |v[117:118]|, |v[119:120]|
	s_and_saveexec_b64 s[20:21], s[18:19]
	s_xor_b64 s[18:19], exec, s[20:21]
	s_cbranch_execz .LBB88_553
; %bb.552:
	v_div_scale_f64 v[98:99], s[20:21], v[119:120], v[119:120], v[117:118]
	v_rcp_f64_e32 v[100:101], v[98:99]
	v_fma_f64 v[102:103], -v[98:99], v[100:101], 1.0
	v_fma_f64 v[100:101], v[100:101], v[102:103], v[100:101]
	v_div_scale_f64 v[102:103], vcc, v[117:118], v[119:120], v[117:118]
	v_fma_f64 v[104:105], -v[98:99], v[100:101], 1.0
	v_fma_f64 v[100:101], v[100:101], v[104:105], v[100:101]
	v_mul_f64 v[104:105], v[102:103], v[100:101]
	v_fma_f64 v[98:99], -v[98:99], v[104:105], v[102:103]
	v_div_fmas_f64 v[98:99], v[98:99], v[100:101], v[104:105]
	v_div_fixup_f64 v[98:99], v[98:99], v[119:120], v[117:118]
	v_fma_f64 v[100:101], v[117:118], v[98:99], v[119:120]
	v_div_scale_f64 v[102:103], s[20:21], v[100:101], v[100:101], 1.0
	v_div_scale_f64 v[108:109], vcc, 1.0, v[100:101], 1.0
	v_rcp_f64_e32 v[104:105], v[102:103]
	v_fma_f64 v[106:107], -v[102:103], v[104:105], 1.0
	v_fma_f64 v[104:105], v[104:105], v[106:107], v[104:105]
	v_fma_f64 v[106:107], -v[102:103], v[104:105], 1.0
	v_fma_f64 v[104:105], v[104:105], v[106:107], v[104:105]
	v_mul_f64 v[106:107], v[108:109], v[104:105]
	v_fma_f64 v[102:103], -v[102:103], v[106:107], v[108:109]
	v_div_fmas_f64 v[102:103], v[102:103], v[104:105], v[106:107]
	v_div_fixup_f64 v[119:120], v[102:103], v[100:101], 1.0
	v_mul_f64 v[117:118], v[98:99], v[119:120]
	v_xor_b32_e32 v120, 0x80000000, v120
.LBB88_553:
	s_andn2_saveexec_b64 s[18:19], s[18:19]
	s_cbranch_execz .LBB88_555
; %bb.554:
	v_div_scale_f64 v[98:99], s[20:21], v[117:118], v[117:118], v[119:120]
	v_rcp_f64_e32 v[100:101], v[98:99]
	v_fma_f64 v[102:103], -v[98:99], v[100:101], 1.0
	v_fma_f64 v[100:101], v[100:101], v[102:103], v[100:101]
	v_div_scale_f64 v[102:103], vcc, v[119:120], v[117:118], v[119:120]
	v_fma_f64 v[104:105], -v[98:99], v[100:101], 1.0
	v_fma_f64 v[100:101], v[100:101], v[104:105], v[100:101]
	v_mul_f64 v[104:105], v[102:103], v[100:101]
	v_fma_f64 v[98:99], -v[98:99], v[104:105], v[102:103]
	v_div_fmas_f64 v[98:99], v[98:99], v[100:101], v[104:105]
	v_div_fixup_f64 v[98:99], v[98:99], v[117:118], v[119:120]
	v_fma_f64 v[100:101], v[119:120], v[98:99], v[117:118]
	v_div_scale_f64 v[102:103], s[20:21], v[100:101], v[100:101], 1.0
	v_div_scale_f64 v[108:109], vcc, 1.0, v[100:101], 1.0
	v_rcp_f64_e32 v[104:105], v[102:103]
	v_fma_f64 v[106:107], -v[102:103], v[104:105], 1.0
	v_fma_f64 v[104:105], v[104:105], v[106:107], v[104:105]
	v_fma_f64 v[106:107], -v[102:103], v[104:105], 1.0
	v_fma_f64 v[104:105], v[104:105], v[106:107], v[104:105]
	v_mul_f64 v[106:107], v[108:109], v[104:105]
	v_fma_f64 v[102:103], -v[102:103], v[106:107], v[108:109]
	v_div_fmas_f64 v[102:103], v[102:103], v[104:105], v[106:107]
	v_div_fixup_f64 v[117:118], v[102:103], v[100:101], 1.0
	v_mul_f64 v[119:120], v[98:99], -v[117:118]
.LBB88_555:
	s_or_b64 exec, exec, s[18:19]
.LBB88_556:
	s_or_b64 exec, exec, s[0:1]
	v_cmp_ne_u32_e32 vcc, v96, v97
	s_and_saveexec_b64 s[0:1], vcc
	s_xor_b64 s[0:1], exec, s[0:1]
	s_cbranch_execz .LBB88_562
; %bb.557:
	v_cmp_eq_u32_e32 vcc, 26, v96
	s_and_saveexec_b64 s[18:19], vcc
	s_cbranch_execz .LBB88_561
; %bb.558:
	v_cmp_ne_u32_e32 vcc, 26, v97
	s_xor_b64 s[20:21], s[6:7], -1
	s_and_b64 s[22:23], s[20:21], vcc
	s_and_saveexec_b64 s[20:21], s[22:23]
	s_cbranch_execz .LBB88_560
; %bb.559:
	buffer_load_dword v85, off, s[24:27], 0 offset:288 ; 4-byte Folded Reload
	buffer_load_dword v86, off, s[24:27], 0 offset:292 ; 4-byte Folded Reload
	v_ashrrev_i32_e32 v98, 31, v97
	v_lshlrev_b64 v[98:99], 2, v[97:98]
	s_waitcnt vmcnt(1)
	v_add_co_u32_e32 v98, vcc, v85, v98
	s_waitcnt vmcnt(0)
	v_addc_co_u32_e32 v99, vcc, v86, v99, vcc
	global_load_dword v0, v[98:99], off
	global_load_dword v96, v[85:86], off offset:104
	s_waitcnt vmcnt(1)
	global_store_dword v[85:86], v0, off offset:104
	s_waitcnt vmcnt(1)
	global_store_dword v[98:99], v96, off
.LBB88_560:
	s_or_b64 exec, exec, s[20:21]
	v_mov_b32_e32 v96, v97
	v_mov_b32_e32 v0, v97
.LBB88_561:
	s_or_b64 exec, exec, s[18:19]
.LBB88_562:
	s_andn2_saveexec_b64 s[0:1], s[0:1]
	s_cbranch_execz .LBB88_564
; %bb.563:
	v_mov_b32_e32 v96, 26
	ds_write2_b64 v94, v[65:66], v[67:68] offset0:54 offset1:55
	ds_write2_b64 v94, v[61:62], v[63:64] offset0:56 offset1:57
	;; [unrolled: 1-line block ×18, first 2 shown]
.LBB88_564:
	s_or_b64 exec, exec, s[0:1]
	v_cmp_lt_i32_e32 vcc, 26, v96
	s_waitcnt vmcnt(0) lgkmcnt(0)
	s_barrier
	s_and_saveexec_b64 s[0:1], vcc
	s_cbranch_execz .LBB88_566
; %bb.565:
	v_mul_f64 v[97:98], v[119:120], v[71:72]
	v_mul_f64 v[71:72], v[117:118], v[71:72]
	ds_read2_b64 v[99:102], v94 offset0:54 offset1:55
	v_fma_f64 v[97:98], v[117:118], v[69:70], -v[97:98]
	v_fma_f64 v[71:72], v[119:120], v[69:70], v[71:72]
	s_waitcnt lgkmcnt(0)
	v_mul_f64 v[69:70], v[101:102], v[71:72]
	v_fma_f64 v[69:70], v[99:100], v[97:98], -v[69:70]
	v_mul_f64 v[99:100], v[99:100], v[71:72]
	v_add_f64 v[65:66], v[65:66], -v[69:70]
	v_fma_f64 v[99:100], v[101:102], v[97:98], v[99:100]
	v_add_f64 v[67:68], v[67:68], -v[99:100]
	ds_read2_b64 v[99:102], v94 offset0:56 offset1:57
	s_waitcnt lgkmcnt(0)
	v_mul_f64 v[69:70], v[101:102], v[71:72]
	v_fma_f64 v[69:70], v[99:100], v[97:98], -v[69:70]
	v_mul_f64 v[99:100], v[99:100], v[71:72]
	v_add_f64 v[61:62], v[61:62], -v[69:70]
	v_fma_f64 v[99:100], v[101:102], v[97:98], v[99:100]
	v_add_f64 v[63:64], v[63:64], -v[99:100]
	ds_read2_b64 v[99:102], v94 offset0:58 offset1:59
	;; [unrolled: 8-line block ×17, first 2 shown]
	s_waitcnt lgkmcnt(0)
	v_mul_f64 v[69:70], v[101:102], v[71:72]
	v_fma_f64 v[69:70], v[99:100], v[97:98], -v[69:70]
	v_mul_f64 v[99:100], v[99:100], v[71:72]
	v_add_f64 v[121:122], v[121:122], -v[69:70]
	v_fma_f64 v[99:100], v[101:102], v[97:98], v[99:100]
	v_mov_b32_e32 v69, v97
	v_mov_b32_e32 v70, v98
	v_add_f64 v[123:124], v[123:124], -v[99:100]
.LBB88_566:
	s_or_b64 exec, exec, s[0:1]
	v_lshl_add_u32 v97, v96, 4, v94
	s_barrier
	ds_write2_b64 v97, v[65:66], v[67:68] offset1:1
	s_waitcnt lgkmcnt(0)
	s_barrier
	ds_read2_b64 v[117:120], v94 offset0:54 offset1:55
	s_cmp_lt_i32 s3, 29
	v_mov_b32_e32 v97, 27
	s_cbranch_scc1 .LBB88_569
; %bb.567:
	v_add_u32_e32 v98, 0x1c0, v94
	s_mov_b32 s0, 28
	v_mov_b32_e32 v97, 27
.LBB88_568:                             ; =>This Inner Loop Header: Depth=1
	s_waitcnt lgkmcnt(0)
	v_cmp_gt_f64_e32 vcc, 0, v[117:118]
	v_xor_b32_e32 v103, 0x80000000, v118
	ds_read2_b64 v[99:102], v98 offset1:1
	v_xor_b32_e32 v105, 0x80000000, v120
	v_add_u32_e32 v98, 16, v98
	s_waitcnt lgkmcnt(0)
	v_xor_b32_e32 v107, 0x80000000, v102
	v_cndmask_b32_e32 v104, v118, v103, vcc
	v_cmp_gt_f64_e32 vcc, 0, v[119:120]
	v_mov_b32_e32 v103, v117
	v_cndmask_b32_e32 v106, v120, v105, vcc
	v_cmp_gt_f64_e32 vcc, 0, v[99:100]
	v_mov_b32_e32 v105, v119
	v_add_f64 v[103:104], v[103:104], v[105:106]
	v_xor_b32_e32 v105, 0x80000000, v100
	v_cndmask_b32_e32 v106, v100, v105, vcc
	v_cmp_gt_f64_e32 vcc, 0, v[101:102]
	v_mov_b32_e32 v105, v99
	v_cndmask_b32_e32 v108, v102, v107, vcc
	v_mov_b32_e32 v107, v101
	v_add_f64 v[105:106], v[105:106], v[107:108]
	v_cmp_lt_f64_e32 vcc, v[103:104], v[105:106]
	v_cndmask_b32_e32 v117, v117, v99, vcc
	v_mov_b32_e32 v99, s0
	s_add_i32 s0, s0, 1
	v_cndmask_b32_e32 v118, v118, v100, vcc
	v_cndmask_b32_e32 v120, v120, v102, vcc
	v_cndmask_b32_e32 v119, v119, v101, vcc
	v_cndmask_b32_e32 v97, v97, v99, vcc
	s_cmp_lg_u32 s3, s0
	s_cbranch_scc1 .LBB88_568
.LBB88_569:
	s_waitcnt lgkmcnt(0)
	v_cmp_eq_f64_e32 vcc, 0, v[117:118]
	v_cmp_eq_f64_e64 s[0:1], 0, v[119:120]
	s_and_b64 s[0:1], vcc, s[0:1]
	s_and_saveexec_b64 s[18:19], s[0:1]
	s_xor_b64 s[0:1], exec, s[18:19]
; %bb.570:
	v_cmp_ne_u32_e32 vcc, 0, v95
	v_cndmask_b32_e32 v95, 28, v95, vcc
; %bb.571:
	s_andn2_saveexec_b64 s[0:1], s[0:1]
	s_cbranch_execz .LBB88_577
; %bb.572:
	v_cmp_ngt_f64_e64 s[18:19], |v[117:118]|, |v[119:120]|
	s_and_saveexec_b64 s[20:21], s[18:19]
	s_xor_b64 s[18:19], exec, s[20:21]
	s_cbranch_execz .LBB88_574
; %bb.573:
	v_div_scale_f64 v[98:99], s[20:21], v[119:120], v[119:120], v[117:118]
	v_rcp_f64_e32 v[100:101], v[98:99]
	v_fma_f64 v[102:103], -v[98:99], v[100:101], 1.0
	v_fma_f64 v[100:101], v[100:101], v[102:103], v[100:101]
	v_div_scale_f64 v[102:103], vcc, v[117:118], v[119:120], v[117:118]
	v_fma_f64 v[104:105], -v[98:99], v[100:101], 1.0
	v_fma_f64 v[100:101], v[100:101], v[104:105], v[100:101]
	v_mul_f64 v[104:105], v[102:103], v[100:101]
	v_fma_f64 v[98:99], -v[98:99], v[104:105], v[102:103]
	v_div_fmas_f64 v[98:99], v[98:99], v[100:101], v[104:105]
	v_div_fixup_f64 v[98:99], v[98:99], v[119:120], v[117:118]
	v_fma_f64 v[100:101], v[117:118], v[98:99], v[119:120]
	v_div_scale_f64 v[102:103], s[20:21], v[100:101], v[100:101], 1.0
	v_div_scale_f64 v[108:109], vcc, 1.0, v[100:101], 1.0
	v_rcp_f64_e32 v[104:105], v[102:103]
	v_fma_f64 v[106:107], -v[102:103], v[104:105], 1.0
	v_fma_f64 v[104:105], v[104:105], v[106:107], v[104:105]
	v_fma_f64 v[106:107], -v[102:103], v[104:105], 1.0
	v_fma_f64 v[104:105], v[104:105], v[106:107], v[104:105]
	v_mul_f64 v[106:107], v[108:109], v[104:105]
	v_fma_f64 v[102:103], -v[102:103], v[106:107], v[108:109]
	v_div_fmas_f64 v[102:103], v[102:103], v[104:105], v[106:107]
	v_div_fixup_f64 v[119:120], v[102:103], v[100:101], 1.0
	v_mul_f64 v[117:118], v[98:99], v[119:120]
	v_xor_b32_e32 v120, 0x80000000, v120
.LBB88_574:
	s_andn2_saveexec_b64 s[18:19], s[18:19]
	s_cbranch_execz .LBB88_576
; %bb.575:
	v_div_scale_f64 v[98:99], s[20:21], v[117:118], v[117:118], v[119:120]
	v_rcp_f64_e32 v[100:101], v[98:99]
	v_fma_f64 v[102:103], -v[98:99], v[100:101], 1.0
	v_fma_f64 v[100:101], v[100:101], v[102:103], v[100:101]
	v_div_scale_f64 v[102:103], vcc, v[119:120], v[117:118], v[119:120]
	v_fma_f64 v[104:105], -v[98:99], v[100:101], 1.0
	v_fma_f64 v[100:101], v[100:101], v[104:105], v[100:101]
	v_mul_f64 v[104:105], v[102:103], v[100:101]
	v_fma_f64 v[98:99], -v[98:99], v[104:105], v[102:103]
	v_div_fmas_f64 v[98:99], v[98:99], v[100:101], v[104:105]
	v_div_fixup_f64 v[98:99], v[98:99], v[117:118], v[119:120]
	v_fma_f64 v[100:101], v[119:120], v[98:99], v[117:118]
	v_div_scale_f64 v[102:103], s[20:21], v[100:101], v[100:101], 1.0
	v_div_scale_f64 v[108:109], vcc, 1.0, v[100:101], 1.0
	v_rcp_f64_e32 v[104:105], v[102:103]
	v_fma_f64 v[106:107], -v[102:103], v[104:105], 1.0
	v_fma_f64 v[104:105], v[104:105], v[106:107], v[104:105]
	v_fma_f64 v[106:107], -v[102:103], v[104:105], 1.0
	v_fma_f64 v[104:105], v[104:105], v[106:107], v[104:105]
	v_mul_f64 v[106:107], v[108:109], v[104:105]
	v_fma_f64 v[102:103], -v[102:103], v[106:107], v[108:109]
	v_div_fmas_f64 v[102:103], v[102:103], v[104:105], v[106:107]
	v_div_fixup_f64 v[117:118], v[102:103], v[100:101], 1.0
	v_mul_f64 v[119:120], v[98:99], -v[117:118]
.LBB88_576:
	s_or_b64 exec, exec, s[18:19]
.LBB88_577:
	s_or_b64 exec, exec, s[0:1]
	v_cmp_ne_u32_e32 vcc, v96, v97
	s_and_saveexec_b64 s[0:1], vcc
	s_xor_b64 s[0:1], exec, s[0:1]
	s_cbranch_execz .LBB88_583
; %bb.578:
	v_cmp_eq_u32_e32 vcc, 27, v96
	s_and_saveexec_b64 s[18:19], vcc
	s_cbranch_execz .LBB88_582
; %bb.579:
	v_cmp_ne_u32_e32 vcc, 27, v97
	s_xor_b64 s[20:21], s[6:7], -1
	s_and_b64 s[22:23], s[20:21], vcc
	s_and_saveexec_b64 s[20:21], s[22:23]
	s_cbranch_execz .LBB88_581
; %bb.580:
	buffer_load_dword v85, off, s[24:27], 0 offset:288 ; 4-byte Folded Reload
	buffer_load_dword v86, off, s[24:27], 0 offset:292 ; 4-byte Folded Reload
	v_ashrrev_i32_e32 v98, 31, v97
	v_lshlrev_b64 v[98:99], 2, v[97:98]
	s_waitcnt vmcnt(1)
	v_add_co_u32_e32 v98, vcc, v85, v98
	s_waitcnt vmcnt(0)
	v_addc_co_u32_e32 v99, vcc, v86, v99, vcc
	global_load_dword v0, v[98:99], off
	global_load_dword v96, v[85:86], off offset:108
	s_waitcnt vmcnt(1)
	global_store_dword v[85:86], v0, off offset:108
	s_waitcnt vmcnt(1)
	global_store_dword v[98:99], v96, off
.LBB88_581:
	s_or_b64 exec, exec, s[20:21]
	v_mov_b32_e32 v96, v97
	v_mov_b32_e32 v0, v97
.LBB88_582:
	s_or_b64 exec, exec, s[18:19]
.LBB88_583:
	s_andn2_saveexec_b64 s[0:1], s[0:1]
	s_cbranch_execz .LBB88_585
; %bb.584:
	v_mov_b32_e32 v96, 27
	ds_write2_b64 v94, v[61:62], v[63:64] offset0:56 offset1:57
	ds_write2_b64 v94, v[57:58], v[59:60] offset0:58 offset1:59
	;; [unrolled: 1-line block ×17, first 2 shown]
.LBB88_585:
	s_or_b64 exec, exec, s[0:1]
	v_cmp_lt_i32_e32 vcc, 27, v96
	s_waitcnt vmcnt(0) lgkmcnt(0)
	s_barrier
	s_and_saveexec_b64 s[0:1], vcc
	s_cbranch_execz .LBB88_587
; %bb.586:
	v_mul_f64 v[97:98], v[119:120], v[67:68]
	v_mul_f64 v[67:68], v[117:118], v[67:68]
	ds_read2_b64 v[99:102], v94 offset0:56 offset1:57
	v_fma_f64 v[97:98], v[117:118], v[65:66], -v[97:98]
	v_fma_f64 v[67:68], v[119:120], v[65:66], v[67:68]
	s_waitcnt lgkmcnt(0)
	v_mul_f64 v[65:66], v[101:102], v[67:68]
	v_fma_f64 v[65:66], v[99:100], v[97:98], -v[65:66]
	v_mul_f64 v[99:100], v[99:100], v[67:68]
	v_add_f64 v[61:62], v[61:62], -v[65:66]
	v_fma_f64 v[99:100], v[101:102], v[97:98], v[99:100]
	v_add_f64 v[63:64], v[63:64], -v[99:100]
	ds_read2_b64 v[99:102], v94 offset0:58 offset1:59
	s_waitcnt lgkmcnt(0)
	v_mul_f64 v[65:66], v[101:102], v[67:68]
	v_fma_f64 v[65:66], v[99:100], v[97:98], -v[65:66]
	v_mul_f64 v[99:100], v[99:100], v[67:68]
	v_add_f64 v[57:58], v[57:58], -v[65:66]
	v_fma_f64 v[99:100], v[101:102], v[97:98], v[99:100]
	v_add_f64 v[59:60], v[59:60], -v[99:100]
	ds_read2_b64 v[99:102], v94 offset0:60 offset1:61
	;; [unrolled: 8-line block ×16, first 2 shown]
	s_waitcnt lgkmcnt(0)
	v_mul_f64 v[65:66], v[101:102], v[67:68]
	v_fma_f64 v[65:66], v[99:100], v[97:98], -v[65:66]
	v_mul_f64 v[99:100], v[99:100], v[67:68]
	v_add_f64 v[121:122], v[121:122], -v[65:66]
	v_fma_f64 v[99:100], v[101:102], v[97:98], v[99:100]
	v_mov_b32_e32 v65, v97
	v_mov_b32_e32 v66, v98
	v_add_f64 v[123:124], v[123:124], -v[99:100]
.LBB88_587:
	s_or_b64 exec, exec, s[0:1]
	v_lshl_add_u32 v97, v96, 4, v94
	s_barrier
	ds_write2_b64 v97, v[61:62], v[63:64] offset1:1
	s_waitcnt lgkmcnt(0)
	s_barrier
	ds_read2_b64 v[117:120], v94 offset0:56 offset1:57
	s_cmp_lt_i32 s3, 30
	v_mov_b32_e32 v97, 28
	s_cbranch_scc1 .LBB88_590
; %bb.588:
	v_add_u32_e32 v98, 0x1d0, v94
	s_mov_b32 s0, 29
	v_mov_b32_e32 v97, 28
.LBB88_589:                             ; =>This Inner Loop Header: Depth=1
	s_waitcnt lgkmcnt(0)
	v_cmp_gt_f64_e32 vcc, 0, v[117:118]
	v_xor_b32_e32 v103, 0x80000000, v118
	ds_read2_b64 v[99:102], v98 offset1:1
	v_xor_b32_e32 v105, 0x80000000, v120
	v_add_u32_e32 v98, 16, v98
	s_waitcnt lgkmcnt(0)
	v_xor_b32_e32 v107, 0x80000000, v102
	v_cndmask_b32_e32 v104, v118, v103, vcc
	v_cmp_gt_f64_e32 vcc, 0, v[119:120]
	v_mov_b32_e32 v103, v117
	v_cndmask_b32_e32 v106, v120, v105, vcc
	v_cmp_gt_f64_e32 vcc, 0, v[99:100]
	v_mov_b32_e32 v105, v119
	v_add_f64 v[103:104], v[103:104], v[105:106]
	v_xor_b32_e32 v105, 0x80000000, v100
	v_cndmask_b32_e32 v106, v100, v105, vcc
	v_cmp_gt_f64_e32 vcc, 0, v[101:102]
	v_mov_b32_e32 v105, v99
	v_cndmask_b32_e32 v108, v102, v107, vcc
	v_mov_b32_e32 v107, v101
	v_add_f64 v[105:106], v[105:106], v[107:108]
	v_cmp_lt_f64_e32 vcc, v[103:104], v[105:106]
	v_cndmask_b32_e32 v117, v117, v99, vcc
	v_mov_b32_e32 v99, s0
	s_add_i32 s0, s0, 1
	v_cndmask_b32_e32 v118, v118, v100, vcc
	v_cndmask_b32_e32 v120, v120, v102, vcc
	;; [unrolled: 1-line block ×4, first 2 shown]
	s_cmp_lg_u32 s3, s0
	s_cbranch_scc1 .LBB88_589
.LBB88_590:
	s_waitcnt lgkmcnt(0)
	v_cmp_eq_f64_e32 vcc, 0, v[117:118]
	v_cmp_eq_f64_e64 s[0:1], 0, v[119:120]
	s_and_b64 s[0:1], vcc, s[0:1]
	s_and_saveexec_b64 s[18:19], s[0:1]
	s_xor_b64 s[0:1], exec, s[18:19]
; %bb.591:
	v_cmp_ne_u32_e32 vcc, 0, v95
	v_cndmask_b32_e32 v95, 29, v95, vcc
; %bb.592:
	s_andn2_saveexec_b64 s[0:1], s[0:1]
	s_cbranch_execz .LBB88_598
; %bb.593:
	v_cmp_ngt_f64_e64 s[18:19], |v[117:118]|, |v[119:120]|
	s_and_saveexec_b64 s[20:21], s[18:19]
	s_xor_b64 s[18:19], exec, s[20:21]
	s_cbranch_execz .LBB88_595
; %bb.594:
	v_div_scale_f64 v[98:99], s[20:21], v[119:120], v[119:120], v[117:118]
	v_rcp_f64_e32 v[100:101], v[98:99]
	v_fma_f64 v[102:103], -v[98:99], v[100:101], 1.0
	v_fma_f64 v[100:101], v[100:101], v[102:103], v[100:101]
	v_div_scale_f64 v[102:103], vcc, v[117:118], v[119:120], v[117:118]
	v_fma_f64 v[104:105], -v[98:99], v[100:101], 1.0
	v_fma_f64 v[100:101], v[100:101], v[104:105], v[100:101]
	v_mul_f64 v[104:105], v[102:103], v[100:101]
	v_fma_f64 v[98:99], -v[98:99], v[104:105], v[102:103]
	v_div_fmas_f64 v[98:99], v[98:99], v[100:101], v[104:105]
	v_div_fixup_f64 v[98:99], v[98:99], v[119:120], v[117:118]
	v_fma_f64 v[100:101], v[117:118], v[98:99], v[119:120]
	v_div_scale_f64 v[102:103], s[20:21], v[100:101], v[100:101], 1.0
	v_div_scale_f64 v[108:109], vcc, 1.0, v[100:101], 1.0
	v_rcp_f64_e32 v[104:105], v[102:103]
	v_fma_f64 v[106:107], -v[102:103], v[104:105], 1.0
	v_fma_f64 v[104:105], v[104:105], v[106:107], v[104:105]
	v_fma_f64 v[106:107], -v[102:103], v[104:105], 1.0
	v_fma_f64 v[104:105], v[104:105], v[106:107], v[104:105]
	v_mul_f64 v[106:107], v[108:109], v[104:105]
	v_fma_f64 v[102:103], -v[102:103], v[106:107], v[108:109]
	v_div_fmas_f64 v[102:103], v[102:103], v[104:105], v[106:107]
	v_div_fixup_f64 v[119:120], v[102:103], v[100:101], 1.0
	v_mul_f64 v[117:118], v[98:99], v[119:120]
	v_xor_b32_e32 v120, 0x80000000, v120
.LBB88_595:
	s_andn2_saveexec_b64 s[18:19], s[18:19]
	s_cbranch_execz .LBB88_597
; %bb.596:
	v_div_scale_f64 v[98:99], s[20:21], v[117:118], v[117:118], v[119:120]
	v_rcp_f64_e32 v[100:101], v[98:99]
	v_fma_f64 v[102:103], -v[98:99], v[100:101], 1.0
	v_fma_f64 v[100:101], v[100:101], v[102:103], v[100:101]
	v_div_scale_f64 v[102:103], vcc, v[119:120], v[117:118], v[119:120]
	v_fma_f64 v[104:105], -v[98:99], v[100:101], 1.0
	v_fma_f64 v[100:101], v[100:101], v[104:105], v[100:101]
	v_mul_f64 v[104:105], v[102:103], v[100:101]
	v_fma_f64 v[98:99], -v[98:99], v[104:105], v[102:103]
	v_div_fmas_f64 v[98:99], v[98:99], v[100:101], v[104:105]
	v_div_fixup_f64 v[98:99], v[98:99], v[117:118], v[119:120]
	v_fma_f64 v[100:101], v[119:120], v[98:99], v[117:118]
	v_div_scale_f64 v[102:103], s[20:21], v[100:101], v[100:101], 1.0
	v_div_scale_f64 v[108:109], vcc, 1.0, v[100:101], 1.0
	v_rcp_f64_e32 v[104:105], v[102:103]
	v_fma_f64 v[106:107], -v[102:103], v[104:105], 1.0
	v_fma_f64 v[104:105], v[104:105], v[106:107], v[104:105]
	v_fma_f64 v[106:107], -v[102:103], v[104:105], 1.0
	v_fma_f64 v[104:105], v[104:105], v[106:107], v[104:105]
	v_mul_f64 v[106:107], v[108:109], v[104:105]
	v_fma_f64 v[102:103], -v[102:103], v[106:107], v[108:109]
	v_div_fmas_f64 v[102:103], v[102:103], v[104:105], v[106:107]
	v_div_fixup_f64 v[117:118], v[102:103], v[100:101], 1.0
	v_mul_f64 v[119:120], v[98:99], -v[117:118]
.LBB88_597:
	s_or_b64 exec, exec, s[18:19]
.LBB88_598:
	s_or_b64 exec, exec, s[0:1]
	v_cmp_ne_u32_e32 vcc, v96, v97
	s_and_saveexec_b64 s[0:1], vcc
	s_xor_b64 s[0:1], exec, s[0:1]
	s_cbranch_execz .LBB88_604
; %bb.599:
	v_cmp_eq_u32_e32 vcc, 28, v96
	s_and_saveexec_b64 s[18:19], vcc
	s_cbranch_execz .LBB88_603
; %bb.600:
	v_cmp_ne_u32_e32 vcc, 28, v97
	s_xor_b64 s[20:21], s[6:7], -1
	s_and_b64 s[22:23], s[20:21], vcc
	s_and_saveexec_b64 s[20:21], s[22:23]
	s_cbranch_execz .LBB88_602
; %bb.601:
	buffer_load_dword v85, off, s[24:27], 0 offset:288 ; 4-byte Folded Reload
	buffer_load_dword v86, off, s[24:27], 0 offset:292 ; 4-byte Folded Reload
	v_ashrrev_i32_e32 v98, 31, v97
	v_lshlrev_b64 v[98:99], 2, v[97:98]
	s_waitcnt vmcnt(1)
	v_add_co_u32_e32 v98, vcc, v85, v98
	s_waitcnt vmcnt(0)
	v_addc_co_u32_e32 v99, vcc, v86, v99, vcc
	global_load_dword v0, v[98:99], off
	global_load_dword v96, v[85:86], off offset:112
	s_waitcnt vmcnt(1)
	global_store_dword v[85:86], v0, off offset:112
	s_waitcnt vmcnt(1)
	global_store_dword v[98:99], v96, off
.LBB88_602:
	s_or_b64 exec, exec, s[20:21]
	v_mov_b32_e32 v96, v97
	v_mov_b32_e32 v0, v97
.LBB88_603:
	s_or_b64 exec, exec, s[18:19]
.LBB88_604:
	s_andn2_saveexec_b64 s[0:1], s[0:1]
	s_cbranch_execz .LBB88_606
; %bb.605:
	v_mov_b32_e32 v96, 28
	ds_write2_b64 v94, v[57:58], v[59:60] offset0:58 offset1:59
	ds_write2_b64 v94, v[53:54], v[55:56] offset0:60 offset1:61
	;; [unrolled: 1-line block ×16, first 2 shown]
.LBB88_606:
	s_or_b64 exec, exec, s[0:1]
	v_cmp_lt_i32_e32 vcc, 28, v96
	s_waitcnt vmcnt(0) lgkmcnt(0)
	s_barrier
	s_and_saveexec_b64 s[0:1], vcc
	s_cbranch_execz .LBB88_608
; %bb.607:
	v_mul_f64 v[97:98], v[117:118], v[63:64]
	v_mul_f64 v[63:64], v[119:120], v[63:64]
	ds_read2_b64 v[99:102], v94 offset0:58 offset1:59
	v_fma_f64 v[97:98], v[119:120], v[61:62], v[97:98]
	v_fma_f64 v[61:62], v[117:118], v[61:62], -v[63:64]
	s_waitcnt lgkmcnt(0)
	v_mul_f64 v[63:64], v[101:102], v[97:98]
	v_fma_f64 v[63:64], v[99:100], v[61:62], -v[63:64]
	v_mul_f64 v[99:100], v[99:100], v[97:98]
	v_add_f64 v[57:58], v[57:58], -v[63:64]
	v_fma_f64 v[99:100], v[101:102], v[61:62], v[99:100]
	v_add_f64 v[59:60], v[59:60], -v[99:100]
	ds_read2_b64 v[99:102], v94 offset0:60 offset1:61
	s_waitcnt lgkmcnt(0)
	v_mul_f64 v[63:64], v[101:102], v[97:98]
	v_fma_f64 v[63:64], v[99:100], v[61:62], -v[63:64]
	v_mul_f64 v[99:100], v[99:100], v[97:98]
	v_add_f64 v[53:54], v[53:54], -v[63:64]
	v_fma_f64 v[99:100], v[101:102], v[61:62], v[99:100]
	v_add_f64 v[55:56], v[55:56], -v[99:100]
	ds_read2_b64 v[99:102], v94 offset0:62 offset1:63
	s_waitcnt lgkmcnt(0)
	v_mul_f64 v[63:64], v[101:102], v[97:98]
	v_fma_f64 v[63:64], v[99:100], v[61:62], -v[63:64]
	v_mul_f64 v[99:100], v[99:100], v[97:98]
	v_add_f64 v[49:50], v[49:50], -v[63:64]
	v_fma_f64 v[99:100], v[101:102], v[61:62], v[99:100]
	v_add_f64 v[51:52], v[51:52], -v[99:100]
	ds_read2_b64 v[99:102], v94 offset0:64 offset1:65
	s_waitcnt lgkmcnt(0)
	v_mul_f64 v[63:64], v[101:102], v[97:98]
	v_fma_f64 v[63:64], v[99:100], v[61:62], -v[63:64]
	v_mul_f64 v[99:100], v[99:100], v[97:98]
	v_add_f64 v[45:46], v[45:46], -v[63:64]
	v_fma_f64 v[99:100], v[101:102], v[61:62], v[99:100]
	v_add_f64 v[47:48], v[47:48], -v[99:100]
	ds_read2_b64 v[99:102], v94 offset0:66 offset1:67
	s_waitcnt lgkmcnt(0)
	v_mul_f64 v[63:64], v[101:102], v[97:98]
	v_fma_f64 v[63:64], v[99:100], v[61:62], -v[63:64]
	v_mul_f64 v[99:100], v[99:100], v[97:98]
	v_add_f64 v[41:42], v[41:42], -v[63:64]
	v_fma_f64 v[99:100], v[101:102], v[61:62], v[99:100]
	v_add_f64 v[43:44], v[43:44], -v[99:100]
	ds_read2_b64 v[99:102], v94 offset0:68 offset1:69
	s_waitcnt lgkmcnt(0)
	v_mul_f64 v[63:64], v[101:102], v[97:98]
	v_fma_f64 v[63:64], v[99:100], v[61:62], -v[63:64]
	v_mul_f64 v[99:100], v[99:100], v[97:98]
	v_add_f64 v[37:38], v[37:38], -v[63:64]
	v_fma_f64 v[99:100], v[101:102], v[61:62], v[99:100]
	v_add_f64 v[39:40], v[39:40], -v[99:100]
	ds_read2_b64 v[99:102], v94 offset0:70 offset1:71
	s_waitcnt lgkmcnt(0)
	v_mul_f64 v[63:64], v[101:102], v[97:98]
	v_fma_f64 v[63:64], v[99:100], v[61:62], -v[63:64]
	v_mul_f64 v[99:100], v[99:100], v[97:98]
	v_add_f64 v[33:34], v[33:34], -v[63:64]
	v_fma_f64 v[99:100], v[101:102], v[61:62], v[99:100]
	v_add_f64 v[35:36], v[35:36], -v[99:100]
	ds_read2_b64 v[99:102], v94 offset0:72 offset1:73
	s_waitcnt lgkmcnt(0)
	v_mul_f64 v[63:64], v[101:102], v[97:98]
	v_fma_f64 v[63:64], v[99:100], v[61:62], -v[63:64]
	v_mul_f64 v[99:100], v[99:100], v[97:98]
	v_add_f64 v[29:30], v[29:30], -v[63:64]
	v_fma_f64 v[99:100], v[101:102], v[61:62], v[99:100]
	v_add_f64 v[31:32], v[31:32], -v[99:100]
	ds_read2_b64 v[99:102], v94 offset0:74 offset1:75
	s_waitcnt lgkmcnt(0)
	v_mul_f64 v[63:64], v[101:102], v[97:98]
	v_fma_f64 v[63:64], v[99:100], v[61:62], -v[63:64]
	v_mul_f64 v[99:100], v[99:100], v[97:98]
	v_add_f64 v[25:26], v[25:26], -v[63:64]
	v_fma_f64 v[99:100], v[101:102], v[61:62], v[99:100]
	v_add_f64 v[27:28], v[27:28], -v[99:100]
	ds_read2_b64 v[99:102], v94 offset0:76 offset1:77
	s_waitcnt lgkmcnt(0)
	v_mul_f64 v[63:64], v[101:102], v[97:98]
	v_fma_f64 v[63:64], v[99:100], v[61:62], -v[63:64]
	v_mul_f64 v[99:100], v[99:100], v[97:98]
	v_add_f64 v[21:22], v[21:22], -v[63:64]
	v_fma_f64 v[99:100], v[101:102], v[61:62], v[99:100]
	v_add_f64 v[23:24], v[23:24], -v[99:100]
	ds_read2_b64 v[99:102], v94 offset0:78 offset1:79
	s_waitcnt lgkmcnt(0)
	v_mul_f64 v[63:64], v[101:102], v[97:98]
	v_fma_f64 v[63:64], v[99:100], v[61:62], -v[63:64]
	v_mul_f64 v[99:100], v[99:100], v[97:98]
	v_add_f64 v[17:18], v[17:18], -v[63:64]
	v_fma_f64 v[99:100], v[101:102], v[61:62], v[99:100]
	v_add_f64 v[19:20], v[19:20], -v[99:100]
	ds_read2_b64 v[99:102], v94 offset0:80 offset1:81
	s_waitcnt lgkmcnt(0)
	v_mul_f64 v[63:64], v[101:102], v[97:98]
	v_fma_f64 v[63:64], v[99:100], v[61:62], -v[63:64]
	v_mul_f64 v[99:100], v[99:100], v[97:98]
	v_add_f64 v[13:14], v[13:14], -v[63:64]
	v_fma_f64 v[99:100], v[101:102], v[61:62], v[99:100]
	v_add_f64 v[15:16], v[15:16], -v[99:100]
	ds_read2_b64 v[99:102], v94 offset0:82 offset1:83
	s_waitcnt lgkmcnt(0)
	v_mul_f64 v[63:64], v[101:102], v[97:98]
	v_fma_f64 v[63:64], v[99:100], v[61:62], -v[63:64]
	v_mul_f64 v[99:100], v[99:100], v[97:98]
	v_add_f64 v[9:10], v[9:10], -v[63:64]
	v_fma_f64 v[99:100], v[101:102], v[61:62], v[99:100]
	v_add_f64 v[11:12], v[11:12], -v[99:100]
	ds_read2_b64 v[99:102], v94 offset0:84 offset1:85
	s_waitcnt lgkmcnt(0)
	v_mul_f64 v[63:64], v[101:102], v[97:98]
	v_fma_f64 v[63:64], v[99:100], v[61:62], -v[63:64]
	v_mul_f64 v[99:100], v[99:100], v[97:98]
	v_add_f64 v[5:6], v[5:6], -v[63:64]
	v_fma_f64 v[99:100], v[101:102], v[61:62], v[99:100]
	v_add_f64 v[7:8], v[7:8], -v[99:100]
	ds_read2_b64 v[99:102], v94 offset0:86 offset1:87
	s_waitcnt lgkmcnt(0)
	v_mul_f64 v[63:64], v[101:102], v[97:98]
	v_fma_f64 v[63:64], v[99:100], v[61:62], -v[63:64]
	v_mul_f64 v[99:100], v[99:100], v[97:98]
	v_add_f64 v[1:2], v[1:2], -v[63:64]
	v_fma_f64 v[99:100], v[101:102], v[61:62], v[99:100]
	v_add_f64 v[3:4], v[3:4], -v[99:100]
	ds_read2_b64 v[99:102], v94 offset0:88 offset1:89
	s_waitcnt lgkmcnt(0)
	v_mul_f64 v[63:64], v[101:102], v[97:98]
	v_fma_f64 v[63:64], v[99:100], v[61:62], -v[63:64]
	v_mul_f64 v[99:100], v[99:100], v[97:98]
	v_add_f64 v[121:122], v[121:122], -v[63:64]
	v_fma_f64 v[99:100], v[101:102], v[61:62], v[99:100]
	v_mov_b32_e32 v63, v97
	v_mov_b32_e32 v64, v98
	v_add_f64 v[123:124], v[123:124], -v[99:100]
.LBB88_608:
	s_or_b64 exec, exec, s[0:1]
	v_lshl_add_u32 v97, v96, 4, v94
	s_barrier
	ds_write2_b64 v97, v[57:58], v[59:60] offset1:1
	s_waitcnt lgkmcnt(0)
	s_barrier
	ds_read2_b64 v[117:120], v94 offset0:58 offset1:59
	s_cmp_lt_i32 s3, 31
	v_mov_b32_e32 v97, 29
	s_cbranch_scc1 .LBB88_611
; %bb.609:
	v_add_u32_e32 v98, 0x1e0, v94
	s_mov_b32 s0, 30
	v_mov_b32_e32 v97, 29
.LBB88_610:                             ; =>This Inner Loop Header: Depth=1
	s_waitcnt lgkmcnt(0)
	v_cmp_gt_f64_e32 vcc, 0, v[117:118]
	v_xor_b32_e32 v103, 0x80000000, v118
	ds_read2_b64 v[99:102], v98 offset1:1
	v_xor_b32_e32 v105, 0x80000000, v120
	v_add_u32_e32 v98, 16, v98
	s_waitcnt lgkmcnt(0)
	v_xor_b32_e32 v107, 0x80000000, v102
	v_cndmask_b32_e32 v104, v118, v103, vcc
	v_cmp_gt_f64_e32 vcc, 0, v[119:120]
	v_mov_b32_e32 v103, v117
	v_cndmask_b32_e32 v106, v120, v105, vcc
	v_cmp_gt_f64_e32 vcc, 0, v[99:100]
	v_mov_b32_e32 v105, v119
	v_add_f64 v[103:104], v[103:104], v[105:106]
	v_xor_b32_e32 v105, 0x80000000, v100
	v_cndmask_b32_e32 v106, v100, v105, vcc
	v_cmp_gt_f64_e32 vcc, 0, v[101:102]
	v_mov_b32_e32 v105, v99
	v_cndmask_b32_e32 v108, v102, v107, vcc
	v_mov_b32_e32 v107, v101
	v_add_f64 v[105:106], v[105:106], v[107:108]
	v_cmp_lt_f64_e32 vcc, v[103:104], v[105:106]
	v_cndmask_b32_e32 v117, v117, v99, vcc
	v_mov_b32_e32 v99, s0
	s_add_i32 s0, s0, 1
	v_cndmask_b32_e32 v118, v118, v100, vcc
	v_cndmask_b32_e32 v120, v120, v102, vcc
	;; [unrolled: 1-line block ×4, first 2 shown]
	s_cmp_lg_u32 s3, s0
	s_cbranch_scc1 .LBB88_610
.LBB88_611:
	s_waitcnt lgkmcnt(0)
	v_cmp_eq_f64_e32 vcc, 0, v[117:118]
	v_cmp_eq_f64_e64 s[0:1], 0, v[119:120]
	s_and_b64 s[0:1], vcc, s[0:1]
	s_and_saveexec_b64 s[18:19], s[0:1]
	s_xor_b64 s[0:1], exec, s[18:19]
; %bb.612:
	v_cmp_ne_u32_e32 vcc, 0, v95
	v_cndmask_b32_e32 v95, 30, v95, vcc
; %bb.613:
	s_andn2_saveexec_b64 s[0:1], s[0:1]
	s_cbranch_execz .LBB88_619
; %bb.614:
	v_cmp_ngt_f64_e64 s[18:19], |v[117:118]|, |v[119:120]|
	s_and_saveexec_b64 s[20:21], s[18:19]
	s_xor_b64 s[18:19], exec, s[20:21]
	s_cbranch_execz .LBB88_616
; %bb.615:
	v_div_scale_f64 v[98:99], s[20:21], v[119:120], v[119:120], v[117:118]
	v_rcp_f64_e32 v[100:101], v[98:99]
	v_fma_f64 v[102:103], -v[98:99], v[100:101], 1.0
	v_fma_f64 v[100:101], v[100:101], v[102:103], v[100:101]
	v_div_scale_f64 v[102:103], vcc, v[117:118], v[119:120], v[117:118]
	v_fma_f64 v[104:105], -v[98:99], v[100:101], 1.0
	v_fma_f64 v[100:101], v[100:101], v[104:105], v[100:101]
	v_mul_f64 v[104:105], v[102:103], v[100:101]
	v_fma_f64 v[98:99], -v[98:99], v[104:105], v[102:103]
	v_div_fmas_f64 v[98:99], v[98:99], v[100:101], v[104:105]
	v_div_fixup_f64 v[98:99], v[98:99], v[119:120], v[117:118]
	v_fma_f64 v[100:101], v[117:118], v[98:99], v[119:120]
	v_div_scale_f64 v[102:103], s[20:21], v[100:101], v[100:101], 1.0
	v_div_scale_f64 v[108:109], vcc, 1.0, v[100:101], 1.0
	v_rcp_f64_e32 v[104:105], v[102:103]
	v_fma_f64 v[106:107], -v[102:103], v[104:105], 1.0
	v_fma_f64 v[104:105], v[104:105], v[106:107], v[104:105]
	v_fma_f64 v[106:107], -v[102:103], v[104:105], 1.0
	v_fma_f64 v[104:105], v[104:105], v[106:107], v[104:105]
	v_mul_f64 v[106:107], v[108:109], v[104:105]
	v_fma_f64 v[102:103], -v[102:103], v[106:107], v[108:109]
	v_div_fmas_f64 v[102:103], v[102:103], v[104:105], v[106:107]
	v_div_fixup_f64 v[119:120], v[102:103], v[100:101], 1.0
	v_mul_f64 v[117:118], v[98:99], v[119:120]
	v_xor_b32_e32 v120, 0x80000000, v120
.LBB88_616:
	s_andn2_saveexec_b64 s[18:19], s[18:19]
	s_cbranch_execz .LBB88_618
; %bb.617:
	v_div_scale_f64 v[98:99], s[20:21], v[117:118], v[117:118], v[119:120]
	v_rcp_f64_e32 v[100:101], v[98:99]
	v_fma_f64 v[102:103], -v[98:99], v[100:101], 1.0
	v_fma_f64 v[100:101], v[100:101], v[102:103], v[100:101]
	v_div_scale_f64 v[102:103], vcc, v[119:120], v[117:118], v[119:120]
	v_fma_f64 v[104:105], -v[98:99], v[100:101], 1.0
	v_fma_f64 v[100:101], v[100:101], v[104:105], v[100:101]
	v_mul_f64 v[104:105], v[102:103], v[100:101]
	v_fma_f64 v[98:99], -v[98:99], v[104:105], v[102:103]
	v_div_fmas_f64 v[98:99], v[98:99], v[100:101], v[104:105]
	v_div_fixup_f64 v[98:99], v[98:99], v[117:118], v[119:120]
	v_fma_f64 v[100:101], v[119:120], v[98:99], v[117:118]
	v_div_scale_f64 v[102:103], s[20:21], v[100:101], v[100:101], 1.0
	v_div_scale_f64 v[108:109], vcc, 1.0, v[100:101], 1.0
	v_rcp_f64_e32 v[104:105], v[102:103]
	v_fma_f64 v[106:107], -v[102:103], v[104:105], 1.0
	v_fma_f64 v[104:105], v[104:105], v[106:107], v[104:105]
	v_fma_f64 v[106:107], -v[102:103], v[104:105], 1.0
	v_fma_f64 v[104:105], v[104:105], v[106:107], v[104:105]
	v_mul_f64 v[106:107], v[108:109], v[104:105]
	v_fma_f64 v[102:103], -v[102:103], v[106:107], v[108:109]
	v_div_fmas_f64 v[102:103], v[102:103], v[104:105], v[106:107]
	v_div_fixup_f64 v[117:118], v[102:103], v[100:101], 1.0
	v_mul_f64 v[119:120], v[98:99], -v[117:118]
.LBB88_618:
	s_or_b64 exec, exec, s[18:19]
.LBB88_619:
	s_or_b64 exec, exec, s[0:1]
	v_cmp_ne_u32_e32 vcc, v96, v97
	s_and_saveexec_b64 s[0:1], vcc
	s_xor_b64 s[0:1], exec, s[0:1]
	s_cbranch_execz .LBB88_625
; %bb.620:
	v_cmp_eq_u32_e32 vcc, 29, v96
	s_and_saveexec_b64 s[18:19], vcc
	s_cbranch_execz .LBB88_624
; %bb.621:
	v_cmp_ne_u32_e32 vcc, 29, v97
	s_xor_b64 s[20:21], s[6:7], -1
	s_and_b64 s[22:23], s[20:21], vcc
	s_and_saveexec_b64 s[20:21], s[22:23]
	s_cbranch_execz .LBB88_623
; %bb.622:
	buffer_load_dword v85, off, s[24:27], 0 offset:288 ; 4-byte Folded Reload
	buffer_load_dword v86, off, s[24:27], 0 offset:292 ; 4-byte Folded Reload
	v_ashrrev_i32_e32 v98, 31, v97
	v_lshlrev_b64 v[98:99], 2, v[97:98]
	s_waitcnt vmcnt(1)
	v_add_co_u32_e32 v98, vcc, v85, v98
	s_waitcnt vmcnt(0)
	v_addc_co_u32_e32 v99, vcc, v86, v99, vcc
	global_load_dword v0, v[98:99], off
	global_load_dword v96, v[85:86], off offset:116
	s_waitcnt vmcnt(1)
	global_store_dword v[85:86], v0, off offset:116
	s_waitcnt vmcnt(1)
	global_store_dword v[98:99], v96, off
.LBB88_623:
	s_or_b64 exec, exec, s[20:21]
	v_mov_b32_e32 v96, v97
	v_mov_b32_e32 v0, v97
.LBB88_624:
	s_or_b64 exec, exec, s[18:19]
.LBB88_625:
	s_andn2_saveexec_b64 s[0:1], s[0:1]
	s_cbranch_execz .LBB88_627
; %bb.626:
	v_mov_b32_e32 v96, 29
	ds_write2_b64 v94, v[53:54], v[55:56] offset0:60 offset1:61
	ds_write2_b64 v94, v[49:50], v[51:52] offset0:62 offset1:63
	;; [unrolled: 1-line block ×15, first 2 shown]
.LBB88_627:
	s_or_b64 exec, exec, s[0:1]
	v_cmp_lt_i32_e32 vcc, 29, v96
	s_waitcnt vmcnt(0) lgkmcnt(0)
	s_barrier
	s_and_saveexec_b64 s[0:1], vcc
	s_cbranch_execz .LBB88_629
; %bb.628:
	v_mul_f64 v[97:98], v[117:118], v[59:60]
	v_mul_f64 v[59:60], v[119:120], v[59:60]
	ds_read2_b64 v[99:102], v94 offset0:60 offset1:61
	v_fma_f64 v[97:98], v[119:120], v[57:58], v[97:98]
	v_fma_f64 v[57:58], v[117:118], v[57:58], -v[59:60]
	s_waitcnt lgkmcnt(0)
	v_mul_f64 v[59:60], v[101:102], v[97:98]
	v_fma_f64 v[59:60], v[99:100], v[57:58], -v[59:60]
	v_mul_f64 v[99:100], v[99:100], v[97:98]
	v_add_f64 v[53:54], v[53:54], -v[59:60]
	v_fma_f64 v[99:100], v[101:102], v[57:58], v[99:100]
	v_add_f64 v[55:56], v[55:56], -v[99:100]
	ds_read2_b64 v[99:102], v94 offset0:62 offset1:63
	s_waitcnt lgkmcnt(0)
	v_mul_f64 v[59:60], v[101:102], v[97:98]
	v_fma_f64 v[59:60], v[99:100], v[57:58], -v[59:60]
	v_mul_f64 v[99:100], v[99:100], v[97:98]
	v_add_f64 v[49:50], v[49:50], -v[59:60]
	v_fma_f64 v[99:100], v[101:102], v[57:58], v[99:100]
	v_add_f64 v[51:52], v[51:52], -v[99:100]
	ds_read2_b64 v[99:102], v94 offset0:64 offset1:65
	;; [unrolled: 8-line block ×14, first 2 shown]
	s_waitcnt lgkmcnt(0)
	v_mul_f64 v[59:60], v[101:102], v[97:98]
	v_fma_f64 v[59:60], v[99:100], v[57:58], -v[59:60]
	v_mul_f64 v[99:100], v[99:100], v[97:98]
	v_add_f64 v[121:122], v[121:122], -v[59:60]
	v_fma_f64 v[99:100], v[101:102], v[57:58], v[99:100]
	v_mov_b32_e32 v59, v97
	v_mov_b32_e32 v60, v98
	v_add_f64 v[123:124], v[123:124], -v[99:100]
.LBB88_629:
	s_or_b64 exec, exec, s[0:1]
	v_lshl_add_u32 v97, v96, 4, v94
	s_barrier
	ds_write2_b64 v97, v[53:54], v[55:56] offset1:1
	s_waitcnt lgkmcnt(0)
	s_barrier
	ds_read2_b64 v[117:120], v94 offset0:60 offset1:61
	s_cmp_lt_i32 s3, 32
	v_mov_b32_e32 v97, 30
	s_cbranch_scc1 .LBB88_632
; %bb.630:
	v_add_u32_e32 v98, 0x1f0, v94
	s_mov_b32 s0, 31
	v_mov_b32_e32 v97, 30
.LBB88_631:                             ; =>This Inner Loop Header: Depth=1
	s_waitcnt lgkmcnt(0)
	v_cmp_gt_f64_e32 vcc, 0, v[117:118]
	v_xor_b32_e32 v103, 0x80000000, v118
	ds_read2_b64 v[99:102], v98 offset1:1
	v_xor_b32_e32 v105, 0x80000000, v120
	v_add_u32_e32 v98, 16, v98
	s_waitcnt lgkmcnt(0)
	v_xor_b32_e32 v107, 0x80000000, v102
	v_cndmask_b32_e32 v104, v118, v103, vcc
	v_cmp_gt_f64_e32 vcc, 0, v[119:120]
	v_mov_b32_e32 v103, v117
	v_cndmask_b32_e32 v106, v120, v105, vcc
	v_cmp_gt_f64_e32 vcc, 0, v[99:100]
	v_mov_b32_e32 v105, v119
	v_add_f64 v[103:104], v[103:104], v[105:106]
	v_xor_b32_e32 v105, 0x80000000, v100
	v_cndmask_b32_e32 v106, v100, v105, vcc
	v_cmp_gt_f64_e32 vcc, 0, v[101:102]
	v_mov_b32_e32 v105, v99
	v_cndmask_b32_e32 v108, v102, v107, vcc
	v_mov_b32_e32 v107, v101
	v_add_f64 v[105:106], v[105:106], v[107:108]
	v_cmp_lt_f64_e32 vcc, v[103:104], v[105:106]
	v_cndmask_b32_e32 v117, v117, v99, vcc
	v_mov_b32_e32 v99, s0
	s_add_i32 s0, s0, 1
	v_cndmask_b32_e32 v118, v118, v100, vcc
	v_cndmask_b32_e32 v120, v120, v102, vcc
	;; [unrolled: 1-line block ×4, first 2 shown]
	s_cmp_lg_u32 s3, s0
	s_cbranch_scc1 .LBB88_631
.LBB88_632:
	s_waitcnt lgkmcnt(0)
	v_cmp_eq_f64_e32 vcc, 0, v[117:118]
	v_cmp_eq_f64_e64 s[0:1], 0, v[119:120]
	s_and_b64 s[0:1], vcc, s[0:1]
	s_and_saveexec_b64 s[18:19], s[0:1]
	s_xor_b64 s[0:1], exec, s[18:19]
; %bb.633:
	v_cmp_ne_u32_e32 vcc, 0, v95
	v_cndmask_b32_e32 v95, 31, v95, vcc
; %bb.634:
	s_andn2_saveexec_b64 s[0:1], s[0:1]
	s_cbranch_execz .LBB88_640
; %bb.635:
	v_cmp_ngt_f64_e64 s[18:19], |v[117:118]|, |v[119:120]|
	s_and_saveexec_b64 s[20:21], s[18:19]
	s_xor_b64 s[18:19], exec, s[20:21]
	s_cbranch_execz .LBB88_637
; %bb.636:
	v_div_scale_f64 v[98:99], s[20:21], v[119:120], v[119:120], v[117:118]
	v_rcp_f64_e32 v[100:101], v[98:99]
	v_fma_f64 v[102:103], -v[98:99], v[100:101], 1.0
	v_fma_f64 v[100:101], v[100:101], v[102:103], v[100:101]
	v_div_scale_f64 v[102:103], vcc, v[117:118], v[119:120], v[117:118]
	v_fma_f64 v[104:105], -v[98:99], v[100:101], 1.0
	v_fma_f64 v[100:101], v[100:101], v[104:105], v[100:101]
	v_mul_f64 v[104:105], v[102:103], v[100:101]
	v_fma_f64 v[98:99], -v[98:99], v[104:105], v[102:103]
	v_div_fmas_f64 v[98:99], v[98:99], v[100:101], v[104:105]
	v_div_fixup_f64 v[98:99], v[98:99], v[119:120], v[117:118]
	v_fma_f64 v[100:101], v[117:118], v[98:99], v[119:120]
	v_div_scale_f64 v[102:103], s[20:21], v[100:101], v[100:101], 1.0
	v_div_scale_f64 v[108:109], vcc, 1.0, v[100:101], 1.0
	v_rcp_f64_e32 v[104:105], v[102:103]
	v_fma_f64 v[106:107], -v[102:103], v[104:105], 1.0
	v_fma_f64 v[104:105], v[104:105], v[106:107], v[104:105]
	v_fma_f64 v[106:107], -v[102:103], v[104:105], 1.0
	v_fma_f64 v[104:105], v[104:105], v[106:107], v[104:105]
	v_mul_f64 v[106:107], v[108:109], v[104:105]
	v_fma_f64 v[102:103], -v[102:103], v[106:107], v[108:109]
	v_div_fmas_f64 v[102:103], v[102:103], v[104:105], v[106:107]
	v_div_fixup_f64 v[119:120], v[102:103], v[100:101], 1.0
	v_mul_f64 v[117:118], v[98:99], v[119:120]
	v_xor_b32_e32 v120, 0x80000000, v120
.LBB88_637:
	s_andn2_saveexec_b64 s[18:19], s[18:19]
	s_cbranch_execz .LBB88_639
; %bb.638:
	v_div_scale_f64 v[98:99], s[20:21], v[117:118], v[117:118], v[119:120]
	v_rcp_f64_e32 v[100:101], v[98:99]
	v_fma_f64 v[102:103], -v[98:99], v[100:101], 1.0
	v_fma_f64 v[100:101], v[100:101], v[102:103], v[100:101]
	v_div_scale_f64 v[102:103], vcc, v[119:120], v[117:118], v[119:120]
	v_fma_f64 v[104:105], -v[98:99], v[100:101], 1.0
	v_fma_f64 v[100:101], v[100:101], v[104:105], v[100:101]
	v_mul_f64 v[104:105], v[102:103], v[100:101]
	v_fma_f64 v[98:99], -v[98:99], v[104:105], v[102:103]
	v_div_fmas_f64 v[98:99], v[98:99], v[100:101], v[104:105]
	v_div_fixup_f64 v[98:99], v[98:99], v[117:118], v[119:120]
	v_fma_f64 v[100:101], v[119:120], v[98:99], v[117:118]
	v_div_scale_f64 v[102:103], s[20:21], v[100:101], v[100:101], 1.0
	v_div_scale_f64 v[108:109], vcc, 1.0, v[100:101], 1.0
	v_rcp_f64_e32 v[104:105], v[102:103]
	v_fma_f64 v[106:107], -v[102:103], v[104:105], 1.0
	v_fma_f64 v[104:105], v[104:105], v[106:107], v[104:105]
	v_fma_f64 v[106:107], -v[102:103], v[104:105], 1.0
	v_fma_f64 v[104:105], v[104:105], v[106:107], v[104:105]
	v_mul_f64 v[106:107], v[108:109], v[104:105]
	v_fma_f64 v[102:103], -v[102:103], v[106:107], v[108:109]
	v_div_fmas_f64 v[102:103], v[102:103], v[104:105], v[106:107]
	v_div_fixup_f64 v[117:118], v[102:103], v[100:101], 1.0
	v_mul_f64 v[119:120], v[98:99], -v[117:118]
.LBB88_639:
	s_or_b64 exec, exec, s[18:19]
.LBB88_640:
	s_or_b64 exec, exec, s[0:1]
	v_cmp_ne_u32_e32 vcc, v96, v97
	s_and_saveexec_b64 s[0:1], vcc
	s_xor_b64 s[0:1], exec, s[0:1]
	s_cbranch_execz .LBB88_646
; %bb.641:
	v_cmp_eq_u32_e32 vcc, 30, v96
	s_and_saveexec_b64 s[18:19], vcc
	s_cbranch_execz .LBB88_645
; %bb.642:
	v_cmp_ne_u32_e32 vcc, 30, v97
	s_xor_b64 s[20:21], s[6:7], -1
	s_and_b64 s[22:23], s[20:21], vcc
	s_and_saveexec_b64 s[20:21], s[22:23]
	s_cbranch_execz .LBB88_644
; %bb.643:
	buffer_load_dword v85, off, s[24:27], 0 offset:288 ; 4-byte Folded Reload
	buffer_load_dword v86, off, s[24:27], 0 offset:292 ; 4-byte Folded Reload
	v_ashrrev_i32_e32 v98, 31, v97
	v_lshlrev_b64 v[98:99], 2, v[97:98]
	s_waitcnt vmcnt(1)
	v_add_co_u32_e32 v98, vcc, v85, v98
	s_waitcnt vmcnt(0)
	v_addc_co_u32_e32 v99, vcc, v86, v99, vcc
	global_load_dword v0, v[98:99], off
	global_load_dword v96, v[85:86], off offset:120
	s_waitcnt vmcnt(1)
	global_store_dword v[85:86], v0, off offset:120
	s_waitcnt vmcnt(1)
	global_store_dword v[98:99], v96, off
.LBB88_644:
	s_or_b64 exec, exec, s[20:21]
	v_mov_b32_e32 v96, v97
	v_mov_b32_e32 v0, v97
.LBB88_645:
	s_or_b64 exec, exec, s[18:19]
.LBB88_646:
	s_andn2_saveexec_b64 s[0:1], s[0:1]
	s_cbranch_execz .LBB88_648
; %bb.647:
	v_mov_b32_e32 v96, 30
	ds_write2_b64 v94, v[49:50], v[51:52] offset0:62 offset1:63
	ds_write2_b64 v94, v[45:46], v[47:48] offset0:64 offset1:65
	;; [unrolled: 1-line block ×14, first 2 shown]
.LBB88_648:
	s_or_b64 exec, exec, s[0:1]
	v_cmp_lt_i32_e32 vcc, 30, v96
	s_waitcnt vmcnt(0) lgkmcnt(0)
	s_barrier
	s_and_saveexec_b64 s[0:1], vcc
	s_cbranch_execz .LBB88_650
; %bb.649:
	v_mul_f64 v[97:98], v[117:118], v[55:56]
	v_mul_f64 v[55:56], v[119:120], v[55:56]
	ds_read2_b64 v[99:102], v94 offset0:62 offset1:63
	v_fma_f64 v[97:98], v[119:120], v[53:54], v[97:98]
	v_fma_f64 v[53:54], v[117:118], v[53:54], -v[55:56]
	s_waitcnt lgkmcnt(0)
	v_mul_f64 v[55:56], v[101:102], v[97:98]
	v_fma_f64 v[55:56], v[99:100], v[53:54], -v[55:56]
	v_mul_f64 v[99:100], v[99:100], v[97:98]
	v_add_f64 v[49:50], v[49:50], -v[55:56]
	v_fma_f64 v[99:100], v[101:102], v[53:54], v[99:100]
	v_add_f64 v[51:52], v[51:52], -v[99:100]
	ds_read2_b64 v[99:102], v94 offset0:64 offset1:65
	s_waitcnt lgkmcnt(0)
	v_mul_f64 v[55:56], v[101:102], v[97:98]
	v_fma_f64 v[55:56], v[99:100], v[53:54], -v[55:56]
	v_mul_f64 v[99:100], v[99:100], v[97:98]
	v_add_f64 v[45:46], v[45:46], -v[55:56]
	v_fma_f64 v[99:100], v[101:102], v[53:54], v[99:100]
	v_add_f64 v[47:48], v[47:48], -v[99:100]
	ds_read2_b64 v[99:102], v94 offset0:66 offset1:67
	;; [unrolled: 8-line block ×13, first 2 shown]
	s_waitcnt lgkmcnt(0)
	v_mul_f64 v[55:56], v[101:102], v[97:98]
	v_fma_f64 v[55:56], v[99:100], v[53:54], -v[55:56]
	v_mul_f64 v[99:100], v[99:100], v[97:98]
	v_add_f64 v[121:122], v[121:122], -v[55:56]
	v_fma_f64 v[99:100], v[101:102], v[53:54], v[99:100]
	v_mov_b32_e32 v55, v97
	v_mov_b32_e32 v56, v98
	v_add_f64 v[123:124], v[123:124], -v[99:100]
.LBB88_650:
	s_or_b64 exec, exec, s[0:1]
	v_lshl_add_u32 v97, v96, 4, v94
	s_barrier
	ds_write2_b64 v97, v[49:50], v[51:52] offset1:1
	s_waitcnt lgkmcnt(0)
	s_barrier
	ds_read2_b64 v[117:120], v94 offset0:62 offset1:63
	s_cmp_lt_i32 s3, 33
	v_mov_b32_e32 v97, 31
	s_cbranch_scc1 .LBB88_653
; %bb.651:
	v_add_u32_e32 v98, 0x200, v94
	s_mov_b32 s0, 32
	v_mov_b32_e32 v97, 31
.LBB88_652:                             ; =>This Inner Loop Header: Depth=1
	s_waitcnt lgkmcnt(0)
	v_cmp_gt_f64_e32 vcc, 0, v[117:118]
	v_xor_b32_e32 v103, 0x80000000, v118
	ds_read2_b64 v[99:102], v98 offset1:1
	v_xor_b32_e32 v105, 0x80000000, v120
	v_add_u32_e32 v98, 16, v98
	s_waitcnt lgkmcnt(0)
	v_xor_b32_e32 v107, 0x80000000, v102
	v_cndmask_b32_e32 v104, v118, v103, vcc
	v_cmp_gt_f64_e32 vcc, 0, v[119:120]
	v_mov_b32_e32 v103, v117
	v_cndmask_b32_e32 v106, v120, v105, vcc
	v_cmp_gt_f64_e32 vcc, 0, v[99:100]
	v_mov_b32_e32 v105, v119
	v_add_f64 v[103:104], v[103:104], v[105:106]
	v_xor_b32_e32 v105, 0x80000000, v100
	v_cndmask_b32_e32 v106, v100, v105, vcc
	v_cmp_gt_f64_e32 vcc, 0, v[101:102]
	v_mov_b32_e32 v105, v99
	v_cndmask_b32_e32 v108, v102, v107, vcc
	v_mov_b32_e32 v107, v101
	v_add_f64 v[105:106], v[105:106], v[107:108]
	v_cmp_lt_f64_e32 vcc, v[103:104], v[105:106]
	v_cndmask_b32_e32 v117, v117, v99, vcc
	v_mov_b32_e32 v99, s0
	s_add_i32 s0, s0, 1
	v_cndmask_b32_e32 v118, v118, v100, vcc
	v_cndmask_b32_e32 v120, v120, v102, vcc
	;; [unrolled: 1-line block ×4, first 2 shown]
	s_cmp_lg_u32 s3, s0
	s_cbranch_scc1 .LBB88_652
.LBB88_653:
	s_waitcnt lgkmcnt(0)
	v_cmp_eq_f64_e32 vcc, 0, v[117:118]
	v_cmp_eq_f64_e64 s[0:1], 0, v[119:120]
	s_and_b64 s[0:1], vcc, s[0:1]
	s_and_saveexec_b64 s[18:19], s[0:1]
	s_xor_b64 s[0:1], exec, s[18:19]
; %bb.654:
	v_cmp_ne_u32_e32 vcc, 0, v95
	v_cndmask_b32_e32 v95, 32, v95, vcc
; %bb.655:
	s_andn2_saveexec_b64 s[0:1], s[0:1]
	s_cbranch_execz .LBB88_661
; %bb.656:
	v_cmp_ngt_f64_e64 s[18:19], |v[117:118]|, |v[119:120]|
	s_and_saveexec_b64 s[20:21], s[18:19]
	s_xor_b64 s[18:19], exec, s[20:21]
	s_cbranch_execz .LBB88_658
; %bb.657:
	v_div_scale_f64 v[98:99], s[20:21], v[119:120], v[119:120], v[117:118]
	v_rcp_f64_e32 v[100:101], v[98:99]
	v_fma_f64 v[102:103], -v[98:99], v[100:101], 1.0
	v_fma_f64 v[100:101], v[100:101], v[102:103], v[100:101]
	v_div_scale_f64 v[102:103], vcc, v[117:118], v[119:120], v[117:118]
	v_fma_f64 v[104:105], -v[98:99], v[100:101], 1.0
	v_fma_f64 v[100:101], v[100:101], v[104:105], v[100:101]
	v_mul_f64 v[104:105], v[102:103], v[100:101]
	v_fma_f64 v[98:99], -v[98:99], v[104:105], v[102:103]
	v_div_fmas_f64 v[98:99], v[98:99], v[100:101], v[104:105]
	v_div_fixup_f64 v[98:99], v[98:99], v[119:120], v[117:118]
	v_fma_f64 v[100:101], v[117:118], v[98:99], v[119:120]
	v_div_scale_f64 v[102:103], s[20:21], v[100:101], v[100:101], 1.0
	v_div_scale_f64 v[108:109], vcc, 1.0, v[100:101], 1.0
	v_rcp_f64_e32 v[104:105], v[102:103]
	v_fma_f64 v[106:107], -v[102:103], v[104:105], 1.0
	v_fma_f64 v[104:105], v[104:105], v[106:107], v[104:105]
	v_fma_f64 v[106:107], -v[102:103], v[104:105], 1.0
	v_fma_f64 v[104:105], v[104:105], v[106:107], v[104:105]
	v_mul_f64 v[106:107], v[108:109], v[104:105]
	v_fma_f64 v[102:103], -v[102:103], v[106:107], v[108:109]
	v_div_fmas_f64 v[102:103], v[102:103], v[104:105], v[106:107]
	v_div_fixup_f64 v[119:120], v[102:103], v[100:101], 1.0
	v_mul_f64 v[117:118], v[98:99], v[119:120]
	v_xor_b32_e32 v120, 0x80000000, v120
.LBB88_658:
	s_andn2_saveexec_b64 s[18:19], s[18:19]
	s_cbranch_execz .LBB88_660
; %bb.659:
	v_div_scale_f64 v[98:99], s[20:21], v[117:118], v[117:118], v[119:120]
	v_rcp_f64_e32 v[100:101], v[98:99]
	v_fma_f64 v[102:103], -v[98:99], v[100:101], 1.0
	v_fma_f64 v[100:101], v[100:101], v[102:103], v[100:101]
	v_div_scale_f64 v[102:103], vcc, v[119:120], v[117:118], v[119:120]
	v_fma_f64 v[104:105], -v[98:99], v[100:101], 1.0
	v_fma_f64 v[100:101], v[100:101], v[104:105], v[100:101]
	v_mul_f64 v[104:105], v[102:103], v[100:101]
	v_fma_f64 v[98:99], -v[98:99], v[104:105], v[102:103]
	v_div_fmas_f64 v[98:99], v[98:99], v[100:101], v[104:105]
	v_div_fixup_f64 v[98:99], v[98:99], v[117:118], v[119:120]
	v_fma_f64 v[100:101], v[119:120], v[98:99], v[117:118]
	v_div_scale_f64 v[102:103], s[20:21], v[100:101], v[100:101], 1.0
	v_div_scale_f64 v[108:109], vcc, 1.0, v[100:101], 1.0
	v_rcp_f64_e32 v[104:105], v[102:103]
	v_fma_f64 v[106:107], -v[102:103], v[104:105], 1.0
	v_fma_f64 v[104:105], v[104:105], v[106:107], v[104:105]
	v_fma_f64 v[106:107], -v[102:103], v[104:105], 1.0
	v_fma_f64 v[104:105], v[104:105], v[106:107], v[104:105]
	v_mul_f64 v[106:107], v[108:109], v[104:105]
	v_fma_f64 v[102:103], -v[102:103], v[106:107], v[108:109]
	v_div_fmas_f64 v[102:103], v[102:103], v[104:105], v[106:107]
	v_div_fixup_f64 v[117:118], v[102:103], v[100:101], 1.0
	v_mul_f64 v[119:120], v[98:99], -v[117:118]
.LBB88_660:
	s_or_b64 exec, exec, s[18:19]
.LBB88_661:
	s_or_b64 exec, exec, s[0:1]
	v_cmp_ne_u32_e32 vcc, v96, v97
	s_and_saveexec_b64 s[0:1], vcc
	s_xor_b64 s[0:1], exec, s[0:1]
	s_cbranch_execz .LBB88_667
; %bb.662:
	v_cmp_eq_u32_e32 vcc, 31, v96
	s_and_saveexec_b64 s[18:19], vcc
	s_cbranch_execz .LBB88_666
; %bb.663:
	v_cmp_ne_u32_e32 vcc, 31, v97
	s_xor_b64 s[20:21], s[6:7], -1
	s_and_b64 s[22:23], s[20:21], vcc
	s_and_saveexec_b64 s[20:21], s[22:23]
	s_cbranch_execz .LBB88_665
; %bb.664:
	buffer_load_dword v85, off, s[24:27], 0 offset:288 ; 4-byte Folded Reload
	buffer_load_dword v86, off, s[24:27], 0 offset:292 ; 4-byte Folded Reload
	v_ashrrev_i32_e32 v98, 31, v97
	v_lshlrev_b64 v[98:99], 2, v[97:98]
	s_waitcnt vmcnt(1)
	v_add_co_u32_e32 v98, vcc, v85, v98
	s_waitcnt vmcnt(0)
	v_addc_co_u32_e32 v99, vcc, v86, v99, vcc
	global_load_dword v0, v[98:99], off
	global_load_dword v96, v[85:86], off offset:124
	s_waitcnt vmcnt(1)
	global_store_dword v[85:86], v0, off offset:124
	s_waitcnt vmcnt(1)
	global_store_dword v[98:99], v96, off
.LBB88_665:
	s_or_b64 exec, exec, s[20:21]
	v_mov_b32_e32 v96, v97
	v_mov_b32_e32 v0, v97
.LBB88_666:
	s_or_b64 exec, exec, s[18:19]
.LBB88_667:
	s_andn2_saveexec_b64 s[0:1], s[0:1]
	s_cbranch_execz .LBB88_669
; %bb.668:
	v_mov_b32_e32 v96, 31
	ds_write2_b64 v94, v[45:46], v[47:48] offset0:64 offset1:65
	ds_write2_b64 v94, v[41:42], v[43:44] offset0:66 offset1:67
	;; [unrolled: 1-line block ×13, first 2 shown]
.LBB88_669:
	s_or_b64 exec, exec, s[0:1]
	v_cmp_lt_i32_e32 vcc, 31, v96
	s_waitcnt vmcnt(0) lgkmcnt(0)
	s_barrier
	s_and_saveexec_b64 s[0:1], vcc
	s_cbranch_execz .LBB88_671
; %bb.670:
	v_mul_f64 v[97:98], v[117:118], v[51:52]
	v_mul_f64 v[51:52], v[119:120], v[51:52]
	ds_read2_b64 v[99:102], v94 offset0:64 offset1:65
	v_fma_f64 v[97:98], v[119:120], v[49:50], v[97:98]
	v_fma_f64 v[49:50], v[117:118], v[49:50], -v[51:52]
	s_waitcnt lgkmcnt(0)
	v_mul_f64 v[51:52], v[101:102], v[97:98]
	v_fma_f64 v[51:52], v[99:100], v[49:50], -v[51:52]
	v_mul_f64 v[99:100], v[99:100], v[97:98]
	v_add_f64 v[45:46], v[45:46], -v[51:52]
	v_fma_f64 v[99:100], v[101:102], v[49:50], v[99:100]
	v_add_f64 v[47:48], v[47:48], -v[99:100]
	ds_read2_b64 v[99:102], v94 offset0:66 offset1:67
	s_waitcnt lgkmcnt(0)
	v_mul_f64 v[51:52], v[101:102], v[97:98]
	v_fma_f64 v[51:52], v[99:100], v[49:50], -v[51:52]
	v_mul_f64 v[99:100], v[99:100], v[97:98]
	v_add_f64 v[41:42], v[41:42], -v[51:52]
	v_fma_f64 v[99:100], v[101:102], v[49:50], v[99:100]
	v_add_f64 v[43:44], v[43:44], -v[99:100]
	ds_read2_b64 v[99:102], v94 offset0:68 offset1:69
	;; [unrolled: 8-line block ×12, first 2 shown]
	s_waitcnt lgkmcnt(0)
	v_mul_f64 v[51:52], v[101:102], v[97:98]
	v_fma_f64 v[51:52], v[99:100], v[49:50], -v[51:52]
	v_mul_f64 v[99:100], v[99:100], v[97:98]
	v_add_f64 v[121:122], v[121:122], -v[51:52]
	v_fma_f64 v[99:100], v[101:102], v[49:50], v[99:100]
	v_mov_b32_e32 v51, v97
	v_mov_b32_e32 v52, v98
	v_add_f64 v[123:124], v[123:124], -v[99:100]
.LBB88_671:
	s_or_b64 exec, exec, s[0:1]
	v_lshl_add_u32 v97, v96, 4, v94
	s_barrier
	ds_write2_b64 v97, v[45:46], v[47:48] offset1:1
	s_waitcnt lgkmcnt(0)
	s_barrier
	ds_read2_b64 v[117:120], v94 offset0:64 offset1:65
	s_cmp_lt_i32 s3, 34
	v_mov_b32_e32 v97, 32
	s_cbranch_scc1 .LBB88_674
; %bb.672:
	v_add_u32_e32 v98, 0x210, v94
	s_mov_b32 s0, 33
	v_mov_b32_e32 v97, 32
.LBB88_673:                             ; =>This Inner Loop Header: Depth=1
	s_waitcnt lgkmcnt(0)
	v_cmp_gt_f64_e32 vcc, 0, v[117:118]
	v_xor_b32_e32 v103, 0x80000000, v118
	ds_read2_b64 v[99:102], v98 offset1:1
	v_xor_b32_e32 v105, 0x80000000, v120
	v_add_u32_e32 v98, 16, v98
	s_waitcnt lgkmcnt(0)
	v_xor_b32_e32 v107, 0x80000000, v102
	v_cndmask_b32_e32 v104, v118, v103, vcc
	v_cmp_gt_f64_e32 vcc, 0, v[119:120]
	v_mov_b32_e32 v103, v117
	v_cndmask_b32_e32 v106, v120, v105, vcc
	v_cmp_gt_f64_e32 vcc, 0, v[99:100]
	v_mov_b32_e32 v105, v119
	v_add_f64 v[103:104], v[103:104], v[105:106]
	v_xor_b32_e32 v105, 0x80000000, v100
	v_cndmask_b32_e32 v106, v100, v105, vcc
	v_cmp_gt_f64_e32 vcc, 0, v[101:102]
	v_mov_b32_e32 v105, v99
	v_cndmask_b32_e32 v108, v102, v107, vcc
	v_mov_b32_e32 v107, v101
	v_add_f64 v[105:106], v[105:106], v[107:108]
	v_cmp_lt_f64_e32 vcc, v[103:104], v[105:106]
	v_cndmask_b32_e32 v117, v117, v99, vcc
	v_mov_b32_e32 v99, s0
	s_add_i32 s0, s0, 1
	v_cndmask_b32_e32 v118, v118, v100, vcc
	v_cndmask_b32_e32 v120, v120, v102, vcc
	;; [unrolled: 1-line block ×4, first 2 shown]
	s_cmp_lg_u32 s3, s0
	s_cbranch_scc1 .LBB88_673
.LBB88_674:
	s_waitcnt lgkmcnt(0)
	v_cmp_eq_f64_e32 vcc, 0, v[117:118]
	v_cmp_eq_f64_e64 s[0:1], 0, v[119:120]
	s_and_b64 s[0:1], vcc, s[0:1]
	s_and_saveexec_b64 s[18:19], s[0:1]
	s_xor_b64 s[0:1], exec, s[18:19]
; %bb.675:
	v_cmp_ne_u32_e32 vcc, 0, v95
	v_cndmask_b32_e32 v95, 33, v95, vcc
; %bb.676:
	s_andn2_saveexec_b64 s[0:1], s[0:1]
	s_cbranch_execz .LBB88_682
; %bb.677:
	v_cmp_ngt_f64_e64 s[18:19], |v[117:118]|, |v[119:120]|
	s_and_saveexec_b64 s[20:21], s[18:19]
	s_xor_b64 s[18:19], exec, s[20:21]
	s_cbranch_execz .LBB88_679
; %bb.678:
	v_div_scale_f64 v[98:99], s[20:21], v[119:120], v[119:120], v[117:118]
	v_rcp_f64_e32 v[100:101], v[98:99]
	v_fma_f64 v[102:103], -v[98:99], v[100:101], 1.0
	v_fma_f64 v[100:101], v[100:101], v[102:103], v[100:101]
	v_div_scale_f64 v[102:103], vcc, v[117:118], v[119:120], v[117:118]
	v_fma_f64 v[104:105], -v[98:99], v[100:101], 1.0
	v_fma_f64 v[100:101], v[100:101], v[104:105], v[100:101]
	v_mul_f64 v[104:105], v[102:103], v[100:101]
	v_fma_f64 v[98:99], -v[98:99], v[104:105], v[102:103]
	v_div_fmas_f64 v[98:99], v[98:99], v[100:101], v[104:105]
	v_div_fixup_f64 v[98:99], v[98:99], v[119:120], v[117:118]
	v_fma_f64 v[100:101], v[117:118], v[98:99], v[119:120]
	v_div_scale_f64 v[102:103], s[20:21], v[100:101], v[100:101], 1.0
	v_div_scale_f64 v[108:109], vcc, 1.0, v[100:101], 1.0
	v_rcp_f64_e32 v[104:105], v[102:103]
	v_fma_f64 v[106:107], -v[102:103], v[104:105], 1.0
	v_fma_f64 v[104:105], v[104:105], v[106:107], v[104:105]
	v_fma_f64 v[106:107], -v[102:103], v[104:105], 1.0
	v_fma_f64 v[104:105], v[104:105], v[106:107], v[104:105]
	v_mul_f64 v[106:107], v[108:109], v[104:105]
	v_fma_f64 v[102:103], -v[102:103], v[106:107], v[108:109]
	v_div_fmas_f64 v[102:103], v[102:103], v[104:105], v[106:107]
	v_div_fixup_f64 v[119:120], v[102:103], v[100:101], 1.0
	v_mul_f64 v[117:118], v[98:99], v[119:120]
	v_xor_b32_e32 v120, 0x80000000, v120
.LBB88_679:
	s_andn2_saveexec_b64 s[18:19], s[18:19]
	s_cbranch_execz .LBB88_681
; %bb.680:
	v_div_scale_f64 v[98:99], s[20:21], v[117:118], v[117:118], v[119:120]
	v_rcp_f64_e32 v[100:101], v[98:99]
	v_fma_f64 v[102:103], -v[98:99], v[100:101], 1.0
	v_fma_f64 v[100:101], v[100:101], v[102:103], v[100:101]
	v_div_scale_f64 v[102:103], vcc, v[119:120], v[117:118], v[119:120]
	v_fma_f64 v[104:105], -v[98:99], v[100:101], 1.0
	v_fma_f64 v[100:101], v[100:101], v[104:105], v[100:101]
	v_mul_f64 v[104:105], v[102:103], v[100:101]
	v_fma_f64 v[98:99], -v[98:99], v[104:105], v[102:103]
	v_div_fmas_f64 v[98:99], v[98:99], v[100:101], v[104:105]
	v_div_fixup_f64 v[98:99], v[98:99], v[117:118], v[119:120]
	v_fma_f64 v[100:101], v[119:120], v[98:99], v[117:118]
	v_div_scale_f64 v[102:103], s[20:21], v[100:101], v[100:101], 1.0
	v_div_scale_f64 v[108:109], vcc, 1.0, v[100:101], 1.0
	v_rcp_f64_e32 v[104:105], v[102:103]
	v_fma_f64 v[106:107], -v[102:103], v[104:105], 1.0
	v_fma_f64 v[104:105], v[104:105], v[106:107], v[104:105]
	v_fma_f64 v[106:107], -v[102:103], v[104:105], 1.0
	v_fma_f64 v[104:105], v[104:105], v[106:107], v[104:105]
	v_mul_f64 v[106:107], v[108:109], v[104:105]
	v_fma_f64 v[102:103], -v[102:103], v[106:107], v[108:109]
	v_div_fmas_f64 v[102:103], v[102:103], v[104:105], v[106:107]
	v_div_fixup_f64 v[117:118], v[102:103], v[100:101], 1.0
	v_mul_f64 v[119:120], v[98:99], -v[117:118]
.LBB88_681:
	s_or_b64 exec, exec, s[18:19]
.LBB88_682:
	s_or_b64 exec, exec, s[0:1]
	v_cmp_ne_u32_e32 vcc, v96, v97
	s_and_saveexec_b64 s[0:1], vcc
	s_xor_b64 s[0:1], exec, s[0:1]
	s_cbranch_execz .LBB88_688
; %bb.683:
	v_cmp_eq_u32_e32 vcc, 32, v96
	s_and_saveexec_b64 s[18:19], vcc
	s_cbranch_execz .LBB88_687
; %bb.684:
	v_cmp_ne_u32_e32 vcc, 32, v97
	s_xor_b64 s[20:21], s[6:7], -1
	s_and_b64 s[22:23], s[20:21], vcc
	s_and_saveexec_b64 s[20:21], s[22:23]
	s_cbranch_execz .LBB88_686
; %bb.685:
	buffer_load_dword v85, off, s[24:27], 0 offset:288 ; 4-byte Folded Reload
	buffer_load_dword v86, off, s[24:27], 0 offset:292 ; 4-byte Folded Reload
	v_ashrrev_i32_e32 v98, 31, v97
	v_lshlrev_b64 v[98:99], 2, v[97:98]
	s_waitcnt vmcnt(1)
	v_add_co_u32_e32 v98, vcc, v85, v98
	s_waitcnt vmcnt(0)
	v_addc_co_u32_e32 v99, vcc, v86, v99, vcc
	global_load_dword v0, v[98:99], off
	global_load_dword v96, v[85:86], off offset:128
	s_waitcnt vmcnt(1)
	global_store_dword v[85:86], v0, off offset:128
	s_waitcnt vmcnt(1)
	global_store_dword v[98:99], v96, off
.LBB88_686:
	s_or_b64 exec, exec, s[20:21]
	v_mov_b32_e32 v96, v97
	v_mov_b32_e32 v0, v97
.LBB88_687:
	s_or_b64 exec, exec, s[18:19]
.LBB88_688:
	s_andn2_saveexec_b64 s[0:1], s[0:1]
	s_cbranch_execz .LBB88_690
; %bb.689:
	v_mov_b32_e32 v96, 32
	ds_write2_b64 v94, v[41:42], v[43:44] offset0:66 offset1:67
	ds_write2_b64 v94, v[37:38], v[39:40] offset0:68 offset1:69
	;; [unrolled: 1-line block ×12, first 2 shown]
.LBB88_690:
	s_or_b64 exec, exec, s[0:1]
	v_cmp_lt_i32_e32 vcc, 32, v96
	s_waitcnt vmcnt(0) lgkmcnt(0)
	s_barrier
	s_and_saveexec_b64 s[0:1], vcc
	s_cbranch_execz .LBB88_692
; %bb.691:
	v_mul_f64 v[97:98], v[117:118], v[47:48]
	v_mul_f64 v[47:48], v[119:120], v[47:48]
	ds_read2_b64 v[99:102], v94 offset0:66 offset1:67
	v_fma_f64 v[97:98], v[119:120], v[45:46], v[97:98]
	v_fma_f64 v[45:46], v[117:118], v[45:46], -v[47:48]
	s_waitcnt lgkmcnt(0)
	v_mul_f64 v[47:48], v[101:102], v[97:98]
	v_fma_f64 v[47:48], v[99:100], v[45:46], -v[47:48]
	v_mul_f64 v[99:100], v[99:100], v[97:98]
	v_add_f64 v[41:42], v[41:42], -v[47:48]
	v_fma_f64 v[99:100], v[101:102], v[45:46], v[99:100]
	v_add_f64 v[43:44], v[43:44], -v[99:100]
	ds_read2_b64 v[99:102], v94 offset0:68 offset1:69
	s_waitcnt lgkmcnt(0)
	v_mul_f64 v[47:48], v[101:102], v[97:98]
	v_fma_f64 v[47:48], v[99:100], v[45:46], -v[47:48]
	v_mul_f64 v[99:100], v[99:100], v[97:98]
	v_add_f64 v[37:38], v[37:38], -v[47:48]
	v_fma_f64 v[99:100], v[101:102], v[45:46], v[99:100]
	v_add_f64 v[39:40], v[39:40], -v[99:100]
	ds_read2_b64 v[99:102], v94 offset0:70 offset1:71
	;; [unrolled: 8-line block ×11, first 2 shown]
	s_waitcnt lgkmcnt(0)
	v_mul_f64 v[47:48], v[101:102], v[97:98]
	v_fma_f64 v[47:48], v[99:100], v[45:46], -v[47:48]
	v_mul_f64 v[99:100], v[99:100], v[97:98]
	v_add_f64 v[121:122], v[121:122], -v[47:48]
	v_fma_f64 v[99:100], v[101:102], v[45:46], v[99:100]
	v_mov_b32_e32 v47, v97
	v_mov_b32_e32 v48, v98
	v_add_f64 v[123:124], v[123:124], -v[99:100]
.LBB88_692:
	s_or_b64 exec, exec, s[0:1]
	v_lshl_add_u32 v97, v96, 4, v94
	s_barrier
	ds_write2_b64 v97, v[41:42], v[43:44] offset1:1
	s_waitcnt lgkmcnt(0)
	s_barrier
	ds_read2_b64 v[117:120], v94 offset0:66 offset1:67
	s_cmp_lt_i32 s3, 35
	v_mov_b32_e32 v97, 33
	s_cbranch_scc1 .LBB88_695
; %bb.693:
	v_add_u32_e32 v98, 0x220, v94
	s_mov_b32 s0, 34
	v_mov_b32_e32 v97, 33
.LBB88_694:                             ; =>This Inner Loop Header: Depth=1
	s_waitcnt lgkmcnt(0)
	v_cmp_gt_f64_e32 vcc, 0, v[117:118]
	v_xor_b32_e32 v103, 0x80000000, v118
	ds_read2_b64 v[99:102], v98 offset1:1
	v_xor_b32_e32 v105, 0x80000000, v120
	v_add_u32_e32 v98, 16, v98
	s_waitcnt lgkmcnt(0)
	v_xor_b32_e32 v107, 0x80000000, v102
	v_cndmask_b32_e32 v104, v118, v103, vcc
	v_cmp_gt_f64_e32 vcc, 0, v[119:120]
	v_mov_b32_e32 v103, v117
	v_cndmask_b32_e32 v106, v120, v105, vcc
	v_cmp_gt_f64_e32 vcc, 0, v[99:100]
	v_mov_b32_e32 v105, v119
	v_add_f64 v[103:104], v[103:104], v[105:106]
	v_xor_b32_e32 v105, 0x80000000, v100
	v_cndmask_b32_e32 v106, v100, v105, vcc
	v_cmp_gt_f64_e32 vcc, 0, v[101:102]
	v_mov_b32_e32 v105, v99
	v_cndmask_b32_e32 v108, v102, v107, vcc
	v_mov_b32_e32 v107, v101
	v_add_f64 v[105:106], v[105:106], v[107:108]
	v_cmp_lt_f64_e32 vcc, v[103:104], v[105:106]
	v_cndmask_b32_e32 v117, v117, v99, vcc
	v_mov_b32_e32 v99, s0
	s_add_i32 s0, s0, 1
	v_cndmask_b32_e32 v118, v118, v100, vcc
	v_cndmask_b32_e32 v120, v120, v102, vcc
	v_cndmask_b32_e32 v119, v119, v101, vcc
	v_cndmask_b32_e32 v97, v97, v99, vcc
	s_cmp_lg_u32 s3, s0
	s_cbranch_scc1 .LBB88_694
.LBB88_695:
	s_waitcnt lgkmcnt(0)
	v_cmp_eq_f64_e32 vcc, 0, v[117:118]
	v_cmp_eq_f64_e64 s[0:1], 0, v[119:120]
	s_and_b64 s[0:1], vcc, s[0:1]
	s_and_saveexec_b64 s[18:19], s[0:1]
	s_xor_b64 s[0:1], exec, s[18:19]
; %bb.696:
	v_cmp_ne_u32_e32 vcc, 0, v95
	v_cndmask_b32_e32 v95, 34, v95, vcc
; %bb.697:
	s_andn2_saveexec_b64 s[0:1], s[0:1]
	s_cbranch_execz .LBB88_703
; %bb.698:
	v_cmp_ngt_f64_e64 s[18:19], |v[117:118]|, |v[119:120]|
	s_and_saveexec_b64 s[20:21], s[18:19]
	s_xor_b64 s[18:19], exec, s[20:21]
	s_cbranch_execz .LBB88_700
; %bb.699:
	v_div_scale_f64 v[98:99], s[20:21], v[119:120], v[119:120], v[117:118]
	v_rcp_f64_e32 v[100:101], v[98:99]
	v_fma_f64 v[102:103], -v[98:99], v[100:101], 1.0
	v_fma_f64 v[100:101], v[100:101], v[102:103], v[100:101]
	v_div_scale_f64 v[102:103], vcc, v[117:118], v[119:120], v[117:118]
	v_fma_f64 v[104:105], -v[98:99], v[100:101], 1.0
	v_fma_f64 v[100:101], v[100:101], v[104:105], v[100:101]
	v_mul_f64 v[104:105], v[102:103], v[100:101]
	v_fma_f64 v[98:99], -v[98:99], v[104:105], v[102:103]
	v_div_fmas_f64 v[98:99], v[98:99], v[100:101], v[104:105]
	v_div_fixup_f64 v[98:99], v[98:99], v[119:120], v[117:118]
	v_fma_f64 v[100:101], v[117:118], v[98:99], v[119:120]
	v_div_scale_f64 v[102:103], s[20:21], v[100:101], v[100:101], 1.0
	v_div_scale_f64 v[108:109], vcc, 1.0, v[100:101], 1.0
	v_rcp_f64_e32 v[104:105], v[102:103]
	v_fma_f64 v[106:107], -v[102:103], v[104:105], 1.0
	v_fma_f64 v[104:105], v[104:105], v[106:107], v[104:105]
	v_fma_f64 v[106:107], -v[102:103], v[104:105], 1.0
	v_fma_f64 v[104:105], v[104:105], v[106:107], v[104:105]
	v_mul_f64 v[106:107], v[108:109], v[104:105]
	v_fma_f64 v[102:103], -v[102:103], v[106:107], v[108:109]
	v_div_fmas_f64 v[102:103], v[102:103], v[104:105], v[106:107]
	v_div_fixup_f64 v[119:120], v[102:103], v[100:101], 1.0
	v_mul_f64 v[117:118], v[98:99], v[119:120]
	v_xor_b32_e32 v120, 0x80000000, v120
.LBB88_700:
	s_andn2_saveexec_b64 s[18:19], s[18:19]
	s_cbranch_execz .LBB88_702
; %bb.701:
	v_div_scale_f64 v[98:99], s[20:21], v[117:118], v[117:118], v[119:120]
	v_rcp_f64_e32 v[100:101], v[98:99]
	v_fma_f64 v[102:103], -v[98:99], v[100:101], 1.0
	v_fma_f64 v[100:101], v[100:101], v[102:103], v[100:101]
	v_div_scale_f64 v[102:103], vcc, v[119:120], v[117:118], v[119:120]
	v_fma_f64 v[104:105], -v[98:99], v[100:101], 1.0
	v_fma_f64 v[100:101], v[100:101], v[104:105], v[100:101]
	v_mul_f64 v[104:105], v[102:103], v[100:101]
	v_fma_f64 v[98:99], -v[98:99], v[104:105], v[102:103]
	v_div_fmas_f64 v[98:99], v[98:99], v[100:101], v[104:105]
	v_div_fixup_f64 v[98:99], v[98:99], v[117:118], v[119:120]
	v_fma_f64 v[100:101], v[119:120], v[98:99], v[117:118]
	v_div_scale_f64 v[102:103], s[20:21], v[100:101], v[100:101], 1.0
	v_div_scale_f64 v[108:109], vcc, 1.0, v[100:101], 1.0
	v_rcp_f64_e32 v[104:105], v[102:103]
	v_fma_f64 v[106:107], -v[102:103], v[104:105], 1.0
	v_fma_f64 v[104:105], v[104:105], v[106:107], v[104:105]
	v_fma_f64 v[106:107], -v[102:103], v[104:105], 1.0
	v_fma_f64 v[104:105], v[104:105], v[106:107], v[104:105]
	v_mul_f64 v[106:107], v[108:109], v[104:105]
	v_fma_f64 v[102:103], -v[102:103], v[106:107], v[108:109]
	v_div_fmas_f64 v[102:103], v[102:103], v[104:105], v[106:107]
	v_div_fixup_f64 v[117:118], v[102:103], v[100:101], 1.0
	v_mul_f64 v[119:120], v[98:99], -v[117:118]
.LBB88_702:
	s_or_b64 exec, exec, s[18:19]
.LBB88_703:
	s_or_b64 exec, exec, s[0:1]
	v_cmp_ne_u32_e32 vcc, v96, v97
	s_and_saveexec_b64 s[0:1], vcc
	s_xor_b64 s[0:1], exec, s[0:1]
	s_cbranch_execz .LBB88_709
; %bb.704:
	v_cmp_eq_u32_e32 vcc, 33, v96
	s_and_saveexec_b64 s[18:19], vcc
	s_cbranch_execz .LBB88_708
; %bb.705:
	v_cmp_ne_u32_e32 vcc, 33, v97
	s_xor_b64 s[20:21], s[6:7], -1
	s_and_b64 s[22:23], s[20:21], vcc
	s_and_saveexec_b64 s[20:21], s[22:23]
	s_cbranch_execz .LBB88_707
; %bb.706:
	buffer_load_dword v85, off, s[24:27], 0 offset:288 ; 4-byte Folded Reload
	buffer_load_dword v86, off, s[24:27], 0 offset:292 ; 4-byte Folded Reload
	v_ashrrev_i32_e32 v98, 31, v97
	v_lshlrev_b64 v[98:99], 2, v[97:98]
	s_waitcnt vmcnt(1)
	v_add_co_u32_e32 v98, vcc, v85, v98
	s_waitcnt vmcnt(0)
	v_addc_co_u32_e32 v99, vcc, v86, v99, vcc
	global_load_dword v0, v[98:99], off
	global_load_dword v96, v[85:86], off offset:132
	s_waitcnt vmcnt(1)
	global_store_dword v[85:86], v0, off offset:132
	s_waitcnt vmcnt(1)
	global_store_dword v[98:99], v96, off
.LBB88_707:
	s_or_b64 exec, exec, s[20:21]
	v_mov_b32_e32 v96, v97
	v_mov_b32_e32 v0, v97
.LBB88_708:
	s_or_b64 exec, exec, s[18:19]
.LBB88_709:
	s_andn2_saveexec_b64 s[0:1], s[0:1]
	s_cbranch_execz .LBB88_711
; %bb.710:
	v_mov_b32_e32 v96, 33
	ds_write2_b64 v94, v[37:38], v[39:40] offset0:68 offset1:69
	ds_write2_b64 v94, v[33:34], v[35:36] offset0:70 offset1:71
	;; [unrolled: 1-line block ×11, first 2 shown]
.LBB88_711:
	s_or_b64 exec, exec, s[0:1]
	v_cmp_lt_i32_e32 vcc, 33, v96
	s_waitcnt vmcnt(0) lgkmcnt(0)
	s_barrier
	s_and_saveexec_b64 s[0:1], vcc
	s_cbranch_execz .LBB88_713
; %bb.712:
	v_mul_f64 v[97:98], v[117:118], v[43:44]
	v_mul_f64 v[43:44], v[119:120], v[43:44]
	ds_read2_b64 v[99:102], v94 offset0:68 offset1:69
	v_fma_f64 v[97:98], v[119:120], v[41:42], v[97:98]
	v_fma_f64 v[41:42], v[117:118], v[41:42], -v[43:44]
	s_waitcnt lgkmcnt(0)
	v_mul_f64 v[43:44], v[101:102], v[97:98]
	v_fma_f64 v[43:44], v[99:100], v[41:42], -v[43:44]
	v_mul_f64 v[99:100], v[99:100], v[97:98]
	v_add_f64 v[37:38], v[37:38], -v[43:44]
	v_fma_f64 v[99:100], v[101:102], v[41:42], v[99:100]
	v_add_f64 v[39:40], v[39:40], -v[99:100]
	ds_read2_b64 v[99:102], v94 offset0:70 offset1:71
	s_waitcnt lgkmcnt(0)
	v_mul_f64 v[43:44], v[101:102], v[97:98]
	v_fma_f64 v[43:44], v[99:100], v[41:42], -v[43:44]
	v_mul_f64 v[99:100], v[99:100], v[97:98]
	v_add_f64 v[33:34], v[33:34], -v[43:44]
	v_fma_f64 v[99:100], v[101:102], v[41:42], v[99:100]
	v_add_f64 v[35:36], v[35:36], -v[99:100]
	ds_read2_b64 v[99:102], v94 offset0:72 offset1:73
	;; [unrolled: 8-line block ×10, first 2 shown]
	s_waitcnt lgkmcnt(0)
	v_mul_f64 v[43:44], v[101:102], v[97:98]
	v_fma_f64 v[43:44], v[99:100], v[41:42], -v[43:44]
	v_mul_f64 v[99:100], v[99:100], v[97:98]
	v_add_f64 v[121:122], v[121:122], -v[43:44]
	v_fma_f64 v[99:100], v[101:102], v[41:42], v[99:100]
	v_mov_b32_e32 v43, v97
	v_mov_b32_e32 v44, v98
	v_add_f64 v[123:124], v[123:124], -v[99:100]
.LBB88_713:
	s_or_b64 exec, exec, s[0:1]
	v_lshl_add_u32 v97, v96, 4, v94
	s_barrier
	ds_write2_b64 v97, v[37:38], v[39:40] offset1:1
	s_waitcnt lgkmcnt(0)
	s_barrier
	ds_read2_b64 v[117:120], v94 offset0:68 offset1:69
	s_cmp_lt_i32 s3, 36
	v_mov_b32_e32 v97, 34
	s_cbranch_scc1 .LBB88_716
; %bb.714:
	v_add_u32_e32 v98, 0x230, v94
	s_mov_b32 s0, 35
	v_mov_b32_e32 v97, 34
.LBB88_715:                             ; =>This Inner Loop Header: Depth=1
	s_waitcnt lgkmcnt(0)
	v_cmp_gt_f64_e32 vcc, 0, v[117:118]
	v_xor_b32_e32 v103, 0x80000000, v118
	ds_read2_b64 v[99:102], v98 offset1:1
	v_xor_b32_e32 v105, 0x80000000, v120
	v_add_u32_e32 v98, 16, v98
	s_waitcnt lgkmcnt(0)
	v_xor_b32_e32 v107, 0x80000000, v102
	v_cndmask_b32_e32 v104, v118, v103, vcc
	v_cmp_gt_f64_e32 vcc, 0, v[119:120]
	v_mov_b32_e32 v103, v117
	v_cndmask_b32_e32 v106, v120, v105, vcc
	v_cmp_gt_f64_e32 vcc, 0, v[99:100]
	v_mov_b32_e32 v105, v119
	v_add_f64 v[103:104], v[103:104], v[105:106]
	v_xor_b32_e32 v105, 0x80000000, v100
	v_cndmask_b32_e32 v106, v100, v105, vcc
	v_cmp_gt_f64_e32 vcc, 0, v[101:102]
	v_mov_b32_e32 v105, v99
	v_cndmask_b32_e32 v108, v102, v107, vcc
	v_mov_b32_e32 v107, v101
	v_add_f64 v[105:106], v[105:106], v[107:108]
	v_cmp_lt_f64_e32 vcc, v[103:104], v[105:106]
	v_cndmask_b32_e32 v117, v117, v99, vcc
	v_mov_b32_e32 v99, s0
	s_add_i32 s0, s0, 1
	v_cndmask_b32_e32 v118, v118, v100, vcc
	v_cndmask_b32_e32 v120, v120, v102, vcc
	;; [unrolled: 1-line block ×4, first 2 shown]
	s_cmp_lg_u32 s3, s0
	s_cbranch_scc1 .LBB88_715
.LBB88_716:
	s_waitcnt lgkmcnt(0)
	v_cmp_eq_f64_e32 vcc, 0, v[117:118]
	v_cmp_eq_f64_e64 s[0:1], 0, v[119:120]
	s_and_b64 s[0:1], vcc, s[0:1]
	s_and_saveexec_b64 s[18:19], s[0:1]
	s_xor_b64 s[0:1], exec, s[18:19]
; %bb.717:
	v_cmp_ne_u32_e32 vcc, 0, v95
	v_cndmask_b32_e32 v95, 35, v95, vcc
; %bb.718:
	s_andn2_saveexec_b64 s[0:1], s[0:1]
	s_cbranch_execz .LBB88_724
; %bb.719:
	v_cmp_ngt_f64_e64 s[18:19], |v[117:118]|, |v[119:120]|
	s_and_saveexec_b64 s[20:21], s[18:19]
	s_xor_b64 s[18:19], exec, s[20:21]
	s_cbranch_execz .LBB88_721
; %bb.720:
	v_div_scale_f64 v[98:99], s[20:21], v[119:120], v[119:120], v[117:118]
	v_rcp_f64_e32 v[100:101], v[98:99]
	v_fma_f64 v[102:103], -v[98:99], v[100:101], 1.0
	v_fma_f64 v[100:101], v[100:101], v[102:103], v[100:101]
	v_div_scale_f64 v[102:103], vcc, v[117:118], v[119:120], v[117:118]
	v_fma_f64 v[104:105], -v[98:99], v[100:101], 1.0
	v_fma_f64 v[100:101], v[100:101], v[104:105], v[100:101]
	v_mul_f64 v[104:105], v[102:103], v[100:101]
	v_fma_f64 v[98:99], -v[98:99], v[104:105], v[102:103]
	v_div_fmas_f64 v[98:99], v[98:99], v[100:101], v[104:105]
	v_div_fixup_f64 v[98:99], v[98:99], v[119:120], v[117:118]
	v_fma_f64 v[100:101], v[117:118], v[98:99], v[119:120]
	v_div_scale_f64 v[102:103], s[20:21], v[100:101], v[100:101], 1.0
	v_div_scale_f64 v[108:109], vcc, 1.0, v[100:101], 1.0
	v_rcp_f64_e32 v[104:105], v[102:103]
	v_fma_f64 v[106:107], -v[102:103], v[104:105], 1.0
	v_fma_f64 v[104:105], v[104:105], v[106:107], v[104:105]
	v_fma_f64 v[106:107], -v[102:103], v[104:105], 1.0
	v_fma_f64 v[104:105], v[104:105], v[106:107], v[104:105]
	v_mul_f64 v[106:107], v[108:109], v[104:105]
	v_fma_f64 v[102:103], -v[102:103], v[106:107], v[108:109]
	v_div_fmas_f64 v[102:103], v[102:103], v[104:105], v[106:107]
	v_div_fixup_f64 v[119:120], v[102:103], v[100:101], 1.0
	v_mul_f64 v[117:118], v[98:99], v[119:120]
	v_xor_b32_e32 v120, 0x80000000, v120
.LBB88_721:
	s_andn2_saveexec_b64 s[18:19], s[18:19]
	s_cbranch_execz .LBB88_723
; %bb.722:
	v_div_scale_f64 v[98:99], s[20:21], v[117:118], v[117:118], v[119:120]
	v_rcp_f64_e32 v[100:101], v[98:99]
	v_fma_f64 v[102:103], -v[98:99], v[100:101], 1.0
	v_fma_f64 v[100:101], v[100:101], v[102:103], v[100:101]
	v_div_scale_f64 v[102:103], vcc, v[119:120], v[117:118], v[119:120]
	v_fma_f64 v[104:105], -v[98:99], v[100:101], 1.0
	v_fma_f64 v[100:101], v[100:101], v[104:105], v[100:101]
	v_mul_f64 v[104:105], v[102:103], v[100:101]
	v_fma_f64 v[98:99], -v[98:99], v[104:105], v[102:103]
	v_div_fmas_f64 v[98:99], v[98:99], v[100:101], v[104:105]
	v_div_fixup_f64 v[98:99], v[98:99], v[117:118], v[119:120]
	v_fma_f64 v[100:101], v[119:120], v[98:99], v[117:118]
	v_div_scale_f64 v[102:103], s[20:21], v[100:101], v[100:101], 1.0
	v_div_scale_f64 v[108:109], vcc, 1.0, v[100:101], 1.0
	v_rcp_f64_e32 v[104:105], v[102:103]
	v_fma_f64 v[106:107], -v[102:103], v[104:105], 1.0
	v_fma_f64 v[104:105], v[104:105], v[106:107], v[104:105]
	v_fma_f64 v[106:107], -v[102:103], v[104:105], 1.0
	v_fma_f64 v[104:105], v[104:105], v[106:107], v[104:105]
	v_mul_f64 v[106:107], v[108:109], v[104:105]
	v_fma_f64 v[102:103], -v[102:103], v[106:107], v[108:109]
	v_div_fmas_f64 v[102:103], v[102:103], v[104:105], v[106:107]
	v_div_fixup_f64 v[117:118], v[102:103], v[100:101], 1.0
	v_mul_f64 v[119:120], v[98:99], -v[117:118]
.LBB88_723:
	s_or_b64 exec, exec, s[18:19]
.LBB88_724:
	s_or_b64 exec, exec, s[0:1]
	v_cmp_ne_u32_e32 vcc, v96, v97
	s_and_saveexec_b64 s[0:1], vcc
	s_xor_b64 s[0:1], exec, s[0:1]
	s_cbranch_execz .LBB88_730
; %bb.725:
	v_cmp_eq_u32_e32 vcc, 34, v96
	s_and_saveexec_b64 s[18:19], vcc
	s_cbranch_execz .LBB88_729
; %bb.726:
	v_cmp_ne_u32_e32 vcc, 34, v97
	s_xor_b64 s[20:21], s[6:7], -1
	s_and_b64 s[22:23], s[20:21], vcc
	s_and_saveexec_b64 s[20:21], s[22:23]
	s_cbranch_execz .LBB88_728
; %bb.727:
	buffer_load_dword v85, off, s[24:27], 0 offset:288 ; 4-byte Folded Reload
	buffer_load_dword v86, off, s[24:27], 0 offset:292 ; 4-byte Folded Reload
	v_ashrrev_i32_e32 v98, 31, v97
	v_lshlrev_b64 v[98:99], 2, v[97:98]
	s_waitcnt vmcnt(1)
	v_add_co_u32_e32 v98, vcc, v85, v98
	s_waitcnt vmcnt(0)
	v_addc_co_u32_e32 v99, vcc, v86, v99, vcc
	global_load_dword v0, v[98:99], off
	global_load_dword v96, v[85:86], off offset:136
	s_waitcnt vmcnt(1)
	global_store_dword v[85:86], v0, off offset:136
	s_waitcnt vmcnt(1)
	global_store_dword v[98:99], v96, off
.LBB88_728:
	s_or_b64 exec, exec, s[20:21]
	v_mov_b32_e32 v96, v97
	v_mov_b32_e32 v0, v97
.LBB88_729:
	s_or_b64 exec, exec, s[18:19]
.LBB88_730:
	s_andn2_saveexec_b64 s[0:1], s[0:1]
	s_cbranch_execz .LBB88_732
; %bb.731:
	v_mov_b32_e32 v96, 34
	ds_write2_b64 v94, v[33:34], v[35:36] offset0:70 offset1:71
	ds_write2_b64 v94, v[29:30], v[31:32] offset0:72 offset1:73
	ds_write2_b64 v94, v[25:26], v[27:28] offset0:74 offset1:75
	ds_write2_b64 v94, v[21:22], v[23:24] offset0:76 offset1:77
	ds_write2_b64 v94, v[17:18], v[19:20] offset0:78 offset1:79
	ds_write2_b64 v94, v[13:14], v[15:16] offset0:80 offset1:81
	ds_write2_b64 v94, v[9:10], v[11:12] offset0:82 offset1:83
	ds_write2_b64 v94, v[5:6], v[7:8] offset0:84 offset1:85
	ds_write2_b64 v94, v[1:2], v[3:4] offset0:86 offset1:87
	ds_write2_b64 v94, v[121:122], v[123:124] offset0:88 offset1:89
.LBB88_732:
	s_or_b64 exec, exec, s[0:1]
	v_cmp_lt_i32_e32 vcc, 34, v96
	s_waitcnt vmcnt(0) lgkmcnt(0)
	s_barrier
	s_and_saveexec_b64 s[0:1], vcc
	s_cbranch_execz .LBB88_734
; %bb.733:
	v_mul_f64 v[97:98], v[117:118], v[39:40]
	v_mul_f64 v[39:40], v[119:120], v[39:40]
	ds_read2_b64 v[99:102], v94 offset0:70 offset1:71
	v_fma_f64 v[97:98], v[119:120], v[37:38], v[97:98]
	v_fma_f64 v[37:38], v[117:118], v[37:38], -v[39:40]
	s_waitcnt lgkmcnt(0)
	v_mul_f64 v[39:40], v[101:102], v[97:98]
	v_fma_f64 v[39:40], v[99:100], v[37:38], -v[39:40]
	v_mul_f64 v[99:100], v[99:100], v[97:98]
	v_add_f64 v[33:34], v[33:34], -v[39:40]
	v_fma_f64 v[99:100], v[101:102], v[37:38], v[99:100]
	v_add_f64 v[35:36], v[35:36], -v[99:100]
	ds_read2_b64 v[99:102], v94 offset0:72 offset1:73
	s_waitcnt lgkmcnt(0)
	v_mul_f64 v[39:40], v[101:102], v[97:98]
	v_fma_f64 v[39:40], v[99:100], v[37:38], -v[39:40]
	v_mul_f64 v[99:100], v[99:100], v[97:98]
	v_add_f64 v[29:30], v[29:30], -v[39:40]
	v_fma_f64 v[99:100], v[101:102], v[37:38], v[99:100]
	v_add_f64 v[31:32], v[31:32], -v[99:100]
	ds_read2_b64 v[99:102], v94 offset0:74 offset1:75
	;; [unrolled: 8-line block ×9, first 2 shown]
	s_waitcnt lgkmcnt(0)
	v_mul_f64 v[39:40], v[101:102], v[97:98]
	v_fma_f64 v[39:40], v[99:100], v[37:38], -v[39:40]
	v_mul_f64 v[99:100], v[99:100], v[97:98]
	v_add_f64 v[121:122], v[121:122], -v[39:40]
	v_fma_f64 v[99:100], v[101:102], v[37:38], v[99:100]
	v_mov_b32_e32 v39, v97
	v_mov_b32_e32 v40, v98
	v_add_f64 v[123:124], v[123:124], -v[99:100]
.LBB88_734:
	s_or_b64 exec, exec, s[0:1]
	v_lshl_add_u32 v97, v96, 4, v94
	s_barrier
	ds_write2_b64 v97, v[33:34], v[35:36] offset1:1
	s_waitcnt lgkmcnt(0)
	s_barrier
	ds_read2_b64 v[117:120], v94 offset0:70 offset1:71
	s_cmp_lt_i32 s3, 37
	v_mov_b32_e32 v97, 35
	s_cbranch_scc1 .LBB88_737
; %bb.735:
	v_add_u32_e32 v98, 0x240, v94
	s_mov_b32 s0, 36
	v_mov_b32_e32 v97, 35
.LBB88_736:                             ; =>This Inner Loop Header: Depth=1
	s_waitcnt lgkmcnt(0)
	v_cmp_gt_f64_e32 vcc, 0, v[117:118]
	v_xor_b32_e32 v103, 0x80000000, v118
	ds_read2_b64 v[99:102], v98 offset1:1
	v_xor_b32_e32 v105, 0x80000000, v120
	v_add_u32_e32 v98, 16, v98
	s_waitcnt lgkmcnt(0)
	v_xor_b32_e32 v107, 0x80000000, v102
	v_cndmask_b32_e32 v104, v118, v103, vcc
	v_cmp_gt_f64_e32 vcc, 0, v[119:120]
	v_mov_b32_e32 v103, v117
	v_cndmask_b32_e32 v106, v120, v105, vcc
	v_cmp_gt_f64_e32 vcc, 0, v[99:100]
	v_mov_b32_e32 v105, v119
	v_add_f64 v[103:104], v[103:104], v[105:106]
	v_xor_b32_e32 v105, 0x80000000, v100
	v_cndmask_b32_e32 v106, v100, v105, vcc
	v_cmp_gt_f64_e32 vcc, 0, v[101:102]
	v_mov_b32_e32 v105, v99
	v_cndmask_b32_e32 v108, v102, v107, vcc
	v_mov_b32_e32 v107, v101
	v_add_f64 v[105:106], v[105:106], v[107:108]
	v_cmp_lt_f64_e32 vcc, v[103:104], v[105:106]
	v_cndmask_b32_e32 v117, v117, v99, vcc
	v_mov_b32_e32 v99, s0
	s_add_i32 s0, s0, 1
	v_cndmask_b32_e32 v118, v118, v100, vcc
	v_cndmask_b32_e32 v120, v120, v102, vcc
	;; [unrolled: 1-line block ×4, first 2 shown]
	s_cmp_lg_u32 s3, s0
	s_cbranch_scc1 .LBB88_736
.LBB88_737:
	s_waitcnt lgkmcnt(0)
	v_cmp_eq_f64_e32 vcc, 0, v[117:118]
	v_cmp_eq_f64_e64 s[0:1], 0, v[119:120]
	s_and_b64 s[0:1], vcc, s[0:1]
	s_and_saveexec_b64 s[18:19], s[0:1]
	s_xor_b64 s[0:1], exec, s[18:19]
; %bb.738:
	v_cmp_ne_u32_e32 vcc, 0, v95
	v_cndmask_b32_e32 v95, 36, v95, vcc
; %bb.739:
	s_andn2_saveexec_b64 s[0:1], s[0:1]
	s_cbranch_execz .LBB88_745
; %bb.740:
	v_cmp_ngt_f64_e64 s[18:19], |v[117:118]|, |v[119:120]|
	s_and_saveexec_b64 s[20:21], s[18:19]
	s_xor_b64 s[18:19], exec, s[20:21]
	s_cbranch_execz .LBB88_742
; %bb.741:
	v_div_scale_f64 v[98:99], s[20:21], v[119:120], v[119:120], v[117:118]
	v_rcp_f64_e32 v[100:101], v[98:99]
	v_fma_f64 v[102:103], -v[98:99], v[100:101], 1.0
	v_fma_f64 v[100:101], v[100:101], v[102:103], v[100:101]
	v_div_scale_f64 v[102:103], vcc, v[117:118], v[119:120], v[117:118]
	v_fma_f64 v[104:105], -v[98:99], v[100:101], 1.0
	v_fma_f64 v[100:101], v[100:101], v[104:105], v[100:101]
	v_mul_f64 v[104:105], v[102:103], v[100:101]
	v_fma_f64 v[98:99], -v[98:99], v[104:105], v[102:103]
	v_div_fmas_f64 v[98:99], v[98:99], v[100:101], v[104:105]
	v_div_fixup_f64 v[98:99], v[98:99], v[119:120], v[117:118]
	v_fma_f64 v[100:101], v[117:118], v[98:99], v[119:120]
	v_div_scale_f64 v[102:103], s[20:21], v[100:101], v[100:101], 1.0
	v_div_scale_f64 v[108:109], vcc, 1.0, v[100:101], 1.0
	v_rcp_f64_e32 v[104:105], v[102:103]
	v_fma_f64 v[106:107], -v[102:103], v[104:105], 1.0
	v_fma_f64 v[104:105], v[104:105], v[106:107], v[104:105]
	v_fma_f64 v[106:107], -v[102:103], v[104:105], 1.0
	v_fma_f64 v[104:105], v[104:105], v[106:107], v[104:105]
	v_mul_f64 v[106:107], v[108:109], v[104:105]
	v_fma_f64 v[102:103], -v[102:103], v[106:107], v[108:109]
	v_div_fmas_f64 v[102:103], v[102:103], v[104:105], v[106:107]
	v_div_fixup_f64 v[119:120], v[102:103], v[100:101], 1.0
	v_mul_f64 v[117:118], v[98:99], v[119:120]
	v_xor_b32_e32 v120, 0x80000000, v120
.LBB88_742:
	s_andn2_saveexec_b64 s[18:19], s[18:19]
	s_cbranch_execz .LBB88_744
; %bb.743:
	v_div_scale_f64 v[98:99], s[20:21], v[117:118], v[117:118], v[119:120]
	v_rcp_f64_e32 v[100:101], v[98:99]
	v_fma_f64 v[102:103], -v[98:99], v[100:101], 1.0
	v_fma_f64 v[100:101], v[100:101], v[102:103], v[100:101]
	v_div_scale_f64 v[102:103], vcc, v[119:120], v[117:118], v[119:120]
	v_fma_f64 v[104:105], -v[98:99], v[100:101], 1.0
	v_fma_f64 v[100:101], v[100:101], v[104:105], v[100:101]
	v_mul_f64 v[104:105], v[102:103], v[100:101]
	v_fma_f64 v[98:99], -v[98:99], v[104:105], v[102:103]
	v_div_fmas_f64 v[98:99], v[98:99], v[100:101], v[104:105]
	v_div_fixup_f64 v[98:99], v[98:99], v[117:118], v[119:120]
	v_fma_f64 v[100:101], v[119:120], v[98:99], v[117:118]
	v_div_scale_f64 v[102:103], s[20:21], v[100:101], v[100:101], 1.0
	v_div_scale_f64 v[108:109], vcc, 1.0, v[100:101], 1.0
	v_rcp_f64_e32 v[104:105], v[102:103]
	v_fma_f64 v[106:107], -v[102:103], v[104:105], 1.0
	v_fma_f64 v[104:105], v[104:105], v[106:107], v[104:105]
	v_fma_f64 v[106:107], -v[102:103], v[104:105], 1.0
	v_fma_f64 v[104:105], v[104:105], v[106:107], v[104:105]
	v_mul_f64 v[106:107], v[108:109], v[104:105]
	v_fma_f64 v[102:103], -v[102:103], v[106:107], v[108:109]
	v_div_fmas_f64 v[102:103], v[102:103], v[104:105], v[106:107]
	v_div_fixup_f64 v[117:118], v[102:103], v[100:101], 1.0
	v_mul_f64 v[119:120], v[98:99], -v[117:118]
.LBB88_744:
	s_or_b64 exec, exec, s[18:19]
.LBB88_745:
	s_or_b64 exec, exec, s[0:1]
	v_cmp_ne_u32_e32 vcc, v96, v97
	s_and_saveexec_b64 s[0:1], vcc
	s_xor_b64 s[0:1], exec, s[0:1]
	s_cbranch_execz .LBB88_751
; %bb.746:
	v_cmp_eq_u32_e32 vcc, 35, v96
	s_and_saveexec_b64 s[18:19], vcc
	s_cbranch_execz .LBB88_750
; %bb.747:
	v_cmp_ne_u32_e32 vcc, 35, v97
	s_xor_b64 s[20:21], s[6:7], -1
	s_and_b64 s[22:23], s[20:21], vcc
	s_and_saveexec_b64 s[20:21], s[22:23]
	s_cbranch_execz .LBB88_749
; %bb.748:
	buffer_load_dword v85, off, s[24:27], 0 offset:288 ; 4-byte Folded Reload
	buffer_load_dword v86, off, s[24:27], 0 offset:292 ; 4-byte Folded Reload
	v_ashrrev_i32_e32 v98, 31, v97
	v_lshlrev_b64 v[98:99], 2, v[97:98]
	s_waitcnt vmcnt(1)
	v_add_co_u32_e32 v98, vcc, v85, v98
	s_waitcnt vmcnt(0)
	v_addc_co_u32_e32 v99, vcc, v86, v99, vcc
	global_load_dword v0, v[98:99], off
	global_load_dword v96, v[85:86], off offset:140
	s_waitcnt vmcnt(1)
	global_store_dword v[85:86], v0, off offset:140
	s_waitcnt vmcnt(1)
	global_store_dword v[98:99], v96, off
.LBB88_749:
	s_or_b64 exec, exec, s[20:21]
	v_mov_b32_e32 v96, v97
	v_mov_b32_e32 v0, v97
.LBB88_750:
	s_or_b64 exec, exec, s[18:19]
.LBB88_751:
	s_andn2_saveexec_b64 s[0:1], s[0:1]
	s_cbranch_execz .LBB88_753
; %bb.752:
	v_mov_b32_e32 v96, 35
	ds_write2_b64 v94, v[29:30], v[31:32] offset0:72 offset1:73
	ds_write2_b64 v94, v[25:26], v[27:28] offset0:74 offset1:75
	;; [unrolled: 1-line block ×9, first 2 shown]
.LBB88_753:
	s_or_b64 exec, exec, s[0:1]
	v_cmp_lt_i32_e32 vcc, 35, v96
	s_waitcnt vmcnt(0) lgkmcnt(0)
	s_barrier
	s_and_saveexec_b64 s[0:1], vcc
	s_cbranch_execz .LBB88_755
; %bb.754:
	v_mul_f64 v[97:98], v[117:118], v[35:36]
	v_mul_f64 v[35:36], v[119:120], v[35:36]
	ds_read2_b64 v[99:102], v94 offset0:72 offset1:73
	v_fma_f64 v[97:98], v[119:120], v[33:34], v[97:98]
	v_fma_f64 v[33:34], v[117:118], v[33:34], -v[35:36]
	s_waitcnt lgkmcnt(0)
	v_mul_f64 v[35:36], v[101:102], v[97:98]
	v_fma_f64 v[35:36], v[99:100], v[33:34], -v[35:36]
	v_mul_f64 v[99:100], v[99:100], v[97:98]
	v_add_f64 v[29:30], v[29:30], -v[35:36]
	v_fma_f64 v[99:100], v[101:102], v[33:34], v[99:100]
	v_add_f64 v[31:32], v[31:32], -v[99:100]
	ds_read2_b64 v[99:102], v94 offset0:74 offset1:75
	s_waitcnt lgkmcnt(0)
	v_mul_f64 v[35:36], v[101:102], v[97:98]
	v_fma_f64 v[35:36], v[99:100], v[33:34], -v[35:36]
	v_mul_f64 v[99:100], v[99:100], v[97:98]
	v_add_f64 v[25:26], v[25:26], -v[35:36]
	v_fma_f64 v[99:100], v[101:102], v[33:34], v[99:100]
	v_add_f64 v[27:28], v[27:28], -v[99:100]
	ds_read2_b64 v[99:102], v94 offset0:76 offset1:77
	;; [unrolled: 8-line block ×8, first 2 shown]
	s_waitcnt lgkmcnt(0)
	v_mul_f64 v[35:36], v[101:102], v[97:98]
	v_fma_f64 v[35:36], v[99:100], v[33:34], -v[35:36]
	v_mul_f64 v[99:100], v[99:100], v[97:98]
	v_add_f64 v[121:122], v[121:122], -v[35:36]
	v_fma_f64 v[99:100], v[101:102], v[33:34], v[99:100]
	v_mov_b32_e32 v35, v97
	v_mov_b32_e32 v36, v98
	v_add_f64 v[123:124], v[123:124], -v[99:100]
.LBB88_755:
	s_or_b64 exec, exec, s[0:1]
	v_lshl_add_u32 v97, v96, 4, v94
	s_barrier
	ds_write2_b64 v97, v[29:30], v[31:32] offset1:1
	s_waitcnt lgkmcnt(0)
	s_barrier
	ds_read2_b64 v[117:120], v94 offset0:72 offset1:73
	s_cmp_lt_i32 s3, 38
	v_mov_b32_e32 v97, 36
	s_cbranch_scc1 .LBB88_758
; %bb.756:
	v_add_u32_e32 v98, 0x250, v94
	s_mov_b32 s0, 37
	v_mov_b32_e32 v97, 36
.LBB88_757:                             ; =>This Inner Loop Header: Depth=1
	s_waitcnt lgkmcnt(0)
	v_cmp_gt_f64_e32 vcc, 0, v[117:118]
	v_xor_b32_e32 v103, 0x80000000, v118
	ds_read2_b64 v[99:102], v98 offset1:1
	v_xor_b32_e32 v105, 0x80000000, v120
	v_add_u32_e32 v98, 16, v98
	s_waitcnt lgkmcnt(0)
	v_xor_b32_e32 v107, 0x80000000, v102
	v_cndmask_b32_e32 v104, v118, v103, vcc
	v_cmp_gt_f64_e32 vcc, 0, v[119:120]
	v_mov_b32_e32 v103, v117
	v_cndmask_b32_e32 v106, v120, v105, vcc
	v_cmp_gt_f64_e32 vcc, 0, v[99:100]
	v_mov_b32_e32 v105, v119
	v_add_f64 v[103:104], v[103:104], v[105:106]
	v_xor_b32_e32 v105, 0x80000000, v100
	v_cndmask_b32_e32 v106, v100, v105, vcc
	v_cmp_gt_f64_e32 vcc, 0, v[101:102]
	v_mov_b32_e32 v105, v99
	v_cndmask_b32_e32 v108, v102, v107, vcc
	v_mov_b32_e32 v107, v101
	v_add_f64 v[105:106], v[105:106], v[107:108]
	v_cmp_lt_f64_e32 vcc, v[103:104], v[105:106]
	v_cndmask_b32_e32 v117, v117, v99, vcc
	v_mov_b32_e32 v99, s0
	s_add_i32 s0, s0, 1
	v_cndmask_b32_e32 v118, v118, v100, vcc
	v_cndmask_b32_e32 v120, v120, v102, vcc
	;; [unrolled: 1-line block ×4, first 2 shown]
	s_cmp_lg_u32 s3, s0
	s_cbranch_scc1 .LBB88_757
.LBB88_758:
	s_waitcnt lgkmcnt(0)
	v_cmp_eq_f64_e32 vcc, 0, v[117:118]
	v_cmp_eq_f64_e64 s[0:1], 0, v[119:120]
	s_and_b64 s[0:1], vcc, s[0:1]
	s_and_saveexec_b64 s[18:19], s[0:1]
	s_xor_b64 s[0:1], exec, s[18:19]
; %bb.759:
	v_cmp_ne_u32_e32 vcc, 0, v95
	v_cndmask_b32_e32 v95, 37, v95, vcc
; %bb.760:
	s_andn2_saveexec_b64 s[0:1], s[0:1]
	s_cbranch_execz .LBB88_766
; %bb.761:
	v_cmp_ngt_f64_e64 s[18:19], |v[117:118]|, |v[119:120]|
	s_and_saveexec_b64 s[20:21], s[18:19]
	s_xor_b64 s[18:19], exec, s[20:21]
	s_cbranch_execz .LBB88_763
; %bb.762:
	v_div_scale_f64 v[98:99], s[20:21], v[119:120], v[119:120], v[117:118]
	v_rcp_f64_e32 v[100:101], v[98:99]
	v_fma_f64 v[102:103], -v[98:99], v[100:101], 1.0
	v_fma_f64 v[100:101], v[100:101], v[102:103], v[100:101]
	v_div_scale_f64 v[102:103], vcc, v[117:118], v[119:120], v[117:118]
	v_fma_f64 v[104:105], -v[98:99], v[100:101], 1.0
	v_fma_f64 v[100:101], v[100:101], v[104:105], v[100:101]
	v_mul_f64 v[104:105], v[102:103], v[100:101]
	v_fma_f64 v[98:99], -v[98:99], v[104:105], v[102:103]
	v_div_fmas_f64 v[98:99], v[98:99], v[100:101], v[104:105]
	v_div_fixup_f64 v[98:99], v[98:99], v[119:120], v[117:118]
	v_fma_f64 v[100:101], v[117:118], v[98:99], v[119:120]
	v_div_scale_f64 v[102:103], s[20:21], v[100:101], v[100:101], 1.0
	v_div_scale_f64 v[108:109], vcc, 1.0, v[100:101], 1.0
	v_rcp_f64_e32 v[104:105], v[102:103]
	v_fma_f64 v[106:107], -v[102:103], v[104:105], 1.0
	v_fma_f64 v[104:105], v[104:105], v[106:107], v[104:105]
	v_fma_f64 v[106:107], -v[102:103], v[104:105], 1.0
	v_fma_f64 v[104:105], v[104:105], v[106:107], v[104:105]
	v_mul_f64 v[106:107], v[108:109], v[104:105]
	v_fma_f64 v[102:103], -v[102:103], v[106:107], v[108:109]
	v_div_fmas_f64 v[102:103], v[102:103], v[104:105], v[106:107]
	v_div_fixup_f64 v[119:120], v[102:103], v[100:101], 1.0
	v_mul_f64 v[117:118], v[98:99], v[119:120]
	v_xor_b32_e32 v120, 0x80000000, v120
.LBB88_763:
	s_andn2_saveexec_b64 s[18:19], s[18:19]
	s_cbranch_execz .LBB88_765
; %bb.764:
	v_div_scale_f64 v[98:99], s[20:21], v[117:118], v[117:118], v[119:120]
	v_rcp_f64_e32 v[100:101], v[98:99]
	v_fma_f64 v[102:103], -v[98:99], v[100:101], 1.0
	v_fma_f64 v[100:101], v[100:101], v[102:103], v[100:101]
	v_div_scale_f64 v[102:103], vcc, v[119:120], v[117:118], v[119:120]
	v_fma_f64 v[104:105], -v[98:99], v[100:101], 1.0
	v_fma_f64 v[100:101], v[100:101], v[104:105], v[100:101]
	v_mul_f64 v[104:105], v[102:103], v[100:101]
	v_fma_f64 v[98:99], -v[98:99], v[104:105], v[102:103]
	v_div_fmas_f64 v[98:99], v[98:99], v[100:101], v[104:105]
	v_div_fixup_f64 v[98:99], v[98:99], v[117:118], v[119:120]
	v_fma_f64 v[100:101], v[119:120], v[98:99], v[117:118]
	v_div_scale_f64 v[102:103], s[20:21], v[100:101], v[100:101], 1.0
	v_div_scale_f64 v[108:109], vcc, 1.0, v[100:101], 1.0
	v_rcp_f64_e32 v[104:105], v[102:103]
	v_fma_f64 v[106:107], -v[102:103], v[104:105], 1.0
	v_fma_f64 v[104:105], v[104:105], v[106:107], v[104:105]
	v_fma_f64 v[106:107], -v[102:103], v[104:105], 1.0
	v_fma_f64 v[104:105], v[104:105], v[106:107], v[104:105]
	v_mul_f64 v[106:107], v[108:109], v[104:105]
	v_fma_f64 v[102:103], -v[102:103], v[106:107], v[108:109]
	v_div_fmas_f64 v[102:103], v[102:103], v[104:105], v[106:107]
	v_div_fixup_f64 v[117:118], v[102:103], v[100:101], 1.0
	v_mul_f64 v[119:120], v[98:99], -v[117:118]
.LBB88_765:
	s_or_b64 exec, exec, s[18:19]
.LBB88_766:
	s_or_b64 exec, exec, s[0:1]
	v_cmp_ne_u32_e32 vcc, v96, v97
	s_and_saveexec_b64 s[0:1], vcc
	s_xor_b64 s[0:1], exec, s[0:1]
	s_cbranch_execz .LBB88_772
; %bb.767:
	v_cmp_eq_u32_e32 vcc, 36, v96
	s_and_saveexec_b64 s[18:19], vcc
	s_cbranch_execz .LBB88_771
; %bb.768:
	v_cmp_ne_u32_e32 vcc, 36, v97
	s_xor_b64 s[20:21], s[6:7], -1
	s_and_b64 s[22:23], s[20:21], vcc
	s_and_saveexec_b64 s[20:21], s[22:23]
	s_cbranch_execz .LBB88_770
; %bb.769:
	buffer_load_dword v85, off, s[24:27], 0 offset:288 ; 4-byte Folded Reload
	buffer_load_dword v86, off, s[24:27], 0 offset:292 ; 4-byte Folded Reload
	v_ashrrev_i32_e32 v98, 31, v97
	v_lshlrev_b64 v[98:99], 2, v[97:98]
	s_waitcnt vmcnt(1)
	v_add_co_u32_e32 v98, vcc, v85, v98
	s_waitcnt vmcnt(0)
	v_addc_co_u32_e32 v99, vcc, v86, v99, vcc
	global_load_dword v0, v[98:99], off
	global_load_dword v96, v[85:86], off offset:144
	s_waitcnt vmcnt(1)
	global_store_dword v[85:86], v0, off offset:144
	s_waitcnt vmcnt(1)
	global_store_dword v[98:99], v96, off
.LBB88_770:
	s_or_b64 exec, exec, s[20:21]
	v_mov_b32_e32 v96, v97
	v_mov_b32_e32 v0, v97
.LBB88_771:
	s_or_b64 exec, exec, s[18:19]
.LBB88_772:
	s_andn2_saveexec_b64 s[0:1], s[0:1]
	s_cbranch_execz .LBB88_774
; %bb.773:
	v_mov_b32_e32 v96, 36
	ds_write2_b64 v94, v[25:26], v[27:28] offset0:74 offset1:75
	ds_write2_b64 v94, v[21:22], v[23:24] offset0:76 offset1:77
	ds_write2_b64 v94, v[17:18], v[19:20] offset0:78 offset1:79
	ds_write2_b64 v94, v[13:14], v[15:16] offset0:80 offset1:81
	ds_write2_b64 v94, v[9:10], v[11:12] offset0:82 offset1:83
	ds_write2_b64 v94, v[5:6], v[7:8] offset0:84 offset1:85
	ds_write2_b64 v94, v[1:2], v[3:4] offset0:86 offset1:87
	ds_write2_b64 v94, v[121:122], v[123:124] offset0:88 offset1:89
.LBB88_774:
	s_or_b64 exec, exec, s[0:1]
	v_cmp_lt_i32_e32 vcc, 36, v96
	s_waitcnt vmcnt(0) lgkmcnt(0)
	s_barrier
	s_and_saveexec_b64 s[0:1], vcc
	s_cbranch_execz .LBB88_776
; %bb.775:
	v_mul_f64 v[97:98], v[117:118], v[31:32]
	v_mul_f64 v[31:32], v[119:120], v[31:32]
	ds_read2_b64 v[99:102], v94 offset0:74 offset1:75
	v_fma_f64 v[97:98], v[119:120], v[29:30], v[97:98]
	v_fma_f64 v[29:30], v[117:118], v[29:30], -v[31:32]
	s_waitcnt lgkmcnt(0)
	v_mul_f64 v[31:32], v[101:102], v[97:98]
	v_fma_f64 v[31:32], v[99:100], v[29:30], -v[31:32]
	v_mul_f64 v[99:100], v[99:100], v[97:98]
	v_add_f64 v[25:26], v[25:26], -v[31:32]
	v_fma_f64 v[99:100], v[101:102], v[29:30], v[99:100]
	v_add_f64 v[27:28], v[27:28], -v[99:100]
	ds_read2_b64 v[99:102], v94 offset0:76 offset1:77
	s_waitcnt lgkmcnt(0)
	v_mul_f64 v[31:32], v[101:102], v[97:98]
	v_fma_f64 v[31:32], v[99:100], v[29:30], -v[31:32]
	v_mul_f64 v[99:100], v[99:100], v[97:98]
	v_add_f64 v[21:22], v[21:22], -v[31:32]
	v_fma_f64 v[99:100], v[101:102], v[29:30], v[99:100]
	v_add_f64 v[23:24], v[23:24], -v[99:100]
	ds_read2_b64 v[99:102], v94 offset0:78 offset1:79
	;; [unrolled: 8-line block ×7, first 2 shown]
	s_waitcnt lgkmcnt(0)
	v_mul_f64 v[31:32], v[101:102], v[97:98]
	v_fma_f64 v[31:32], v[99:100], v[29:30], -v[31:32]
	v_mul_f64 v[99:100], v[99:100], v[97:98]
	v_add_f64 v[121:122], v[121:122], -v[31:32]
	v_fma_f64 v[99:100], v[101:102], v[29:30], v[99:100]
	v_mov_b32_e32 v31, v97
	v_mov_b32_e32 v32, v98
	v_add_f64 v[123:124], v[123:124], -v[99:100]
.LBB88_776:
	s_or_b64 exec, exec, s[0:1]
	v_lshl_add_u32 v97, v96, 4, v94
	s_barrier
	ds_write2_b64 v97, v[25:26], v[27:28] offset1:1
	s_waitcnt lgkmcnt(0)
	s_barrier
	ds_read2_b64 v[117:120], v94 offset0:74 offset1:75
	s_cmp_lt_i32 s3, 39
	v_mov_b32_e32 v97, 37
	s_cbranch_scc1 .LBB88_779
; %bb.777:
	v_add_u32_e32 v98, 0x260, v94
	s_mov_b32 s0, 38
	v_mov_b32_e32 v97, 37
.LBB88_778:                             ; =>This Inner Loop Header: Depth=1
	s_waitcnt lgkmcnt(0)
	v_cmp_gt_f64_e32 vcc, 0, v[117:118]
	v_xor_b32_e32 v103, 0x80000000, v118
	ds_read2_b64 v[99:102], v98 offset1:1
	v_xor_b32_e32 v105, 0x80000000, v120
	v_add_u32_e32 v98, 16, v98
	s_waitcnt lgkmcnt(0)
	v_xor_b32_e32 v107, 0x80000000, v102
	v_cndmask_b32_e32 v104, v118, v103, vcc
	v_cmp_gt_f64_e32 vcc, 0, v[119:120]
	v_mov_b32_e32 v103, v117
	v_cndmask_b32_e32 v106, v120, v105, vcc
	v_cmp_gt_f64_e32 vcc, 0, v[99:100]
	v_mov_b32_e32 v105, v119
	v_add_f64 v[103:104], v[103:104], v[105:106]
	v_xor_b32_e32 v105, 0x80000000, v100
	v_cndmask_b32_e32 v106, v100, v105, vcc
	v_cmp_gt_f64_e32 vcc, 0, v[101:102]
	v_mov_b32_e32 v105, v99
	v_cndmask_b32_e32 v108, v102, v107, vcc
	v_mov_b32_e32 v107, v101
	v_add_f64 v[105:106], v[105:106], v[107:108]
	v_cmp_lt_f64_e32 vcc, v[103:104], v[105:106]
	v_cndmask_b32_e32 v117, v117, v99, vcc
	v_mov_b32_e32 v99, s0
	s_add_i32 s0, s0, 1
	v_cndmask_b32_e32 v118, v118, v100, vcc
	v_cndmask_b32_e32 v120, v120, v102, vcc
	;; [unrolled: 1-line block ×4, first 2 shown]
	s_cmp_lg_u32 s3, s0
	s_cbranch_scc1 .LBB88_778
.LBB88_779:
	s_waitcnt lgkmcnt(0)
	v_cmp_eq_f64_e32 vcc, 0, v[117:118]
	v_cmp_eq_f64_e64 s[0:1], 0, v[119:120]
	s_and_b64 s[0:1], vcc, s[0:1]
	s_and_saveexec_b64 s[18:19], s[0:1]
	s_xor_b64 s[0:1], exec, s[18:19]
; %bb.780:
	v_cmp_ne_u32_e32 vcc, 0, v95
	v_cndmask_b32_e32 v95, 38, v95, vcc
; %bb.781:
	s_andn2_saveexec_b64 s[0:1], s[0:1]
	s_cbranch_execz .LBB88_787
; %bb.782:
	v_cmp_ngt_f64_e64 s[18:19], |v[117:118]|, |v[119:120]|
	s_and_saveexec_b64 s[20:21], s[18:19]
	s_xor_b64 s[18:19], exec, s[20:21]
	s_cbranch_execz .LBB88_784
; %bb.783:
	v_div_scale_f64 v[98:99], s[20:21], v[119:120], v[119:120], v[117:118]
	v_rcp_f64_e32 v[100:101], v[98:99]
	v_fma_f64 v[102:103], -v[98:99], v[100:101], 1.0
	v_fma_f64 v[100:101], v[100:101], v[102:103], v[100:101]
	v_div_scale_f64 v[102:103], vcc, v[117:118], v[119:120], v[117:118]
	v_fma_f64 v[104:105], -v[98:99], v[100:101], 1.0
	v_fma_f64 v[100:101], v[100:101], v[104:105], v[100:101]
	v_mul_f64 v[104:105], v[102:103], v[100:101]
	v_fma_f64 v[98:99], -v[98:99], v[104:105], v[102:103]
	v_div_fmas_f64 v[98:99], v[98:99], v[100:101], v[104:105]
	v_div_fixup_f64 v[98:99], v[98:99], v[119:120], v[117:118]
	v_fma_f64 v[100:101], v[117:118], v[98:99], v[119:120]
	v_div_scale_f64 v[102:103], s[20:21], v[100:101], v[100:101], 1.0
	v_div_scale_f64 v[108:109], vcc, 1.0, v[100:101], 1.0
	v_rcp_f64_e32 v[104:105], v[102:103]
	v_fma_f64 v[106:107], -v[102:103], v[104:105], 1.0
	v_fma_f64 v[104:105], v[104:105], v[106:107], v[104:105]
	v_fma_f64 v[106:107], -v[102:103], v[104:105], 1.0
	v_fma_f64 v[104:105], v[104:105], v[106:107], v[104:105]
	v_mul_f64 v[106:107], v[108:109], v[104:105]
	v_fma_f64 v[102:103], -v[102:103], v[106:107], v[108:109]
	v_div_fmas_f64 v[102:103], v[102:103], v[104:105], v[106:107]
	v_div_fixup_f64 v[119:120], v[102:103], v[100:101], 1.0
	v_mul_f64 v[117:118], v[98:99], v[119:120]
	v_xor_b32_e32 v120, 0x80000000, v120
.LBB88_784:
	s_andn2_saveexec_b64 s[18:19], s[18:19]
	s_cbranch_execz .LBB88_786
; %bb.785:
	v_div_scale_f64 v[98:99], s[20:21], v[117:118], v[117:118], v[119:120]
	v_rcp_f64_e32 v[100:101], v[98:99]
	v_fma_f64 v[102:103], -v[98:99], v[100:101], 1.0
	v_fma_f64 v[100:101], v[100:101], v[102:103], v[100:101]
	v_div_scale_f64 v[102:103], vcc, v[119:120], v[117:118], v[119:120]
	v_fma_f64 v[104:105], -v[98:99], v[100:101], 1.0
	v_fma_f64 v[100:101], v[100:101], v[104:105], v[100:101]
	v_mul_f64 v[104:105], v[102:103], v[100:101]
	v_fma_f64 v[98:99], -v[98:99], v[104:105], v[102:103]
	v_div_fmas_f64 v[98:99], v[98:99], v[100:101], v[104:105]
	v_div_fixup_f64 v[98:99], v[98:99], v[117:118], v[119:120]
	v_fma_f64 v[100:101], v[119:120], v[98:99], v[117:118]
	v_div_scale_f64 v[102:103], s[20:21], v[100:101], v[100:101], 1.0
	v_div_scale_f64 v[108:109], vcc, 1.0, v[100:101], 1.0
	v_rcp_f64_e32 v[104:105], v[102:103]
	v_fma_f64 v[106:107], -v[102:103], v[104:105], 1.0
	v_fma_f64 v[104:105], v[104:105], v[106:107], v[104:105]
	v_fma_f64 v[106:107], -v[102:103], v[104:105], 1.0
	v_fma_f64 v[104:105], v[104:105], v[106:107], v[104:105]
	v_mul_f64 v[106:107], v[108:109], v[104:105]
	v_fma_f64 v[102:103], -v[102:103], v[106:107], v[108:109]
	v_div_fmas_f64 v[102:103], v[102:103], v[104:105], v[106:107]
	v_div_fixup_f64 v[117:118], v[102:103], v[100:101], 1.0
	v_mul_f64 v[119:120], v[98:99], -v[117:118]
.LBB88_786:
	s_or_b64 exec, exec, s[18:19]
.LBB88_787:
	s_or_b64 exec, exec, s[0:1]
	v_cmp_ne_u32_e32 vcc, v96, v97
	s_and_saveexec_b64 s[0:1], vcc
	s_xor_b64 s[0:1], exec, s[0:1]
	s_cbranch_execz .LBB88_793
; %bb.788:
	v_cmp_eq_u32_e32 vcc, 37, v96
	s_and_saveexec_b64 s[18:19], vcc
	s_cbranch_execz .LBB88_792
; %bb.789:
	v_cmp_ne_u32_e32 vcc, 37, v97
	s_xor_b64 s[20:21], s[6:7], -1
	s_and_b64 s[22:23], s[20:21], vcc
	s_and_saveexec_b64 s[20:21], s[22:23]
	s_cbranch_execz .LBB88_791
; %bb.790:
	buffer_load_dword v85, off, s[24:27], 0 offset:288 ; 4-byte Folded Reload
	buffer_load_dword v86, off, s[24:27], 0 offset:292 ; 4-byte Folded Reload
	v_ashrrev_i32_e32 v98, 31, v97
	v_lshlrev_b64 v[98:99], 2, v[97:98]
	s_waitcnt vmcnt(1)
	v_add_co_u32_e32 v98, vcc, v85, v98
	s_waitcnt vmcnt(0)
	v_addc_co_u32_e32 v99, vcc, v86, v99, vcc
	global_load_dword v0, v[98:99], off
	global_load_dword v96, v[85:86], off offset:148
	s_waitcnt vmcnt(1)
	global_store_dword v[85:86], v0, off offset:148
	s_waitcnt vmcnt(1)
	global_store_dword v[98:99], v96, off
.LBB88_791:
	s_or_b64 exec, exec, s[20:21]
	v_mov_b32_e32 v96, v97
	v_mov_b32_e32 v0, v97
.LBB88_792:
	s_or_b64 exec, exec, s[18:19]
.LBB88_793:
	s_andn2_saveexec_b64 s[0:1], s[0:1]
	s_cbranch_execz .LBB88_795
; %bb.794:
	v_mov_b32_e32 v96, 37
	ds_write2_b64 v94, v[21:22], v[23:24] offset0:76 offset1:77
	ds_write2_b64 v94, v[17:18], v[19:20] offset0:78 offset1:79
	;; [unrolled: 1-line block ×7, first 2 shown]
.LBB88_795:
	s_or_b64 exec, exec, s[0:1]
	v_cmp_lt_i32_e32 vcc, 37, v96
	s_waitcnt vmcnt(0) lgkmcnt(0)
	s_barrier
	s_and_saveexec_b64 s[0:1], vcc
	s_cbranch_execz .LBB88_797
; %bb.796:
	v_mul_f64 v[97:98], v[117:118], v[27:28]
	v_mul_f64 v[27:28], v[119:120], v[27:28]
	ds_read2_b64 v[99:102], v94 offset0:76 offset1:77
	v_fma_f64 v[97:98], v[119:120], v[25:26], v[97:98]
	v_fma_f64 v[25:26], v[117:118], v[25:26], -v[27:28]
	s_waitcnt lgkmcnt(0)
	v_mul_f64 v[27:28], v[101:102], v[97:98]
	v_fma_f64 v[27:28], v[99:100], v[25:26], -v[27:28]
	v_mul_f64 v[99:100], v[99:100], v[97:98]
	v_add_f64 v[21:22], v[21:22], -v[27:28]
	v_fma_f64 v[99:100], v[101:102], v[25:26], v[99:100]
	v_add_f64 v[23:24], v[23:24], -v[99:100]
	ds_read2_b64 v[99:102], v94 offset0:78 offset1:79
	s_waitcnt lgkmcnt(0)
	v_mul_f64 v[27:28], v[101:102], v[97:98]
	v_fma_f64 v[27:28], v[99:100], v[25:26], -v[27:28]
	v_mul_f64 v[99:100], v[99:100], v[97:98]
	v_add_f64 v[17:18], v[17:18], -v[27:28]
	v_fma_f64 v[99:100], v[101:102], v[25:26], v[99:100]
	v_add_f64 v[19:20], v[19:20], -v[99:100]
	ds_read2_b64 v[99:102], v94 offset0:80 offset1:81
	;; [unrolled: 8-line block ×6, first 2 shown]
	s_waitcnt lgkmcnt(0)
	v_mul_f64 v[27:28], v[101:102], v[97:98]
	v_fma_f64 v[27:28], v[99:100], v[25:26], -v[27:28]
	v_mul_f64 v[99:100], v[99:100], v[97:98]
	v_add_f64 v[121:122], v[121:122], -v[27:28]
	v_fma_f64 v[99:100], v[101:102], v[25:26], v[99:100]
	v_mov_b32_e32 v27, v97
	v_mov_b32_e32 v28, v98
	v_add_f64 v[123:124], v[123:124], -v[99:100]
.LBB88_797:
	s_or_b64 exec, exec, s[0:1]
	v_lshl_add_u32 v97, v96, 4, v94
	s_barrier
	ds_write2_b64 v97, v[21:22], v[23:24] offset1:1
	s_waitcnt lgkmcnt(0)
	s_barrier
	ds_read2_b64 v[117:120], v94 offset0:76 offset1:77
	s_cmp_lt_i32 s3, 40
	v_mov_b32_e32 v97, 38
	s_cbranch_scc1 .LBB88_800
; %bb.798:
	v_add_u32_e32 v98, 0x270, v94
	s_mov_b32 s0, 39
	v_mov_b32_e32 v97, 38
.LBB88_799:                             ; =>This Inner Loop Header: Depth=1
	s_waitcnt lgkmcnt(0)
	v_cmp_gt_f64_e32 vcc, 0, v[117:118]
	v_xor_b32_e32 v103, 0x80000000, v118
	ds_read2_b64 v[99:102], v98 offset1:1
	v_xor_b32_e32 v105, 0x80000000, v120
	v_add_u32_e32 v98, 16, v98
	s_waitcnt lgkmcnt(0)
	v_xor_b32_e32 v107, 0x80000000, v102
	v_cndmask_b32_e32 v104, v118, v103, vcc
	v_cmp_gt_f64_e32 vcc, 0, v[119:120]
	v_mov_b32_e32 v103, v117
	v_cndmask_b32_e32 v106, v120, v105, vcc
	v_cmp_gt_f64_e32 vcc, 0, v[99:100]
	v_mov_b32_e32 v105, v119
	v_add_f64 v[103:104], v[103:104], v[105:106]
	v_xor_b32_e32 v105, 0x80000000, v100
	v_cndmask_b32_e32 v106, v100, v105, vcc
	v_cmp_gt_f64_e32 vcc, 0, v[101:102]
	v_mov_b32_e32 v105, v99
	v_cndmask_b32_e32 v108, v102, v107, vcc
	v_mov_b32_e32 v107, v101
	v_add_f64 v[105:106], v[105:106], v[107:108]
	v_cmp_lt_f64_e32 vcc, v[103:104], v[105:106]
	v_cndmask_b32_e32 v117, v117, v99, vcc
	v_mov_b32_e32 v99, s0
	s_add_i32 s0, s0, 1
	v_cndmask_b32_e32 v118, v118, v100, vcc
	v_cndmask_b32_e32 v120, v120, v102, vcc
	;; [unrolled: 1-line block ×4, first 2 shown]
	s_cmp_lg_u32 s3, s0
	s_cbranch_scc1 .LBB88_799
.LBB88_800:
	s_waitcnt lgkmcnt(0)
	v_cmp_eq_f64_e32 vcc, 0, v[117:118]
	v_cmp_eq_f64_e64 s[0:1], 0, v[119:120]
	s_and_b64 s[0:1], vcc, s[0:1]
	s_and_saveexec_b64 s[18:19], s[0:1]
	s_xor_b64 s[0:1], exec, s[18:19]
; %bb.801:
	v_cmp_ne_u32_e32 vcc, 0, v95
	v_cndmask_b32_e32 v95, 39, v95, vcc
; %bb.802:
	s_andn2_saveexec_b64 s[0:1], s[0:1]
	s_cbranch_execz .LBB88_808
; %bb.803:
	v_cmp_ngt_f64_e64 s[18:19], |v[117:118]|, |v[119:120]|
	s_and_saveexec_b64 s[20:21], s[18:19]
	s_xor_b64 s[18:19], exec, s[20:21]
	s_cbranch_execz .LBB88_805
; %bb.804:
	v_div_scale_f64 v[98:99], s[20:21], v[119:120], v[119:120], v[117:118]
	v_rcp_f64_e32 v[100:101], v[98:99]
	v_fma_f64 v[102:103], -v[98:99], v[100:101], 1.0
	v_fma_f64 v[100:101], v[100:101], v[102:103], v[100:101]
	v_div_scale_f64 v[102:103], vcc, v[117:118], v[119:120], v[117:118]
	v_fma_f64 v[104:105], -v[98:99], v[100:101], 1.0
	v_fma_f64 v[100:101], v[100:101], v[104:105], v[100:101]
	v_mul_f64 v[104:105], v[102:103], v[100:101]
	v_fma_f64 v[98:99], -v[98:99], v[104:105], v[102:103]
	v_div_fmas_f64 v[98:99], v[98:99], v[100:101], v[104:105]
	v_div_fixup_f64 v[98:99], v[98:99], v[119:120], v[117:118]
	v_fma_f64 v[100:101], v[117:118], v[98:99], v[119:120]
	v_div_scale_f64 v[102:103], s[20:21], v[100:101], v[100:101], 1.0
	v_div_scale_f64 v[108:109], vcc, 1.0, v[100:101], 1.0
	v_rcp_f64_e32 v[104:105], v[102:103]
	v_fma_f64 v[106:107], -v[102:103], v[104:105], 1.0
	v_fma_f64 v[104:105], v[104:105], v[106:107], v[104:105]
	v_fma_f64 v[106:107], -v[102:103], v[104:105], 1.0
	v_fma_f64 v[104:105], v[104:105], v[106:107], v[104:105]
	v_mul_f64 v[106:107], v[108:109], v[104:105]
	v_fma_f64 v[102:103], -v[102:103], v[106:107], v[108:109]
	v_div_fmas_f64 v[102:103], v[102:103], v[104:105], v[106:107]
	v_div_fixup_f64 v[119:120], v[102:103], v[100:101], 1.0
	v_mul_f64 v[117:118], v[98:99], v[119:120]
	v_xor_b32_e32 v120, 0x80000000, v120
.LBB88_805:
	s_andn2_saveexec_b64 s[18:19], s[18:19]
	s_cbranch_execz .LBB88_807
; %bb.806:
	v_div_scale_f64 v[98:99], s[20:21], v[117:118], v[117:118], v[119:120]
	v_rcp_f64_e32 v[100:101], v[98:99]
	v_fma_f64 v[102:103], -v[98:99], v[100:101], 1.0
	v_fma_f64 v[100:101], v[100:101], v[102:103], v[100:101]
	v_div_scale_f64 v[102:103], vcc, v[119:120], v[117:118], v[119:120]
	v_fma_f64 v[104:105], -v[98:99], v[100:101], 1.0
	v_fma_f64 v[100:101], v[100:101], v[104:105], v[100:101]
	v_mul_f64 v[104:105], v[102:103], v[100:101]
	v_fma_f64 v[98:99], -v[98:99], v[104:105], v[102:103]
	v_div_fmas_f64 v[98:99], v[98:99], v[100:101], v[104:105]
	v_div_fixup_f64 v[98:99], v[98:99], v[117:118], v[119:120]
	v_fma_f64 v[100:101], v[119:120], v[98:99], v[117:118]
	v_div_scale_f64 v[102:103], s[20:21], v[100:101], v[100:101], 1.0
	v_div_scale_f64 v[108:109], vcc, 1.0, v[100:101], 1.0
	v_rcp_f64_e32 v[104:105], v[102:103]
	v_fma_f64 v[106:107], -v[102:103], v[104:105], 1.0
	v_fma_f64 v[104:105], v[104:105], v[106:107], v[104:105]
	v_fma_f64 v[106:107], -v[102:103], v[104:105], 1.0
	v_fma_f64 v[104:105], v[104:105], v[106:107], v[104:105]
	v_mul_f64 v[106:107], v[108:109], v[104:105]
	v_fma_f64 v[102:103], -v[102:103], v[106:107], v[108:109]
	v_div_fmas_f64 v[102:103], v[102:103], v[104:105], v[106:107]
	v_div_fixup_f64 v[117:118], v[102:103], v[100:101], 1.0
	v_mul_f64 v[119:120], v[98:99], -v[117:118]
.LBB88_807:
	s_or_b64 exec, exec, s[18:19]
.LBB88_808:
	s_or_b64 exec, exec, s[0:1]
	v_cmp_ne_u32_e32 vcc, v96, v97
	s_and_saveexec_b64 s[0:1], vcc
	s_xor_b64 s[0:1], exec, s[0:1]
	s_cbranch_execz .LBB88_814
; %bb.809:
	v_cmp_eq_u32_e32 vcc, 38, v96
	s_and_saveexec_b64 s[18:19], vcc
	s_cbranch_execz .LBB88_813
; %bb.810:
	v_cmp_ne_u32_e32 vcc, 38, v97
	s_xor_b64 s[20:21], s[6:7], -1
	s_and_b64 s[22:23], s[20:21], vcc
	s_and_saveexec_b64 s[20:21], s[22:23]
	s_cbranch_execz .LBB88_812
; %bb.811:
	buffer_load_dword v85, off, s[24:27], 0 offset:288 ; 4-byte Folded Reload
	buffer_load_dword v86, off, s[24:27], 0 offset:292 ; 4-byte Folded Reload
	v_ashrrev_i32_e32 v98, 31, v97
	v_lshlrev_b64 v[98:99], 2, v[97:98]
	s_waitcnt vmcnt(1)
	v_add_co_u32_e32 v98, vcc, v85, v98
	s_waitcnt vmcnt(0)
	v_addc_co_u32_e32 v99, vcc, v86, v99, vcc
	global_load_dword v0, v[98:99], off
	global_load_dword v96, v[85:86], off offset:152
	s_waitcnt vmcnt(1)
	global_store_dword v[85:86], v0, off offset:152
	s_waitcnt vmcnt(1)
	global_store_dword v[98:99], v96, off
.LBB88_812:
	s_or_b64 exec, exec, s[20:21]
	v_mov_b32_e32 v96, v97
	v_mov_b32_e32 v0, v97
.LBB88_813:
	s_or_b64 exec, exec, s[18:19]
.LBB88_814:
	s_andn2_saveexec_b64 s[0:1], s[0:1]
	s_cbranch_execz .LBB88_816
; %bb.815:
	v_mov_b32_e32 v96, 38
	ds_write2_b64 v94, v[17:18], v[19:20] offset0:78 offset1:79
	ds_write2_b64 v94, v[13:14], v[15:16] offset0:80 offset1:81
	;; [unrolled: 1-line block ×6, first 2 shown]
.LBB88_816:
	s_or_b64 exec, exec, s[0:1]
	v_cmp_lt_i32_e32 vcc, 38, v96
	s_waitcnt vmcnt(0) lgkmcnt(0)
	s_barrier
	s_and_saveexec_b64 s[0:1], vcc
	s_cbranch_execz .LBB88_818
; %bb.817:
	v_mul_f64 v[97:98], v[117:118], v[23:24]
	v_mul_f64 v[23:24], v[119:120], v[23:24]
	ds_read2_b64 v[99:102], v94 offset0:78 offset1:79
	v_fma_f64 v[97:98], v[119:120], v[21:22], v[97:98]
	v_fma_f64 v[21:22], v[117:118], v[21:22], -v[23:24]
	s_waitcnt lgkmcnt(0)
	v_mul_f64 v[23:24], v[101:102], v[97:98]
	v_fma_f64 v[23:24], v[99:100], v[21:22], -v[23:24]
	v_mul_f64 v[99:100], v[99:100], v[97:98]
	v_add_f64 v[17:18], v[17:18], -v[23:24]
	v_fma_f64 v[99:100], v[101:102], v[21:22], v[99:100]
	v_add_f64 v[19:20], v[19:20], -v[99:100]
	ds_read2_b64 v[99:102], v94 offset0:80 offset1:81
	s_waitcnt lgkmcnt(0)
	v_mul_f64 v[23:24], v[101:102], v[97:98]
	v_fma_f64 v[23:24], v[99:100], v[21:22], -v[23:24]
	v_mul_f64 v[99:100], v[99:100], v[97:98]
	v_add_f64 v[13:14], v[13:14], -v[23:24]
	v_fma_f64 v[99:100], v[101:102], v[21:22], v[99:100]
	v_add_f64 v[15:16], v[15:16], -v[99:100]
	ds_read2_b64 v[99:102], v94 offset0:82 offset1:83
	s_waitcnt lgkmcnt(0)
	v_mul_f64 v[23:24], v[101:102], v[97:98]
	v_fma_f64 v[23:24], v[99:100], v[21:22], -v[23:24]
	v_mul_f64 v[99:100], v[99:100], v[97:98]
	v_add_f64 v[9:10], v[9:10], -v[23:24]
	v_fma_f64 v[99:100], v[101:102], v[21:22], v[99:100]
	v_add_f64 v[11:12], v[11:12], -v[99:100]
	ds_read2_b64 v[99:102], v94 offset0:84 offset1:85
	s_waitcnt lgkmcnt(0)
	v_mul_f64 v[23:24], v[101:102], v[97:98]
	v_fma_f64 v[23:24], v[99:100], v[21:22], -v[23:24]
	v_mul_f64 v[99:100], v[99:100], v[97:98]
	v_add_f64 v[5:6], v[5:6], -v[23:24]
	v_fma_f64 v[99:100], v[101:102], v[21:22], v[99:100]
	v_add_f64 v[7:8], v[7:8], -v[99:100]
	ds_read2_b64 v[99:102], v94 offset0:86 offset1:87
	s_waitcnt lgkmcnt(0)
	v_mul_f64 v[23:24], v[101:102], v[97:98]
	v_fma_f64 v[23:24], v[99:100], v[21:22], -v[23:24]
	v_mul_f64 v[99:100], v[99:100], v[97:98]
	v_add_f64 v[1:2], v[1:2], -v[23:24]
	v_fma_f64 v[99:100], v[101:102], v[21:22], v[99:100]
	v_add_f64 v[3:4], v[3:4], -v[99:100]
	ds_read2_b64 v[99:102], v94 offset0:88 offset1:89
	s_waitcnt lgkmcnt(0)
	v_mul_f64 v[23:24], v[101:102], v[97:98]
	v_fma_f64 v[23:24], v[99:100], v[21:22], -v[23:24]
	v_mul_f64 v[99:100], v[99:100], v[97:98]
	v_add_f64 v[121:122], v[121:122], -v[23:24]
	v_fma_f64 v[99:100], v[101:102], v[21:22], v[99:100]
	v_mov_b32_e32 v23, v97
	v_mov_b32_e32 v24, v98
	v_add_f64 v[123:124], v[123:124], -v[99:100]
.LBB88_818:
	s_or_b64 exec, exec, s[0:1]
	v_lshl_add_u32 v97, v96, 4, v94
	s_barrier
	ds_write2_b64 v97, v[17:18], v[19:20] offset1:1
	s_waitcnt lgkmcnt(0)
	s_barrier
	ds_read2_b64 v[117:120], v94 offset0:78 offset1:79
	s_cmp_lt_i32 s3, 41
	v_mov_b32_e32 v97, 39
	s_cbranch_scc1 .LBB88_821
; %bb.819:
	v_add_u32_e32 v98, 0x280, v94
	s_mov_b32 s0, 40
	v_mov_b32_e32 v97, 39
.LBB88_820:                             ; =>This Inner Loop Header: Depth=1
	s_waitcnt lgkmcnt(0)
	v_cmp_gt_f64_e32 vcc, 0, v[117:118]
	v_xor_b32_e32 v103, 0x80000000, v118
	ds_read2_b64 v[99:102], v98 offset1:1
	v_xor_b32_e32 v105, 0x80000000, v120
	v_add_u32_e32 v98, 16, v98
	s_waitcnt lgkmcnt(0)
	v_xor_b32_e32 v107, 0x80000000, v102
	v_cndmask_b32_e32 v104, v118, v103, vcc
	v_cmp_gt_f64_e32 vcc, 0, v[119:120]
	v_mov_b32_e32 v103, v117
	v_cndmask_b32_e32 v106, v120, v105, vcc
	v_cmp_gt_f64_e32 vcc, 0, v[99:100]
	v_mov_b32_e32 v105, v119
	v_add_f64 v[103:104], v[103:104], v[105:106]
	v_xor_b32_e32 v105, 0x80000000, v100
	v_cndmask_b32_e32 v106, v100, v105, vcc
	v_cmp_gt_f64_e32 vcc, 0, v[101:102]
	v_mov_b32_e32 v105, v99
	v_cndmask_b32_e32 v108, v102, v107, vcc
	v_mov_b32_e32 v107, v101
	v_add_f64 v[105:106], v[105:106], v[107:108]
	v_cmp_lt_f64_e32 vcc, v[103:104], v[105:106]
	v_cndmask_b32_e32 v117, v117, v99, vcc
	v_mov_b32_e32 v99, s0
	s_add_i32 s0, s0, 1
	v_cndmask_b32_e32 v118, v118, v100, vcc
	v_cndmask_b32_e32 v120, v120, v102, vcc
	;; [unrolled: 1-line block ×4, first 2 shown]
	s_cmp_lg_u32 s3, s0
	s_cbranch_scc1 .LBB88_820
.LBB88_821:
	s_waitcnt lgkmcnt(0)
	v_cmp_eq_f64_e32 vcc, 0, v[117:118]
	v_cmp_eq_f64_e64 s[0:1], 0, v[119:120]
	s_and_b64 s[0:1], vcc, s[0:1]
	s_and_saveexec_b64 s[18:19], s[0:1]
	s_xor_b64 s[0:1], exec, s[18:19]
; %bb.822:
	v_cmp_ne_u32_e32 vcc, 0, v95
	v_cndmask_b32_e32 v95, 40, v95, vcc
; %bb.823:
	s_andn2_saveexec_b64 s[0:1], s[0:1]
	s_cbranch_execz .LBB88_829
; %bb.824:
	v_cmp_ngt_f64_e64 s[18:19], |v[117:118]|, |v[119:120]|
	s_and_saveexec_b64 s[20:21], s[18:19]
	s_xor_b64 s[18:19], exec, s[20:21]
	s_cbranch_execz .LBB88_826
; %bb.825:
	v_div_scale_f64 v[98:99], s[20:21], v[119:120], v[119:120], v[117:118]
	v_rcp_f64_e32 v[100:101], v[98:99]
	v_fma_f64 v[102:103], -v[98:99], v[100:101], 1.0
	v_fma_f64 v[100:101], v[100:101], v[102:103], v[100:101]
	v_div_scale_f64 v[102:103], vcc, v[117:118], v[119:120], v[117:118]
	v_fma_f64 v[104:105], -v[98:99], v[100:101], 1.0
	v_fma_f64 v[100:101], v[100:101], v[104:105], v[100:101]
	v_mul_f64 v[104:105], v[102:103], v[100:101]
	v_fma_f64 v[98:99], -v[98:99], v[104:105], v[102:103]
	v_div_fmas_f64 v[98:99], v[98:99], v[100:101], v[104:105]
	v_div_fixup_f64 v[98:99], v[98:99], v[119:120], v[117:118]
	v_fma_f64 v[100:101], v[117:118], v[98:99], v[119:120]
	v_div_scale_f64 v[102:103], s[20:21], v[100:101], v[100:101], 1.0
	v_div_scale_f64 v[108:109], vcc, 1.0, v[100:101], 1.0
	v_rcp_f64_e32 v[104:105], v[102:103]
	v_fma_f64 v[106:107], -v[102:103], v[104:105], 1.0
	v_fma_f64 v[104:105], v[104:105], v[106:107], v[104:105]
	v_fma_f64 v[106:107], -v[102:103], v[104:105], 1.0
	v_fma_f64 v[104:105], v[104:105], v[106:107], v[104:105]
	v_mul_f64 v[106:107], v[108:109], v[104:105]
	v_fma_f64 v[102:103], -v[102:103], v[106:107], v[108:109]
	v_div_fmas_f64 v[102:103], v[102:103], v[104:105], v[106:107]
	v_div_fixup_f64 v[119:120], v[102:103], v[100:101], 1.0
	v_mul_f64 v[117:118], v[98:99], v[119:120]
	v_xor_b32_e32 v120, 0x80000000, v120
.LBB88_826:
	s_andn2_saveexec_b64 s[18:19], s[18:19]
	s_cbranch_execz .LBB88_828
; %bb.827:
	v_div_scale_f64 v[98:99], s[20:21], v[117:118], v[117:118], v[119:120]
	v_rcp_f64_e32 v[100:101], v[98:99]
	v_fma_f64 v[102:103], -v[98:99], v[100:101], 1.0
	v_fma_f64 v[100:101], v[100:101], v[102:103], v[100:101]
	v_div_scale_f64 v[102:103], vcc, v[119:120], v[117:118], v[119:120]
	v_fma_f64 v[104:105], -v[98:99], v[100:101], 1.0
	v_fma_f64 v[100:101], v[100:101], v[104:105], v[100:101]
	v_mul_f64 v[104:105], v[102:103], v[100:101]
	v_fma_f64 v[98:99], -v[98:99], v[104:105], v[102:103]
	v_div_fmas_f64 v[98:99], v[98:99], v[100:101], v[104:105]
	v_div_fixup_f64 v[98:99], v[98:99], v[117:118], v[119:120]
	v_fma_f64 v[100:101], v[119:120], v[98:99], v[117:118]
	v_div_scale_f64 v[102:103], s[20:21], v[100:101], v[100:101], 1.0
	v_div_scale_f64 v[108:109], vcc, 1.0, v[100:101], 1.0
	v_rcp_f64_e32 v[104:105], v[102:103]
	v_fma_f64 v[106:107], -v[102:103], v[104:105], 1.0
	v_fma_f64 v[104:105], v[104:105], v[106:107], v[104:105]
	v_fma_f64 v[106:107], -v[102:103], v[104:105], 1.0
	v_fma_f64 v[104:105], v[104:105], v[106:107], v[104:105]
	v_mul_f64 v[106:107], v[108:109], v[104:105]
	v_fma_f64 v[102:103], -v[102:103], v[106:107], v[108:109]
	v_div_fmas_f64 v[102:103], v[102:103], v[104:105], v[106:107]
	v_div_fixup_f64 v[117:118], v[102:103], v[100:101], 1.0
	v_mul_f64 v[119:120], v[98:99], -v[117:118]
.LBB88_828:
	s_or_b64 exec, exec, s[18:19]
.LBB88_829:
	s_or_b64 exec, exec, s[0:1]
	v_cmp_ne_u32_e32 vcc, v96, v97
	s_and_saveexec_b64 s[0:1], vcc
	s_xor_b64 s[0:1], exec, s[0:1]
	s_cbranch_execz .LBB88_835
; %bb.830:
	v_cmp_eq_u32_e32 vcc, 39, v96
	s_and_saveexec_b64 s[18:19], vcc
	s_cbranch_execz .LBB88_834
; %bb.831:
	v_cmp_ne_u32_e32 vcc, 39, v97
	s_xor_b64 s[20:21], s[6:7], -1
	s_and_b64 s[22:23], s[20:21], vcc
	s_and_saveexec_b64 s[20:21], s[22:23]
	s_cbranch_execz .LBB88_833
; %bb.832:
	buffer_load_dword v85, off, s[24:27], 0 offset:288 ; 4-byte Folded Reload
	buffer_load_dword v86, off, s[24:27], 0 offset:292 ; 4-byte Folded Reload
	v_ashrrev_i32_e32 v98, 31, v97
	v_lshlrev_b64 v[98:99], 2, v[97:98]
	s_waitcnt vmcnt(1)
	v_add_co_u32_e32 v98, vcc, v85, v98
	s_waitcnt vmcnt(0)
	v_addc_co_u32_e32 v99, vcc, v86, v99, vcc
	global_load_dword v0, v[98:99], off
	global_load_dword v96, v[85:86], off offset:156
	s_waitcnt vmcnt(1)
	global_store_dword v[85:86], v0, off offset:156
	s_waitcnt vmcnt(1)
	global_store_dword v[98:99], v96, off
.LBB88_833:
	s_or_b64 exec, exec, s[20:21]
	v_mov_b32_e32 v96, v97
	v_mov_b32_e32 v0, v97
.LBB88_834:
	s_or_b64 exec, exec, s[18:19]
.LBB88_835:
	s_andn2_saveexec_b64 s[0:1], s[0:1]
	s_cbranch_execz .LBB88_837
; %bb.836:
	v_mov_b32_e32 v96, 39
	ds_write2_b64 v94, v[13:14], v[15:16] offset0:80 offset1:81
	ds_write2_b64 v94, v[9:10], v[11:12] offset0:82 offset1:83
	;; [unrolled: 1-line block ×5, first 2 shown]
.LBB88_837:
	s_or_b64 exec, exec, s[0:1]
	v_cmp_lt_i32_e32 vcc, 39, v96
	s_waitcnt vmcnt(0) lgkmcnt(0)
	s_barrier
	s_and_saveexec_b64 s[0:1], vcc
	s_cbranch_execz .LBB88_839
; %bb.838:
	v_mul_f64 v[97:98], v[117:118], v[19:20]
	v_mul_f64 v[19:20], v[119:120], v[19:20]
	v_fma_f64 v[101:102], v[119:120], v[17:18], v[97:98]
	ds_read2_b64 v[97:100], v94 offset0:80 offset1:81
	v_fma_f64 v[17:18], v[117:118], v[17:18], -v[19:20]
	s_waitcnt lgkmcnt(0)
	v_mul_f64 v[19:20], v[99:100], v[101:102]
	v_fma_f64 v[19:20], v[97:98], v[17:18], -v[19:20]
	v_mul_f64 v[97:98], v[97:98], v[101:102]
	v_add_f64 v[13:14], v[13:14], -v[19:20]
	v_fma_f64 v[97:98], v[99:100], v[17:18], v[97:98]
	v_add_f64 v[15:16], v[15:16], -v[97:98]
	ds_read2_b64 v[97:100], v94 offset0:82 offset1:83
	s_waitcnt lgkmcnt(0)
	v_mul_f64 v[19:20], v[99:100], v[101:102]
	v_fma_f64 v[19:20], v[97:98], v[17:18], -v[19:20]
	v_mul_f64 v[97:98], v[97:98], v[101:102]
	v_add_f64 v[9:10], v[9:10], -v[19:20]
	v_fma_f64 v[97:98], v[99:100], v[17:18], v[97:98]
	v_add_f64 v[11:12], v[11:12], -v[97:98]
	ds_read2_b64 v[97:100], v94 offset0:84 offset1:85
	;; [unrolled: 8-line block ×4, first 2 shown]
	s_waitcnt lgkmcnt(0)
	v_mul_f64 v[19:20], v[99:100], v[101:102]
	v_fma_f64 v[19:20], v[97:98], v[17:18], -v[19:20]
	v_mul_f64 v[97:98], v[97:98], v[101:102]
	v_add_f64 v[121:122], v[121:122], -v[19:20]
	v_fma_f64 v[97:98], v[99:100], v[17:18], v[97:98]
	v_mov_b32_e32 v19, v101
	v_mov_b32_e32 v20, v102
	v_add_f64 v[123:124], v[123:124], -v[97:98]
.LBB88_839:
	s_or_b64 exec, exec, s[0:1]
	v_lshl_add_u32 v97, v96, 4, v94
	s_barrier
	ds_write2_b64 v97, v[13:14], v[15:16] offset1:1
	s_waitcnt lgkmcnt(0)
	s_barrier
	ds_read2_b64 v[117:120], v94 offset0:80 offset1:81
	s_cmp_lt_i32 s3, 42
	v_mov_b32_e32 v97, 40
	s_cbranch_scc1 .LBB88_842
; %bb.840:
	v_add_u32_e32 v98, 0x290, v94
	s_mov_b32 s0, 41
	v_mov_b32_e32 v97, 40
.LBB88_841:                             ; =>This Inner Loop Header: Depth=1
	s_waitcnt lgkmcnt(0)
	v_cmp_gt_f64_e32 vcc, 0, v[117:118]
	v_xor_b32_e32 v103, 0x80000000, v118
	ds_read2_b64 v[99:102], v98 offset1:1
	v_xor_b32_e32 v105, 0x80000000, v120
	v_add_u32_e32 v98, 16, v98
	s_waitcnt lgkmcnt(0)
	v_xor_b32_e32 v107, 0x80000000, v102
	v_cndmask_b32_e32 v104, v118, v103, vcc
	v_cmp_gt_f64_e32 vcc, 0, v[119:120]
	v_mov_b32_e32 v103, v117
	v_cndmask_b32_e32 v106, v120, v105, vcc
	v_cmp_gt_f64_e32 vcc, 0, v[99:100]
	v_mov_b32_e32 v105, v119
	v_add_f64 v[103:104], v[103:104], v[105:106]
	v_xor_b32_e32 v105, 0x80000000, v100
	v_cndmask_b32_e32 v106, v100, v105, vcc
	v_cmp_gt_f64_e32 vcc, 0, v[101:102]
	v_mov_b32_e32 v105, v99
	v_cndmask_b32_e32 v108, v102, v107, vcc
	v_mov_b32_e32 v107, v101
	v_add_f64 v[105:106], v[105:106], v[107:108]
	v_cmp_lt_f64_e32 vcc, v[103:104], v[105:106]
	v_cndmask_b32_e32 v117, v117, v99, vcc
	v_mov_b32_e32 v99, s0
	s_add_i32 s0, s0, 1
	v_cndmask_b32_e32 v118, v118, v100, vcc
	v_cndmask_b32_e32 v120, v120, v102, vcc
	;; [unrolled: 1-line block ×4, first 2 shown]
	s_cmp_lg_u32 s3, s0
	s_cbranch_scc1 .LBB88_841
.LBB88_842:
	s_waitcnt lgkmcnt(0)
	v_cmp_eq_f64_e32 vcc, 0, v[117:118]
	v_cmp_eq_f64_e64 s[0:1], 0, v[119:120]
	s_and_b64 s[0:1], vcc, s[0:1]
	s_and_saveexec_b64 s[18:19], s[0:1]
	s_xor_b64 s[0:1], exec, s[18:19]
; %bb.843:
	v_cmp_ne_u32_e32 vcc, 0, v95
	v_cndmask_b32_e32 v95, 41, v95, vcc
; %bb.844:
	s_andn2_saveexec_b64 s[0:1], s[0:1]
	s_cbranch_execz .LBB88_850
; %bb.845:
	v_cmp_ngt_f64_e64 s[18:19], |v[117:118]|, |v[119:120]|
	s_and_saveexec_b64 s[20:21], s[18:19]
	s_xor_b64 s[18:19], exec, s[20:21]
	s_cbranch_execz .LBB88_847
; %bb.846:
	v_div_scale_f64 v[98:99], s[20:21], v[119:120], v[119:120], v[117:118]
	v_rcp_f64_e32 v[100:101], v[98:99]
	v_fma_f64 v[102:103], -v[98:99], v[100:101], 1.0
	v_fma_f64 v[100:101], v[100:101], v[102:103], v[100:101]
	v_div_scale_f64 v[102:103], vcc, v[117:118], v[119:120], v[117:118]
	v_fma_f64 v[104:105], -v[98:99], v[100:101], 1.0
	v_fma_f64 v[100:101], v[100:101], v[104:105], v[100:101]
	v_mul_f64 v[104:105], v[102:103], v[100:101]
	v_fma_f64 v[98:99], -v[98:99], v[104:105], v[102:103]
	v_div_fmas_f64 v[98:99], v[98:99], v[100:101], v[104:105]
	v_div_fixup_f64 v[98:99], v[98:99], v[119:120], v[117:118]
	v_fma_f64 v[100:101], v[117:118], v[98:99], v[119:120]
	v_div_scale_f64 v[102:103], s[20:21], v[100:101], v[100:101], 1.0
	v_div_scale_f64 v[108:109], vcc, 1.0, v[100:101], 1.0
	v_rcp_f64_e32 v[104:105], v[102:103]
	v_fma_f64 v[106:107], -v[102:103], v[104:105], 1.0
	v_fma_f64 v[104:105], v[104:105], v[106:107], v[104:105]
	v_fma_f64 v[106:107], -v[102:103], v[104:105], 1.0
	v_fma_f64 v[104:105], v[104:105], v[106:107], v[104:105]
	v_mul_f64 v[106:107], v[108:109], v[104:105]
	v_fma_f64 v[102:103], -v[102:103], v[106:107], v[108:109]
	v_div_fmas_f64 v[102:103], v[102:103], v[104:105], v[106:107]
	v_div_fixup_f64 v[119:120], v[102:103], v[100:101], 1.0
	v_mul_f64 v[117:118], v[98:99], v[119:120]
	v_xor_b32_e32 v120, 0x80000000, v120
.LBB88_847:
	s_andn2_saveexec_b64 s[18:19], s[18:19]
	s_cbranch_execz .LBB88_849
; %bb.848:
	v_div_scale_f64 v[98:99], s[20:21], v[117:118], v[117:118], v[119:120]
	v_rcp_f64_e32 v[100:101], v[98:99]
	v_fma_f64 v[102:103], -v[98:99], v[100:101], 1.0
	v_fma_f64 v[100:101], v[100:101], v[102:103], v[100:101]
	v_div_scale_f64 v[102:103], vcc, v[119:120], v[117:118], v[119:120]
	v_fma_f64 v[104:105], -v[98:99], v[100:101], 1.0
	v_fma_f64 v[100:101], v[100:101], v[104:105], v[100:101]
	v_mul_f64 v[104:105], v[102:103], v[100:101]
	v_fma_f64 v[98:99], -v[98:99], v[104:105], v[102:103]
	v_div_fmas_f64 v[98:99], v[98:99], v[100:101], v[104:105]
	v_div_fixup_f64 v[98:99], v[98:99], v[117:118], v[119:120]
	v_fma_f64 v[100:101], v[119:120], v[98:99], v[117:118]
	v_div_scale_f64 v[102:103], s[20:21], v[100:101], v[100:101], 1.0
	v_div_scale_f64 v[108:109], vcc, 1.0, v[100:101], 1.0
	v_rcp_f64_e32 v[104:105], v[102:103]
	v_fma_f64 v[106:107], -v[102:103], v[104:105], 1.0
	v_fma_f64 v[104:105], v[104:105], v[106:107], v[104:105]
	v_fma_f64 v[106:107], -v[102:103], v[104:105], 1.0
	v_fma_f64 v[104:105], v[104:105], v[106:107], v[104:105]
	v_mul_f64 v[106:107], v[108:109], v[104:105]
	v_fma_f64 v[102:103], -v[102:103], v[106:107], v[108:109]
	v_div_fmas_f64 v[102:103], v[102:103], v[104:105], v[106:107]
	v_div_fixup_f64 v[117:118], v[102:103], v[100:101], 1.0
	v_mul_f64 v[119:120], v[98:99], -v[117:118]
.LBB88_849:
	s_or_b64 exec, exec, s[18:19]
.LBB88_850:
	s_or_b64 exec, exec, s[0:1]
	v_cmp_ne_u32_e32 vcc, v96, v97
	s_and_saveexec_b64 s[0:1], vcc
	s_xor_b64 s[0:1], exec, s[0:1]
	s_cbranch_execz .LBB88_856
; %bb.851:
	v_cmp_eq_u32_e32 vcc, 40, v96
	s_and_saveexec_b64 s[18:19], vcc
	s_cbranch_execz .LBB88_855
; %bb.852:
	v_cmp_ne_u32_e32 vcc, 40, v97
	s_xor_b64 s[20:21], s[6:7], -1
	s_and_b64 s[22:23], s[20:21], vcc
	s_and_saveexec_b64 s[20:21], s[22:23]
	s_cbranch_execz .LBB88_854
; %bb.853:
	buffer_load_dword v85, off, s[24:27], 0 offset:288 ; 4-byte Folded Reload
	buffer_load_dword v86, off, s[24:27], 0 offset:292 ; 4-byte Folded Reload
	v_ashrrev_i32_e32 v98, 31, v97
	v_lshlrev_b64 v[98:99], 2, v[97:98]
	s_waitcnt vmcnt(1)
	v_add_co_u32_e32 v98, vcc, v85, v98
	s_waitcnt vmcnt(0)
	v_addc_co_u32_e32 v99, vcc, v86, v99, vcc
	global_load_dword v0, v[98:99], off
	global_load_dword v96, v[85:86], off offset:160
	s_waitcnt vmcnt(1)
	global_store_dword v[85:86], v0, off offset:160
	s_waitcnt vmcnt(1)
	global_store_dword v[98:99], v96, off
.LBB88_854:
	s_or_b64 exec, exec, s[20:21]
	v_mov_b32_e32 v96, v97
	v_mov_b32_e32 v0, v97
.LBB88_855:
	s_or_b64 exec, exec, s[18:19]
.LBB88_856:
	s_andn2_saveexec_b64 s[0:1], s[0:1]
	s_cbranch_execz .LBB88_858
; %bb.857:
	v_mov_b32_e32 v96, 40
	ds_write2_b64 v94, v[9:10], v[11:12] offset0:82 offset1:83
	ds_write2_b64 v94, v[5:6], v[7:8] offset0:84 offset1:85
	;; [unrolled: 1-line block ×4, first 2 shown]
.LBB88_858:
	s_or_b64 exec, exec, s[0:1]
	v_cmp_lt_i32_e32 vcc, 40, v96
	s_waitcnt vmcnt(0) lgkmcnt(0)
	s_barrier
	s_and_saveexec_b64 s[0:1], vcc
	s_cbranch_execz .LBB88_860
; %bb.859:
	v_mul_f64 v[97:98], v[117:118], v[15:16]
	v_mul_f64 v[15:16], v[119:120], v[15:16]
	v_fma_f64 v[101:102], v[119:120], v[13:14], v[97:98]
	ds_read2_b64 v[97:100], v94 offset0:82 offset1:83
	v_fma_f64 v[13:14], v[117:118], v[13:14], -v[15:16]
	s_waitcnt lgkmcnt(0)
	v_mul_f64 v[15:16], v[99:100], v[101:102]
	v_fma_f64 v[15:16], v[97:98], v[13:14], -v[15:16]
	v_mul_f64 v[97:98], v[97:98], v[101:102]
	v_add_f64 v[9:10], v[9:10], -v[15:16]
	v_fma_f64 v[97:98], v[99:100], v[13:14], v[97:98]
	v_add_f64 v[11:12], v[11:12], -v[97:98]
	ds_read2_b64 v[97:100], v94 offset0:84 offset1:85
	s_waitcnt lgkmcnt(0)
	v_mul_f64 v[15:16], v[99:100], v[101:102]
	v_fma_f64 v[15:16], v[97:98], v[13:14], -v[15:16]
	v_mul_f64 v[97:98], v[97:98], v[101:102]
	v_add_f64 v[5:6], v[5:6], -v[15:16]
	v_fma_f64 v[97:98], v[99:100], v[13:14], v[97:98]
	v_add_f64 v[7:8], v[7:8], -v[97:98]
	ds_read2_b64 v[97:100], v94 offset0:86 offset1:87
	;; [unrolled: 8-line block ×3, first 2 shown]
	s_waitcnt lgkmcnt(0)
	v_mul_f64 v[15:16], v[99:100], v[101:102]
	v_fma_f64 v[15:16], v[97:98], v[13:14], -v[15:16]
	v_mul_f64 v[97:98], v[97:98], v[101:102]
	v_add_f64 v[121:122], v[121:122], -v[15:16]
	v_fma_f64 v[97:98], v[99:100], v[13:14], v[97:98]
	v_mov_b32_e32 v15, v101
	v_mov_b32_e32 v16, v102
	v_add_f64 v[123:124], v[123:124], -v[97:98]
.LBB88_860:
	s_or_b64 exec, exec, s[0:1]
	v_lshl_add_u32 v97, v96, 4, v94
	s_barrier
	ds_write2_b64 v97, v[9:10], v[11:12] offset1:1
	s_waitcnt lgkmcnt(0)
	s_barrier
	ds_read2_b64 v[117:120], v94 offset0:82 offset1:83
	s_cmp_lt_i32 s3, 43
	v_mov_b32_e32 v97, 41
	s_cbranch_scc1 .LBB88_863
; %bb.861:
	v_add_u32_e32 v98, 0x2a0, v94
	s_mov_b32 s0, 42
	v_mov_b32_e32 v97, 41
.LBB88_862:                             ; =>This Inner Loop Header: Depth=1
	s_waitcnt lgkmcnt(0)
	v_cmp_gt_f64_e32 vcc, 0, v[117:118]
	v_xor_b32_e32 v103, 0x80000000, v118
	ds_read2_b64 v[99:102], v98 offset1:1
	v_xor_b32_e32 v105, 0x80000000, v120
	v_add_u32_e32 v98, 16, v98
	s_waitcnt lgkmcnt(0)
	v_xor_b32_e32 v107, 0x80000000, v102
	v_cndmask_b32_e32 v104, v118, v103, vcc
	v_cmp_gt_f64_e32 vcc, 0, v[119:120]
	v_mov_b32_e32 v103, v117
	v_cndmask_b32_e32 v106, v120, v105, vcc
	v_cmp_gt_f64_e32 vcc, 0, v[99:100]
	v_mov_b32_e32 v105, v119
	v_add_f64 v[103:104], v[103:104], v[105:106]
	v_xor_b32_e32 v105, 0x80000000, v100
	v_cndmask_b32_e32 v106, v100, v105, vcc
	v_cmp_gt_f64_e32 vcc, 0, v[101:102]
	v_mov_b32_e32 v105, v99
	v_cndmask_b32_e32 v108, v102, v107, vcc
	v_mov_b32_e32 v107, v101
	v_add_f64 v[105:106], v[105:106], v[107:108]
	v_cmp_lt_f64_e32 vcc, v[103:104], v[105:106]
	v_cndmask_b32_e32 v117, v117, v99, vcc
	v_mov_b32_e32 v99, s0
	s_add_i32 s0, s0, 1
	v_cndmask_b32_e32 v118, v118, v100, vcc
	v_cndmask_b32_e32 v120, v120, v102, vcc
	;; [unrolled: 1-line block ×4, first 2 shown]
	s_cmp_lg_u32 s3, s0
	s_cbranch_scc1 .LBB88_862
.LBB88_863:
	s_waitcnt lgkmcnt(0)
	v_cmp_eq_f64_e32 vcc, 0, v[117:118]
	v_cmp_eq_f64_e64 s[0:1], 0, v[119:120]
	s_and_b64 s[0:1], vcc, s[0:1]
	s_and_saveexec_b64 s[18:19], s[0:1]
	s_xor_b64 s[0:1], exec, s[18:19]
; %bb.864:
	v_cmp_ne_u32_e32 vcc, 0, v95
	v_cndmask_b32_e32 v95, 42, v95, vcc
; %bb.865:
	s_andn2_saveexec_b64 s[0:1], s[0:1]
	s_cbranch_execz .LBB88_871
; %bb.866:
	v_cmp_ngt_f64_e64 s[18:19], |v[117:118]|, |v[119:120]|
	s_and_saveexec_b64 s[20:21], s[18:19]
	s_xor_b64 s[18:19], exec, s[20:21]
	s_cbranch_execz .LBB88_868
; %bb.867:
	v_div_scale_f64 v[98:99], s[20:21], v[119:120], v[119:120], v[117:118]
	v_rcp_f64_e32 v[100:101], v[98:99]
	v_fma_f64 v[102:103], -v[98:99], v[100:101], 1.0
	v_fma_f64 v[100:101], v[100:101], v[102:103], v[100:101]
	v_div_scale_f64 v[102:103], vcc, v[117:118], v[119:120], v[117:118]
	v_fma_f64 v[104:105], -v[98:99], v[100:101], 1.0
	v_fma_f64 v[100:101], v[100:101], v[104:105], v[100:101]
	v_mul_f64 v[104:105], v[102:103], v[100:101]
	v_fma_f64 v[98:99], -v[98:99], v[104:105], v[102:103]
	v_div_fmas_f64 v[98:99], v[98:99], v[100:101], v[104:105]
	v_div_fixup_f64 v[98:99], v[98:99], v[119:120], v[117:118]
	v_fma_f64 v[100:101], v[117:118], v[98:99], v[119:120]
	v_div_scale_f64 v[102:103], s[20:21], v[100:101], v[100:101], 1.0
	v_div_scale_f64 v[108:109], vcc, 1.0, v[100:101], 1.0
	v_rcp_f64_e32 v[104:105], v[102:103]
	v_fma_f64 v[106:107], -v[102:103], v[104:105], 1.0
	v_fma_f64 v[104:105], v[104:105], v[106:107], v[104:105]
	v_fma_f64 v[106:107], -v[102:103], v[104:105], 1.0
	v_fma_f64 v[104:105], v[104:105], v[106:107], v[104:105]
	v_mul_f64 v[106:107], v[108:109], v[104:105]
	v_fma_f64 v[102:103], -v[102:103], v[106:107], v[108:109]
	v_div_fmas_f64 v[102:103], v[102:103], v[104:105], v[106:107]
	v_div_fixup_f64 v[119:120], v[102:103], v[100:101], 1.0
	v_mul_f64 v[117:118], v[98:99], v[119:120]
	v_xor_b32_e32 v120, 0x80000000, v120
.LBB88_868:
	s_andn2_saveexec_b64 s[18:19], s[18:19]
	s_cbranch_execz .LBB88_870
; %bb.869:
	v_div_scale_f64 v[98:99], s[20:21], v[117:118], v[117:118], v[119:120]
	v_rcp_f64_e32 v[100:101], v[98:99]
	v_fma_f64 v[102:103], -v[98:99], v[100:101], 1.0
	v_fma_f64 v[100:101], v[100:101], v[102:103], v[100:101]
	v_div_scale_f64 v[102:103], vcc, v[119:120], v[117:118], v[119:120]
	v_fma_f64 v[104:105], -v[98:99], v[100:101], 1.0
	v_fma_f64 v[100:101], v[100:101], v[104:105], v[100:101]
	v_mul_f64 v[104:105], v[102:103], v[100:101]
	v_fma_f64 v[98:99], -v[98:99], v[104:105], v[102:103]
	v_div_fmas_f64 v[98:99], v[98:99], v[100:101], v[104:105]
	v_div_fixup_f64 v[98:99], v[98:99], v[117:118], v[119:120]
	v_fma_f64 v[100:101], v[119:120], v[98:99], v[117:118]
	v_div_scale_f64 v[102:103], s[20:21], v[100:101], v[100:101], 1.0
	v_div_scale_f64 v[108:109], vcc, 1.0, v[100:101], 1.0
	v_rcp_f64_e32 v[104:105], v[102:103]
	v_fma_f64 v[106:107], -v[102:103], v[104:105], 1.0
	v_fma_f64 v[104:105], v[104:105], v[106:107], v[104:105]
	v_fma_f64 v[106:107], -v[102:103], v[104:105], 1.0
	v_fma_f64 v[104:105], v[104:105], v[106:107], v[104:105]
	v_mul_f64 v[106:107], v[108:109], v[104:105]
	v_fma_f64 v[102:103], -v[102:103], v[106:107], v[108:109]
	v_div_fmas_f64 v[102:103], v[102:103], v[104:105], v[106:107]
	v_div_fixup_f64 v[117:118], v[102:103], v[100:101], 1.0
	v_mul_f64 v[119:120], v[98:99], -v[117:118]
.LBB88_870:
	s_or_b64 exec, exec, s[18:19]
.LBB88_871:
	s_or_b64 exec, exec, s[0:1]
	v_cmp_ne_u32_e32 vcc, v96, v97
	s_and_saveexec_b64 s[0:1], vcc
	s_xor_b64 s[0:1], exec, s[0:1]
	s_cbranch_execz .LBB88_877
; %bb.872:
	v_cmp_eq_u32_e32 vcc, 41, v96
	s_and_saveexec_b64 s[18:19], vcc
	s_cbranch_execz .LBB88_876
; %bb.873:
	v_cmp_ne_u32_e32 vcc, 41, v97
	s_xor_b64 s[20:21], s[6:7], -1
	s_and_b64 s[22:23], s[20:21], vcc
	s_and_saveexec_b64 s[20:21], s[22:23]
	s_cbranch_execz .LBB88_875
; %bb.874:
	buffer_load_dword v85, off, s[24:27], 0 offset:288 ; 4-byte Folded Reload
	buffer_load_dword v86, off, s[24:27], 0 offset:292 ; 4-byte Folded Reload
	v_ashrrev_i32_e32 v98, 31, v97
	v_lshlrev_b64 v[98:99], 2, v[97:98]
	s_waitcnt vmcnt(1)
	v_add_co_u32_e32 v98, vcc, v85, v98
	s_waitcnt vmcnt(0)
	v_addc_co_u32_e32 v99, vcc, v86, v99, vcc
	global_load_dword v0, v[98:99], off
	global_load_dword v96, v[85:86], off offset:164
	s_waitcnt vmcnt(1)
	global_store_dword v[85:86], v0, off offset:164
	s_waitcnt vmcnt(1)
	global_store_dword v[98:99], v96, off
.LBB88_875:
	s_or_b64 exec, exec, s[20:21]
	v_mov_b32_e32 v96, v97
	v_mov_b32_e32 v0, v97
.LBB88_876:
	s_or_b64 exec, exec, s[18:19]
.LBB88_877:
	s_andn2_saveexec_b64 s[0:1], s[0:1]
	s_cbranch_execz .LBB88_879
; %bb.878:
	v_mov_b32_e32 v96, 41
	ds_write2_b64 v94, v[5:6], v[7:8] offset0:84 offset1:85
	ds_write2_b64 v94, v[1:2], v[3:4] offset0:86 offset1:87
	;; [unrolled: 1-line block ×3, first 2 shown]
.LBB88_879:
	s_or_b64 exec, exec, s[0:1]
	v_cmp_lt_i32_e32 vcc, 41, v96
	s_waitcnt vmcnt(0) lgkmcnt(0)
	s_barrier
	s_and_saveexec_b64 s[0:1], vcc
	s_cbranch_execz .LBB88_881
; %bb.880:
	v_mul_f64 v[97:98], v[117:118], v[11:12]
	v_mul_f64 v[11:12], v[119:120], v[11:12]
	v_fma_f64 v[101:102], v[119:120], v[9:10], v[97:98]
	ds_read2_b64 v[97:100], v94 offset0:84 offset1:85
	v_fma_f64 v[9:10], v[117:118], v[9:10], -v[11:12]
	s_waitcnt lgkmcnt(0)
	v_mul_f64 v[11:12], v[99:100], v[101:102]
	v_fma_f64 v[11:12], v[97:98], v[9:10], -v[11:12]
	v_mul_f64 v[97:98], v[97:98], v[101:102]
	v_add_f64 v[5:6], v[5:6], -v[11:12]
	v_fma_f64 v[97:98], v[99:100], v[9:10], v[97:98]
	v_add_f64 v[7:8], v[7:8], -v[97:98]
	ds_read2_b64 v[97:100], v94 offset0:86 offset1:87
	s_waitcnt lgkmcnt(0)
	v_mul_f64 v[11:12], v[99:100], v[101:102]
	v_fma_f64 v[11:12], v[97:98], v[9:10], -v[11:12]
	v_mul_f64 v[97:98], v[97:98], v[101:102]
	v_add_f64 v[1:2], v[1:2], -v[11:12]
	v_fma_f64 v[97:98], v[99:100], v[9:10], v[97:98]
	v_add_f64 v[3:4], v[3:4], -v[97:98]
	ds_read2_b64 v[97:100], v94 offset0:88 offset1:89
	s_waitcnt lgkmcnt(0)
	v_mul_f64 v[11:12], v[99:100], v[101:102]
	v_fma_f64 v[11:12], v[97:98], v[9:10], -v[11:12]
	v_mul_f64 v[97:98], v[97:98], v[101:102]
	v_add_f64 v[121:122], v[121:122], -v[11:12]
	v_fma_f64 v[97:98], v[99:100], v[9:10], v[97:98]
	v_mov_b32_e32 v11, v101
	v_mov_b32_e32 v12, v102
	v_add_f64 v[123:124], v[123:124], -v[97:98]
.LBB88_881:
	s_or_b64 exec, exec, s[0:1]
	v_lshl_add_u32 v97, v96, 4, v94
	s_barrier
	ds_write2_b64 v97, v[5:6], v[7:8] offset1:1
	s_waitcnt lgkmcnt(0)
	s_barrier
	ds_read2_b64 v[117:120], v94 offset0:84 offset1:85
	s_cmp_lt_i32 s3, 44
	v_mov_b32_e32 v97, 42
	s_cbranch_scc1 .LBB88_884
; %bb.882:
	v_add_u32_e32 v98, 0x2b0, v94
	s_mov_b32 s0, 43
	v_mov_b32_e32 v97, 42
.LBB88_883:                             ; =>This Inner Loop Header: Depth=1
	s_waitcnt lgkmcnt(0)
	v_cmp_gt_f64_e32 vcc, 0, v[117:118]
	v_xor_b32_e32 v103, 0x80000000, v118
	ds_read2_b64 v[99:102], v98 offset1:1
	v_xor_b32_e32 v105, 0x80000000, v120
	v_add_u32_e32 v98, 16, v98
	s_waitcnt lgkmcnt(0)
	v_xor_b32_e32 v107, 0x80000000, v102
	v_cndmask_b32_e32 v104, v118, v103, vcc
	v_cmp_gt_f64_e32 vcc, 0, v[119:120]
	v_mov_b32_e32 v103, v117
	v_cndmask_b32_e32 v106, v120, v105, vcc
	v_cmp_gt_f64_e32 vcc, 0, v[99:100]
	v_mov_b32_e32 v105, v119
	v_add_f64 v[103:104], v[103:104], v[105:106]
	v_xor_b32_e32 v105, 0x80000000, v100
	v_cndmask_b32_e32 v106, v100, v105, vcc
	v_cmp_gt_f64_e32 vcc, 0, v[101:102]
	v_mov_b32_e32 v105, v99
	v_cndmask_b32_e32 v108, v102, v107, vcc
	v_mov_b32_e32 v107, v101
	v_add_f64 v[105:106], v[105:106], v[107:108]
	v_cmp_lt_f64_e32 vcc, v[103:104], v[105:106]
	v_cndmask_b32_e32 v117, v117, v99, vcc
	v_mov_b32_e32 v99, s0
	s_add_i32 s0, s0, 1
	v_cndmask_b32_e32 v118, v118, v100, vcc
	v_cndmask_b32_e32 v120, v120, v102, vcc
	;; [unrolled: 1-line block ×4, first 2 shown]
	s_cmp_lg_u32 s3, s0
	s_cbranch_scc1 .LBB88_883
.LBB88_884:
	s_waitcnt lgkmcnt(0)
	v_cmp_eq_f64_e32 vcc, 0, v[117:118]
	v_cmp_eq_f64_e64 s[0:1], 0, v[119:120]
	s_and_b64 s[0:1], vcc, s[0:1]
	s_and_saveexec_b64 s[18:19], s[0:1]
	s_xor_b64 s[0:1], exec, s[18:19]
; %bb.885:
	v_cmp_ne_u32_e32 vcc, 0, v95
	v_cndmask_b32_e32 v95, 43, v95, vcc
; %bb.886:
	s_andn2_saveexec_b64 s[0:1], s[0:1]
	s_cbranch_execz .LBB88_892
; %bb.887:
	v_cmp_ngt_f64_e64 s[18:19], |v[117:118]|, |v[119:120]|
	s_and_saveexec_b64 s[20:21], s[18:19]
	s_xor_b64 s[18:19], exec, s[20:21]
	s_cbranch_execz .LBB88_889
; %bb.888:
	v_div_scale_f64 v[98:99], s[20:21], v[119:120], v[119:120], v[117:118]
	v_rcp_f64_e32 v[100:101], v[98:99]
	v_fma_f64 v[102:103], -v[98:99], v[100:101], 1.0
	v_fma_f64 v[100:101], v[100:101], v[102:103], v[100:101]
	v_div_scale_f64 v[102:103], vcc, v[117:118], v[119:120], v[117:118]
	v_fma_f64 v[104:105], -v[98:99], v[100:101], 1.0
	v_fma_f64 v[100:101], v[100:101], v[104:105], v[100:101]
	v_mul_f64 v[104:105], v[102:103], v[100:101]
	v_fma_f64 v[98:99], -v[98:99], v[104:105], v[102:103]
	v_div_fmas_f64 v[98:99], v[98:99], v[100:101], v[104:105]
	v_div_fixup_f64 v[98:99], v[98:99], v[119:120], v[117:118]
	v_fma_f64 v[100:101], v[117:118], v[98:99], v[119:120]
	v_div_scale_f64 v[102:103], s[20:21], v[100:101], v[100:101], 1.0
	v_div_scale_f64 v[108:109], vcc, 1.0, v[100:101], 1.0
	v_rcp_f64_e32 v[104:105], v[102:103]
	v_fma_f64 v[106:107], -v[102:103], v[104:105], 1.0
	v_fma_f64 v[104:105], v[104:105], v[106:107], v[104:105]
	v_fma_f64 v[106:107], -v[102:103], v[104:105], 1.0
	v_fma_f64 v[104:105], v[104:105], v[106:107], v[104:105]
	v_mul_f64 v[106:107], v[108:109], v[104:105]
	v_fma_f64 v[102:103], -v[102:103], v[106:107], v[108:109]
	v_div_fmas_f64 v[102:103], v[102:103], v[104:105], v[106:107]
	v_div_fixup_f64 v[119:120], v[102:103], v[100:101], 1.0
	v_mul_f64 v[117:118], v[98:99], v[119:120]
	v_xor_b32_e32 v120, 0x80000000, v120
.LBB88_889:
	s_andn2_saveexec_b64 s[18:19], s[18:19]
	s_cbranch_execz .LBB88_891
; %bb.890:
	v_div_scale_f64 v[98:99], s[20:21], v[117:118], v[117:118], v[119:120]
	v_rcp_f64_e32 v[100:101], v[98:99]
	v_fma_f64 v[102:103], -v[98:99], v[100:101], 1.0
	v_fma_f64 v[100:101], v[100:101], v[102:103], v[100:101]
	v_div_scale_f64 v[102:103], vcc, v[119:120], v[117:118], v[119:120]
	v_fma_f64 v[104:105], -v[98:99], v[100:101], 1.0
	v_fma_f64 v[100:101], v[100:101], v[104:105], v[100:101]
	v_mul_f64 v[104:105], v[102:103], v[100:101]
	v_fma_f64 v[98:99], -v[98:99], v[104:105], v[102:103]
	v_div_fmas_f64 v[98:99], v[98:99], v[100:101], v[104:105]
	v_div_fixup_f64 v[98:99], v[98:99], v[117:118], v[119:120]
	v_fma_f64 v[100:101], v[119:120], v[98:99], v[117:118]
	v_div_scale_f64 v[102:103], s[20:21], v[100:101], v[100:101], 1.0
	v_div_scale_f64 v[108:109], vcc, 1.0, v[100:101], 1.0
	v_rcp_f64_e32 v[104:105], v[102:103]
	v_fma_f64 v[106:107], -v[102:103], v[104:105], 1.0
	v_fma_f64 v[104:105], v[104:105], v[106:107], v[104:105]
	v_fma_f64 v[106:107], -v[102:103], v[104:105], 1.0
	v_fma_f64 v[104:105], v[104:105], v[106:107], v[104:105]
	v_mul_f64 v[106:107], v[108:109], v[104:105]
	v_fma_f64 v[102:103], -v[102:103], v[106:107], v[108:109]
	v_div_fmas_f64 v[102:103], v[102:103], v[104:105], v[106:107]
	v_div_fixup_f64 v[117:118], v[102:103], v[100:101], 1.0
	v_mul_f64 v[119:120], v[98:99], -v[117:118]
.LBB88_891:
	s_or_b64 exec, exec, s[18:19]
.LBB88_892:
	s_or_b64 exec, exec, s[0:1]
	v_cmp_ne_u32_e32 vcc, v96, v97
	s_and_saveexec_b64 s[0:1], vcc
	s_xor_b64 s[0:1], exec, s[0:1]
	s_cbranch_execz .LBB88_898
; %bb.893:
	v_cmp_eq_u32_e32 vcc, 42, v96
	s_and_saveexec_b64 s[18:19], vcc
	s_cbranch_execz .LBB88_897
; %bb.894:
	v_cmp_ne_u32_e32 vcc, 42, v97
	s_xor_b64 s[20:21], s[6:7], -1
	s_and_b64 s[22:23], s[20:21], vcc
	s_and_saveexec_b64 s[20:21], s[22:23]
	s_cbranch_execz .LBB88_896
; %bb.895:
	buffer_load_dword v85, off, s[24:27], 0 offset:288 ; 4-byte Folded Reload
	buffer_load_dword v86, off, s[24:27], 0 offset:292 ; 4-byte Folded Reload
	v_ashrrev_i32_e32 v98, 31, v97
	v_lshlrev_b64 v[98:99], 2, v[97:98]
	s_waitcnt vmcnt(1)
	v_add_co_u32_e32 v98, vcc, v85, v98
	s_waitcnt vmcnt(0)
	v_addc_co_u32_e32 v99, vcc, v86, v99, vcc
	global_load_dword v0, v[98:99], off
	global_load_dword v96, v[85:86], off offset:168
	s_waitcnt vmcnt(1)
	global_store_dword v[85:86], v0, off offset:168
	s_waitcnt vmcnt(1)
	global_store_dword v[98:99], v96, off
.LBB88_896:
	s_or_b64 exec, exec, s[20:21]
	v_mov_b32_e32 v96, v97
	v_mov_b32_e32 v0, v97
.LBB88_897:
	s_or_b64 exec, exec, s[18:19]
.LBB88_898:
	s_andn2_saveexec_b64 s[0:1], s[0:1]
	s_cbranch_execz .LBB88_900
; %bb.899:
	v_mov_b32_e32 v96, 42
	ds_write2_b64 v94, v[1:2], v[3:4] offset0:86 offset1:87
	ds_write2_b64 v94, v[121:122], v[123:124] offset0:88 offset1:89
.LBB88_900:
	s_or_b64 exec, exec, s[0:1]
	v_cmp_lt_i32_e32 vcc, 42, v96
	s_waitcnt vmcnt(0) lgkmcnt(0)
	s_barrier
	s_and_saveexec_b64 s[0:1], vcc
	s_cbranch_execz .LBB88_902
; %bb.901:
	v_mul_f64 v[97:98], v[117:118], v[7:8]
	v_mul_f64 v[7:8], v[119:120], v[7:8]
	v_fma_f64 v[101:102], v[119:120], v[5:6], v[97:98]
	ds_read2_b64 v[97:100], v94 offset0:86 offset1:87
	v_fma_f64 v[5:6], v[117:118], v[5:6], -v[7:8]
	s_waitcnt lgkmcnt(0)
	v_mul_f64 v[7:8], v[99:100], v[101:102]
	v_fma_f64 v[7:8], v[97:98], v[5:6], -v[7:8]
	v_mul_f64 v[97:98], v[97:98], v[101:102]
	v_add_f64 v[1:2], v[1:2], -v[7:8]
	v_fma_f64 v[97:98], v[99:100], v[5:6], v[97:98]
	v_add_f64 v[3:4], v[3:4], -v[97:98]
	ds_read2_b64 v[97:100], v94 offset0:88 offset1:89
	s_waitcnt lgkmcnt(0)
	v_mul_f64 v[7:8], v[99:100], v[101:102]
	v_fma_f64 v[7:8], v[97:98], v[5:6], -v[7:8]
	v_mul_f64 v[97:98], v[97:98], v[101:102]
	v_add_f64 v[121:122], v[121:122], -v[7:8]
	v_fma_f64 v[97:98], v[99:100], v[5:6], v[97:98]
	v_mov_b32_e32 v7, v101
	v_mov_b32_e32 v8, v102
	v_add_f64 v[123:124], v[123:124], -v[97:98]
.LBB88_902:
	s_or_b64 exec, exec, s[0:1]
	v_lshl_add_u32 v97, v96, 4, v94
	s_barrier
	ds_write2_b64 v97, v[1:2], v[3:4] offset1:1
	s_waitcnt lgkmcnt(0)
	s_barrier
	ds_read2_b64 v[117:120], v94 offset0:86 offset1:87
	s_cmp_lt_i32 s3, 45
	v_mov_b32_e32 v97, 43
	s_cbranch_scc1 .LBB88_905
; %bb.903:
	v_add_u32_e32 v98, 0x2c0, v94
	s_mov_b32 s0, 44
	v_mov_b32_e32 v97, 43
.LBB88_904:                             ; =>This Inner Loop Header: Depth=1
	s_waitcnt lgkmcnt(0)
	v_cmp_gt_f64_e32 vcc, 0, v[117:118]
	v_xor_b32_e32 v103, 0x80000000, v118
	ds_read2_b64 v[99:102], v98 offset1:1
	v_xor_b32_e32 v105, 0x80000000, v120
	v_add_u32_e32 v98, 16, v98
	s_waitcnt lgkmcnt(0)
	v_xor_b32_e32 v107, 0x80000000, v102
	v_cndmask_b32_e32 v104, v118, v103, vcc
	v_cmp_gt_f64_e32 vcc, 0, v[119:120]
	v_mov_b32_e32 v103, v117
	v_cndmask_b32_e32 v106, v120, v105, vcc
	v_cmp_gt_f64_e32 vcc, 0, v[99:100]
	v_mov_b32_e32 v105, v119
	v_add_f64 v[103:104], v[103:104], v[105:106]
	v_xor_b32_e32 v105, 0x80000000, v100
	v_cndmask_b32_e32 v106, v100, v105, vcc
	v_cmp_gt_f64_e32 vcc, 0, v[101:102]
	v_mov_b32_e32 v105, v99
	v_cndmask_b32_e32 v108, v102, v107, vcc
	v_mov_b32_e32 v107, v101
	v_add_f64 v[105:106], v[105:106], v[107:108]
	v_cmp_lt_f64_e32 vcc, v[103:104], v[105:106]
	v_cndmask_b32_e32 v117, v117, v99, vcc
	v_mov_b32_e32 v99, s0
	s_add_i32 s0, s0, 1
	v_cndmask_b32_e32 v118, v118, v100, vcc
	v_cndmask_b32_e32 v120, v120, v102, vcc
	;; [unrolled: 1-line block ×4, first 2 shown]
	s_cmp_lg_u32 s3, s0
	s_cbranch_scc1 .LBB88_904
.LBB88_905:
	s_waitcnt lgkmcnt(0)
	v_cmp_eq_f64_e32 vcc, 0, v[117:118]
	v_cmp_eq_f64_e64 s[0:1], 0, v[119:120]
	s_and_b64 s[0:1], vcc, s[0:1]
	s_and_saveexec_b64 s[18:19], s[0:1]
	s_xor_b64 s[0:1], exec, s[18:19]
; %bb.906:
	v_cmp_ne_u32_e32 vcc, 0, v95
	v_cndmask_b32_e32 v95, 44, v95, vcc
; %bb.907:
	s_andn2_saveexec_b64 s[0:1], s[0:1]
	s_cbranch_execz .LBB88_913
; %bb.908:
	v_cmp_ngt_f64_e64 s[18:19], |v[117:118]|, |v[119:120]|
	s_and_saveexec_b64 s[20:21], s[18:19]
	s_xor_b64 s[18:19], exec, s[20:21]
	s_cbranch_execz .LBB88_910
; %bb.909:
	v_div_scale_f64 v[98:99], s[20:21], v[119:120], v[119:120], v[117:118]
	v_rcp_f64_e32 v[100:101], v[98:99]
	v_fma_f64 v[102:103], -v[98:99], v[100:101], 1.0
	v_fma_f64 v[100:101], v[100:101], v[102:103], v[100:101]
	v_div_scale_f64 v[102:103], vcc, v[117:118], v[119:120], v[117:118]
	v_fma_f64 v[104:105], -v[98:99], v[100:101], 1.0
	v_fma_f64 v[100:101], v[100:101], v[104:105], v[100:101]
	v_mul_f64 v[104:105], v[102:103], v[100:101]
	v_fma_f64 v[98:99], -v[98:99], v[104:105], v[102:103]
	v_div_fmas_f64 v[98:99], v[98:99], v[100:101], v[104:105]
	v_div_fixup_f64 v[98:99], v[98:99], v[119:120], v[117:118]
	v_fma_f64 v[100:101], v[117:118], v[98:99], v[119:120]
	v_div_scale_f64 v[102:103], s[20:21], v[100:101], v[100:101], 1.0
	v_div_scale_f64 v[108:109], vcc, 1.0, v[100:101], 1.0
	v_rcp_f64_e32 v[104:105], v[102:103]
	v_fma_f64 v[106:107], -v[102:103], v[104:105], 1.0
	v_fma_f64 v[104:105], v[104:105], v[106:107], v[104:105]
	v_fma_f64 v[106:107], -v[102:103], v[104:105], 1.0
	v_fma_f64 v[104:105], v[104:105], v[106:107], v[104:105]
	v_mul_f64 v[106:107], v[108:109], v[104:105]
	v_fma_f64 v[102:103], -v[102:103], v[106:107], v[108:109]
	v_div_fmas_f64 v[102:103], v[102:103], v[104:105], v[106:107]
	v_div_fixup_f64 v[119:120], v[102:103], v[100:101], 1.0
	v_mul_f64 v[117:118], v[98:99], v[119:120]
	v_xor_b32_e32 v120, 0x80000000, v120
.LBB88_910:
	s_andn2_saveexec_b64 s[18:19], s[18:19]
	s_cbranch_execz .LBB88_912
; %bb.911:
	v_div_scale_f64 v[98:99], s[20:21], v[117:118], v[117:118], v[119:120]
	v_rcp_f64_e32 v[100:101], v[98:99]
	v_fma_f64 v[102:103], -v[98:99], v[100:101], 1.0
	v_fma_f64 v[100:101], v[100:101], v[102:103], v[100:101]
	v_div_scale_f64 v[102:103], vcc, v[119:120], v[117:118], v[119:120]
	v_fma_f64 v[104:105], -v[98:99], v[100:101], 1.0
	v_fma_f64 v[100:101], v[100:101], v[104:105], v[100:101]
	v_mul_f64 v[104:105], v[102:103], v[100:101]
	v_fma_f64 v[98:99], -v[98:99], v[104:105], v[102:103]
	v_div_fmas_f64 v[98:99], v[98:99], v[100:101], v[104:105]
	v_div_fixup_f64 v[98:99], v[98:99], v[117:118], v[119:120]
	v_fma_f64 v[100:101], v[119:120], v[98:99], v[117:118]
	v_div_scale_f64 v[102:103], s[20:21], v[100:101], v[100:101], 1.0
	v_div_scale_f64 v[108:109], vcc, 1.0, v[100:101], 1.0
	v_rcp_f64_e32 v[104:105], v[102:103]
	v_fma_f64 v[106:107], -v[102:103], v[104:105], 1.0
	v_fma_f64 v[104:105], v[104:105], v[106:107], v[104:105]
	v_fma_f64 v[106:107], -v[102:103], v[104:105], 1.0
	v_fma_f64 v[104:105], v[104:105], v[106:107], v[104:105]
	v_mul_f64 v[106:107], v[108:109], v[104:105]
	v_fma_f64 v[102:103], -v[102:103], v[106:107], v[108:109]
	v_div_fmas_f64 v[102:103], v[102:103], v[104:105], v[106:107]
	v_div_fixup_f64 v[117:118], v[102:103], v[100:101], 1.0
	v_mul_f64 v[119:120], v[98:99], -v[117:118]
.LBB88_912:
	s_or_b64 exec, exec, s[18:19]
.LBB88_913:
	s_or_b64 exec, exec, s[0:1]
	v_cmp_ne_u32_e32 vcc, v96, v97
	s_and_saveexec_b64 s[0:1], vcc
	s_xor_b64 s[0:1], exec, s[0:1]
	s_cbranch_execz .LBB88_919
; %bb.914:
	v_cmp_eq_u32_e32 vcc, 43, v96
	s_and_saveexec_b64 s[18:19], vcc
	s_cbranch_execz .LBB88_918
; %bb.915:
	v_cmp_ne_u32_e32 vcc, 43, v97
	s_xor_b64 s[20:21], s[6:7], -1
	s_and_b64 s[22:23], s[20:21], vcc
	s_and_saveexec_b64 s[20:21], s[22:23]
	s_cbranch_execz .LBB88_917
; %bb.916:
	buffer_load_dword v85, off, s[24:27], 0 offset:288 ; 4-byte Folded Reload
	buffer_load_dword v86, off, s[24:27], 0 offset:292 ; 4-byte Folded Reload
	v_ashrrev_i32_e32 v98, 31, v97
	v_lshlrev_b64 v[98:99], 2, v[97:98]
	s_waitcnt vmcnt(1)
	v_add_co_u32_e32 v98, vcc, v85, v98
	s_waitcnt vmcnt(0)
	v_addc_co_u32_e32 v99, vcc, v86, v99, vcc
	global_load_dword v0, v[98:99], off
	global_load_dword v96, v[85:86], off offset:172
	s_waitcnt vmcnt(1)
	global_store_dword v[85:86], v0, off offset:172
	s_waitcnt vmcnt(1)
	global_store_dword v[98:99], v96, off
.LBB88_917:
	s_or_b64 exec, exec, s[20:21]
	v_mov_b32_e32 v96, v97
	v_mov_b32_e32 v0, v97
.LBB88_918:
	s_or_b64 exec, exec, s[18:19]
.LBB88_919:
	s_andn2_saveexec_b64 s[0:1], s[0:1]
; %bb.920:
	v_mov_b32_e32 v96, 43
	ds_write2_b64 v94, v[121:122], v[123:124] offset0:88 offset1:89
; %bb.921:
	s_or_b64 exec, exec, s[0:1]
	v_cmp_lt_i32_e32 vcc, 43, v96
	s_waitcnt vmcnt(0) lgkmcnt(0)
	s_barrier
	s_and_saveexec_b64 s[0:1], vcc
	s_cbranch_execz .LBB88_923
; %bb.922:
	v_mul_f64 v[97:98], v[117:118], v[3:4]
	v_mul_f64 v[3:4], v[119:120], v[3:4]
	v_fma_f64 v[101:102], v[119:120], v[1:2], v[97:98]
	ds_read2_b64 v[97:100], v94 offset0:88 offset1:89
	v_fma_f64 v[1:2], v[117:118], v[1:2], -v[3:4]
	s_waitcnt lgkmcnt(0)
	v_mul_f64 v[3:4], v[99:100], v[101:102]
	v_fma_f64 v[3:4], v[97:98], v[1:2], -v[3:4]
	v_mul_f64 v[97:98], v[97:98], v[101:102]
	v_add_f64 v[121:122], v[121:122], -v[3:4]
	v_fma_f64 v[97:98], v[99:100], v[1:2], v[97:98]
	v_mov_b32_e32 v3, v101
	v_mov_b32_e32 v4, v102
	v_add_f64 v[123:124], v[123:124], -v[97:98]
.LBB88_923:
	s_or_b64 exec, exec, s[0:1]
	v_lshl_add_u32 v97, v96, 4, v94
	s_barrier
	ds_write2_b64 v97, v[121:122], v[123:124] offset1:1
	s_waitcnt lgkmcnt(0)
	s_barrier
	ds_read2_b64 v[117:120], v94 offset0:88 offset1:89
	s_cmp_lt_i32 s3, 46
	v_mov_b32_e32 v97, 44
	s_cbranch_scc1 .LBB88_926
; %bb.924:
	v_add_u32_e32 v94, 0x2d0, v94
	s_mov_b32 s0, 45
	v_mov_b32_e32 v97, 44
.LBB88_925:                             ; =>This Inner Loop Header: Depth=1
	s_waitcnt lgkmcnt(0)
	v_cmp_gt_f64_e32 vcc, 0, v[117:118]
	v_xor_b32_e32 v102, 0x80000000, v118
	ds_read2_b64 v[98:101], v94 offset1:1
	v_xor_b32_e32 v104, 0x80000000, v120
	v_add_u32_e32 v94, 16, v94
	s_waitcnt lgkmcnt(0)
	v_xor_b32_e32 v106, 0x80000000, v101
	v_cndmask_b32_e32 v103, v118, v102, vcc
	v_cmp_gt_f64_e32 vcc, 0, v[119:120]
	v_mov_b32_e32 v102, v117
	v_cndmask_b32_e32 v105, v120, v104, vcc
	v_cmp_gt_f64_e32 vcc, 0, v[98:99]
	v_mov_b32_e32 v104, v119
	v_add_f64 v[102:103], v[102:103], v[104:105]
	v_xor_b32_e32 v104, 0x80000000, v99
	v_cndmask_b32_e32 v105, v99, v104, vcc
	v_cmp_gt_f64_e32 vcc, 0, v[100:101]
	v_mov_b32_e32 v104, v98
	v_cndmask_b32_e32 v107, v101, v106, vcc
	v_mov_b32_e32 v106, v100
	v_add_f64 v[104:105], v[104:105], v[106:107]
	v_cmp_lt_f64_e32 vcc, v[102:103], v[104:105]
	v_cndmask_b32_e32 v117, v117, v98, vcc
	v_mov_b32_e32 v98, s0
	s_add_i32 s0, s0, 1
	v_cndmask_b32_e32 v118, v118, v99, vcc
	v_cndmask_b32_e32 v120, v120, v101, vcc
	;; [unrolled: 1-line block ×4, first 2 shown]
	s_cmp_lg_u32 s3, s0
	s_cbranch_scc1 .LBB88_925
.LBB88_926:
	s_waitcnt lgkmcnt(0)
	v_cmp_eq_f64_e32 vcc, 0, v[117:118]
	v_cmp_eq_f64_e64 s[0:1], 0, v[119:120]
	s_and_b64 s[0:1], vcc, s[0:1]
	s_and_saveexec_b64 s[18:19], s[0:1]
	s_xor_b64 s[0:1], exec, s[18:19]
; %bb.927:
	v_cmp_ne_u32_e32 vcc, 0, v95
	v_cndmask_b32_e32 v95, 45, v95, vcc
; %bb.928:
	s_andn2_saveexec_b64 s[0:1], s[0:1]
	s_cbranch_execz .LBB88_934
; %bb.929:
	v_cmp_ngt_f64_e64 s[18:19], |v[117:118]|, |v[119:120]|
	s_and_saveexec_b64 s[20:21], s[18:19]
	s_xor_b64 s[18:19], exec, s[20:21]
	s_cbranch_execz .LBB88_931
; %bb.930:
	v_div_scale_f64 v[98:99], s[20:21], v[119:120], v[119:120], v[117:118]
	v_rcp_f64_e32 v[100:101], v[98:99]
	v_fma_f64 v[102:103], -v[98:99], v[100:101], 1.0
	v_fma_f64 v[100:101], v[100:101], v[102:103], v[100:101]
	v_div_scale_f64 v[102:103], vcc, v[117:118], v[119:120], v[117:118]
	v_fma_f64 v[104:105], -v[98:99], v[100:101], 1.0
	v_fma_f64 v[100:101], v[100:101], v[104:105], v[100:101]
	v_mul_f64 v[104:105], v[102:103], v[100:101]
	v_fma_f64 v[98:99], -v[98:99], v[104:105], v[102:103]
	v_div_fmas_f64 v[98:99], v[98:99], v[100:101], v[104:105]
	v_div_fixup_f64 v[98:99], v[98:99], v[119:120], v[117:118]
	v_fma_f64 v[100:101], v[117:118], v[98:99], v[119:120]
	v_div_scale_f64 v[102:103], s[20:21], v[100:101], v[100:101], 1.0
	v_div_scale_f64 v[108:109], vcc, 1.0, v[100:101], 1.0
	v_rcp_f64_e32 v[104:105], v[102:103]
	v_fma_f64 v[106:107], -v[102:103], v[104:105], 1.0
	v_fma_f64 v[104:105], v[104:105], v[106:107], v[104:105]
	v_fma_f64 v[106:107], -v[102:103], v[104:105], 1.0
	v_fma_f64 v[104:105], v[104:105], v[106:107], v[104:105]
	v_mul_f64 v[106:107], v[108:109], v[104:105]
	v_fma_f64 v[102:103], -v[102:103], v[106:107], v[108:109]
	v_div_fmas_f64 v[102:103], v[102:103], v[104:105], v[106:107]
	v_div_fixup_f64 v[119:120], v[102:103], v[100:101], 1.0
	v_mul_f64 v[117:118], v[98:99], v[119:120]
	v_xor_b32_e32 v120, 0x80000000, v120
.LBB88_931:
	s_andn2_saveexec_b64 s[18:19], s[18:19]
	s_cbranch_execz .LBB88_933
; %bb.932:
	v_div_scale_f64 v[98:99], s[20:21], v[117:118], v[117:118], v[119:120]
	v_rcp_f64_e32 v[100:101], v[98:99]
	v_fma_f64 v[102:103], -v[98:99], v[100:101], 1.0
	v_fma_f64 v[100:101], v[100:101], v[102:103], v[100:101]
	v_div_scale_f64 v[102:103], vcc, v[119:120], v[117:118], v[119:120]
	v_fma_f64 v[104:105], -v[98:99], v[100:101], 1.0
	v_fma_f64 v[100:101], v[100:101], v[104:105], v[100:101]
	v_mul_f64 v[104:105], v[102:103], v[100:101]
	v_fma_f64 v[98:99], -v[98:99], v[104:105], v[102:103]
	v_div_fmas_f64 v[98:99], v[98:99], v[100:101], v[104:105]
	v_div_fixup_f64 v[98:99], v[98:99], v[117:118], v[119:120]
	v_fma_f64 v[100:101], v[119:120], v[98:99], v[117:118]
	v_div_scale_f64 v[102:103], s[20:21], v[100:101], v[100:101], 1.0
	v_div_scale_f64 v[108:109], vcc, 1.0, v[100:101], 1.0
	v_rcp_f64_e32 v[104:105], v[102:103]
	v_fma_f64 v[106:107], -v[102:103], v[104:105], 1.0
	v_fma_f64 v[104:105], v[104:105], v[106:107], v[104:105]
	v_fma_f64 v[106:107], -v[102:103], v[104:105], 1.0
	v_fma_f64 v[104:105], v[104:105], v[106:107], v[104:105]
	v_mul_f64 v[106:107], v[108:109], v[104:105]
	v_fma_f64 v[102:103], -v[102:103], v[106:107], v[108:109]
	v_div_fmas_f64 v[102:103], v[102:103], v[104:105], v[106:107]
	v_div_fixup_f64 v[117:118], v[102:103], v[100:101], 1.0
	v_mul_f64 v[119:120], v[98:99], -v[117:118]
.LBB88_933:
	s_or_b64 exec, exec, s[18:19]
.LBB88_934:
	s_or_b64 exec, exec, s[0:1]
	v_cmp_ne_u32_e32 vcc, v96, v97
	v_mov_b32_e32 v98, 44
	s_and_saveexec_b64 s[0:1], vcc
	s_cbranch_execz .LBB88_940
; %bb.935:
	v_cmp_eq_u32_e32 vcc, 44, v96
	s_and_saveexec_b64 s[18:19], vcc
	s_cbranch_execz .LBB88_939
; %bb.936:
	v_cmp_ne_u32_e32 vcc, 44, v97
	s_xor_b64 s[6:7], s[6:7], -1
	s_and_b64 s[20:21], s[6:7], vcc
	s_and_saveexec_b64 s[6:7], s[20:21]
	s_cbranch_execz .LBB88_938
; %bb.937:
	buffer_load_dword v85, off, s[24:27], 0 offset:288 ; 4-byte Folded Reload
	buffer_load_dword v86, off, s[24:27], 0 offset:292 ; 4-byte Folded Reload
	v_ashrrev_i32_e32 v98, 31, v97
	v_lshlrev_b64 v[98:99], 2, v[97:98]
	s_waitcnt vmcnt(1)
	v_add_co_u32_e32 v98, vcc, v85, v98
	s_waitcnt vmcnt(0)
	v_addc_co_u32_e32 v99, vcc, v86, v99, vcc
	global_load_dword v0, v[98:99], off
	global_load_dword v94, v[85:86], off offset:176
	s_waitcnt vmcnt(1)
	global_store_dword v[85:86], v0, off offset:176
	s_waitcnt vmcnt(1)
	global_store_dword v[98:99], v94, off
.LBB88_938:
	s_or_b64 exec, exec, s[6:7]
	v_mov_b32_e32 v96, v97
	v_mov_b32_e32 v0, v97
.LBB88_939:
	s_or_b64 exec, exec, s[18:19]
	v_mov_b32_e32 v98, v96
.LBB88_940:
	s_or_b64 exec, exec, s[0:1]
	v_cmp_gt_i32_e32 vcc, 45, v98
	v_ashrrev_i32_e32 v99, 31, v98
	s_waitcnt vmcnt(0)
	s_barrier
	s_barrier
	s_and_saveexec_b64 s[0:1], vcc
	s_cbranch_execz .LBB88_942
; %bb.941:
	v_mul_lo_u32 v94, s15, v115
	v_mul_lo_u32 v100, s14, v116
	v_mad_u64_u32 v[96:97], s[6:7], s14, v115, 0
	s_lshl_b64 s[6:7], s[12:13], 2
	v_add3_u32 v0, v0, s17, 1
	v_add3_u32 v97, v97, v100, v94
	v_lshlrev_b64 v[96:97], 2, v[96:97]
	v_mov_b32_e32 v94, s11
	v_add_co_u32_e32 v96, vcc, s10, v96
	v_addc_co_u32_e32 v94, vcc, v94, v97, vcc
	v_mov_b32_e32 v97, s7
	v_add_co_u32_e32 v100, vcc, s6, v96
	v_addc_co_u32_e32 v94, vcc, v94, v97, vcc
	v_lshlrev_b64 v[96:97], 2, v[98:99]
	v_add_co_u32_e32 v96, vcc, v100, v96
	v_addc_co_u32_e32 v97, vcc, v94, v97, vcc
	global_store_dword v[96:97], v0, off
.LBB88_942:
	s_or_b64 exec, exec, s[0:1]
	v_mov_b32_e32 v85, v89
	v_mov_b32_e32 v86, v90
	;; [unrolled: 1-line block ×4, first 2 shown]
	v_cmp_eq_u32_e32 vcc, 0, v98
	s_and_saveexec_b64 s[6:7], vcc
	s_cbranch_execz .LBB88_945
; %bb.943:
	v_lshlrev_b64 v[96:97], 2, v[115:116]
	v_mov_b32_e32 v0, s5
	v_add_co_u32_e32 v100, vcc, s4, v96
	v_addc_co_u32_e32 v101, vcc, v0, v97, vcc
	global_load_dword v0, v[100:101], off
	v_cmp_ne_u32_e64 s[0:1], 0, v95
	s_waitcnt vmcnt(0)
	v_cmp_eq_u32_e32 vcc, 0, v0
	s_and_b64 s[0:1], vcc, s[0:1]
	s_and_b64 exec, exec, s[0:1]
	s_cbranch_execz .LBB88_945
; %bb.944:
	v_add_u32_e32 v0, s17, v95
	global_store_dword v[100:101], v0, off
.LBB88_945:
	s_or_b64 exec, exec, s[6:7]
	buffer_load_dword v89, off, s[24:27], 0 offset:328 ; 4-byte Folded Reload
	buffer_load_dword v90, off, s[24:27], 0 offset:332 ; 4-byte Folded Reload
	;; [unrolled: 1-line block ×4, first 2 shown]
	v_mul_f64 v[94:95], v[117:118], v[123:124]
	v_mul_f64 v[96:97], v[119:120], v[123:124]
	v_cmp_lt_i32_e32 vcc, 44, v98
	v_mov_b32_e32 v0, s9
	v_fma_f64 v[94:95], v[119:120], v[121:122], v[94:95]
	v_fma_f64 v[96:97], v[117:118], v[121:122], -v[96:97]
	v_cndmask_b32_e32 v120, v124, v95, vcc
	v_cndmask_b32_e32 v119, v123, v94, vcc
	v_lshlrev_b64 v[94:95], 4, v[98:99]
	v_cndmask_b32_e32 v118, v122, v97, vcc
	v_cndmask_b32_e32 v117, v121, v96, vcc
	v_add_co_u32_e32 v94, vcc, v127, v94
	v_addc_co_u32_e32 v95, vcc, v93, v95, vcc
	s_waitcnt vmcnt(0)
	global_store_dwordx4 v[94:95], v[89:92], off
	buffer_load_dword v89, off, s[24:27], 0 offset:312 ; 4-byte Folded Reload
	s_nop 0
	buffer_load_dword v90, off, s[24:27], 0 offset:316 ; 4-byte Folded Reload
	buffer_load_dword v91, off, s[24:27], 0 offset:320 ; 4-byte Folded Reload
	;; [unrolled: 1-line block ×3, first 2 shown]
	v_add_co_u32_e32 v94, vcc, s8, v94
	v_addc_co_u32_e32 v95, vcc, v95, v0, vcc
	s_waitcnt vmcnt(0)
	global_store_dwordx4 v[94:95], v[89:92], off
	buffer_load_dword v89, off, s[24:27], 0 offset:296 ; 4-byte Folded Reload
	s_nop 0
	buffer_load_dword v90, off, s[24:27], 0 offset:300 ; 4-byte Folded Reload
	buffer_load_dword v91, off, s[24:27], 0 offset:304 ; 4-byte Folded Reload
	;; [unrolled: 1-line block ×3, first 2 shown]
	v_add_u32_e32 v94, s16, v98
	v_ashrrev_i32_e32 v95, 31, v94
	v_lshlrev_b64 v[95:96], 4, v[94:95]
	v_add_u32_e32 v94, s2, v94
	v_add_co_u32_e32 v95, vcc, v127, v95
	v_addc_co_u32_e32 v96, vcc, v93, v96, vcc
	s_waitcnt vmcnt(0)
	global_store_dwordx4 v[95:96], v[89:92], off
	buffer_load_dword v89, off, s[24:27], 0 offset:272 ; 4-byte Folded Reload
	s_nop 0
	buffer_load_dword v90, off, s[24:27], 0 offset:276 ; 4-byte Folded Reload
	buffer_load_dword v91, off, s[24:27], 0 offset:280 ; 4-byte Folded Reload
	buffer_load_dword v92, off, s[24:27], 0 offset:284 ; 4-byte Folded Reload
	v_ashrrev_i32_e32 v95, 31, v94
	v_lshlrev_b64 v[95:96], 4, v[94:95]
	v_add_u32_e32 v94, s2, v94
	v_add_co_u32_e32 v95, vcc, v127, v95
	v_addc_co_u32_e32 v96, vcc, v93, v96, vcc
	s_waitcnt vmcnt(0)
	global_store_dwordx4 v[95:96], v[89:92], off
	buffer_load_dword v89, off, s[24:27], 0 offset:256 ; 4-byte Folded Reload
	s_nop 0
	buffer_load_dword v90, off, s[24:27], 0 offset:260 ; 4-byte Folded Reload
	buffer_load_dword v91, off, s[24:27], 0 offset:264 ; 4-byte Folded Reload
	buffer_load_dword v92, off, s[24:27], 0 offset:268 ; 4-byte Folded Reload
	;; [unrolled: 12-line block ×17, first 2 shown]
	v_ashrrev_i32_e32 v95, 31, v94
	v_lshlrev_b64 v[95:96], 4, v[94:95]
	v_add_u32_e32 v94, s2, v94
	v_add_co_u32_e32 v95, vcc, v127, v95
	v_addc_co_u32_e32 v96, vcc, v93, v96, vcc
	s_waitcnt vmcnt(0)
	global_store_dwordx4 v[95:96], v[89:92], off
	buffer_load_dword v89, off, s[24:27], 0 ; 4-byte Folded Reload
	s_nop 0
	buffer_load_dword v90, off, s[24:27], 0 offset:4 ; 4-byte Folded Reload
	buffer_load_dword v91, off, s[24:27], 0 offset:8 ; 4-byte Folded Reload
	;; [unrolled: 1-line block ×3, first 2 shown]
	v_ashrrev_i32_e32 v95, 31, v94
	v_lshlrev_b64 v[95:96], 4, v[94:95]
	v_add_u32_e32 v94, s2, v94
	v_add_co_u32_e32 v95, vcc, v127, v95
	v_addc_co_u32_e32 v96, vcc, v93, v96, vcc
	s_waitcnt vmcnt(0)
	global_store_dwordx4 v[95:96], v[89:92], off
	v_ashrrev_i32_e32 v95, 31, v94
	v_lshlrev_b64 v[95:96], 4, v[94:95]
	v_add_u32_e32 v89, s2, v94
	v_ashrrev_i32_e32 v90, 31, v89
	v_add_co_u32_e32 v95, vcc, v127, v95
	v_lshlrev_b64 v[90:91], 4, v[89:90]
	v_addc_co_u32_e32 v96, vcc, v93, v96, vcc
	v_add_co_u32_e32 v90, vcc, v127, v90
	v_addc_co_u32_e32 v91, vcc, v93, v91, vcc
	global_store_dwordx4 v[95:96], v[111:114], off
	global_store_dwordx4 v[90:91], v[85:88], off
	s_nop 0
	v_add_u32_e32 v85, s2, v89
	v_ashrrev_i32_e32 v86, 31, v85
	v_lshlrev_b64 v[86:87], 4, v[85:86]
	v_add_co_u32_e32 v86, vcc, v127, v86
	v_addc_co_u32_e32 v87, vcc, v93, v87, vcc
	global_store_dwordx4 v[86:87], v[81:84], off
	s_nop 0
	v_add_u32_e32 v81, s2, v85
	v_ashrrev_i32_e32 v82, 31, v81
	v_lshlrev_b64 v[82:83], 4, v[81:82]
	v_add_co_u32_e32 v82, vcc, v127, v82
	v_addc_co_u32_e32 v83, vcc, v93, v83, vcc
	;; [unrolled: 7-line block ×20, first 2 shown]
	global_store_dwordx4 v[10:11], v[5:8], off
	s_nop 0
	v_add_u32_e32 v5, s2, v9
	v_ashrrev_i32_e32 v6, 31, v5
	v_lshlrev_b64 v[6:7], 4, v[5:6]
	v_add_u32_e32 v0, s2, v5
	v_add_co_u32_e32 v6, vcc, v127, v6
	v_addc_co_u32_e32 v7, vcc, v93, v7, vcc
	global_store_dwordx4 v[6:7], v[1:4], off
	s_nop 0
	v_ashrrev_i32_e32 v1, 31, v0
	v_lshlrev_b64 v[0:1], 4, v[0:1]
	v_add_co_u32_e32 v0, vcc, v127, v0
	v_addc_co_u32_e32 v1, vcc, v93, v1, vcc
	global_store_dwordx4 v[0:1], v[117:120], off
.LBB88_946:
	s_endpgm
	.section	.rodata,"a",@progbits
	.p2align	6, 0x0
	.amdhsa_kernel _ZN9rocsolver6v33100L18getf2_small_kernelILi45E19rocblas_complex_numIdEiiPS3_EEvT1_T3_lS5_lPS5_llPT2_S5_S5_S7_l
		.amdhsa_group_segment_fixed_size 0
		.amdhsa_private_segment_fixed_size 356
		.amdhsa_kernarg_size 352
		.amdhsa_user_sgpr_count 6
		.amdhsa_user_sgpr_private_segment_buffer 1
		.amdhsa_user_sgpr_dispatch_ptr 0
		.amdhsa_user_sgpr_queue_ptr 0
		.amdhsa_user_sgpr_kernarg_segment_ptr 1
		.amdhsa_user_sgpr_dispatch_id 0
		.amdhsa_user_sgpr_flat_scratch_init 0
		.amdhsa_user_sgpr_private_segment_size 0
		.amdhsa_uses_dynamic_stack 0
		.amdhsa_system_sgpr_private_segment_wavefront_offset 1
		.amdhsa_system_sgpr_workgroup_id_x 1
		.amdhsa_system_sgpr_workgroup_id_y 1
		.amdhsa_system_sgpr_workgroup_id_z 0
		.amdhsa_system_sgpr_workgroup_info 0
		.amdhsa_system_vgpr_workitem_id 1
		.amdhsa_next_free_vgpr 128
		.amdhsa_next_free_sgpr 30
		.amdhsa_reserve_vcc 1
		.amdhsa_reserve_flat_scratch 0
		.amdhsa_float_round_mode_32 0
		.amdhsa_float_round_mode_16_64 0
		.amdhsa_float_denorm_mode_32 3
		.amdhsa_float_denorm_mode_16_64 3
		.amdhsa_dx10_clamp 1
		.amdhsa_ieee_mode 1
		.amdhsa_fp16_overflow 0
		.amdhsa_exception_fp_ieee_invalid_op 0
		.amdhsa_exception_fp_denorm_src 0
		.amdhsa_exception_fp_ieee_div_zero 0
		.amdhsa_exception_fp_ieee_overflow 0
		.amdhsa_exception_fp_ieee_underflow 0
		.amdhsa_exception_fp_ieee_inexact 0
		.amdhsa_exception_int_div_zero 0
	.end_amdhsa_kernel
	.section	.text._ZN9rocsolver6v33100L18getf2_small_kernelILi45E19rocblas_complex_numIdEiiPS3_EEvT1_T3_lS5_lPS5_llPT2_S5_S5_S7_l,"axG",@progbits,_ZN9rocsolver6v33100L18getf2_small_kernelILi45E19rocblas_complex_numIdEiiPS3_EEvT1_T3_lS5_lPS5_llPT2_S5_S5_S7_l,comdat
.Lfunc_end88:
	.size	_ZN9rocsolver6v33100L18getf2_small_kernelILi45E19rocblas_complex_numIdEiiPS3_EEvT1_T3_lS5_lPS5_llPT2_S5_S5_S7_l, .Lfunc_end88-_ZN9rocsolver6v33100L18getf2_small_kernelILi45E19rocblas_complex_numIdEiiPS3_EEvT1_T3_lS5_lPS5_llPT2_S5_S5_S7_l
                                        ; -- End function
	.set _ZN9rocsolver6v33100L18getf2_small_kernelILi45E19rocblas_complex_numIdEiiPS3_EEvT1_T3_lS5_lPS5_llPT2_S5_S5_S7_l.num_vgpr, 128
	.set _ZN9rocsolver6v33100L18getf2_small_kernelILi45E19rocblas_complex_numIdEiiPS3_EEvT1_T3_lS5_lPS5_llPT2_S5_S5_S7_l.num_agpr, 0
	.set _ZN9rocsolver6v33100L18getf2_small_kernelILi45E19rocblas_complex_numIdEiiPS3_EEvT1_T3_lS5_lPS5_llPT2_S5_S5_S7_l.numbered_sgpr, 30
	.set _ZN9rocsolver6v33100L18getf2_small_kernelILi45E19rocblas_complex_numIdEiiPS3_EEvT1_T3_lS5_lPS5_llPT2_S5_S5_S7_l.num_named_barrier, 0
	.set _ZN9rocsolver6v33100L18getf2_small_kernelILi45E19rocblas_complex_numIdEiiPS3_EEvT1_T3_lS5_lPS5_llPT2_S5_S5_S7_l.private_seg_size, 356
	.set _ZN9rocsolver6v33100L18getf2_small_kernelILi45E19rocblas_complex_numIdEiiPS3_EEvT1_T3_lS5_lPS5_llPT2_S5_S5_S7_l.uses_vcc, 1
	.set _ZN9rocsolver6v33100L18getf2_small_kernelILi45E19rocblas_complex_numIdEiiPS3_EEvT1_T3_lS5_lPS5_llPT2_S5_S5_S7_l.uses_flat_scratch, 0
	.set _ZN9rocsolver6v33100L18getf2_small_kernelILi45E19rocblas_complex_numIdEiiPS3_EEvT1_T3_lS5_lPS5_llPT2_S5_S5_S7_l.has_dyn_sized_stack, 0
	.set _ZN9rocsolver6v33100L18getf2_small_kernelILi45E19rocblas_complex_numIdEiiPS3_EEvT1_T3_lS5_lPS5_llPT2_S5_S5_S7_l.has_recursion, 0
	.set _ZN9rocsolver6v33100L18getf2_small_kernelILi45E19rocblas_complex_numIdEiiPS3_EEvT1_T3_lS5_lPS5_llPT2_S5_S5_S7_l.has_indirect_call, 0
	.section	.AMDGPU.csdata,"",@progbits
; Kernel info:
; codeLenInByte = 139236
; TotalNumSgprs: 34
; NumVgprs: 128
; ScratchSize: 356
; MemoryBound: 0
; FloatMode: 240
; IeeeMode: 1
; LDSByteSize: 0 bytes/workgroup (compile time only)
; SGPRBlocks: 4
; VGPRBlocks: 31
; NumSGPRsForWavesPerEU: 34
; NumVGPRsForWavesPerEU: 128
; Occupancy: 2
; WaveLimiterHint : 0
; COMPUTE_PGM_RSRC2:SCRATCH_EN: 1
; COMPUTE_PGM_RSRC2:USER_SGPR: 6
; COMPUTE_PGM_RSRC2:TRAP_HANDLER: 0
; COMPUTE_PGM_RSRC2:TGID_X_EN: 1
; COMPUTE_PGM_RSRC2:TGID_Y_EN: 1
; COMPUTE_PGM_RSRC2:TGID_Z_EN: 0
; COMPUTE_PGM_RSRC2:TIDIG_COMP_CNT: 1
	.section	.text._ZN9rocsolver6v33100L23getf2_npvt_small_kernelILi45E19rocblas_complex_numIdEiiPS3_EEvT1_T3_lS5_lPT2_S5_S5_,"axG",@progbits,_ZN9rocsolver6v33100L23getf2_npvt_small_kernelILi45E19rocblas_complex_numIdEiiPS3_EEvT1_T3_lS5_lPT2_S5_S5_,comdat
	.globl	_ZN9rocsolver6v33100L23getf2_npvt_small_kernelILi45E19rocblas_complex_numIdEiiPS3_EEvT1_T3_lS5_lPT2_S5_S5_ ; -- Begin function _ZN9rocsolver6v33100L23getf2_npvt_small_kernelILi45E19rocblas_complex_numIdEiiPS3_EEvT1_T3_lS5_lPT2_S5_S5_
	.p2align	8
	.type	_ZN9rocsolver6v33100L23getf2_npvt_small_kernelILi45E19rocblas_complex_numIdEiiPS3_EEvT1_T3_lS5_lPT2_S5_S5_,@function
_ZN9rocsolver6v33100L23getf2_npvt_small_kernelILi45E19rocblas_complex_numIdEiiPS3_EEvT1_T3_lS5_lPT2_S5_S5_: ; @_ZN9rocsolver6v33100L23getf2_npvt_small_kernelILi45E19rocblas_complex_numIdEiiPS3_EEvT1_T3_lS5_lPT2_S5_S5_
; %bb.0:
	s_mov_b64 s[22:23], s[2:3]
	s_mov_b64 s[20:21], s[0:1]
	s_load_dword s0, s[4:5], 0x44
	s_load_dwordx2 s[12:13], s[4:5], 0x30
	s_add_u32 s20, s20, s8
	s_addc_u32 s21, s21, 0
	s_waitcnt lgkmcnt(0)
	s_lshr_b32 s2, s0, 16
	s_mul_i32 s7, s7, s2
	v_add_u32_e32 v87, s7, v1
	v_cmp_gt_i32_e32 vcc, s12, v87
	s_and_saveexec_b64 s[0:1], vcc
	s_cbranch_execnz .LBB89_1
; %bb.409:
	s_getpc_b64 s[0:1]
.Lpost_getpc3:
	s_add_u32 s0, s0, (.LBB89_408-.Lpost_getpc3)&4294967295
	s_addc_u32 s1, s1, (.LBB89_408-.Lpost_getpc3)>>32
	s_setpc_b64 s[0:1]
.LBB89_1:
	s_load_dwordx4 s[8:11], s[4:5], 0x20
	s_load_dwordx4 s[16:19], s[4:5], 0x8
	v_ashrrev_i32_e32 v88, 31, v87
	s_mulk_i32 s2, 0x2d0
	s_waitcnt lgkmcnt(0)
	v_mul_lo_u32 v4, s9, v87
	v_mul_lo_u32 v5, s8, v88
	v_mad_u64_u32 v[2:3], s[0:1], s8, v87, 0
	s_load_dword s0, s[4:5], 0x18
	v_mov_b32_e32 v6, s17
	v_add3_u32 v3, v3, v5, v4
	v_lshlrev_b64 v[2:3], 4, v[2:3]
	s_lshl_b64 s[4:5], s[18:19], 4
	v_add_co_u32_e32 v2, vcc, s16, v2
	v_addc_co_u32_e32 v3, vcc, v6, v3, vcc
	v_mov_b32_e32 v4, s5
	v_add_co_u32_e32 v2, vcc, s4, v2
	s_waitcnt lgkmcnt(0)
	s_add_i32 s1, s0, s0
	v_addc_co_u32_e32 v3, vcc, v3, v4, vcc
	v_add_u32_e32 v4, s1, v0
	v_ashrrev_i32_e32 v5, 31, v4
	v_lshlrev_b64 v[5:6], 4, v[4:5]
	v_add_u32_e32 v4, s0, v4
	v_add_co_u32_e32 v91, vcc, v2, v5
	v_ashrrev_i32_e32 v5, 31, v4
	v_addc_co_u32_e32 v92, vcc, v3, v6, vcc
	v_lshlrev_b64 v[5:6], 4, v[4:5]
	v_add_u32_e32 v4, s0, v4
	v_add_co_u32_e32 v7, vcc, v2, v5
	v_ashrrev_i32_e32 v5, 31, v4
	v_addc_co_u32_e32 v8, vcc, v3, v6, vcc
	;; [unrolled: 5-line block ×41, first 2 shown]
	v_lshlrev_b64 v[5:6], 4, v[4:5]
	v_add_u32_e32 v4, s0, v4
	v_add_co_u32_e32 v111, vcc, v2, v5
	v_ashrrev_i32_e32 v5, 31, v4
	v_lshlrev_b64 v[4:5], 4, v[4:5]
	v_addc_co_u32_e32 v112, vcc, v3, v6, vcc
	v_add_co_u32_e32 v113, vcc, v2, v4
	v_addc_co_u32_e32 v114, vcc, v3, v5, vcc
	v_lshlrev_b32_e32 v4, 4, v0
	v_add_co_u32_e32 v4, vcc, v2, v4
	s_ashr_i32 s1, s0, 31
	v_addc_co_u32_e32 v5, vcc, 0, v3, vcc
	s_lshl_b64 s[0:1], s[0:1], 4
	v_mov_b32_e32 v2, s1
	v_add_co_u32_e32 v61, vcc, s0, v4
	v_addc_co_u32_e32 v62, vcc, v5, v2, vcc
	buffer_store_dword v4, off, s[20:23], 0 offset:704 ; 4-byte Folded Spill
	s_nop 0
	buffer_store_dword v5, off, s[20:23], 0 offset:708 ; 4-byte Folded Spill
	s_movk_i32 s0, 0x2d0
	s_add_i32 s1, s2, 0
	v_mad_u32_u24 v125, v1, s0, 0
	v_lshl_add_u32 v127, v1, 4, s1
	v_cmp_ne_u32_e64 s[2:3], 0, v0
	v_cmp_eq_u32_e64 s[0:1], 0, v0
	global_load_dwordx4 v[1:4], v[4:5], off
	s_waitcnt vmcnt(0)
	buffer_store_dword v1, off, s[20:23], 0 offset:352 ; 4-byte Folded Spill
	s_nop 0
	buffer_store_dword v2, off, s[20:23], 0 offset:356 ; 4-byte Folded Spill
	buffer_store_dword v3, off, s[20:23], 0 offset:360 ; 4-byte Folded Spill
	buffer_store_dword v4, off, s[20:23], 0 offset:364 ; 4-byte Folded Spill
	buffer_store_dword v61, off, s[20:23], 0 offset:712 ; 4-byte Folded Spill
	s_nop 0
	buffer_store_dword v62, off, s[20:23], 0 offset:716 ; 4-byte Folded Spill
	global_load_dwordx4 v[1:4], v[61:62], off
	s_waitcnt vmcnt(0)
	buffer_store_dword v1, off, s[20:23], 0 offset:336 ; 4-byte Folded Spill
	s_nop 0
	buffer_store_dword v2, off, s[20:23], 0 offset:340 ; 4-byte Folded Spill
	buffer_store_dword v3, off, s[20:23], 0 offset:344 ; 4-byte Folded Spill
	buffer_store_dword v4, off, s[20:23], 0 offset:348 ; 4-byte Folded Spill
	global_load_dwordx4 v[1:4], v[91:92], off
	s_waitcnt vmcnt(0)
	buffer_store_dword v1, off, s[20:23], 0 offset:320 ; 4-byte Folded Spill
	s_nop 0
	buffer_store_dword v2, off, s[20:23], 0 offset:324 ; 4-byte Folded Spill
	buffer_store_dword v3, off, s[20:23], 0 offset:328 ; 4-byte Folded Spill
	buffer_store_dword v4, off, s[20:23], 0 offset:332 ; 4-byte Folded Spill
	buffer_store_dword v7, off, s[20:23], 0 offset:384 ; 4-byte Folded Spill
	s_nop 0
	buffer_store_dword v8, off, s[20:23], 0 offset:388 ; 4-byte Folded Spill
	global_load_dwordx4 v[1:4], v[7:8], off
	s_waitcnt vmcnt(0)
	buffer_store_dword v1, off, s[20:23], 0 offset:304 ; 4-byte Folded Spill
	s_nop 0
	buffer_store_dword v2, off, s[20:23], 0 offset:308 ; 4-byte Folded Spill
	buffer_store_dword v3, off, s[20:23], 0 offset:312 ; 4-byte Folded Spill
	buffer_store_dword v4, off, s[20:23], 0 offset:316 ; 4-byte Folded Spill
	global_load_dwordx4 v[1:4], v[85:86], off
	s_waitcnt vmcnt(0)
	buffer_store_dword v1, off, s[20:23], 0 offset:288 ; 4-byte Folded Spill
	s_nop 0
	buffer_store_dword v2, off, s[20:23], 0 offset:292 ; 4-byte Folded Spill
	buffer_store_dword v3, off, s[20:23], 0 offset:296 ; 4-byte Folded Spill
	buffer_store_dword v4, off, s[20:23], 0 offset:300 ; 4-byte Folded Spill
	buffer_store_dword v9, off, s[20:23], 0 offset:392 ; 4-byte Folded Spill
	s_nop 0
	buffer_store_dword v10, off, s[20:23], 0 offset:396 ; 4-byte Folded Spill
	global_load_dwordx4 v[1:4], v[9:10], off
	s_waitcnt vmcnt(0)
	buffer_store_dword v1, off, s[20:23], 0 offset:272 ; 4-byte Folded Spill
	s_nop 0
	buffer_store_dword v2, off, s[20:23], 0 offset:276 ; 4-byte Folded Spill
	buffer_store_dword v3, off, s[20:23], 0 offset:280 ; 4-byte Folded Spill
	buffer_store_dword v4, off, s[20:23], 0 offset:284 ; 4-byte Folded Spill
	buffer_store_dword v11, off, s[20:23], 0 offset:400 ; 4-byte Folded Spill
	s_nop 0
	buffer_store_dword v12, off, s[20:23], 0 offset:404 ; 4-byte Folded Spill
	global_load_dwordx4 v[1:4], v[11:12], off
	s_waitcnt vmcnt(0)
	buffer_store_dword v1, off, s[20:23], 0 offset:256 ; 4-byte Folded Spill
	s_nop 0
	buffer_store_dword v2, off, s[20:23], 0 offset:260 ; 4-byte Folded Spill
	buffer_store_dword v3, off, s[20:23], 0 offset:264 ; 4-byte Folded Spill
	buffer_store_dword v4, off, s[20:23], 0 offset:268 ; 4-byte Folded Spill
	buffer_store_dword v13, off, s[20:23], 0 offset:408 ; 4-byte Folded Spill
	s_nop 0
	buffer_store_dword v14, off, s[20:23], 0 offset:412 ; 4-byte Folded Spill
	global_load_dwordx4 v[1:4], v[13:14], off
	s_waitcnt vmcnt(0)
	buffer_store_dword v1, off, s[20:23], 0 offset:240 ; 4-byte Folded Spill
	s_nop 0
	buffer_store_dword v2, off, s[20:23], 0 offset:244 ; 4-byte Folded Spill
	buffer_store_dword v3, off, s[20:23], 0 offset:248 ; 4-byte Folded Spill
	buffer_store_dword v4, off, s[20:23], 0 offset:252 ; 4-byte Folded Spill
	;; [unrolled: 10-line block ×12, first 2 shown]
	buffer_store_dword v35, off, s[20:23], 0 offset:496 ; 4-byte Folded Spill
	s_nop 0
	buffer_store_dword v36, off, s[20:23], 0 offset:500 ; 4-byte Folded Spill
	global_load_dwordx4 v[69:72], v[35:36], off
	s_nop 0
	buffer_store_dword v37, off, s[20:23], 0 offset:504 ; 4-byte Folded Spill
	s_nop 0
	buffer_store_dword v38, off, s[20:23], 0 offset:508 ; 4-byte Folded Spill
	global_load_dwordx4 v[79:82], v[37:38], off
	s_nop 0
	;; [unrolled: 5-line block ×5, first 2 shown]
	buffer_store_dword v53, off, s[20:23], 0 offset:680 ; 4-byte Folded Spill
	s_nop 0
	buffer_store_dword v54, off, s[20:23], 0 offset:684 ; 4-byte Folded Spill
	global_load_dwordx4 v[1:4], v[53:54], off
	s_waitcnt vmcnt(0)
	buffer_store_dword v1, off, s[20:23], 0 offset:64 ; 4-byte Folded Spill
	s_nop 0
	buffer_store_dword v2, off, s[20:23], 0 offset:68 ; 4-byte Folded Spill
	buffer_store_dword v3, off, s[20:23], 0 offset:72 ; 4-byte Folded Spill
	;; [unrolled: 1-line block ×4, first 2 shown]
	s_nop 0
	buffer_store_dword v56, off, s[20:23], 0 offset:676 ; 4-byte Folded Spill
	global_load_dwordx4 v[1:4], v[55:56], off
	s_nop 0
	buffer_store_dword v45, off, s[20:23], 0 offset:536 ; 4-byte Folded Spill
	s_nop 0
	buffer_store_dword v46, off, s[20:23], 0 offset:540 ; 4-byte Folded Spill
	global_load_dwordx4 v[9:12], v[45:46], off
	s_waitcnt vmcnt(0)
	buffer_store_dword v9, off, s[20:23], 0 offset:32 ; 4-byte Folded Spill
	s_nop 0
	buffer_store_dword v10, off, s[20:23], 0 offset:36 ; 4-byte Folded Spill
	buffer_store_dword v11, off, s[20:23], 0 offset:40 ; 4-byte Folded Spill
	;; [unrolled: 1-line block ×3, first 2 shown]
	global_load_dwordx4 v[5:8], v[83:84], off
	s_waitcnt vmcnt(0)
	buffer_store_dword v5, off, s[20:23], 0 offset:16 ; 4-byte Folded Spill
	s_nop 0
	buffer_store_dword v6, off, s[20:23], 0 offset:20 ; 4-byte Folded Spill
	buffer_store_dword v7, off, s[20:23], 0 offset:24 ; 4-byte Folded Spill
	;; [unrolled: 1-line block ×4, first 2 shown]
	s_nop 0
	buffer_store_dword v60, off, s[20:23], 0 offset:700 ; 4-byte Folded Spill
	global_load_dwordx4 v[5:8], v[59:60], off
	s_waitcnt vmcnt(0)
	buffer_store_dword v5, off, s[20:23], 0 ; 4-byte Folded Spill
	s_nop 0
	buffer_store_dword v6, off, s[20:23], 0 offset:4 ; 4-byte Folded Spill
	buffer_store_dword v7, off, s[20:23], 0 offset:8 ; 4-byte Folded Spill
	buffer_store_dword v8, off, s[20:23], 0 offset:12 ; 4-byte Folded Spill
	buffer_store_dword v57, off, s[20:23], 0 offset:688 ; 4-byte Folded Spill
	s_nop 0
	buffer_store_dword v58, off, s[20:23], 0 offset:692 ; 4-byte Folded Spill
	global_load_dwordx4 v[61:64], v[57:58], off
	s_nop 0
	buffer_store_dword v47, off, s[20:23], 0 offset:544 ; 4-byte Folded Spill
	s_nop 0
	buffer_store_dword v48, off, s[20:23], 0 offset:548 ; 4-byte Folded Spill
	global_load_dwordx4 v[57:60], v[47:48], off
	s_nop 0
	buffer_store_dword v49, off, s[20:23], 0 offset:552 ; 4-byte Folded Spill
	;; [unrolled: 5-line block ×8, first 2 shown]
	s_nop 0
	buffer_store_dword v98, off, s[20:23], 0 offset:604 ; 4-byte Folded Spill
	v_mov_b32_e32 v96, v4
	v_mov_b32_e32 v95, v3
	v_mov_b32_e32 v94, v2
	v_mov_b32_e32 v93, v1
	global_load_dwordx4 v[25:28], v[97:98], off
	s_nop 0
	buffer_store_dword v99, off, s[20:23], 0 offset:608 ; 4-byte Folded Spill
	s_nop 0
	buffer_store_dword v100, off, s[20:23], 0 offset:612 ; 4-byte Folded Spill
	global_load_dwordx4 v[21:24], v[99:100], off
	s_nop 0
	buffer_store_dword v101, off, s[20:23], 0 offset:616 ; 4-byte Folded Spill
	s_nop 0
	buffer_store_dword v102, off, s[20:23], 0 offset:620 ; 4-byte Folded Spill
	;; [unrolled: 5-line block ×8, first 2 shown]
	v_mov_b32_e32 v109, v115
	v_mov_b32_e32 v110, v116
	;; [unrolled: 1-line block ×8, first 2 shown]
	global_load_dwordx4 v[65:68], v[113:114], off
	v_mov_b32_e32 v116, v40
	v_mov_b32_e32 v115, v39
	v_mov_b32_e32 v114, v38
	v_mov_b32_e32 v113, v37
	s_waitcnt vmcnt(30)
	v_mov_b32_e32 v40, v36
	v_mov_b32_e32 v39, v35
	v_mov_b32_e32 v38, v34
	v_mov_b32_e32 v37, v33
	s_waitcnt vmcnt(27)
	;; [unrolled: 5-line block ×11, first 2 shown]
	buffer_store_dword v65, off, s[20:23], 0 offset:48 ; 4-byte Folded Spill
	s_nop 0
	buffer_store_dword v66, off, s[20:23], 0 offset:52 ; 4-byte Folded Spill
	buffer_store_dword v67, off, s[20:23], 0 offset:56 ; 4-byte Folded Spill
	buffer_store_dword v68, off, s[20:23], 0 offset:60 ; 4-byte Folded Spill
	s_and_saveexec_b64 s[6:7], s[0:1]
	s_cbranch_execz .LBB89_8
; %bb.2:
	buffer_load_dword v65, off, s[20:23], 0 offset:352 ; 4-byte Folded Reload
	buffer_load_dword v66, off, s[20:23], 0 offset:356 ; 4-byte Folded Reload
	;; [unrolled: 1-line block ×4, first 2 shown]
	s_waitcnt vmcnt(0)
	ds_write2_b64 v127, v[65:66], v[67:68] offset1:1
	buffer_load_dword v69, off, s[20:23], 0 offset:336 ; 4-byte Folded Reload
	buffer_load_dword v70, off, s[20:23], 0 offset:340 ; 4-byte Folded Reload
	buffer_load_dword v71, off, s[20:23], 0 offset:344 ; 4-byte Folded Reload
	buffer_load_dword v72, off, s[20:23], 0 offset:348 ; 4-byte Folded Reload
	s_waitcnt vmcnt(0)
	ds_write2_b64 v125, v[69:70], v[71:72] offset0:2 offset1:3
	buffer_load_dword v69, off, s[20:23], 0 offset:320 ; 4-byte Folded Reload
	buffer_load_dword v70, off, s[20:23], 0 offset:324 ; 4-byte Folded Reload
	buffer_load_dword v71, off, s[20:23], 0 offset:328 ; 4-byte Folded Reload
	buffer_load_dword v72, off, s[20:23], 0 offset:332 ; 4-byte Folded Reload
	s_waitcnt vmcnt(0)
	ds_write2_b64 v125, v[69:70], v[71:72] offset0:4 offset1:5
	;; [unrolled: 6-line block ×17, first 2 shown]
	ds_write2_b64 v125, v[117:118], v[119:120] offset0:36 offset1:37
	ds_write2_b64 v125, v[79:80], v[81:82] offset0:38 offset1:39
	;; [unrolled: 1-line block ×5, first 2 shown]
	buffer_load_dword v73, off, s[20:23], 0 offset:64 ; 4-byte Folded Reload
	buffer_load_dword v74, off, s[20:23], 0 offset:68 ; 4-byte Folded Reload
	;; [unrolled: 1-line block ×4, first 2 shown]
	s_waitcnt vmcnt(0)
	ds_write2_b64 v125, v[73:74], v[75:76] offset0:46 offset1:47
	ds_write2_b64 v125, v[93:94], v[95:96] offset0:48 offset1:49
	buffer_load_dword v73, off, s[20:23], 0 offset:32 ; 4-byte Folded Reload
	buffer_load_dword v74, off, s[20:23], 0 offset:36 ; 4-byte Folded Reload
	;; [unrolled: 1-line block ×4, first 2 shown]
	s_waitcnt vmcnt(0)
	ds_write2_b64 v125, v[73:74], v[75:76] offset0:50 offset1:51
	buffer_load_dword v69, off, s[20:23], 0 offset:16 ; 4-byte Folded Reload
	buffer_load_dword v70, off, s[20:23], 0 offset:20 ; 4-byte Folded Reload
	;; [unrolled: 1-line block ×4, first 2 shown]
	s_waitcnt vmcnt(0)
	ds_write2_b64 v125, v[69:70], v[71:72] offset0:52 offset1:53
	buffer_load_dword v65, off, s[20:23], 0 ; 4-byte Folded Reload
	buffer_load_dword v66, off, s[20:23], 0 offset:4 ; 4-byte Folded Reload
	buffer_load_dword v67, off, s[20:23], 0 offset:8 ; 4-byte Folded Reload
	;; [unrolled: 1-line block ×3, first 2 shown]
	s_waitcnt vmcnt(0)
	ds_write2_b64 v125, v[65:66], v[67:68] offset0:54 offset1:55
	ds_write2_b64 v125, v[61:62], v[63:64] offset0:56 offset1:57
	;; [unrolled: 1-line block ×17, first 2 shown]
	buffer_load_dword v65, off, s[20:23], 0 offset:48 ; 4-byte Folded Reload
	buffer_load_dword v66, off, s[20:23], 0 offset:52 ; 4-byte Folded Reload
	;; [unrolled: 1-line block ×4, first 2 shown]
	s_waitcnt vmcnt(0)
	ds_write2_b64 v125, v[65:66], v[67:68] offset0:88 offset1:89
	ds_read2_b64 v[97:100], v127 offset1:1
	s_waitcnt lgkmcnt(0)
	v_cmp_neq_f64_e32 vcc, 0, v[97:98]
	v_cmp_neq_f64_e64 s[4:5], 0, v[99:100]
	s_or_b64 s[4:5], vcc, s[4:5]
	s_and_b64 exec, exec, s[4:5]
	s_cbranch_execz .LBB89_8
; %bb.3:
	v_cmp_ngt_f64_e64 s[4:5], |v[97:98]|, |v[99:100]|
                                        ; implicit-def: $vgpr101_vgpr102
	s_and_saveexec_b64 s[8:9], s[4:5]
	s_xor_b64 s[4:5], exec, s[8:9]
                                        ; implicit-def: $vgpr103_vgpr104
	s_cbranch_execz .LBB89_5
; %bb.4:
	v_div_scale_f64 v[101:102], s[8:9], v[99:100], v[99:100], v[97:98]
	v_rcp_f64_e32 v[103:104], v[101:102]
	v_fma_f64 v[105:106], -v[101:102], v[103:104], 1.0
	v_fma_f64 v[103:104], v[103:104], v[105:106], v[103:104]
	v_div_scale_f64 v[105:106], vcc, v[97:98], v[99:100], v[97:98]
	v_fma_f64 v[107:108], -v[101:102], v[103:104], 1.0
	v_fma_f64 v[103:104], v[103:104], v[107:108], v[103:104]
	v_mul_f64 v[107:108], v[105:106], v[103:104]
	v_fma_f64 v[101:102], -v[101:102], v[107:108], v[105:106]
	v_div_fmas_f64 v[101:102], v[101:102], v[103:104], v[107:108]
	v_div_fixup_f64 v[101:102], v[101:102], v[99:100], v[97:98]
	v_fma_f64 v[97:98], v[97:98], v[101:102], v[99:100]
	v_div_scale_f64 v[99:100], s[8:9], v[97:98], v[97:98], 1.0
	v_div_scale_f64 v[107:108], vcc, 1.0, v[97:98], 1.0
	v_rcp_f64_e32 v[103:104], v[99:100]
	v_fma_f64 v[105:106], -v[99:100], v[103:104], 1.0
	v_fma_f64 v[103:104], v[103:104], v[105:106], v[103:104]
	v_fma_f64 v[105:106], -v[99:100], v[103:104], 1.0
	v_fma_f64 v[103:104], v[103:104], v[105:106], v[103:104]
	v_mul_f64 v[105:106], v[107:108], v[103:104]
	v_fma_f64 v[99:100], -v[99:100], v[105:106], v[107:108]
	v_div_fmas_f64 v[99:100], v[99:100], v[103:104], v[105:106]
	v_div_fixup_f64 v[103:104], v[99:100], v[97:98], 1.0
                                        ; implicit-def: $vgpr97_vgpr98
	v_mul_f64 v[101:102], v[101:102], v[103:104]
	v_xor_b32_e32 v104, 0x80000000, v104
.LBB89_5:
	s_andn2_saveexec_b64 s[4:5], s[4:5]
	s_cbranch_execz .LBB89_7
; %bb.6:
	v_div_scale_f64 v[101:102], s[8:9], v[97:98], v[97:98], v[99:100]
	v_rcp_f64_e32 v[103:104], v[101:102]
	v_fma_f64 v[105:106], -v[101:102], v[103:104], 1.0
	v_fma_f64 v[103:104], v[103:104], v[105:106], v[103:104]
	v_div_scale_f64 v[105:106], vcc, v[99:100], v[97:98], v[99:100]
	v_fma_f64 v[107:108], -v[101:102], v[103:104], 1.0
	v_fma_f64 v[103:104], v[103:104], v[107:108], v[103:104]
	v_mul_f64 v[107:108], v[105:106], v[103:104]
	v_fma_f64 v[101:102], -v[101:102], v[107:108], v[105:106]
	v_div_fmas_f64 v[101:102], v[101:102], v[103:104], v[107:108]
	v_div_fixup_f64 v[103:104], v[101:102], v[97:98], v[99:100]
	v_fma_f64 v[97:98], v[99:100], v[103:104], v[97:98]
	v_div_scale_f64 v[99:100], s[8:9], v[97:98], v[97:98], 1.0
	v_div_scale_f64 v[107:108], vcc, 1.0, v[97:98], 1.0
	v_rcp_f64_e32 v[101:102], v[99:100]
	v_fma_f64 v[105:106], -v[99:100], v[101:102], 1.0
	v_fma_f64 v[101:102], v[101:102], v[105:106], v[101:102]
	v_fma_f64 v[105:106], -v[99:100], v[101:102], 1.0
	v_fma_f64 v[101:102], v[101:102], v[105:106], v[101:102]
	v_mul_f64 v[105:106], v[107:108], v[101:102]
	v_fma_f64 v[99:100], -v[99:100], v[105:106], v[107:108]
	v_div_fmas_f64 v[99:100], v[99:100], v[101:102], v[105:106]
	v_div_fixup_f64 v[101:102], v[99:100], v[97:98], 1.0
	v_mul_f64 v[103:104], v[103:104], -v[101:102]
.LBB89_7:
	s_or_b64 exec, exec, s[4:5]
	ds_write2_b64 v127, v[101:102], v[103:104] offset1:1
.LBB89_8:
	s_or_b64 exec, exec, s[6:7]
	s_waitcnt vmcnt(0) lgkmcnt(0)
	s_barrier
	ds_read2_b64 v[65:68], v127 offset1:1
	s_waitcnt lgkmcnt(0)
	buffer_store_dword v65, off, s[20:23], 0 offset:720 ; 4-byte Folded Spill
	s_nop 0
	buffer_store_dword v66, off, s[20:23], 0 offset:724 ; 4-byte Folded Spill
	buffer_store_dword v67, off, s[20:23], 0 offset:728 ; 4-byte Folded Spill
	buffer_store_dword v68, off, s[20:23], 0 offset:732 ; 4-byte Folded Spill
	s_and_saveexec_b64 s[4:5], s[2:3]
	s_cbranch_execz .LBB89_10
; %bb.9:
	buffer_load_dword v75, off, s[20:23], 0 offset:352 ; 4-byte Folded Reload
	buffer_load_dword v76, off, s[20:23], 0 offset:356 ; 4-byte Folded Reload
	;; [unrolled: 1-line block ×8, first 2 shown]
	s_waitcnt vmcnt(2)
	v_mul_f64 v[99:100], v[65:66], v[77:78]
	s_waitcnt vmcnt(0)
	v_mul_f64 v[97:98], v[67:68], v[77:78]
	v_fma_f64 v[77:78], v[67:68], v[75:76], v[99:100]
	ds_read2_b64 v[99:102], v125 offset0:2 offset1:3
	buffer_load_dword v69, off, s[20:23], 0 offset:336 ; 4-byte Folded Reload
	buffer_load_dword v70, off, s[20:23], 0 offset:340 ; 4-byte Folded Reload
	;; [unrolled: 1-line block ×4, first 2 shown]
	v_fma_f64 v[97:98], v[65:66], v[75:76], -v[97:98]
	s_waitcnt lgkmcnt(0)
	v_mul_f64 v[103:104], v[101:102], v[77:78]
	v_fma_f64 v[103:104], v[99:100], v[97:98], -v[103:104]
	v_mul_f64 v[99:100], v[99:100], v[77:78]
	v_fma_f64 v[99:100], v[101:102], v[97:98], v[99:100]
	s_waitcnt vmcnt(2)
	v_add_f64 v[69:70], v[69:70], -v[103:104]
	s_waitcnt vmcnt(0)
	v_add_f64 v[71:72], v[71:72], -v[99:100]
	buffer_store_dword v69, off, s[20:23], 0 offset:336 ; 4-byte Folded Spill
	s_nop 0
	buffer_store_dword v70, off, s[20:23], 0 offset:340 ; 4-byte Folded Spill
	buffer_store_dword v71, off, s[20:23], 0 offset:344 ; 4-byte Folded Spill
	buffer_store_dword v72, off, s[20:23], 0 offset:348 ; 4-byte Folded Spill
	ds_read2_b64 v[99:102], v125 offset0:4 offset1:5
	buffer_load_dword v69, off, s[20:23], 0 offset:320 ; 4-byte Folded Reload
	buffer_load_dword v70, off, s[20:23], 0 offset:324 ; 4-byte Folded Reload
	buffer_load_dword v71, off, s[20:23], 0 offset:328 ; 4-byte Folded Reload
	buffer_load_dword v72, off, s[20:23], 0 offset:332 ; 4-byte Folded Reload
	s_waitcnt lgkmcnt(0)
	v_mul_f64 v[103:104], v[101:102], v[77:78]
	v_fma_f64 v[103:104], v[99:100], v[97:98], -v[103:104]
	v_mul_f64 v[99:100], v[99:100], v[77:78]
	v_fma_f64 v[99:100], v[101:102], v[97:98], v[99:100]
	s_waitcnt vmcnt(2)
	v_add_f64 v[69:70], v[69:70], -v[103:104]
	s_waitcnt vmcnt(0)
	v_add_f64 v[71:72], v[71:72], -v[99:100]
	buffer_store_dword v69, off, s[20:23], 0 offset:320 ; 4-byte Folded Spill
	s_nop 0
	buffer_store_dword v70, off, s[20:23], 0 offset:324 ; 4-byte Folded Spill
	buffer_store_dword v71, off, s[20:23], 0 offset:328 ; 4-byte Folded Spill
	buffer_store_dword v72, off, s[20:23], 0 offset:332 ; 4-byte Folded Spill
	ds_read2_b64 v[99:102], v125 offset0:6 offset1:7
	buffer_load_dword v69, off, s[20:23], 0 offset:304 ; 4-byte Folded Reload
	buffer_load_dword v70, off, s[20:23], 0 offset:308 ; 4-byte Folded Reload
	buffer_load_dword v71, off, s[20:23], 0 offset:312 ; 4-byte Folded Reload
	buffer_load_dword v72, off, s[20:23], 0 offset:316 ; 4-byte Folded Reload
	;; [unrolled: 19-line block ×16, first 2 shown]
	s_waitcnt lgkmcnt(0)
	v_mul_f64 v[103:104], v[101:102], v[77:78]
	v_fma_f64 v[103:104], v[99:100], v[97:98], -v[103:104]
	v_mul_f64 v[99:100], v[99:100], v[77:78]
	v_fma_f64 v[99:100], v[101:102], v[97:98], v[99:100]
	s_waitcnt vmcnt(2)
	v_add_f64 v[69:70], v[69:70], -v[103:104]
	s_waitcnt vmcnt(0)
	v_add_f64 v[71:72], v[71:72], -v[99:100]
	buffer_store_dword v69, off, s[20:23], 0 offset:80 ; 4-byte Folded Spill
	s_nop 0
	buffer_store_dword v70, off, s[20:23], 0 offset:84 ; 4-byte Folded Spill
	buffer_store_dword v71, off, s[20:23], 0 offset:88 ; 4-byte Folded Spill
	;; [unrolled: 1-line block ×3, first 2 shown]
	ds_read2_b64 v[99:102], v125 offset0:36 offset1:37
	s_waitcnt lgkmcnt(0)
	v_mul_f64 v[103:104], v[101:102], v[77:78]
	v_fma_f64 v[103:104], v[99:100], v[97:98], -v[103:104]
	v_mul_f64 v[99:100], v[99:100], v[77:78]
	v_add_f64 v[117:118], v[117:118], -v[103:104]
	v_fma_f64 v[99:100], v[101:102], v[97:98], v[99:100]
	v_add_f64 v[119:120], v[119:120], -v[99:100]
	ds_read2_b64 v[99:102], v125 offset0:38 offset1:39
	s_waitcnt lgkmcnt(0)
	v_mul_f64 v[103:104], v[101:102], v[77:78]
	v_fma_f64 v[103:104], v[99:100], v[97:98], -v[103:104]
	v_mul_f64 v[99:100], v[99:100], v[77:78]
	v_add_f64 v[79:80], v[79:80], -v[103:104]
	v_fma_f64 v[99:100], v[101:102], v[97:98], v[99:100]
	v_add_f64 v[81:82], v[81:82], -v[99:100]
	;; [unrolled: 8-line block ×5, first 2 shown]
	ds_read2_b64 v[99:102], v125 offset0:46 offset1:47
	buffer_load_dword v73, off, s[20:23], 0 offset:64 ; 4-byte Folded Reload
	buffer_load_dword v74, off, s[20:23], 0 offset:68 ; 4-byte Folded Reload
	;; [unrolled: 1-line block ×4, first 2 shown]
	s_waitcnt lgkmcnt(0)
	v_mul_f64 v[103:104], v[101:102], v[77:78]
	v_fma_f64 v[103:104], v[99:100], v[97:98], -v[103:104]
	v_mul_f64 v[99:100], v[99:100], v[77:78]
	v_fma_f64 v[99:100], v[101:102], v[97:98], v[99:100]
	s_waitcnt vmcnt(2)
	v_add_f64 v[73:74], v[73:74], -v[103:104]
	s_waitcnt vmcnt(0)
	v_add_f64 v[75:76], v[75:76], -v[99:100]
	buffer_store_dword v73, off, s[20:23], 0 offset:64 ; 4-byte Folded Spill
	s_nop 0
	buffer_store_dword v74, off, s[20:23], 0 offset:68 ; 4-byte Folded Spill
	buffer_store_dword v75, off, s[20:23], 0 offset:72 ; 4-byte Folded Spill
	;; [unrolled: 1-line block ×3, first 2 shown]
	ds_read2_b64 v[99:102], v125 offset0:48 offset1:49
	s_waitcnt lgkmcnt(0)
	v_mul_f64 v[103:104], v[101:102], v[77:78]
	v_fma_f64 v[103:104], v[99:100], v[97:98], -v[103:104]
	v_mul_f64 v[99:100], v[99:100], v[77:78]
	v_add_f64 v[93:94], v[93:94], -v[103:104]
	v_fma_f64 v[99:100], v[101:102], v[97:98], v[99:100]
	v_add_f64 v[95:96], v[95:96], -v[99:100]
	ds_read2_b64 v[99:102], v125 offset0:50 offset1:51
	buffer_load_dword v73, off, s[20:23], 0 offset:32 ; 4-byte Folded Reload
	buffer_load_dword v74, off, s[20:23], 0 offset:36 ; 4-byte Folded Reload
	buffer_load_dword v75, off, s[20:23], 0 offset:40 ; 4-byte Folded Reload
	buffer_load_dword v76, off, s[20:23], 0 offset:44 ; 4-byte Folded Reload
	s_waitcnt lgkmcnt(0)
	v_mul_f64 v[103:104], v[101:102], v[77:78]
	v_fma_f64 v[103:104], v[99:100], v[97:98], -v[103:104]
	v_mul_f64 v[99:100], v[99:100], v[77:78]
	v_fma_f64 v[99:100], v[101:102], v[97:98], v[99:100]
	s_waitcnt vmcnt(2)
	v_add_f64 v[73:74], v[73:74], -v[103:104]
	s_waitcnt vmcnt(0)
	v_add_f64 v[75:76], v[75:76], -v[99:100]
	buffer_store_dword v73, off, s[20:23], 0 offset:32 ; 4-byte Folded Spill
	s_nop 0
	buffer_store_dword v74, off, s[20:23], 0 offset:36 ; 4-byte Folded Spill
	buffer_store_dword v75, off, s[20:23], 0 offset:40 ; 4-byte Folded Spill
	;; [unrolled: 1-line block ×3, first 2 shown]
	ds_read2_b64 v[99:102], v125 offset0:52 offset1:53
	buffer_load_dword v69, off, s[20:23], 0 offset:16 ; 4-byte Folded Reload
	buffer_load_dword v70, off, s[20:23], 0 offset:20 ; 4-byte Folded Reload
	;; [unrolled: 1-line block ×4, first 2 shown]
	v_mov_b32_e32 v75, v97
	v_mov_b32_e32 v76, v98
	s_waitcnt lgkmcnt(0)
	v_mul_f64 v[103:104], v[101:102], v[77:78]
	v_fma_f64 v[103:104], v[99:100], v[97:98], -v[103:104]
	v_mul_f64 v[99:100], v[99:100], v[77:78]
	v_fma_f64 v[99:100], v[101:102], v[97:98], v[99:100]
	s_waitcnt vmcnt(2)
	v_add_f64 v[69:70], v[69:70], -v[103:104]
	s_waitcnt vmcnt(0)
	v_add_f64 v[71:72], v[71:72], -v[99:100]
	buffer_store_dword v69, off, s[20:23], 0 offset:16 ; 4-byte Folded Spill
	s_nop 0
	buffer_store_dword v70, off, s[20:23], 0 offset:20 ; 4-byte Folded Spill
	buffer_store_dword v71, off, s[20:23], 0 offset:24 ; 4-byte Folded Spill
	;; [unrolled: 1-line block ×3, first 2 shown]
	ds_read2_b64 v[99:102], v125 offset0:54 offset1:55
	buffer_load_dword v65, off, s[20:23], 0 ; 4-byte Folded Reload
	buffer_load_dword v66, off, s[20:23], 0 offset:4 ; 4-byte Folded Reload
	buffer_load_dword v67, off, s[20:23], 0 offset:8 ; 4-byte Folded Reload
	;; [unrolled: 1-line block ×3, first 2 shown]
	s_waitcnt lgkmcnt(0)
	v_mul_f64 v[103:104], v[101:102], v[77:78]
	v_fma_f64 v[103:104], v[99:100], v[97:98], -v[103:104]
	v_mul_f64 v[99:100], v[99:100], v[77:78]
	v_fma_f64 v[99:100], v[101:102], v[97:98], v[99:100]
	s_waitcnt vmcnt(2)
	v_add_f64 v[65:66], v[65:66], -v[103:104]
	s_waitcnt vmcnt(0)
	v_add_f64 v[67:68], v[67:68], -v[99:100]
	buffer_store_dword v65, off, s[20:23], 0 ; 4-byte Folded Spill
	s_nop 0
	buffer_store_dword v66, off, s[20:23], 0 offset:4 ; 4-byte Folded Spill
	buffer_store_dword v67, off, s[20:23], 0 offset:8 ; 4-byte Folded Spill
	;; [unrolled: 1-line block ×3, first 2 shown]
	ds_read2_b64 v[99:102], v125 offset0:56 offset1:57
	s_waitcnt lgkmcnt(0)
	v_mul_f64 v[103:104], v[101:102], v[77:78]
	v_fma_f64 v[103:104], v[99:100], v[97:98], -v[103:104]
	v_mul_f64 v[99:100], v[99:100], v[77:78]
	v_add_f64 v[61:62], v[61:62], -v[103:104]
	v_fma_f64 v[99:100], v[101:102], v[97:98], v[99:100]
	v_add_f64 v[63:64], v[63:64], -v[99:100]
	ds_read2_b64 v[99:102], v125 offset0:58 offset1:59
	s_waitcnt lgkmcnt(0)
	v_mul_f64 v[103:104], v[101:102], v[77:78]
	v_fma_f64 v[103:104], v[99:100], v[97:98], -v[103:104]
	v_mul_f64 v[99:100], v[99:100], v[77:78]
	v_add_f64 v[57:58], v[57:58], -v[103:104]
	v_fma_f64 v[99:100], v[101:102], v[97:98], v[99:100]
	v_add_f64 v[59:60], v[59:60], -v[99:100]
	;; [unrolled: 8-line block ×15, first 2 shown]
	ds_read2_b64 v[99:102], v125 offset0:86 offset1:87
	s_waitcnt lgkmcnt(0)
	v_mul_f64 v[103:104], v[101:102], v[77:78]
	v_fma_f64 v[103:104], v[99:100], v[97:98], -v[103:104]
	v_mul_f64 v[99:100], v[99:100], v[77:78]
	v_add_f64 v[1:2], v[1:2], -v[103:104]
	v_fma_f64 v[99:100], v[101:102], v[97:98], v[99:100]
	ds_read2_b64 v[101:104], v125 offset0:88 offset1:89
	buffer_load_dword v65, off, s[20:23], 0 offset:48 ; 4-byte Folded Reload
	buffer_load_dword v66, off, s[20:23], 0 offset:52 ; 4-byte Folded Reload
	buffer_load_dword v67, off, s[20:23], 0 offset:56 ; 4-byte Folded Reload
	buffer_load_dword v68, off, s[20:23], 0 offset:60 ; 4-byte Folded Reload
	v_add_f64 v[3:4], v[3:4], -v[99:100]
	s_waitcnt lgkmcnt(0)
	v_mul_f64 v[99:100], v[103:104], v[77:78]
	v_fma_f64 v[99:100], v[101:102], v[97:98], -v[99:100]
	v_mul_f64 v[101:102], v[101:102], v[77:78]
	v_fma_f64 v[101:102], v[103:104], v[97:98], v[101:102]
	s_waitcnt vmcnt(2)
	v_add_f64 v[65:66], v[65:66], -v[99:100]
	s_waitcnt vmcnt(0)
	v_add_f64 v[67:68], v[67:68], -v[101:102]
	buffer_store_dword v65, off, s[20:23], 0 offset:48 ; 4-byte Folded Spill
	s_nop 0
	buffer_store_dword v66, off, s[20:23], 0 offset:52 ; 4-byte Folded Spill
	buffer_store_dword v67, off, s[20:23], 0 offset:56 ; 4-byte Folded Spill
	;; [unrolled: 1-line block ×4, first 2 shown]
	s_nop 0
	buffer_store_dword v76, off, s[20:23], 0 offset:356 ; 4-byte Folded Spill
	buffer_store_dword v77, off, s[20:23], 0 offset:360 ; 4-byte Folded Spill
	;; [unrolled: 1-line block ×3, first 2 shown]
.LBB89_10:
	s_or_b64 exec, exec, s[4:5]
	v_cmp_eq_u32_e32 vcc, 1, v0
	s_waitcnt vmcnt(0)
	s_barrier
	s_and_saveexec_b64 s[4:5], vcc
	s_cbranch_execz .LBB89_17
; %bb.11:
	buffer_load_dword v69, off, s[20:23], 0 offset:336 ; 4-byte Folded Reload
	buffer_load_dword v70, off, s[20:23], 0 offset:340 ; 4-byte Folded Reload
	;; [unrolled: 1-line block ×4, first 2 shown]
	s_waitcnt vmcnt(0)
	ds_write2_b64 v127, v[69:70], v[71:72] offset1:1
	buffer_load_dword v69, off, s[20:23], 0 offset:320 ; 4-byte Folded Reload
	buffer_load_dword v70, off, s[20:23], 0 offset:324 ; 4-byte Folded Reload
	buffer_load_dword v71, off, s[20:23], 0 offset:328 ; 4-byte Folded Reload
	buffer_load_dword v72, off, s[20:23], 0 offset:332 ; 4-byte Folded Reload
	s_waitcnt vmcnt(0)
	ds_write2_b64 v125, v[69:70], v[71:72] offset0:4 offset1:5
	buffer_load_dword v69, off, s[20:23], 0 offset:304 ; 4-byte Folded Reload
	buffer_load_dword v70, off, s[20:23], 0 offset:308 ; 4-byte Folded Reload
	buffer_load_dword v71, off, s[20:23], 0 offset:312 ; 4-byte Folded Reload
	buffer_load_dword v72, off, s[20:23], 0 offset:316 ; 4-byte Folded Reload
	s_waitcnt vmcnt(0)
	ds_write2_b64 v125, v[69:70], v[71:72] offset0:6 offset1:7
	;; [unrolled: 6-line block ×16, first 2 shown]
	ds_write2_b64 v125, v[117:118], v[119:120] offset0:36 offset1:37
	ds_write2_b64 v125, v[79:80], v[81:82] offset0:38 offset1:39
	;; [unrolled: 1-line block ×5, first 2 shown]
	buffer_load_dword v73, off, s[20:23], 0 offset:64 ; 4-byte Folded Reload
	buffer_load_dword v74, off, s[20:23], 0 offset:68 ; 4-byte Folded Reload
	;; [unrolled: 1-line block ×4, first 2 shown]
	s_waitcnt vmcnt(0)
	ds_write2_b64 v125, v[73:74], v[75:76] offset0:46 offset1:47
	ds_write2_b64 v125, v[93:94], v[95:96] offset0:48 offset1:49
	buffer_load_dword v73, off, s[20:23], 0 offset:32 ; 4-byte Folded Reload
	buffer_load_dword v74, off, s[20:23], 0 offset:36 ; 4-byte Folded Reload
	;; [unrolled: 1-line block ×4, first 2 shown]
	s_waitcnt vmcnt(0)
	ds_write2_b64 v125, v[73:74], v[75:76] offset0:50 offset1:51
	buffer_load_dword v69, off, s[20:23], 0 offset:16 ; 4-byte Folded Reload
	buffer_load_dword v70, off, s[20:23], 0 offset:20 ; 4-byte Folded Reload
	;; [unrolled: 1-line block ×4, first 2 shown]
	s_waitcnt vmcnt(0)
	ds_write2_b64 v125, v[69:70], v[71:72] offset0:52 offset1:53
	buffer_load_dword v65, off, s[20:23], 0 ; 4-byte Folded Reload
	buffer_load_dword v66, off, s[20:23], 0 offset:4 ; 4-byte Folded Reload
	buffer_load_dword v67, off, s[20:23], 0 offset:8 ; 4-byte Folded Reload
	;; [unrolled: 1-line block ×3, first 2 shown]
	s_waitcnt vmcnt(0)
	ds_write2_b64 v125, v[65:66], v[67:68] offset0:54 offset1:55
	ds_write2_b64 v125, v[61:62], v[63:64] offset0:56 offset1:57
	;; [unrolled: 1-line block ×17, first 2 shown]
	buffer_load_dword v65, off, s[20:23], 0 offset:48 ; 4-byte Folded Reload
	buffer_load_dword v66, off, s[20:23], 0 offset:52 ; 4-byte Folded Reload
	buffer_load_dword v67, off, s[20:23], 0 offset:56 ; 4-byte Folded Reload
	buffer_load_dword v68, off, s[20:23], 0 offset:60 ; 4-byte Folded Reload
	s_waitcnt vmcnt(0)
	ds_write2_b64 v125, v[65:66], v[67:68] offset0:88 offset1:89
	ds_read2_b64 v[97:100], v127 offset1:1
	s_waitcnt lgkmcnt(0)
	v_cmp_neq_f64_e32 vcc, 0, v[97:98]
	v_cmp_neq_f64_e64 s[2:3], 0, v[99:100]
	s_or_b64 s[2:3], vcc, s[2:3]
	s_and_b64 exec, exec, s[2:3]
	s_cbranch_execz .LBB89_17
; %bb.12:
	v_cmp_ngt_f64_e64 s[2:3], |v[97:98]|, |v[99:100]|
                                        ; implicit-def: $vgpr101_vgpr102
	s_and_saveexec_b64 s[6:7], s[2:3]
	s_xor_b64 s[2:3], exec, s[6:7]
                                        ; implicit-def: $vgpr103_vgpr104
	s_cbranch_execz .LBB89_14
; %bb.13:
	v_div_scale_f64 v[101:102], s[6:7], v[99:100], v[99:100], v[97:98]
	v_rcp_f64_e32 v[103:104], v[101:102]
	v_fma_f64 v[105:106], -v[101:102], v[103:104], 1.0
	v_fma_f64 v[103:104], v[103:104], v[105:106], v[103:104]
	v_div_scale_f64 v[105:106], vcc, v[97:98], v[99:100], v[97:98]
	v_fma_f64 v[107:108], -v[101:102], v[103:104], 1.0
	v_fma_f64 v[103:104], v[103:104], v[107:108], v[103:104]
	v_mul_f64 v[107:108], v[105:106], v[103:104]
	v_fma_f64 v[101:102], -v[101:102], v[107:108], v[105:106]
	v_div_fmas_f64 v[101:102], v[101:102], v[103:104], v[107:108]
	v_div_fixup_f64 v[101:102], v[101:102], v[99:100], v[97:98]
	v_fma_f64 v[97:98], v[97:98], v[101:102], v[99:100]
	v_div_scale_f64 v[99:100], s[6:7], v[97:98], v[97:98], 1.0
	v_div_scale_f64 v[107:108], vcc, 1.0, v[97:98], 1.0
	v_rcp_f64_e32 v[103:104], v[99:100]
	v_fma_f64 v[105:106], -v[99:100], v[103:104], 1.0
	v_fma_f64 v[103:104], v[103:104], v[105:106], v[103:104]
	v_fma_f64 v[105:106], -v[99:100], v[103:104], 1.0
	v_fma_f64 v[103:104], v[103:104], v[105:106], v[103:104]
	v_mul_f64 v[105:106], v[107:108], v[103:104]
	v_fma_f64 v[99:100], -v[99:100], v[105:106], v[107:108]
	v_div_fmas_f64 v[99:100], v[99:100], v[103:104], v[105:106]
	v_div_fixup_f64 v[103:104], v[99:100], v[97:98], 1.0
                                        ; implicit-def: $vgpr97_vgpr98
	v_mul_f64 v[101:102], v[101:102], v[103:104]
	v_xor_b32_e32 v104, 0x80000000, v104
.LBB89_14:
	s_andn2_saveexec_b64 s[2:3], s[2:3]
	s_cbranch_execz .LBB89_16
; %bb.15:
	v_div_scale_f64 v[101:102], s[6:7], v[97:98], v[97:98], v[99:100]
	v_rcp_f64_e32 v[103:104], v[101:102]
	v_fma_f64 v[105:106], -v[101:102], v[103:104], 1.0
	v_fma_f64 v[103:104], v[103:104], v[105:106], v[103:104]
	v_div_scale_f64 v[105:106], vcc, v[99:100], v[97:98], v[99:100]
	v_fma_f64 v[107:108], -v[101:102], v[103:104], 1.0
	v_fma_f64 v[103:104], v[103:104], v[107:108], v[103:104]
	v_mul_f64 v[107:108], v[105:106], v[103:104]
	v_fma_f64 v[101:102], -v[101:102], v[107:108], v[105:106]
	v_div_fmas_f64 v[101:102], v[101:102], v[103:104], v[107:108]
	v_div_fixup_f64 v[103:104], v[101:102], v[97:98], v[99:100]
	v_fma_f64 v[97:98], v[99:100], v[103:104], v[97:98]
	v_div_scale_f64 v[99:100], s[6:7], v[97:98], v[97:98], 1.0
	v_div_scale_f64 v[107:108], vcc, 1.0, v[97:98], 1.0
	v_rcp_f64_e32 v[101:102], v[99:100]
	v_fma_f64 v[105:106], -v[99:100], v[101:102], 1.0
	v_fma_f64 v[101:102], v[101:102], v[105:106], v[101:102]
	v_fma_f64 v[105:106], -v[99:100], v[101:102], 1.0
	v_fma_f64 v[101:102], v[101:102], v[105:106], v[101:102]
	v_mul_f64 v[105:106], v[107:108], v[101:102]
	v_fma_f64 v[99:100], -v[99:100], v[105:106], v[107:108]
	v_div_fmas_f64 v[99:100], v[99:100], v[101:102], v[105:106]
	v_div_fixup_f64 v[101:102], v[99:100], v[97:98], 1.0
	v_mul_f64 v[103:104], v[103:104], -v[101:102]
.LBB89_16:
	s_or_b64 exec, exec, s[2:3]
	ds_write2_b64 v127, v[101:102], v[103:104] offset1:1
.LBB89_17:
	s_or_b64 exec, exec, s[4:5]
	s_waitcnt lgkmcnt(0)
	s_barrier
	ds_read2_b64 v[65:68], v127 offset1:1
	v_cmp_lt_u32_e32 vcc, 1, v0
	s_waitcnt lgkmcnt(0)
	buffer_store_dword v65, off, s[20:23], 0 offset:736 ; 4-byte Folded Spill
	s_nop 0
	buffer_store_dword v66, off, s[20:23], 0 offset:740 ; 4-byte Folded Spill
	buffer_store_dword v67, off, s[20:23], 0 offset:744 ; 4-byte Folded Spill
	;; [unrolled: 1-line block ×3, first 2 shown]
	s_and_saveexec_b64 s[2:3], vcc
	s_cbranch_execz .LBB89_19
; %bb.18:
	buffer_load_dword v75, off, s[20:23], 0 offset:336 ; 4-byte Folded Reload
	buffer_load_dword v76, off, s[20:23], 0 offset:340 ; 4-byte Folded Reload
	;; [unrolled: 1-line block ×8, first 2 shown]
	s_waitcnt vmcnt(2)
	v_mul_f64 v[99:100], v[65:66], v[77:78]
	s_waitcnt vmcnt(0)
	v_mul_f64 v[97:98], v[67:68], v[77:78]
	v_fma_f64 v[77:78], v[67:68], v[75:76], v[99:100]
	ds_read2_b64 v[99:102], v125 offset0:4 offset1:5
	buffer_load_dword v69, off, s[20:23], 0 offset:320 ; 4-byte Folded Reload
	buffer_load_dword v70, off, s[20:23], 0 offset:324 ; 4-byte Folded Reload
	;; [unrolled: 1-line block ×4, first 2 shown]
	v_fma_f64 v[97:98], v[65:66], v[75:76], -v[97:98]
	s_waitcnt lgkmcnt(0)
	v_mul_f64 v[103:104], v[101:102], v[77:78]
	v_fma_f64 v[103:104], v[99:100], v[97:98], -v[103:104]
	v_mul_f64 v[99:100], v[99:100], v[77:78]
	v_fma_f64 v[99:100], v[101:102], v[97:98], v[99:100]
	s_waitcnt vmcnt(2)
	v_add_f64 v[69:70], v[69:70], -v[103:104]
	s_waitcnt vmcnt(0)
	v_add_f64 v[71:72], v[71:72], -v[99:100]
	buffer_store_dword v69, off, s[20:23], 0 offset:320 ; 4-byte Folded Spill
	s_nop 0
	buffer_store_dword v70, off, s[20:23], 0 offset:324 ; 4-byte Folded Spill
	buffer_store_dword v71, off, s[20:23], 0 offset:328 ; 4-byte Folded Spill
	buffer_store_dword v72, off, s[20:23], 0 offset:332 ; 4-byte Folded Spill
	ds_read2_b64 v[99:102], v125 offset0:6 offset1:7
	buffer_load_dword v69, off, s[20:23], 0 offset:304 ; 4-byte Folded Reload
	buffer_load_dword v70, off, s[20:23], 0 offset:308 ; 4-byte Folded Reload
	buffer_load_dword v71, off, s[20:23], 0 offset:312 ; 4-byte Folded Reload
	buffer_load_dword v72, off, s[20:23], 0 offset:316 ; 4-byte Folded Reload
	s_waitcnt lgkmcnt(0)
	v_mul_f64 v[103:104], v[101:102], v[77:78]
	v_fma_f64 v[103:104], v[99:100], v[97:98], -v[103:104]
	v_mul_f64 v[99:100], v[99:100], v[77:78]
	v_fma_f64 v[99:100], v[101:102], v[97:98], v[99:100]
	s_waitcnt vmcnt(2)
	v_add_f64 v[69:70], v[69:70], -v[103:104]
	s_waitcnt vmcnt(0)
	v_add_f64 v[71:72], v[71:72], -v[99:100]
	buffer_store_dword v69, off, s[20:23], 0 offset:304 ; 4-byte Folded Spill
	s_nop 0
	buffer_store_dword v70, off, s[20:23], 0 offset:308 ; 4-byte Folded Spill
	buffer_store_dword v71, off, s[20:23], 0 offset:312 ; 4-byte Folded Spill
	buffer_store_dword v72, off, s[20:23], 0 offset:316 ; 4-byte Folded Spill
	ds_read2_b64 v[99:102], v125 offset0:8 offset1:9
	buffer_load_dword v69, off, s[20:23], 0 offset:288 ; 4-byte Folded Reload
	buffer_load_dword v70, off, s[20:23], 0 offset:292 ; 4-byte Folded Reload
	buffer_load_dword v71, off, s[20:23], 0 offset:296 ; 4-byte Folded Reload
	buffer_load_dword v72, off, s[20:23], 0 offset:300 ; 4-byte Folded Reload
	;; [unrolled: 19-line block ×15, first 2 shown]
	s_waitcnt lgkmcnt(0)
	v_mul_f64 v[103:104], v[101:102], v[77:78]
	v_fma_f64 v[103:104], v[99:100], v[97:98], -v[103:104]
	v_mul_f64 v[99:100], v[99:100], v[77:78]
	v_fma_f64 v[99:100], v[101:102], v[97:98], v[99:100]
	s_waitcnt vmcnt(2)
	v_add_f64 v[69:70], v[69:70], -v[103:104]
	s_waitcnt vmcnt(0)
	v_add_f64 v[71:72], v[71:72], -v[99:100]
	buffer_store_dword v69, off, s[20:23], 0 offset:80 ; 4-byte Folded Spill
	s_nop 0
	buffer_store_dword v70, off, s[20:23], 0 offset:84 ; 4-byte Folded Spill
	buffer_store_dword v71, off, s[20:23], 0 offset:88 ; 4-byte Folded Spill
	;; [unrolled: 1-line block ×3, first 2 shown]
	ds_read2_b64 v[99:102], v125 offset0:36 offset1:37
	s_waitcnt lgkmcnt(0)
	v_mul_f64 v[103:104], v[101:102], v[77:78]
	v_fma_f64 v[103:104], v[99:100], v[97:98], -v[103:104]
	v_mul_f64 v[99:100], v[99:100], v[77:78]
	v_add_f64 v[117:118], v[117:118], -v[103:104]
	v_fma_f64 v[99:100], v[101:102], v[97:98], v[99:100]
	v_add_f64 v[119:120], v[119:120], -v[99:100]
	ds_read2_b64 v[99:102], v125 offset0:38 offset1:39
	s_waitcnt lgkmcnt(0)
	v_mul_f64 v[103:104], v[101:102], v[77:78]
	v_fma_f64 v[103:104], v[99:100], v[97:98], -v[103:104]
	v_mul_f64 v[99:100], v[99:100], v[77:78]
	v_add_f64 v[79:80], v[79:80], -v[103:104]
	v_fma_f64 v[99:100], v[101:102], v[97:98], v[99:100]
	v_add_f64 v[81:82], v[81:82], -v[99:100]
	;; [unrolled: 8-line block ×5, first 2 shown]
	ds_read2_b64 v[99:102], v125 offset0:46 offset1:47
	buffer_load_dword v73, off, s[20:23], 0 offset:64 ; 4-byte Folded Reload
	buffer_load_dword v74, off, s[20:23], 0 offset:68 ; 4-byte Folded Reload
	;; [unrolled: 1-line block ×4, first 2 shown]
	s_waitcnt lgkmcnt(0)
	v_mul_f64 v[103:104], v[101:102], v[77:78]
	v_fma_f64 v[103:104], v[99:100], v[97:98], -v[103:104]
	v_mul_f64 v[99:100], v[99:100], v[77:78]
	v_fma_f64 v[99:100], v[101:102], v[97:98], v[99:100]
	s_waitcnt vmcnt(2)
	v_add_f64 v[73:74], v[73:74], -v[103:104]
	s_waitcnt vmcnt(0)
	v_add_f64 v[75:76], v[75:76], -v[99:100]
	buffer_store_dword v73, off, s[20:23], 0 offset:64 ; 4-byte Folded Spill
	s_nop 0
	buffer_store_dword v74, off, s[20:23], 0 offset:68 ; 4-byte Folded Spill
	buffer_store_dword v75, off, s[20:23], 0 offset:72 ; 4-byte Folded Spill
	buffer_store_dword v76, off, s[20:23], 0 offset:76 ; 4-byte Folded Spill
	ds_read2_b64 v[99:102], v125 offset0:48 offset1:49
	s_waitcnt lgkmcnt(0)
	v_mul_f64 v[103:104], v[101:102], v[77:78]
	v_fma_f64 v[103:104], v[99:100], v[97:98], -v[103:104]
	v_mul_f64 v[99:100], v[99:100], v[77:78]
	v_add_f64 v[93:94], v[93:94], -v[103:104]
	v_fma_f64 v[99:100], v[101:102], v[97:98], v[99:100]
	v_add_f64 v[95:96], v[95:96], -v[99:100]
	ds_read2_b64 v[99:102], v125 offset0:50 offset1:51
	buffer_load_dword v73, off, s[20:23], 0 offset:32 ; 4-byte Folded Reload
	buffer_load_dword v74, off, s[20:23], 0 offset:36 ; 4-byte Folded Reload
	;; [unrolled: 1-line block ×4, first 2 shown]
	s_waitcnt lgkmcnt(0)
	v_mul_f64 v[103:104], v[101:102], v[77:78]
	v_fma_f64 v[103:104], v[99:100], v[97:98], -v[103:104]
	v_mul_f64 v[99:100], v[99:100], v[77:78]
	v_fma_f64 v[99:100], v[101:102], v[97:98], v[99:100]
	s_waitcnt vmcnt(2)
	v_add_f64 v[73:74], v[73:74], -v[103:104]
	s_waitcnt vmcnt(0)
	v_add_f64 v[75:76], v[75:76], -v[99:100]
	buffer_store_dword v73, off, s[20:23], 0 offset:32 ; 4-byte Folded Spill
	s_nop 0
	buffer_store_dword v74, off, s[20:23], 0 offset:36 ; 4-byte Folded Spill
	buffer_store_dword v75, off, s[20:23], 0 offset:40 ; 4-byte Folded Spill
	;; [unrolled: 1-line block ×3, first 2 shown]
	ds_read2_b64 v[99:102], v125 offset0:52 offset1:53
	buffer_load_dword v69, off, s[20:23], 0 offset:16 ; 4-byte Folded Reload
	buffer_load_dword v70, off, s[20:23], 0 offset:20 ; 4-byte Folded Reload
	;; [unrolled: 1-line block ×4, first 2 shown]
	v_mov_b32_e32 v75, v97
	v_mov_b32_e32 v76, v98
	s_waitcnt lgkmcnt(0)
	v_mul_f64 v[103:104], v[101:102], v[77:78]
	v_fma_f64 v[103:104], v[99:100], v[97:98], -v[103:104]
	v_mul_f64 v[99:100], v[99:100], v[77:78]
	v_fma_f64 v[99:100], v[101:102], v[97:98], v[99:100]
	s_waitcnt vmcnt(2)
	v_add_f64 v[69:70], v[69:70], -v[103:104]
	s_waitcnt vmcnt(0)
	v_add_f64 v[71:72], v[71:72], -v[99:100]
	buffer_store_dword v69, off, s[20:23], 0 offset:16 ; 4-byte Folded Spill
	s_nop 0
	buffer_store_dword v70, off, s[20:23], 0 offset:20 ; 4-byte Folded Spill
	buffer_store_dword v71, off, s[20:23], 0 offset:24 ; 4-byte Folded Spill
	;; [unrolled: 1-line block ×3, first 2 shown]
	ds_read2_b64 v[99:102], v125 offset0:54 offset1:55
	buffer_load_dword v65, off, s[20:23], 0 ; 4-byte Folded Reload
	buffer_load_dword v66, off, s[20:23], 0 offset:4 ; 4-byte Folded Reload
	buffer_load_dword v67, off, s[20:23], 0 offset:8 ; 4-byte Folded Reload
	;; [unrolled: 1-line block ×3, first 2 shown]
	s_waitcnt lgkmcnt(0)
	v_mul_f64 v[103:104], v[101:102], v[77:78]
	v_fma_f64 v[103:104], v[99:100], v[97:98], -v[103:104]
	v_mul_f64 v[99:100], v[99:100], v[77:78]
	v_fma_f64 v[99:100], v[101:102], v[97:98], v[99:100]
	s_waitcnt vmcnt(2)
	v_add_f64 v[65:66], v[65:66], -v[103:104]
	s_waitcnt vmcnt(0)
	v_add_f64 v[67:68], v[67:68], -v[99:100]
	buffer_store_dword v65, off, s[20:23], 0 ; 4-byte Folded Spill
	s_nop 0
	buffer_store_dword v66, off, s[20:23], 0 offset:4 ; 4-byte Folded Spill
	buffer_store_dword v67, off, s[20:23], 0 offset:8 ; 4-byte Folded Spill
	;; [unrolled: 1-line block ×3, first 2 shown]
	ds_read2_b64 v[99:102], v125 offset0:56 offset1:57
	s_waitcnt lgkmcnt(0)
	v_mul_f64 v[103:104], v[101:102], v[77:78]
	v_fma_f64 v[103:104], v[99:100], v[97:98], -v[103:104]
	v_mul_f64 v[99:100], v[99:100], v[77:78]
	v_add_f64 v[61:62], v[61:62], -v[103:104]
	v_fma_f64 v[99:100], v[101:102], v[97:98], v[99:100]
	v_add_f64 v[63:64], v[63:64], -v[99:100]
	ds_read2_b64 v[99:102], v125 offset0:58 offset1:59
	s_waitcnt lgkmcnt(0)
	v_mul_f64 v[103:104], v[101:102], v[77:78]
	v_fma_f64 v[103:104], v[99:100], v[97:98], -v[103:104]
	v_mul_f64 v[99:100], v[99:100], v[77:78]
	v_add_f64 v[57:58], v[57:58], -v[103:104]
	v_fma_f64 v[99:100], v[101:102], v[97:98], v[99:100]
	v_add_f64 v[59:60], v[59:60], -v[99:100]
	;; [unrolled: 8-line block ×15, first 2 shown]
	ds_read2_b64 v[99:102], v125 offset0:86 offset1:87
	s_waitcnt lgkmcnt(0)
	v_mul_f64 v[103:104], v[101:102], v[77:78]
	v_fma_f64 v[103:104], v[99:100], v[97:98], -v[103:104]
	v_mul_f64 v[99:100], v[99:100], v[77:78]
	v_add_f64 v[1:2], v[1:2], -v[103:104]
	v_fma_f64 v[99:100], v[101:102], v[97:98], v[99:100]
	ds_read2_b64 v[101:104], v125 offset0:88 offset1:89
	buffer_load_dword v65, off, s[20:23], 0 offset:48 ; 4-byte Folded Reload
	buffer_load_dword v66, off, s[20:23], 0 offset:52 ; 4-byte Folded Reload
	;; [unrolled: 1-line block ×4, first 2 shown]
	v_add_f64 v[3:4], v[3:4], -v[99:100]
	s_waitcnt lgkmcnt(0)
	v_mul_f64 v[99:100], v[103:104], v[77:78]
	v_fma_f64 v[99:100], v[101:102], v[97:98], -v[99:100]
	v_mul_f64 v[101:102], v[101:102], v[77:78]
	v_fma_f64 v[101:102], v[103:104], v[97:98], v[101:102]
	s_waitcnt vmcnt(2)
	v_add_f64 v[65:66], v[65:66], -v[99:100]
	s_waitcnt vmcnt(0)
	v_add_f64 v[67:68], v[67:68], -v[101:102]
	buffer_store_dword v65, off, s[20:23], 0 offset:48 ; 4-byte Folded Spill
	s_nop 0
	buffer_store_dword v66, off, s[20:23], 0 offset:52 ; 4-byte Folded Spill
	buffer_store_dword v67, off, s[20:23], 0 offset:56 ; 4-byte Folded Spill
	;; [unrolled: 1-line block ×4, first 2 shown]
	s_nop 0
	buffer_store_dword v76, off, s[20:23], 0 offset:340 ; 4-byte Folded Spill
	buffer_store_dword v77, off, s[20:23], 0 offset:344 ; 4-byte Folded Spill
	;; [unrolled: 1-line block ×3, first 2 shown]
.LBB89_19:
	s_or_b64 exec, exec, s[2:3]
	v_cmp_eq_u32_e32 vcc, 2, v0
	s_waitcnt vmcnt(0)
	s_barrier
	s_and_saveexec_b64 s[4:5], vcc
	s_cbranch_execz .LBB89_26
; %bb.20:
	buffer_load_dword v69, off, s[20:23], 0 offset:320 ; 4-byte Folded Reload
	buffer_load_dword v70, off, s[20:23], 0 offset:324 ; 4-byte Folded Reload
	;; [unrolled: 1-line block ×4, first 2 shown]
	s_waitcnt vmcnt(0)
	ds_write2_b64 v127, v[69:70], v[71:72] offset1:1
	buffer_load_dword v69, off, s[20:23], 0 offset:304 ; 4-byte Folded Reload
	buffer_load_dword v70, off, s[20:23], 0 offset:308 ; 4-byte Folded Reload
	buffer_load_dword v71, off, s[20:23], 0 offset:312 ; 4-byte Folded Reload
	buffer_load_dword v72, off, s[20:23], 0 offset:316 ; 4-byte Folded Reload
	s_waitcnt vmcnt(0)
	ds_write2_b64 v125, v[69:70], v[71:72] offset0:6 offset1:7
	buffer_load_dword v69, off, s[20:23], 0 offset:288 ; 4-byte Folded Reload
	buffer_load_dword v70, off, s[20:23], 0 offset:292 ; 4-byte Folded Reload
	buffer_load_dword v71, off, s[20:23], 0 offset:296 ; 4-byte Folded Reload
	buffer_load_dword v72, off, s[20:23], 0 offset:300 ; 4-byte Folded Reload
	s_waitcnt vmcnt(0)
	ds_write2_b64 v125, v[69:70], v[71:72] offset0:8 offset1:9
	;; [unrolled: 6-line block ×15, first 2 shown]
	ds_write2_b64 v125, v[117:118], v[119:120] offset0:36 offset1:37
	ds_write2_b64 v125, v[79:80], v[81:82] offset0:38 offset1:39
	;; [unrolled: 1-line block ×5, first 2 shown]
	buffer_load_dword v73, off, s[20:23], 0 offset:64 ; 4-byte Folded Reload
	buffer_load_dword v74, off, s[20:23], 0 offset:68 ; 4-byte Folded Reload
	;; [unrolled: 1-line block ×4, first 2 shown]
	s_waitcnt vmcnt(0)
	ds_write2_b64 v125, v[73:74], v[75:76] offset0:46 offset1:47
	ds_write2_b64 v125, v[93:94], v[95:96] offset0:48 offset1:49
	buffer_load_dword v73, off, s[20:23], 0 offset:32 ; 4-byte Folded Reload
	buffer_load_dword v74, off, s[20:23], 0 offset:36 ; 4-byte Folded Reload
	;; [unrolled: 1-line block ×4, first 2 shown]
	s_waitcnt vmcnt(0)
	ds_write2_b64 v125, v[73:74], v[75:76] offset0:50 offset1:51
	buffer_load_dword v69, off, s[20:23], 0 offset:16 ; 4-byte Folded Reload
	buffer_load_dword v70, off, s[20:23], 0 offset:20 ; 4-byte Folded Reload
	;; [unrolled: 1-line block ×4, first 2 shown]
	s_waitcnt vmcnt(0)
	ds_write2_b64 v125, v[69:70], v[71:72] offset0:52 offset1:53
	buffer_load_dword v65, off, s[20:23], 0 ; 4-byte Folded Reload
	buffer_load_dword v66, off, s[20:23], 0 offset:4 ; 4-byte Folded Reload
	buffer_load_dword v67, off, s[20:23], 0 offset:8 ; 4-byte Folded Reload
	;; [unrolled: 1-line block ×3, first 2 shown]
	s_waitcnt vmcnt(0)
	ds_write2_b64 v125, v[65:66], v[67:68] offset0:54 offset1:55
	ds_write2_b64 v125, v[61:62], v[63:64] offset0:56 offset1:57
	;; [unrolled: 1-line block ×17, first 2 shown]
	buffer_load_dword v65, off, s[20:23], 0 offset:48 ; 4-byte Folded Reload
	buffer_load_dword v66, off, s[20:23], 0 offset:52 ; 4-byte Folded Reload
	;; [unrolled: 1-line block ×4, first 2 shown]
	s_waitcnt vmcnt(0)
	ds_write2_b64 v125, v[65:66], v[67:68] offset0:88 offset1:89
	ds_read2_b64 v[97:100], v127 offset1:1
	s_waitcnt lgkmcnt(0)
	v_cmp_neq_f64_e32 vcc, 0, v[97:98]
	v_cmp_neq_f64_e64 s[2:3], 0, v[99:100]
	s_or_b64 s[2:3], vcc, s[2:3]
	s_and_b64 exec, exec, s[2:3]
	s_cbranch_execz .LBB89_26
; %bb.21:
	v_cmp_ngt_f64_e64 s[2:3], |v[97:98]|, |v[99:100]|
                                        ; implicit-def: $vgpr101_vgpr102
	s_and_saveexec_b64 s[6:7], s[2:3]
	s_xor_b64 s[2:3], exec, s[6:7]
                                        ; implicit-def: $vgpr103_vgpr104
	s_cbranch_execz .LBB89_23
; %bb.22:
	v_div_scale_f64 v[101:102], s[6:7], v[99:100], v[99:100], v[97:98]
	v_rcp_f64_e32 v[103:104], v[101:102]
	v_fma_f64 v[105:106], -v[101:102], v[103:104], 1.0
	v_fma_f64 v[103:104], v[103:104], v[105:106], v[103:104]
	v_div_scale_f64 v[105:106], vcc, v[97:98], v[99:100], v[97:98]
	v_fma_f64 v[107:108], -v[101:102], v[103:104], 1.0
	v_fma_f64 v[103:104], v[103:104], v[107:108], v[103:104]
	v_mul_f64 v[107:108], v[105:106], v[103:104]
	v_fma_f64 v[101:102], -v[101:102], v[107:108], v[105:106]
	v_div_fmas_f64 v[101:102], v[101:102], v[103:104], v[107:108]
	v_div_fixup_f64 v[101:102], v[101:102], v[99:100], v[97:98]
	v_fma_f64 v[97:98], v[97:98], v[101:102], v[99:100]
	v_div_scale_f64 v[99:100], s[6:7], v[97:98], v[97:98], 1.0
	v_div_scale_f64 v[107:108], vcc, 1.0, v[97:98], 1.0
	v_rcp_f64_e32 v[103:104], v[99:100]
	v_fma_f64 v[105:106], -v[99:100], v[103:104], 1.0
	v_fma_f64 v[103:104], v[103:104], v[105:106], v[103:104]
	v_fma_f64 v[105:106], -v[99:100], v[103:104], 1.0
	v_fma_f64 v[103:104], v[103:104], v[105:106], v[103:104]
	v_mul_f64 v[105:106], v[107:108], v[103:104]
	v_fma_f64 v[99:100], -v[99:100], v[105:106], v[107:108]
	v_div_fmas_f64 v[99:100], v[99:100], v[103:104], v[105:106]
	v_div_fixup_f64 v[103:104], v[99:100], v[97:98], 1.0
                                        ; implicit-def: $vgpr97_vgpr98
	v_mul_f64 v[101:102], v[101:102], v[103:104]
	v_xor_b32_e32 v104, 0x80000000, v104
.LBB89_23:
	s_andn2_saveexec_b64 s[2:3], s[2:3]
	s_cbranch_execz .LBB89_25
; %bb.24:
	v_div_scale_f64 v[101:102], s[6:7], v[97:98], v[97:98], v[99:100]
	v_rcp_f64_e32 v[103:104], v[101:102]
	v_fma_f64 v[105:106], -v[101:102], v[103:104], 1.0
	v_fma_f64 v[103:104], v[103:104], v[105:106], v[103:104]
	v_div_scale_f64 v[105:106], vcc, v[99:100], v[97:98], v[99:100]
	v_fma_f64 v[107:108], -v[101:102], v[103:104], 1.0
	v_fma_f64 v[103:104], v[103:104], v[107:108], v[103:104]
	v_mul_f64 v[107:108], v[105:106], v[103:104]
	v_fma_f64 v[101:102], -v[101:102], v[107:108], v[105:106]
	v_div_fmas_f64 v[101:102], v[101:102], v[103:104], v[107:108]
	v_div_fixup_f64 v[103:104], v[101:102], v[97:98], v[99:100]
	v_fma_f64 v[97:98], v[99:100], v[103:104], v[97:98]
	v_div_scale_f64 v[99:100], s[6:7], v[97:98], v[97:98], 1.0
	v_div_scale_f64 v[107:108], vcc, 1.0, v[97:98], 1.0
	v_rcp_f64_e32 v[101:102], v[99:100]
	v_fma_f64 v[105:106], -v[99:100], v[101:102], 1.0
	v_fma_f64 v[101:102], v[101:102], v[105:106], v[101:102]
	v_fma_f64 v[105:106], -v[99:100], v[101:102], 1.0
	v_fma_f64 v[101:102], v[101:102], v[105:106], v[101:102]
	v_mul_f64 v[105:106], v[107:108], v[101:102]
	v_fma_f64 v[99:100], -v[99:100], v[105:106], v[107:108]
	v_div_fmas_f64 v[99:100], v[99:100], v[101:102], v[105:106]
	v_div_fixup_f64 v[101:102], v[99:100], v[97:98], 1.0
	v_mul_f64 v[103:104], v[103:104], -v[101:102]
.LBB89_25:
	s_or_b64 exec, exec, s[2:3]
	ds_write2_b64 v127, v[101:102], v[103:104] offset1:1
.LBB89_26:
	s_or_b64 exec, exec, s[4:5]
	s_waitcnt lgkmcnt(0)
	s_barrier
	ds_read2_b64 v[65:68], v127 offset1:1
	v_cmp_lt_u32_e32 vcc, 2, v0
	s_waitcnt lgkmcnt(0)
	buffer_store_dword v65, off, s[20:23], 0 offset:752 ; 4-byte Folded Spill
	s_nop 0
	buffer_store_dword v66, off, s[20:23], 0 offset:756 ; 4-byte Folded Spill
	buffer_store_dword v67, off, s[20:23], 0 offset:760 ; 4-byte Folded Spill
	;; [unrolled: 1-line block ×3, first 2 shown]
	s_and_saveexec_b64 s[2:3], vcc
	s_cbranch_execz .LBB89_28
; %bb.27:
	buffer_load_dword v75, off, s[20:23], 0 offset:320 ; 4-byte Folded Reload
	buffer_load_dword v76, off, s[20:23], 0 offset:324 ; 4-byte Folded Reload
	;; [unrolled: 1-line block ×8, first 2 shown]
	s_waitcnt vmcnt(2)
	v_mul_f64 v[99:100], v[65:66], v[77:78]
	s_waitcnt vmcnt(0)
	v_mul_f64 v[97:98], v[67:68], v[77:78]
	v_fma_f64 v[77:78], v[67:68], v[75:76], v[99:100]
	ds_read2_b64 v[99:102], v125 offset0:6 offset1:7
	buffer_load_dword v69, off, s[20:23], 0 offset:304 ; 4-byte Folded Reload
	buffer_load_dword v70, off, s[20:23], 0 offset:308 ; 4-byte Folded Reload
	;; [unrolled: 1-line block ×4, first 2 shown]
	v_fma_f64 v[97:98], v[65:66], v[75:76], -v[97:98]
	s_waitcnt lgkmcnt(0)
	v_mul_f64 v[103:104], v[101:102], v[77:78]
	v_fma_f64 v[103:104], v[99:100], v[97:98], -v[103:104]
	v_mul_f64 v[99:100], v[99:100], v[77:78]
	v_fma_f64 v[99:100], v[101:102], v[97:98], v[99:100]
	s_waitcnt vmcnt(2)
	v_add_f64 v[69:70], v[69:70], -v[103:104]
	s_waitcnt vmcnt(0)
	v_add_f64 v[71:72], v[71:72], -v[99:100]
	buffer_store_dword v69, off, s[20:23], 0 offset:304 ; 4-byte Folded Spill
	s_nop 0
	buffer_store_dword v70, off, s[20:23], 0 offset:308 ; 4-byte Folded Spill
	buffer_store_dword v71, off, s[20:23], 0 offset:312 ; 4-byte Folded Spill
	buffer_store_dword v72, off, s[20:23], 0 offset:316 ; 4-byte Folded Spill
	ds_read2_b64 v[99:102], v125 offset0:8 offset1:9
	buffer_load_dword v69, off, s[20:23], 0 offset:288 ; 4-byte Folded Reload
	buffer_load_dword v70, off, s[20:23], 0 offset:292 ; 4-byte Folded Reload
	buffer_load_dword v71, off, s[20:23], 0 offset:296 ; 4-byte Folded Reload
	buffer_load_dword v72, off, s[20:23], 0 offset:300 ; 4-byte Folded Reload
	s_waitcnt lgkmcnt(0)
	v_mul_f64 v[103:104], v[101:102], v[77:78]
	v_fma_f64 v[103:104], v[99:100], v[97:98], -v[103:104]
	v_mul_f64 v[99:100], v[99:100], v[77:78]
	v_fma_f64 v[99:100], v[101:102], v[97:98], v[99:100]
	s_waitcnt vmcnt(2)
	v_add_f64 v[69:70], v[69:70], -v[103:104]
	s_waitcnt vmcnt(0)
	v_add_f64 v[71:72], v[71:72], -v[99:100]
	buffer_store_dword v69, off, s[20:23], 0 offset:288 ; 4-byte Folded Spill
	s_nop 0
	buffer_store_dword v70, off, s[20:23], 0 offset:292 ; 4-byte Folded Spill
	buffer_store_dword v71, off, s[20:23], 0 offset:296 ; 4-byte Folded Spill
	buffer_store_dword v72, off, s[20:23], 0 offset:300 ; 4-byte Folded Spill
	ds_read2_b64 v[99:102], v125 offset0:10 offset1:11
	buffer_load_dword v69, off, s[20:23], 0 offset:272 ; 4-byte Folded Reload
	buffer_load_dword v70, off, s[20:23], 0 offset:276 ; 4-byte Folded Reload
	buffer_load_dword v71, off, s[20:23], 0 offset:280 ; 4-byte Folded Reload
	buffer_load_dword v72, off, s[20:23], 0 offset:284 ; 4-byte Folded Reload
	;; [unrolled: 19-line block ×14, first 2 shown]
	s_waitcnt lgkmcnt(0)
	v_mul_f64 v[103:104], v[101:102], v[77:78]
	v_fma_f64 v[103:104], v[99:100], v[97:98], -v[103:104]
	v_mul_f64 v[99:100], v[99:100], v[77:78]
	v_fma_f64 v[99:100], v[101:102], v[97:98], v[99:100]
	s_waitcnt vmcnt(2)
	v_add_f64 v[69:70], v[69:70], -v[103:104]
	s_waitcnt vmcnt(0)
	v_add_f64 v[71:72], v[71:72], -v[99:100]
	buffer_store_dword v69, off, s[20:23], 0 offset:80 ; 4-byte Folded Spill
	s_nop 0
	buffer_store_dword v70, off, s[20:23], 0 offset:84 ; 4-byte Folded Spill
	buffer_store_dword v71, off, s[20:23], 0 offset:88 ; 4-byte Folded Spill
	buffer_store_dword v72, off, s[20:23], 0 offset:92 ; 4-byte Folded Spill
	ds_read2_b64 v[99:102], v125 offset0:36 offset1:37
	s_waitcnt lgkmcnt(0)
	v_mul_f64 v[103:104], v[101:102], v[77:78]
	v_fma_f64 v[103:104], v[99:100], v[97:98], -v[103:104]
	v_mul_f64 v[99:100], v[99:100], v[77:78]
	v_add_f64 v[117:118], v[117:118], -v[103:104]
	v_fma_f64 v[99:100], v[101:102], v[97:98], v[99:100]
	v_add_f64 v[119:120], v[119:120], -v[99:100]
	ds_read2_b64 v[99:102], v125 offset0:38 offset1:39
	s_waitcnt lgkmcnt(0)
	v_mul_f64 v[103:104], v[101:102], v[77:78]
	v_fma_f64 v[103:104], v[99:100], v[97:98], -v[103:104]
	v_mul_f64 v[99:100], v[99:100], v[77:78]
	v_add_f64 v[79:80], v[79:80], -v[103:104]
	v_fma_f64 v[99:100], v[101:102], v[97:98], v[99:100]
	v_add_f64 v[81:82], v[81:82], -v[99:100]
	;; [unrolled: 8-line block ×5, first 2 shown]
	ds_read2_b64 v[99:102], v125 offset0:46 offset1:47
	buffer_load_dword v73, off, s[20:23], 0 offset:64 ; 4-byte Folded Reload
	buffer_load_dword v74, off, s[20:23], 0 offset:68 ; 4-byte Folded Reload
	;; [unrolled: 1-line block ×4, first 2 shown]
	s_waitcnt lgkmcnt(0)
	v_mul_f64 v[103:104], v[101:102], v[77:78]
	v_fma_f64 v[103:104], v[99:100], v[97:98], -v[103:104]
	v_mul_f64 v[99:100], v[99:100], v[77:78]
	v_fma_f64 v[99:100], v[101:102], v[97:98], v[99:100]
	s_waitcnt vmcnt(2)
	v_add_f64 v[73:74], v[73:74], -v[103:104]
	s_waitcnt vmcnt(0)
	v_add_f64 v[75:76], v[75:76], -v[99:100]
	buffer_store_dword v73, off, s[20:23], 0 offset:64 ; 4-byte Folded Spill
	s_nop 0
	buffer_store_dword v74, off, s[20:23], 0 offset:68 ; 4-byte Folded Spill
	buffer_store_dword v75, off, s[20:23], 0 offset:72 ; 4-byte Folded Spill
	;; [unrolled: 1-line block ×3, first 2 shown]
	ds_read2_b64 v[99:102], v125 offset0:48 offset1:49
	s_waitcnt lgkmcnt(0)
	v_mul_f64 v[103:104], v[101:102], v[77:78]
	v_fma_f64 v[103:104], v[99:100], v[97:98], -v[103:104]
	v_mul_f64 v[99:100], v[99:100], v[77:78]
	v_add_f64 v[93:94], v[93:94], -v[103:104]
	v_fma_f64 v[99:100], v[101:102], v[97:98], v[99:100]
	v_add_f64 v[95:96], v[95:96], -v[99:100]
	ds_read2_b64 v[99:102], v125 offset0:50 offset1:51
	buffer_load_dword v73, off, s[20:23], 0 offset:32 ; 4-byte Folded Reload
	buffer_load_dword v74, off, s[20:23], 0 offset:36 ; 4-byte Folded Reload
	;; [unrolled: 1-line block ×4, first 2 shown]
	s_waitcnt lgkmcnt(0)
	v_mul_f64 v[103:104], v[101:102], v[77:78]
	v_fma_f64 v[103:104], v[99:100], v[97:98], -v[103:104]
	v_mul_f64 v[99:100], v[99:100], v[77:78]
	v_fma_f64 v[99:100], v[101:102], v[97:98], v[99:100]
	s_waitcnt vmcnt(2)
	v_add_f64 v[73:74], v[73:74], -v[103:104]
	s_waitcnt vmcnt(0)
	v_add_f64 v[75:76], v[75:76], -v[99:100]
	buffer_store_dword v73, off, s[20:23], 0 offset:32 ; 4-byte Folded Spill
	s_nop 0
	buffer_store_dword v74, off, s[20:23], 0 offset:36 ; 4-byte Folded Spill
	buffer_store_dword v75, off, s[20:23], 0 offset:40 ; 4-byte Folded Spill
	buffer_store_dword v76, off, s[20:23], 0 offset:44 ; 4-byte Folded Spill
	ds_read2_b64 v[99:102], v125 offset0:52 offset1:53
	buffer_load_dword v69, off, s[20:23], 0 offset:16 ; 4-byte Folded Reload
	buffer_load_dword v70, off, s[20:23], 0 offset:20 ; 4-byte Folded Reload
	;; [unrolled: 1-line block ×4, first 2 shown]
	v_mov_b32_e32 v75, v97
	v_mov_b32_e32 v76, v98
	s_waitcnt lgkmcnt(0)
	v_mul_f64 v[103:104], v[101:102], v[77:78]
	v_fma_f64 v[103:104], v[99:100], v[97:98], -v[103:104]
	v_mul_f64 v[99:100], v[99:100], v[77:78]
	v_fma_f64 v[99:100], v[101:102], v[97:98], v[99:100]
	s_waitcnt vmcnt(2)
	v_add_f64 v[69:70], v[69:70], -v[103:104]
	s_waitcnt vmcnt(0)
	v_add_f64 v[71:72], v[71:72], -v[99:100]
	buffer_store_dword v69, off, s[20:23], 0 offset:16 ; 4-byte Folded Spill
	s_nop 0
	buffer_store_dword v70, off, s[20:23], 0 offset:20 ; 4-byte Folded Spill
	buffer_store_dword v71, off, s[20:23], 0 offset:24 ; 4-byte Folded Spill
	;; [unrolled: 1-line block ×3, first 2 shown]
	ds_read2_b64 v[99:102], v125 offset0:54 offset1:55
	buffer_load_dword v65, off, s[20:23], 0 ; 4-byte Folded Reload
	buffer_load_dword v66, off, s[20:23], 0 offset:4 ; 4-byte Folded Reload
	buffer_load_dword v67, off, s[20:23], 0 offset:8 ; 4-byte Folded Reload
	;; [unrolled: 1-line block ×3, first 2 shown]
	s_waitcnt lgkmcnt(0)
	v_mul_f64 v[103:104], v[101:102], v[77:78]
	v_fma_f64 v[103:104], v[99:100], v[97:98], -v[103:104]
	v_mul_f64 v[99:100], v[99:100], v[77:78]
	v_fma_f64 v[99:100], v[101:102], v[97:98], v[99:100]
	s_waitcnt vmcnt(2)
	v_add_f64 v[65:66], v[65:66], -v[103:104]
	s_waitcnt vmcnt(0)
	v_add_f64 v[67:68], v[67:68], -v[99:100]
	buffer_store_dword v65, off, s[20:23], 0 ; 4-byte Folded Spill
	s_nop 0
	buffer_store_dword v66, off, s[20:23], 0 offset:4 ; 4-byte Folded Spill
	buffer_store_dword v67, off, s[20:23], 0 offset:8 ; 4-byte Folded Spill
	;; [unrolled: 1-line block ×3, first 2 shown]
	ds_read2_b64 v[99:102], v125 offset0:56 offset1:57
	s_waitcnt lgkmcnt(0)
	v_mul_f64 v[103:104], v[101:102], v[77:78]
	v_fma_f64 v[103:104], v[99:100], v[97:98], -v[103:104]
	v_mul_f64 v[99:100], v[99:100], v[77:78]
	v_add_f64 v[61:62], v[61:62], -v[103:104]
	v_fma_f64 v[99:100], v[101:102], v[97:98], v[99:100]
	v_add_f64 v[63:64], v[63:64], -v[99:100]
	ds_read2_b64 v[99:102], v125 offset0:58 offset1:59
	s_waitcnt lgkmcnt(0)
	v_mul_f64 v[103:104], v[101:102], v[77:78]
	v_fma_f64 v[103:104], v[99:100], v[97:98], -v[103:104]
	v_mul_f64 v[99:100], v[99:100], v[77:78]
	v_add_f64 v[57:58], v[57:58], -v[103:104]
	v_fma_f64 v[99:100], v[101:102], v[97:98], v[99:100]
	v_add_f64 v[59:60], v[59:60], -v[99:100]
	;; [unrolled: 8-line block ×16, first 2 shown]
	ds_read2_b64 v[99:102], v125 offset0:88 offset1:89
	buffer_load_dword v65, off, s[20:23], 0 offset:48 ; 4-byte Folded Reload
	buffer_load_dword v66, off, s[20:23], 0 offset:52 ; 4-byte Folded Reload
	;; [unrolled: 1-line block ×4, first 2 shown]
	s_waitcnt lgkmcnt(0)
	v_mul_f64 v[103:104], v[101:102], v[77:78]
	v_fma_f64 v[103:104], v[99:100], v[97:98], -v[103:104]
	v_mul_f64 v[99:100], v[99:100], v[77:78]
	v_fma_f64 v[99:100], v[101:102], v[97:98], v[99:100]
	s_waitcnt vmcnt(2)
	v_add_f64 v[65:66], v[65:66], -v[103:104]
	s_waitcnt vmcnt(0)
	v_add_f64 v[67:68], v[67:68], -v[99:100]
	buffer_store_dword v65, off, s[20:23], 0 offset:48 ; 4-byte Folded Spill
	s_nop 0
	buffer_store_dword v66, off, s[20:23], 0 offset:52 ; 4-byte Folded Spill
	buffer_store_dword v67, off, s[20:23], 0 offset:56 ; 4-byte Folded Spill
	;; [unrolled: 1-line block ×4, first 2 shown]
	s_nop 0
	buffer_store_dword v76, off, s[20:23], 0 offset:324 ; 4-byte Folded Spill
	buffer_store_dword v77, off, s[20:23], 0 offset:328 ; 4-byte Folded Spill
	;; [unrolled: 1-line block ×3, first 2 shown]
.LBB89_28:
	s_or_b64 exec, exec, s[2:3]
	v_cmp_eq_u32_e32 vcc, 3, v0
	s_waitcnt vmcnt(0)
	s_barrier
	s_and_saveexec_b64 s[4:5], vcc
	s_cbranch_execz .LBB89_35
; %bb.29:
	buffer_load_dword v69, off, s[20:23], 0 offset:304 ; 4-byte Folded Reload
	buffer_load_dword v70, off, s[20:23], 0 offset:308 ; 4-byte Folded Reload
	;; [unrolled: 1-line block ×4, first 2 shown]
	s_waitcnt vmcnt(0)
	ds_write2_b64 v127, v[69:70], v[71:72] offset1:1
	buffer_load_dword v69, off, s[20:23], 0 offset:288 ; 4-byte Folded Reload
	buffer_load_dword v70, off, s[20:23], 0 offset:292 ; 4-byte Folded Reload
	buffer_load_dword v71, off, s[20:23], 0 offset:296 ; 4-byte Folded Reload
	buffer_load_dword v72, off, s[20:23], 0 offset:300 ; 4-byte Folded Reload
	s_waitcnt vmcnt(0)
	ds_write2_b64 v125, v[69:70], v[71:72] offset0:8 offset1:9
	buffer_load_dword v69, off, s[20:23], 0 offset:272 ; 4-byte Folded Reload
	buffer_load_dword v70, off, s[20:23], 0 offset:276 ; 4-byte Folded Reload
	buffer_load_dword v71, off, s[20:23], 0 offset:280 ; 4-byte Folded Reload
	buffer_load_dword v72, off, s[20:23], 0 offset:284 ; 4-byte Folded Reload
	s_waitcnt vmcnt(0)
	ds_write2_b64 v125, v[69:70], v[71:72] offset0:10 offset1:11
	;; [unrolled: 6-line block ×14, first 2 shown]
	ds_write2_b64 v125, v[117:118], v[119:120] offset0:36 offset1:37
	ds_write2_b64 v125, v[79:80], v[81:82] offset0:38 offset1:39
	;; [unrolled: 1-line block ×5, first 2 shown]
	buffer_load_dword v73, off, s[20:23], 0 offset:64 ; 4-byte Folded Reload
	buffer_load_dword v74, off, s[20:23], 0 offset:68 ; 4-byte Folded Reload
	buffer_load_dword v75, off, s[20:23], 0 offset:72 ; 4-byte Folded Reload
	buffer_load_dword v76, off, s[20:23], 0 offset:76 ; 4-byte Folded Reload
	s_waitcnt vmcnt(0)
	ds_write2_b64 v125, v[73:74], v[75:76] offset0:46 offset1:47
	ds_write2_b64 v125, v[93:94], v[95:96] offset0:48 offset1:49
	buffer_load_dword v73, off, s[20:23], 0 offset:32 ; 4-byte Folded Reload
	buffer_load_dword v74, off, s[20:23], 0 offset:36 ; 4-byte Folded Reload
	;; [unrolled: 1-line block ×4, first 2 shown]
	s_waitcnt vmcnt(0)
	ds_write2_b64 v125, v[73:74], v[75:76] offset0:50 offset1:51
	buffer_load_dword v69, off, s[20:23], 0 offset:16 ; 4-byte Folded Reload
	buffer_load_dword v70, off, s[20:23], 0 offset:20 ; 4-byte Folded Reload
	;; [unrolled: 1-line block ×4, first 2 shown]
	s_waitcnt vmcnt(0)
	ds_write2_b64 v125, v[69:70], v[71:72] offset0:52 offset1:53
	buffer_load_dword v65, off, s[20:23], 0 ; 4-byte Folded Reload
	buffer_load_dword v66, off, s[20:23], 0 offset:4 ; 4-byte Folded Reload
	buffer_load_dword v67, off, s[20:23], 0 offset:8 ; 4-byte Folded Reload
	;; [unrolled: 1-line block ×3, first 2 shown]
	s_waitcnt vmcnt(0)
	ds_write2_b64 v125, v[65:66], v[67:68] offset0:54 offset1:55
	ds_write2_b64 v125, v[61:62], v[63:64] offset0:56 offset1:57
	;; [unrolled: 1-line block ×17, first 2 shown]
	buffer_load_dword v65, off, s[20:23], 0 offset:48 ; 4-byte Folded Reload
	buffer_load_dword v66, off, s[20:23], 0 offset:52 ; 4-byte Folded Reload
	;; [unrolled: 1-line block ×4, first 2 shown]
	s_waitcnt vmcnt(0)
	ds_write2_b64 v125, v[65:66], v[67:68] offset0:88 offset1:89
	ds_read2_b64 v[97:100], v127 offset1:1
	s_waitcnt lgkmcnt(0)
	v_cmp_neq_f64_e32 vcc, 0, v[97:98]
	v_cmp_neq_f64_e64 s[2:3], 0, v[99:100]
	s_or_b64 s[2:3], vcc, s[2:3]
	s_and_b64 exec, exec, s[2:3]
	s_cbranch_execz .LBB89_35
; %bb.30:
	v_cmp_ngt_f64_e64 s[2:3], |v[97:98]|, |v[99:100]|
                                        ; implicit-def: $vgpr101_vgpr102
	s_and_saveexec_b64 s[6:7], s[2:3]
	s_xor_b64 s[2:3], exec, s[6:7]
                                        ; implicit-def: $vgpr103_vgpr104
	s_cbranch_execz .LBB89_32
; %bb.31:
	v_div_scale_f64 v[101:102], s[6:7], v[99:100], v[99:100], v[97:98]
	v_rcp_f64_e32 v[103:104], v[101:102]
	v_fma_f64 v[105:106], -v[101:102], v[103:104], 1.0
	v_fma_f64 v[103:104], v[103:104], v[105:106], v[103:104]
	v_div_scale_f64 v[105:106], vcc, v[97:98], v[99:100], v[97:98]
	v_fma_f64 v[107:108], -v[101:102], v[103:104], 1.0
	v_fma_f64 v[103:104], v[103:104], v[107:108], v[103:104]
	v_mul_f64 v[107:108], v[105:106], v[103:104]
	v_fma_f64 v[101:102], -v[101:102], v[107:108], v[105:106]
	v_div_fmas_f64 v[101:102], v[101:102], v[103:104], v[107:108]
	v_div_fixup_f64 v[101:102], v[101:102], v[99:100], v[97:98]
	v_fma_f64 v[97:98], v[97:98], v[101:102], v[99:100]
	v_div_scale_f64 v[99:100], s[6:7], v[97:98], v[97:98], 1.0
	v_div_scale_f64 v[107:108], vcc, 1.0, v[97:98], 1.0
	v_rcp_f64_e32 v[103:104], v[99:100]
	v_fma_f64 v[105:106], -v[99:100], v[103:104], 1.0
	v_fma_f64 v[103:104], v[103:104], v[105:106], v[103:104]
	v_fma_f64 v[105:106], -v[99:100], v[103:104], 1.0
	v_fma_f64 v[103:104], v[103:104], v[105:106], v[103:104]
	v_mul_f64 v[105:106], v[107:108], v[103:104]
	v_fma_f64 v[99:100], -v[99:100], v[105:106], v[107:108]
	v_div_fmas_f64 v[99:100], v[99:100], v[103:104], v[105:106]
	v_div_fixup_f64 v[103:104], v[99:100], v[97:98], 1.0
                                        ; implicit-def: $vgpr97_vgpr98
	v_mul_f64 v[101:102], v[101:102], v[103:104]
	v_xor_b32_e32 v104, 0x80000000, v104
.LBB89_32:
	s_andn2_saveexec_b64 s[2:3], s[2:3]
	s_cbranch_execz .LBB89_34
; %bb.33:
	v_div_scale_f64 v[101:102], s[6:7], v[97:98], v[97:98], v[99:100]
	v_rcp_f64_e32 v[103:104], v[101:102]
	v_fma_f64 v[105:106], -v[101:102], v[103:104], 1.0
	v_fma_f64 v[103:104], v[103:104], v[105:106], v[103:104]
	v_div_scale_f64 v[105:106], vcc, v[99:100], v[97:98], v[99:100]
	v_fma_f64 v[107:108], -v[101:102], v[103:104], 1.0
	v_fma_f64 v[103:104], v[103:104], v[107:108], v[103:104]
	v_mul_f64 v[107:108], v[105:106], v[103:104]
	v_fma_f64 v[101:102], -v[101:102], v[107:108], v[105:106]
	v_div_fmas_f64 v[101:102], v[101:102], v[103:104], v[107:108]
	v_div_fixup_f64 v[103:104], v[101:102], v[97:98], v[99:100]
	v_fma_f64 v[97:98], v[99:100], v[103:104], v[97:98]
	v_div_scale_f64 v[99:100], s[6:7], v[97:98], v[97:98], 1.0
	v_div_scale_f64 v[107:108], vcc, 1.0, v[97:98], 1.0
	v_rcp_f64_e32 v[101:102], v[99:100]
	v_fma_f64 v[105:106], -v[99:100], v[101:102], 1.0
	v_fma_f64 v[101:102], v[101:102], v[105:106], v[101:102]
	v_fma_f64 v[105:106], -v[99:100], v[101:102], 1.0
	v_fma_f64 v[101:102], v[101:102], v[105:106], v[101:102]
	v_mul_f64 v[105:106], v[107:108], v[101:102]
	v_fma_f64 v[99:100], -v[99:100], v[105:106], v[107:108]
	v_div_fmas_f64 v[99:100], v[99:100], v[101:102], v[105:106]
	v_div_fixup_f64 v[101:102], v[99:100], v[97:98], 1.0
	v_mul_f64 v[103:104], v[103:104], -v[101:102]
.LBB89_34:
	s_or_b64 exec, exec, s[2:3]
	ds_write2_b64 v127, v[101:102], v[103:104] offset1:1
.LBB89_35:
	s_or_b64 exec, exec, s[4:5]
	s_waitcnt lgkmcnt(0)
	s_barrier
	ds_read2_b64 v[65:68], v127 offset1:1
	v_cmp_lt_u32_e32 vcc, 3, v0
	s_waitcnt lgkmcnt(0)
	buffer_store_dword v65, off, s[20:23], 0 offset:768 ; 4-byte Folded Spill
	s_nop 0
	buffer_store_dword v66, off, s[20:23], 0 offset:772 ; 4-byte Folded Spill
	buffer_store_dword v67, off, s[20:23], 0 offset:776 ; 4-byte Folded Spill
	;; [unrolled: 1-line block ×3, first 2 shown]
	s_and_saveexec_b64 s[2:3], vcc
	s_cbranch_execz .LBB89_37
; %bb.36:
	buffer_load_dword v75, off, s[20:23], 0 offset:304 ; 4-byte Folded Reload
	buffer_load_dword v76, off, s[20:23], 0 offset:308 ; 4-byte Folded Reload
	;; [unrolled: 1-line block ×8, first 2 shown]
	s_waitcnt vmcnt(2)
	v_mul_f64 v[99:100], v[65:66], v[77:78]
	s_waitcnt vmcnt(0)
	v_mul_f64 v[97:98], v[67:68], v[77:78]
	v_fma_f64 v[77:78], v[67:68], v[75:76], v[99:100]
	ds_read2_b64 v[99:102], v125 offset0:8 offset1:9
	buffer_load_dword v69, off, s[20:23], 0 offset:288 ; 4-byte Folded Reload
	buffer_load_dword v70, off, s[20:23], 0 offset:292 ; 4-byte Folded Reload
	;; [unrolled: 1-line block ×4, first 2 shown]
	v_fma_f64 v[97:98], v[65:66], v[75:76], -v[97:98]
	s_waitcnt lgkmcnt(0)
	v_mul_f64 v[103:104], v[101:102], v[77:78]
	v_fma_f64 v[103:104], v[99:100], v[97:98], -v[103:104]
	v_mul_f64 v[99:100], v[99:100], v[77:78]
	v_fma_f64 v[99:100], v[101:102], v[97:98], v[99:100]
	s_waitcnt vmcnt(2)
	v_add_f64 v[69:70], v[69:70], -v[103:104]
	s_waitcnt vmcnt(0)
	v_add_f64 v[71:72], v[71:72], -v[99:100]
	buffer_store_dword v69, off, s[20:23], 0 offset:288 ; 4-byte Folded Spill
	s_nop 0
	buffer_store_dword v70, off, s[20:23], 0 offset:292 ; 4-byte Folded Spill
	buffer_store_dword v71, off, s[20:23], 0 offset:296 ; 4-byte Folded Spill
	buffer_store_dword v72, off, s[20:23], 0 offset:300 ; 4-byte Folded Spill
	ds_read2_b64 v[99:102], v125 offset0:10 offset1:11
	buffer_load_dword v69, off, s[20:23], 0 offset:272 ; 4-byte Folded Reload
	buffer_load_dword v70, off, s[20:23], 0 offset:276 ; 4-byte Folded Reload
	buffer_load_dword v71, off, s[20:23], 0 offset:280 ; 4-byte Folded Reload
	buffer_load_dword v72, off, s[20:23], 0 offset:284 ; 4-byte Folded Reload
	s_waitcnt lgkmcnt(0)
	v_mul_f64 v[103:104], v[101:102], v[77:78]
	v_fma_f64 v[103:104], v[99:100], v[97:98], -v[103:104]
	v_mul_f64 v[99:100], v[99:100], v[77:78]
	v_fma_f64 v[99:100], v[101:102], v[97:98], v[99:100]
	s_waitcnt vmcnt(2)
	v_add_f64 v[69:70], v[69:70], -v[103:104]
	s_waitcnt vmcnt(0)
	v_add_f64 v[71:72], v[71:72], -v[99:100]
	buffer_store_dword v69, off, s[20:23], 0 offset:272 ; 4-byte Folded Spill
	s_nop 0
	buffer_store_dword v70, off, s[20:23], 0 offset:276 ; 4-byte Folded Spill
	buffer_store_dword v71, off, s[20:23], 0 offset:280 ; 4-byte Folded Spill
	buffer_store_dword v72, off, s[20:23], 0 offset:284 ; 4-byte Folded Spill
	ds_read2_b64 v[99:102], v125 offset0:12 offset1:13
	buffer_load_dword v69, off, s[20:23], 0 offset:256 ; 4-byte Folded Reload
	buffer_load_dword v70, off, s[20:23], 0 offset:260 ; 4-byte Folded Reload
	buffer_load_dword v71, off, s[20:23], 0 offset:264 ; 4-byte Folded Reload
	buffer_load_dword v72, off, s[20:23], 0 offset:268 ; 4-byte Folded Reload
	;; [unrolled: 19-line block ×13, first 2 shown]
	s_waitcnt lgkmcnt(0)
	v_mul_f64 v[103:104], v[101:102], v[77:78]
	v_fma_f64 v[103:104], v[99:100], v[97:98], -v[103:104]
	v_mul_f64 v[99:100], v[99:100], v[77:78]
	v_fma_f64 v[99:100], v[101:102], v[97:98], v[99:100]
	s_waitcnt vmcnt(2)
	v_add_f64 v[69:70], v[69:70], -v[103:104]
	s_waitcnt vmcnt(0)
	v_add_f64 v[71:72], v[71:72], -v[99:100]
	buffer_store_dword v69, off, s[20:23], 0 offset:80 ; 4-byte Folded Spill
	s_nop 0
	buffer_store_dword v70, off, s[20:23], 0 offset:84 ; 4-byte Folded Spill
	buffer_store_dword v71, off, s[20:23], 0 offset:88 ; 4-byte Folded Spill
	;; [unrolled: 1-line block ×3, first 2 shown]
	ds_read2_b64 v[99:102], v125 offset0:36 offset1:37
	s_waitcnt lgkmcnt(0)
	v_mul_f64 v[103:104], v[101:102], v[77:78]
	v_fma_f64 v[103:104], v[99:100], v[97:98], -v[103:104]
	v_mul_f64 v[99:100], v[99:100], v[77:78]
	v_add_f64 v[117:118], v[117:118], -v[103:104]
	v_fma_f64 v[99:100], v[101:102], v[97:98], v[99:100]
	v_add_f64 v[119:120], v[119:120], -v[99:100]
	ds_read2_b64 v[99:102], v125 offset0:38 offset1:39
	s_waitcnt lgkmcnt(0)
	v_mul_f64 v[103:104], v[101:102], v[77:78]
	v_fma_f64 v[103:104], v[99:100], v[97:98], -v[103:104]
	v_mul_f64 v[99:100], v[99:100], v[77:78]
	v_add_f64 v[79:80], v[79:80], -v[103:104]
	v_fma_f64 v[99:100], v[101:102], v[97:98], v[99:100]
	v_add_f64 v[81:82], v[81:82], -v[99:100]
	;; [unrolled: 8-line block ×5, first 2 shown]
	ds_read2_b64 v[99:102], v125 offset0:46 offset1:47
	buffer_load_dword v73, off, s[20:23], 0 offset:64 ; 4-byte Folded Reload
	buffer_load_dword v74, off, s[20:23], 0 offset:68 ; 4-byte Folded Reload
	;; [unrolled: 1-line block ×4, first 2 shown]
	s_waitcnt lgkmcnt(0)
	v_mul_f64 v[103:104], v[101:102], v[77:78]
	v_fma_f64 v[103:104], v[99:100], v[97:98], -v[103:104]
	v_mul_f64 v[99:100], v[99:100], v[77:78]
	v_fma_f64 v[99:100], v[101:102], v[97:98], v[99:100]
	s_waitcnt vmcnt(2)
	v_add_f64 v[73:74], v[73:74], -v[103:104]
	s_waitcnt vmcnt(0)
	v_add_f64 v[75:76], v[75:76], -v[99:100]
	buffer_store_dword v73, off, s[20:23], 0 offset:64 ; 4-byte Folded Spill
	s_nop 0
	buffer_store_dword v74, off, s[20:23], 0 offset:68 ; 4-byte Folded Spill
	buffer_store_dword v75, off, s[20:23], 0 offset:72 ; 4-byte Folded Spill
	;; [unrolled: 1-line block ×3, first 2 shown]
	ds_read2_b64 v[99:102], v125 offset0:48 offset1:49
	s_waitcnt lgkmcnt(0)
	v_mul_f64 v[103:104], v[101:102], v[77:78]
	v_fma_f64 v[103:104], v[99:100], v[97:98], -v[103:104]
	v_mul_f64 v[99:100], v[99:100], v[77:78]
	v_add_f64 v[93:94], v[93:94], -v[103:104]
	v_fma_f64 v[99:100], v[101:102], v[97:98], v[99:100]
	v_add_f64 v[95:96], v[95:96], -v[99:100]
	ds_read2_b64 v[99:102], v125 offset0:50 offset1:51
	buffer_load_dword v73, off, s[20:23], 0 offset:32 ; 4-byte Folded Reload
	buffer_load_dword v74, off, s[20:23], 0 offset:36 ; 4-byte Folded Reload
	buffer_load_dword v75, off, s[20:23], 0 offset:40 ; 4-byte Folded Reload
	buffer_load_dword v76, off, s[20:23], 0 offset:44 ; 4-byte Folded Reload
	s_waitcnt lgkmcnt(0)
	v_mul_f64 v[103:104], v[101:102], v[77:78]
	v_fma_f64 v[103:104], v[99:100], v[97:98], -v[103:104]
	v_mul_f64 v[99:100], v[99:100], v[77:78]
	v_fma_f64 v[99:100], v[101:102], v[97:98], v[99:100]
	s_waitcnt vmcnt(2)
	v_add_f64 v[73:74], v[73:74], -v[103:104]
	s_waitcnt vmcnt(0)
	v_add_f64 v[75:76], v[75:76], -v[99:100]
	buffer_store_dword v73, off, s[20:23], 0 offset:32 ; 4-byte Folded Spill
	s_nop 0
	buffer_store_dword v74, off, s[20:23], 0 offset:36 ; 4-byte Folded Spill
	buffer_store_dword v75, off, s[20:23], 0 offset:40 ; 4-byte Folded Spill
	buffer_store_dword v76, off, s[20:23], 0 offset:44 ; 4-byte Folded Spill
	ds_read2_b64 v[99:102], v125 offset0:52 offset1:53
	buffer_load_dword v69, off, s[20:23], 0 offset:16 ; 4-byte Folded Reload
	buffer_load_dword v70, off, s[20:23], 0 offset:20 ; 4-byte Folded Reload
	;; [unrolled: 1-line block ×4, first 2 shown]
	v_mov_b32_e32 v75, v97
	v_mov_b32_e32 v76, v98
	s_waitcnt lgkmcnt(0)
	v_mul_f64 v[103:104], v[101:102], v[77:78]
	v_fma_f64 v[103:104], v[99:100], v[97:98], -v[103:104]
	v_mul_f64 v[99:100], v[99:100], v[77:78]
	v_fma_f64 v[99:100], v[101:102], v[97:98], v[99:100]
	s_waitcnt vmcnt(2)
	v_add_f64 v[69:70], v[69:70], -v[103:104]
	s_waitcnt vmcnt(0)
	v_add_f64 v[71:72], v[71:72], -v[99:100]
	buffer_store_dword v69, off, s[20:23], 0 offset:16 ; 4-byte Folded Spill
	s_nop 0
	buffer_store_dword v70, off, s[20:23], 0 offset:20 ; 4-byte Folded Spill
	buffer_store_dword v71, off, s[20:23], 0 offset:24 ; 4-byte Folded Spill
	;; [unrolled: 1-line block ×3, first 2 shown]
	ds_read2_b64 v[99:102], v125 offset0:54 offset1:55
	buffer_load_dword v65, off, s[20:23], 0 ; 4-byte Folded Reload
	buffer_load_dword v66, off, s[20:23], 0 offset:4 ; 4-byte Folded Reload
	buffer_load_dword v67, off, s[20:23], 0 offset:8 ; 4-byte Folded Reload
	;; [unrolled: 1-line block ×3, first 2 shown]
	s_waitcnt lgkmcnt(0)
	v_mul_f64 v[103:104], v[101:102], v[77:78]
	v_fma_f64 v[103:104], v[99:100], v[97:98], -v[103:104]
	v_mul_f64 v[99:100], v[99:100], v[77:78]
	v_fma_f64 v[99:100], v[101:102], v[97:98], v[99:100]
	s_waitcnt vmcnt(2)
	v_add_f64 v[65:66], v[65:66], -v[103:104]
	s_waitcnt vmcnt(0)
	v_add_f64 v[67:68], v[67:68], -v[99:100]
	buffer_store_dword v65, off, s[20:23], 0 ; 4-byte Folded Spill
	s_nop 0
	buffer_store_dword v66, off, s[20:23], 0 offset:4 ; 4-byte Folded Spill
	buffer_store_dword v67, off, s[20:23], 0 offset:8 ; 4-byte Folded Spill
	buffer_store_dword v68, off, s[20:23], 0 offset:12 ; 4-byte Folded Spill
	ds_read2_b64 v[99:102], v125 offset0:56 offset1:57
	s_waitcnt lgkmcnt(0)
	v_mul_f64 v[103:104], v[101:102], v[77:78]
	v_fma_f64 v[103:104], v[99:100], v[97:98], -v[103:104]
	v_mul_f64 v[99:100], v[99:100], v[77:78]
	v_add_f64 v[61:62], v[61:62], -v[103:104]
	v_fma_f64 v[99:100], v[101:102], v[97:98], v[99:100]
	v_add_f64 v[63:64], v[63:64], -v[99:100]
	ds_read2_b64 v[99:102], v125 offset0:58 offset1:59
	s_waitcnt lgkmcnt(0)
	v_mul_f64 v[103:104], v[101:102], v[77:78]
	v_fma_f64 v[103:104], v[99:100], v[97:98], -v[103:104]
	v_mul_f64 v[99:100], v[99:100], v[77:78]
	v_add_f64 v[57:58], v[57:58], -v[103:104]
	v_fma_f64 v[99:100], v[101:102], v[97:98], v[99:100]
	v_add_f64 v[59:60], v[59:60], -v[99:100]
	;; [unrolled: 8-line block ×16, first 2 shown]
	ds_read2_b64 v[99:102], v125 offset0:88 offset1:89
	buffer_load_dword v65, off, s[20:23], 0 offset:48 ; 4-byte Folded Reload
	buffer_load_dword v66, off, s[20:23], 0 offset:52 ; 4-byte Folded Reload
	;; [unrolled: 1-line block ×4, first 2 shown]
	s_waitcnt lgkmcnt(0)
	v_mul_f64 v[103:104], v[101:102], v[77:78]
	v_fma_f64 v[103:104], v[99:100], v[97:98], -v[103:104]
	v_mul_f64 v[99:100], v[99:100], v[77:78]
	v_fma_f64 v[99:100], v[101:102], v[97:98], v[99:100]
	s_waitcnt vmcnt(2)
	v_add_f64 v[65:66], v[65:66], -v[103:104]
	s_waitcnt vmcnt(0)
	v_add_f64 v[67:68], v[67:68], -v[99:100]
	buffer_store_dword v65, off, s[20:23], 0 offset:48 ; 4-byte Folded Spill
	s_nop 0
	buffer_store_dword v66, off, s[20:23], 0 offset:52 ; 4-byte Folded Spill
	buffer_store_dword v67, off, s[20:23], 0 offset:56 ; 4-byte Folded Spill
	;; [unrolled: 1-line block ×4, first 2 shown]
	s_nop 0
	buffer_store_dword v76, off, s[20:23], 0 offset:308 ; 4-byte Folded Spill
	buffer_store_dword v77, off, s[20:23], 0 offset:312 ; 4-byte Folded Spill
	;; [unrolled: 1-line block ×3, first 2 shown]
.LBB89_37:
	s_or_b64 exec, exec, s[2:3]
	v_cmp_eq_u32_e32 vcc, 4, v0
	s_waitcnt vmcnt(0)
	s_barrier
	s_and_saveexec_b64 s[4:5], vcc
	s_cbranch_execz .LBB89_44
; %bb.38:
	buffer_load_dword v69, off, s[20:23], 0 offset:288 ; 4-byte Folded Reload
	buffer_load_dword v70, off, s[20:23], 0 offset:292 ; 4-byte Folded Reload
	;; [unrolled: 1-line block ×4, first 2 shown]
	s_waitcnt vmcnt(0)
	ds_write2_b64 v127, v[69:70], v[71:72] offset1:1
	buffer_load_dword v69, off, s[20:23], 0 offset:272 ; 4-byte Folded Reload
	buffer_load_dword v70, off, s[20:23], 0 offset:276 ; 4-byte Folded Reload
	buffer_load_dword v71, off, s[20:23], 0 offset:280 ; 4-byte Folded Reload
	buffer_load_dword v72, off, s[20:23], 0 offset:284 ; 4-byte Folded Reload
	s_waitcnt vmcnt(0)
	ds_write2_b64 v125, v[69:70], v[71:72] offset0:10 offset1:11
	buffer_load_dword v69, off, s[20:23], 0 offset:256 ; 4-byte Folded Reload
	buffer_load_dword v70, off, s[20:23], 0 offset:260 ; 4-byte Folded Reload
	buffer_load_dword v71, off, s[20:23], 0 offset:264 ; 4-byte Folded Reload
	buffer_load_dword v72, off, s[20:23], 0 offset:268 ; 4-byte Folded Reload
	s_waitcnt vmcnt(0)
	ds_write2_b64 v125, v[69:70], v[71:72] offset0:12 offset1:13
	;; [unrolled: 6-line block ×13, first 2 shown]
	ds_write2_b64 v125, v[117:118], v[119:120] offset0:36 offset1:37
	ds_write2_b64 v125, v[79:80], v[81:82] offset0:38 offset1:39
	;; [unrolled: 1-line block ×5, first 2 shown]
	buffer_load_dword v73, off, s[20:23], 0 offset:64 ; 4-byte Folded Reload
	buffer_load_dword v74, off, s[20:23], 0 offset:68 ; 4-byte Folded Reload
	;; [unrolled: 1-line block ×4, first 2 shown]
	s_waitcnt vmcnt(0)
	ds_write2_b64 v125, v[73:74], v[75:76] offset0:46 offset1:47
	ds_write2_b64 v125, v[93:94], v[95:96] offset0:48 offset1:49
	buffer_load_dword v73, off, s[20:23], 0 offset:32 ; 4-byte Folded Reload
	buffer_load_dword v74, off, s[20:23], 0 offset:36 ; 4-byte Folded Reload
	;; [unrolled: 1-line block ×4, first 2 shown]
	s_waitcnt vmcnt(0)
	ds_write2_b64 v125, v[73:74], v[75:76] offset0:50 offset1:51
	buffer_load_dword v69, off, s[20:23], 0 offset:16 ; 4-byte Folded Reload
	buffer_load_dword v70, off, s[20:23], 0 offset:20 ; 4-byte Folded Reload
	;; [unrolled: 1-line block ×4, first 2 shown]
	s_waitcnt vmcnt(0)
	ds_write2_b64 v125, v[69:70], v[71:72] offset0:52 offset1:53
	buffer_load_dword v65, off, s[20:23], 0 ; 4-byte Folded Reload
	buffer_load_dword v66, off, s[20:23], 0 offset:4 ; 4-byte Folded Reload
	buffer_load_dword v67, off, s[20:23], 0 offset:8 ; 4-byte Folded Reload
	;; [unrolled: 1-line block ×3, first 2 shown]
	s_waitcnt vmcnt(0)
	ds_write2_b64 v125, v[65:66], v[67:68] offset0:54 offset1:55
	ds_write2_b64 v125, v[61:62], v[63:64] offset0:56 offset1:57
	;; [unrolled: 1-line block ×17, first 2 shown]
	buffer_load_dword v65, off, s[20:23], 0 offset:48 ; 4-byte Folded Reload
	buffer_load_dword v66, off, s[20:23], 0 offset:52 ; 4-byte Folded Reload
	;; [unrolled: 1-line block ×4, first 2 shown]
	s_waitcnt vmcnt(0)
	ds_write2_b64 v125, v[65:66], v[67:68] offset0:88 offset1:89
	ds_read2_b64 v[97:100], v127 offset1:1
	s_waitcnt lgkmcnt(0)
	v_cmp_neq_f64_e32 vcc, 0, v[97:98]
	v_cmp_neq_f64_e64 s[2:3], 0, v[99:100]
	s_or_b64 s[2:3], vcc, s[2:3]
	s_and_b64 exec, exec, s[2:3]
	s_cbranch_execz .LBB89_44
; %bb.39:
	v_cmp_ngt_f64_e64 s[2:3], |v[97:98]|, |v[99:100]|
                                        ; implicit-def: $vgpr101_vgpr102
	s_and_saveexec_b64 s[6:7], s[2:3]
	s_xor_b64 s[2:3], exec, s[6:7]
                                        ; implicit-def: $vgpr103_vgpr104
	s_cbranch_execz .LBB89_41
; %bb.40:
	v_div_scale_f64 v[101:102], s[6:7], v[99:100], v[99:100], v[97:98]
	v_rcp_f64_e32 v[103:104], v[101:102]
	v_fma_f64 v[105:106], -v[101:102], v[103:104], 1.0
	v_fma_f64 v[103:104], v[103:104], v[105:106], v[103:104]
	v_div_scale_f64 v[105:106], vcc, v[97:98], v[99:100], v[97:98]
	v_fma_f64 v[107:108], -v[101:102], v[103:104], 1.0
	v_fma_f64 v[103:104], v[103:104], v[107:108], v[103:104]
	v_mul_f64 v[107:108], v[105:106], v[103:104]
	v_fma_f64 v[101:102], -v[101:102], v[107:108], v[105:106]
	v_div_fmas_f64 v[101:102], v[101:102], v[103:104], v[107:108]
	v_div_fixup_f64 v[101:102], v[101:102], v[99:100], v[97:98]
	v_fma_f64 v[97:98], v[97:98], v[101:102], v[99:100]
	v_div_scale_f64 v[99:100], s[6:7], v[97:98], v[97:98], 1.0
	v_div_scale_f64 v[107:108], vcc, 1.0, v[97:98], 1.0
	v_rcp_f64_e32 v[103:104], v[99:100]
	v_fma_f64 v[105:106], -v[99:100], v[103:104], 1.0
	v_fma_f64 v[103:104], v[103:104], v[105:106], v[103:104]
	v_fma_f64 v[105:106], -v[99:100], v[103:104], 1.0
	v_fma_f64 v[103:104], v[103:104], v[105:106], v[103:104]
	v_mul_f64 v[105:106], v[107:108], v[103:104]
	v_fma_f64 v[99:100], -v[99:100], v[105:106], v[107:108]
	v_div_fmas_f64 v[99:100], v[99:100], v[103:104], v[105:106]
	v_div_fixup_f64 v[103:104], v[99:100], v[97:98], 1.0
                                        ; implicit-def: $vgpr97_vgpr98
	v_mul_f64 v[101:102], v[101:102], v[103:104]
	v_xor_b32_e32 v104, 0x80000000, v104
.LBB89_41:
	s_andn2_saveexec_b64 s[2:3], s[2:3]
	s_cbranch_execz .LBB89_43
; %bb.42:
	v_div_scale_f64 v[101:102], s[6:7], v[97:98], v[97:98], v[99:100]
	v_rcp_f64_e32 v[103:104], v[101:102]
	v_fma_f64 v[105:106], -v[101:102], v[103:104], 1.0
	v_fma_f64 v[103:104], v[103:104], v[105:106], v[103:104]
	v_div_scale_f64 v[105:106], vcc, v[99:100], v[97:98], v[99:100]
	v_fma_f64 v[107:108], -v[101:102], v[103:104], 1.0
	v_fma_f64 v[103:104], v[103:104], v[107:108], v[103:104]
	v_mul_f64 v[107:108], v[105:106], v[103:104]
	v_fma_f64 v[101:102], -v[101:102], v[107:108], v[105:106]
	v_div_fmas_f64 v[101:102], v[101:102], v[103:104], v[107:108]
	v_div_fixup_f64 v[103:104], v[101:102], v[97:98], v[99:100]
	v_fma_f64 v[97:98], v[99:100], v[103:104], v[97:98]
	v_div_scale_f64 v[99:100], s[6:7], v[97:98], v[97:98], 1.0
	v_div_scale_f64 v[107:108], vcc, 1.0, v[97:98], 1.0
	v_rcp_f64_e32 v[101:102], v[99:100]
	v_fma_f64 v[105:106], -v[99:100], v[101:102], 1.0
	v_fma_f64 v[101:102], v[101:102], v[105:106], v[101:102]
	v_fma_f64 v[105:106], -v[99:100], v[101:102], 1.0
	v_fma_f64 v[101:102], v[101:102], v[105:106], v[101:102]
	v_mul_f64 v[105:106], v[107:108], v[101:102]
	v_fma_f64 v[99:100], -v[99:100], v[105:106], v[107:108]
	v_div_fmas_f64 v[99:100], v[99:100], v[101:102], v[105:106]
	v_div_fixup_f64 v[101:102], v[99:100], v[97:98], 1.0
	v_mul_f64 v[103:104], v[103:104], -v[101:102]
.LBB89_43:
	s_or_b64 exec, exec, s[2:3]
	ds_write2_b64 v127, v[101:102], v[103:104] offset1:1
.LBB89_44:
	s_or_b64 exec, exec, s[4:5]
	s_waitcnt lgkmcnt(0)
	s_barrier
	ds_read2_b64 v[65:68], v127 offset1:1
	v_cmp_lt_u32_e32 vcc, 4, v0
	s_waitcnt lgkmcnt(0)
	buffer_store_dword v65, off, s[20:23], 0 offset:784 ; 4-byte Folded Spill
	s_nop 0
	buffer_store_dword v66, off, s[20:23], 0 offset:788 ; 4-byte Folded Spill
	buffer_store_dword v67, off, s[20:23], 0 offset:792 ; 4-byte Folded Spill
	;; [unrolled: 1-line block ×3, first 2 shown]
	s_and_saveexec_b64 s[2:3], vcc
	s_cbranch_execz .LBB89_46
; %bb.45:
	buffer_load_dword v75, off, s[20:23], 0 offset:288 ; 4-byte Folded Reload
	buffer_load_dword v76, off, s[20:23], 0 offset:292 ; 4-byte Folded Reload
	;; [unrolled: 1-line block ×8, first 2 shown]
	s_waitcnt vmcnt(2)
	v_mul_f64 v[99:100], v[65:66], v[77:78]
	s_waitcnt vmcnt(0)
	v_mul_f64 v[97:98], v[67:68], v[77:78]
	v_fma_f64 v[77:78], v[67:68], v[75:76], v[99:100]
	ds_read2_b64 v[99:102], v125 offset0:10 offset1:11
	buffer_load_dword v69, off, s[20:23], 0 offset:272 ; 4-byte Folded Reload
	buffer_load_dword v70, off, s[20:23], 0 offset:276 ; 4-byte Folded Reload
	;; [unrolled: 1-line block ×4, first 2 shown]
	v_fma_f64 v[97:98], v[65:66], v[75:76], -v[97:98]
	s_waitcnt lgkmcnt(0)
	v_mul_f64 v[103:104], v[101:102], v[77:78]
	v_fma_f64 v[103:104], v[99:100], v[97:98], -v[103:104]
	v_mul_f64 v[99:100], v[99:100], v[77:78]
	v_fma_f64 v[99:100], v[101:102], v[97:98], v[99:100]
	s_waitcnt vmcnt(2)
	v_add_f64 v[69:70], v[69:70], -v[103:104]
	s_waitcnt vmcnt(0)
	v_add_f64 v[71:72], v[71:72], -v[99:100]
	buffer_store_dword v69, off, s[20:23], 0 offset:272 ; 4-byte Folded Spill
	s_nop 0
	buffer_store_dword v70, off, s[20:23], 0 offset:276 ; 4-byte Folded Spill
	buffer_store_dword v71, off, s[20:23], 0 offset:280 ; 4-byte Folded Spill
	buffer_store_dword v72, off, s[20:23], 0 offset:284 ; 4-byte Folded Spill
	ds_read2_b64 v[99:102], v125 offset0:12 offset1:13
	buffer_load_dword v69, off, s[20:23], 0 offset:256 ; 4-byte Folded Reload
	buffer_load_dword v70, off, s[20:23], 0 offset:260 ; 4-byte Folded Reload
	buffer_load_dword v71, off, s[20:23], 0 offset:264 ; 4-byte Folded Reload
	buffer_load_dword v72, off, s[20:23], 0 offset:268 ; 4-byte Folded Reload
	s_waitcnt lgkmcnt(0)
	v_mul_f64 v[103:104], v[101:102], v[77:78]
	v_fma_f64 v[103:104], v[99:100], v[97:98], -v[103:104]
	v_mul_f64 v[99:100], v[99:100], v[77:78]
	v_fma_f64 v[99:100], v[101:102], v[97:98], v[99:100]
	s_waitcnt vmcnt(2)
	v_add_f64 v[69:70], v[69:70], -v[103:104]
	s_waitcnt vmcnt(0)
	v_add_f64 v[71:72], v[71:72], -v[99:100]
	buffer_store_dword v69, off, s[20:23], 0 offset:256 ; 4-byte Folded Spill
	s_nop 0
	buffer_store_dword v70, off, s[20:23], 0 offset:260 ; 4-byte Folded Spill
	buffer_store_dword v71, off, s[20:23], 0 offset:264 ; 4-byte Folded Spill
	buffer_store_dword v72, off, s[20:23], 0 offset:268 ; 4-byte Folded Spill
	ds_read2_b64 v[99:102], v125 offset0:14 offset1:15
	buffer_load_dword v69, off, s[20:23], 0 offset:240 ; 4-byte Folded Reload
	buffer_load_dword v70, off, s[20:23], 0 offset:244 ; 4-byte Folded Reload
	buffer_load_dword v71, off, s[20:23], 0 offset:248 ; 4-byte Folded Reload
	buffer_load_dword v72, off, s[20:23], 0 offset:252 ; 4-byte Folded Reload
	;; [unrolled: 19-line block ×12, first 2 shown]
	s_waitcnt lgkmcnt(0)
	v_mul_f64 v[103:104], v[101:102], v[77:78]
	v_fma_f64 v[103:104], v[99:100], v[97:98], -v[103:104]
	v_mul_f64 v[99:100], v[99:100], v[77:78]
	v_fma_f64 v[99:100], v[101:102], v[97:98], v[99:100]
	s_waitcnt vmcnt(2)
	v_add_f64 v[69:70], v[69:70], -v[103:104]
	s_waitcnt vmcnt(0)
	v_add_f64 v[71:72], v[71:72], -v[99:100]
	buffer_store_dword v69, off, s[20:23], 0 offset:80 ; 4-byte Folded Spill
	s_nop 0
	buffer_store_dword v70, off, s[20:23], 0 offset:84 ; 4-byte Folded Spill
	buffer_store_dword v71, off, s[20:23], 0 offset:88 ; 4-byte Folded Spill
	;; [unrolled: 1-line block ×3, first 2 shown]
	ds_read2_b64 v[99:102], v125 offset0:36 offset1:37
	s_waitcnt lgkmcnt(0)
	v_mul_f64 v[103:104], v[101:102], v[77:78]
	v_fma_f64 v[103:104], v[99:100], v[97:98], -v[103:104]
	v_mul_f64 v[99:100], v[99:100], v[77:78]
	v_add_f64 v[117:118], v[117:118], -v[103:104]
	v_fma_f64 v[99:100], v[101:102], v[97:98], v[99:100]
	v_add_f64 v[119:120], v[119:120], -v[99:100]
	ds_read2_b64 v[99:102], v125 offset0:38 offset1:39
	s_waitcnt lgkmcnt(0)
	v_mul_f64 v[103:104], v[101:102], v[77:78]
	v_fma_f64 v[103:104], v[99:100], v[97:98], -v[103:104]
	v_mul_f64 v[99:100], v[99:100], v[77:78]
	v_add_f64 v[79:80], v[79:80], -v[103:104]
	v_fma_f64 v[99:100], v[101:102], v[97:98], v[99:100]
	v_add_f64 v[81:82], v[81:82], -v[99:100]
	;; [unrolled: 8-line block ×5, first 2 shown]
	ds_read2_b64 v[99:102], v125 offset0:46 offset1:47
	buffer_load_dword v73, off, s[20:23], 0 offset:64 ; 4-byte Folded Reload
	buffer_load_dword v74, off, s[20:23], 0 offset:68 ; 4-byte Folded Reload
	;; [unrolled: 1-line block ×4, first 2 shown]
	s_waitcnt lgkmcnt(0)
	v_mul_f64 v[103:104], v[101:102], v[77:78]
	v_fma_f64 v[103:104], v[99:100], v[97:98], -v[103:104]
	v_mul_f64 v[99:100], v[99:100], v[77:78]
	v_fma_f64 v[99:100], v[101:102], v[97:98], v[99:100]
	s_waitcnt vmcnt(2)
	v_add_f64 v[73:74], v[73:74], -v[103:104]
	s_waitcnt vmcnt(0)
	v_add_f64 v[75:76], v[75:76], -v[99:100]
	buffer_store_dword v73, off, s[20:23], 0 offset:64 ; 4-byte Folded Spill
	s_nop 0
	buffer_store_dword v74, off, s[20:23], 0 offset:68 ; 4-byte Folded Spill
	buffer_store_dword v75, off, s[20:23], 0 offset:72 ; 4-byte Folded Spill
	buffer_store_dword v76, off, s[20:23], 0 offset:76 ; 4-byte Folded Spill
	ds_read2_b64 v[99:102], v125 offset0:48 offset1:49
	s_waitcnt lgkmcnt(0)
	v_mul_f64 v[103:104], v[101:102], v[77:78]
	v_fma_f64 v[103:104], v[99:100], v[97:98], -v[103:104]
	v_mul_f64 v[99:100], v[99:100], v[77:78]
	v_add_f64 v[93:94], v[93:94], -v[103:104]
	v_fma_f64 v[99:100], v[101:102], v[97:98], v[99:100]
	v_add_f64 v[95:96], v[95:96], -v[99:100]
	ds_read2_b64 v[99:102], v125 offset0:50 offset1:51
	buffer_load_dword v73, off, s[20:23], 0 offset:32 ; 4-byte Folded Reload
	buffer_load_dword v74, off, s[20:23], 0 offset:36 ; 4-byte Folded Reload
	;; [unrolled: 1-line block ×4, first 2 shown]
	s_waitcnt lgkmcnt(0)
	v_mul_f64 v[103:104], v[101:102], v[77:78]
	v_fma_f64 v[103:104], v[99:100], v[97:98], -v[103:104]
	v_mul_f64 v[99:100], v[99:100], v[77:78]
	v_fma_f64 v[99:100], v[101:102], v[97:98], v[99:100]
	s_waitcnt vmcnt(2)
	v_add_f64 v[73:74], v[73:74], -v[103:104]
	s_waitcnt vmcnt(0)
	v_add_f64 v[75:76], v[75:76], -v[99:100]
	buffer_store_dword v73, off, s[20:23], 0 offset:32 ; 4-byte Folded Spill
	s_nop 0
	buffer_store_dword v74, off, s[20:23], 0 offset:36 ; 4-byte Folded Spill
	buffer_store_dword v75, off, s[20:23], 0 offset:40 ; 4-byte Folded Spill
	;; [unrolled: 1-line block ×3, first 2 shown]
	ds_read2_b64 v[99:102], v125 offset0:52 offset1:53
	buffer_load_dword v69, off, s[20:23], 0 offset:16 ; 4-byte Folded Reload
	buffer_load_dword v70, off, s[20:23], 0 offset:20 ; 4-byte Folded Reload
	;; [unrolled: 1-line block ×4, first 2 shown]
	v_mov_b32_e32 v75, v97
	v_mov_b32_e32 v76, v98
	s_waitcnt lgkmcnt(0)
	v_mul_f64 v[103:104], v[101:102], v[77:78]
	v_fma_f64 v[103:104], v[99:100], v[97:98], -v[103:104]
	v_mul_f64 v[99:100], v[99:100], v[77:78]
	v_fma_f64 v[99:100], v[101:102], v[97:98], v[99:100]
	s_waitcnt vmcnt(2)
	v_add_f64 v[69:70], v[69:70], -v[103:104]
	s_waitcnt vmcnt(0)
	v_add_f64 v[71:72], v[71:72], -v[99:100]
	buffer_store_dword v69, off, s[20:23], 0 offset:16 ; 4-byte Folded Spill
	s_nop 0
	buffer_store_dword v70, off, s[20:23], 0 offset:20 ; 4-byte Folded Spill
	buffer_store_dword v71, off, s[20:23], 0 offset:24 ; 4-byte Folded Spill
	;; [unrolled: 1-line block ×3, first 2 shown]
	ds_read2_b64 v[99:102], v125 offset0:54 offset1:55
	buffer_load_dword v65, off, s[20:23], 0 ; 4-byte Folded Reload
	buffer_load_dword v66, off, s[20:23], 0 offset:4 ; 4-byte Folded Reload
	buffer_load_dword v67, off, s[20:23], 0 offset:8 ; 4-byte Folded Reload
	;; [unrolled: 1-line block ×3, first 2 shown]
	s_waitcnt lgkmcnt(0)
	v_mul_f64 v[103:104], v[101:102], v[77:78]
	v_fma_f64 v[103:104], v[99:100], v[97:98], -v[103:104]
	v_mul_f64 v[99:100], v[99:100], v[77:78]
	v_fma_f64 v[99:100], v[101:102], v[97:98], v[99:100]
	s_waitcnt vmcnt(2)
	v_add_f64 v[65:66], v[65:66], -v[103:104]
	s_waitcnt vmcnt(0)
	v_add_f64 v[67:68], v[67:68], -v[99:100]
	buffer_store_dword v65, off, s[20:23], 0 ; 4-byte Folded Spill
	s_nop 0
	buffer_store_dword v66, off, s[20:23], 0 offset:4 ; 4-byte Folded Spill
	buffer_store_dword v67, off, s[20:23], 0 offset:8 ; 4-byte Folded Spill
	;; [unrolled: 1-line block ×3, first 2 shown]
	ds_read2_b64 v[99:102], v125 offset0:56 offset1:57
	s_waitcnt lgkmcnt(0)
	v_mul_f64 v[103:104], v[101:102], v[77:78]
	v_fma_f64 v[103:104], v[99:100], v[97:98], -v[103:104]
	v_mul_f64 v[99:100], v[99:100], v[77:78]
	v_add_f64 v[61:62], v[61:62], -v[103:104]
	v_fma_f64 v[99:100], v[101:102], v[97:98], v[99:100]
	v_add_f64 v[63:64], v[63:64], -v[99:100]
	ds_read2_b64 v[99:102], v125 offset0:58 offset1:59
	s_waitcnt lgkmcnt(0)
	v_mul_f64 v[103:104], v[101:102], v[77:78]
	v_fma_f64 v[103:104], v[99:100], v[97:98], -v[103:104]
	v_mul_f64 v[99:100], v[99:100], v[77:78]
	v_add_f64 v[57:58], v[57:58], -v[103:104]
	v_fma_f64 v[99:100], v[101:102], v[97:98], v[99:100]
	v_add_f64 v[59:60], v[59:60], -v[99:100]
	;; [unrolled: 8-line block ×16, first 2 shown]
	ds_read2_b64 v[99:102], v125 offset0:88 offset1:89
	buffer_load_dword v65, off, s[20:23], 0 offset:48 ; 4-byte Folded Reload
	buffer_load_dword v66, off, s[20:23], 0 offset:52 ; 4-byte Folded Reload
	;; [unrolled: 1-line block ×4, first 2 shown]
	s_waitcnt lgkmcnt(0)
	v_mul_f64 v[103:104], v[101:102], v[77:78]
	v_fma_f64 v[103:104], v[99:100], v[97:98], -v[103:104]
	v_mul_f64 v[99:100], v[99:100], v[77:78]
	v_fma_f64 v[99:100], v[101:102], v[97:98], v[99:100]
	s_waitcnt vmcnt(2)
	v_add_f64 v[65:66], v[65:66], -v[103:104]
	s_waitcnt vmcnt(0)
	v_add_f64 v[67:68], v[67:68], -v[99:100]
	buffer_store_dword v65, off, s[20:23], 0 offset:48 ; 4-byte Folded Spill
	s_nop 0
	buffer_store_dword v66, off, s[20:23], 0 offset:52 ; 4-byte Folded Spill
	buffer_store_dword v67, off, s[20:23], 0 offset:56 ; 4-byte Folded Spill
	;; [unrolled: 1-line block ×4, first 2 shown]
	s_nop 0
	buffer_store_dword v76, off, s[20:23], 0 offset:292 ; 4-byte Folded Spill
	buffer_store_dword v77, off, s[20:23], 0 offset:296 ; 4-byte Folded Spill
	;; [unrolled: 1-line block ×3, first 2 shown]
.LBB89_46:
	s_or_b64 exec, exec, s[2:3]
	v_cmp_eq_u32_e32 vcc, 5, v0
	s_waitcnt vmcnt(0)
	s_barrier
	s_and_saveexec_b64 s[4:5], vcc
	s_cbranch_execz .LBB89_53
; %bb.47:
	buffer_load_dword v69, off, s[20:23], 0 offset:272 ; 4-byte Folded Reload
	buffer_load_dword v70, off, s[20:23], 0 offset:276 ; 4-byte Folded Reload
	;; [unrolled: 1-line block ×4, first 2 shown]
	s_waitcnt vmcnt(0)
	ds_write2_b64 v127, v[69:70], v[71:72] offset1:1
	buffer_load_dword v69, off, s[20:23], 0 offset:256 ; 4-byte Folded Reload
	buffer_load_dword v70, off, s[20:23], 0 offset:260 ; 4-byte Folded Reload
	buffer_load_dword v71, off, s[20:23], 0 offset:264 ; 4-byte Folded Reload
	buffer_load_dword v72, off, s[20:23], 0 offset:268 ; 4-byte Folded Reload
	s_waitcnt vmcnt(0)
	ds_write2_b64 v125, v[69:70], v[71:72] offset0:12 offset1:13
	buffer_load_dword v69, off, s[20:23], 0 offset:240 ; 4-byte Folded Reload
	buffer_load_dword v70, off, s[20:23], 0 offset:244 ; 4-byte Folded Reload
	buffer_load_dword v71, off, s[20:23], 0 offset:248 ; 4-byte Folded Reload
	buffer_load_dword v72, off, s[20:23], 0 offset:252 ; 4-byte Folded Reload
	s_waitcnt vmcnt(0)
	ds_write2_b64 v125, v[69:70], v[71:72] offset0:14 offset1:15
	;; [unrolled: 6-line block ×12, first 2 shown]
	ds_write2_b64 v125, v[117:118], v[119:120] offset0:36 offset1:37
	ds_write2_b64 v125, v[79:80], v[81:82] offset0:38 offset1:39
	;; [unrolled: 1-line block ×5, first 2 shown]
	buffer_load_dword v73, off, s[20:23], 0 offset:64 ; 4-byte Folded Reload
	buffer_load_dword v74, off, s[20:23], 0 offset:68 ; 4-byte Folded Reload
	;; [unrolled: 1-line block ×4, first 2 shown]
	s_waitcnt vmcnt(0)
	ds_write2_b64 v125, v[73:74], v[75:76] offset0:46 offset1:47
	ds_write2_b64 v125, v[93:94], v[95:96] offset0:48 offset1:49
	buffer_load_dword v73, off, s[20:23], 0 offset:32 ; 4-byte Folded Reload
	buffer_load_dword v74, off, s[20:23], 0 offset:36 ; 4-byte Folded Reload
	;; [unrolled: 1-line block ×4, first 2 shown]
	s_waitcnt vmcnt(0)
	ds_write2_b64 v125, v[73:74], v[75:76] offset0:50 offset1:51
	buffer_load_dword v69, off, s[20:23], 0 offset:16 ; 4-byte Folded Reload
	buffer_load_dword v70, off, s[20:23], 0 offset:20 ; 4-byte Folded Reload
	;; [unrolled: 1-line block ×4, first 2 shown]
	s_waitcnt vmcnt(0)
	ds_write2_b64 v125, v[69:70], v[71:72] offset0:52 offset1:53
	buffer_load_dword v65, off, s[20:23], 0 ; 4-byte Folded Reload
	buffer_load_dword v66, off, s[20:23], 0 offset:4 ; 4-byte Folded Reload
	buffer_load_dword v67, off, s[20:23], 0 offset:8 ; 4-byte Folded Reload
	buffer_load_dword v68, off, s[20:23], 0 offset:12 ; 4-byte Folded Reload
	s_waitcnt vmcnt(0)
	ds_write2_b64 v125, v[65:66], v[67:68] offset0:54 offset1:55
	ds_write2_b64 v125, v[61:62], v[63:64] offset0:56 offset1:57
	;; [unrolled: 1-line block ×17, first 2 shown]
	buffer_load_dword v65, off, s[20:23], 0 offset:48 ; 4-byte Folded Reload
	buffer_load_dword v66, off, s[20:23], 0 offset:52 ; 4-byte Folded Reload
	;; [unrolled: 1-line block ×4, first 2 shown]
	s_waitcnt vmcnt(0)
	ds_write2_b64 v125, v[65:66], v[67:68] offset0:88 offset1:89
	ds_read2_b64 v[97:100], v127 offset1:1
	s_waitcnt lgkmcnt(0)
	v_cmp_neq_f64_e32 vcc, 0, v[97:98]
	v_cmp_neq_f64_e64 s[2:3], 0, v[99:100]
	s_or_b64 s[2:3], vcc, s[2:3]
	s_and_b64 exec, exec, s[2:3]
	s_cbranch_execz .LBB89_53
; %bb.48:
	v_cmp_ngt_f64_e64 s[2:3], |v[97:98]|, |v[99:100]|
                                        ; implicit-def: $vgpr101_vgpr102
	s_and_saveexec_b64 s[6:7], s[2:3]
	s_xor_b64 s[2:3], exec, s[6:7]
                                        ; implicit-def: $vgpr103_vgpr104
	s_cbranch_execz .LBB89_50
; %bb.49:
	v_div_scale_f64 v[101:102], s[6:7], v[99:100], v[99:100], v[97:98]
	v_rcp_f64_e32 v[103:104], v[101:102]
	v_fma_f64 v[105:106], -v[101:102], v[103:104], 1.0
	v_fma_f64 v[103:104], v[103:104], v[105:106], v[103:104]
	v_div_scale_f64 v[105:106], vcc, v[97:98], v[99:100], v[97:98]
	v_fma_f64 v[107:108], -v[101:102], v[103:104], 1.0
	v_fma_f64 v[103:104], v[103:104], v[107:108], v[103:104]
	v_mul_f64 v[107:108], v[105:106], v[103:104]
	v_fma_f64 v[101:102], -v[101:102], v[107:108], v[105:106]
	v_div_fmas_f64 v[101:102], v[101:102], v[103:104], v[107:108]
	v_div_fixup_f64 v[101:102], v[101:102], v[99:100], v[97:98]
	v_fma_f64 v[97:98], v[97:98], v[101:102], v[99:100]
	v_div_scale_f64 v[99:100], s[6:7], v[97:98], v[97:98], 1.0
	v_div_scale_f64 v[107:108], vcc, 1.0, v[97:98], 1.0
	v_rcp_f64_e32 v[103:104], v[99:100]
	v_fma_f64 v[105:106], -v[99:100], v[103:104], 1.0
	v_fma_f64 v[103:104], v[103:104], v[105:106], v[103:104]
	v_fma_f64 v[105:106], -v[99:100], v[103:104], 1.0
	v_fma_f64 v[103:104], v[103:104], v[105:106], v[103:104]
	v_mul_f64 v[105:106], v[107:108], v[103:104]
	v_fma_f64 v[99:100], -v[99:100], v[105:106], v[107:108]
	v_div_fmas_f64 v[99:100], v[99:100], v[103:104], v[105:106]
	v_div_fixup_f64 v[103:104], v[99:100], v[97:98], 1.0
                                        ; implicit-def: $vgpr97_vgpr98
	v_mul_f64 v[101:102], v[101:102], v[103:104]
	v_xor_b32_e32 v104, 0x80000000, v104
.LBB89_50:
	s_andn2_saveexec_b64 s[2:3], s[2:3]
	s_cbranch_execz .LBB89_52
; %bb.51:
	v_div_scale_f64 v[101:102], s[6:7], v[97:98], v[97:98], v[99:100]
	v_rcp_f64_e32 v[103:104], v[101:102]
	v_fma_f64 v[105:106], -v[101:102], v[103:104], 1.0
	v_fma_f64 v[103:104], v[103:104], v[105:106], v[103:104]
	v_div_scale_f64 v[105:106], vcc, v[99:100], v[97:98], v[99:100]
	v_fma_f64 v[107:108], -v[101:102], v[103:104], 1.0
	v_fma_f64 v[103:104], v[103:104], v[107:108], v[103:104]
	v_mul_f64 v[107:108], v[105:106], v[103:104]
	v_fma_f64 v[101:102], -v[101:102], v[107:108], v[105:106]
	v_div_fmas_f64 v[101:102], v[101:102], v[103:104], v[107:108]
	v_div_fixup_f64 v[103:104], v[101:102], v[97:98], v[99:100]
	v_fma_f64 v[97:98], v[99:100], v[103:104], v[97:98]
	v_div_scale_f64 v[99:100], s[6:7], v[97:98], v[97:98], 1.0
	v_div_scale_f64 v[107:108], vcc, 1.0, v[97:98], 1.0
	v_rcp_f64_e32 v[101:102], v[99:100]
	v_fma_f64 v[105:106], -v[99:100], v[101:102], 1.0
	v_fma_f64 v[101:102], v[101:102], v[105:106], v[101:102]
	v_fma_f64 v[105:106], -v[99:100], v[101:102], 1.0
	v_fma_f64 v[101:102], v[101:102], v[105:106], v[101:102]
	v_mul_f64 v[105:106], v[107:108], v[101:102]
	v_fma_f64 v[99:100], -v[99:100], v[105:106], v[107:108]
	v_div_fmas_f64 v[99:100], v[99:100], v[101:102], v[105:106]
	v_div_fixup_f64 v[101:102], v[99:100], v[97:98], 1.0
	v_mul_f64 v[103:104], v[103:104], -v[101:102]
.LBB89_52:
	s_or_b64 exec, exec, s[2:3]
	ds_write2_b64 v127, v[101:102], v[103:104] offset1:1
.LBB89_53:
	s_or_b64 exec, exec, s[4:5]
	s_waitcnt lgkmcnt(0)
	s_barrier
	ds_read2_b64 v[65:68], v127 offset1:1
	v_cmp_lt_u32_e32 vcc, 5, v0
	s_waitcnt lgkmcnt(0)
	buffer_store_dword v65, off, s[20:23], 0 offset:800 ; 4-byte Folded Spill
	s_nop 0
	buffer_store_dword v66, off, s[20:23], 0 offset:804 ; 4-byte Folded Spill
	buffer_store_dword v67, off, s[20:23], 0 offset:808 ; 4-byte Folded Spill
	;; [unrolled: 1-line block ×3, first 2 shown]
	s_and_saveexec_b64 s[2:3], vcc
	s_cbranch_execz .LBB89_55
; %bb.54:
	buffer_load_dword v75, off, s[20:23], 0 offset:272 ; 4-byte Folded Reload
	buffer_load_dword v76, off, s[20:23], 0 offset:276 ; 4-byte Folded Reload
	;; [unrolled: 1-line block ×8, first 2 shown]
	s_waitcnt vmcnt(2)
	v_mul_f64 v[99:100], v[65:66], v[77:78]
	s_waitcnt vmcnt(0)
	v_mul_f64 v[97:98], v[67:68], v[77:78]
	v_fma_f64 v[77:78], v[67:68], v[75:76], v[99:100]
	ds_read2_b64 v[99:102], v125 offset0:12 offset1:13
	buffer_load_dword v69, off, s[20:23], 0 offset:256 ; 4-byte Folded Reload
	buffer_load_dword v70, off, s[20:23], 0 offset:260 ; 4-byte Folded Reload
	;; [unrolled: 1-line block ×4, first 2 shown]
	v_fma_f64 v[97:98], v[65:66], v[75:76], -v[97:98]
	s_waitcnt lgkmcnt(0)
	v_mul_f64 v[103:104], v[101:102], v[77:78]
	v_fma_f64 v[103:104], v[99:100], v[97:98], -v[103:104]
	v_mul_f64 v[99:100], v[99:100], v[77:78]
	v_fma_f64 v[99:100], v[101:102], v[97:98], v[99:100]
	s_waitcnt vmcnt(2)
	v_add_f64 v[69:70], v[69:70], -v[103:104]
	s_waitcnt vmcnt(0)
	v_add_f64 v[71:72], v[71:72], -v[99:100]
	buffer_store_dword v69, off, s[20:23], 0 offset:256 ; 4-byte Folded Spill
	s_nop 0
	buffer_store_dword v70, off, s[20:23], 0 offset:260 ; 4-byte Folded Spill
	buffer_store_dword v71, off, s[20:23], 0 offset:264 ; 4-byte Folded Spill
	buffer_store_dword v72, off, s[20:23], 0 offset:268 ; 4-byte Folded Spill
	ds_read2_b64 v[99:102], v125 offset0:14 offset1:15
	buffer_load_dword v69, off, s[20:23], 0 offset:240 ; 4-byte Folded Reload
	buffer_load_dword v70, off, s[20:23], 0 offset:244 ; 4-byte Folded Reload
	buffer_load_dword v71, off, s[20:23], 0 offset:248 ; 4-byte Folded Reload
	buffer_load_dword v72, off, s[20:23], 0 offset:252 ; 4-byte Folded Reload
	s_waitcnt lgkmcnt(0)
	v_mul_f64 v[103:104], v[101:102], v[77:78]
	v_fma_f64 v[103:104], v[99:100], v[97:98], -v[103:104]
	v_mul_f64 v[99:100], v[99:100], v[77:78]
	v_fma_f64 v[99:100], v[101:102], v[97:98], v[99:100]
	s_waitcnt vmcnt(2)
	v_add_f64 v[69:70], v[69:70], -v[103:104]
	s_waitcnt vmcnt(0)
	v_add_f64 v[71:72], v[71:72], -v[99:100]
	buffer_store_dword v69, off, s[20:23], 0 offset:240 ; 4-byte Folded Spill
	s_nop 0
	buffer_store_dword v70, off, s[20:23], 0 offset:244 ; 4-byte Folded Spill
	buffer_store_dword v71, off, s[20:23], 0 offset:248 ; 4-byte Folded Spill
	buffer_store_dword v72, off, s[20:23], 0 offset:252 ; 4-byte Folded Spill
	ds_read2_b64 v[99:102], v125 offset0:16 offset1:17
	buffer_load_dword v69, off, s[20:23], 0 offset:224 ; 4-byte Folded Reload
	buffer_load_dword v70, off, s[20:23], 0 offset:228 ; 4-byte Folded Reload
	buffer_load_dword v71, off, s[20:23], 0 offset:232 ; 4-byte Folded Reload
	buffer_load_dword v72, off, s[20:23], 0 offset:236 ; 4-byte Folded Reload
	;; [unrolled: 19-line block ×11, first 2 shown]
	s_waitcnt lgkmcnt(0)
	v_mul_f64 v[103:104], v[101:102], v[77:78]
	v_fma_f64 v[103:104], v[99:100], v[97:98], -v[103:104]
	v_mul_f64 v[99:100], v[99:100], v[77:78]
	v_fma_f64 v[99:100], v[101:102], v[97:98], v[99:100]
	s_waitcnt vmcnt(2)
	v_add_f64 v[69:70], v[69:70], -v[103:104]
	s_waitcnt vmcnt(0)
	v_add_f64 v[71:72], v[71:72], -v[99:100]
	buffer_store_dword v69, off, s[20:23], 0 offset:80 ; 4-byte Folded Spill
	s_nop 0
	buffer_store_dword v70, off, s[20:23], 0 offset:84 ; 4-byte Folded Spill
	buffer_store_dword v71, off, s[20:23], 0 offset:88 ; 4-byte Folded Spill
	;; [unrolled: 1-line block ×3, first 2 shown]
	ds_read2_b64 v[99:102], v125 offset0:36 offset1:37
	s_waitcnt lgkmcnt(0)
	v_mul_f64 v[103:104], v[101:102], v[77:78]
	v_fma_f64 v[103:104], v[99:100], v[97:98], -v[103:104]
	v_mul_f64 v[99:100], v[99:100], v[77:78]
	v_add_f64 v[117:118], v[117:118], -v[103:104]
	v_fma_f64 v[99:100], v[101:102], v[97:98], v[99:100]
	v_add_f64 v[119:120], v[119:120], -v[99:100]
	ds_read2_b64 v[99:102], v125 offset0:38 offset1:39
	s_waitcnt lgkmcnt(0)
	v_mul_f64 v[103:104], v[101:102], v[77:78]
	v_fma_f64 v[103:104], v[99:100], v[97:98], -v[103:104]
	v_mul_f64 v[99:100], v[99:100], v[77:78]
	v_add_f64 v[79:80], v[79:80], -v[103:104]
	v_fma_f64 v[99:100], v[101:102], v[97:98], v[99:100]
	v_add_f64 v[81:82], v[81:82], -v[99:100]
	;; [unrolled: 8-line block ×5, first 2 shown]
	ds_read2_b64 v[99:102], v125 offset0:46 offset1:47
	buffer_load_dword v73, off, s[20:23], 0 offset:64 ; 4-byte Folded Reload
	buffer_load_dword v74, off, s[20:23], 0 offset:68 ; 4-byte Folded Reload
	;; [unrolled: 1-line block ×4, first 2 shown]
	s_waitcnt lgkmcnt(0)
	v_mul_f64 v[103:104], v[101:102], v[77:78]
	v_fma_f64 v[103:104], v[99:100], v[97:98], -v[103:104]
	v_mul_f64 v[99:100], v[99:100], v[77:78]
	v_fma_f64 v[99:100], v[101:102], v[97:98], v[99:100]
	s_waitcnt vmcnt(2)
	v_add_f64 v[73:74], v[73:74], -v[103:104]
	s_waitcnt vmcnt(0)
	v_add_f64 v[75:76], v[75:76], -v[99:100]
	buffer_store_dword v73, off, s[20:23], 0 offset:64 ; 4-byte Folded Spill
	s_nop 0
	buffer_store_dword v74, off, s[20:23], 0 offset:68 ; 4-byte Folded Spill
	buffer_store_dword v75, off, s[20:23], 0 offset:72 ; 4-byte Folded Spill
	;; [unrolled: 1-line block ×3, first 2 shown]
	ds_read2_b64 v[99:102], v125 offset0:48 offset1:49
	s_waitcnt lgkmcnt(0)
	v_mul_f64 v[103:104], v[101:102], v[77:78]
	v_fma_f64 v[103:104], v[99:100], v[97:98], -v[103:104]
	v_mul_f64 v[99:100], v[99:100], v[77:78]
	v_add_f64 v[93:94], v[93:94], -v[103:104]
	v_fma_f64 v[99:100], v[101:102], v[97:98], v[99:100]
	v_add_f64 v[95:96], v[95:96], -v[99:100]
	ds_read2_b64 v[99:102], v125 offset0:50 offset1:51
	buffer_load_dword v73, off, s[20:23], 0 offset:32 ; 4-byte Folded Reload
	buffer_load_dword v74, off, s[20:23], 0 offset:36 ; 4-byte Folded Reload
	;; [unrolled: 1-line block ×4, first 2 shown]
	s_waitcnt lgkmcnt(0)
	v_mul_f64 v[103:104], v[101:102], v[77:78]
	v_fma_f64 v[103:104], v[99:100], v[97:98], -v[103:104]
	v_mul_f64 v[99:100], v[99:100], v[77:78]
	v_fma_f64 v[99:100], v[101:102], v[97:98], v[99:100]
	s_waitcnt vmcnt(2)
	v_add_f64 v[73:74], v[73:74], -v[103:104]
	s_waitcnt vmcnt(0)
	v_add_f64 v[75:76], v[75:76], -v[99:100]
	buffer_store_dword v73, off, s[20:23], 0 offset:32 ; 4-byte Folded Spill
	s_nop 0
	buffer_store_dword v74, off, s[20:23], 0 offset:36 ; 4-byte Folded Spill
	buffer_store_dword v75, off, s[20:23], 0 offset:40 ; 4-byte Folded Spill
	;; [unrolled: 1-line block ×3, first 2 shown]
	ds_read2_b64 v[99:102], v125 offset0:52 offset1:53
	buffer_load_dword v69, off, s[20:23], 0 offset:16 ; 4-byte Folded Reload
	buffer_load_dword v70, off, s[20:23], 0 offset:20 ; 4-byte Folded Reload
	;; [unrolled: 1-line block ×4, first 2 shown]
	v_mov_b32_e32 v75, v97
	v_mov_b32_e32 v76, v98
	s_waitcnt lgkmcnt(0)
	v_mul_f64 v[103:104], v[101:102], v[77:78]
	v_fma_f64 v[103:104], v[99:100], v[97:98], -v[103:104]
	v_mul_f64 v[99:100], v[99:100], v[77:78]
	v_fma_f64 v[99:100], v[101:102], v[97:98], v[99:100]
	s_waitcnt vmcnt(2)
	v_add_f64 v[69:70], v[69:70], -v[103:104]
	s_waitcnt vmcnt(0)
	v_add_f64 v[71:72], v[71:72], -v[99:100]
	buffer_store_dword v69, off, s[20:23], 0 offset:16 ; 4-byte Folded Spill
	s_nop 0
	buffer_store_dword v70, off, s[20:23], 0 offset:20 ; 4-byte Folded Spill
	buffer_store_dword v71, off, s[20:23], 0 offset:24 ; 4-byte Folded Spill
	;; [unrolled: 1-line block ×3, first 2 shown]
	ds_read2_b64 v[99:102], v125 offset0:54 offset1:55
	buffer_load_dword v65, off, s[20:23], 0 ; 4-byte Folded Reload
	buffer_load_dword v66, off, s[20:23], 0 offset:4 ; 4-byte Folded Reload
	buffer_load_dword v67, off, s[20:23], 0 offset:8 ; 4-byte Folded Reload
	;; [unrolled: 1-line block ×3, first 2 shown]
	s_waitcnt lgkmcnt(0)
	v_mul_f64 v[103:104], v[101:102], v[77:78]
	v_fma_f64 v[103:104], v[99:100], v[97:98], -v[103:104]
	v_mul_f64 v[99:100], v[99:100], v[77:78]
	v_fma_f64 v[99:100], v[101:102], v[97:98], v[99:100]
	s_waitcnt vmcnt(2)
	v_add_f64 v[65:66], v[65:66], -v[103:104]
	s_waitcnt vmcnt(0)
	v_add_f64 v[67:68], v[67:68], -v[99:100]
	buffer_store_dword v65, off, s[20:23], 0 ; 4-byte Folded Spill
	s_nop 0
	buffer_store_dword v66, off, s[20:23], 0 offset:4 ; 4-byte Folded Spill
	buffer_store_dword v67, off, s[20:23], 0 offset:8 ; 4-byte Folded Spill
	;; [unrolled: 1-line block ×3, first 2 shown]
	ds_read2_b64 v[99:102], v125 offset0:56 offset1:57
	s_waitcnt lgkmcnt(0)
	v_mul_f64 v[103:104], v[101:102], v[77:78]
	v_fma_f64 v[103:104], v[99:100], v[97:98], -v[103:104]
	v_mul_f64 v[99:100], v[99:100], v[77:78]
	v_add_f64 v[61:62], v[61:62], -v[103:104]
	v_fma_f64 v[99:100], v[101:102], v[97:98], v[99:100]
	v_add_f64 v[63:64], v[63:64], -v[99:100]
	ds_read2_b64 v[99:102], v125 offset0:58 offset1:59
	s_waitcnt lgkmcnt(0)
	v_mul_f64 v[103:104], v[101:102], v[77:78]
	v_fma_f64 v[103:104], v[99:100], v[97:98], -v[103:104]
	v_mul_f64 v[99:100], v[99:100], v[77:78]
	v_add_f64 v[57:58], v[57:58], -v[103:104]
	v_fma_f64 v[99:100], v[101:102], v[97:98], v[99:100]
	v_add_f64 v[59:60], v[59:60], -v[99:100]
	;; [unrolled: 8-line block ×16, first 2 shown]
	ds_read2_b64 v[99:102], v125 offset0:88 offset1:89
	buffer_load_dword v65, off, s[20:23], 0 offset:48 ; 4-byte Folded Reload
	buffer_load_dword v66, off, s[20:23], 0 offset:52 ; 4-byte Folded Reload
	;; [unrolled: 1-line block ×4, first 2 shown]
	s_waitcnt lgkmcnt(0)
	v_mul_f64 v[103:104], v[101:102], v[77:78]
	v_fma_f64 v[103:104], v[99:100], v[97:98], -v[103:104]
	v_mul_f64 v[99:100], v[99:100], v[77:78]
	v_fma_f64 v[99:100], v[101:102], v[97:98], v[99:100]
	s_waitcnt vmcnt(2)
	v_add_f64 v[65:66], v[65:66], -v[103:104]
	s_waitcnt vmcnt(0)
	v_add_f64 v[67:68], v[67:68], -v[99:100]
	buffer_store_dword v65, off, s[20:23], 0 offset:48 ; 4-byte Folded Spill
	s_nop 0
	buffer_store_dword v66, off, s[20:23], 0 offset:52 ; 4-byte Folded Spill
	buffer_store_dword v67, off, s[20:23], 0 offset:56 ; 4-byte Folded Spill
	;; [unrolled: 1-line block ×4, first 2 shown]
	s_nop 0
	buffer_store_dword v76, off, s[20:23], 0 offset:276 ; 4-byte Folded Spill
	buffer_store_dword v77, off, s[20:23], 0 offset:280 ; 4-byte Folded Spill
	;; [unrolled: 1-line block ×3, first 2 shown]
.LBB89_55:
	s_or_b64 exec, exec, s[2:3]
	v_cmp_eq_u32_e32 vcc, 6, v0
	s_waitcnt vmcnt(0)
	s_barrier
	s_and_saveexec_b64 s[4:5], vcc
	s_cbranch_execz .LBB89_62
; %bb.56:
	buffer_load_dword v69, off, s[20:23], 0 offset:256 ; 4-byte Folded Reload
	buffer_load_dword v70, off, s[20:23], 0 offset:260 ; 4-byte Folded Reload
	;; [unrolled: 1-line block ×4, first 2 shown]
	s_waitcnt vmcnt(0)
	ds_write2_b64 v127, v[69:70], v[71:72] offset1:1
	buffer_load_dword v69, off, s[20:23], 0 offset:240 ; 4-byte Folded Reload
	buffer_load_dword v70, off, s[20:23], 0 offset:244 ; 4-byte Folded Reload
	buffer_load_dword v71, off, s[20:23], 0 offset:248 ; 4-byte Folded Reload
	buffer_load_dword v72, off, s[20:23], 0 offset:252 ; 4-byte Folded Reload
	s_waitcnt vmcnt(0)
	ds_write2_b64 v125, v[69:70], v[71:72] offset0:14 offset1:15
	buffer_load_dword v69, off, s[20:23], 0 offset:224 ; 4-byte Folded Reload
	buffer_load_dword v70, off, s[20:23], 0 offset:228 ; 4-byte Folded Reload
	buffer_load_dword v71, off, s[20:23], 0 offset:232 ; 4-byte Folded Reload
	buffer_load_dword v72, off, s[20:23], 0 offset:236 ; 4-byte Folded Reload
	s_waitcnt vmcnt(0)
	ds_write2_b64 v125, v[69:70], v[71:72] offset0:16 offset1:17
	;; [unrolled: 6-line block ×11, first 2 shown]
	ds_write2_b64 v125, v[117:118], v[119:120] offset0:36 offset1:37
	ds_write2_b64 v125, v[79:80], v[81:82] offset0:38 offset1:39
	;; [unrolled: 1-line block ×5, first 2 shown]
	buffer_load_dword v73, off, s[20:23], 0 offset:64 ; 4-byte Folded Reload
	buffer_load_dword v74, off, s[20:23], 0 offset:68 ; 4-byte Folded Reload
	;; [unrolled: 1-line block ×4, first 2 shown]
	s_waitcnt vmcnt(0)
	ds_write2_b64 v125, v[73:74], v[75:76] offset0:46 offset1:47
	ds_write2_b64 v125, v[93:94], v[95:96] offset0:48 offset1:49
	buffer_load_dword v73, off, s[20:23], 0 offset:32 ; 4-byte Folded Reload
	buffer_load_dword v74, off, s[20:23], 0 offset:36 ; 4-byte Folded Reload
	;; [unrolled: 1-line block ×4, first 2 shown]
	s_waitcnt vmcnt(0)
	ds_write2_b64 v125, v[73:74], v[75:76] offset0:50 offset1:51
	buffer_load_dword v69, off, s[20:23], 0 offset:16 ; 4-byte Folded Reload
	buffer_load_dword v70, off, s[20:23], 0 offset:20 ; 4-byte Folded Reload
	;; [unrolled: 1-line block ×4, first 2 shown]
	s_waitcnt vmcnt(0)
	ds_write2_b64 v125, v[69:70], v[71:72] offset0:52 offset1:53
	buffer_load_dword v65, off, s[20:23], 0 ; 4-byte Folded Reload
	buffer_load_dword v66, off, s[20:23], 0 offset:4 ; 4-byte Folded Reload
	buffer_load_dword v67, off, s[20:23], 0 offset:8 ; 4-byte Folded Reload
	;; [unrolled: 1-line block ×3, first 2 shown]
	s_waitcnt vmcnt(0)
	ds_write2_b64 v125, v[65:66], v[67:68] offset0:54 offset1:55
	ds_write2_b64 v125, v[61:62], v[63:64] offset0:56 offset1:57
	;; [unrolled: 1-line block ×17, first 2 shown]
	buffer_load_dword v65, off, s[20:23], 0 offset:48 ; 4-byte Folded Reload
	buffer_load_dword v66, off, s[20:23], 0 offset:52 ; 4-byte Folded Reload
	;; [unrolled: 1-line block ×4, first 2 shown]
	s_waitcnt vmcnt(0)
	ds_write2_b64 v125, v[65:66], v[67:68] offset0:88 offset1:89
	ds_read2_b64 v[97:100], v127 offset1:1
	s_waitcnt lgkmcnt(0)
	v_cmp_neq_f64_e32 vcc, 0, v[97:98]
	v_cmp_neq_f64_e64 s[2:3], 0, v[99:100]
	s_or_b64 s[2:3], vcc, s[2:3]
	s_and_b64 exec, exec, s[2:3]
	s_cbranch_execz .LBB89_62
; %bb.57:
	v_cmp_ngt_f64_e64 s[2:3], |v[97:98]|, |v[99:100]|
                                        ; implicit-def: $vgpr101_vgpr102
	s_and_saveexec_b64 s[6:7], s[2:3]
	s_xor_b64 s[2:3], exec, s[6:7]
                                        ; implicit-def: $vgpr103_vgpr104
	s_cbranch_execz .LBB89_59
; %bb.58:
	v_div_scale_f64 v[101:102], s[6:7], v[99:100], v[99:100], v[97:98]
	v_rcp_f64_e32 v[103:104], v[101:102]
	v_fma_f64 v[105:106], -v[101:102], v[103:104], 1.0
	v_fma_f64 v[103:104], v[103:104], v[105:106], v[103:104]
	v_div_scale_f64 v[105:106], vcc, v[97:98], v[99:100], v[97:98]
	v_fma_f64 v[107:108], -v[101:102], v[103:104], 1.0
	v_fma_f64 v[103:104], v[103:104], v[107:108], v[103:104]
	v_mul_f64 v[107:108], v[105:106], v[103:104]
	v_fma_f64 v[101:102], -v[101:102], v[107:108], v[105:106]
	v_div_fmas_f64 v[101:102], v[101:102], v[103:104], v[107:108]
	v_div_fixup_f64 v[101:102], v[101:102], v[99:100], v[97:98]
	v_fma_f64 v[97:98], v[97:98], v[101:102], v[99:100]
	v_div_scale_f64 v[99:100], s[6:7], v[97:98], v[97:98], 1.0
	v_div_scale_f64 v[107:108], vcc, 1.0, v[97:98], 1.0
	v_rcp_f64_e32 v[103:104], v[99:100]
	v_fma_f64 v[105:106], -v[99:100], v[103:104], 1.0
	v_fma_f64 v[103:104], v[103:104], v[105:106], v[103:104]
	v_fma_f64 v[105:106], -v[99:100], v[103:104], 1.0
	v_fma_f64 v[103:104], v[103:104], v[105:106], v[103:104]
	v_mul_f64 v[105:106], v[107:108], v[103:104]
	v_fma_f64 v[99:100], -v[99:100], v[105:106], v[107:108]
	v_div_fmas_f64 v[99:100], v[99:100], v[103:104], v[105:106]
	v_div_fixup_f64 v[103:104], v[99:100], v[97:98], 1.0
                                        ; implicit-def: $vgpr97_vgpr98
	v_mul_f64 v[101:102], v[101:102], v[103:104]
	v_xor_b32_e32 v104, 0x80000000, v104
.LBB89_59:
	s_andn2_saveexec_b64 s[2:3], s[2:3]
	s_cbranch_execz .LBB89_61
; %bb.60:
	v_div_scale_f64 v[101:102], s[6:7], v[97:98], v[97:98], v[99:100]
	v_rcp_f64_e32 v[103:104], v[101:102]
	v_fma_f64 v[105:106], -v[101:102], v[103:104], 1.0
	v_fma_f64 v[103:104], v[103:104], v[105:106], v[103:104]
	v_div_scale_f64 v[105:106], vcc, v[99:100], v[97:98], v[99:100]
	v_fma_f64 v[107:108], -v[101:102], v[103:104], 1.0
	v_fma_f64 v[103:104], v[103:104], v[107:108], v[103:104]
	v_mul_f64 v[107:108], v[105:106], v[103:104]
	v_fma_f64 v[101:102], -v[101:102], v[107:108], v[105:106]
	v_div_fmas_f64 v[101:102], v[101:102], v[103:104], v[107:108]
	v_div_fixup_f64 v[103:104], v[101:102], v[97:98], v[99:100]
	v_fma_f64 v[97:98], v[99:100], v[103:104], v[97:98]
	v_div_scale_f64 v[99:100], s[6:7], v[97:98], v[97:98], 1.0
	v_div_scale_f64 v[107:108], vcc, 1.0, v[97:98], 1.0
	v_rcp_f64_e32 v[101:102], v[99:100]
	v_fma_f64 v[105:106], -v[99:100], v[101:102], 1.0
	v_fma_f64 v[101:102], v[101:102], v[105:106], v[101:102]
	v_fma_f64 v[105:106], -v[99:100], v[101:102], 1.0
	v_fma_f64 v[101:102], v[101:102], v[105:106], v[101:102]
	v_mul_f64 v[105:106], v[107:108], v[101:102]
	v_fma_f64 v[99:100], -v[99:100], v[105:106], v[107:108]
	v_div_fmas_f64 v[99:100], v[99:100], v[101:102], v[105:106]
	v_div_fixup_f64 v[101:102], v[99:100], v[97:98], 1.0
	v_mul_f64 v[103:104], v[103:104], -v[101:102]
.LBB89_61:
	s_or_b64 exec, exec, s[2:3]
	ds_write2_b64 v127, v[101:102], v[103:104] offset1:1
.LBB89_62:
	s_or_b64 exec, exec, s[4:5]
	s_waitcnt lgkmcnt(0)
	s_barrier
	ds_read2_b64 v[65:68], v127 offset1:1
	v_cmp_lt_u32_e32 vcc, 6, v0
	s_waitcnt lgkmcnt(0)
	buffer_store_dword v65, off, s[20:23], 0 offset:816 ; 4-byte Folded Spill
	s_nop 0
	buffer_store_dword v66, off, s[20:23], 0 offset:820 ; 4-byte Folded Spill
	buffer_store_dword v67, off, s[20:23], 0 offset:824 ; 4-byte Folded Spill
	;; [unrolled: 1-line block ×3, first 2 shown]
	s_and_saveexec_b64 s[2:3], vcc
	s_cbranch_execz .LBB89_64
; %bb.63:
	buffer_load_dword v75, off, s[20:23], 0 offset:256 ; 4-byte Folded Reload
	buffer_load_dword v76, off, s[20:23], 0 offset:260 ; 4-byte Folded Reload
	;; [unrolled: 1-line block ×8, first 2 shown]
	s_waitcnt vmcnt(2)
	v_mul_f64 v[99:100], v[65:66], v[77:78]
	s_waitcnt vmcnt(0)
	v_mul_f64 v[97:98], v[67:68], v[77:78]
	v_fma_f64 v[77:78], v[67:68], v[75:76], v[99:100]
	ds_read2_b64 v[99:102], v125 offset0:14 offset1:15
	buffer_load_dword v69, off, s[20:23], 0 offset:240 ; 4-byte Folded Reload
	buffer_load_dword v70, off, s[20:23], 0 offset:244 ; 4-byte Folded Reload
	;; [unrolled: 1-line block ×4, first 2 shown]
	v_fma_f64 v[97:98], v[65:66], v[75:76], -v[97:98]
	s_waitcnt lgkmcnt(0)
	v_mul_f64 v[103:104], v[101:102], v[77:78]
	v_fma_f64 v[103:104], v[99:100], v[97:98], -v[103:104]
	v_mul_f64 v[99:100], v[99:100], v[77:78]
	v_fma_f64 v[99:100], v[101:102], v[97:98], v[99:100]
	s_waitcnt vmcnt(2)
	v_add_f64 v[69:70], v[69:70], -v[103:104]
	s_waitcnt vmcnt(0)
	v_add_f64 v[71:72], v[71:72], -v[99:100]
	buffer_store_dword v69, off, s[20:23], 0 offset:240 ; 4-byte Folded Spill
	s_nop 0
	buffer_store_dword v70, off, s[20:23], 0 offset:244 ; 4-byte Folded Spill
	buffer_store_dword v71, off, s[20:23], 0 offset:248 ; 4-byte Folded Spill
	buffer_store_dword v72, off, s[20:23], 0 offset:252 ; 4-byte Folded Spill
	ds_read2_b64 v[99:102], v125 offset0:16 offset1:17
	buffer_load_dword v69, off, s[20:23], 0 offset:224 ; 4-byte Folded Reload
	buffer_load_dword v70, off, s[20:23], 0 offset:228 ; 4-byte Folded Reload
	buffer_load_dword v71, off, s[20:23], 0 offset:232 ; 4-byte Folded Reload
	buffer_load_dword v72, off, s[20:23], 0 offset:236 ; 4-byte Folded Reload
	s_waitcnt lgkmcnt(0)
	v_mul_f64 v[103:104], v[101:102], v[77:78]
	v_fma_f64 v[103:104], v[99:100], v[97:98], -v[103:104]
	v_mul_f64 v[99:100], v[99:100], v[77:78]
	v_fma_f64 v[99:100], v[101:102], v[97:98], v[99:100]
	s_waitcnt vmcnt(2)
	v_add_f64 v[69:70], v[69:70], -v[103:104]
	s_waitcnt vmcnt(0)
	v_add_f64 v[71:72], v[71:72], -v[99:100]
	buffer_store_dword v69, off, s[20:23], 0 offset:224 ; 4-byte Folded Spill
	s_nop 0
	buffer_store_dword v70, off, s[20:23], 0 offset:228 ; 4-byte Folded Spill
	buffer_store_dword v71, off, s[20:23], 0 offset:232 ; 4-byte Folded Spill
	buffer_store_dword v72, off, s[20:23], 0 offset:236 ; 4-byte Folded Spill
	ds_read2_b64 v[99:102], v125 offset0:18 offset1:19
	buffer_load_dword v69, off, s[20:23], 0 offset:208 ; 4-byte Folded Reload
	buffer_load_dword v70, off, s[20:23], 0 offset:212 ; 4-byte Folded Reload
	buffer_load_dword v71, off, s[20:23], 0 offset:216 ; 4-byte Folded Reload
	buffer_load_dword v72, off, s[20:23], 0 offset:220 ; 4-byte Folded Reload
	;; [unrolled: 19-line block ×10, first 2 shown]
	s_waitcnt lgkmcnt(0)
	v_mul_f64 v[103:104], v[101:102], v[77:78]
	v_fma_f64 v[103:104], v[99:100], v[97:98], -v[103:104]
	v_mul_f64 v[99:100], v[99:100], v[77:78]
	v_fma_f64 v[99:100], v[101:102], v[97:98], v[99:100]
	s_waitcnt vmcnt(2)
	v_add_f64 v[69:70], v[69:70], -v[103:104]
	s_waitcnt vmcnt(0)
	v_add_f64 v[71:72], v[71:72], -v[99:100]
	buffer_store_dword v69, off, s[20:23], 0 offset:80 ; 4-byte Folded Spill
	s_nop 0
	buffer_store_dword v70, off, s[20:23], 0 offset:84 ; 4-byte Folded Spill
	buffer_store_dword v71, off, s[20:23], 0 offset:88 ; 4-byte Folded Spill
	buffer_store_dword v72, off, s[20:23], 0 offset:92 ; 4-byte Folded Spill
	ds_read2_b64 v[99:102], v125 offset0:36 offset1:37
	s_waitcnt lgkmcnt(0)
	v_mul_f64 v[103:104], v[101:102], v[77:78]
	v_fma_f64 v[103:104], v[99:100], v[97:98], -v[103:104]
	v_mul_f64 v[99:100], v[99:100], v[77:78]
	v_add_f64 v[117:118], v[117:118], -v[103:104]
	v_fma_f64 v[99:100], v[101:102], v[97:98], v[99:100]
	v_add_f64 v[119:120], v[119:120], -v[99:100]
	ds_read2_b64 v[99:102], v125 offset0:38 offset1:39
	s_waitcnt lgkmcnt(0)
	v_mul_f64 v[103:104], v[101:102], v[77:78]
	v_fma_f64 v[103:104], v[99:100], v[97:98], -v[103:104]
	v_mul_f64 v[99:100], v[99:100], v[77:78]
	v_add_f64 v[79:80], v[79:80], -v[103:104]
	v_fma_f64 v[99:100], v[101:102], v[97:98], v[99:100]
	v_add_f64 v[81:82], v[81:82], -v[99:100]
	;; [unrolled: 8-line block ×5, first 2 shown]
	ds_read2_b64 v[99:102], v125 offset0:46 offset1:47
	buffer_load_dword v73, off, s[20:23], 0 offset:64 ; 4-byte Folded Reload
	buffer_load_dword v74, off, s[20:23], 0 offset:68 ; 4-byte Folded Reload
	;; [unrolled: 1-line block ×4, first 2 shown]
	s_waitcnt lgkmcnt(0)
	v_mul_f64 v[103:104], v[101:102], v[77:78]
	v_fma_f64 v[103:104], v[99:100], v[97:98], -v[103:104]
	v_mul_f64 v[99:100], v[99:100], v[77:78]
	v_fma_f64 v[99:100], v[101:102], v[97:98], v[99:100]
	s_waitcnt vmcnt(2)
	v_add_f64 v[73:74], v[73:74], -v[103:104]
	s_waitcnt vmcnt(0)
	v_add_f64 v[75:76], v[75:76], -v[99:100]
	buffer_store_dword v73, off, s[20:23], 0 offset:64 ; 4-byte Folded Spill
	s_nop 0
	buffer_store_dword v74, off, s[20:23], 0 offset:68 ; 4-byte Folded Spill
	buffer_store_dword v75, off, s[20:23], 0 offset:72 ; 4-byte Folded Spill
	;; [unrolled: 1-line block ×3, first 2 shown]
	ds_read2_b64 v[99:102], v125 offset0:48 offset1:49
	s_waitcnt lgkmcnt(0)
	v_mul_f64 v[103:104], v[101:102], v[77:78]
	v_fma_f64 v[103:104], v[99:100], v[97:98], -v[103:104]
	v_mul_f64 v[99:100], v[99:100], v[77:78]
	v_add_f64 v[93:94], v[93:94], -v[103:104]
	v_fma_f64 v[99:100], v[101:102], v[97:98], v[99:100]
	v_add_f64 v[95:96], v[95:96], -v[99:100]
	ds_read2_b64 v[99:102], v125 offset0:50 offset1:51
	buffer_load_dword v73, off, s[20:23], 0 offset:32 ; 4-byte Folded Reload
	buffer_load_dword v74, off, s[20:23], 0 offset:36 ; 4-byte Folded Reload
	;; [unrolled: 1-line block ×4, first 2 shown]
	s_waitcnt lgkmcnt(0)
	v_mul_f64 v[103:104], v[101:102], v[77:78]
	v_fma_f64 v[103:104], v[99:100], v[97:98], -v[103:104]
	v_mul_f64 v[99:100], v[99:100], v[77:78]
	v_fma_f64 v[99:100], v[101:102], v[97:98], v[99:100]
	s_waitcnt vmcnt(2)
	v_add_f64 v[73:74], v[73:74], -v[103:104]
	s_waitcnt vmcnt(0)
	v_add_f64 v[75:76], v[75:76], -v[99:100]
	buffer_store_dword v73, off, s[20:23], 0 offset:32 ; 4-byte Folded Spill
	s_nop 0
	buffer_store_dword v74, off, s[20:23], 0 offset:36 ; 4-byte Folded Spill
	buffer_store_dword v75, off, s[20:23], 0 offset:40 ; 4-byte Folded Spill
	;; [unrolled: 1-line block ×3, first 2 shown]
	ds_read2_b64 v[99:102], v125 offset0:52 offset1:53
	buffer_load_dword v69, off, s[20:23], 0 offset:16 ; 4-byte Folded Reload
	buffer_load_dword v70, off, s[20:23], 0 offset:20 ; 4-byte Folded Reload
	;; [unrolled: 1-line block ×4, first 2 shown]
	v_mov_b32_e32 v75, v97
	v_mov_b32_e32 v76, v98
	s_waitcnt lgkmcnt(0)
	v_mul_f64 v[103:104], v[101:102], v[77:78]
	v_fma_f64 v[103:104], v[99:100], v[97:98], -v[103:104]
	v_mul_f64 v[99:100], v[99:100], v[77:78]
	v_fma_f64 v[99:100], v[101:102], v[97:98], v[99:100]
	s_waitcnt vmcnt(2)
	v_add_f64 v[69:70], v[69:70], -v[103:104]
	s_waitcnt vmcnt(0)
	v_add_f64 v[71:72], v[71:72], -v[99:100]
	buffer_store_dword v69, off, s[20:23], 0 offset:16 ; 4-byte Folded Spill
	s_nop 0
	buffer_store_dword v70, off, s[20:23], 0 offset:20 ; 4-byte Folded Spill
	buffer_store_dword v71, off, s[20:23], 0 offset:24 ; 4-byte Folded Spill
	;; [unrolled: 1-line block ×3, first 2 shown]
	ds_read2_b64 v[99:102], v125 offset0:54 offset1:55
	buffer_load_dword v65, off, s[20:23], 0 ; 4-byte Folded Reload
	buffer_load_dword v66, off, s[20:23], 0 offset:4 ; 4-byte Folded Reload
	buffer_load_dword v67, off, s[20:23], 0 offset:8 ; 4-byte Folded Reload
	;; [unrolled: 1-line block ×3, first 2 shown]
	s_waitcnt lgkmcnt(0)
	v_mul_f64 v[103:104], v[101:102], v[77:78]
	v_fma_f64 v[103:104], v[99:100], v[97:98], -v[103:104]
	v_mul_f64 v[99:100], v[99:100], v[77:78]
	v_fma_f64 v[99:100], v[101:102], v[97:98], v[99:100]
	s_waitcnt vmcnt(2)
	v_add_f64 v[65:66], v[65:66], -v[103:104]
	s_waitcnt vmcnt(0)
	v_add_f64 v[67:68], v[67:68], -v[99:100]
	buffer_store_dword v65, off, s[20:23], 0 ; 4-byte Folded Spill
	s_nop 0
	buffer_store_dword v66, off, s[20:23], 0 offset:4 ; 4-byte Folded Spill
	buffer_store_dword v67, off, s[20:23], 0 offset:8 ; 4-byte Folded Spill
	;; [unrolled: 1-line block ×3, first 2 shown]
	ds_read2_b64 v[99:102], v125 offset0:56 offset1:57
	s_waitcnt lgkmcnt(0)
	v_mul_f64 v[103:104], v[101:102], v[77:78]
	v_fma_f64 v[103:104], v[99:100], v[97:98], -v[103:104]
	v_mul_f64 v[99:100], v[99:100], v[77:78]
	v_add_f64 v[61:62], v[61:62], -v[103:104]
	v_fma_f64 v[99:100], v[101:102], v[97:98], v[99:100]
	v_add_f64 v[63:64], v[63:64], -v[99:100]
	ds_read2_b64 v[99:102], v125 offset0:58 offset1:59
	s_waitcnt lgkmcnt(0)
	v_mul_f64 v[103:104], v[101:102], v[77:78]
	v_fma_f64 v[103:104], v[99:100], v[97:98], -v[103:104]
	v_mul_f64 v[99:100], v[99:100], v[77:78]
	v_add_f64 v[57:58], v[57:58], -v[103:104]
	v_fma_f64 v[99:100], v[101:102], v[97:98], v[99:100]
	v_add_f64 v[59:60], v[59:60], -v[99:100]
	ds_read2_b64 v[99:102], v125 offset0:60 offset1:61
	s_waitcnt lgkmcnt(0)
	v_mul_f64 v[103:104], v[101:102], v[77:78]
	v_fma_f64 v[103:104], v[99:100], v[97:98], -v[103:104]
	v_mul_f64 v[99:100], v[99:100], v[77:78]
	v_add_f64 v[53:54], v[53:54], -v[103:104]
	v_fma_f64 v[99:100], v[101:102], v[97:98], v[99:100]
	v_add_f64 v[55:56], v[55:56], -v[99:100]
	ds_read2_b64 v[99:102], v125 offset0:62 offset1:63
	s_waitcnt lgkmcnt(0)
	v_mul_f64 v[103:104], v[101:102], v[77:78]
	v_fma_f64 v[103:104], v[99:100], v[97:98], -v[103:104]
	v_mul_f64 v[99:100], v[99:100], v[77:78]
	v_add_f64 v[49:50], v[49:50], -v[103:104]
	v_fma_f64 v[99:100], v[101:102], v[97:98], v[99:100]
	v_add_f64 v[51:52], v[51:52], -v[99:100]
	ds_read2_b64 v[99:102], v125 offset0:64 offset1:65
	s_waitcnt lgkmcnt(0)
	v_mul_f64 v[103:104], v[101:102], v[77:78]
	v_fma_f64 v[103:104], v[99:100], v[97:98], -v[103:104]
	v_mul_f64 v[99:100], v[99:100], v[77:78]
	v_add_f64 v[45:46], v[45:46], -v[103:104]
	v_fma_f64 v[99:100], v[101:102], v[97:98], v[99:100]
	v_add_f64 v[47:48], v[47:48], -v[99:100]
	ds_read2_b64 v[99:102], v125 offset0:66 offset1:67
	s_waitcnt lgkmcnt(0)
	v_mul_f64 v[103:104], v[101:102], v[77:78]
	v_fma_f64 v[103:104], v[99:100], v[97:98], -v[103:104]
	v_mul_f64 v[99:100], v[99:100], v[77:78]
	v_add_f64 v[41:42], v[41:42], -v[103:104]
	v_fma_f64 v[99:100], v[101:102], v[97:98], v[99:100]
	v_add_f64 v[43:44], v[43:44], -v[99:100]
	ds_read2_b64 v[99:102], v125 offset0:68 offset1:69
	s_waitcnt lgkmcnt(0)
	v_mul_f64 v[103:104], v[101:102], v[77:78]
	v_fma_f64 v[103:104], v[99:100], v[97:98], -v[103:104]
	v_mul_f64 v[99:100], v[99:100], v[77:78]
	v_add_f64 v[37:38], v[37:38], -v[103:104]
	v_fma_f64 v[99:100], v[101:102], v[97:98], v[99:100]
	v_add_f64 v[39:40], v[39:40], -v[99:100]
	ds_read2_b64 v[99:102], v125 offset0:70 offset1:71
	s_waitcnt lgkmcnt(0)
	v_mul_f64 v[103:104], v[101:102], v[77:78]
	v_fma_f64 v[103:104], v[99:100], v[97:98], -v[103:104]
	v_mul_f64 v[99:100], v[99:100], v[77:78]
	v_add_f64 v[33:34], v[33:34], -v[103:104]
	v_fma_f64 v[99:100], v[101:102], v[97:98], v[99:100]
	v_add_f64 v[35:36], v[35:36], -v[99:100]
	ds_read2_b64 v[99:102], v125 offset0:72 offset1:73
	s_waitcnt lgkmcnt(0)
	v_mul_f64 v[103:104], v[101:102], v[77:78]
	v_fma_f64 v[103:104], v[99:100], v[97:98], -v[103:104]
	v_mul_f64 v[99:100], v[99:100], v[77:78]
	v_add_f64 v[29:30], v[29:30], -v[103:104]
	v_fma_f64 v[99:100], v[101:102], v[97:98], v[99:100]
	v_add_f64 v[31:32], v[31:32], -v[99:100]
	ds_read2_b64 v[99:102], v125 offset0:74 offset1:75
	s_waitcnt lgkmcnt(0)
	v_mul_f64 v[103:104], v[101:102], v[77:78]
	v_fma_f64 v[103:104], v[99:100], v[97:98], -v[103:104]
	v_mul_f64 v[99:100], v[99:100], v[77:78]
	v_add_f64 v[25:26], v[25:26], -v[103:104]
	v_fma_f64 v[99:100], v[101:102], v[97:98], v[99:100]
	v_add_f64 v[27:28], v[27:28], -v[99:100]
	ds_read2_b64 v[99:102], v125 offset0:76 offset1:77
	s_waitcnt lgkmcnt(0)
	v_mul_f64 v[103:104], v[101:102], v[77:78]
	v_fma_f64 v[103:104], v[99:100], v[97:98], -v[103:104]
	v_mul_f64 v[99:100], v[99:100], v[77:78]
	v_add_f64 v[21:22], v[21:22], -v[103:104]
	v_fma_f64 v[99:100], v[101:102], v[97:98], v[99:100]
	v_add_f64 v[23:24], v[23:24], -v[99:100]
	ds_read2_b64 v[99:102], v125 offset0:78 offset1:79
	s_waitcnt lgkmcnt(0)
	v_mul_f64 v[103:104], v[101:102], v[77:78]
	v_fma_f64 v[103:104], v[99:100], v[97:98], -v[103:104]
	v_mul_f64 v[99:100], v[99:100], v[77:78]
	v_add_f64 v[17:18], v[17:18], -v[103:104]
	v_fma_f64 v[99:100], v[101:102], v[97:98], v[99:100]
	v_add_f64 v[19:20], v[19:20], -v[99:100]
	ds_read2_b64 v[99:102], v125 offset0:80 offset1:81
	s_waitcnt lgkmcnt(0)
	v_mul_f64 v[103:104], v[101:102], v[77:78]
	v_fma_f64 v[103:104], v[99:100], v[97:98], -v[103:104]
	v_mul_f64 v[99:100], v[99:100], v[77:78]
	v_add_f64 v[13:14], v[13:14], -v[103:104]
	v_fma_f64 v[99:100], v[101:102], v[97:98], v[99:100]
	v_add_f64 v[15:16], v[15:16], -v[99:100]
	ds_read2_b64 v[99:102], v125 offset0:82 offset1:83
	s_waitcnt lgkmcnt(0)
	v_mul_f64 v[103:104], v[101:102], v[77:78]
	v_fma_f64 v[103:104], v[99:100], v[97:98], -v[103:104]
	v_mul_f64 v[99:100], v[99:100], v[77:78]
	v_add_f64 v[9:10], v[9:10], -v[103:104]
	v_fma_f64 v[99:100], v[101:102], v[97:98], v[99:100]
	v_add_f64 v[11:12], v[11:12], -v[99:100]
	ds_read2_b64 v[99:102], v125 offset0:84 offset1:85
	s_waitcnt lgkmcnt(0)
	v_mul_f64 v[103:104], v[101:102], v[77:78]
	v_fma_f64 v[103:104], v[99:100], v[97:98], -v[103:104]
	v_mul_f64 v[99:100], v[99:100], v[77:78]
	v_add_f64 v[5:6], v[5:6], -v[103:104]
	v_fma_f64 v[99:100], v[101:102], v[97:98], v[99:100]
	v_add_f64 v[7:8], v[7:8], -v[99:100]
	ds_read2_b64 v[99:102], v125 offset0:86 offset1:87
	s_waitcnt lgkmcnt(0)
	v_mul_f64 v[103:104], v[101:102], v[77:78]
	v_fma_f64 v[103:104], v[99:100], v[97:98], -v[103:104]
	v_mul_f64 v[99:100], v[99:100], v[77:78]
	v_add_f64 v[1:2], v[1:2], -v[103:104]
	v_fma_f64 v[99:100], v[101:102], v[97:98], v[99:100]
	v_add_f64 v[3:4], v[3:4], -v[99:100]
	ds_read2_b64 v[99:102], v125 offset0:88 offset1:89
	buffer_load_dword v65, off, s[20:23], 0 offset:48 ; 4-byte Folded Reload
	buffer_load_dword v66, off, s[20:23], 0 offset:52 ; 4-byte Folded Reload
	;; [unrolled: 1-line block ×4, first 2 shown]
	s_waitcnt lgkmcnt(0)
	v_mul_f64 v[103:104], v[101:102], v[77:78]
	v_fma_f64 v[103:104], v[99:100], v[97:98], -v[103:104]
	v_mul_f64 v[99:100], v[99:100], v[77:78]
	v_fma_f64 v[99:100], v[101:102], v[97:98], v[99:100]
	s_waitcnt vmcnt(2)
	v_add_f64 v[65:66], v[65:66], -v[103:104]
	s_waitcnt vmcnt(0)
	v_add_f64 v[67:68], v[67:68], -v[99:100]
	buffer_store_dword v65, off, s[20:23], 0 offset:48 ; 4-byte Folded Spill
	s_nop 0
	buffer_store_dword v66, off, s[20:23], 0 offset:52 ; 4-byte Folded Spill
	buffer_store_dword v67, off, s[20:23], 0 offset:56 ; 4-byte Folded Spill
	;; [unrolled: 1-line block ×4, first 2 shown]
	s_nop 0
	buffer_store_dword v76, off, s[20:23], 0 offset:260 ; 4-byte Folded Spill
	buffer_store_dword v77, off, s[20:23], 0 offset:264 ; 4-byte Folded Spill
	;; [unrolled: 1-line block ×3, first 2 shown]
.LBB89_64:
	s_or_b64 exec, exec, s[2:3]
	v_cmp_eq_u32_e32 vcc, 7, v0
	s_waitcnt vmcnt(0)
	s_barrier
	s_and_saveexec_b64 s[4:5], vcc
	s_cbranch_execz .LBB89_71
; %bb.65:
	buffer_load_dword v69, off, s[20:23], 0 offset:240 ; 4-byte Folded Reload
	buffer_load_dword v70, off, s[20:23], 0 offset:244 ; 4-byte Folded Reload
	;; [unrolled: 1-line block ×4, first 2 shown]
	s_waitcnt vmcnt(0)
	ds_write2_b64 v127, v[69:70], v[71:72] offset1:1
	buffer_load_dword v69, off, s[20:23], 0 offset:224 ; 4-byte Folded Reload
	buffer_load_dword v70, off, s[20:23], 0 offset:228 ; 4-byte Folded Reload
	buffer_load_dword v71, off, s[20:23], 0 offset:232 ; 4-byte Folded Reload
	buffer_load_dword v72, off, s[20:23], 0 offset:236 ; 4-byte Folded Reload
	s_waitcnt vmcnt(0)
	ds_write2_b64 v125, v[69:70], v[71:72] offset0:16 offset1:17
	buffer_load_dword v69, off, s[20:23], 0 offset:208 ; 4-byte Folded Reload
	buffer_load_dword v70, off, s[20:23], 0 offset:212 ; 4-byte Folded Reload
	buffer_load_dword v71, off, s[20:23], 0 offset:216 ; 4-byte Folded Reload
	buffer_load_dword v72, off, s[20:23], 0 offset:220 ; 4-byte Folded Reload
	s_waitcnt vmcnt(0)
	ds_write2_b64 v125, v[69:70], v[71:72] offset0:18 offset1:19
	;; [unrolled: 6-line block ×10, first 2 shown]
	ds_write2_b64 v125, v[117:118], v[119:120] offset0:36 offset1:37
	ds_write2_b64 v125, v[79:80], v[81:82] offset0:38 offset1:39
	;; [unrolled: 1-line block ×5, first 2 shown]
	buffer_load_dword v73, off, s[20:23], 0 offset:64 ; 4-byte Folded Reload
	buffer_load_dword v74, off, s[20:23], 0 offset:68 ; 4-byte Folded Reload
	;; [unrolled: 1-line block ×4, first 2 shown]
	s_waitcnt vmcnt(0)
	ds_write2_b64 v125, v[73:74], v[75:76] offset0:46 offset1:47
	ds_write2_b64 v125, v[93:94], v[95:96] offset0:48 offset1:49
	buffer_load_dword v73, off, s[20:23], 0 offset:32 ; 4-byte Folded Reload
	buffer_load_dword v74, off, s[20:23], 0 offset:36 ; 4-byte Folded Reload
	;; [unrolled: 1-line block ×4, first 2 shown]
	s_waitcnt vmcnt(0)
	ds_write2_b64 v125, v[73:74], v[75:76] offset0:50 offset1:51
	buffer_load_dword v69, off, s[20:23], 0 offset:16 ; 4-byte Folded Reload
	buffer_load_dword v70, off, s[20:23], 0 offset:20 ; 4-byte Folded Reload
	;; [unrolled: 1-line block ×4, first 2 shown]
	s_waitcnt vmcnt(0)
	ds_write2_b64 v125, v[69:70], v[71:72] offset0:52 offset1:53
	buffer_load_dword v65, off, s[20:23], 0 ; 4-byte Folded Reload
	buffer_load_dword v66, off, s[20:23], 0 offset:4 ; 4-byte Folded Reload
	buffer_load_dword v67, off, s[20:23], 0 offset:8 ; 4-byte Folded Reload
	;; [unrolled: 1-line block ×3, first 2 shown]
	s_waitcnt vmcnt(0)
	ds_write2_b64 v125, v[65:66], v[67:68] offset0:54 offset1:55
	ds_write2_b64 v125, v[61:62], v[63:64] offset0:56 offset1:57
	;; [unrolled: 1-line block ×17, first 2 shown]
	buffer_load_dword v65, off, s[20:23], 0 offset:48 ; 4-byte Folded Reload
	buffer_load_dword v66, off, s[20:23], 0 offset:52 ; 4-byte Folded Reload
	;; [unrolled: 1-line block ×4, first 2 shown]
	s_waitcnt vmcnt(0)
	ds_write2_b64 v125, v[65:66], v[67:68] offset0:88 offset1:89
	ds_read2_b64 v[97:100], v127 offset1:1
	s_waitcnt lgkmcnt(0)
	v_cmp_neq_f64_e32 vcc, 0, v[97:98]
	v_cmp_neq_f64_e64 s[2:3], 0, v[99:100]
	s_or_b64 s[2:3], vcc, s[2:3]
	s_and_b64 exec, exec, s[2:3]
	s_cbranch_execz .LBB89_71
; %bb.66:
	v_cmp_ngt_f64_e64 s[2:3], |v[97:98]|, |v[99:100]|
                                        ; implicit-def: $vgpr101_vgpr102
	s_and_saveexec_b64 s[6:7], s[2:3]
	s_xor_b64 s[2:3], exec, s[6:7]
                                        ; implicit-def: $vgpr103_vgpr104
	s_cbranch_execz .LBB89_68
; %bb.67:
	v_div_scale_f64 v[101:102], s[6:7], v[99:100], v[99:100], v[97:98]
	v_rcp_f64_e32 v[103:104], v[101:102]
	v_fma_f64 v[105:106], -v[101:102], v[103:104], 1.0
	v_fma_f64 v[103:104], v[103:104], v[105:106], v[103:104]
	v_div_scale_f64 v[105:106], vcc, v[97:98], v[99:100], v[97:98]
	v_fma_f64 v[107:108], -v[101:102], v[103:104], 1.0
	v_fma_f64 v[103:104], v[103:104], v[107:108], v[103:104]
	v_mul_f64 v[107:108], v[105:106], v[103:104]
	v_fma_f64 v[101:102], -v[101:102], v[107:108], v[105:106]
	v_div_fmas_f64 v[101:102], v[101:102], v[103:104], v[107:108]
	v_div_fixup_f64 v[101:102], v[101:102], v[99:100], v[97:98]
	v_fma_f64 v[97:98], v[97:98], v[101:102], v[99:100]
	v_div_scale_f64 v[99:100], s[6:7], v[97:98], v[97:98], 1.0
	v_div_scale_f64 v[107:108], vcc, 1.0, v[97:98], 1.0
	v_rcp_f64_e32 v[103:104], v[99:100]
	v_fma_f64 v[105:106], -v[99:100], v[103:104], 1.0
	v_fma_f64 v[103:104], v[103:104], v[105:106], v[103:104]
	v_fma_f64 v[105:106], -v[99:100], v[103:104], 1.0
	v_fma_f64 v[103:104], v[103:104], v[105:106], v[103:104]
	v_mul_f64 v[105:106], v[107:108], v[103:104]
	v_fma_f64 v[99:100], -v[99:100], v[105:106], v[107:108]
	v_div_fmas_f64 v[99:100], v[99:100], v[103:104], v[105:106]
	v_div_fixup_f64 v[103:104], v[99:100], v[97:98], 1.0
                                        ; implicit-def: $vgpr97_vgpr98
	v_mul_f64 v[101:102], v[101:102], v[103:104]
	v_xor_b32_e32 v104, 0x80000000, v104
.LBB89_68:
	s_andn2_saveexec_b64 s[2:3], s[2:3]
	s_cbranch_execz .LBB89_70
; %bb.69:
	v_div_scale_f64 v[101:102], s[6:7], v[97:98], v[97:98], v[99:100]
	v_rcp_f64_e32 v[103:104], v[101:102]
	v_fma_f64 v[105:106], -v[101:102], v[103:104], 1.0
	v_fma_f64 v[103:104], v[103:104], v[105:106], v[103:104]
	v_div_scale_f64 v[105:106], vcc, v[99:100], v[97:98], v[99:100]
	v_fma_f64 v[107:108], -v[101:102], v[103:104], 1.0
	v_fma_f64 v[103:104], v[103:104], v[107:108], v[103:104]
	v_mul_f64 v[107:108], v[105:106], v[103:104]
	v_fma_f64 v[101:102], -v[101:102], v[107:108], v[105:106]
	v_div_fmas_f64 v[101:102], v[101:102], v[103:104], v[107:108]
	v_div_fixup_f64 v[103:104], v[101:102], v[97:98], v[99:100]
	v_fma_f64 v[97:98], v[99:100], v[103:104], v[97:98]
	v_div_scale_f64 v[99:100], s[6:7], v[97:98], v[97:98], 1.0
	v_div_scale_f64 v[107:108], vcc, 1.0, v[97:98], 1.0
	v_rcp_f64_e32 v[101:102], v[99:100]
	v_fma_f64 v[105:106], -v[99:100], v[101:102], 1.0
	v_fma_f64 v[101:102], v[101:102], v[105:106], v[101:102]
	v_fma_f64 v[105:106], -v[99:100], v[101:102], 1.0
	v_fma_f64 v[101:102], v[101:102], v[105:106], v[101:102]
	v_mul_f64 v[105:106], v[107:108], v[101:102]
	v_fma_f64 v[99:100], -v[99:100], v[105:106], v[107:108]
	v_div_fmas_f64 v[99:100], v[99:100], v[101:102], v[105:106]
	v_div_fixup_f64 v[101:102], v[99:100], v[97:98], 1.0
	v_mul_f64 v[103:104], v[103:104], -v[101:102]
.LBB89_70:
	s_or_b64 exec, exec, s[2:3]
	ds_write2_b64 v127, v[101:102], v[103:104] offset1:1
.LBB89_71:
	s_or_b64 exec, exec, s[4:5]
	s_waitcnt lgkmcnt(0)
	s_barrier
	ds_read2_b64 v[65:68], v127 offset1:1
	v_cmp_lt_u32_e32 vcc, 7, v0
	s_waitcnt lgkmcnt(0)
	buffer_store_dword v65, off, s[20:23], 0 offset:832 ; 4-byte Folded Spill
	s_nop 0
	buffer_store_dword v66, off, s[20:23], 0 offset:836 ; 4-byte Folded Spill
	buffer_store_dword v67, off, s[20:23], 0 offset:840 ; 4-byte Folded Spill
	;; [unrolled: 1-line block ×3, first 2 shown]
	s_and_saveexec_b64 s[2:3], vcc
	s_cbranch_execz .LBB89_73
; %bb.72:
	buffer_load_dword v75, off, s[20:23], 0 offset:240 ; 4-byte Folded Reload
	buffer_load_dword v76, off, s[20:23], 0 offset:244 ; 4-byte Folded Reload
	;; [unrolled: 1-line block ×8, first 2 shown]
	s_waitcnt vmcnt(2)
	v_mul_f64 v[99:100], v[65:66], v[77:78]
	s_waitcnt vmcnt(0)
	v_mul_f64 v[97:98], v[67:68], v[77:78]
	v_fma_f64 v[77:78], v[67:68], v[75:76], v[99:100]
	ds_read2_b64 v[99:102], v125 offset0:16 offset1:17
	buffer_load_dword v69, off, s[20:23], 0 offset:224 ; 4-byte Folded Reload
	buffer_load_dword v70, off, s[20:23], 0 offset:228 ; 4-byte Folded Reload
	;; [unrolled: 1-line block ×4, first 2 shown]
	v_fma_f64 v[97:98], v[65:66], v[75:76], -v[97:98]
	s_waitcnt lgkmcnt(0)
	v_mul_f64 v[103:104], v[101:102], v[77:78]
	v_fma_f64 v[103:104], v[99:100], v[97:98], -v[103:104]
	v_mul_f64 v[99:100], v[99:100], v[77:78]
	v_fma_f64 v[99:100], v[101:102], v[97:98], v[99:100]
	s_waitcnt vmcnt(2)
	v_add_f64 v[69:70], v[69:70], -v[103:104]
	s_waitcnt vmcnt(0)
	v_add_f64 v[71:72], v[71:72], -v[99:100]
	buffer_store_dword v69, off, s[20:23], 0 offset:224 ; 4-byte Folded Spill
	s_nop 0
	buffer_store_dword v70, off, s[20:23], 0 offset:228 ; 4-byte Folded Spill
	buffer_store_dword v71, off, s[20:23], 0 offset:232 ; 4-byte Folded Spill
	buffer_store_dword v72, off, s[20:23], 0 offset:236 ; 4-byte Folded Spill
	ds_read2_b64 v[99:102], v125 offset0:18 offset1:19
	buffer_load_dword v69, off, s[20:23], 0 offset:208 ; 4-byte Folded Reload
	buffer_load_dword v70, off, s[20:23], 0 offset:212 ; 4-byte Folded Reload
	buffer_load_dword v71, off, s[20:23], 0 offset:216 ; 4-byte Folded Reload
	buffer_load_dword v72, off, s[20:23], 0 offset:220 ; 4-byte Folded Reload
	s_waitcnt lgkmcnt(0)
	v_mul_f64 v[103:104], v[101:102], v[77:78]
	v_fma_f64 v[103:104], v[99:100], v[97:98], -v[103:104]
	v_mul_f64 v[99:100], v[99:100], v[77:78]
	v_fma_f64 v[99:100], v[101:102], v[97:98], v[99:100]
	s_waitcnt vmcnt(2)
	v_add_f64 v[69:70], v[69:70], -v[103:104]
	s_waitcnt vmcnt(0)
	v_add_f64 v[71:72], v[71:72], -v[99:100]
	buffer_store_dword v69, off, s[20:23], 0 offset:208 ; 4-byte Folded Spill
	s_nop 0
	buffer_store_dword v70, off, s[20:23], 0 offset:212 ; 4-byte Folded Spill
	buffer_store_dword v71, off, s[20:23], 0 offset:216 ; 4-byte Folded Spill
	buffer_store_dword v72, off, s[20:23], 0 offset:220 ; 4-byte Folded Spill
	ds_read2_b64 v[99:102], v125 offset0:20 offset1:21
	buffer_load_dword v69, off, s[20:23], 0 offset:192 ; 4-byte Folded Reload
	buffer_load_dword v70, off, s[20:23], 0 offset:196 ; 4-byte Folded Reload
	buffer_load_dword v71, off, s[20:23], 0 offset:200 ; 4-byte Folded Reload
	buffer_load_dword v72, off, s[20:23], 0 offset:204 ; 4-byte Folded Reload
	;; [unrolled: 19-line block ×9, first 2 shown]
	s_waitcnt lgkmcnt(0)
	v_mul_f64 v[103:104], v[101:102], v[77:78]
	v_fma_f64 v[103:104], v[99:100], v[97:98], -v[103:104]
	v_mul_f64 v[99:100], v[99:100], v[77:78]
	v_fma_f64 v[99:100], v[101:102], v[97:98], v[99:100]
	s_waitcnt vmcnt(2)
	v_add_f64 v[69:70], v[69:70], -v[103:104]
	s_waitcnt vmcnt(0)
	v_add_f64 v[71:72], v[71:72], -v[99:100]
	buffer_store_dword v69, off, s[20:23], 0 offset:80 ; 4-byte Folded Spill
	s_nop 0
	buffer_store_dword v70, off, s[20:23], 0 offset:84 ; 4-byte Folded Spill
	buffer_store_dword v71, off, s[20:23], 0 offset:88 ; 4-byte Folded Spill
	;; [unrolled: 1-line block ×3, first 2 shown]
	ds_read2_b64 v[99:102], v125 offset0:36 offset1:37
	s_waitcnt lgkmcnt(0)
	v_mul_f64 v[103:104], v[101:102], v[77:78]
	v_fma_f64 v[103:104], v[99:100], v[97:98], -v[103:104]
	v_mul_f64 v[99:100], v[99:100], v[77:78]
	v_add_f64 v[117:118], v[117:118], -v[103:104]
	v_fma_f64 v[99:100], v[101:102], v[97:98], v[99:100]
	v_add_f64 v[119:120], v[119:120], -v[99:100]
	ds_read2_b64 v[99:102], v125 offset0:38 offset1:39
	s_waitcnt lgkmcnt(0)
	v_mul_f64 v[103:104], v[101:102], v[77:78]
	v_fma_f64 v[103:104], v[99:100], v[97:98], -v[103:104]
	v_mul_f64 v[99:100], v[99:100], v[77:78]
	v_add_f64 v[79:80], v[79:80], -v[103:104]
	v_fma_f64 v[99:100], v[101:102], v[97:98], v[99:100]
	v_add_f64 v[81:82], v[81:82], -v[99:100]
	;; [unrolled: 8-line block ×5, first 2 shown]
	ds_read2_b64 v[99:102], v125 offset0:46 offset1:47
	buffer_load_dword v73, off, s[20:23], 0 offset:64 ; 4-byte Folded Reload
	buffer_load_dword v74, off, s[20:23], 0 offset:68 ; 4-byte Folded Reload
	;; [unrolled: 1-line block ×4, first 2 shown]
	s_waitcnt lgkmcnt(0)
	v_mul_f64 v[103:104], v[101:102], v[77:78]
	v_fma_f64 v[103:104], v[99:100], v[97:98], -v[103:104]
	v_mul_f64 v[99:100], v[99:100], v[77:78]
	v_fma_f64 v[99:100], v[101:102], v[97:98], v[99:100]
	s_waitcnt vmcnt(2)
	v_add_f64 v[73:74], v[73:74], -v[103:104]
	s_waitcnt vmcnt(0)
	v_add_f64 v[75:76], v[75:76], -v[99:100]
	buffer_store_dword v73, off, s[20:23], 0 offset:64 ; 4-byte Folded Spill
	s_nop 0
	buffer_store_dword v74, off, s[20:23], 0 offset:68 ; 4-byte Folded Spill
	buffer_store_dword v75, off, s[20:23], 0 offset:72 ; 4-byte Folded Spill
	;; [unrolled: 1-line block ×3, first 2 shown]
	ds_read2_b64 v[99:102], v125 offset0:48 offset1:49
	s_waitcnt lgkmcnt(0)
	v_mul_f64 v[103:104], v[101:102], v[77:78]
	v_fma_f64 v[103:104], v[99:100], v[97:98], -v[103:104]
	v_mul_f64 v[99:100], v[99:100], v[77:78]
	v_add_f64 v[93:94], v[93:94], -v[103:104]
	v_fma_f64 v[99:100], v[101:102], v[97:98], v[99:100]
	v_add_f64 v[95:96], v[95:96], -v[99:100]
	ds_read2_b64 v[99:102], v125 offset0:50 offset1:51
	buffer_load_dword v73, off, s[20:23], 0 offset:32 ; 4-byte Folded Reload
	buffer_load_dword v74, off, s[20:23], 0 offset:36 ; 4-byte Folded Reload
	;; [unrolled: 1-line block ×4, first 2 shown]
	s_waitcnt lgkmcnt(0)
	v_mul_f64 v[103:104], v[101:102], v[77:78]
	v_fma_f64 v[103:104], v[99:100], v[97:98], -v[103:104]
	v_mul_f64 v[99:100], v[99:100], v[77:78]
	v_fma_f64 v[99:100], v[101:102], v[97:98], v[99:100]
	s_waitcnt vmcnt(2)
	v_add_f64 v[73:74], v[73:74], -v[103:104]
	s_waitcnt vmcnt(0)
	v_add_f64 v[75:76], v[75:76], -v[99:100]
	buffer_store_dword v73, off, s[20:23], 0 offset:32 ; 4-byte Folded Spill
	s_nop 0
	buffer_store_dword v74, off, s[20:23], 0 offset:36 ; 4-byte Folded Spill
	buffer_store_dword v75, off, s[20:23], 0 offset:40 ; 4-byte Folded Spill
	;; [unrolled: 1-line block ×3, first 2 shown]
	ds_read2_b64 v[99:102], v125 offset0:52 offset1:53
	buffer_load_dword v69, off, s[20:23], 0 offset:16 ; 4-byte Folded Reload
	buffer_load_dword v70, off, s[20:23], 0 offset:20 ; 4-byte Folded Reload
	;; [unrolled: 1-line block ×4, first 2 shown]
	v_mov_b32_e32 v75, v97
	v_mov_b32_e32 v76, v98
	s_waitcnt lgkmcnt(0)
	v_mul_f64 v[103:104], v[101:102], v[77:78]
	v_fma_f64 v[103:104], v[99:100], v[97:98], -v[103:104]
	v_mul_f64 v[99:100], v[99:100], v[77:78]
	v_fma_f64 v[99:100], v[101:102], v[97:98], v[99:100]
	s_waitcnt vmcnt(2)
	v_add_f64 v[69:70], v[69:70], -v[103:104]
	s_waitcnt vmcnt(0)
	v_add_f64 v[71:72], v[71:72], -v[99:100]
	buffer_store_dword v69, off, s[20:23], 0 offset:16 ; 4-byte Folded Spill
	s_nop 0
	buffer_store_dword v70, off, s[20:23], 0 offset:20 ; 4-byte Folded Spill
	buffer_store_dword v71, off, s[20:23], 0 offset:24 ; 4-byte Folded Spill
	;; [unrolled: 1-line block ×3, first 2 shown]
	ds_read2_b64 v[99:102], v125 offset0:54 offset1:55
	buffer_load_dword v65, off, s[20:23], 0 ; 4-byte Folded Reload
	buffer_load_dword v66, off, s[20:23], 0 offset:4 ; 4-byte Folded Reload
	buffer_load_dword v67, off, s[20:23], 0 offset:8 ; 4-byte Folded Reload
	buffer_load_dword v68, off, s[20:23], 0 offset:12 ; 4-byte Folded Reload
	s_waitcnt lgkmcnt(0)
	v_mul_f64 v[103:104], v[101:102], v[77:78]
	v_fma_f64 v[103:104], v[99:100], v[97:98], -v[103:104]
	v_mul_f64 v[99:100], v[99:100], v[77:78]
	v_fma_f64 v[99:100], v[101:102], v[97:98], v[99:100]
	s_waitcnt vmcnt(2)
	v_add_f64 v[65:66], v[65:66], -v[103:104]
	s_waitcnt vmcnt(0)
	v_add_f64 v[67:68], v[67:68], -v[99:100]
	buffer_store_dword v65, off, s[20:23], 0 ; 4-byte Folded Spill
	s_nop 0
	buffer_store_dword v66, off, s[20:23], 0 offset:4 ; 4-byte Folded Spill
	buffer_store_dword v67, off, s[20:23], 0 offset:8 ; 4-byte Folded Spill
	buffer_store_dword v68, off, s[20:23], 0 offset:12 ; 4-byte Folded Spill
	ds_read2_b64 v[99:102], v125 offset0:56 offset1:57
	s_waitcnt lgkmcnt(0)
	v_mul_f64 v[103:104], v[101:102], v[77:78]
	v_fma_f64 v[103:104], v[99:100], v[97:98], -v[103:104]
	v_mul_f64 v[99:100], v[99:100], v[77:78]
	v_add_f64 v[61:62], v[61:62], -v[103:104]
	v_fma_f64 v[99:100], v[101:102], v[97:98], v[99:100]
	v_add_f64 v[63:64], v[63:64], -v[99:100]
	ds_read2_b64 v[99:102], v125 offset0:58 offset1:59
	s_waitcnt lgkmcnt(0)
	v_mul_f64 v[103:104], v[101:102], v[77:78]
	v_fma_f64 v[103:104], v[99:100], v[97:98], -v[103:104]
	v_mul_f64 v[99:100], v[99:100], v[77:78]
	v_add_f64 v[57:58], v[57:58], -v[103:104]
	v_fma_f64 v[99:100], v[101:102], v[97:98], v[99:100]
	v_add_f64 v[59:60], v[59:60], -v[99:100]
	;; [unrolled: 8-line block ×16, first 2 shown]
	ds_read2_b64 v[99:102], v125 offset0:88 offset1:89
	buffer_load_dword v65, off, s[20:23], 0 offset:48 ; 4-byte Folded Reload
	buffer_load_dword v66, off, s[20:23], 0 offset:52 ; 4-byte Folded Reload
	buffer_load_dword v67, off, s[20:23], 0 offset:56 ; 4-byte Folded Reload
	buffer_load_dword v68, off, s[20:23], 0 offset:60 ; 4-byte Folded Reload
	s_waitcnt lgkmcnt(0)
	v_mul_f64 v[103:104], v[101:102], v[77:78]
	v_fma_f64 v[103:104], v[99:100], v[97:98], -v[103:104]
	v_mul_f64 v[99:100], v[99:100], v[77:78]
	v_fma_f64 v[99:100], v[101:102], v[97:98], v[99:100]
	s_waitcnt vmcnt(2)
	v_add_f64 v[65:66], v[65:66], -v[103:104]
	s_waitcnt vmcnt(0)
	v_add_f64 v[67:68], v[67:68], -v[99:100]
	buffer_store_dword v65, off, s[20:23], 0 offset:48 ; 4-byte Folded Spill
	s_nop 0
	buffer_store_dword v66, off, s[20:23], 0 offset:52 ; 4-byte Folded Spill
	buffer_store_dword v67, off, s[20:23], 0 offset:56 ; 4-byte Folded Spill
	;; [unrolled: 1-line block ×4, first 2 shown]
	s_nop 0
	buffer_store_dword v76, off, s[20:23], 0 offset:244 ; 4-byte Folded Spill
	buffer_store_dword v77, off, s[20:23], 0 offset:248 ; 4-byte Folded Spill
	;; [unrolled: 1-line block ×3, first 2 shown]
.LBB89_73:
	s_or_b64 exec, exec, s[2:3]
	v_cmp_eq_u32_e32 vcc, 8, v0
	s_waitcnt vmcnt(0)
	s_barrier
	s_and_saveexec_b64 s[4:5], vcc
	s_cbranch_execz .LBB89_80
; %bb.74:
	buffer_load_dword v69, off, s[20:23], 0 offset:224 ; 4-byte Folded Reload
	buffer_load_dword v70, off, s[20:23], 0 offset:228 ; 4-byte Folded Reload
	;; [unrolled: 1-line block ×4, first 2 shown]
	s_waitcnt vmcnt(0)
	ds_write2_b64 v127, v[69:70], v[71:72] offset1:1
	buffer_load_dword v69, off, s[20:23], 0 offset:208 ; 4-byte Folded Reload
	buffer_load_dword v70, off, s[20:23], 0 offset:212 ; 4-byte Folded Reload
	buffer_load_dword v71, off, s[20:23], 0 offset:216 ; 4-byte Folded Reload
	buffer_load_dword v72, off, s[20:23], 0 offset:220 ; 4-byte Folded Reload
	s_waitcnt vmcnt(0)
	ds_write2_b64 v125, v[69:70], v[71:72] offset0:18 offset1:19
	buffer_load_dword v69, off, s[20:23], 0 offset:192 ; 4-byte Folded Reload
	buffer_load_dword v70, off, s[20:23], 0 offset:196 ; 4-byte Folded Reload
	buffer_load_dword v71, off, s[20:23], 0 offset:200 ; 4-byte Folded Reload
	buffer_load_dword v72, off, s[20:23], 0 offset:204 ; 4-byte Folded Reload
	s_waitcnt vmcnt(0)
	ds_write2_b64 v125, v[69:70], v[71:72] offset0:20 offset1:21
	;; [unrolled: 6-line block ×9, first 2 shown]
	ds_write2_b64 v125, v[117:118], v[119:120] offset0:36 offset1:37
	ds_write2_b64 v125, v[79:80], v[81:82] offset0:38 offset1:39
	;; [unrolled: 1-line block ×5, first 2 shown]
	buffer_load_dword v73, off, s[20:23], 0 offset:64 ; 4-byte Folded Reload
	buffer_load_dword v74, off, s[20:23], 0 offset:68 ; 4-byte Folded Reload
	;; [unrolled: 1-line block ×4, first 2 shown]
	s_waitcnt vmcnt(0)
	ds_write2_b64 v125, v[73:74], v[75:76] offset0:46 offset1:47
	ds_write2_b64 v125, v[93:94], v[95:96] offset0:48 offset1:49
	buffer_load_dword v73, off, s[20:23], 0 offset:32 ; 4-byte Folded Reload
	buffer_load_dword v74, off, s[20:23], 0 offset:36 ; 4-byte Folded Reload
	;; [unrolled: 1-line block ×4, first 2 shown]
	s_waitcnt vmcnt(0)
	ds_write2_b64 v125, v[73:74], v[75:76] offset0:50 offset1:51
	buffer_load_dword v69, off, s[20:23], 0 offset:16 ; 4-byte Folded Reload
	buffer_load_dword v70, off, s[20:23], 0 offset:20 ; 4-byte Folded Reload
	;; [unrolled: 1-line block ×4, first 2 shown]
	s_waitcnt vmcnt(0)
	ds_write2_b64 v125, v[69:70], v[71:72] offset0:52 offset1:53
	buffer_load_dword v65, off, s[20:23], 0 ; 4-byte Folded Reload
	buffer_load_dword v66, off, s[20:23], 0 offset:4 ; 4-byte Folded Reload
	buffer_load_dword v67, off, s[20:23], 0 offset:8 ; 4-byte Folded Reload
	;; [unrolled: 1-line block ×3, first 2 shown]
	s_waitcnt vmcnt(0)
	ds_write2_b64 v125, v[65:66], v[67:68] offset0:54 offset1:55
	ds_write2_b64 v125, v[61:62], v[63:64] offset0:56 offset1:57
	;; [unrolled: 1-line block ×17, first 2 shown]
	buffer_load_dword v65, off, s[20:23], 0 offset:48 ; 4-byte Folded Reload
	buffer_load_dword v66, off, s[20:23], 0 offset:52 ; 4-byte Folded Reload
	;; [unrolled: 1-line block ×4, first 2 shown]
	s_waitcnt vmcnt(0)
	ds_write2_b64 v125, v[65:66], v[67:68] offset0:88 offset1:89
	ds_read2_b64 v[97:100], v127 offset1:1
	s_waitcnt lgkmcnt(0)
	v_cmp_neq_f64_e32 vcc, 0, v[97:98]
	v_cmp_neq_f64_e64 s[2:3], 0, v[99:100]
	s_or_b64 s[2:3], vcc, s[2:3]
	s_and_b64 exec, exec, s[2:3]
	s_cbranch_execz .LBB89_80
; %bb.75:
	v_cmp_ngt_f64_e64 s[2:3], |v[97:98]|, |v[99:100]|
                                        ; implicit-def: $vgpr101_vgpr102
	s_and_saveexec_b64 s[6:7], s[2:3]
	s_xor_b64 s[2:3], exec, s[6:7]
                                        ; implicit-def: $vgpr103_vgpr104
	s_cbranch_execz .LBB89_77
; %bb.76:
	v_div_scale_f64 v[101:102], s[6:7], v[99:100], v[99:100], v[97:98]
	v_rcp_f64_e32 v[103:104], v[101:102]
	v_fma_f64 v[105:106], -v[101:102], v[103:104], 1.0
	v_fma_f64 v[103:104], v[103:104], v[105:106], v[103:104]
	v_div_scale_f64 v[105:106], vcc, v[97:98], v[99:100], v[97:98]
	v_fma_f64 v[107:108], -v[101:102], v[103:104], 1.0
	v_fma_f64 v[103:104], v[103:104], v[107:108], v[103:104]
	v_mul_f64 v[107:108], v[105:106], v[103:104]
	v_fma_f64 v[101:102], -v[101:102], v[107:108], v[105:106]
	v_div_fmas_f64 v[101:102], v[101:102], v[103:104], v[107:108]
	v_div_fixup_f64 v[101:102], v[101:102], v[99:100], v[97:98]
	v_fma_f64 v[97:98], v[97:98], v[101:102], v[99:100]
	v_div_scale_f64 v[99:100], s[6:7], v[97:98], v[97:98], 1.0
	v_div_scale_f64 v[107:108], vcc, 1.0, v[97:98], 1.0
	v_rcp_f64_e32 v[103:104], v[99:100]
	v_fma_f64 v[105:106], -v[99:100], v[103:104], 1.0
	v_fma_f64 v[103:104], v[103:104], v[105:106], v[103:104]
	v_fma_f64 v[105:106], -v[99:100], v[103:104], 1.0
	v_fma_f64 v[103:104], v[103:104], v[105:106], v[103:104]
	v_mul_f64 v[105:106], v[107:108], v[103:104]
	v_fma_f64 v[99:100], -v[99:100], v[105:106], v[107:108]
	v_div_fmas_f64 v[99:100], v[99:100], v[103:104], v[105:106]
	v_div_fixup_f64 v[103:104], v[99:100], v[97:98], 1.0
                                        ; implicit-def: $vgpr97_vgpr98
	v_mul_f64 v[101:102], v[101:102], v[103:104]
	v_xor_b32_e32 v104, 0x80000000, v104
.LBB89_77:
	s_andn2_saveexec_b64 s[2:3], s[2:3]
	s_cbranch_execz .LBB89_79
; %bb.78:
	v_div_scale_f64 v[101:102], s[6:7], v[97:98], v[97:98], v[99:100]
	v_rcp_f64_e32 v[103:104], v[101:102]
	v_fma_f64 v[105:106], -v[101:102], v[103:104], 1.0
	v_fma_f64 v[103:104], v[103:104], v[105:106], v[103:104]
	v_div_scale_f64 v[105:106], vcc, v[99:100], v[97:98], v[99:100]
	v_fma_f64 v[107:108], -v[101:102], v[103:104], 1.0
	v_fma_f64 v[103:104], v[103:104], v[107:108], v[103:104]
	v_mul_f64 v[107:108], v[105:106], v[103:104]
	v_fma_f64 v[101:102], -v[101:102], v[107:108], v[105:106]
	v_div_fmas_f64 v[101:102], v[101:102], v[103:104], v[107:108]
	v_div_fixup_f64 v[103:104], v[101:102], v[97:98], v[99:100]
	v_fma_f64 v[97:98], v[99:100], v[103:104], v[97:98]
	v_div_scale_f64 v[99:100], s[6:7], v[97:98], v[97:98], 1.0
	v_div_scale_f64 v[107:108], vcc, 1.0, v[97:98], 1.0
	v_rcp_f64_e32 v[101:102], v[99:100]
	v_fma_f64 v[105:106], -v[99:100], v[101:102], 1.0
	v_fma_f64 v[101:102], v[101:102], v[105:106], v[101:102]
	v_fma_f64 v[105:106], -v[99:100], v[101:102], 1.0
	v_fma_f64 v[101:102], v[101:102], v[105:106], v[101:102]
	v_mul_f64 v[105:106], v[107:108], v[101:102]
	v_fma_f64 v[99:100], -v[99:100], v[105:106], v[107:108]
	v_div_fmas_f64 v[99:100], v[99:100], v[101:102], v[105:106]
	v_div_fixup_f64 v[101:102], v[99:100], v[97:98], 1.0
	v_mul_f64 v[103:104], v[103:104], -v[101:102]
.LBB89_79:
	s_or_b64 exec, exec, s[2:3]
	ds_write2_b64 v127, v[101:102], v[103:104] offset1:1
.LBB89_80:
	s_or_b64 exec, exec, s[4:5]
	s_waitcnt lgkmcnt(0)
	s_barrier
	ds_read2_b64 v[65:68], v127 offset1:1
	v_cmp_lt_u32_e32 vcc, 8, v0
	s_waitcnt lgkmcnt(0)
	buffer_store_dword v65, off, s[20:23], 0 offset:848 ; 4-byte Folded Spill
	s_nop 0
	buffer_store_dword v66, off, s[20:23], 0 offset:852 ; 4-byte Folded Spill
	buffer_store_dword v67, off, s[20:23], 0 offset:856 ; 4-byte Folded Spill
	;; [unrolled: 1-line block ×3, first 2 shown]
	s_and_saveexec_b64 s[2:3], vcc
	s_cbranch_execz .LBB89_82
; %bb.81:
	buffer_load_dword v75, off, s[20:23], 0 offset:224 ; 4-byte Folded Reload
	buffer_load_dword v76, off, s[20:23], 0 offset:228 ; 4-byte Folded Reload
	;; [unrolled: 1-line block ×8, first 2 shown]
	s_waitcnt vmcnt(2)
	v_mul_f64 v[99:100], v[65:66], v[77:78]
	s_waitcnt vmcnt(0)
	v_mul_f64 v[97:98], v[67:68], v[77:78]
	v_fma_f64 v[77:78], v[67:68], v[75:76], v[99:100]
	ds_read2_b64 v[99:102], v125 offset0:18 offset1:19
	buffer_load_dword v69, off, s[20:23], 0 offset:208 ; 4-byte Folded Reload
	buffer_load_dword v70, off, s[20:23], 0 offset:212 ; 4-byte Folded Reload
	;; [unrolled: 1-line block ×4, first 2 shown]
	v_fma_f64 v[97:98], v[65:66], v[75:76], -v[97:98]
	s_waitcnt lgkmcnt(0)
	v_mul_f64 v[103:104], v[101:102], v[77:78]
	v_fma_f64 v[103:104], v[99:100], v[97:98], -v[103:104]
	v_mul_f64 v[99:100], v[99:100], v[77:78]
	v_fma_f64 v[99:100], v[101:102], v[97:98], v[99:100]
	s_waitcnt vmcnt(2)
	v_add_f64 v[69:70], v[69:70], -v[103:104]
	s_waitcnt vmcnt(0)
	v_add_f64 v[71:72], v[71:72], -v[99:100]
	buffer_store_dword v69, off, s[20:23], 0 offset:208 ; 4-byte Folded Spill
	s_nop 0
	buffer_store_dword v70, off, s[20:23], 0 offset:212 ; 4-byte Folded Spill
	buffer_store_dword v71, off, s[20:23], 0 offset:216 ; 4-byte Folded Spill
	buffer_store_dword v72, off, s[20:23], 0 offset:220 ; 4-byte Folded Spill
	ds_read2_b64 v[99:102], v125 offset0:20 offset1:21
	buffer_load_dword v69, off, s[20:23], 0 offset:192 ; 4-byte Folded Reload
	buffer_load_dword v70, off, s[20:23], 0 offset:196 ; 4-byte Folded Reload
	buffer_load_dword v71, off, s[20:23], 0 offset:200 ; 4-byte Folded Reload
	buffer_load_dword v72, off, s[20:23], 0 offset:204 ; 4-byte Folded Reload
	s_waitcnt lgkmcnt(0)
	v_mul_f64 v[103:104], v[101:102], v[77:78]
	v_fma_f64 v[103:104], v[99:100], v[97:98], -v[103:104]
	v_mul_f64 v[99:100], v[99:100], v[77:78]
	v_fma_f64 v[99:100], v[101:102], v[97:98], v[99:100]
	s_waitcnt vmcnt(2)
	v_add_f64 v[69:70], v[69:70], -v[103:104]
	s_waitcnt vmcnt(0)
	v_add_f64 v[71:72], v[71:72], -v[99:100]
	buffer_store_dword v69, off, s[20:23], 0 offset:192 ; 4-byte Folded Spill
	s_nop 0
	buffer_store_dword v70, off, s[20:23], 0 offset:196 ; 4-byte Folded Spill
	buffer_store_dword v71, off, s[20:23], 0 offset:200 ; 4-byte Folded Spill
	buffer_store_dword v72, off, s[20:23], 0 offset:204 ; 4-byte Folded Spill
	ds_read2_b64 v[99:102], v125 offset0:22 offset1:23
	buffer_load_dword v69, off, s[20:23], 0 offset:176 ; 4-byte Folded Reload
	buffer_load_dword v70, off, s[20:23], 0 offset:180 ; 4-byte Folded Reload
	buffer_load_dword v71, off, s[20:23], 0 offset:184 ; 4-byte Folded Reload
	buffer_load_dword v72, off, s[20:23], 0 offset:188 ; 4-byte Folded Reload
	;; [unrolled: 19-line block ×8, first 2 shown]
	s_waitcnt lgkmcnt(0)
	v_mul_f64 v[103:104], v[101:102], v[77:78]
	v_fma_f64 v[103:104], v[99:100], v[97:98], -v[103:104]
	v_mul_f64 v[99:100], v[99:100], v[77:78]
	v_fma_f64 v[99:100], v[101:102], v[97:98], v[99:100]
	s_waitcnt vmcnt(2)
	v_add_f64 v[69:70], v[69:70], -v[103:104]
	s_waitcnt vmcnt(0)
	v_add_f64 v[71:72], v[71:72], -v[99:100]
	buffer_store_dword v69, off, s[20:23], 0 offset:80 ; 4-byte Folded Spill
	s_nop 0
	buffer_store_dword v70, off, s[20:23], 0 offset:84 ; 4-byte Folded Spill
	buffer_store_dword v71, off, s[20:23], 0 offset:88 ; 4-byte Folded Spill
	;; [unrolled: 1-line block ×3, first 2 shown]
	ds_read2_b64 v[99:102], v125 offset0:36 offset1:37
	s_waitcnt lgkmcnt(0)
	v_mul_f64 v[103:104], v[101:102], v[77:78]
	v_fma_f64 v[103:104], v[99:100], v[97:98], -v[103:104]
	v_mul_f64 v[99:100], v[99:100], v[77:78]
	v_add_f64 v[117:118], v[117:118], -v[103:104]
	v_fma_f64 v[99:100], v[101:102], v[97:98], v[99:100]
	v_add_f64 v[119:120], v[119:120], -v[99:100]
	ds_read2_b64 v[99:102], v125 offset0:38 offset1:39
	s_waitcnt lgkmcnt(0)
	v_mul_f64 v[103:104], v[101:102], v[77:78]
	v_fma_f64 v[103:104], v[99:100], v[97:98], -v[103:104]
	v_mul_f64 v[99:100], v[99:100], v[77:78]
	v_add_f64 v[79:80], v[79:80], -v[103:104]
	v_fma_f64 v[99:100], v[101:102], v[97:98], v[99:100]
	v_add_f64 v[81:82], v[81:82], -v[99:100]
	;; [unrolled: 8-line block ×5, first 2 shown]
	ds_read2_b64 v[99:102], v125 offset0:46 offset1:47
	buffer_load_dword v73, off, s[20:23], 0 offset:64 ; 4-byte Folded Reload
	buffer_load_dword v74, off, s[20:23], 0 offset:68 ; 4-byte Folded Reload
	;; [unrolled: 1-line block ×4, first 2 shown]
	s_waitcnt lgkmcnt(0)
	v_mul_f64 v[103:104], v[101:102], v[77:78]
	v_fma_f64 v[103:104], v[99:100], v[97:98], -v[103:104]
	v_mul_f64 v[99:100], v[99:100], v[77:78]
	v_fma_f64 v[99:100], v[101:102], v[97:98], v[99:100]
	s_waitcnt vmcnt(2)
	v_add_f64 v[73:74], v[73:74], -v[103:104]
	s_waitcnt vmcnt(0)
	v_add_f64 v[75:76], v[75:76], -v[99:100]
	buffer_store_dword v73, off, s[20:23], 0 offset:64 ; 4-byte Folded Spill
	s_nop 0
	buffer_store_dword v74, off, s[20:23], 0 offset:68 ; 4-byte Folded Spill
	buffer_store_dword v75, off, s[20:23], 0 offset:72 ; 4-byte Folded Spill
	;; [unrolled: 1-line block ×3, first 2 shown]
	ds_read2_b64 v[99:102], v125 offset0:48 offset1:49
	s_waitcnt lgkmcnt(0)
	v_mul_f64 v[103:104], v[101:102], v[77:78]
	v_fma_f64 v[103:104], v[99:100], v[97:98], -v[103:104]
	v_mul_f64 v[99:100], v[99:100], v[77:78]
	v_add_f64 v[93:94], v[93:94], -v[103:104]
	v_fma_f64 v[99:100], v[101:102], v[97:98], v[99:100]
	v_add_f64 v[95:96], v[95:96], -v[99:100]
	ds_read2_b64 v[99:102], v125 offset0:50 offset1:51
	buffer_load_dword v73, off, s[20:23], 0 offset:32 ; 4-byte Folded Reload
	buffer_load_dword v74, off, s[20:23], 0 offset:36 ; 4-byte Folded Reload
	;; [unrolled: 1-line block ×4, first 2 shown]
	s_waitcnt lgkmcnt(0)
	v_mul_f64 v[103:104], v[101:102], v[77:78]
	v_fma_f64 v[103:104], v[99:100], v[97:98], -v[103:104]
	v_mul_f64 v[99:100], v[99:100], v[77:78]
	v_fma_f64 v[99:100], v[101:102], v[97:98], v[99:100]
	s_waitcnt vmcnt(2)
	v_add_f64 v[73:74], v[73:74], -v[103:104]
	s_waitcnt vmcnt(0)
	v_add_f64 v[75:76], v[75:76], -v[99:100]
	buffer_store_dword v73, off, s[20:23], 0 offset:32 ; 4-byte Folded Spill
	s_nop 0
	buffer_store_dword v74, off, s[20:23], 0 offset:36 ; 4-byte Folded Spill
	buffer_store_dword v75, off, s[20:23], 0 offset:40 ; 4-byte Folded Spill
	;; [unrolled: 1-line block ×3, first 2 shown]
	ds_read2_b64 v[99:102], v125 offset0:52 offset1:53
	buffer_load_dword v69, off, s[20:23], 0 offset:16 ; 4-byte Folded Reload
	buffer_load_dword v70, off, s[20:23], 0 offset:20 ; 4-byte Folded Reload
	;; [unrolled: 1-line block ×4, first 2 shown]
	v_mov_b32_e32 v75, v97
	v_mov_b32_e32 v76, v98
	s_waitcnt lgkmcnt(0)
	v_mul_f64 v[103:104], v[101:102], v[77:78]
	v_fma_f64 v[103:104], v[99:100], v[97:98], -v[103:104]
	v_mul_f64 v[99:100], v[99:100], v[77:78]
	v_fma_f64 v[99:100], v[101:102], v[97:98], v[99:100]
	s_waitcnt vmcnt(2)
	v_add_f64 v[69:70], v[69:70], -v[103:104]
	s_waitcnt vmcnt(0)
	v_add_f64 v[71:72], v[71:72], -v[99:100]
	buffer_store_dword v69, off, s[20:23], 0 offset:16 ; 4-byte Folded Spill
	s_nop 0
	buffer_store_dword v70, off, s[20:23], 0 offset:20 ; 4-byte Folded Spill
	buffer_store_dword v71, off, s[20:23], 0 offset:24 ; 4-byte Folded Spill
	;; [unrolled: 1-line block ×3, first 2 shown]
	ds_read2_b64 v[99:102], v125 offset0:54 offset1:55
	buffer_load_dword v65, off, s[20:23], 0 ; 4-byte Folded Reload
	buffer_load_dword v66, off, s[20:23], 0 offset:4 ; 4-byte Folded Reload
	buffer_load_dword v67, off, s[20:23], 0 offset:8 ; 4-byte Folded Reload
	;; [unrolled: 1-line block ×3, first 2 shown]
	s_waitcnt lgkmcnt(0)
	v_mul_f64 v[103:104], v[101:102], v[77:78]
	v_fma_f64 v[103:104], v[99:100], v[97:98], -v[103:104]
	v_mul_f64 v[99:100], v[99:100], v[77:78]
	v_fma_f64 v[99:100], v[101:102], v[97:98], v[99:100]
	s_waitcnt vmcnt(2)
	v_add_f64 v[65:66], v[65:66], -v[103:104]
	s_waitcnt vmcnt(0)
	v_add_f64 v[67:68], v[67:68], -v[99:100]
	buffer_store_dword v65, off, s[20:23], 0 ; 4-byte Folded Spill
	s_nop 0
	buffer_store_dword v66, off, s[20:23], 0 offset:4 ; 4-byte Folded Spill
	buffer_store_dword v67, off, s[20:23], 0 offset:8 ; 4-byte Folded Spill
	;; [unrolled: 1-line block ×3, first 2 shown]
	ds_read2_b64 v[99:102], v125 offset0:56 offset1:57
	s_waitcnt lgkmcnt(0)
	v_mul_f64 v[103:104], v[101:102], v[77:78]
	v_fma_f64 v[103:104], v[99:100], v[97:98], -v[103:104]
	v_mul_f64 v[99:100], v[99:100], v[77:78]
	v_add_f64 v[61:62], v[61:62], -v[103:104]
	v_fma_f64 v[99:100], v[101:102], v[97:98], v[99:100]
	v_add_f64 v[63:64], v[63:64], -v[99:100]
	ds_read2_b64 v[99:102], v125 offset0:58 offset1:59
	s_waitcnt lgkmcnt(0)
	v_mul_f64 v[103:104], v[101:102], v[77:78]
	v_fma_f64 v[103:104], v[99:100], v[97:98], -v[103:104]
	v_mul_f64 v[99:100], v[99:100], v[77:78]
	v_add_f64 v[57:58], v[57:58], -v[103:104]
	v_fma_f64 v[99:100], v[101:102], v[97:98], v[99:100]
	v_add_f64 v[59:60], v[59:60], -v[99:100]
	;; [unrolled: 8-line block ×16, first 2 shown]
	ds_read2_b64 v[99:102], v125 offset0:88 offset1:89
	buffer_load_dword v65, off, s[20:23], 0 offset:48 ; 4-byte Folded Reload
	buffer_load_dword v66, off, s[20:23], 0 offset:52 ; 4-byte Folded Reload
	;; [unrolled: 1-line block ×4, first 2 shown]
	s_waitcnt lgkmcnt(0)
	v_mul_f64 v[103:104], v[101:102], v[77:78]
	v_fma_f64 v[103:104], v[99:100], v[97:98], -v[103:104]
	v_mul_f64 v[99:100], v[99:100], v[77:78]
	v_fma_f64 v[99:100], v[101:102], v[97:98], v[99:100]
	s_waitcnt vmcnt(2)
	v_add_f64 v[65:66], v[65:66], -v[103:104]
	s_waitcnt vmcnt(0)
	v_add_f64 v[67:68], v[67:68], -v[99:100]
	buffer_store_dword v65, off, s[20:23], 0 offset:48 ; 4-byte Folded Spill
	s_nop 0
	buffer_store_dword v66, off, s[20:23], 0 offset:52 ; 4-byte Folded Spill
	buffer_store_dword v67, off, s[20:23], 0 offset:56 ; 4-byte Folded Spill
	;; [unrolled: 1-line block ×4, first 2 shown]
	s_nop 0
	buffer_store_dword v76, off, s[20:23], 0 offset:228 ; 4-byte Folded Spill
	buffer_store_dword v77, off, s[20:23], 0 offset:232 ; 4-byte Folded Spill
	buffer_store_dword v78, off, s[20:23], 0 offset:236 ; 4-byte Folded Spill
.LBB89_82:
	s_or_b64 exec, exec, s[2:3]
	v_cmp_eq_u32_e32 vcc, 9, v0
	s_waitcnt vmcnt(0)
	s_barrier
	s_and_saveexec_b64 s[4:5], vcc
	s_cbranch_execz .LBB89_89
; %bb.83:
	buffer_load_dword v69, off, s[20:23], 0 offset:208 ; 4-byte Folded Reload
	buffer_load_dword v70, off, s[20:23], 0 offset:212 ; 4-byte Folded Reload
	;; [unrolled: 1-line block ×4, first 2 shown]
	s_waitcnt vmcnt(0)
	ds_write2_b64 v127, v[69:70], v[71:72] offset1:1
	buffer_load_dword v69, off, s[20:23], 0 offset:192 ; 4-byte Folded Reload
	buffer_load_dword v70, off, s[20:23], 0 offset:196 ; 4-byte Folded Reload
	buffer_load_dword v71, off, s[20:23], 0 offset:200 ; 4-byte Folded Reload
	buffer_load_dword v72, off, s[20:23], 0 offset:204 ; 4-byte Folded Reload
	s_waitcnt vmcnt(0)
	ds_write2_b64 v125, v[69:70], v[71:72] offset0:20 offset1:21
	buffer_load_dword v69, off, s[20:23], 0 offset:176 ; 4-byte Folded Reload
	buffer_load_dword v70, off, s[20:23], 0 offset:180 ; 4-byte Folded Reload
	buffer_load_dword v71, off, s[20:23], 0 offset:184 ; 4-byte Folded Reload
	buffer_load_dword v72, off, s[20:23], 0 offset:188 ; 4-byte Folded Reload
	s_waitcnt vmcnt(0)
	ds_write2_b64 v125, v[69:70], v[71:72] offset0:22 offset1:23
	;; [unrolled: 6-line block ×8, first 2 shown]
	ds_write2_b64 v125, v[117:118], v[119:120] offset0:36 offset1:37
	ds_write2_b64 v125, v[79:80], v[81:82] offset0:38 offset1:39
	;; [unrolled: 1-line block ×5, first 2 shown]
	buffer_load_dword v73, off, s[20:23], 0 offset:64 ; 4-byte Folded Reload
	buffer_load_dword v74, off, s[20:23], 0 offset:68 ; 4-byte Folded Reload
	;; [unrolled: 1-line block ×4, first 2 shown]
	s_waitcnt vmcnt(0)
	ds_write2_b64 v125, v[73:74], v[75:76] offset0:46 offset1:47
	ds_write2_b64 v125, v[93:94], v[95:96] offset0:48 offset1:49
	buffer_load_dword v73, off, s[20:23], 0 offset:32 ; 4-byte Folded Reload
	buffer_load_dword v74, off, s[20:23], 0 offset:36 ; 4-byte Folded Reload
	;; [unrolled: 1-line block ×4, first 2 shown]
	s_waitcnt vmcnt(0)
	ds_write2_b64 v125, v[73:74], v[75:76] offset0:50 offset1:51
	buffer_load_dword v69, off, s[20:23], 0 offset:16 ; 4-byte Folded Reload
	buffer_load_dword v70, off, s[20:23], 0 offset:20 ; 4-byte Folded Reload
	;; [unrolled: 1-line block ×4, first 2 shown]
	s_waitcnt vmcnt(0)
	ds_write2_b64 v125, v[69:70], v[71:72] offset0:52 offset1:53
	buffer_load_dword v65, off, s[20:23], 0 ; 4-byte Folded Reload
	buffer_load_dword v66, off, s[20:23], 0 offset:4 ; 4-byte Folded Reload
	buffer_load_dword v67, off, s[20:23], 0 offset:8 ; 4-byte Folded Reload
	;; [unrolled: 1-line block ×3, first 2 shown]
	s_waitcnt vmcnt(0)
	ds_write2_b64 v125, v[65:66], v[67:68] offset0:54 offset1:55
	ds_write2_b64 v125, v[61:62], v[63:64] offset0:56 offset1:57
	;; [unrolled: 1-line block ×17, first 2 shown]
	buffer_load_dword v65, off, s[20:23], 0 offset:48 ; 4-byte Folded Reload
	buffer_load_dword v66, off, s[20:23], 0 offset:52 ; 4-byte Folded Reload
	buffer_load_dword v67, off, s[20:23], 0 offset:56 ; 4-byte Folded Reload
	buffer_load_dword v68, off, s[20:23], 0 offset:60 ; 4-byte Folded Reload
	s_waitcnt vmcnt(0)
	ds_write2_b64 v125, v[65:66], v[67:68] offset0:88 offset1:89
	ds_read2_b64 v[97:100], v127 offset1:1
	s_waitcnt lgkmcnt(0)
	v_cmp_neq_f64_e32 vcc, 0, v[97:98]
	v_cmp_neq_f64_e64 s[2:3], 0, v[99:100]
	s_or_b64 s[2:3], vcc, s[2:3]
	s_and_b64 exec, exec, s[2:3]
	s_cbranch_execz .LBB89_89
; %bb.84:
	v_cmp_ngt_f64_e64 s[2:3], |v[97:98]|, |v[99:100]|
                                        ; implicit-def: $vgpr101_vgpr102
	s_and_saveexec_b64 s[6:7], s[2:3]
	s_xor_b64 s[2:3], exec, s[6:7]
                                        ; implicit-def: $vgpr103_vgpr104
	s_cbranch_execz .LBB89_86
; %bb.85:
	v_div_scale_f64 v[101:102], s[6:7], v[99:100], v[99:100], v[97:98]
	v_rcp_f64_e32 v[103:104], v[101:102]
	v_fma_f64 v[105:106], -v[101:102], v[103:104], 1.0
	v_fma_f64 v[103:104], v[103:104], v[105:106], v[103:104]
	v_div_scale_f64 v[105:106], vcc, v[97:98], v[99:100], v[97:98]
	v_fma_f64 v[107:108], -v[101:102], v[103:104], 1.0
	v_fma_f64 v[103:104], v[103:104], v[107:108], v[103:104]
	v_mul_f64 v[107:108], v[105:106], v[103:104]
	v_fma_f64 v[101:102], -v[101:102], v[107:108], v[105:106]
	v_div_fmas_f64 v[101:102], v[101:102], v[103:104], v[107:108]
	v_div_fixup_f64 v[101:102], v[101:102], v[99:100], v[97:98]
	v_fma_f64 v[97:98], v[97:98], v[101:102], v[99:100]
	v_div_scale_f64 v[99:100], s[6:7], v[97:98], v[97:98], 1.0
	v_div_scale_f64 v[107:108], vcc, 1.0, v[97:98], 1.0
	v_rcp_f64_e32 v[103:104], v[99:100]
	v_fma_f64 v[105:106], -v[99:100], v[103:104], 1.0
	v_fma_f64 v[103:104], v[103:104], v[105:106], v[103:104]
	v_fma_f64 v[105:106], -v[99:100], v[103:104], 1.0
	v_fma_f64 v[103:104], v[103:104], v[105:106], v[103:104]
	v_mul_f64 v[105:106], v[107:108], v[103:104]
	v_fma_f64 v[99:100], -v[99:100], v[105:106], v[107:108]
	v_div_fmas_f64 v[99:100], v[99:100], v[103:104], v[105:106]
	v_div_fixup_f64 v[103:104], v[99:100], v[97:98], 1.0
                                        ; implicit-def: $vgpr97_vgpr98
	v_mul_f64 v[101:102], v[101:102], v[103:104]
	v_xor_b32_e32 v104, 0x80000000, v104
.LBB89_86:
	s_andn2_saveexec_b64 s[2:3], s[2:3]
	s_cbranch_execz .LBB89_88
; %bb.87:
	v_div_scale_f64 v[101:102], s[6:7], v[97:98], v[97:98], v[99:100]
	v_rcp_f64_e32 v[103:104], v[101:102]
	v_fma_f64 v[105:106], -v[101:102], v[103:104], 1.0
	v_fma_f64 v[103:104], v[103:104], v[105:106], v[103:104]
	v_div_scale_f64 v[105:106], vcc, v[99:100], v[97:98], v[99:100]
	v_fma_f64 v[107:108], -v[101:102], v[103:104], 1.0
	v_fma_f64 v[103:104], v[103:104], v[107:108], v[103:104]
	v_mul_f64 v[107:108], v[105:106], v[103:104]
	v_fma_f64 v[101:102], -v[101:102], v[107:108], v[105:106]
	v_div_fmas_f64 v[101:102], v[101:102], v[103:104], v[107:108]
	v_div_fixup_f64 v[103:104], v[101:102], v[97:98], v[99:100]
	v_fma_f64 v[97:98], v[99:100], v[103:104], v[97:98]
	v_div_scale_f64 v[99:100], s[6:7], v[97:98], v[97:98], 1.0
	v_div_scale_f64 v[107:108], vcc, 1.0, v[97:98], 1.0
	v_rcp_f64_e32 v[101:102], v[99:100]
	v_fma_f64 v[105:106], -v[99:100], v[101:102], 1.0
	v_fma_f64 v[101:102], v[101:102], v[105:106], v[101:102]
	v_fma_f64 v[105:106], -v[99:100], v[101:102], 1.0
	v_fma_f64 v[101:102], v[101:102], v[105:106], v[101:102]
	v_mul_f64 v[105:106], v[107:108], v[101:102]
	v_fma_f64 v[99:100], -v[99:100], v[105:106], v[107:108]
	v_div_fmas_f64 v[99:100], v[99:100], v[101:102], v[105:106]
	v_div_fixup_f64 v[101:102], v[99:100], v[97:98], 1.0
	v_mul_f64 v[103:104], v[103:104], -v[101:102]
.LBB89_88:
	s_or_b64 exec, exec, s[2:3]
	ds_write2_b64 v127, v[101:102], v[103:104] offset1:1
.LBB89_89:
	s_or_b64 exec, exec, s[4:5]
	s_waitcnt lgkmcnt(0)
	s_barrier
	ds_read2_b64 v[65:68], v127 offset1:1
	v_cmp_lt_u32_e32 vcc, 9, v0
	s_waitcnt lgkmcnt(0)
	buffer_store_dword v65, off, s[20:23], 0 offset:864 ; 4-byte Folded Spill
	s_nop 0
	buffer_store_dword v66, off, s[20:23], 0 offset:868 ; 4-byte Folded Spill
	buffer_store_dword v67, off, s[20:23], 0 offset:872 ; 4-byte Folded Spill
	;; [unrolled: 1-line block ×3, first 2 shown]
	s_and_saveexec_b64 s[2:3], vcc
	s_cbranch_execz .LBB89_91
; %bb.90:
	buffer_load_dword v75, off, s[20:23], 0 offset:208 ; 4-byte Folded Reload
	buffer_load_dword v76, off, s[20:23], 0 offset:212 ; 4-byte Folded Reload
	;; [unrolled: 1-line block ×8, first 2 shown]
	s_waitcnt vmcnt(2)
	v_mul_f64 v[99:100], v[65:66], v[77:78]
	s_waitcnt vmcnt(0)
	v_mul_f64 v[97:98], v[67:68], v[77:78]
	v_fma_f64 v[77:78], v[67:68], v[75:76], v[99:100]
	ds_read2_b64 v[99:102], v125 offset0:20 offset1:21
	buffer_load_dword v69, off, s[20:23], 0 offset:192 ; 4-byte Folded Reload
	buffer_load_dword v70, off, s[20:23], 0 offset:196 ; 4-byte Folded Reload
	;; [unrolled: 1-line block ×4, first 2 shown]
	v_fma_f64 v[97:98], v[65:66], v[75:76], -v[97:98]
	s_waitcnt lgkmcnt(0)
	v_mul_f64 v[103:104], v[101:102], v[77:78]
	v_fma_f64 v[103:104], v[99:100], v[97:98], -v[103:104]
	v_mul_f64 v[99:100], v[99:100], v[77:78]
	v_fma_f64 v[99:100], v[101:102], v[97:98], v[99:100]
	s_waitcnt vmcnt(2)
	v_add_f64 v[69:70], v[69:70], -v[103:104]
	s_waitcnt vmcnt(0)
	v_add_f64 v[71:72], v[71:72], -v[99:100]
	buffer_store_dword v69, off, s[20:23], 0 offset:192 ; 4-byte Folded Spill
	s_nop 0
	buffer_store_dword v70, off, s[20:23], 0 offset:196 ; 4-byte Folded Spill
	buffer_store_dword v71, off, s[20:23], 0 offset:200 ; 4-byte Folded Spill
	buffer_store_dword v72, off, s[20:23], 0 offset:204 ; 4-byte Folded Spill
	ds_read2_b64 v[99:102], v125 offset0:22 offset1:23
	buffer_load_dword v69, off, s[20:23], 0 offset:176 ; 4-byte Folded Reload
	buffer_load_dword v70, off, s[20:23], 0 offset:180 ; 4-byte Folded Reload
	buffer_load_dword v71, off, s[20:23], 0 offset:184 ; 4-byte Folded Reload
	buffer_load_dword v72, off, s[20:23], 0 offset:188 ; 4-byte Folded Reload
	s_waitcnt lgkmcnt(0)
	v_mul_f64 v[103:104], v[101:102], v[77:78]
	v_fma_f64 v[103:104], v[99:100], v[97:98], -v[103:104]
	v_mul_f64 v[99:100], v[99:100], v[77:78]
	v_fma_f64 v[99:100], v[101:102], v[97:98], v[99:100]
	s_waitcnt vmcnt(2)
	v_add_f64 v[69:70], v[69:70], -v[103:104]
	s_waitcnt vmcnt(0)
	v_add_f64 v[71:72], v[71:72], -v[99:100]
	buffer_store_dword v69, off, s[20:23], 0 offset:176 ; 4-byte Folded Spill
	s_nop 0
	buffer_store_dword v70, off, s[20:23], 0 offset:180 ; 4-byte Folded Spill
	buffer_store_dword v71, off, s[20:23], 0 offset:184 ; 4-byte Folded Spill
	buffer_store_dword v72, off, s[20:23], 0 offset:188 ; 4-byte Folded Spill
	ds_read2_b64 v[99:102], v125 offset0:24 offset1:25
	buffer_load_dword v69, off, s[20:23], 0 offset:160 ; 4-byte Folded Reload
	buffer_load_dword v70, off, s[20:23], 0 offset:164 ; 4-byte Folded Reload
	buffer_load_dword v71, off, s[20:23], 0 offset:168 ; 4-byte Folded Reload
	buffer_load_dword v72, off, s[20:23], 0 offset:172 ; 4-byte Folded Reload
	;; [unrolled: 19-line block ×7, first 2 shown]
	s_waitcnt lgkmcnt(0)
	v_mul_f64 v[103:104], v[101:102], v[77:78]
	v_fma_f64 v[103:104], v[99:100], v[97:98], -v[103:104]
	v_mul_f64 v[99:100], v[99:100], v[77:78]
	v_fma_f64 v[99:100], v[101:102], v[97:98], v[99:100]
	s_waitcnt vmcnt(2)
	v_add_f64 v[69:70], v[69:70], -v[103:104]
	s_waitcnt vmcnt(0)
	v_add_f64 v[71:72], v[71:72], -v[99:100]
	buffer_store_dword v69, off, s[20:23], 0 offset:80 ; 4-byte Folded Spill
	s_nop 0
	buffer_store_dword v70, off, s[20:23], 0 offset:84 ; 4-byte Folded Spill
	buffer_store_dword v71, off, s[20:23], 0 offset:88 ; 4-byte Folded Spill
	;; [unrolled: 1-line block ×3, first 2 shown]
	ds_read2_b64 v[99:102], v125 offset0:36 offset1:37
	s_waitcnt lgkmcnt(0)
	v_mul_f64 v[103:104], v[101:102], v[77:78]
	v_fma_f64 v[103:104], v[99:100], v[97:98], -v[103:104]
	v_mul_f64 v[99:100], v[99:100], v[77:78]
	v_add_f64 v[117:118], v[117:118], -v[103:104]
	v_fma_f64 v[99:100], v[101:102], v[97:98], v[99:100]
	v_add_f64 v[119:120], v[119:120], -v[99:100]
	ds_read2_b64 v[99:102], v125 offset0:38 offset1:39
	s_waitcnt lgkmcnt(0)
	v_mul_f64 v[103:104], v[101:102], v[77:78]
	v_fma_f64 v[103:104], v[99:100], v[97:98], -v[103:104]
	v_mul_f64 v[99:100], v[99:100], v[77:78]
	v_add_f64 v[79:80], v[79:80], -v[103:104]
	v_fma_f64 v[99:100], v[101:102], v[97:98], v[99:100]
	v_add_f64 v[81:82], v[81:82], -v[99:100]
	;; [unrolled: 8-line block ×5, first 2 shown]
	ds_read2_b64 v[99:102], v125 offset0:46 offset1:47
	buffer_load_dword v73, off, s[20:23], 0 offset:64 ; 4-byte Folded Reload
	buffer_load_dword v74, off, s[20:23], 0 offset:68 ; 4-byte Folded Reload
	;; [unrolled: 1-line block ×4, first 2 shown]
	s_waitcnt lgkmcnt(0)
	v_mul_f64 v[103:104], v[101:102], v[77:78]
	v_fma_f64 v[103:104], v[99:100], v[97:98], -v[103:104]
	v_mul_f64 v[99:100], v[99:100], v[77:78]
	v_fma_f64 v[99:100], v[101:102], v[97:98], v[99:100]
	s_waitcnt vmcnt(2)
	v_add_f64 v[73:74], v[73:74], -v[103:104]
	s_waitcnt vmcnt(0)
	v_add_f64 v[75:76], v[75:76], -v[99:100]
	buffer_store_dword v73, off, s[20:23], 0 offset:64 ; 4-byte Folded Spill
	s_nop 0
	buffer_store_dword v74, off, s[20:23], 0 offset:68 ; 4-byte Folded Spill
	buffer_store_dword v75, off, s[20:23], 0 offset:72 ; 4-byte Folded Spill
	;; [unrolled: 1-line block ×3, first 2 shown]
	ds_read2_b64 v[99:102], v125 offset0:48 offset1:49
	s_waitcnt lgkmcnt(0)
	v_mul_f64 v[103:104], v[101:102], v[77:78]
	v_fma_f64 v[103:104], v[99:100], v[97:98], -v[103:104]
	v_mul_f64 v[99:100], v[99:100], v[77:78]
	v_add_f64 v[93:94], v[93:94], -v[103:104]
	v_fma_f64 v[99:100], v[101:102], v[97:98], v[99:100]
	v_add_f64 v[95:96], v[95:96], -v[99:100]
	ds_read2_b64 v[99:102], v125 offset0:50 offset1:51
	buffer_load_dword v73, off, s[20:23], 0 offset:32 ; 4-byte Folded Reload
	buffer_load_dword v74, off, s[20:23], 0 offset:36 ; 4-byte Folded Reload
	;; [unrolled: 1-line block ×4, first 2 shown]
	s_waitcnt lgkmcnt(0)
	v_mul_f64 v[103:104], v[101:102], v[77:78]
	v_fma_f64 v[103:104], v[99:100], v[97:98], -v[103:104]
	v_mul_f64 v[99:100], v[99:100], v[77:78]
	v_fma_f64 v[99:100], v[101:102], v[97:98], v[99:100]
	s_waitcnt vmcnt(2)
	v_add_f64 v[73:74], v[73:74], -v[103:104]
	s_waitcnt vmcnt(0)
	v_add_f64 v[75:76], v[75:76], -v[99:100]
	buffer_store_dword v73, off, s[20:23], 0 offset:32 ; 4-byte Folded Spill
	s_nop 0
	buffer_store_dword v74, off, s[20:23], 0 offset:36 ; 4-byte Folded Spill
	buffer_store_dword v75, off, s[20:23], 0 offset:40 ; 4-byte Folded Spill
	;; [unrolled: 1-line block ×3, first 2 shown]
	ds_read2_b64 v[99:102], v125 offset0:52 offset1:53
	buffer_load_dword v69, off, s[20:23], 0 offset:16 ; 4-byte Folded Reload
	buffer_load_dword v70, off, s[20:23], 0 offset:20 ; 4-byte Folded Reload
	;; [unrolled: 1-line block ×4, first 2 shown]
	v_mov_b32_e32 v75, v97
	v_mov_b32_e32 v76, v98
	s_waitcnt lgkmcnt(0)
	v_mul_f64 v[103:104], v[101:102], v[77:78]
	v_fma_f64 v[103:104], v[99:100], v[97:98], -v[103:104]
	v_mul_f64 v[99:100], v[99:100], v[77:78]
	v_fma_f64 v[99:100], v[101:102], v[97:98], v[99:100]
	s_waitcnt vmcnt(2)
	v_add_f64 v[69:70], v[69:70], -v[103:104]
	s_waitcnt vmcnt(0)
	v_add_f64 v[71:72], v[71:72], -v[99:100]
	buffer_store_dword v69, off, s[20:23], 0 offset:16 ; 4-byte Folded Spill
	s_nop 0
	buffer_store_dword v70, off, s[20:23], 0 offset:20 ; 4-byte Folded Spill
	buffer_store_dword v71, off, s[20:23], 0 offset:24 ; 4-byte Folded Spill
	;; [unrolled: 1-line block ×3, first 2 shown]
	ds_read2_b64 v[99:102], v125 offset0:54 offset1:55
	buffer_load_dword v65, off, s[20:23], 0 ; 4-byte Folded Reload
	buffer_load_dword v66, off, s[20:23], 0 offset:4 ; 4-byte Folded Reload
	buffer_load_dword v67, off, s[20:23], 0 offset:8 ; 4-byte Folded Reload
	;; [unrolled: 1-line block ×3, first 2 shown]
	s_waitcnt lgkmcnt(0)
	v_mul_f64 v[103:104], v[101:102], v[77:78]
	v_fma_f64 v[103:104], v[99:100], v[97:98], -v[103:104]
	v_mul_f64 v[99:100], v[99:100], v[77:78]
	v_fma_f64 v[99:100], v[101:102], v[97:98], v[99:100]
	s_waitcnt vmcnt(2)
	v_add_f64 v[65:66], v[65:66], -v[103:104]
	s_waitcnt vmcnt(0)
	v_add_f64 v[67:68], v[67:68], -v[99:100]
	buffer_store_dword v65, off, s[20:23], 0 ; 4-byte Folded Spill
	s_nop 0
	buffer_store_dword v66, off, s[20:23], 0 offset:4 ; 4-byte Folded Spill
	buffer_store_dword v67, off, s[20:23], 0 offset:8 ; 4-byte Folded Spill
	;; [unrolled: 1-line block ×3, first 2 shown]
	ds_read2_b64 v[99:102], v125 offset0:56 offset1:57
	s_waitcnt lgkmcnt(0)
	v_mul_f64 v[103:104], v[101:102], v[77:78]
	v_fma_f64 v[103:104], v[99:100], v[97:98], -v[103:104]
	v_mul_f64 v[99:100], v[99:100], v[77:78]
	v_add_f64 v[61:62], v[61:62], -v[103:104]
	v_fma_f64 v[99:100], v[101:102], v[97:98], v[99:100]
	v_add_f64 v[63:64], v[63:64], -v[99:100]
	ds_read2_b64 v[99:102], v125 offset0:58 offset1:59
	s_waitcnt lgkmcnt(0)
	v_mul_f64 v[103:104], v[101:102], v[77:78]
	v_fma_f64 v[103:104], v[99:100], v[97:98], -v[103:104]
	v_mul_f64 v[99:100], v[99:100], v[77:78]
	v_add_f64 v[57:58], v[57:58], -v[103:104]
	v_fma_f64 v[99:100], v[101:102], v[97:98], v[99:100]
	v_add_f64 v[59:60], v[59:60], -v[99:100]
	ds_read2_b64 v[99:102], v125 offset0:60 offset1:61
	s_waitcnt lgkmcnt(0)
	v_mul_f64 v[103:104], v[101:102], v[77:78]
	v_fma_f64 v[103:104], v[99:100], v[97:98], -v[103:104]
	v_mul_f64 v[99:100], v[99:100], v[77:78]
	v_add_f64 v[53:54], v[53:54], -v[103:104]
	v_fma_f64 v[99:100], v[101:102], v[97:98], v[99:100]
	v_add_f64 v[55:56], v[55:56], -v[99:100]
	ds_read2_b64 v[99:102], v125 offset0:62 offset1:63
	s_waitcnt lgkmcnt(0)
	v_mul_f64 v[103:104], v[101:102], v[77:78]
	v_fma_f64 v[103:104], v[99:100], v[97:98], -v[103:104]
	v_mul_f64 v[99:100], v[99:100], v[77:78]
	v_add_f64 v[49:50], v[49:50], -v[103:104]
	v_fma_f64 v[99:100], v[101:102], v[97:98], v[99:100]
	v_add_f64 v[51:52], v[51:52], -v[99:100]
	ds_read2_b64 v[99:102], v125 offset0:64 offset1:65
	s_waitcnt lgkmcnt(0)
	v_mul_f64 v[103:104], v[101:102], v[77:78]
	v_fma_f64 v[103:104], v[99:100], v[97:98], -v[103:104]
	v_mul_f64 v[99:100], v[99:100], v[77:78]
	v_add_f64 v[45:46], v[45:46], -v[103:104]
	v_fma_f64 v[99:100], v[101:102], v[97:98], v[99:100]
	v_add_f64 v[47:48], v[47:48], -v[99:100]
	ds_read2_b64 v[99:102], v125 offset0:66 offset1:67
	s_waitcnt lgkmcnt(0)
	v_mul_f64 v[103:104], v[101:102], v[77:78]
	v_fma_f64 v[103:104], v[99:100], v[97:98], -v[103:104]
	v_mul_f64 v[99:100], v[99:100], v[77:78]
	v_add_f64 v[41:42], v[41:42], -v[103:104]
	v_fma_f64 v[99:100], v[101:102], v[97:98], v[99:100]
	v_add_f64 v[43:44], v[43:44], -v[99:100]
	ds_read2_b64 v[99:102], v125 offset0:68 offset1:69
	s_waitcnt lgkmcnt(0)
	v_mul_f64 v[103:104], v[101:102], v[77:78]
	v_fma_f64 v[103:104], v[99:100], v[97:98], -v[103:104]
	v_mul_f64 v[99:100], v[99:100], v[77:78]
	v_add_f64 v[37:38], v[37:38], -v[103:104]
	v_fma_f64 v[99:100], v[101:102], v[97:98], v[99:100]
	v_add_f64 v[39:40], v[39:40], -v[99:100]
	ds_read2_b64 v[99:102], v125 offset0:70 offset1:71
	s_waitcnt lgkmcnt(0)
	v_mul_f64 v[103:104], v[101:102], v[77:78]
	v_fma_f64 v[103:104], v[99:100], v[97:98], -v[103:104]
	v_mul_f64 v[99:100], v[99:100], v[77:78]
	v_add_f64 v[33:34], v[33:34], -v[103:104]
	v_fma_f64 v[99:100], v[101:102], v[97:98], v[99:100]
	v_add_f64 v[35:36], v[35:36], -v[99:100]
	ds_read2_b64 v[99:102], v125 offset0:72 offset1:73
	s_waitcnt lgkmcnt(0)
	v_mul_f64 v[103:104], v[101:102], v[77:78]
	v_fma_f64 v[103:104], v[99:100], v[97:98], -v[103:104]
	v_mul_f64 v[99:100], v[99:100], v[77:78]
	v_add_f64 v[29:30], v[29:30], -v[103:104]
	v_fma_f64 v[99:100], v[101:102], v[97:98], v[99:100]
	v_add_f64 v[31:32], v[31:32], -v[99:100]
	ds_read2_b64 v[99:102], v125 offset0:74 offset1:75
	s_waitcnt lgkmcnt(0)
	v_mul_f64 v[103:104], v[101:102], v[77:78]
	v_fma_f64 v[103:104], v[99:100], v[97:98], -v[103:104]
	v_mul_f64 v[99:100], v[99:100], v[77:78]
	v_add_f64 v[25:26], v[25:26], -v[103:104]
	v_fma_f64 v[99:100], v[101:102], v[97:98], v[99:100]
	v_add_f64 v[27:28], v[27:28], -v[99:100]
	ds_read2_b64 v[99:102], v125 offset0:76 offset1:77
	s_waitcnt lgkmcnt(0)
	v_mul_f64 v[103:104], v[101:102], v[77:78]
	v_fma_f64 v[103:104], v[99:100], v[97:98], -v[103:104]
	v_mul_f64 v[99:100], v[99:100], v[77:78]
	v_add_f64 v[21:22], v[21:22], -v[103:104]
	v_fma_f64 v[99:100], v[101:102], v[97:98], v[99:100]
	v_add_f64 v[23:24], v[23:24], -v[99:100]
	ds_read2_b64 v[99:102], v125 offset0:78 offset1:79
	s_waitcnt lgkmcnt(0)
	v_mul_f64 v[103:104], v[101:102], v[77:78]
	v_fma_f64 v[103:104], v[99:100], v[97:98], -v[103:104]
	v_mul_f64 v[99:100], v[99:100], v[77:78]
	v_add_f64 v[17:18], v[17:18], -v[103:104]
	v_fma_f64 v[99:100], v[101:102], v[97:98], v[99:100]
	v_add_f64 v[19:20], v[19:20], -v[99:100]
	ds_read2_b64 v[99:102], v125 offset0:80 offset1:81
	s_waitcnt lgkmcnt(0)
	v_mul_f64 v[103:104], v[101:102], v[77:78]
	v_fma_f64 v[103:104], v[99:100], v[97:98], -v[103:104]
	v_mul_f64 v[99:100], v[99:100], v[77:78]
	v_add_f64 v[13:14], v[13:14], -v[103:104]
	v_fma_f64 v[99:100], v[101:102], v[97:98], v[99:100]
	v_add_f64 v[15:16], v[15:16], -v[99:100]
	ds_read2_b64 v[99:102], v125 offset0:82 offset1:83
	s_waitcnt lgkmcnt(0)
	v_mul_f64 v[103:104], v[101:102], v[77:78]
	v_fma_f64 v[103:104], v[99:100], v[97:98], -v[103:104]
	v_mul_f64 v[99:100], v[99:100], v[77:78]
	v_add_f64 v[9:10], v[9:10], -v[103:104]
	v_fma_f64 v[99:100], v[101:102], v[97:98], v[99:100]
	v_add_f64 v[11:12], v[11:12], -v[99:100]
	ds_read2_b64 v[99:102], v125 offset0:84 offset1:85
	s_waitcnt lgkmcnt(0)
	v_mul_f64 v[103:104], v[101:102], v[77:78]
	v_fma_f64 v[103:104], v[99:100], v[97:98], -v[103:104]
	v_mul_f64 v[99:100], v[99:100], v[77:78]
	v_add_f64 v[5:6], v[5:6], -v[103:104]
	v_fma_f64 v[99:100], v[101:102], v[97:98], v[99:100]
	v_add_f64 v[7:8], v[7:8], -v[99:100]
	ds_read2_b64 v[99:102], v125 offset0:86 offset1:87
	s_waitcnt lgkmcnt(0)
	v_mul_f64 v[103:104], v[101:102], v[77:78]
	v_fma_f64 v[103:104], v[99:100], v[97:98], -v[103:104]
	v_mul_f64 v[99:100], v[99:100], v[77:78]
	v_add_f64 v[1:2], v[1:2], -v[103:104]
	v_fma_f64 v[99:100], v[101:102], v[97:98], v[99:100]
	v_add_f64 v[3:4], v[3:4], -v[99:100]
	ds_read2_b64 v[99:102], v125 offset0:88 offset1:89
	buffer_load_dword v65, off, s[20:23], 0 offset:48 ; 4-byte Folded Reload
	buffer_load_dword v66, off, s[20:23], 0 offset:52 ; 4-byte Folded Reload
	;; [unrolled: 1-line block ×4, first 2 shown]
	s_waitcnt lgkmcnt(0)
	v_mul_f64 v[103:104], v[101:102], v[77:78]
	v_fma_f64 v[103:104], v[99:100], v[97:98], -v[103:104]
	v_mul_f64 v[99:100], v[99:100], v[77:78]
	v_fma_f64 v[99:100], v[101:102], v[97:98], v[99:100]
	s_waitcnt vmcnt(2)
	v_add_f64 v[65:66], v[65:66], -v[103:104]
	s_waitcnt vmcnt(0)
	v_add_f64 v[67:68], v[67:68], -v[99:100]
	buffer_store_dword v65, off, s[20:23], 0 offset:48 ; 4-byte Folded Spill
	s_nop 0
	buffer_store_dword v66, off, s[20:23], 0 offset:52 ; 4-byte Folded Spill
	buffer_store_dword v67, off, s[20:23], 0 offset:56 ; 4-byte Folded Spill
	;; [unrolled: 1-line block ×4, first 2 shown]
	s_nop 0
	buffer_store_dword v76, off, s[20:23], 0 offset:212 ; 4-byte Folded Spill
	buffer_store_dword v77, off, s[20:23], 0 offset:216 ; 4-byte Folded Spill
	buffer_store_dword v78, off, s[20:23], 0 offset:220 ; 4-byte Folded Spill
.LBB89_91:
	s_or_b64 exec, exec, s[2:3]
	v_cmp_eq_u32_e32 vcc, 10, v0
	s_waitcnt vmcnt(0)
	s_barrier
	s_and_saveexec_b64 s[4:5], vcc
	s_cbranch_execz .LBB89_98
; %bb.92:
	buffer_load_dword v69, off, s[20:23], 0 offset:192 ; 4-byte Folded Reload
	buffer_load_dword v70, off, s[20:23], 0 offset:196 ; 4-byte Folded Reload
	;; [unrolled: 1-line block ×4, first 2 shown]
	s_waitcnt vmcnt(0)
	ds_write2_b64 v127, v[69:70], v[71:72] offset1:1
	buffer_load_dword v69, off, s[20:23], 0 offset:176 ; 4-byte Folded Reload
	buffer_load_dword v70, off, s[20:23], 0 offset:180 ; 4-byte Folded Reload
	buffer_load_dword v71, off, s[20:23], 0 offset:184 ; 4-byte Folded Reload
	buffer_load_dword v72, off, s[20:23], 0 offset:188 ; 4-byte Folded Reload
	s_waitcnt vmcnt(0)
	ds_write2_b64 v125, v[69:70], v[71:72] offset0:22 offset1:23
	buffer_load_dword v69, off, s[20:23], 0 offset:160 ; 4-byte Folded Reload
	buffer_load_dword v70, off, s[20:23], 0 offset:164 ; 4-byte Folded Reload
	buffer_load_dword v71, off, s[20:23], 0 offset:168 ; 4-byte Folded Reload
	buffer_load_dword v72, off, s[20:23], 0 offset:172 ; 4-byte Folded Reload
	s_waitcnt vmcnt(0)
	ds_write2_b64 v125, v[69:70], v[71:72] offset0:24 offset1:25
	;; [unrolled: 6-line block ×7, first 2 shown]
	ds_write2_b64 v125, v[117:118], v[119:120] offset0:36 offset1:37
	ds_write2_b64 v125, v[79:80], v[81:82] offset0:38 offset1:39
	;; [unrolled: 1-line block ×5, first 2 shown]
	buffer_load_dword v73, off, s[20:23], 0 offset:64 ; 4-byte Folded Reload
	buffer_load_dword v74, off, s[20:23], 0 offset:68 ; 4-byte Folded Reload
	;; [unrolled: 1-line block ×4, first 2 shown]
	s_waitcnt vmcnt(0)
	ds_write2_b64 v125, v[73:74], v[75:76] offset0:46 offset1:47
	ds_write2_b64 v125, v[93:94], v[95:96] offset0:48 offset1:49
	buffer_load_dword v73, off, s[20:23], 0 offset:32 ; 4-byte Folded Reload
	buffer_load_dword v74, off, s[20:23], 0 offset:36 ; 4-byte Folded Reload
	;; [unrolled: 1-line block ×4, first 2 shown]
	s_waitcnt vmcnt(0)
	ds_write2_b64 v125, v[73:74], v[75:76] offset0:50 offset1:51
	buffer_load_dword v69, off, s[20:23], 0 offset:16 ; 4-byte Folded Reload
	buffer_load_dword v70, off, s[20:23], 0 offset:20 ; 4-byte Folded Reload
	;; [unrolled: 1-line block ×4, first 2 shown]
	s_waitcnt vmcnt(0)
	ds_write2_b64 v125, v[69:70], v[71:72] offset0:52 offset1:53
	buffer_load_dword v65, off, s[20:23], 0 ; 4-byte Folded Reload
	buffer_load_dword v66, off, s[20:23], 0 offset:4 ; 4-byte Folded Reload
	buffer_load_dword v67, off, s[20:23], 0 offset:8 ; 4-byte Folded Reload
	;; [unrolled: 1-line block ×3, first 2 shown]
	s_waitcnt vmcnt(0)
	ds_write2_b64 v125, v[65:66], v[67:68] offset0:54 offset1:55
	ds_write2_b64 v125, v[61:62], v[63:64] offset0:56 offset1:57
	;; [unrolled: 1-line block ×17, first 2 shown]
	buffer_load_dword v65, off, s[20:23], 0 offset:48 ; 4-byte Folded Reload
	buffer_load_dword v66, off, s[20:23], 0 offset:52 ; 4-byte Folded Reload
	;; [unrolled: 1-line block ×4, first 2 shown]
	s_waitcnt vmcnt(0)
	ds_write2_b64 v125, v[65:66], v[67:68] offset0:88 offset1:89
	ds_read2_b64 v[97:100], v127 offset1:1
	s_waitcnt lgkmcnt(0)
	v_cmp_neq_f64_e32 vcc, 0, v[97:98]
	v_cmp_neq_f64_e64 s[2:3], 0, v[99:100]
	s_or_b64 s[2:3], vcc, s[2:3]
	s_and_b64 exec, exec, s[2:3]
	s_cbranch_execz .LBB89_98
; %bb.93:
	v_cmp_ngt_f64_e64 s[2:3], |v[97:98]|, |v[99:100]|
                                        ; implicit-def: $vgpr101_vgpr102
	s_and_saveexec_b64 s[6:7], s[2:3]
	s_xor_b64 s[2:3], exec, s[6:7]
                                        ; implicit-def: $vgpr103_vgpr104
	s_cbranch_execz .LBB89_95
; %bb.94:
	v_div_scale_f64 v[101:102], s[6:7], v[99:100], v[99:100], v[97:98]
	v_rcp_f64_e32 v[103:104], v[101:102]
	v_fma_f64 v[105:106], -v[101:102], v[103:104], 1.0
	v_fma_f64 v[103:104], v[103:104], v[105:106], v[103:104]
	v_div_scale_f64 v[105:106], vcc, v[97:98], v[99:100], v[97:98]
	v_fma_f64 v[107:108], -v[101:102], v[103:104], 1.0
	v_fma_f64 v[103:104], v[103:104], v[107:108], v[103:104]
	v_mul_f64 v[107:108], v[105:106], v[103:104]
	v_fma_f64 v[101:102], -v[101:102], v[107:108], v[105:106]
	v_div_fmas_f64 v[101:102], v[101:102], v[103:104], v[107:108]
	v_div_fixup_f64 v[101:102], v[101:102], v[99:100], v[97:98]
	v_fma_f64 v[97:98], v[97:98], v[101:102], v[99:100]
	v_div_scale_f64 v[99:100], s[6:7], v[97:98], v[97:98], 1.0
	v_div_scale_f64 v[107:108], vcc, 1.0, v[97:98], 1.0
	v_rcp_f64_e32 v[103:104], v[99:100]
	v_fma_f64 v[105:106], -v[99:100], v[103:104], 1.0
	v_fma_f64 v[103:104], v[103:104], v[105:106], v[103:104]
	v_fma_f64 v[105:106], -v[99:100], v[103:104], 1.0
	v_fma_f64 v[103:104], v[103:104], v[105:106], v[103:104]
	v_mul_f64 v[105:106], v[107:108], v[103:104]
	v_fma_f64 v[99:100], -v[99:100], v[105:106], v[107:108]
	v_div_fmas_f64 v[99:100], v[99:100], v[103:104], v[105:106]
	v_div_fixup_f64 v[103:104], v[99:100], v[97:98], 1.0
                                        ; implicit-def: $vgpr97_vgpr98
	v_mul_f64 v[101:102], v[101:102], v[103:104]
	v_xor_b32_e32 v104, 0x80000000, v104
.LBB89_95:
	s_andn2_saveexec_b64 s[2:3], s[2:3]
	s_cbranch_execz .LBB89_97
; %bb.96:
	v_div_scale_f64 v[101:102], s[6:7], v[97:98], v[97:98], v[99:100]
	v_rcp_f64_e32 v[103:104], v[101:102]
	v_fma_f64 v[105:106], -v[101:102], v[103:104], 1.0
	v_fma_f64 v[103:104], v[103:104], v[105:106], v[103:104]
	v_div_scale_f64 v[105:106], vcc, v[99:100], v[97:98], v[99:100]
	v_fma_f64 v[107:108], -v[101:102], v[103:104], 1.0
	v_fma_f64 v[103:104], v[103:104], v[107:108], v[103:104]
	v_mul_f64 v[107:108], v[105:106], v[103:104]
	v_fma_f64 v[101:102], -v[101:102], v[107:108], v[105:106]
	v_div_fmas_f64 v[101:102], v[101:102], v[103:104], v[107:108]
	v_div_fixup_f64 v[103:104], v[101:102], v[97:98], v[99:100]
	v_fma_f64 v[97:98], v[99:100], v[103:104], v[97:98]
	v_div_scale_f64 v[99:100], s[6:7], v[97:98], v[97:98], 1.0
	v_div_scale_f64 v[107:108], vcc, 1.0, v[97:98], 1.0
	v_rcp_f64_e32 v[101:102], v[99:100]
	v_fma_f64 v[105:106], -v[99:100], v[101:102], 1.0
	v_fma_f64 v[101:102], v[101:102], v[105:106], v[101:102]
	v_fma_f64 v[105:106], -v[99:100], v[101:102], 1.0
	v_fma_f64 v[101:102], v[101:102], v[105:106], v[101:102]
	v_mul_f64 v[105:106], v[107:108], v[101:102]
	v_fma_f64 v[99:100], -v[99:100], v[105:106], v[107:108]
	v_div_fmas_f64 v[99:100], v[99:100], v[101:102], v[105:106]
	v_div_fixup_f64 v[101:102], v[99:100], v[97:98], 1.0
	v_mul_f64 v[103:104], v[103:104], -v[101:102]
.LBB89_97:
	s_or_b64 exec, exec, s[2:3]
	ds_write2_b64 v127, v[101:102], v[103:104] offset1:1
.LBB89_98:
	s_or_b64 exec, exec, s[4:5]
	s_waitcnt lgkmcnt(0)
	s_barrier
	ds_read2_b64 v[65:68], v127 offset1:1
	v_cmp_lt_u32_e32 vcc, 10, v0
	s_waitcnt lgkmcnt(0)
	buffer_store_dword v65, off, s[20:23], 0 offset:880 ; 4-byte Folded Spill
	s_nop 0
	buffer_store_dword v66, off, s[20:23], 0 offset:884 ; 4-byte Folded Spill
	buffer_store_dword v67, off, s[20:23], 0 offset:888 ; 4-byte Folded Spill
	;; [unrolled: 1-line block ×3, first 2 shown]
	s_and_saveexec_b64 s[2:3], vcc
	s_cbranch_execz .LBB89_100
; %bb.99:
	buffer_load_dword v75, off, s[20:23], 0 offset:192 ; 4-byte Folded Reload
	buffer_load_dword v76, off, s[20:23], 0 offset:196 ; 4-byte Folded Reload
	buffer_load_dword v77, off, s[20:23], 0 offset:200 ; 4-byte Folded Reload
	buffer_load_dword v78, off, s[20:23], 0 offset:204 ; 4-byte Folded Reload
	buffer_load_dword v65, off, s[20:23], 0 offset:880 ; 4-byte Folded Reload
	buffer_load_dword v66, off, s[20:23], 0 offset:884 ; 4-byte Folded Reload
	buffer_load_dword v67, off, s[20:23], 0 offset:888 ; 4-byte Folded Reload
	buffer_load_dword v68, off, s[20:23], 0 offset:892 ; 4-byte Folded Reload
	s_waitcnt vmcnt(2)
	v_mul_f64 v[99:100], v[65:66], v[77:78]
	s_waitcnt vmcnt(0)
	v_mul_f64 v[97:98], v[67:68], v[77:78]
	v_fma_f64 v[77:78], v[67:68], v[75:76], v[99:100]
	ds_read2_b64 v[99:102], v125 offset0:22 offset1:23
	buffer_load_dword v69, off, s[20:23], 0 offset:176 ; 4-byte Folded Reload
	buffer_load_dword v70, off, s[20:23], 0 offset:180 ; 4-byte Folded Reload
	;; [unrolled: 1-line block ×4, first 2 shown]
	v_fma_f64 v[97:98], v[65:66], v[75:76], -v[97:98]
	s_waitcnt lgkmcnt(0)
	v_mul_f64 v[103:104], v[101:102], v[77:78]
	v_fma_f64 v[103:104], v[99:100], v[97:98], -v[103:104]
	v_mul_f64 v[99:100], v[99:100], v[77:78]
	v_fma_f64 v[99:100], v[101:102], v[97:98], v[99:100]
	s_waitcnt vmcnt(2)
	v_add_f64 v[69:70], v[69:70], -v[103:104]
	s_waitcnt vmcnt(0)
	v_add_f64 v[71:72], v[71:72], -v[99:100]
	buffer_store_dword v69, off, s[20:23], 0 offset:176 ; 4-byte Folded Spill
	s_nop 0
	buffer_store_dword v70, off, s[20:23], 0 offset:180 ; 4-byte Folded Spill
	buffer_store_dword v71, off, s[20:23], 0 offset:184 ; 4-byte Folded Spill
	buffer_store_dword v72, off, s[20:23], 0 offset:188 ; 4-byte Folded Spill
	ds_read2_b64 v[99:102], v125 offset0:24 offset1:25
	buffer_load_dword v69, off, s[20:23], 0 offset:160 ; 4-byte Folded Reload
	buffer_load_dword v70, off, s[20:23], 0 offset:164 ; 4-byte Folded Reload
	buffer_load_dword v71, off, s[20:23], 0 offset:168 ; 4-byte Folded Reload
	buffer_load_dword v72, off, s[20:23], 0 offset:172 ; 4-byte Folded Reload
	s_waitcnt lgkmcnt(0)
	v_mul_f64 v[103:104], v[101:102], v[77:78]
	v_fma_f64 v[103:104], v[99:100], v[97:98], -v[103:104]
	v_mul_f64 v[99:100], v[99:100], v[77:78]
	v_fma_f64 v[99:100], v[101:102], v[97:98], v[99:100]
	s_waitcnt vmcnt(2)
	v_add_f64 v[69:70], v[69:70], -v[103:104]
	s_waitcnt vmcnt(0)
	v_add_f64 v[71:72], v[71:72], -v[99:100]
	buffer_store_dword v69, off, s[20:23], 0 offset:160 ; 4-byte Folded Spill
	s_nop 0
	buffer_store_dword v70, off, s[20:23], 0 offset:164 ; 4-byte Folded Spill
	buffer_store_dword v71, off, s[20:23], 0 offset:168 ; 4-byte Folded Spill
	buffer_store_dword v72, off, s[20:23], 0 offset:172 ; 4-byte Folded Spill
	ds_read2_b64 v[99:102], v125 offset0:26 offset1:27
	buffer_load_dword v69, off, s[20:23], 0 offset:144 ; 4-byte Folded Reload
	buffer_load_dword v70, off, s[20:23], 0 offset:148 ; 4-byte Folded Reload
	buffer_load_dword v71, off, s[20:23], 0 offset:152 ; 4-byte Folded Reload
	buffer_load_dword v72, off, s[20:23], 0 offset:156 ; 4-byte Folded Reload
	;; [unrolled: 19-line block ×6, first 2 shown]
	s_waitcnt lgkmcnt(0)
	v_mul_f64 v[103:104], v[101:102], v[77:78]
	v_fma_f64 v[103:104], v[99:100], v[97:98], -v[103:104]
	v_mul_f64 v[99:100], v[99:100], v[77:78]
	v_fma_f64 v[99:100], v[101:102], v[97:98], v[99:100]
	s_waitcnt vmcnt(2)
	v_add_f64 v[69:70], v[69:70], -v[103:104]
	s_waitcnt vmcnt(0)
	v_add_f64 v[71:72], v[71:72], -v[99:100]
	buffer_store_dword v69, off, s[20:23], 0 offset:80 ; 4-byte Folded Spill
	s_nop 0
	buffer_store_dword v70, off, s[20:23], 0 offset:84 ; 4-byte Folded Spill
	buffer_store_dword v71, off, s[20:23], 0 offset:88 ; 4-byte Folded Spill
	;; [unrolled: 1-line block ×3, first 2 shown]
	ds_read2_b64 v[99:102], v125 offset0:36 offset1:37
	s_waitcnt lgkmcnt(0)
	v_mul_f64 v[103:104], v[101:102], v[77:78]
	v_fma_f64 v[103:104], v[99:100], v[97:98], -v[103:104]
	v_mul_f64 v[99:100], v[99:100], v[77:78]
	v_add_f64 v[117:118], v[117:118], -v[103:104]
	v_fma_f64 v[99:100], v[101:102], v[97:98], v[99:100]
	v_add_f64 v[119:120], v[119:120], -v[99:100]
	ds_read2_b64 v[99:102], v125 offset0:38 offset1:39
	s_waitcnt lgkmcnt(0)
	v_mul_f64 v[103:104], v[101:102], v[77:78]
	v_fma_f64 v[103:104], v[99:100], v[97:98], -v[103:104]
	v_mul_f64 v[99:100], v[99:100], v[77:78]
	v_add_f64 v[79:80], v[79:80], -v[103:104]
	v_fma_f64 v[99:100], v[101:102], v[97:98], v[99:100]
	v_add_f64 v[81:82], v[81:82], -v[99:100]
	;; [unrolled: 8-line block ×5, first 2 shown]
	ds_read2_b64 v[99:102], v125 offset0:46 offset1:47
	buffer_load_dword v73, off, s[20:23], 0 offset:64 ; 4-byte Folded Reload
	buffer_load_dword v74, off, s[20:23], 0 offset:68 ; 4-byte Folded Reload
	;; [unrolled: 1-line block ×4, first 2 shown]
	s_waitcnt lgkmcnt(0)
	v_mul_f64 v[103:104], v[101:102], v[77:78]
	v_fma_f64 v[103:104], v[99:100], v[97:98], -v[103:104]
	v_mul_f64 v[99:100], v[99:100], v[77:78]
	v_fma_f64 v[99:100], v[101:102], v[97:98], v[99:100]
	s_waitcnt vmcnt(2)
	v_add_f64 v[73:74], v[73:74], -v[103:104]
	s_waitcnt vmcnt(0)
	v_add_f64 v[75:76], v[75:76], -v[99:100]
	buffer_store_dword v73, off, s[20:23], 0 offset:64 ; 4-byte Folded Spill
	s_nop 0
	buffer_store_dword v74, off, s[20:23], 0 offset:68 ; 4-byte Folded Spill
	buffer_store_dword v75, off, s[20:23], 0 offset:72 ; 4-byte Folded Spill
	;; [unrolled: 1-line block ×3, first 2 shown]
	ds_read2_b64 v[99:102], v125 offset0:48 offset1:49
	s_waitcnt lgkmcnt(0)
	v_mul_f64 v[103:104], v[101:102], v[77:78]
	v_fma_f64 v[103:104], v[99:100], v[97:98], -v[103:104]
	v_mul_f64 v[99:100], v[99:100], v[77:78]
	v_add_f64 v[93:94], v[93:94], -v[103:104]
	v_fma_f64 v[99:100], v[101:102], v[97:98], v[99:100]
	v_add_f64 v[95:96], v[95:96], -v[99:100]
	ds_read2_b64 v[99:102], v125 offset0:50 offset1:51
	buffer_load_dword v73, off, s[20:23], 0 offset:32 ; 4-byte Folded Reload
	buffer_load_dword v74, off, s[20:23], 0 offset:36 ; 4-byte Folded Reload
	;; [unrolled: 1-line block ×4, first 2 shown]
	s_waitcnt lgkmcnt(0)
	v_mul_f64 v[103:104], v[101:102], v[77:78]
	v_fma_f64 v[103:104], v[99:100], v[97:98], -v[103:104]
	v_mul_f64 v[99:100], v[99:100], v[77:78]
	v_fma_f64 v[99:100], v[101:102], v[97:98], v[99:100]
	s_waitcnt vmcnt(2)
	v_add_f64 v[73:74], v[73:74], -v[103:104]
	s_waitcnt vmcnt(0)
	v_add_f64 v[75:76], v[75:76], -v[99:100]
	buffer_store_dword v73, off, s[20:23], 0 offset:32 ; 4-byte Folded Spill
	s_nop 0
	buffer_store_dword v74, off, s[20:23], 0 offset:36 ; 4-byte Folded Spill
	buffer_store_dword v75, off, s[20:23], 0 offset:40 ; 4-byte Folded Spill
	;; [unrolled: 1-line block ×3, first 2 shown]
	ds_read2_b64 v[99:102], v125 offset0:52 offset1:53
	buffer_load_dword v69, off, s[20:23], 0 offset:16 ; 4-byte Folded Reload
	buffer_load_dword v70, off, s[20:23], 0 offset:20 ; 4-byte Folded Reload
	;; [unrolled: 1-line block ×4, first 2 shown]
	v_mov_b32_e32 v75, v97
	v_mov_b32_e32 v76, v98
	s_waitcnt lgkmcnt(0)
	v_mul_f64 v[103:104], v[101:102], v[77:78]
	v_fma_f64 v[103:104], v[99:100], v[97:98], -v[103:104]
	v_mul_f64 v[99:100], v[99:100], v[77:78]
	v_fma_f64 v[99:100], v[101:102], v[97:98], v[99:100]
	s_waitcnt vmcnt(2)
	v_add_f64 v[69:70], v[69:70], -v[103:104]
	s_waitcnt vmcnt(0)
	v_add_f64 v[71:72], v[71:72], -v[99:100]
	buffer_store_dword v69, off, s[20:23], 0 offset:16 ; 4-byte Folded Spill
	s_nop 0
	buffer_store_dword v70, off, s[20:23], 0 offset:20 ; 4-byte Folded Spill
	buffer_store_dword v71, off, s[20:23], 0 offset:24 ; 4-byte Folded Spill
	;; [unrolled: 1-line block ×3, first 2 shown]
	ds_read2_b64 v[99:102], v125 offset0:54 offset1:55
	buffer_load_dword v65, off, s[20:23], 0 ; 4-byte Folded Reload
	buffer_load_dword v66, off, s[20:23], 0 offset:4 ; 4-byte Folded Reload
	buffer_load_dword v67, off, s[20:23], 0 offset:8 ; 4-byte Folded Reload
	;; [unrolled: 1-line block ×3, first 2 shown]
	s_waitcnt lgkmcnt(0)
	v_mul_f64 v[103:104], v[101:102], v[77:78]
	v_fma_f64 v[103:104], v[99:100], v[97:98], -v[103:104]
	v_mul_f64 v[99:100], v[99:100], v[77:78]
	v_fma_f64 v[99:100], v[101:102], v[97:98], v[99:100]
	s_waitcnt vmcnt(2)
	v_add_f64 v[65:66], v[65:66], -v[103:104]
	s_waitcnt vmcnt(0)
	v_add_f64 v[67:68], v[67:68], -v[99:100]
	buffer_store_dword v65, off, s[20:23], 0 ; 4-byte Folded Spill
	s_nop 0
	buffer_store_dword v66, off, s[20:23], 0 offset:4 ; 4-byte Folded Spill
	buffer_store_dword v67, off, s[20:23], 0 offset:8 ; 4-byte Folded Spill
	;; [unrolled: 1-line block ×3, first 2 shown]
	ds_read2_b64 v[99:102], v125 offset0:56 offset1:57
	s_waitcnt lgkmcnt(0)
	v_mul_f64 v[103:104], v[101:102], v[77:78]
	v_fma_f64 v[103:104], v[99:100], v[97:98], -v[103:104]
	v_mul_f64 v[99:100], v[99:100], v[77:78]
	v_add_f64 v[61:62], v[61:62], -v[103:104]
	v_fma_f64 v[99:100], v[101:102], v[97:98], v[99:100]
	v_add_f64 v[63:64], v[63:64], -v[99:100]
	ds_read2_b64 v[99:102], v125 offset0:58 offset1:59
	s_waitcnt lgkmcnt(0)
	v_mul_f64 v[103:104], v[101:102], v[77:78]
	v_fma_f64 v[103:104], v[99:100], v[97:98], -v[103:104]
	v_mul_f64 v[99:100], v[99:100], v[77:78]
	v_add_f64 v[57:58], v[57:58], -v[103:104]
	v_fma_f64 v[99:100], v[101:102], v[97:98], v[99:100]
	v_add_f64 v[59:60], v[59:60], -v[99:100]
	;; [unrolled: 8-line block ×16, first 2 shown]
	ds_read2_b64 v[99:102], v125 offset0:88 offset1:89
	buffer_load_dword v65, off, s[20:23], 0 offset:48 ; 4-byte Folded Reload
	buffer_load_dword v66, off, s[20:23], 0 offset:52 ; 4-byte Folded Reload
	;; [unrolled: 1-line block ×4, first 2 shown]
	s_waitcnt lgkmcnt(0)
	v_mul_f64 v[103:104], v[101:102], v[77:78]
	v_fma_f64 v[103:104], v[99:100], v[97:98], -v[103:104]
	v_mul_f64 v[99:100], v[99:100], v[77:78]
	v_fma_f64 v[99:100], v[101:102], v[97:98], v[99:100]
	s_waitcnt vmcnt(2)
	v_add_f64 v[65:66], v[65:66], -v[103:104]
	s_waitcnt vmcnt(0)
	v_add_f64 v[67:68], v[67:68], -v[99:100]
	buffer_store_dword v65, off, s[20:23], 0 offset:48 ; 4-byte Folded Spill
	s_nop 0
	buffer_store_dword v66, off, s[20:23], 0 offset:52 ; 4-byte Folded Spill
	buffer_store_dword v67, off, s[20:23], 0 offset:56 ; 4-byte Folded Spill
	;; [unrolled: 1-line block ×4, first 2 shown]
	s_nop 0
	buffer_store_dword v76, off, s[20:23], 0 offset:196 ; 4-byte Folded Spill
	buffer_store_dword v77, off, s[20:23], 0 offset:200 ; 4-byte Folded Spill
	;; [unrolled: 1-line block ×3, first 2 shown]
.LBB89_100:
	s_or_b64 exec, exec, s[2:3]
	v_cmp_eq_u32_e32 vcc, 11, v0
	s_waitcnt vmcnt(0)
	s_barrier
	s_and_saveexec_b64 s[4:5], vcc
	s_cbranch_execz .LBB89_107
; %bb.101:
	buffer_load_dword v69, off, s[20:23], 0 offset:176 ; 4-byte Folded Reload
	buffer_load_dword v70, off, s[20:23], 0 offset:180 ; 4-byte Folded Reload
	;; [unrolled: 1-line block ×4, first 2 shown]
	s_waitcnt vmcnt(0)
	ds_write2_b64 v127, v[69:70], v[71:72] offset1:1
	buffer_load_dword v69, off, s[20:23], 0 offset:160 ; 4-byte Folded Reload
	buffer_load_dword v70, off, s[20:23], 0 offset:164 ; 4-byte Folded Reload
	buffer_load_dword v71, off, s[20:23], 0 offset:168 ; 4-byte Folded Reload
	buffer_load_dword v72, off, s[20:23], 0 offset:172 ; 4-byte Folded Reload
	s_waitcnt vmcnt(0)
	ds_write2_b64 v125, v[69:70], v[71:72] offset0:24 offset1:25
	buffer_load_dword v69, off, s[20:23], 0 offset:144 ; 4-byte Folded Reload
	buffer_load_dword v70, off, s[20:23], 0 offset:148 ; 4-byte Folded Reload
	buffer_load_dword v71, off, s[20:23], 0 offset:152 ; 4-byte Folded Reload
	buffer_load_dword v72, off, s[20:23], 0 offset:156 ; 4-byte Folded Reload
	s_waitcnt vmcnt(0)
	ds_write2_b64 v125, v[69:70], v[71:72] offset0:26 offset1:27
	;; [unrolled: 6-line block ×6, first 2 shown]
	ds_write2_b64 v125, v[117:118], v[119:120] offset0:36 offset1:37
	ds_write2_b64 v125, v[79:80], v[81:82] offset0:38 offset1:39
	;; [unrolled: 1-line block ×5, first 2 shown]
	buffer_load_dword v73, off, s[20:23], 0 offset:64 ; 4-byte Folded Reload
	buffer_load_dword v74, off, s[20:23], 0 offset:68 ; 4-byte Folded Reload
	;; [unrolled: 1-line block ×4, first 2 shown]
	s_waitcnt vmcnt(0)
	ds_write2_b64 v125, v[73:74], v[75:76] offset0:46 offset1:47
	ds_write2_b64 v125, v[93:94], v[95:96] offset0:48 offset1:49
	buffer_load_dword v73, off, s[20:23], 0 offset:32 ; 4-byte Folded Reload
	buffer_load_dword v74, off, s[20:23], 0 offset:36 ; 4-byte Folded Reload
	;; [unrolled: 1-line block ×4, first 2 shown]
	s_waitcnt vmcnt(0)
	ds_write2_b64 v125, v[73:74], v[75:76] offset0:50 offset1:51
	buffer_load_dword v69, off, s[20:23], 0 offset:16 ; 4-byte Folded Reload
	buffer_load_dword v70, off, s[20:23], 0 offset:20 ; 4-byte Folded Reload
	;; [unrolled: 1-line block ×4, first 2 shown]
	s_waitcnt vmcnt(0)
	ds_write2_b64 v125, v[69:70], v[71:72] offset0:52 offset1:53
	buffer_load_dword v65, off, s[20:23], 0 ; 4-byte Folded Reload
	buffer_load_dword v66, off, s[20:23], 0 offset:4 ; 4-byte Folded Reload
	buffer_load_dword v67, off, s[20:23], 0 offset:8 ; 4-byte Folded Reload
	;; [unrolled: 1-line block ×3, first 2 shown]
	s_waitcnt vmcnt(0)
	ds_write2_b64 v125, v[65:66], v[67:68] offset0:54 offset1:55
	ds_write2_b64 v125, v[61:62], v[63:64] offset0:56 offset1:57
	;; [unrolled: 1-line block ×17, first 2 shown]
	buffer_load_dword v65, off, s[20:23], 0 offset:48 ; 4-byte Folded Reload
	buffer_load_dword v66, off, s[20:23], 0 offset:52 ; 4-byte Folded Reload
	;; [unrolled: 1-line block ×4, first 2 shown]
	s_waitcnt vmcnt(0)
	ds_write2_b64 v125, v[65:66], v[67:68] offset0:88 offset1:89
	ds_read2_b64 v[97:100], v127 offset1:1
	s_waitcnt lgkmcnt(0)
	v_cmp_neq_f64_e32 vcc, 0, v[97:98]
	v_cmp_neq_f64_e64 s[2:3], 0, v[99:100]
	s_or_b64 s[2:3], vcc, s[2:3]
	s_and_b64 exec, exec, s[2:3]
	s_cbranch_execz .LBB89_107
; %bb.102:
	v_cmp_ngt_f64_e64 s[2:3], |v[97:98]|, |v[99:100]|
                                        ; implicit-def: $vgpr101_vgpr102
	s_and_saveexec_b64 s[6:7], s[2:3]
	s_xor_b64 s[2:3], exec, s[6:7]
                                        ; implicit-def: $vgpr103_vgpr104
	s_cbranch_execz .LBB89_104
; %bb.103:
	v_div_scale_f64 v[101:102], s[6:7], v[99:100], v[99:100], v[97:98]
	v_rcp_f64_e32 v[103:104], v[101:102]
	v_fma_f64 v[105:106], -v[101:102], v[103:104], 1.0
	v_fma_f64 v[103:104], v[103:104], v[105:106], v[103:104]
	v_div_scale_f64 v[105:106], vcc, v[97:98], v[99:100], v[97:98]
	v_fma_f64 v[107:108], -v[101:102], v[103:104], 1.0
	v_fma_f64 v[103:104], v[103:104], v[107:108], v[103:104]
	v_mul_f64 v[107:108], v[105:106], v[103:104]
	v_fma_f64 v[101:102], -v[101:102], v[107:108], v[105:106]
	v_div_fmas_f64 v[101:102], v[101:102], v[103:104], v[107:108]
	v_div_fixup_f64 v[101:102], v[101:102], v[99:100], v[97:98]
	v_fma_f64 v[97:98], v[97:98], v[101:102], v[99:100]
	v_div_scale_f64 v[99:100], s[6:7], v[97:98], v[97:98], 1.0
	v_div_scale_f64 v[107:108], vcc, 1.0, v[97:98], 1.0
	v_rcp_f64_e32 v[103:104], v[99:100]
	v_fma_f64 v[105:106], -v[99:100], v[103:104], 1.0
	v_fma_f64 v[103:104], v[103:104], v[105:106], v[103:104]
	v_fma_f64 v[105:106], -v[99:100], v[103:104], 1.0
	v_fma_f64 v[103:104], v[103:104], v[105:106], v[103:104]
	v_mul_f64 v[105:106], v[107:108], v[103:104]
	v_fma_f64 v[99:100], -v[99:100], v[105:106], v[107:108]
	v_div_fmas_f64 v[99:100], v[99:100], v[103:104], v[105:106]
	v_div_fixup_f64 v[103:104], v[99:100], v[97:98], 1.0
                                        ; implicit-def: $vgpr97_vgpr98
	v_mul_f64 v[101:102], v[101:102], v[103:104]
	v_xor_b32_e32 v104, 0x80000000, v104
.LBB89_104:
	s_andn2_saveexec_b64 s[2:3], s[2:3]
	s_cbranch_execz .LBB89_106
; %bb.105:
	v_div_scale_f64 v[101:102], s[6:7], v[97:98], v[97:98], v[99:100]
	v_rcp_f64_e32 v[103:104], v[101:102]
	v_fma_f64 v[105:106], -v[101:102], v[103:104], 1.0
	v_fma_f64 v[103:104], v[103:104], v[105:106], v[103:104]
	v_div_scale_f64 v[105:106], vcc, v[99:100], v[97:98], v[99:100]
	v_fma_f64 v[107:108], -v[101:102], v[103:104], 1.0
	v_fma_f64 v[103:104], v[103:104], v[107:108], v[103:104]
	v_mul_f64 v[107:108], v[105:106], v[103:104]
	v_fma_f64 v[101:102], -v[101:102], v[107:108], v[105:106]
	v_div_fmas_f64 v[101:102], v[101:102], v[103:104], v[107:108]
	v_div_fixup_f64 v[103:104], v[101:102], v[97:98], v[99:100]
	v_fma_f64 v[97:98], v[99:100], v[103:104], v[97:98]
	v_div_scale_f64 v[99:100], s[6:7], v[97:98], v[97:98], 1.0
	v_div_scale_f64 v[107:108], vcc, 1.0, v[97:98], 1.0
	v_rcp_f64_e32 v[101:102], v[99:100]
	v_fma_f64 v[105:106], -v[99:100], v[101:102], 1.0
	v_fma_f64 v[101:102], v[101:102], v[105:106], v[101:102]
	v_fma_f64 v[105:106], -v[99:100], v[101:102], 1.0
	v_fma_f64 v[101:102], v[101:102], v[105:106], v[101:102]
	v_mul_f64 v[105:106], v[107:108], v[101:102]
	v_fma_f64 v[99:100], -v[99:100], v[105:106], v[107:108]
	v_div_fmas_f64 v[99:100], v[99:100], v[101:102], v[105:106]
	v_div_fixup_f64 v[101:102], v[99:100], v[97:98], 1.0
	v_mul_f64 v[103:104], v[103:104], -v[101:102]
.LBB89_106:
	s_or_b64 exec, exec, s[2:3]
	ds_write2_b64 v127, v[101:102], v[103:104] offset1:1
.LBB89_107:
	s_or_b64 exec, exec, s[4:5]
	s_waitcnt lgkmcnt(0)
	s_barrier
	ds_read2_b64 v[65:68], v127 offset1:1
	v_cmp_lt_u32_e32 vcc, 11, v0
	s_waitcnt lgkmcnt(0)
	buffer_store_dword v65, off, s[20:23], 0 offset:896 ; 4-byte Folded Spill
	s_nop 0
	buffer_store_dword v66, off, s[20:23], 0 offset:900 ; 4-byte Folded Spill
	buffer_store_dword v67, off, s[20:23], 0 offset:904 ; 4-byte Folded Spill
	;; [unrolled: 1-line block ×3, first 2 shown]
	s_and_saveexec_b64 s[2:3], vcc
	s_cbranch_execz .LBB89_109
; %bb.108:
	buffer_load_dword v75, off, s[20:23], 0 offset:176 ; 4-byte Folded Reload
	buffer_load_dword v76, off, s[20:23], 0 offset:180 ; 4-byte Folded Reload
	;; [unrolled: 1-line block ×8, first 2 shown]
	s_waitcnt vmcnt(2)
	v_mul_f64 v[99:100], v[65:66], v[77:78]
	s_waitcnt vmcnt(0)
	v_mul_f64 v[97:98], v[67:68], v[77:78]
	v_fma_f64 v[77:78], v[67:68], v[75:76], v[99:100]
	ds_read2_b64 v[99:102], v125 offset0:24 offset1:25
	buffer_load_dword v69, off, s[20:23], 0 offset:160 ; 4-byte Folded Reload
	buffer_load_dword v70, off, s[20:23], 0 offset:164 ; 4-byte Folded Reload
	;; [unrolled: 1-line block ×4, first 2 shown]
	v_fma_f64 v[97:98], v[65:66], v[75:76], -v[97:98]
	s_waitcnt lgkmcnt(0)
	v_mul_f64 v[103:104], v[101:102], v[77:78]
	v_fma_f64 v[103:104], v[99:100], v[97:98], -v[103:104]
	v_mul_f64 v[99:100], v[99:100], v[77:78]
	v_fma_f64 v[99:100], v[101:102], v[97:98], v[99:100]
	s_waitcnt vmcnt(2)
	v_add_f64 v[69:70], v[69:70], -v[103:104]
	s_waitcnt vmcnt(0)
	v_add_f64 v[71:72], v[71:72], -v[99:100]
	buffer_store_dword v69, off, s[20:23], 0 offset:160 ; 4-byte Folded Spill
	s_nop 0
	buffer_store_dword v70, off, s[20:23], 0 offset:164 ; 4-byte Folded Spill
	buffer_store_dword v71, off, s[20:23], 0 offset:168 ; 4-byte Folded Spill
	buffer_store_dword v72, off, s[20:23], 0 offset:172 ; 4-byte Folded Spill
	ds_read2_b64 v[99:102], v125 offset0:26 offset1:27
	buffer_load_dword v69, off, s[20:23], 0 offset:144 ; 4-byte Folded Reload
	buffer_load_dword v70, off, s[20:23], 0 offset:148 ; 4-byte Folded Reload
	buffer_load_dword v71, off, s[20:23], 0 offset:152 ; 4-byte Folded Reload
	buffer_load_dword v72, off, s[20:23], 0 offset:156 ; 4-byte Folded Reload
	s_waitcnt lgkmcnt(0)
	v_mul_f64 v[103:104], v[101:102], v[77:78]
	v_fma_f64 v[103:104], v[99:100], v[97:98], -v[103:104]
	v_mul_f64 v[99:100], v[99:100], v[77:78]
	v_fma_f64 v[99:100], v[101:102], v[97:98], v[99:100]
	s_waitcnt vmcnt(2)
	v_add_f64 v[69:70], v[69:70], -v[103:104]
	s_waitcnt vmcnt(0)
	v_add_f64 v[71:72], v[71:72], -v[99:100]
	buffer_store_dword v69, off, s[20:23], 0 offset:144 ; 4-byte Folded Spill
	s_nop 0
	buffer_store_dword v70, off, s[20:23], 0 offset:148 ; 4-byte Folded Spill
	buffer_store_dword v71, off, s[20:23], 0 offset:152 ; 4-byte Folded Spill
	buffer_store_dword v72, off, s[20:23], 0 offset:156 ; 4-byte Folded Spill
	ds_read2_b64 v[99:102], v125 offset0:28 offset1:29
	buffer_load_dword v69, off, s[20:23], 0 offset:128 ; 4-byte Folded Reload
	buffer_load_dword v70, off, s[20:23], 0 offset:132 ; 4-byte Folded Reload
	buffer_load_dword v71, off, s[20:23], 0 offset:136 ; 4-byte Folded Reload
	buffer_load_dword v72, off, s[20:23], 0 offset:140 ; 4-byte Folded Reload
	;; [unrolled: 19-line block ×5, first 2 shown]
	s_waitcnt lgkmcnt(0)
	v_mul_f64 v[103:104], v[101:102], v[77:78]
	v_fma_f64 v[103:104], v[99:100], v[97:98], -v[103:104]
	v_mul_f64 v[99:100], v[99:100], v[77:78]
	v_fma_f64 v[99:100], v[101:102], v[97:98], v[99:100]
	s_waitcnt vmcnt(2)
	v_add_f64 v[69:70], v[69:70], -v[103:104]
	s_waitcnt vmcnt(0)
	v_add_f64 v[71:72], v[71:72], -v[99:100]
	buffer_store_dword v69, off, s[20:23], 0 offset:80 ; 4-byte Folded Spill
	s_nop 0
	buffer_store_dword v70, off, s[20:23], 0 offset:84 ; 4-byte Folded Spill
	buffer_store_dword v71, off, s[20:23], 0 offset:88 ; 4-byte Folded Spill
	;; [unrolled: 1-line block ×3, first 2 shown]
	ds_read2_b64 v[99:102], v125 offset0:36 offset1:37
	s_waitcnt lgkmcnt(0)
	v_mul_f64 v[103:104], v[101:102], v[77:78]
	v_fma_f64 v[103:104], v[99:100], v[97:98], -v[103:104]
	v_mul_f64 v[99:100], v[99:100], v[77:78]
	v_add_f64 v[117:118], v[117:118], -v[103:104]
	v_fma_f64 v[99:100], v[101:102], v[97:98], v[99:100]
	v_add_f64 v[119:120], v[119:120], -v[99:100]
	ds_read2_b64 v[99:102], v125 offset0:38 offset1:39
	s_waitcnt lgkmcnt(0)
	v_mul_f64 v[103:104], v[101:102], v[77:78]
	v_fma_f64 v[103:104], v[99:100], v[97:98], -v[103:104]
	v_mul_f64 v[99:100], v[99:100], v[77:78]
	v_add_f64 v[79:80], v[79:80], -v[103:104]
	v_fma_f64 v[99:100], v[101:102], v[97:98], v[99:100]
	v_add_f64 v[81:82], v[81:82], -v[99:100]
	;; [unrolled: 8-line block ×5, first 2 shown]
	ds_read2_b64 v[99:102], v125 offset0:46 offset1:47
	buffer_load_dword v73, off, s[20:23], 0 offset:64 ; 4-byte Folded Reload
	buffer_load_dword v74, off, s[20:23], 0 offset:68 ; 4-byte Folded Reload
	;; [unrolled: 1-line block ×4, first 2 shown]
	s_waitcnt lgkmcnt(0)
	v_mul_f64 v[103:104], v[101:102], v[77:78]
	v_fma_f64 v[103:104], v[99:100], v[97:98], -v[103:104]
	v_mul_f64 v[99:100], v[99:100], v[77:78]
	v_fma_f64 v[99:100], v[101:102], v[97:98], v[99:100]
	s_waitcnt vmcnt(2)
	v_add_f64 v[73:74], v[73:74], -v[103:104]
	s_waitcnt vmcnt(0)
	v_add_f64 v[75:76], v[75:76], -v[99:100]
	buffer_store_dword v73, off, s[20:23], 0 offset:64 ; 4-byte Folded Spill
	s_nop 0
	buffer_store_dword v74, off, s[20:23], 0 offset:68 ; 4-byte Folded Spill
	buffer_store_dword v75, off, s[20:23], 0 offset:72 ; 4-byte Folded Spill
	;; [unrolled: 1-line block ×3, first 2 shown]
	ds_read2_b64 v[99:102], v125 offset0:48 offset1:49
	s_waitcnt lgkmcnt(0)
	v_mul_f64 v[103:104], v[101:102], v[77:78]
	v_fma_f64 v[103:104], v[99:100], v[97:98], -v[103:104]
	v_mul_f64 v[99:100], v[99:100], v[77:78]
	v_add_f64 v[93:94], v[93:94], -v[103:104]
	v_fma_f64 v[99:100], v[101:102], v[97:98], v[99:100]
	v_add_f64 v[95:96], v[95:96], -v[99:100]
	ds_read2_b64 v[99:102], v125 offset0:50 offset1:51
	buffer_load_dword v73, off, s[20:23], 0 offset:32 ; 4-byte Folded Reload
	buffer_load_dword v74, off, s[20:23], 0 offset:36 ; 4-byte Folded Reload
	;; [unrolled: 1-line block ×4, first 2 shown]
	s_waitcnt lgkmcnt(0)
	v_mul_f64 v[103:104], v[101:102], v[77:78]
	v_fma_f64 v[103:104], v[99:100], v[97:98], -v[103:104]
	v_mul_f64 v[99:100], v[99:100], v[77:78]
	v_fma_f64 v[99:100], v[101:102], v[97:98], v[99:100]
	s_waitcnt vmcnt(2)
	v_add_f64 v[73:74], v[73:74], -v[103:104]
	s_waitcnt vmcnt(0)
	v_add_f64 v[75:76], v[75:76], -v[99:100]
	buffer_store_dword v73, off, s[20:23], 0 offset:32 ; 4-byte Folded Spill
	s_nop 0
	buffer_store_dword v74, off, s[20:23], 0 offset:36 ; 4-byte Folded Spill
	buffer_store_dword v75, off, s[20:23], 0 offset:40 ; 4-byte Folded Spill
	;; [unrolled: 1-line block ×3, first 2 shown]
	ds_read2_b64 v[99:102], v125 offset0:52 offset1:53
	buffer_load_dword v69, off, s[20:23], 0 offset:16 ; 4-byte Folded Reload
	buffer_load_dword v70, off, s[20:23], 0 offset:20 ; 4-byte Folded Reload
	;; [unrolled: 1-line block ×4, first 2 shown]
	v_mov_b32_e32 v75, v97
	v_mov_b32_e32 v76, v98
	s_waitcnt lgkmcnt(0)
	v_mul_f64 v[103:104], v[101:102], v[77:78]
	v_fma_f64 v[103:104], v[99:100], v[97:98], -v[103:104]
	v_mul_f64 v[99:100], v[99:100], v[77:78]
	v_fma_f64 v[99:100], v[101:102], v[97:98], v[99:100]
	s_waitcnt vmcnt(2)
	v_add_f64 v[69:70], v[69:70], -v[103:104]
	s_waitcnt vmcnt(0)
	v_add_f64 v[71:72], v[71:72], -v[99:100]
	buffer_store_dword v69, off, s[20:23], 0 offset:16 ; 4-byte Folded Spill
	s_nop 0
	buffer_store_dword v70, off, s[20:23], 0 offset:20 ; 4-byte Folded Spill
	buffer_store_dword v71, off, s[20:23], 0 offset:24 ; 4-byte Folded Spill
	buffer_store_dword v72, off, s[20:23], 0 offset:28 ; 4-byte Folded Spill
	ds_read2_b64 v[99:102], v125 offset0:54 offset1:55
	buffer_load_dword v65, off, s[20:23], 0 ; 4-byte Folded Reload
	buffer_load_dword v66, off, s[20:23], 0 offset:4 ; 4-byte Folded Reload
	buffer_load_dword v67, off, s[20:23], 0 offset:8 ; 4-byte Folded Reload
	;; [unrolled: 1-line block ×3, first 2 shown]
	s_waitcnt lgkmcnt(0)
	v_mul_f64 v[103:104], v[101:102], v[77:78]
	v_fma_f64 v[103:104], v[99:100], v[97:98], -v[103:104]
	v_mul_f64 v[99:100], v[99:100], v[77:78]
	v_fma_f64 v[99:100], v[101:102], v[97:98], v[99:100]
	s_waitcnt vmcnt(2)
	v_add_f64 v[65:66], v[65:66], -v[103:104]
	s_waitcnt vmcnt(0)
	v_add_f64 v[67:68], v[67:68], -v[99:100]
	buffer_store_dword v65, off, s[20:23], 0 ; 4-byte Folded Spill
	s_nop 0
	buffer_store_dword v66, off, s[20:23], 0 offset:4 ; 4-byte Folded Spill
	buffer_store_dword v67, off, s[20:23], 0 offset:8 ; 4-byte Folded Spill
	;; [unrolled: 1-line block ×3, first 2 shown]
	ds_read2_b64 v[99:102], v125 offset0:56 offset1:57
	s_waitcnt lgkmcnt(0)
	v_mul_f64 v[103:104], v[101:102], v[77:78]
	v_fma_f64 v[103:104], v[99:100], v[97:98], -v[103:104]
	v_mul_f64 v[99:100], v[99:100], v[77:78]
	v_add_f64 v[61:62], v[61:62], -v[103:104]
	v_fma_f64 v[99:100], v[101:102], v[97:98], v[99:100]
	v_add_f64 v[63:64], v[63:64], -v[99:100]
	ds_read2_b64 v[99:102], v125 offset0:58 offset1:59
	s_waitcnt lgkmcnt(0)
	v_mul_f64 v[103:104], v[101:102], v[77:78]
	v_fma_f64 v[103:104], v[99:100], v[97:98], -v[103:104]
	v_mul_f64 v[99:100], v[99:100], v[77:78]
	v_add_f64 v[57:58], v[57:58], -v[103:104]
	v_fma_f64 v[99:100], v[101:102], v[97:98], v[99:100]
	v_add_f64 v[59:60], v[59:60], -v[99:100]
	;; [unrolled: 8-line block ×16, first 2 shown]
	ds_read2_b64 v[99:102], v125 offset0:88 offset1:89
	buffer_load_dword v65, off, s[20:23], 0 offset:48 ; 4-byte Folded Reload
	buffer_load_dword v66, off, s[20:23], 0 offset:52 ; 4-byte Folded Reload
	;; [unrolled: 1-line block ×4, first 2 shown]
	s_waitcnt lgkmcnt(0)
	v_mul_f64 v[103:104], v[101:102], v[77:78]
	v_fma_f64 v[103:104], v[99:100], v[97:98], -v[103:104]
	v_mul_f64 v[99:100], v[99:100], v[77:78]
	v_fma_f64 v[99:100], v[101:102], v[97:98], v[99:100]
	s_waitcnt vmcnt(2)
	v_add_f64 v[65:66], v[65:66], -v[103:104]
	s_waitcnt vmcnt(0)
	v_add_f64 v[67:68], v[67:68], -v[99:100]
	buffer_store_dword v65, off, s[20:23], 0 offset:48 ; 4-byte Folded Spill
	s_nop 0
	buffer_store_dword v66, off, s[20:23], 0 offset:52 ; 4-byte Folded Spill
	buffer_store_dword v67, off, s[20:23], 0 offset:56 ; 4-byte Folded Spill
	;; [unrolled: 1-line block ×4, first 2 shown]
	s_nop 0
	buffer_store_dword v76, off, s[20:23], 0 offset:180 ; 4-byte Folded Spill
	buffer_store_dword v77, off, s[20:23], 0 offset:184 ; 4-byte Folded Spill
	;; [unrolled: 1-line block ×3, first 2 shown]
.LBB89_109:
	s_or_b64 exec, exec, s[2:3]
	v_cmp_eq_u32_e32 vcc, 12, v0
	s_waitcnt vmcnt(0)
	s_barrier
	s_and_saveexec_b64 s[4:5], vcc
	s_cbranch_execz .LBB89_116
; %bb.110:
	buffer_load_dword v69, off, s[20:23], 0 offset:160 ; 4-byte Folded Reload
	buffer_load_dword v70, off, s[20:23], 0 offset:164 ; 4-byte Folded Reload
	buffer_load_dword v71, off, s[20:23], 0 offset:168 ; 4-byte Folded Reload
	buffer_load_dword v72, off, s[20:23], 0 offset:172 ; 4-byte Folded Reload
	s_waitcnt vmcnt(0)
	ds_write2_b64 v127, v[69:70], v[71:72] offset1:1
	buffer_load_dword v69, off, s[20:23], 0 offset:144 ; 4-byte Folded Reload
	buffer_load_dword v70, off, s[20:23], 0 offset:148 ; 4-byte Folded Reload
	buffer_load_dword v71, off, s[20:23], 0 offset:152 ; 4-byte Folded Reload
	buffer_load_dword v72, off, s[20:23], 0 offset:156 ; 4-byte Folded Reload
	s_waitcnt vmcnt(0)
	ds_write2_b64 v125, v[69:70], v[71:72] offset0:26 offset1:27
	buffer_load_dword v69, off, s[20:23], 0 offset:128 ; 4-byte Folded Reload
	buffer_load_dword v70, off, s[20:23], 0 offset:132 ; 4-byte Folded Reload
	buffer_load_dword v71, off, s[20:23], 0 offset:136 ; 4-byte Folded Reload
	buffer_load_dword v72, off, s[20:23], 0 offset:140 ; 4-byte Folded Reload
	s_waitcnt vmcnt(0)
	ds_write2_b64 v125, v[69:70], v[71:72] offset0:28 offset1:29
	;; [unrolled: 6-line block ×5, first 2 shown]
	ds_write2_b64 v125, v[117:118], v[119:120] offset0:36 offset1:37
	ds_write2_b64 v125, v[79:80], v[81:82] offset0:38 offset1:39
	;; [unrolled: 1-line block ×5, first 2 shown]
	buffer_load_dword v73, off, s[20:23], 0 offset:64 ; 4-byte Folded Reload
	buffer_load_dword v74, off, s[20:23], 0 offset:68 ; 4-byte Folded Reload
	;; [unrolled: 1-line block ×4, first 2 shown]
	s_waitcnt vmcnt(0)
	ds_write2_b64 v125, v[73:74], v[75:76] offset0:46 offset1:47
	ds_write2_b64 v125, v[93:94], v[95:96] offset0:48 offset1:49
	buffer_load_dword v73, off, s[20:23], 0 offset:32 ; 4-byte Folded Reload
	buffer_load_dword v74, off, s[20:23], 0 offset:36 ; 4-byte Folded Reload
	;; [unrolled: 1-line block ×4, first 2 shown]
	s_waitcnt vmcnt(0)
	ds_write2_b64 v125, v[73:74], v[75:76] offset0:50 offset1:51
	buffer_load_dword v69, off, s[20:23], 0 offset:16 ; 4-byte Folded Reload
	buffer_load_dword v70, off, s[20:23], 0 offset:20 ; 4-byte Folded Reload
	;; [unrolled: 1-line block ×4, first 2 shown]
	s_waitcnt vmcnt(0)
	ds_write2_b64 v125, v[69:70], v[71:72] offset0:52 offset1:53
	buffer_load_dword v65, off, s[20:23], 0 ; 4-byte Folded Reload
	buffer_load_dword v66, off, s[20:23], 0 offset:4 ; 4-byte Folded Reload
	buffer_load_dword v67, off, s[20:23], 0 offset:8 ; 4-byte Folded Reload
	;; [unrolled: 1-line block ×3, first 2 shown]
	s_waitcnt vmcnt(0)
	ds_write2_b64 v125, v[65:66], v[67:68] offset0:54 offset1:55
	ds_write2_b64 v125, v[61:62], v[63:64] offset0:56 offset1:57
	;; [unrolled: 1-line block ×17, first 2 shown]
	buffer_load_dword v65, off, s[20:23], 0 offset:48 ; 4-byte Folded Reload
	buffer_load_dword v66, off, s[20:23], 0 offset:52 ; 4-byte Folded Reload
	buffer_load_dword v67, off, s[20:23], 0 offset:56 ; 4-byte Folded Reload
	buffer_load_dword v68, off, s[20:23], 0 offset:60 ; 4-byte Folded Reload
	s_waitcnt vmcnt(0)
	ds_write2_b64 v125, v[65:66], v[67:68] offset0:88 offset1:89
	ds_read2_b64 v[97:100], v127 offset1:1
	s_waitcnt lgkmcnt(0)
	v_cmp_neq_f64_e32 vcc, 0, v[97:98]
	v_cmp_neq_f64_e64 s[2:3], 0, v[99:100]
	s_or_b64 s[2:3], vcc, s[2:3]
	s_and_b64 exec, exec, s[2:3]
	s_cbranch_execz .LBB89_116
; %bb.111:
	v_cmp_ngt_f64_e64 s[2:3], |v[97:98]|, |v[99:100]|
                                        ; implicit-def: $vgpr101_vgpr102
	s_and_saveexec_b64 s[6:7], s[2:3]
	s_xor_b64 s[2:3], exec, s[6:7]
                                        ; implicit-def: $vgpr103_vgpr104
	s_cbranch_execz .LBB89_113
; %bb.112:
	v_div_scale_f64 v[101:102], s[6:7], v[99:100], v[99:100], v[97:98]
	v_rcp_f64_e32 v[103:104], v[101:102]
	v_fma_f64 v[105:106], -v[101:102], v[103:104], 1.0
	v_fma_f64 v[103:104], v[103:104], v[105:106], v[103:104]
	v_div_scale_f64 v[105:106], vcc, v[97:98], v[99:100], v[97:98]
	v_fma_f64 v[107:108], -v[101:102], v[103:104], 1.0
	v_fma_f64 v[103:104], v[103:104], v[107:108], v[103:104]
	v_mul_f64 v[107:108], v[105:106], v[103:104]
	v_fma_f64 v[101:102], -v[101:102], v[107:108], v[105:106]
	v_div_fmas_f64 v[101:102], v[101:102], v[103:104], v[107:108]
	v_div_fixup_f64 v[101:102], v[101:102], v[99:100], v[97:98]
	v_fma_f64 v[97:98], v[97:98], v[101:102], v[99:100]
	v_div_scale_f64 v[99:100], s[6:7], v[97:98], v[97:98], 1.0
	v_div_scale_f64 v[107:108], vcc, 1.0, v[97:98], 1.0
	v_rcp_f64_e32 v[103:104], v[99:100]
	v_fma_f64 v[105:106], -v[99:100], v[103:104], 1.0
	v_fma_f64 v[103:104], v[103:104], v[105:106], v[103:104]
	v_fma_f64 v[105:106], -v[99:100], v[103:104], 1.0
	v_fma_f64 v[103:104], v[103:104], v[105:106], v[103:104]
	v_mul_f64 v[105:106], v[107:108], v[103:104]
	v_fma_f64 v[99:100], -v[99:100], v[105:106], v[107:108]
	v_div_fmas_f64 v[99:100], v[99:100], v[103:104], v[105:106]
	v_div_fixup_f64 v[103:104], v[99:100], v[97:98], 1.0
                                        ; implicit-def: $vgpr97_vgpr98
	v_mul_f64 v[101:102], v[101:102], v[103:104]
	v_xor_b32_e32 v104, 0x80000000, v104
.LBB89_113:
	s_andn2_saveexec_b64 s[2:3], s[2:3]
	s_cbranch_execz .LBB89_115
; %bb.114:
	v_div_scale_f64 v[101:102], s[6:7], v[97:98], v[97:98], v[99:100]
	v_rcp_f64_e32 v[103:104], v[101:102]
	v_fma_f64 v[105:106], -v[101:102], v[103:104], 1.0
	v_fma_f64 v[103:104], v[103:104], v[105:106], v[103:104]
	v_div_scale_f64 v[105:106], vcc, v[99:100], v[97:98], v[99:100]
	v_fma_f64 v[107:108], -v[101:102], v[103:104], 1.0
	v_fma_f64 v[103:104], v[103:104], v[107:108], v[103:104]
	v_mul_f64 v[107:108], v[105:106], v[103:104]
	v_fma_f64 v[101:102], -v[101:102], v[107:108], v[105:106]
	v_div_fmas_f64 v[101:102], v[101:102], v[103:104], v[107:108]
	v_div_fixup_f64 v[103:104], v[101:102], v[97:98], v[99:100]
	v_fma_f64 v[97:98], v[99:100], v[103:104], v[97:98]
	v_div_scale_f64 v[99:100], s[6:7], v[97:98], v[97:98], 1.0
	v_div_scale_f64 v[107:108], vcc, 1.0, v[97:98], 1.0
	v_rcp_f64_e32 v[101:102], v[99:100]
	v_fma_f64 v[105:106], -v[99:100], v[101:102], 1.0
	v_fma_f64 v[101:102], v[101:102], v[105:106], v[101:102]
	v_fma_f64 v[105:106], -v[99:100], v[101:102], 1.0
	v_fma_f64 v[101:102], v[101:102], v[105:106], v[101:102]
	v_mul_f64 v[105:106], v[107:108], v[101:102]
	v_fma_f64 v[99:100], -v[99:100], v[105:106], v[107:108]
	v_div_fmas_f64 v[99:100], v[99:100], v[101:102], v[105:106]
	v_div_fixup_f64 v[101:102], v[99:100], v[97:98], 1.0
	v_mul_f64 v[103:104], v[103:104], -v[101:102]
.LBB89_115:
	s_or_b64 exec, exec, s[2:3]
	ds_write2_b64 v127, v[101:102], v[103:104] offset1:1
.LBB89_116:
	s_or_b64 exec, exec, s[4:5]
	s_waitcnt lgkmcnt(0)
	s_barrier
	ds_read2_b64 v[65:68], v127 offset1:1
	v_cmp_lt_u32_e32 vcc, 12, v0
	s_waitcnt lgkmcnt(0)
	buffer_store_dword v65, off, s[20:23], 0 offset:912 ; 4-byte Folded Spill
	s_nop 0
	buffer_store_dword v66, off, s[20:23], 0 offset:916 ; 4-byte Folded Spill
	buffer_store_dword v67, off, s[20:23], 0 offset:920 ; 4-byte Folded Spill
	;; [unrolled: 1-line block ×3, first 2 shown]
	s_and_saveexec_b64 s[2:3], vcc
	s_cbranch_execz .LBB89_118
; %bb.117:
	buffer_load_dword v75, off, s[20:23], 0 offset:160 ; 4-byte Folded Reload
	buffer_load_dword v76, off, s[20:23], 0 offset:164 ; 4-byte Folded Reload
	;; [unrolled: 1-line block ×8, first 2 shown]
	s_waitcnt vmcnt(2)
	v_mul_f64 v[99:100], v[65:66], v[77:78]
	s_waitcnt vmcnt(0)
	v_mul_f64 v[97:98], v[67:68], v[77:78]
	v_fma_f64 v[77:78], v[67:68], v[75:76], v[99:100]
	ds_read2_b64 v[99:102], v125 offset0:26 offset1:27
	buffer_load_dword v69, off, s[20:23], 0 offset:144 ; 4-byte Folded Reload
	buffer_load_dword v70, off, s[20:23], 0 offset:148 ; 4-byte Folded Reload
	;; [unrolled: 1-line block ×4, first 2 shown]
	v_fma_f64 v[97:98], v[65:66], v[75:76], -v[97:98]
	s_waitcnt lgkmcnt(0)
	v_mul_f64 v[103:104], v[101:102], v[77:78]
	v_fma_f64 v[103:104], v[99:100], v[97:98], -v[103:104]
	v_mul_f64 v[99:100], v[99:100], v[77:78]
	v_fma_f64 v[99:100], v[101:102], v[97:98], v[99:100]
	s_waitcnt vmcnt(2)
	v_add_f64 v[69:70], v[69:70], -v[103:104]
	s_waitcnt vmcnt(0)
	v_add_f64 v[71:72], v[71:72], -v[99:100]
	buffer_store_dword v69, off, s[20:23], 0 offset:144 ; 4-byte Folded Spill
	s_nop 0
	buffer_store_dword v70, off, s[20:23], 0 offset:148 ; 4-byte Folded Spill
	buffer_store_dword v71, off, s[20:23], 0 offset:152 ; 4-byte Folded Spill
	buffer_store_dword v72, off, s[20:23], 0 offset:156 ; 4-byte Folded Spill
	ds_read2_b64 v[99:102], v125 offset0:28 offset1:29
	buffer_load_dword v69, off, s[20:23], 0 offset:128 ; 4-byte Folded Reload
	buffer_load_dword v70, off, s[20:23], 0 offset:132 ; 4-byte Folded Reload
	buffer_load_dword v71, off, s[20:23], 0 offset:136 ; 4-byte Folded Reload
	buffer_load_dword v72, off, s[20:23], 0 offset:140 ; 4-byte Folded Reload
	s_waitcnt lgkmcnt(0)
	v_mul_f64 v[103:104], v[101:102], v[77:78]
	v_fma_f64 v[103:104], v[99:100], v[97:98], -v[103:104]
	v_mul_f64 v[99:100], v[99:100], v[77:78]
	v_fma_f64 v[99:100], v[101:102], v[97:98], v[99:100]
	s_waitcnt vmcnt(2)
	v_add_f64 v[69:70], v[69:70], -v[103:104]
	s_waitcnt vmcnt(0)
	v_add_f64 v[71:72], v[71:72], -v[99:100]
	buffer_store_dword v69, off, s[20:23], 0 offset:128 ; 4-byte Folded Spill
	s_nop 0
	buffer_store_dword v70, off, s[20:23], 0 offset:132 ; 4-byte Folded Spill
	buffer_store_dword v71, off, s[20:23], 0 offset:136 ; 4-byte Folded Spill
	buffer_store_dword v72, off, s[20:23], 0 offset:140 ; 4-byte Folded Spill
	ds_read2_b64 v[99:102], v125 offset0:30 offset1:31
	buffer_load_dword v69, off, s[20:23], 0 offset:112 ; 4-byte Folded Reload
	buffer_load_dword v70, off, s[20:23], 0 offset:116 ; 4-byte Folded Reload
	buffer_load_dword v71, off, s[20:23], 0 offset:120 ; 4-byte Folded Reload
	buffer_load_dword v72, off, s[20:23], 0 offset:124 ; 4-byte Folded Reload
	;; [unrolled: 19-line block ×4, first 2 shown]
	s_waitcnt lgkmcnt(0)
	v_mul_f64 v[103:104], v[101:102], v[77:78]
	v_fma_f64 v[103:104], v[99:100], v[97:98], -v[103:104]
	v_mul_f64 v[99:100], v[99:100], v[77:78]
	v_fma_f64 v[99:100], v[101:102], v[97:98], v[99:100]
	s_waitcnt vmcnt(2)
	v_add_f64 v[69:70], v[69:70], -v[103:104]
	s_waitcnt vmcnt(0)
	v_add_f64 v[71:72], v[71:72], -v[99:100]
	buffer_store_dword v69, off, s[20:23], 0 offset:80 ; 4-byte Folded Spill
	s_nop 0
	buffer_store_dword v70, off, s[20:23], 0 offset:84 ; 4-byte Folded Spill
	buffer_store_dword v71, off, s[20:23], 0 offset:88 ; 4-byte Folded Spill
	;; [unrolled: 1-line block ×3, first 2 shown]
	ds_read2_b64 v[99:102], v125 offset0:36 offset1:37
	s_waitcnt lgkmcnt(0)
	v_mul_f64 v[103:104], v[101:102], v[77:78]
	v_fma_f64 v[103:104], v[99:100], v[97:98], -v[103:104]
	v_mul_f64 v[99:100], v[99:100], v[77:78]
	v_add_f64 v[117:118], v[117:118], -v[103:104]
	v_fma_f64 v[99:100], v[101:102], v[97:98], v[99:100]
	v_add_f64 v[119:120], v[119:120], -v[99:100]
	ds_read2_b64 v[99:102], v125 offset0:38 offset1:39
	s_waitcnt lgkmcnt(0)
	v_mul_f64 v[103:104], v[101:102], v[77:78]
	v_fma_f64 v[103:104], v[99:100], v[97:98], -v[103:104]
	v_mul_f64 v[99:100], v[99:100], v[77:78]
	v_add_f64 v[79:80], v[79:80], -v[103:104]
	v_fma_f64 v[99:100], v[101:102], v[97:98], v[99:100]
	v_add_f64 v[81:82], v[81:82], -v[99:100]
	;; [unrolled: 8-line block ×5, first 2 shown]
	ds_read2_b64 v[99:102], v125 offset0:46 offset1:47
	buffer_load_dword v73, off, s[20:23], 0 offset:64 ; 4-byte Folded Reload
	buffer_load_dword v74, off, s[20:23], 0 offset:68 ; 4-byte Folded Reload
	;; [unrolled: 1-line block ×4, first 2 shown]
	s_waitcnt lgkmcnt(0)
	v_mul_f64 v[103:104], v[101:102], v[77:78]
	v_fma_f64 v[103:104], v[99:100], v[97:98], -v[103:104]
	v_mul_f64 v[99:100], v[99:100], v[77:78]
	v_fma_f64 v[99:100], v[101:102], v[97:98], v[99:100]
	s_waitcnt vmcnt(2)
	v_add_f64 v[73:74], v[73:74], -v[103:104]
	s_waitcnt vmcnt(0)
	v_add_f64 v[75:76], v[75:76], -v[99:100]
	buffer_store_dword v73, off, s[20:23], 0 offset:64 ; 4-byte Folded Spill
	s_nop 0
	buffer_store_dword v74, off, s[20:23], 0 offset:68 ; 4-byte Folded Spill
	buffer_store_dword v75, off, s[20:23], 0 offset:72 ; 4-byte Folded Spill
	;; [unrolled: 1-line block ×3, first 2 shown]
	ds_read2_b64 v[99:102], v125 offset0:48 offset1:49
	s_waitcnt lgkmcnt(0)
	v_mul_f64 v[103:104], v[101:102], v[77:78]
	v_fma_f64 v[103:104], v[99:100], v[97:98], -v[103:104]
	v_mul_f64 v[99:100], v[99:100], v[77:78]
	v_add_f64 v[93:94], v[93:94], -v[103:104]
	v_fma_f64 v[99:100], v[101:102], v[97:98], v[99:100]
	v_add_f64 v[95:96], v[95:96], -v[99:100]
	ds_read2_b64 v[99:102], v125 offset0:50 offset1:51
	buffer_load_dword v73, off, s[20:23], 0 offset:32 ; 4-byte Folded Reload
	buffer_load_dword v74, off, s[20:23], 0 offset:36 ; 4-byte Folded Reload
	;; [unrolled: 1-line block ×4, first 2 shown]
	s_waitcnt lgkmcnt(0)
	v_mul_f64 v[103:104], v[101:102], v[77:78]
	v_fma_f64 v[103:104], v[99:100], v[97:98], -v[103:104]
	v_mul_f64 v[99:100], v[99:100], v[77:78]
	v_fma_f64 v[99:100], v[101:102], v[97:98], v[99:100]
	s_waitcnt vmcnt(2)
	v_add_f64 v[73:74], v[73:74], -v[103:104]
	s_waitcnt vmcnt(0)
	v_add_f64 v[75:76], v[75:76], -v[99:100]
	buffer_store_dword v73, off, s[20:23], 0 offset:32 ; 4-byte Folded Spill
	s_nop 0
	buffer_store_dword v74, off, s[20:23], 0 offset:36 ; 4-byte Folded Spill
	buffer_store_dword v75, off, s[20:23], 0 offset:40 ; 4-byte Folded Spill
	;; [unrolled: 1-line block ×3, first 2 shown]
	ds_read2_b64 v[99:102], v125 offset0:52 offset1:53
	buffer_load_dword v69, off, s[20:23], 0 offset:16 ; 4-byte Folded Reload
	buffer_load_dword v70, off, s[20:23], 0 offset:20 ; 4-byte Folded Reload
	;; [unrolled: 1-line block ×4, first 2 shown]
	v_mov_b32_e32 v75, v97
	v_mov_b32_e32 v76, v98
	s_waitcnt lgkmcnt(0)
	v_mul_f64 v[103:104], v[101:102], v[77:78]
	v_fma_f64 v[103:104], v[99:100], v[97:98], -v[103:104]
	v_mul_f64 v[99:100], v[99:100], v[77:78]
	v_fma_f64 v[99:100], v[101:102], v[97:98], v[99:100]
	s_waitcnt vmcnt(2)
	v_add_f64 v[69:70], v[69:70], -v[103:104]
	s_waitcnt vmcnt(0)
	v_add_f64 v[71:72], v[71:72], -v[99:100]
	buffer_store_dword v69, off, s[20:23], 0 offset:16 ; 4-byte Folded Spill
	s_nop 0
	buffer_store_dword v70, off, s[20:23], 0 offset:20 ; 4-byte Folded Spill
	buffer_store_dword v71, off, s[20:23], 0 offset:24 ; 4-byte Folded Spill
	;; [unrolled: 1-line block ×3, first 2 shown]
	ds_read2_b64 v[99:102], v125 offset0:54 offset1:55
	buffer_load_dword v65, off, s[20:23], 0 ; 4-byte Folded Reload
	buffer_load_dword v66, off, s[20:23], 0 offset:4 ; 4-byte Folded Reload
	buffer_load_dword v67, off, s[20:23], 0 offset:8 ; 4-byte Folded Reload
	;; [unrolled: 1-line block ×3, first 2 shown]
	s_waitcnt lgkmcnt(0)
	v_mul_f64 v[103:104], v[101:102], v[77:78]
	v_fma_f64 v[103:104], v[99:100], v[97:98], -v[103:104]
	v_mul_f64 v[99:100], v[99:100], v[77:78]
	v_fma_f64 v[99:100], v[101:102], v[97:98], v[99:100]
	s_waitcnt vmcnt(2)
	v_add_f64 v[65:66], v[65:66], -v[103:104]
	s_waitcnt vmcnt(0)
	v_add_f64 v[67:68], v[67:68], -v[99:100]
	buffer_store_dword v65, off, s[20:23], 0 ; 4-byte Folded Spill
	s_nop 0
	buffer_store_dword v66, off, s[20:23], 0 offset:4 ; 4-byte Folded Spill
	buffer_store_dword v67, off, s[20:23], 0 offset:8 ; 4-byte Folded Spill
	;; [unrolled: 1-line block ×3, first 2 shown]
	ds_read2_b64 v[99:102], v125 offset0:56 offset1:57
	s_waitcnt lgkmcnt(0)
	v_mul_f64 v[103:104], v[101:102], v[77:78]
	v_fma_f64 v[103:104], v[99:100], v[97:98], -v[103:104]
	v_mul_f64 v[99:100], v[99:100], v[77:78]
	v_add_f64 v[61:62], v[61:62], -v[103:104]
	v_fma_f64 v[99:100], v[101:102], v[97:98], v[99:100]
	v_add_f64 v[63:64], v[63:64], -v[99:100]
	ds_read2_b64 v[99:102], v125 offset0:58 offset1:59
	s_waitcnt lgkmcnt(0)
	v_mul_f64 v[103:104], v[101:102], v[77:78]
	v_fma_f64 v[103:104], v[99:100], v[97:98], -v[103:104]
	v_mul_f64 v[99:100], v[99:100], v[77:78]
	v_add_f64 v[57:58], v[57:58], -v[103:104]
	v_fma_f64 v[99:100], v[101:102], v[97:98], v[99:100]
	v_add_f64 v[59:60], v[59:60], -v[99:100]
	;; [unrolled: 8-line block ×16, first 2 shown]
	ds_read2_b64 v[99:102], v125 offset0:88 offset1:89
	buffer_load_dword v65, off, s[20:23], 0 offset:48 ; 4-byte Folded Reload
	buffer_load_dword v66, off, s[20:23], 0 offset:52 ; 4-byte Folded Reload
	;; [unrolled: 1-line block ×4, first 2 shown]
	s_waitcnt lgkmcnt(0)
	v_mul_f64 v[103:104], v[101:102], v[77:78]
	v_fma_f64 v[103:104], v[99:100], v[97:98], -v[103:104]
	v_mul_f64 v[99:100], v[99:100], v[77:78]
	v_fma_f64 v[99:100], v[101:102], v[97:98], v[99:100]
	s_waitcnt vmcnt(2)
	v_add_f64 v[65:66], v[65:66], -v[103:104]
	s_waitcnt vmcnt(0)
	v_add_f64 v[67:68], v[67:68], -v[99:100]
	buffer_store_dword v65, off, s[20:23], 0 offset:48 ; 4-byte Folded Spill
	s_nop 0
	buffer_store_dword v66, off, s[20:23], 0 offset:52 ; 4-byte Folded Spill
	buffer_store_dword v67, off, s[20:23], 0 offset:56 ; 4-byte Folded Spill
	;; [unrolled: 1-line block ×4, first 2 shown]
	s_nop 0
	buffer_store_dword v76, off, s[20:23], 0 offset:164 ; 4-byte Folded Spill
	buffer_store_dword v77, off, s[20:23], 0 offset:168 ; 4-byte Folded Spill
	;; [unrolled: 1-line block ×3, first 2 shown]
.LBB89_118:
	s_or_b64 exec, exec, s[2:3]
	v_cmp_eq_u32_e32 vcc, 13, v0
	s_waitcnt vmcnt(0)
	s_barrier
	s_and_saveexec_b64 s[4:5], vcc
	s_cbranch_execz .LBB89_125
; %bb.119:
	buffer_load_dword v69, off, s[20:23], 0 offset:144 ; 4-byte Folded Reload
	buffer_load_dword v70, off, s[20:23], 0 offset:148 ; 4-byte Folded Reload
	;; [unrolled: 1-line block ×4, first 2 shown]
	s_waitcnt vmcnt(0)
	ds_write2_b64 v127, v[69:70], v[71:72] offset1:1
	buffer_load_dword v69, off, s[20:23], 0 offset:128 ; 4-byte Folded Reload
	buffer_load_dword v70, off, s[20:23], 0 offset:132 ; 4-byte Folded Reload
	buffer_load_dword v71, off, s[20:23], 0 offset:136 ; 4-byte Folded Reload
	buffer_load_dword v72, off, s[20:23], 0 offset:140 ; 4-byte Folded Reload
	s_waitcnt vmcnt(0)
	ds_write2_b64 v125, v[69:70], v[71:72] offset0:28 offset1:29
	buffer_load_dword v69, off, s[20:23], 0 offset:112 ; 4-byte Folded Reload
	buffer_load_dword v70, off, s[20:23], 0 offset:116 ; 4-byte Folded Reload
	buffer_load_dword v71, off, s[20:23], 0 offset:120 ; 4-byte Folded Reload
	buffer_load_dword v72, off, s[20:23], 0 offset:124 ; 4-byte Folded Reload
	s_waitcnt vmcnt(0)
	ds_write2_b64 v125, v[69:70], v[71:72] offset0:30 offset1:31
	;; [unrolled: 6-line block ×4, first 2 shown]
	ds_write2_b64 v125, v[117:118], v[119:120] offset0:36 offset1:37
	ds_write2_b64 v125, v[79:80], v[81:82] offset0:38 offset1:39
	ds_write2_b64 v125, v[121:122], v[123:124] offset0:40 offset1:41
	ds_write2_b64 v125, v[109:110], v[111:112] offset0:42 offset1:43
	ds_write2_b64 v125, v[113:114], v[115:116] offset0:44 offset1:45
	buffer_load_dword v73, off, s[20:23], 0 offset:64 ; 4-byte Folded Reload
	buffer_load_dword v74, off, s[20:23], 0 offset:68 ; 4-byte Folded Reload
	;; [unrolled: 1-line block ×4, first 2 shown]
	s_waitcnt vmcnt(0)
	ds_write2_b64 v125, v[73:74], v[75:76] offset0:46 offset1:47
	ds_write2_b64 v125, v[93:94], v[95:96] offset0:48 offset1:49
	buffer_load_dword v73, off, s[20:23], 0 offset:32 ; 4-byte Folded Reload
	buffer_load_dword v74, off, s[20:23], 0 offset:36 ; 4-byte Folded Reload
	;; [unrolled: 1-line block ×4, first 2 shown]
	s_waitcnt vmcnt(0)
	ds_write2_b64 v125, v[73:74], v[75:76] offset0:50 offset1:51
	buffer_load_dword v69, off, s[20:23], 0 offset:16 ; 4-byte Folded Reload
	buffer_load_dword v70, off, s[20:23], 0 offset:20 ; 4-byte Folded Reload
	;; [unrolled: 1-line block ×4, first 2 shown]
	s_waitcnt vmcnt(0)
	ds_write2_b64 v125, v[69:70], v[71:72] offset0:52 offset1:53
	buffer_load_dword v65, off, s[20:23], 0 ; 4-byte Folded Reload
	buffer_load_dword v66, off, s[20:23], 0 offset:4 ; 4-byte Folded Reload
	buffer_load_dword v67, off, s[20:23], 0 offset:8 ; 4-byte Folded Reload
	;; [unrolled: 1-line block ×3, first 2 shown]
	s_waitcnt vmcnt(0)
	ds_write2_b64 v125, v[65:66], v[67:68] offset0:54 offset1:55
	ds_write2_b64 v125, v[61:62], v[63:64] offset0:56 offset1:57
	;; [unrolled: 1-line block ×17, first 2 shown]
	buffer_load_dword v65, off, s[20:23], 0 offset:48 ; 4-byte Folded Reload
	buffer_load_dword v66, off, s[20:23], 0 offset:52 ; 4-byte Folded Reload
	buffer_load_dword v67, off, s[20:23], 0 offset:56 ; 4-byte Folded Reload
	buffer_load_dword v68, off, s[20:23], 0 offset:60 ; 4-byte Folded Reload
	s_waitcnt vmcnt(0)
	ds_write2_b64 v125, v[65:66], v[67:68] offset0:88 offset1:89
	ds_read2_b64 v[97:100], v127 offset1:1
	s_waitcnt lgkmcnt(0)
	v_cmp_neq_f64_e32 vcc, 0, v[97:98]
	v_cmp_neq_f64_e64 s[2:3], 0, v[99:100]
	s_or_b64 s[2:3], vcc, s[2:3]
	s_and_b64 exec, exec, s[2:3]
	s_cbranch_execz .LBB89_125
; %bb.120:
	v_cmp_ngt_f64_e64 s[2:3], |v[97:98]|, |v[99:100]|
                                        ; implicit-def: $vgpr101_vgpr102
	s_and_saveexec_b64 s[6:7], s[2:3]
	s_xor_b64 s[2:3], exec, s[6:7]
                                        ; implicit-def: $vgpr103_vgpr104
	s_cbranch_execz .LBB89_122
; %bb.121:
	v_div_scale_f64 v[101:102], s[6:7], v[99:100], v[99:100], v[97:98]
	v_rcp_f64_e32 v[103:104], v[101:102]
	v_fma_f64 v[105:106], -v[101:102], v[103:104], 1.0
	v_fma_f64 v[103:104], v[103:104], v[105:106], v[103:104]
	v_div_scale_f64 v[105:106], vcc, v[97:98], v[99:100], v[97:98]
	v_fma_f64 v[107:108], -v[101:102], v[103:104], 1.0
	v_fma_f64 v[103:104], v[103:104], v[107:108], v[103:104]
	v_mul_f64 v[107:108], v[105:106], v[103:104]
	v_fma_f64 v[101:102], -v[101:102], v[107:108], v[105:106]
	v_div_fmas_f64 v[101:102], v[101:102], v[103:104], v[107:108]
	v_div_fixup_f64 v[101:102], v[101:102], v[99:100], v[97:98]
	v_fma_f64 v[97:98], v[97:98], v[101:102], v[99:100]
	v_div_scale_f64 v[99:100], s[6:7], v[97:98], v[97:98], 1.0
	v_div_scale_f64 v[107:108], vcc, 1.0, v[97:98], 1.0
	v_rcp_f64_e32 v[103:104], v[99:100]
	v_fma_f64 v[105:106], -v[99:100], v[103:104], 1.0
	v_fma_f64 v[103:104], v[103:104], v[105:106], v[103:104]
	v_fma_f64 v[105:106], -v[99:100], v[103:104], 1.0
	v_fma_f64 v[103:104], v[103:104], v[105:106], v[103:104]
	v_mul_f64 v[105:106], v[107:108], v[103:104]
	v_fma_f64 v[99:100], -v[99:100], v[105:106], v[107:108]
	v_div_fmas_f64 v[99:100], v[99:100], v[103:104], v[105:106]
	v_div_fixup_f64 v[103:104], v[99:100], v[97:98], 1.0
                                        ; implicit-def: $vgpr97_vgpr98
	v_mul_f64 v[101:102], v[101:102], v[103:104]
	v_xor_b32_e32 v104, 0x80000000, v104
.LBB89_122:
	s_andn2_saveexec_b64 s[2:3], s[2:3]
	s_cbranch_execz .LBB89_124
; %bb.123:
	v_div_scale_f64 v[101:102], s[6:7], v[97:98], v[97:98], v[99:100]
	v_rcp_f64_e32 v[103:104], v[101:102]
	v_fma_f64 v[105:106], -v[101:102], v[103:104], 1.0
	v_fma_f64 v[103:104], v[103:104], v[105:106], v[103:104]
	v_div_scale_f64 v[105:106], vcc, v[99:100], v[97:98], v[99:100]
	v_fma_f64 v[107:108], -v[101:102], v[103:104], 1.0
	v_fma_f64 v[103:104], v[103:104], v[107:108], v[103:104]
	v_mul_f64 v[107:108], v[105:106], v[103:104]
	v_fma_f64 v[101:102], -v[101:102], v[107:108], v[105:106]
	v_div_fmas_f64 v[101:102], v[101:102], v[103:104], v[107:108]
	v_div_fixup_f64 v[103:104], v[101:102], v[97:98], v[99:100]
	v_fma_f64 v[97:98], v[99:100], v[103:104], v[97:98]
	v_div_scale_f64 v[99:100], s[6:7], v[97:98], v[97:98], 1.0
	v_div_scale_f64 v[107:108], vcc, 1.0, v[97:98], 1.0
	v_rcp_f64_e32 v[101:102], v[99:100]
	v_fma_f64 v[105:106], -v[99:100], v[101:102], 1.0
	v_fma_f64 v[101:102], v[101:102], v[105:106], v[101:102]
	v_fma_f64 v[105:106], -v[99:100], v[101:102], 1.0
	v_fma_f64 v[101:102], v[101:102], v[105:106], v[101:102]
	v_mul_f64 v[105:106], v[107:108], v[101:102]
	v_fma_f64 v[99:100], -v[99:100], v[105:106], v[107:108]
	v_div_fmas_f64 v[99:100], v[99:100], v[101:102], v[105:106]
	v_div_fixup_f64 v[101:102], v[99:100], v[97:98], 1.0
	v_mul_f64 v[103:104], v[103:104], -v[101:102]
.LBB89_124:
	s_or_b64 exec, exec, s[2:3]
	ds_write2_b64 v127, v[101:102], v[103:104] offset1:1
.LBB89_125:
	s_or_b64 exec, exec, s[4:5]
	s_waitcnt lgkmcnt(0)
	s_barrier
	ds_read2_b64 v[65:68], v127 offset1:1
	v_cmp_lt_u32_e32 vcc, 13, v0
	s_waitcnt lgkmcnt(0)
	buffer_store_dword v65, off, s[20:23], 0 offset:928 ; 4-byte Folded Spill
	s_nop 0
	buffer_store_dword v66, off, s[20:23], 0 offset:932 ; 4-byte Folded Spill
	buffer_store_dword v67, off, s[20:23], 0 offset:936 ; 4-byte Folded Spill
	;; [unrolled: 1-line block ×3, first 2 shown]
	s_and_saveexec_b64 s[2:3], vcc
	s_cbranch_execz .LBB89_127
; %bb.126:
	buffer_load_dword v75, off, s[20:23], 0 offset:144 ; 4-byte Folded Reload
	buffer_load_dword v76, off, s[20:23], 0 offset:148 ; 4-byte Folded Reload
	;; [unrolled: 1-line block ×8, first 2 shown]
	s_waitcnt vmcnt(2)
	v_mul_f64 v[99:100], v[65:66], v[77:78]
	s_waitcnt vmcnt(0)
	v_mul_f64 v[97:98], v[67:68], v[77:78]
	v_fma_f64 v[77:78], v[67:68], v[75:76], v[99:100]
	ds_read2_b64 v[99:102], v125 offset0:28 offset1:29
	buffer_load_dword v69, off, s[20:23], 0 offset:128 ; 4-byte Folded Reload
	buffer_load_dword v70, off, s[20:23], 0 offset:132 ; 4-byte Folded Reload
	;; [unrolled: 1-line block ×4, first 2 shown]
	v_fma_f64 v[97:98], v[65:66], v[75:76], -v[97:98]
	s_waitcnt lgkmcnt(0)
	v_mul_f64 v[103:104], v[101:102], v[77:78]
	v_fma_f64 v[103:104], v[99:100], v[97:98], -v[103:104]
	v_mul_f64 v[99:100], v[99:100], v[77:78]
	v_fma_f64 v[99:100], v[101:102], v[97:98], v[99:100]
	s_waitcnt vmcnt(2)
	v_add_f64 v[69:70], v[69:70], -v[103:104]
	s_waitcnt vmcnt(0)
	v_add_f64 v[71:72], v[71:72], -v[99:100]
	buffer_store_dword v69, off, s[20:23], 0 offset:128 ; 4-byte Folded Spill
	s_nop 0
	buffer_store_dword v70, off, s[20:23], 0 offset:132 ; 4-byte Folded Spill
	buffer_store_dword v71, off, s[20:23], 0 offset:136 ; 4-byte Folded Spill
	buffer_store_dword v72, off, s[20:23], 0 offset:140 ; 4-byte Folded Spill
	ds_read2_b64 v[99:102], v125 offset0:30 offset1:31
	buffer_load_dword v69, off, s[20:23], 0 offset:112 ; 4-byte Folded Reload
	buffer_load_dword v70, off, s[20:23], 0 offset:116 ; 4-byte Folded Reload
	buffer_load_dword v71, off, s[20:23], 0 offset:120 ; 4-byte Folded Reload
	buffer_load_dword v72, off, s[20:23], 0 offset:124 ; 4-byte Folded Reload
	s_waitcnt lgkmcnt(0)
	v_mul_f64 v[103:104], v[101:102], v[77:78]
	v_fma_f64 v[103:104], v[99:100], v[97:98], -v[103:104]
	v_mul_f64 v[99:100], v[99:100], v[77:78]
	v_fma_f64 v[99:100], v[101:102], v[97:98], v[99:100]
	s_waitcnt vmcnt(2)
	v_add_f64 v[69:70], v[69:70], -v[103:104]
	s_waitcnt vmcnt(0)
	v_add_f64 v[71:72], v[71:72], -v[99:100]
	buffer_store_dword v69, off, s[20:23], 0 offset:112 ; 4-byte Folded Spill
	s_nop 0
	buffer_store_dword v70, off, s[20:23], 0 offset:116 ; 4-byte Folded Spill
	buffer_store_dword v71, off, s[20:23], 0 offset:120 ; 4-byte Folded Spill
	buffer_store_dword v72, off, s[20:23], 0 offset:124 ; 4-byte Folded Spill
	ds_read2_b64 v[99:102], v125 offset0:32 offset1:33
	buffer_load_dword v69, off, s[20:23], 0 offset:96 ; 4-byte Folded Reload
	buffer_load_dword v70, off, s[20:23], 0 offset:100 ; 4-byte Folded Reload
	buffer_load_dword v71, off, s[20:23], 0 offset:104 ; 4-byte Folded Reload
	buffer_load_dword v72, off, s[20:23], 0 offset:108 ; 4-byte Folded Reload
	s_waitcnt lgkmcnt(0)
	v_mul_f64 v[103:104], v[101:102], v[77:78]
	v_fma_f64 v[103:104], v[99:100], v[97:98], -v[103:104]
	v_mul_f64 v[99:100], v[99:100], v[77:78]
	v_fma_f64 v[99:100], v[101:102], v[97:98], v[99:100]
	s_waitcnt vmcnt(2)
	v_add_f64 v[69:70], v[69:70], -v[103:104]
	s_waitcnt vmcnt(0)
	v_add_f64 v[71:72], v[71:72], -v[99:100]
	buffer_store_dword v69, off, s[20:23], 0 offset:96 ; 4-byte Folded Spill
	s_nop 0
	buffer_store_dword v70, off, s[20:23], 0 offset:100 ; 4-byte Folded Spill
	buffer_store_dword v71, off, s[20:23], 0 offset:104 ; 4-byte Folded Spill
	buffer_store_dword v72, off, s[20:23], 0 offset:108 ; 4-byte Folded Spill
	ds_read2_b64 v[99:102], v125 offset0:34 offset1:35
	buffer_load_dword v69, off, s[20:23], 0 offset:80 ; 4-byte Folded Reload
	buffer_load_dword v70, off, s[20:23], 0 offset:84 ; 4-byte Folded Reload
	buffer_load_dword v71, off, s[20:23], 0 offset:88 ; 4-byte Folded Reload
	buffer_load_dword v72, off, s[20:23], 0 offset:92 ; 4-byte Folded Reload
	s_waitcnt lgkmcnt(0)
	v_mul_f64 v[103:104], v[101:102], v[77:78]
	v_fma_f64 v[103:104], v[99:100], v[97:98], -v[103:104]
	v_mul_f64 v[99:100], v[99:100], v[77:78]
	v_fma_f64 v[99:100], v[101:102], v[97:98], v[99:100]
	s_waitcnt vmcnt(2)
	v_add_f64 v[69:70], v[69:70], -v[103:104]
	s_waitcnt vmcnt(0)
	v_add_f64 v[71:72], v[71:72], -v[99:100]
	buffer_store_dword v69, off, s[20:23], 0 offset:80 ; 4-byte Folded Spill
	s_nop 0
	buffer_store_dword v70, off, s[20:23], 0 offset:84 ; 4-byte Folded Spill
	buffer_store_dword v71, off, s[20:23], 0 offset:88 ; 4-byte Folded Spill
	;; [unrolled: 1-line block ×3, first 2 shown]
	ds_read2_b64 v[99:102], v125 offset0:36 offset1:37
	s_waitcnt lgkmcnt(0)
	v_mul_f64 v[103:104], v[101:102], v[77:78]
	v_fma_f64 v[103:104], v[99:100], v[97:98], -v[103:104]
	v_mul_f64 v[99:100], v[99:100], v[77:78]
	v_add_f64 v[117:118], v[117:118], -v[103:104]
	v_fma_f64 v[99:100], v[101:102], v[97:98], v[99:100]
	v_add_f64 v[119:120], v[119:120], -v[99:100]
	ds_read2_b64 v[99:102], v125 offset0:38 offset1:39
	s_waitcnt lgkmcnt(0)
	v_mul_f64 v[103:104], v[101:102], v[77:78]
	v_fma_f64 v[103:104], v[99:100], v[97:98], -v[103:104]
	v_mul_f64 v[99:100], v[99:100], v[77:78]
	v_add_f64 v[79:80], v[79:80], -v[103:104]
	v_fma_f64 v[99:100], v[101:102], v[97:98], v[99:100]
	v_add_f64 v[81:82], v[81:82], -v[99:100]
	;; [unrolled: 8-line block ×5, first 2 shown]
	ds_read2_b64 v[99:102], v125 offset0:46 offset1:47
	buffer_load_dword v73, off, s[20:23], 0 offset:64 ; 4-byte Folded Reload
	buffer_load_dword v74, off, s[20:23], 0 offset:68 ; 4-byte Folded Reload
	;; [unrolled: 1-line block ×4, first 2 shown]
	s_waitcnt lgkmcnt(0)
	v_mul_f64 v[103:104], v[101:102], v[77:78]
	v_fma_f64 v[103:104], v[99:100], v[97:98], -v[103:104]
	v_mul_f64 v[99:100], v[99:100], v[77:78]
	v_fma_f64 v[99:100], v[101:102], v[97:98], v[99:100]
	s_waitcnt vmcnt(2)
	v_add_f64 v[73:74], v[73:74], -v[103:104]
	s_waitcnt vmcnt(0)
	v_add_f64 v[75:76], v[75:76], -v[99:100]
	buffer_store_dword v73, off, s[20:23], 0 offset:64 ; 4-byte Folded Spill
	s_nop 0
	buffer_store_dword v74, off, s[20:23], 0 offset:68 ; 4-byte Folded Spill
	buffer_store_dword v75, off, s[20:23], 0 offset:72 ; 4-byte Folded Spill
	;; [unrolled: 1-line block ×3, first 2 shown]
	ds_read2_b64 v[99:102], v125 offset0:48 offset1:49
	s_waitcnt lgkmcnt(0)
	v_mul_f64 v[103:104], v[101:102], v[77:78]
	v_fma_f64 v[103:104], v[99:100], v[97:98], -v[103:104]
	v_mul_f64 v[99:100], v[99:100], v[77:78]
	v_add_f64 v[93:94], v[93:94], -v[103:104]
	v_fma_f64 v[99:100], v[101:102], v[97:98], v[99:100]
	v_add_f64 v[95:96], v[95:96], -v[99:100]
	ds_read2_b64 v[99:102], v125 offset0:50 offset1:51
	buffer_load_dword v73, off, s[20:23], 0 offset:32 ; 4-byte Folded Reload
	buffer_load_dword v74, off, s[20:23], 0 offset:36 ; 4-byte Folded Reload
	;; [unrolled: 1-line block ×4, first 2 shown]
	s_waitcnt lgkmcnt(0)
	v_mul_f64 v[103:104], v[101:102], v[77:78]
	v_fma_f64 v[103:104], v[99:100], v[97:98], -v[103:104]
	v_mul_f64 v[99:100], v[99:100], v[77:78]
	v_fma_f64 v[99:100], v[101:102], v[97:98], v[99:100]
	s_waitcnt vmcnt(2)
	v_add_f64 v[73:74], v[73:74], -v[103:104]
	s_waitcnt vmcnt(0)
	v_add_f64 v[75:76], v[75:76], -v[99:100]
	buffer_store_dword v73, off, s[20:23], 0 offset:32 ; 4-byte Folded Spill
	s_nop 0
	buffer_store_dword v74, off, s[20:23], 0 offset:36 ; 4-byte Folded Spill
	buffer_store_dword v75, off, s[20:23], 0 offset:40 ; 4-byte Folded Spill
	;; [unrolled: 1-line block ×3, first 2 shown]
	ds_read2_b64 v[99:102], v125 offset0:52 offset1:53
	buffer_load_dword v69, off, s[20:23], 0 offset:16 ; 4-byte Folded Reload
	buffer_load_dword v70, off, s[20:23], 0 offset:20 ; 4-byte Folded Reload
	;; [unrolled: 1-line block ×4, first 2 shown]
	v_mov_b32_e32 v75, v97
	v_mov_b32_e32 v76, v98
	s_waitcnt lgkmcnt(0)
	v_mul_f64 v[103:104], v[101:102], v[77:78]
	v_fma_f64 v[103:104], v[99:100], v[97:98], -v[103:104]
	v_mul_f64 v[99:100], v[99:100], v[77:78]
	v_fma_f64 v[99:100], v[101:102], v[97:98], v[99:100]
	s_waitcnt vmcnt(2)
	v_add_f64 v[69:70], v[69:70], -v[103:104]
	s_waitcnt vmcnt(0)
	v_add_f64 v[71:72], v[71:72], -v[99:100]
	buffer_store_dword v69, off, s[20:23], 0 offset:16 ; 4-byte Folded Spill
	s_nop 0
	buffer_store_dword v70, off, s[20:23], 0 offset:20 ; 4-byte Folded Spill
	buffer_store_dword v71, off, s[20:23], 0 offset:24 ; 4-byte Folded Spill
	;; [unrolled: 1-line block ×3, first 2 shown]
	ds_read2_b64 v[99:102], v125 offset0:54 offset1:55
	buffer_load_dword v65, off, s[20:23], 0 ; 4-byte Folded Reload
	buffer_load_dword v66, off, s[20:23], 0 offset:4 ; 4-byte Folded Reload
	buffer_load_dword v67, off, s[20:23], 0 offset:8 ; 4-byte Folded Reload
	;; [unrolled: 1-line block ×3, first 2 shown]
	s_waitcnt lgkmcnt(0)
	v_mul_f64 v[103:104], v[101:102], v[77:78]
	v_fma_f64 v[103:104], v[99:100], v[97:98], -v[103:104]
	v_mul_f64 v[99:100], v[99:100], v[77:78]
	v_fma_f64 v[99:100], v[101:102], v[97:98], v[99:100]
	s_waitcnt vmcnt(2)
	v_add_f64 v[65:66], v[65:66], -v[103:104]
	s_waitcnt vmcnt(0)
	v_add_f64 v[67:68], v[67:68], -v[99:100]
	buffer_store_dword v65, off, s[20:23], 0 ; 4-byte Folded Spill
	s_nop 0
	buffer_store_dword v66, off, s[20:23], 0 offset:4 ; 4-byte Folded Spill
	buffer_store_dword v67, off, s[20:23], 0 offset:8 ; 4-byte Folded Spill
	;; [unrolled: 1-line block ×3, first 2 shown]
	ds_read2_b64 v[99:102], v125 offset0:56 offset1:57
	s_waitcnt lgkmcnt(0)
	v_mul_f64 v[103:104], v[101:102], v[77:78]
	v_fma_f64 v[103:104], v[99:100], v[97:98], -v[103:104]
	v_mul_f64 v[99:100], v[99:100], v[77:78]
	v_add_f64 v[61:62], v[61:62], -v[103:104]
	v_fma_f64 v[99:100], v[101:102], v[97:98], v[99:100]
	v_add_f64 v[63:64], v[63:64], -v[99:100]
	ds_read2_b64 v[99:102], v125 offset0:58 offset1:59
	s_waitcnt lgkmcnt(0)
	v_mul_f64 v[103:104], v[101:102], v[77:78]
	v_fma_f64 v[103:104], v[99:100], v[97:98], -v[103:104]
	v_mul_f64 v[99:100], v[99:100], v[77:78]
	v_add_f64 v[57:58], v[57:58], -v[103:104]
	v_fma_f64 v[99:100], v[101:102], v[97:98], v[99:100]
	v_add_f64 v[59:60], v[59:60], -v[99:100]
	;; [unrolled: 8-line block ×16, first 2 shown]
	ds_read2_b64 v[99:102], v125 offset0:88 offset1:89
	buffer_load_dword v65, off, s[20:23], 0 offset:48 ; 4-byte Folded Reload
	buffer_load_dword v66, off, s[20:23], 0 offset:52 ; 4-byte Folded Reload
	;; [unrolled: 1-line block ×4, first 2 shown]
	s_waitcnt lgkmcnt(0)
	v_mul_f64 v[103:104], v[101:102], v[77:78]
	v_fma_f64 v[103:104], v[99:100], v[97:98], -v[103:104]
	v_mul_f64 v[99:100], v[99:100], v[77:78]
	v_fma_f64 v[99:100], v[101:102], v[97:98], v[99:100]
	s_waitcnt vmcnt(2)
	v_add_f64 v[65:66], v[65:66], -v[103:104]
	s_waitcnt vmcnt(0)
	v_add_f64 v[67:68], v[67:68], -v[99:100]
	buffer_store_dword v65, off, s[20:23], 0 offset:48 ; 4-byte Folded Spill
	s_nop 0
	buffer_store_dword v66, off, s[20:23], 0 offset:52 ; 4-byte Folded Spill
	buffer_store_dword v67, off, s[20:23], 0 offset:56 ; 4-byte Folded Spill
	buffer_store_dword v68, off, s[20:23], 0 offset:60 ; 4-byte Folded Spill
	buffer_store_dword v75, off, s[20:23], 0 offset:144 ; 4-byte Folded Spill
	s_nop 0
	buffer_store_dword v76, off, s[20:23], 0 offset:148 ; 4-byte Folded Spill
	buffer_store_dword v77, off, s[20:23], 0 offset:152 ; 4-byte Folded Spill
	;; [unrolled: 1-line block ×3, first 2 shown]
.LBB89_127:
	s_or_b64 exec, exec, s[2:3]
	v_cmp_eq_u32_e32 vcc, 14, v0
	s_waitcnt vmcnt(0)
	s_barrier
	s_and_saveexec_b64 s[4:5], vcc
	s_cbranch_execz .LBB89_134
; %bb.128:
	buffer_load_dword v69, off, s[20:23], 0 offset:128 ; 4-byte Folded Reload
	buffer_load_dword v70, off, s[20:23], 0 offset:132 ; 4-byte Folded Reload
	;; [unrolled: 1-line block ×4, first 2 shown]
	s_waitcnt vmcnt(0)
	ds_write2_b64 v127, v[69:70], v[71:72] offset1:1
	buffer_load_dword v69, off, s[20:23], 0 offset:112 ; 4-byte Folded Reload
	buffer_load_dword v70, off, s[20:23], 0 offset:116 ; 4-byte Folded Reload
	buffer_load_dword v71, off, s[20:23], 0 offset:120 ; 4-byte Folded Reload
	buffer_load_dword v72, off, s[20:23], 0 offset:124 ; 4-byte Folded Reload
	s_waitcnt vmcnt(0)
	ds_write2_b64 v125, v[69:70], v[71:72] offset0:30 offset1:31
	buffer_load_dword v69, off, s[20:23], 0 offset:96 ; 4-byte Folded Reload
	buffer_load_dword v70, off, s[20:23], 0 offset:100 ; 4-byte Folded Reload
	buffer_load_dword v71, off, s[20:23], 0 offset:104 ; 4-byte Folded Reload
	buffer_load_dword v72, off, s[20:23], 0 offset:108 ; 4-byte Folded Reload
	s_waitcnt vmcnt(0)
	ds_write2_b64 v125, v[69:70], v[71:72] offset0:32 offset1:33
	;; [unrolled: 6-line block ×3, first 2 shown]
	ds_write2_b64 v125, v[117:118], v[119:120] offset0:36 offset1:37
	ds_write2_b64 v125, v[79:80], v[81:82] offset0:38 offset1:39
	;; [unrolled: 1-line block ×5, first 2 shown]
	buffer_load_dword v73, off, s[20:23], 0 offset:64 ; 4-byte Folded Reload
	buffer_load_dword v74, off, s[20:23], 0 offset:68 ; 4-byte Folded Reload
	;; [unrolled: 1-line block ×4, first 2 shown]
	s_waitcnt vmcnt(0)
	ds_write2_b64 v125, v[73:74], v[75:76] offset0:46 offset1:47
	ds_write2_b64 v125, v[93:94], v[95:96] offset0:48 offset1:49
	buffer_load_dword v73, off, s[20:23], 0 offset:32 ; 4-byte Folded Reload
	buffer_load_dword v74, off, s[20:23], 0 offset:36 ; 4-byte Folded Reload
	;; [unrolled: 1-line block ×4, first 2 shown]
	s_waitcnt vmcnt(0)
	ds_write2_b64 v125, v[73:74], v[75:76] offset0:50 offset1:51
	buffer_load_dword v69, off, s[20:23], 0 offset:16 ; 4-byte Folded Reload
	buffer_load_dword v70, off, s[20:23], 0 offset:20 ; 4-byte Folded Reload
	;; [unrolled: 1-line block ×4, first 2 shown]
	s_waitcnt vmcnt(0)
	ds_write2_b64 v125, v[69:70], v[71:72] offset0:52 offset1:53
	buffer_load_dword v65, off, s[20:23], 0 ; 4-byte Folded Reload
	buffer_load_dword v66, off, s[20:23], 0 offset:4 ; 4-byte Folded Reload
	buffer_load_dword v67, off, s[20:23], 0 offset:8 ; 4-byte Folded Reload
	;; [unrolled: 1-line block ×3, first 2 shown]
	s_waitcnt vmcnt(0)
	ds_write2_b64 v125, v[65:66], v[67:68] offset0:54 offset1:55
	ds_write2_b64 v125, v[61:62], v[63:64] offset0:56 offset1:57
	;; [unrolled: 1-line block ×17, first 2 shown]
	buffer_load_dword v65, off, s[20:23], 0 offset:48 ; 4-byte Folded Reload
	buffer_load_dword v66, off, s[20:23], 0 offset:52 ; 4-byte Folded Reload
	;; [unrolled: 1-line block ×4, first 2 shown]
	s_waitcnt vmcnt(0)
	ds_write2_b64 v125, v[65:66], v[67:68] offset0:88 offset1:89
	ds_read2_b64 v[97:100], v127 offset1:1
	s_waitcnt lgkmcnt(0)
	v_cmp_neq_f64_e32 vcc, 0, v[97:98]
	v_cmp_neq_f64_e64 s[2:3], 0, v[99:100]
	s_or_b64 s[2:3], vcc, s[2:3]
	s_and_b64 exec, exec, s[2:3]
	s_cbranch_execz .LBB89_134
; %bb.129:
	v_cmp_ngt_f64_e64 s[2:3], |v[97:98]|, |v[99:100]|
                                        ; implicit-def: $vgpr101_vgpr102
	s_and_saveexec_b64 s[6:7], s[2:3]
	s_xor_b64 s[2:3], exec, s[6:7]
                                        ; implicit-def: $vgpr103_vgpr104
	s_cbranch_execz .LBB89_131
; %bb.130:
	v_div_scale_f64 v[101:102], s[6:7], v[99:100], v[99:100], v[97:98]
	v_rcp_f64_e32 v[103:104], v[101:102]
	v_fma_f64 v[105:106], -v[101:102], v[103:104], 1.0
	v_fma_f64 v[103:104], v[103:104], v[105:106], v[103:104]
	v_div_scale_f64 v[105:106], vcc, v[97:98], v[99:100], v[97:98]
	v_fma_f64 v[107:108], -v[101:102], v[103:104], 1.0
	v_fma_f64 v[103:104], v[103:104], v[107:108], v[103:104]
	v_mul_f64 v[107:108], v[105:106], v[103:104]
	v_fma_f64 v[101:102], -v[101:102], v[107:108], v[105:106]
	v_div_fmas_f64 v[101:102], v[101:102], v[103:104], v[107:108]
	v_div_fixup_f64 v[101:102], v[101:102], v[99:100], v[97:98]
	v_fma_f64 v[97:98], v[97:98], v[101:102], v[99:100]
	v_div_scale_f64 v[99:100], s[6:7], v[97:98], v[97:98], 1.0
	v_div_scale_f64 v[107:108], vcc, 1.0, v[97:98], 1.0
	v_rcp_f64_e32 v[103:104], v[99:100]
	v_fma_f64 v[105:106], -v[99:100], v[103:104], 1.0
	v_fma_f64 v[103:104], v[103:104], v[105:106], v[103:104]
	v_fma_f64 v[105:106], -v[99:100], v[103:104], 1.0
	v_fma_f64 v[103:104], v[103:104], v[105:106], v[103:104]
	v_mul_f64 v[105:106], v[107:108], v[103:104]
	v_fma_f64 v[99:100], -v[99:100], v[105:106], v[107:108]
	v_div_fmas_f64 v[99:100], v[99:100], v[103:104], v[105:106]
	v_div_fixup_f64 v[103:104], v[99:100], v[97:98], 1.0
                                        ; implicit-def: $vgpr97_vgpr98
	v_mul_f64 v[101:102], v[101:102], v[103:104]
	v_xor_b32_e32 v104, 0x80000000, v104
.LBB89_131:
	s_andn2_saveexec_b64 s[2:3], s[2:3]
	s_cbranch_execz .LBB89_133
; %bb.132:
	v_div_scale_f64 v[101:102], s[6:7], v[97:98], v[97:98], v[99:100]
	v_rcp_f64_e32 v[103:104], v[101:102]
	v_fma_f64 v[105:106], -v[101:102], v[103:104], 1.0
	v_fma_f64 v[103:104], v[103:104], v[105:106], v[103:104]
	v_div_scale_f64 v[105:106], vcc, v[99:100], v[97:98], v[99:100]
	v_fma_f64 v[107:108], -v[101:102], v[103:104], 1.0
	v_fma_f64 v[103:104], v[103:104], v[107:108], v[103:104]
	v_mul_f64 v[107:108], v[105:106], v[103:104]
	v_fma_f64 v[101:102], -v[101:102], v[107:108], v[105:106]
	v_div_fmas_f64 v[101:102], v[101:102], v[103:104], v[107:108]
	v_div_fixup_f64 v[103:104], v[101:102], v[97:98], v[99:100]
	v_fma_f64 v[97:98], v[99:100], v[103:104], v[97:98]
	v_div_scale_f64 v[99:100], s[6:7], v[97:98], v[97:98], 1.0
	v_div_scale_f64 v[107:108], vcc, 1.0, v[97:98], 1.0
	v_rcp_f64_e32 v[101:102], v[99:100]
	v_fma_f64 v[105:106], -v[99:100], v[101:102], 1.0
	v_fma_f64 v[101:102], v[101:102], v[105:106], v[101:102]
	v_fma_f64 v[105:106], -v[99:100], v[101:102], 1.0
	v_fma_f64 v[101:102], v[101:102], v[105:106], v[101:102]
	v_mul_f64 v[105:106], v[107:108], v[101:102]
	v_fma_f64 v[99:100], -v[99:100], v[105:106], v[107:108]
	v_div_fmas_f64 v[99:100], v[99:100], v[101:102], v[105:106]
	v_div_fixup_f64 v[101:102], v[99:100], v[97:98], 1.0
	v_mul_f64 v[103:104], v[103:104], -v[101:102]
.LBB89_133:
	s_or_b64 exec, exec, s[2:3]
	ds_write2_b64 v127, v[101:102], v[103:104] offset1:1
.LBB89_134:
	s_or_b64 exec, exec, s[4:5]
	s_waitcnt lgkmcnt(0)
	s_barrier
	ds_read2_b64 v[65:68], v127 offset1:1
	v_cmp_lt_u32_e32 vcc, 14, v0
	s_waitcnt lgkmcnt(0)
	buffer_store_dword v65, off, s[20:23], 0 offset:944 ; 4-byte Folded Spill
	s_nop 0
	buffer_store_dword v66, off, s[20:23], 0 offset:948 ; 4-byte Folded Spill
	buffer_store_dword v67, off, s[20:23], 0 offset:952 ; 4-byte Folded Spill
	;; [unrolled: 1-line block ×3, first 2 shown]
	s_and_saveexec_b64 s[2:3], vcc
	s_cbranch_execz .LBB89_136
; %bb.135:
	buffer_load_dword v75, off, s[20:23], 0 offset:128 ; 4-byte Folded Reload
	buffer_load_dword v76, off, s[20:23], 0 offset:132 ; 4-byte Folded Reload
	;; [unrolled: 1-line block ×8, first 2 shown]
	s_waitcnt vmcnt(2)
	v_mul_f64 v[99:100], v[65:66], v[77:78]
	s_waitcnt vmcnt(0)
	v_mul_f64 v[97:98], v[67:68], v[77:78]
	v_fma_f64 v[77:78], v[67:68], v[75:76], v[99:100]
	ds_read2_b64 v[99:102], v125 offset0:30 offset1:31
	buffer_load_dword v69, off, s[20:23], 0 offset:112 ; 4-byte Folded Reload
	buffer_load_dword v70, off, s[20:23], 0 offset:116 ; 4-byte Folded Reload
	;; [unrolled: 1-line block ×4, first 2 shown]
	v_fma_f64 v[97:98], v[65:66], v[75:76], -v[97:98]
	s_waitcnt lgkmcnt(0)
	v_mul_f64 v[103:104], v[101:102], v[77:78]
	v_fma_f64 v[103:104], v[99:100], v[97:98], -v[103:104]
	v_mul_f64 v[99:100], v[99:100], v[77:78]
	v_fma_f64 v[99:100], v[101:102], v[97:98], v[99:100]
	s_waitcnt vmcnt(2)
	v_add_f64 v[69:70], v[69:70], -v[103:104]
	s_waitcnt vmcnt(0)
	v_add_f64 v[71:72], v[71:72], -v[99:100]
	buffer_store_dword v69, off, s[20:23], 0 offset:112 ; 4-byte Folded Spill
	s_nop 0
	buffer_store_dword v70, off, s[20:23], 0 offset:116 ; 4-byte Folded Spill
	buffer_store_dword v71, off, s[20:23], 0 offset:120 ; 4-byte Folded Spill
	;; [unrolled: 1-line block ×3, first 2 shown]
	ds_read2_b64 v[99:102], v125 offset0:32 offset1:33
	buffer_load_dword v69, off, s[20:23], 0 offset:96 ; 4-byte Folded Reload
	buffer_load_dword v70, off, s[20:23], 0 offset:100 ; 4-byte Folded Reload
	;; [unrolled: 1-line block ×4, first 2 shown]
	s_waitcnt lgkmcnt(0)
	v_mul_f64 v[103:104], v[101:102], v[77:78]
	v_fma_f64 v[103:104], v[99:100], v[97:98], -v[103:104]
	v_mul_f64 v[99:100], v[99:100], v[77:78]
	v_fma_f64 v[99:100], v[101:102], v[97:98], v[99:100]
	s_waitcnt vmcnt(2)
	v_add_f64 v[69:70], v[69:70], -v[103:104]
	s_waitcnt vmcnt(0)
	v_add_f64 v[71:72], v[71:72], -v[99:100]
	buffer_store_dword v69, off, s[20:23], 0 offset:96 ; 4-byte Folded Spill
	s_nop 0
	buffer_store_dword v70, off, s[20:23], 0 offset:100 ; 4-byte Folded Spill
	buffer_store_dword v71, off, s[20:23], 0 offset:104 ; 4-byte Folded Spill
	;; [unrolled: 1-line block ×3, first 2 shown]
	ds_read2_b64 v[99:102], v125 offset0:34 offset1:35
	buffer_load_dword v69, off, s[20:23], 0 offset:80 ; 4-byte Folded Reload
	buffer_load_dword v70, off, s[20:23], 0 offset:84 ; 4-byte Folded Reload
	;; [unrolled: 1-line block ×4, first 2 shown]
	s_waitcnt lgkmcnt(0)
	v_mul_f64 v[103:104], v[101:102], v[77:78]
	v_fma_f64 v[103:104], v[99:100], v[97:98], -v[103:104]
	v_mul_f64 v[99:100], v[99:100], v[77:78]
	v_fma_f64 v[99:100], v[101:102], v[97:98], v[99:100]
	s_waitcnt vmcnt(2)
	v_add_f64 v[69:70], v[69:70], -v[103:104]
	s_waitcnt vmcnt(0)
	v_add_f64 v[71:72], v[71:72], -v[99:100]
	buffer_store_dword v69, off, s[20:23], 0 offset:80 ; 4-byte Folded Spill
	s_nop 0
	buffer_store_dword v70, off, s[20:23], 0 offset:84 ; 4-byte Folded Spill
	buffer_store_dword v71, off, s[20:23], 0 offset:88 ; 4-byte Folded Spill
	;; [unrolled: 1-line block ×3, first 2 shown]
	ds_read2_b64 v[99:102], v125 offset0:36 offset1:37
	s_waitcnt lgkmcnt(0)
	v_mul_f64 v[103:104], v[101:102], v[77:78]
	v_fma_f64 v[103:104], v[99:100], v[97:98], -v[103:104]
	v_mul_f64 v[99:100], v[99:100], v[77:78]
	v_add_f64 v[117:118], v[117:118], -v[103:104]
	v_fma_f64 v[99:100], v[101:102], v[97:98], v[99:100]
	v_add_f64 v[119:120], v[119:120], -v[99:100]
	ds_read2_b64 v[99:102], v125 offset0:38 offset1:39
	s_waitcnt lgkmcnt(0)
	v_mul_f64 v[103:104], v[101:102], v[77:78]
	v_fma_f64 v[103:104], v[99:100], v[97:98], -v[103:104]
	v_mul_f64 v[99:100], v[99:100], v[77:78]
	v_add_f64 v[79:80], v[79:80], -v[103:104]
	v_fma_f64 v[99:100], v[101:102], v[97:98], v[99:100]
	v_add_f64 v[81:82], v[81:82], -v[99:100]
	;; [unrolled: 8-line block ×5, first 2 shown]
	ds_read2_b64 v[99:102], v125 offset0:46 offset1:47
	buffer_load_dword v73, off, s[20:23], 0 offset:64 ; 4-byte Folded Reload
	buffer_load_dword v74, off, s[20:23], 0 offset:68 ; 4-byte Folded Reload
	;; [unrolled: 1-line block ×4, first 2 shown]
	s_waitcnt lgkmcnt(0)
	v_mul_f64 v[103:104], v[101:102], v[77:78]
	v_fma_f64 v[103:104], v[99:100], v[97:98], -v[103:104]
	v_mul_f64 v[99:100], v[99:100], v[77:78]
	v_fma_f64 v[99:100], v[101:102], v[97:98], v[99:100]
	s_waitcnt vmcnt(2)
	v_add_f64 v[73:74], v[73:74], -v[103:104]
	s_waitcnt vmcnt(0)
	v_add_f64 v[75:76], v[75:76], -v[99:100]
	buffer_store_dword v73, off, s[20:23], 0 offset:64 ; 4-byte Folded Spill
	s_nop 0
	buffer_store_dword v74, off, s[20:23], 0 offset:68 ; 4-byte Folded Spill
	buffer_store_dword v75, off, s[20:23], 0 offset:72 ; 4-byte Folded Spill
	buffer_store_dword v76, off, s[20:23], 0 offset:76 ; 4-byte Folded Spill
	ds_read2_b64 v[99:102], v125 offset0:48 offset1:49
	s_waitcnt lgkmcnt(0)
	v_mul_f64 v[103:104], v[101:102], v[77:78]
	v_fma_f64 v[103:104], v[99:100], v[97:98], -v[103:104]
	v_mul_f64 v[99:100], v[99:100], v[77:78]
	v_add_f64 v[93:94], v[93:94], -v[103:104]
	v_fma_f64 v[99:100], v[101:102], v[97:98], v[99:100]
	v_add_f64 v[95:96], v[95:96], -v[99:100]
	ds_read2_b64 v[99:102], v125 offset0:50 offset1:51
	buffer_load_dword v73, off, s[20:23], 0 offset:32 ; 4-byte Folded Reload
	buffer_load_dword v74, off, s[20:23], 0 offset:36 ; 4-byte Folded Reload
	;; [unrolled: 1-line block ×4, first 2 shown]
	s_waitcnt lgkmcnt(0)
	v_mul_f64 v[103:104], v[101:102], v[77:78]
	v_fma_f64 v[103:104], v[99:100], v[97:98], -v[103:104]
	v_mul_f64 v[99:100], v[99:100], v[77:78]
	v_fma_f64 v[99:100], v[101:102], v[97:98], v[99:100]
	s_waitcnt vmcnt(2)
	v_add_f64 v[73:74], v[73:74], -v[103:104]
	s_waitcnt vmcnt(0)
	v_add_f64 v[75:76], v[75:76], -v[99:100]
	buffer_store_dword v73, off, s[20:23], 0 offset:32 ; 4-byte Folded Spill
	s_nop 0
	buffer_store_dword v74, off, s[20:23], 0 offset:36 ; 4-byte Folded Spill
	buffer_store_dword v75, off, s[20:23], 0 offset:40 ; 4-byte Folded Spill
	;; [unrolled: 1-line block ×3, first 2 shown]
	ds_read2_b64 v[99:102], v125 offset0:52 offset1:53
	buffer_load_dword v69, off, s[20:23], 0 offset:16 ; 4-byte Folded Reload
	buffer_load_dword v70, off, s[20:23], 0 offset:20 ; 4-byte Folded Reload
	;; [unrolled: 1-line block ×4, first 2 shown]
	v_mov_b32_e32 v75, v97
	v_mov_b32_e32 v76, v98
	s_waitcnt lgkmcnt(0)
	v_mul_f64 v[103:104], v[101:102], v[77:78]
	v_fma_f64 v[103:104], v[99:100], v[97:98], -v[103:104]
	v_mul_f64 v[99:100], v[99:100], v[77:78]
	v_fma_f64 v[99:100], v[101:102], v[97:98], v[99:100]
	s_waitcnt vmcnt(2)
	v_add_f64 v[69:70], v[69:70], -v[103:104]
	s_waitcnt vmcnt(0)
	v_add_f64 v[71:72], v[71:72], -v[99:100]
	buffer_store_dword v69, off, s[20:23], 0 offset:16 ; 4-byte Folded Spill
	s_nop 0
	buffer_store_dword v70, off, s[20:23], 0 offset:20 ; 4-byte Folded Spill
	buffer_store_dword v71, off, s[20:23], 0 offset:24 ; 4-byte Folded Spill
	;; [unrolled: 1-line block ×3, first 2 shown]
	ds_read2_b64 v[99:102], v125 offset0:54 offset1:55
	buffer_load_dword v65, off, s[20:23], 0 ; 4-byte Folded Reload
	buffer_load_dword v66, off, s[20:23], 0 offset:4 ; 4-byte Folded Reload
	buffer_load_dword v67, off, s[20:23], 0 offset:8 ; 4-byte Folded Reload
	;; [unrolled: 1-line block ×3, first 2 shown]
	s_waitcnt lgkmcnt(0)
	v_mul_f64 v[103:104], v[101:102], v[77:78]
	v_fma_f64 v[103:104], v[99:100], v[97:98], -v[103:104]
	v_mul_f64 v[99:100], v[99:100], v[77:78]
	v_fma_f64 v[99:100], v[101:102], v[97:98], v[99:100]
	s_waitcnt vmcnt(2)
	v_add_f64 v[65:66], v[65:66], -v[103:104]
	s_waitcnt vmcnt(0)
	v_add_f64 v[67:68], v[67:68], -v[99:100]
	buffer_store_dword v65, off, s[20:23], 0 ; 4-byte Folded Spill
	s_nop 0
	buffer_store_dword v66, off, s[20:23], 0 offset:4 ; 4-byte Folded Spill
	buffer_store_dword v67, off, s[20:23], 0 offset:8 ; 4-byte Folded Spill
	;; [unrolled: 1-line block ×3, first 2 shown]
	ds_read2_b64 v[99:102], v125 offset0:56 offset1:57
	s_waitcnt lgkmcnt(0)
	v_mul_f64 v[103:104], v[101:102], v[77:78]
	v_fma_f64 v[103:104], v[99:100], v[97:98], -v[103:104]
	v_mul_f64 v[99:100], v[99:100], v[77:78]
	v_add_f64 v[61:62], v[61:62], -v[103:104]
	v_fma_f64 v[99:100], v[101:102], v[97:98], v[99:100]
	v_add_f64 v[63:64], v[63:64], -v[99:100]
	ds_read2_b64 v[99:102], v125 offset0:58 offset1:59
	s_waitcnt lgkmcnt(0)
	v_mul_f64 v[103:104], v[101:102], v[77:78]
	v_fma_f64 v[103:104], v[99:100], v[97:98], -v[103:104]
	v_mul_f64 v[99:100], v[99:100], v[77:78]
	v_add_f64 v[57:58], v[57:58], -v[103:104]
	v_fma_f64 v[99:100], v[101:102], v[97:98], v[99:100]
	v_add_f64 v[59:60], v[59:60], -v[99:100]
	;; [unrolled: 8-line block ×16, first 2 shown]
	ds_read2_b64 v[99:102], v125 offset0:88 offset1:89
	buffer_load_dword v65, off, s[20:23], 0 offset:48 ; 4-byte Folded Reload
	buffer_load_dword v66, off, s[20:23], 0 offset:52 ; 4-byte Folded Reload
	buffer_load_dword v67, off, s[20:23], 0 offset:56 ; 4-byte Folded Reload
	buffer_load_dword v68, off, s[20:23], 0 offset:60 ; 4-byte Folded Reload
	s_waitcnt lgkmcnt(0)
	v_mul_f64 v[103:104], v[101:102], v[77:78]
	v_fma_f64 v[103:104], v[99:100], v[97:98], -v[103:104]
	v_mul_f64 v[99:100], v[99:100], v[77:78]
	v_fma_f64 v[99:100], v[101:102], v[97:98], v[99:100]
	s_waitcnt vmcnt(2)
	v_add_f64 v[65:66], v[65:66], -v[103:104]
	s_waitcnt vmcnt(0)
	v_add_f64 v[67:68], v[67:68], -v[99:100]
	buffer_store_dword v65, off, s[20:23], 0 offset:48 ; 4-byte Folded Spill
	s_nop 0
	buffer_store_dword v66, off, s[20:23], 0 offset:52 ; 4-byte Folded Spill
	buffer_store_dword v67, off, s[20:23], 0 offset:56 ; 4-byte Folded Spill
	;; [unrolled: 1-line block ×4, first 2 shown]
	s_nop 0
	buffer_store_dword v76, off, s[20:23], 0 offset:132 ; 4-byte Folded Spill
	buffer_store_dword v77, off, s[20:23], 0 offset:136 ; 4-byte Folded Spill
	;; [unrolled: 1-line block ×3, first 2 shown]
.LBB89_136:
	s_or_b64 exec, exec, s[2:3]
	v_cmp_eq_u32_e32 vcc, 15, v0
	s_waitcnt vmcnt(0)
	s_barrier
	s_and_saveexec_b64 s[4:5], vcc
	s_cbranch_execz .LBB89_143
; %bb.137:
	buffer_load_dword v69, off, s[20:23], 0 offset:112 ; 4-byte Folded Reload
	buffer_load_dword v70, off, s[20:23], 0 offset:116 ; 4-byte Folded Reload
	;; [unrolled: 1-line block ×4, first 2 shown]
	s_waitcnt vmcnt(0)
	ds_write2_b64 v127, v[69:70], v[71:72] offset1:1
	buffer_load_dword v69, off, s[20:23], 0 offset:96 ; 4-byte Folded Reload
	buffer_load_dword v70, off, s[20:23], 0 offset:100 ; 4-byte Folded Reload
	;; [unrolled: 1-line block ×4, first 2 shown]
	s_waitcnt vmcnt(0)
	ds_write2_b64 v125, v[69:70], v[71:72] offset0:32 offset1:33
	buffer_load_dword v69, off, s[20:23], 0 offset:80 ; 4-byte Folded Reload
	buffer_load_dword v70, off, s[20:23], 0 offset:84 ; 4-byte Folded Reload
	;; [unrolled: 1-line block ×4, first 2 shown]
	s_waitcnt vmcnt(0)
	ds_write2_b64 v125, v[69:70], v[71:72] offset0:34 offset1:35
	ds_write2_b64 v125, v[117:118], v[119:120] offset0:36 offset1:37
	;; [unrolled: 1-line block ×6, first 2 shown]
	buffer_load_dword v73, off, s[20:23], 0 offset:64 ; 4-byte Folded Reload
	buffer_load_dword v74, off, s[20:23], 0 offset:68 ; 4-byte Folded Reload
	;; [unrolled: 1-line block ×4, first 2 shown]
	s_waitcnt vmcnt(0)
	ds_write2_b64 v125, v[73:74], v[75:76] offset0:46 offset1:47
	ds_write2_b64 v125, v[93:94], v[95:96] offset0:48 offset1:49
	buffer_load_dword v73, off, s[20:23], 0 offset:32 ; 4-byte Folded Reload
	buffer_load_dword v74, off, s[20:23], 0 offset:36 ; 4-byte Folded Reload
	buffer_load_dword v75, off, s[20:23], 0 offset:40 ; 4-byte Folded Reload
	buffer_load_dword v76, off, s[20:23], 0 offset:44 ; 4-byte Folded Reload
	s_waitcnt vmcnt(0)
	ds_write2_b64 v125, v[73:74], v[75:76] offset0:50 offset1:51
	buffer_load_dword v69, off, s[20:23], 0 offset:16 ; 4-byte Folded Reload
	buffer_load_dword v70, off, s[20:23], 0 offset:20 ; 4-byte Folded Reload
	;; [unrolled: 1-line block ×4, first 2 shown]
	s_waitcnt vmcnt(0)
	ds_write2_b64 v125, v[69:70], v[71:72] offset0:52 offset1:53
	buffer_load_dword v65, off, s[20:23], 0 ; 4-byte Folded Reload
	buffer_load_dword v66, off, s[20:23], 0 offset:4 ; 4-byte Folded Reload
	buffer_load_dword v67, off, s[20:23], 0 offset:8 ; 4-byte Folded Reload
	;; [unrolled: 1-line block ×3, first 2 shown]
	s_waitcnt vmcnt(0)
	ds_write2_b64 v125, v[65:66], v[67:68] offset0:54 offset1:55
	ds_write2_b64 v125, v[61:62], v[63:64] offset0:56 offset1:57
	;; [unrolled: 1-line block ×17, first 2 shown]
	buffer_load_dword v65, off, s[20:23], 0 offset:48 ; 4-byte Folded Reload
	buffer_load_dword v66, off, s[20:23], 0 offset:52 ; 4-byte Folded Reload
	;; [unrolled: 1-line block ×4, first 2 shown]
	s_waitcnt vmcnt(0)
	ds_write2_b64 v125, v[65:66], v[67:68] offset0:88 offset1:89
	ds_read2_b64 v[97:100], v127 offset1:1
	s_waitcnt lgkmcnt(0)
	v_cmp_neq_f64_e32 vcc, 0, v[97:98]
	v_cmp_neq_f64_e64 s[2:3], 0, v[99:100]
	s_or_b64 s[2:3], vcc, s[2:3]
	s_and_b64 exec, exec, s[2:3]
	s_cbranch_execz .LBB89_143
; %bb.138:
	v_cmp_ngt_f64_e64 s[2:3], |v[97:98]|, |v[99:100]|
                                        ; implicit-def: $vgpr101_vgpr102
	s_and_saveexec_b64 s[6:7], s[2:3]
	s_xor_b64 s[2:3], exec, s[6:7]
                                        ; implicit-def: $vgpr103_vgpr104
	s_cbranch_execz .LBB89_140
; %bb.139:
	v_div_scale_f64 v[101:102], s[6:7], v[99:100], v[99:100], v[97:98]
	v_rcp_f64_e32 v[103:104], v[101:102]
	v_fma_f64 v[105:106], -v[101:102], v[103:104], 1.0
	v_fma_f64 v[103:104], v[103:104], v[105:106], v[103:104]
	v_div_scale_f64 v[105:106], vcc, v[97:98], v[99:100], v[97:98]
	v_fma_f64 v[107:108], -v[101:102], v[103:104], 1.0
	v_fma_f64 v[103:104], v[103:104], v[107:108], v[103:104]
	v_mul_f64 v[107:108], v[105:106], v[103:104]
	v_fma_f64 v[101:102], -v[101:102], v[107:108], v[105:106]
	v_div_fmas_f64 v[101:102], v[101:102], v[103:104], v[107:108]
	v_div_fixup_f64 v[101:102], v[101:102], v[99:100], v[97:98]
	v_fma_f64 v[97:98], v[97:98], v[101:102], v[99:100]
	v_div_scale_f64 v[99:100], s[6:7], v[97:98], v[97:98], 1.0
	v_div_scale_f64 v[107:108], vcc, 1.0, v[97:98], 1.0
	v_rcp_f64_e32 v[103:104], v[99:100]
	v_fma_f64 v[105:106], -v[99:100], v[103:104], 1.0
	v_fma_f64 v[103:104], v[103:104], v[105:106], v[103:104]
	v_fma_f64 v[105:106], -v[99:100], v[103:104], 1.0
	v_fma_f64 v[103:104], v[103:104], v[105:106], v[103:104]
	v_mul_f64 v[105:106], v[107:108], v[103:104]
	v_fma_f64 v[99:100], -v[99:100], v[105:106], v[107:108]
	v_div_fmas_f64 v[99:100], v[99:100], v[103:104], v[105:106]
	v_div_fixup_f64 v[103:104], v[99:100], v[97:98], 1.0
                                        ; implicit-def: $vgpr97_vgpr98
	v_mul_f64 v[101:102], v[101:102], v[103:104]
	v_xor_b32_e32 v104, 0x80000000, v104
.LBB89_140:
	s_andn2_saveexec_b64 s[2:3], s[2:3]
	s_cbranch_execz .LBB89_142
; %bb.141:
	v_div_scale_f64 v[101:102], s[6:7], v[97:98], v[97:98], v[99:100]
	v_rcp_f64_e32 v[103:104], v[101:102]
	v_fma_f64 v[105:106], -v[101:102], v[103:104], 1.0
	v_fma_f64 v[103:104], v[103:104], v[105:106], v[103:104]
	v_div_scale_f64 v[105:106], vcc, v[99:100], v[97:98], v[99:100]
	v_fma_f64 v[107:108], -v[101:102], v[103:104], 1.0
	v_fma_f64 v[103:104], v[103:104], v[107:108], v[103:104]
	v_mul_f64 v[107:108], v[105:106], v[103:104]
	v_fma_f64 v[101:102], -v[101:102], v[107:108], v[105:106]
	v_div_fmas_f64 v[101:102], v[101:102], v[103:104], v[107:108]
	v_div_fixup_f64 v[103:104], v[101:102], v[97:98], v[99:100]
	v_fma_f64 v[97:98], v[99:100], v[103:104], v[97:98]
	v_div_scale_f64 v[99:100], s[6:7], v[97:98], v[97:98], 1.0
	v_div_scale_f64 v[107:108], vcc, 1.0, v[97:98], 1.0
	v_rcp_f64_e32 v[101:102], v[99:100]
	v_fma_f64 v[105:106], -v[99:100], v[101:102], 1.0
	v_fma_f64 v[101:102], v[101:102], v[105:106], v[101:102]
	v_fma_f64 v[105:106], -v[99:100], v[101:102], 1.0
	v_fma_f64 v[101:102], v[101:102], v[105:106], v[101:102]
	v_mul_f64 v[105:106], v[107:108], v[101:102]
	v_fma_f64 v[99:100], -v[99:100], v[105:106], v[107:108]
	v_div_fmas_f64 v[99:100], v[99:100], v[101:102], v[105:106]
	v_div_fixup_f64 v[101:102], v[99:100], v[97:98], 1.0
	v_mul_f64 v[103:104], v[103:104], -v[101:102]
.LBB89_142:
	s_or_b64 exec, exec, s[2:3]
	ds_write2_b64 v127, v[101:102], v[103:104] offset1:1
.LBB89_143:
	s_or_b64 exec, exec, s[4:5]
	s_waitcnt lgkmcnt(0)
	s_barrier
	ds_read2_b64 v[65:68], v127 offset1:1
	v_cmp_lt_u32_e32 vcc, 15, v0
	s_waitcnt lgkmcnt(0)
	buffer_store_dword v65, off, s[20:23], 0 offset:960 ; 4-byte Folded Spill
	s_nop 0
	buffer_store_dword v66, off, s[20:23], 0 offset:964 ; 4-byte Folded Spill
	buffer_store_dword v67, off, s[20:23], 0 offset:968 ; 4-byte Folded Spill
	;; [unrolled: 1-line block ×3, first 2 shown]
	s_and_saveexec_b64 s[2:3], vcc
	s_cbranch_execz .LBB89_145
; %bb.144:
	buffer_load_dword v75, off, s[20:23], 0 offset:112 ; 4-byte Folded Reload
	buffer_load_dword v76, off, s[20:23], 0 offset:116 ; 4-byte Folded Reload
	;; [unrolled: 1-line block ×8, first 2 shown]
	s_waitcnt vmcnt(2)
	v_mul_f64 v[99:100], v[65:66], v[77:78]
	s_waitcnt vmcnt(0)
	v_mul_f64 v[97:98], v[67:68], v[77:78]
	v_fma_f64 v[77:78], v[67:68], v[75:76], v[99:100]
	ds_read2_b64 v[99:102], v125 offset0:32 offset1:33
	buffer_load_dword v69, off, s[20:23], 0 offset:96 ; 4-byte Folded Reload
	buffer_load_dword v70, off, s[20:23], 0 offset:100 ; 4-byte Folded Reload
	buffer_load_dword v71, off, s[20:23], 0 offset:104 ; 4-byte Folded Reload
	buffer_load_dword v72, off, s[20:23], 0 offset:108 ; 4-byte Folded Reload
	v_fma_f64 v[97:98], v[65:66], v[75:76], -v[97:98]
	s_waitcnt lgkmcnt(0)
	v_mul_f64 v[103:104], v[101:102], v[77:78]
	v_fma_f64 v[103:104], v[99:100], v[97:98], -v[103:104]
	v_mul_f64 v[99:100], v[99:100], v[77:78]
	v_fma_f64 v[99:100], v[101:102], v[97:98], v[99:100]
	s_waitcnt vmcnt(2)
	v_add_f64 v[69:70], v[69:70], -v[103:104]
	s_waitcnt vmcnt(0)
	v_add_f64 v[71:72], v[71:72], -v[99:100]
	buffer_store_dword v69, off, s[20:23], 0 offset:96 ; 4-byte Folded Spill
	s_nop 0
	buffer_store_dword v70, off, s[20:23], 0 offset:100 ; 4-byte Folded Spill
	buffer_store_dword v71, off, s[20:23], 0 offset:104 ; 4-byte Folded Spill
	;; [unrolled: 1-line block ×3, first 2 shown]
	ds_read2_b64 v[99:102], v125 offset0:34 offset1:35
	buffer_load_dword v69, off, s[20:23], 0 offset:80 ; 4-byte Folded Reload
	buffer_load_dword v70, off, s[20:23], 0 offset:84 ; 4-byte Folded Reload
	;; [unrolled: 1-line block ×4, first 2 shown]
	s_waitcnt lgkmcnt(0)
	v_mul_f64 v[103:104], v[101:102], v[77:78]
	v_fma_f64 v[103:104], v[99:100], v[97:98], -v[103:104]
	v_mul_f64 v[99:100], v[99:100], v[77:78]
	v_fma_f64 v[99:100], v[101:102], v[97:98], v[99:100]
	s_waitcnt vmcnt(2)
	v_add_f64 v[69:70], v[69:70], -v[103:104]
	s_waitcnt vmcnt(0)
	v_add_f64 v[71:72], v[71:72], -v[99:100]
	buffer_store_dword v69, off, s[20:23], 0 offset:80 ; 4-byte Folded Spill
	s_nop 0
	buffer_store_dword v70, off, s[20:23], 0 offset:84 ; 4-byte Folded Spill
	buffer_store_dword v71, off, s[20:23], 0 offset:88 ; 4-byte Folded Spill
	;; [unrolled: 1-line block ×3, first 2 shown]
	ds_read2_b64 v[99:102], v125 offset0:36 offset1:37
	s_waitcnt lgkmcnt(0)
	v_mul_f64 v[103:104], v[101:102], v[77:78]
	v_fma_f64 v[103:104], v[99:100], v[97:98], -v[103:104]
	v_mul_f64 v[99:100], v[99:100], v[77:78]
	v_add_f64 v[117:118], v[117:118], -v[103:104]
	v_fma_f64 v[99:100], v[101:102], v[97:98], v[99:100]
	v_add_f64 v[119:120], v[119:120], -v[99:100]
	ds_read2_b64 v[99:102], v125 offset0:38 offset1:39
	s_waitcnt lgkmcnt(0)
	v_mul_f64 v[103:104], v[101:102], v[77:78]
	v_fma_f64 v[103:104], v[99:100], v[97:98], -v[103:104]
	v_mul_f64 v[99:100], v[99:100], v[77:78]
	v_add_f64 v[79:80], v[79:80], -v[103:104]
	v_fma_f64 v[99:100], v[101:102], v[97:98], v[99:100]
	v_add_f64 v[81:82], v[81:82], -v[99:100]
	;; [unrolled: 8-line block ×5, first 2 shown]
	ds_read2_b64 v[99:102], v125 offset0:46 offset1:47
	buffer_load_dword v73, off, s[20:23], 0 offset:64 ; 4-byte Folded Reload
	buffer_load_dword v74, off, s[20:23], 0 offset:68 ; 4-byte Folded Reload
	;; [unrolled: 1-line block ×4, first 2 shown]
	s_waitcnt lgkmcnt(0)
	v_mul_f64 v[103:104], v[101:102], v[77:78]
	v_fma_f64 v[103:104], v[99:100], v[97:98], -v[103:104]
	v_mul_f64 v[99:100], v[99:100], v[77:78]
	v_fma_f64 v[99:100], v[101:102], v[97:98], v[99:100]
	s_waitcnt vmcnt(2)
	v_add_f64 v[73:74], v[73:74], -v[103:104]
	s_waitcnt vmcnt(0)
	v_add_f64 v[75:76], v[75:76], -v[99:100]
	buffer_store_dword v73, off, s[20:23], 0 offset:64 ; 4-byte Folded Spill
	s_nop 0
	buffer_store_dword v74, off, s[20:23], 0 offset:68 ; 4-byte Folded Spill
	buffer_store_dword v75, off, s[20:23], 0 offset:72 ; 4-byte Folded Spill
	;; [unrolled: 1-line block ×3, first 2 shown]
	ds_read2_b64 v[99:102], v125 offset0:48 offset1:49
	s_waitcnt lgkmcnt(0)
	v_mul_f64 v[103:104], v[101:102], v[77:78]
	v_fma_f64 v[103:104], v[99:100], v[97:98], -v[103:104]
	v_mul_f64 v[99:100], v[99:100], v[77:78]
	v_add_f64 v[93:94], v[93:94], -v[103:104]
	v_fma_f64 v[99:100], v[101:102], v[97:98], v[99:100]
	v_add_f64 v[95:96], v[95:96], -v[99:100]
	ds_read2_b64 v[99:102], v125 offset0:50 offset1:51
	buffer_load_dword v73, off, s[20:23], 0 offset:32 ; 4-byte Folded Reload
	buffer_load_dword v74, off, s[20:23], 0 offset:36 ; 4-byte Folded Reload
	;; [unrolled: 1-line block ×4, first 2 shown]
	s_waitcnt lgkmcnt(0)
	v_mul_f64 v[103:104], v[101:102], v[77:78]
	v_fma_f64 v[103:104], v[99:100], v[97:98], -v[103:104]
	v_mul_f64 v[99:100], v[99:100], v[77:78]
	v_fma_f64 v[99:100], v[101:102], v[97:98], v[99:100]
	s_waitcnt vmcnt(2)
	v_add_f64 v[73:74], v[73:74], -v[103:104]
	s_waitcnt vmcnt(0)
	v_add_f64 v[75:76], v[75:76], -v[99:100]
	buffer_store_dword v73, off, s[20:23], 0 offset:32 ; 4-byte Folded Spill
	s_nop 0
	buffer_store_dword v74, off, s[20:23], 0 offset:36 ; 4-byte Folded Spill
	buffer_store_dword v75, off, s[20:23], 0 offset:40 ; 4-byte Folded Spill
	;; [unrolled: 1-line block ×3, first 2 shown]
	ds_read2_b64 v[99:102], v125 offset0:52 offset1:53
	buffer_load_dword v69, off, s[20:23], 0 offset:16 ; 4-byte Folded Reload
	buffer_load_dword v70, off, s[20:23], 0 offset:20 ; 4-byte Folded Reload
	;; [unrolled: 1-line block ×4, first 2 shown]
	v_mov_b32_e32 v75, v97
	v_mov_b32_e32 v76, v98
	s_waitcnt lgkmcnt(0)
	v_mul_f64 v[103:104], v[101:102], v[77:78]
	v_fma_f64 v[103:104], v[99:100], v[97:98], -v[103:104]
	v_mul_f64 v[99:100], v[99:100], v[77:78]
	v_fma_f64 v[99:100], v[101:102], v[97:98], v[99:100]
	s_waitcnt vmcnt(2)
	v_add_f64 v[69:70], v[69:70], -v[103:104]
	s_waitcnt vmcnt(0)
	v_add_f64 v[71:72], v[71:72], -v[99:100]
	buffer_store_dword v69, off, s[20:23], 0 offset:16 ; 4-byte Folded Spill
	s_nop 0
	buffer_store_dword v70, off, s[20:23], 0 offset:20 ; 4-byte Folded Spill
	buffer_store_dword v71, off, s[20:23], 0 offset:24 ; 4-byte Folded Spill
	;; [unrolled: 1-line block ×3, first 2 shown]
	ds_read2_b64 v[99:102], v125 offset0:54 offset1:55
	buffer_load_dword v65, off, s[20:23], 0 ; 4-byte Folded Reload
	buffer_load_dword v66, off, s[20:23], 0 offset:4 ; 4-byte Folded Reload
	buffer_load_dword v67, off, s[20:23], 0 offset:8 ; 4-byte Folded Reload
	;; [unrolled: 1-line block ×3, first 2 shown]
	s_waitcnt lgkmcnt(0)
	v_mul_f64 v[103:104], v[101:102], v[77:78]
	v_fma_f64 v[103:104], v[99:100], v[97:98], -v[103:104]
	v_mul_f64 v[99:100], v[99:100], v[77:78]
	v_fma_f64 v[99:100], v[101:102], v[97:98], v[99:100]
	s_waitcnt vmcnt(2)
	v_add_f64 v[65:66], v[65:66], -v[103:104]
	s_waitcnt vmcnt(0)
	v_add_f64 v[67:68], v[67:68], -v[99:100]
	buffer_store_dword v65, off, s[20:23], 0 ; 4-byte Folded Spill
	s_nop 0
	buffer_store_dword v66, off, s[20:23], 0 offset:4 ; 4-byte Folded Spill
	buffer_store_dword v67, off, s[20:23], 0 offset:8 ; 4-byte Folded Spill
	;; [unrolled: 1-line block ×3, first 2 shown]
	ds_read2_b64 v[99:102], v125 offset0:56 offset1:57
	s_waitcnt lgkmcnt(0)
	v_mul_f64 v[103:104], v[101:102], v[77:78]
	v_fma_f64 v[103:104], v[99:100], v[97:98], -v[103:104]
	v_mul_f64 v[99:100], v[99:100], v[77:78]
	v_add_f64 v[61:62], v[61:62], -v[103:104]
	v_fma_f64 v[99:100], v[101:102], v[97:98], v[99:100]
	v_add_f64 v[63:64], v[63:64], -v[99:100]
	ds_read2_b64 v[99:102], v125 offset0:58 offset1:59
	s_waitcnt lgkmcnt(0)
	v_mul_f64 v[103:104], v[101:102], v[77:78]
	v_fma_f64 v[103:104], v[99:100], v[97:98], -v[103:104]
	v_mul_f64 v[99:100], v[99:100], v[77:78]
	v_add_f64 v[57:58], v[57:58], -v[103:104]
	v_fma_f64 v[99:100], v[101:102], v[97:98], v[99:100]
	v_add_f64 v[59:60], v[59:60], -v[99:100]
	;; [unrolled: 8-line block ×16, first 2 shown]
	ds_read2_b64 v[99:102], v125 offset0:88 offset1:89
	buffer_load_dword v65, off, s[20:23], 0 offset:48 ; 4-byte Folded Reload
	buffer_load_dword v66, off, s[20:23], 0 offset:52 ; 4-byte Folded Reload
	;; [unrolled: 1-line block ×4, first 2 shown]
	s_waitcnt lgkmcnt(0)
	v_mul_f64 v[103:104], v[101:102], v[77:78]
	v_fma_f64 v[103:104], v[99:100], v[97:98], -v[103:104]
	v_mul_f64 v[99:100], v[99:100], v[77:78]
	v_fma_f64 v[99:100], v[101:102], v[97:98], v[99:100]
	s_waitcnt vmcnt(2)
	v_add_f64 v[65:66], v[65:66], -v[103:104]
	s_waitcnt vmcnt(0)
	v_add_f64 v[67:68], v[67:68], -v[99:100]
	buffer_store_dword v65, off, s[20:23], 0 offset:48 ; 4-byte Folded Spill
	s_nop 0
	buffer_store_dword v66, off, s[20:23], 0 offset:52 ; 4-byte Folded Spill
	buffer_store_dword v67, off, s[20:23], 0 offset:56 ; 4-byte Folded Spill
	;; [unrolled: 1-line block ×4, first 2 shown]
	s_nop 0
	buffer_store_dword v76, off, s[20:23], 0 offset:116 ; 4-byte Folded Spill
	buffer_store_dword v77, off, s[20:23], 0 offset:120 ; 4-byte Folded Spill
	;; [unrolled: 1-line block ×3, first 2 shown]
.LBB89_145:
	s_or_b64 exec, exec, s[2:3]
	v_cmp_eq_u32_e32 vcc, 16, v0
	s_waitcnt vmcnt(0)
	s_barrier
	s_and_saveexec_b64 s[4:5], vcc
	s_cbranch_execz .LBB89_152
; %bb.146:
	buffer_load_dword v69, off, s[20:23], 0 offset:96 ; 4-byte Folded Reload
	buffer_load_dword v70, off, s[20:23], 0 offset:100 ; 4-byte Folded Reload
	;; [unrolled: 1-line block ×4, first 2 shown]
	s_waitcnt vmcnt(0)
	ds_write2_b64 v127, v[69:70], v[71:72] offset1:1
	buffer_load_dword v69, off, s[20:23], 0 offset:80 ; 4-byte Folded Reload
	buffer_load_dword v70, off, s[20:23], 0 offset:84 ; 4-byte Folded Reload
	;; [unrolled: 1-line block ×4, first 2 shown]
	s_waitcnt vmcnt(0)
	ds_write2_b64 v125, v[69:70], v[71:72] offset0:34 offset1:35
	ds_write2_b64 v125, v[117:118], v[119:120] offset0:36 offset1:37
	ds_write2_b64 v125, v[79:80], v[81:82] offset0:38 offset1:39
	ds_write2_b64 v125, v[121:122], v[123:124] offset0:40 offset1:41
	ds_write2_b64 v125, v[109:110], v[111:112] offset0:42 offset1:43
	ds_write2_b64 v125, v[113:114], v[115:116] offset0:44 offset1:45
	buffer_load_dword v73, off, s[20:23], 0 offset:64 ; 4-byte Folded Reload
	buffer_load_dword v74, off, s[20:23], 0 offset:68 ; 4-byte Folded Reload
	buffer_load_dword v75, off, s[20:23], 0 offset:72 ; 4-byte Folded Reload
	buffer_load_dword v76, off, s[20:23], 0 offset:76 ; 4-byte Folded Reload
	s_waitcnt vmcnt(0)
	ds_write2_b64 v125, v[73:74], v[75:76] offset0:46 offset1:47
	ds_write2_b64 v125, v[93:94], v[95:96] offset0:48 offset1:49
	buffer_load_dword v73, off, s[20:23], 0 offset:32 ; 4-byte Folded Reload
	buffer_load_dword v74, off, s[20:23], 0 offset:36 ; 4-byte Folded Reload
	;; [unrolled: 1-line block ×4, first 2 shown]
	s_waitcnt vmcnt(0)
	ds_write2_b64 v125, v[73:74], v[75:76] offset0:50 offset1:51
	buffer_load_dword v69, off, s[20:23], 0 offset:16 ; 4-byte Folded Reload
	buffer_load_dword v70, off, s[20:23], 0 offset:20 ; 4-byte Folded Reload
	;; [unrolled: 1-line block ×4, first 2 shown]
	s_waitcnt vmcnt(0)
	ds_write2_b64 v125, v[69:70], v[71:72] offset0:52 offset1:53
	buffer_load_dword v65, off, s[20:23], 0 ; 4-byte Folded Reload
	buffer_load_dword v66, off, s[20:23], 0 offset:4 ; 4-byte Folded Reload
	buffer_load_dword v67, off, s[20:23], 0 offset:8 ; 4-byte Folded Reload
	;; [unrolled: 1-line block ×3, first 2 shown]
	s_waitcnt vmcnt(0)
	ds_write2_b64 v125, v[65:66], v[67:68] offset0:54 offset1:55
	ds_write2_b64 v125, v[61:62], v[63:64] offset0:56 offset1:57
	;; [unrolled: 1-line block ×17, first 2 shown]
	buffer_load_dword v65, off, s[20:23], 0 offset:48 ; 4-byte Folded Reload
	buffer_load_dword v66, off, s[20:23], 0 offset:52 ; 4-byte Folded Reload
	;; [unrolled: 1-line block ×4, first 2 shown]
	s_waitcnt vmcnt(0)
	ds_write2_b64 v125, v[65:66], v[67:68] offset0:88 offset1:89
	ds_read2_b64 v[97:100], v127 offset1:1
	s_waitcnt lgkmcnt(0)
	v_cmp_neq_f64_e32 vcc, 0, v[97:98]
	v_cmp_neq_f64_e64 s[2:3], 0, v[99:100]
	s_or_b64 s[2:3], vcc, s[2:3]
	s_and_b64 exec, exec, s[2:3]
	s_cbranch_execz .LBB89_152
; %bb.147:
	v_cmp_ngt_f64_e64 s[2:3], |v[97:98]|, |v[99:100]|
                                        ; implicit-def: $vgpr101_vgpr102
	s_and_saveexec_b64 s[6:7], s[2:3]
	s_xor_b64 s[2:3], exec, s[6:7]
                                        ; implicit-def: $vgpr103_vgpr104
	s_cbranch_execz .LBB89_149
; %bb.148:
	v_div_scale_f64 v[101:102], s[6:7], v[99:100], v[99:100], v[97:98]
	v_rcp_f64_e32 v[103:104], v[101:102]
	v_fma_f64 v[105:106], -v[101:102], v[103:104], 1.0
	v_fma_f64 v[103:104], v[103:104], v[105:106], v[103:104]
	v_div_scale_f64 v[105:106], vcc, v[97:98], v[99:100], v[97:98]
	v_fma_f64 v[107:108], -v[101:102], v[103:104], 1.0
	v_fma_f64 v[103:104], v[103:104], v[107:108], v[103:104]
	v_mul_f64 v[107:108], v[105:106], v[103:104]
	v_fma_f64 v[101:102], -v[101:102], v[107:108], v[105:106]
	v_div_fmas_f64 v[101:102], v[101:102], v[103:104], v[107:108]
	v_div_fixup_f64 v[101:102], v[101:102], v[99:100], v[97:98]
	v_fma_f64 v[97:98], v[97:98], v[101:102], v[99:100]
	v_div_scale_f64 v[99:100], s[6:7], v[97:98], v[97:98], 1.0
	v_div_scale_f64 v[107:108], vcc, 1.0, v[97:98], 1.0
	v_rcp_f64_e32 v[103:104], v[99:100]
	v_fma_f64 v[105:106], -v[99:100], v[103:104], 1.0
	v_fma_f64 v[103:104], v[103:104], v[105:106], v[103:104]
	v_fma_f64 v[105:106], -v[99:100], v[103:104], 1.0
	v_fma_f64 v[103:104], v[103:104], v[105:106], v[103:104]
	v_mul_f64 v[105:106], v[107:108], v[103:104]
	v_fma_f64 v[99:100], -v[99:100], v[105:106], v[107:108]
	v_div_fmas_f64 v[99:100], v[99:100], v[103:104], v[105:106]
	v_div_fixup_f64 v[103:104], v[99:100], v[97:98], 1.0
                                        ; implicit-def: $vgpr97_vgpr98
	v_mul_f64 v[101:102], v[101:102], v[103:104]
	v_xor_b32_e32 v104, 0x80000000, v104
.LBB89_149:
	s_andn2_saveexec_b64 s[2:3], s[2:3]
	s_cbranch_execz .LBB89_151
; %bb.150:
	v_div_scale_f64 v[101:102], s[6:7], v[97:98], v[97:98], v[99:100]
	v_rcp_f64_e32 v[103:104], v[101:102]
	v_fma_f64 v[105:106], -v[101:102], v[103:104], 1.0
	v_fma_f64 v[103:104], v[103:104], v[105:106], v[103:104]
	v_div_scale_f64 v[105:106], vcc, v[99:100], v[97:98], v[99:100]
	v_fma_f64 v[107:108], -v[101:102], v[103:104], 1.0
	v_fma_f64 v[103:104], v[103:104], v[107:108], v[103:104]
	v_mul_f64 v[107:108], v[105:106], v[103:104]
	v_fma_f64 v[101:102], -v[101:102], v[107:108], v[105:106]
	v_div_fmas_f64 v[101:102], v[101:102], v[103:104], v[107:108]
	v_div_fixup_f64 v[103:104], v[101:102], v[97:98], v[99:100]
	v_fma_f64 v[97:98], v[99:100], v[103:104], v[97:98]
	v_div_scale_f64 v[99:100], s[6:7], v[97:98], v[97:98], 1.0
	v_div_scale_f64 v[107:108], vcc, 1.0, v[97:98], 1.0
	v_rcp_f64_e32 v[101:102], v[99:100]
	v_fma_f64 v[105:106], -v[99:100], v[101:102], 1.0
	v_fma_f64 v[101:102], v[101:102], v[105:106], v[101:102]
	v_fma_f64 v[105:106], -v[99:100], v[101:102], 1.0
	v_fma_f64 v[101:102], v[101:102], v[105:106], v[101:102]
	v_mul_f64 v[105:106], v[107:108], v[101:102]
	v_fma_f64 v[99:100], -v[99:100], v[105:106], v[107:108]
	v_div_fmas_f64 v[99:100], v[99:100], v[101:102], v[105:106]
	v_div_fixup_f64 v[101:102], v[99:100], v[97:98], 1.0
	v_mul_f64 v[103:104], v[103:104], -v[101:102]
.LBB89_151:
	s_or_b64 exec, exec, s[2:3]
	ds_write2_b64 v127, v[101:102], v[103:104] offset1:1
.LBB89_152:
	s_or_b64 exec, exec, s[4:5]
	s_waitcnt lgkmcnt(0)
	s_barrier
	ds_read2_b64 v[65:68], v127 offset1:1
	v_cmp_lt_u32_e32 vcc, 16, v0
	s_waitcnt lgkmcnt(0)
	buffer_store_dword v65, off, s[20:23], 0 offset:976 ; 4-byte Folded Spill
	s_nop 0
	buffer_store_dword v66, off, s[20:23], 0 offset:980 ; 4-byte Folded Spill
	buffer_store_dword v67, off, s[20:23], 0 offset:984 ; 4-byte Folded Spill
	;; [unrolled: 1-line block ×3, first 2 shown]
	s_and_saveexec_b64 s[2:3], vcc
	s_cbranch_execz .LBB89_154
; %bb.153:
	buffer_load_dword v75, off, s[20:23], 0 offset:96 ; 4-byte Folded Reload
	buffer_load_dword v76, off, s[20:23], 0 offset:100 ; 4-byte Folded Reload
	;; [unrolled: 1-line block ×8, first 2 shown]
	s_waitcnt vmcnt(2)
	v_mul_f64 v[99:100], v[65:66], v[77:78]
	s_waitcnt vmcnt(0)
	v_mul_f64 v[97:98], v[67:68], v[77:78]
	v_fma_f64 v[77:78], v[67:68], v[75:76], v[99:100]
	ds_read2_b64 v[99:102], v125 offset0:34 offset1:35
	buffer_load_dword v69, off, s[20:23], 0 offset:80 ; 4-byte Folded Reload
	buffer_load_dword v70, off, s[20:23], 0 offset:84 ; 4-byte Folded Reload
	;; [unrolled: 1-line block ×4, first 2 shown]
	v_fma_f64 v[97:98], v[65:66], v[75:76], -v[97:98]
	s_waitcnt lgkmcnt(0)
	v_mul_f64 v[103:104], v[101:102], v[77:78]
	v_fma_f64 v[103:104], v[99:100], v[97:98], -v[103:104]
	v_mul_f64 v[99:100], v[99:100], v[77:78]
	v_fma_f64 v[99:100], v[101:102], v[97:98], v[99:100]
	s_waitcnt vmcnt(2)
	v_add_f64 v[69:70], v[69:70], -v[103:104]
	s_waitcnt vmcnt(0)
	v_add_f64 v[71:72], v[71:72], -v[99:100]
	buffer_store_dword v69, off, s[20:23], 0 offset:80 ; 4-byte Folded Spill
	s_nop 0
	buffer_store_dword v70, off, s[20:23], 0 offset:84 ; 4-byte Folded Spill
	buffer_store_dword v71, off, s[20:23], 0 offset:88 ; 4-byte Folded Spill
	;; [unrolled: 1-line block ×3, first 2 shown]
	ds_read2_b64 v[99:102], v125 offset0:36 offset1:37
	s_waitcnt lgkmcnt(0)
	v_mul_f64 v[103:104], v[101:102], v[77:78]
	v_fma_f64 v[103:104], v[99:100], v[97:98], -v[103:104]
	v_mul_f64 v[99:100], v[99:100], v[77:78]
	v_add_f64 v[117:118], v[117:118], -v[103:104]
	v_fma_f64 v[99:100], v[101:102], v[97:98], v[99:100]
	v_add_f64 v[119:120], v[119:120], -v[99:100]
	ds_read2_b64 v[99:102], v125 offset0:38 offset1:39
	s_waitcnt lgkmcnt(0)
	v_mul_f64 v[103:104], v[101:102], v[77:78]
	v_fma_f64 v[103:104], v[99:100], v[97:98], -v[103:104]
	v_mul_f64 v[99:100], v[99:100], v[77:78]
	v_add_f64 v[79:80], v[79:80], -v[103:104]
	v_fma_f64 v[99:100], v[101:102], v[97:98], v[99:100]
	v_add_f64 v[81:82], v[81:82], -v[99:100]
	;; [unrolled: 8-line block ×5, first 2 shown]
	ds_read2_b64 v[99:102], v125 offset0:46 offset1:47
	buffer_load_dword v73, off, s[20:23], 0 offset:64 ; 4-byte Folded Reload
	buffer_load_dword v74, off, s[20:23], 0 offset:68 ; 4-byte Folded Reload
	buffer_load_dword v75, off, s[20:23], 0 offset:72 ; 4-byte Folded Reload
	buffer_load_dword v76, off, s[20:23], 0 offset:76 ; 4-byte Folded Reload
	s_waitcnt lgkmcnt(0)
	v_mul_f64 v[103:104], v[101:102], v[77:78]
	v_fma_f64 v[103:104], v[99:100], v[97:98], -v[103:104]
	v_mul_f64 v[99:100], v[99:100], v[77:78]
	v_fma_f64 v[99:100], v[101:102], v[97:98], v[99:100]
	s_waitcnt vmcnt(2)
	v_add_f64 v[73:74], v[73:74], -v[103:104]
	s_waitcnt vmcnt(0)
	v_add_f64 v[75:76], v[75:76], -v[99:100]
	buffer_store_dword v73, off, s[20:23], 0 offset:64 ; 4-byte Folded Spill
	s_nop 0
	buffer_store_dword v74, off, s[20:23], 0 offset:68 ; 4-byte Folded Spill
	buffer_store_dword v75, off, s[20:23], 0 offset:72 ; 4-byte Folded Spill
	;; [unrolled: 1-line block ×3, first 2 shown]
	ds_read2_b64 v[99:102], v125 offset0:48 offset1:49
	s_waitcnt lgkmcnt(0)
	v_mul_f64 v[103:104], v[101:102], v[77:78]
	v_fma_f64 v[103:104], v[99:100], v[97:98], -v[103:104]
	v_mul_f64 v[99:100], v[99:100], v[77:78]
	v_add_f64 v[93:94], v[93:94], -v[103:104]
	v_fma_f64 v[99:100], v[101:102], v[97:98], v[99:100]
	v_add_f64 v[95:96], v[95:96], -v[99:100]
	ds_read2_b64 v[99:102], v125 offset0:50 offset1:51
	buffer_load_dword v73, off, s[20:23], 0 offset:32 ; 4-byte Folded Reload
	buffer_load_dword v74, off, s[20:23], 0 offset:36 ; 4-byte Folded Reload
	;; [unrolled: 1-line block ×4, first 2 shown]
	s_waitcnt lgkmcnt(0)
	v_mul_f64 v[103:104], v[101:102], v[77:78]
	v_fma_f64 v[103:104], v[99:100], v[97:98], -v[103:104]
	v_mul_f64 v[99:100], v[99:100], v[77:78]
	v_fma_f64 v[99:100], v[101:102], v[97:98], v[99:100]
	s_waitcnt vmcnt(2)
	v_add_f64 v[73:74], v[73:74], -v[103:104]
	s_waitcnt vmcnt(0)
	v_add_f64 v[75:76], v[75:76], -v[99:100]
	buffer_store_dword v73, off, s[20:23], 0 offset:32 ; 4-byte Folded Spill
	s_nop 0
	buffer_store_dword v74, off, s[20:23], 0 offset:36 ; 4-byte Folded Spill
	buffer_store_dword v75, off, s[20:23], 0 offset:40 ; 4-byte Folded Spill
	;; [unrolled: 1-line block ×3, first 2 shown]
	ds_read2_b64 v[99:102], v125 offset0:52 offset1:53
	buffer_load_dword v69, off, s[20:23], 0 offset:16 ; 4-byte Folded Reload
	buffer_load_dword v70, off, s[20:23], 0 offset:20 ; 4-byte Folded Reload
	;; [unrolled: 1-line block ×4, first 2 shown]
	v_mov_b32_e32 v75, v97
	v_mov_b32_e32 v76, v98
	s_waitcnt lgkmcnt(0)
	v_mul_f64 v[103:104], v[101:102], v[77:78]
	v_fma_f64 v[103:104], v[99:100], v[97:98], -v[103:104]
	v_mul_f64 v[99:100], v[99:100], v[77:78]
	v_fma_f64 v[99:100], v[101:102], v[97:98], v[99:100]
	s_waitcnt vmcnt(2)
	v_add_f64 v[69:70], v[69:70], -v[103:104]
	s_waitcnt vmcnt(0)
	v_add_f64 v[71:72], v[71:72], -v[99:100]
	buffer_store_dword v69, off, s[20:23], 0 offset:16 ; 4-byte Folded Spill
	s_nop 0
	buffer_store_dword v70, off, s[20:23], 0 offset:20 ; 4-byte Folded Spill
	buffer_store_dword v71, off, s[20:23], 0 offset:24 ; 4-byte Folded Spill
	;; [unrolled: 1-line block ×3, first 2 shown]
	ds_read2_b64 v[99:102], v125 offset0:54 offset1:55
	buffer_load_dword v65, off, s[20:23], 0 ; 4-byte Folded Reload
	buffer_load_dword v66, off, s[20:23], 0 offset:4 ; 4-byte Folded Reload
	buffer_load_dword v67, off, s[20:23], 0 offset:8 ; 4-byte Folded Reload
	;; [unrolled: 1-line block ×3, first 2 shown]
	s_waitcnt lgkmcnt(0)
	v_mul_f64 v[103:104], v[101:102], v[77:78]
	v_fma_f64 v[103:104], v[99:100], v[97:98], -v[103:104]
	v_mul_f64 v[99:100], v[99:100], v[77:78]
	v_fma_f64 v[99:100], v[101:102], v[97:98], v[99:100]
	s_waitcnt vmcnt(2)
	v_add_f64 v[65:66], v[65:66], -v[103:104]
	s_waitcnt vmcnt(0)
	v_add_f64 v[67:68], v[67:68], -v[99:100]
	buffer_store_dword v65, off, s[20:23], 0 ; 4-byte Folded Spill
	s_nop 0
	buffer_store_dword v66, off, s[20:23], 0 offset:4 ; 4-byte Folded Spill
	buffer_store_dword v67, off, s[20:23], 0 offset:8 ; 4-byte Folded Spill
	;; [unrolled: 1-line block ×3, first 2 shown]
	ds_read2_b64 v[99:102], v125 offset0:56 offset1:57
	s_waitcnt lgkmcnt(0)
	v_mul_f64 v[103:104], v[101:102], v[77:78]
	v_fma_f64 v[103:104], v[99:100], v[97:98], -v[103:104]
	v_mul_f64 v[99:100], v[99:100], v[77:78]
	v_add_f64 v[61:62], v[61:62], -v[103:104]
	v_fma_f64 v[99:100], v[101:102], v[97:98], v[99:100]
	v_add_f64 v[63:64], v[63:64], -v[99:100]
	ds_read2_b64 v[99:102], v125 offset0:58 offset1:59
	s_waitcnt lgkmcnt(0)
	v_mul_f64 v[103:104], v[101:102], v[77:78]
	v_fma_f64 v[103:104], v[99:100], v[97:98], -v[103:104]
	v_mul_f64 v[99:100], v[99:100], v[77:78]
	v_add_f64 v[57:58], v[57:58], -v[103:104]
	v_fma_f64 v[99:100], v[101:102], v[97:98], v[99:100]
	v_add_f64 v[59:60], v[59:60], -v[99:100]
	;; [unrolled: 8-line block ×16, first 2 shown]
	ds_read2_b64 v[99:102], v125 offset0:88 offset1:89
	buffer_load_dword v65, off, s[20:23], 0 offset:48 ; 4-byte Folded Reload
	buffer_load_dword v66, off, s[20:23], 0 offset:52 ; 4-byte Folded Reload
	;; [unrolled: 1-line block ×4, first 2 shown]
	s_waitcnt lgkmcnt(0)
	v_mul_f64 v[103:104], v[101:102], v[77:78]
	v_fma_f64 v[103:104], v[99:100], v[97:98], -v[103:104]
	v_mul_f64 v[99:100], v[99:100], v[77:78]
	v_fma_f64 v[99:100], v[101:102], v[97:98], v[99:100]
	s_waitcnt vmcnt(2)
	v_add_f64 v[65:66], v[65:66], -v[103:104]
	s_waitcnt vmcnt(0)
	v_add_f64 v[67:68], v[67:68], -v[99:100]
	buffer_store_dword v65, off, s[20:23], 0 offset:48 ; 4-byte Folded Spill
	s_nop 0
	buffer_store_dword v66, off, s[20:23], 0 offset:52 ; 4-byte Folded Spill
	buffer_store_dword v67, off, s[20:23], 0 offset:56 ; 4-byte Folded Spill
	;; [unrolled: 1-line block ×4, first 2 shown]
	s_nop 0
	buffer_store_dword v76, off, s[20:23], 0 offset:100 ; 4-byte Folded Spill
	buffer_store_dword v77, off, s[20:23], 0 offset:104 ; 4-byte Folded Spill
	;; [unrolled: 1-line block ×3, first 2 shown]
.LBB89_154:
	s_or_b64 exec, exec, s[2:3]
	v_cmp_eq_u32_e32 vcc, 17, v0
	s_waitcnt vmcnt(0)
	s_barrier
	s_and_saveexec_b64 s[4:5], vcc
	s_cbranch_execz .LBB89_161
; %bb.155:
	buffer_load_dword v69, off, s[20:23], 0 offset:80 ; 4-byte Folded Reload
	buffer_load_dword v70, off, s[20:23], 0 offset:84 ; 4-byte Folded Reload
	;; [unrolled: 1-line block ×4, first 2 shown]
	s_waitcnt vmcnt(0)
	ds_write2_b64 v127, v[69:70], v[71:72] offset1:1
	ds_write2_b64 v125, v[117:118], v[119:120] offset0:36 offset1:37
	ds_write2_b64 v125, v[79:80], v[81:82] offset0:38 offset1:39
	;; [unrolled: 1-line block ×5, first 2 shown]
	buffer_load_dword v73, off, s[20:23], 0 offset:64 ; 4-byte Folded Reload
	buffer_load_dword v74, off, s[20:23], 0 offset:68 ; 4-byte Folded Reload
	;; [unrolled: 1-line block ×4, first 2 shown]
	s_waitcnt vmcnt(0)
	ds_write2_b64 v125, v[73:74], v[75:76] offset0:46 offset1:47
	ds_write2_b64 v125, v[93:94], v[95:96] offset0:48 offset1:49
	buffer_load_dword v73, off, s[20:23], 0 offset:32 ; 4-byte Folded Reload
	buffer_load_dword v74, off, s[20:23], 0 offset:36 ; 4-byte Folded Reload
	;; [unrolled: 1-line block ×4, first 2 shown]
	s_waitcnt vmcnt(0)
	ds_write2_b64 v125, v[73:74], v[75:76] offset0:50 offset1:51
	buffer_load_dword v69, off, s[20:23], 0 offset:16 ; 4-byte Folded Reload
	buffer_load_dword v70, off, s[20:23], 0 offset:20 ; 4-byte Folded Reload
	;; [unrolled: 1-line block ×4, first 2 shown]
	s_waitcnt vmcnt(0)
	ds_write2_b64 v125, v[69:70], v[71:72] offset0:52 offset1:53
	buffer_load_dword v65, off, s[20:23], 0 ; 4-byte Folded Reload
	buffer_load_dword v66, off, s[20:23], 0 offset:4 ; 4-byte Folded Reload
	buffer_load_dword v67, off, s[20:23], 0 offset:8 ; 4-byte Folded Reload
	;; [unrolled: 1-line block ×3, first 2 shown]
	s_waitcnt vmcnt(0)
	ds_write2_b64 v125, v[65:66], v[67:68] offset0:54 offset1:55
	ds_write2_b64 v125, v[61:62], v[63:64] offset0:56 offset1:57
	;; [unrolled: 1-line block ×17, first 2 shown]
	buffer_load_dword v65, off, s[20:23], 0 offset:48 ; 4-byte Folded Reload
	buffer_load_dword v66, off, s[20:23], 0 offset:52 ; 4-byte Folded Reload
	;; [unrolled: 1-line block ×4, first 2 shown]
	s_waitcnt vmcnt(0)
	ds_write2_b64 v125, v[65:66], v[67:68] offset0:88 offset1:89
	ds_read2_b64 v[97:100], v127 offset1:1
	s_waitcnt lgkmcnt(0)
	v_cmp_neq_f64_e32 vcc, 0, v[97:98]
	v_cmp_neq_f64_e64 s[2:3], 0, v[99:100]
	s_or_b64 s[2:3], vcc, s[2:3]
	s_and_b64 exec, exec, s[2:3]
	s_cbranch_execz .LBB89_161
; %bb.156:
	v_cmp_ngt_f64_e64 s[2:3], |v[97:98]|, |v[99:100]|
                                        ; implicit-def: $vgpr101_vgpr102
	s_and_saveexec_b64 s[6:7], s[2:3]
	s_xor_b64 s[2:3], exec, s[6:7]
                                        ; implicit-def: $vgpr103_vgpr104
	s_cbranch_execz .LBB89_158
; %bb.157:
	v_div_scale_f64 v[101:102], s[6:7], v[99:100], v[99:100], v[97:98]
	v_rcp_f64_e32 v[103:104], v[101:102]
	v_fma_f64 v[105:106], -v[101:102], v[103:104], 1.0
	v_fma_f64 v[103:104], v[103:104], v[105:106], v[103:104]
	v_div_scale_f64 v[105:106], vcc, v[97:98], v[99:100], v[97:98]
	v_fma_f64 v[107:108], -v[101:102], v[103:104], 1.0
	v_fma_f64 v[103:104], v[103:104], v[107:108], v[103:104]
	v_mul_f64 v[107:108], v[105:106], v[103:104]
	v_fma_f64 v[101:102], -v[101:102], v[107:108], v[105:106]
	v_div_fmas_f64 v[101:102], v[101:102], v[103:104], v[107:108]
	v_div_fixup_f64 v[101:102], v[101:102], v[99:100], v[97:98]
	v_fma_f64 v[97:98], v[97:98], v[101:102], v[99:100]
	v_div_scale_f64 v[99:100], s[6:7], v[97:98], v[97:98], 1.0
	v_div_scale_f64 v[107:108], vcc, 1.0, v[97:98], 1.0
	v_rcp_f64_e32 v[103:104], v[99:100]
	v_fma_f64 v[105:106], -v[99:100], v[103:104], 1.0
	v_fma_f64 v[103:104], v[103:104], v[105:106], v[103:104]
	v_fma_f64 v[105:106], -v[99:100], v[103:104], 1.0
	v_fma_f64 v[103:104], v[103:104], v[105:106], v[103:104]
	v_mul_f64 v[105:106], v[107:108], v[103:104]
	v_fma_f64 v[99:100], -v[99:100], v[105:106], v[107:108]
	v_div_fmas_f64 v[99:100], v[99:100], v[103:104], v[105:106]
	v_div_fixup_f64 v[103:104], v[99:100], v[97:98], 1.0
                                        ; implicit-def: $vgpr97_vgpr98
	v_mul_f64 v[101:102], v[101:102], v[103:104]
	v_xor_b32_e32 v104, 0x80000000, v104
.LBB89_158:
	s_andn2_saveexec_b64 s[2:3], s[2:3]
	s_cbranch_execz .LBB89_160
; %bb.159:
	v_div_scale_f64 v[101:102], s[6:7], v[97:98], v[97:98], v[99:100]
	v_rcp_f64_e32 v[103:104], v[101:102]
	v_fma_f64 v[105:106], -v[101:102], v[103:104], 1.0
	v_fma_f64 v[103:104], v[103:104], v[105:106], v[103:104]
	v_div_scale_f64 v[105:106], vcc, v[99:100], v[97:98], v[99:100]
	v_fma_f64 v[107:108], -v[101:102], v[103:104], 1.0
	v_fma_f64 v[103:104], v[103:104], v[107:108], v[103:104]
	v_mul_f64 v[107:108], v[105:106], v[103:104]
	v_fma_f64 v[101:102], -v[101:102], v[107:108], v[105:106]
	v_div_fmas_f64 v[101:102], v[101:102], v[103:104], v[107:108]
	v_div_fixup_f64 v[103:104], v[101:102], v[97:98], v[99:100]
	v_fma_f64 v[97:98], v[99:100], v[103:104], v[97:98]
	v_div_scale_f64 v[99:100], s[6:7], v[97:98], v[97:98], 1.0
	v_div_scale_f64 v[107:108], vcc, 1.0, v[97:98], 1.0
	v_rcp_f64_e32 v[101:102], v[99:100]
	v_fma_f64 v[105:106], -v[99:100], v[101:102], 1.0
	v_fma_f64 v[101:102], v[101:102], v[105:106], v[101:102]
	v_fma_f64 v[105:106], -v[99:100], v[101:102], 1.0
	v_fma_f64 v[101:102], v[101:102], v[105:106], v[101:102]
	v_mul_f64 v[105:106], v[107:108], v[101:102]
	v_fma_f64 v[99:100], -v[99:100], v[105:106], v[107:108]
	v_div_fmas_f64 v[99:100], v[99:100], v[101:102], v[105:106]
	v_div_fixup_f64 v[101:102], v[99:100], v[97:98], 1.0
	v_mul_f64 v[103:104], v[103:104], -v[101:102]
.LBB89_160:
	s_or_b64 exec, exec, s[2:3]
	ds_write2_b64 v127, v[101:102], v[103:104] offset1:1
.LBB89_161:
	s_or_b64 exec, exec, s[4:5]
	s_waitcnt lgkmcnt(0)
	s_barrier
	ds_read2_b64 v[65:68], v127 offset1:1
	v_cmp_lt_u32_e32 vcc, 17, v0
	s_waitcnt lgkmcnt(0)
	buffer_store_dword v65, off, s[20:23], 0 offset:992 ; 4-byte Folded Spill
	s_nop 0
	buffer_store_dword v66, off, s[20:23], 0 offset:996 ; 4-byte Folded Spill
	buffer_store_dword v67, off, s[20:23], 0 offset:1000 ; 4-byte Folded Spill
	;; [unrolled: 1-line block ×3, first 2 shown]
	s_and_saveexec_b64 s[2:3], vcc
	s_cbranch_execz .LBB89_163
; %bb.162:
	buffer_load_dword v75, off, s[20:23], 0 offset:80 ; 4-byte Folded Reload
	buffer_load_dword v76, off, s[20:23], 0 offset:84 ; 4-byte Folded Reload
	;; [unrolled: 1-line block ×8, first 2 shown]
	s_waitcnt vmcnt(2)
	v_mul_f64 v[99:100], v[65:66], v[77:78]
	s_waitcnt vmcnt(0)
	v_mul_f64 v[97:98], v[67:68], v[77:78]
	v_fma_f64 v[77:78], v[67:68], v[75:76], v[99:100]
	ds_read2_b64 v[99:102], v125 offset0:36 offset1:37
	v_fma_f64 v[97:98], v[65:66], v[75:76], -v[97:98]
	s_waitcnt lgkmcnt(0)
	v_mul_f64 v[103:104], v[101:102], v[77:78]
	v_fma_f64 v[103:104], v[99:100], v[97:98], -v[103:104]
	v_mul_f64 v[99:100], v[99:100], v[77:78]
	v_add_f64 v[117:118], v[117:118], -v[103:104]
	v_fma_f64 v[99:100], v[101:102], v[97:98], v[99:100]
	v_add_f64 v[119:120], v[119:120], -v[99:100]
	ds_read2_b64 v[99:102], v125 offset0:38 offset1:39
	s_waitcnt lgkmcnt(0)
	v_mul_f64 v[103:104], v[101:102], v[77:78]
	v_fma_f64 v[103:104], v[99:100], v[97:98], -v[103:104]
	v_mul_f64 v[99:100], v[99:100], v[77:78]
	v_add_f64 v[79:80], v[79:80], -v[103:104]
	v_fma_f64 v[99:100], v[101:102], v[97:98], v[99:100]
	v_add_f64 v[81:82], v[81:82], -v[99:100]
	ds_read2_b64 v[99:102], v125 offset0:40 offset1:41
	;; [unrolled: 8-line block ×5, first 2 shown]
	buffer_load_dword v73, off, s[20:23], 0 offset:64 ; 4-byte Folded Reload
	buffer_load_dword v74, off, s[20:23], 0 offset:68 ; 4-byte Folded Reload
	;; [unrolled: 1-line block ×4, first 2 shown]
	s_waitcnt lgkmcnt(0)
	v_mul_f64 v[103:104], v[101:102], v[77:78]
	v_fma_f64 v[103:104], v[99:100], v[97:98], -v[103:104]
	v_mul_f64 v[99:100], v[99:100], v[77:78]
	v_fma_f64 v[99:100], v[101:102], v[97:98], v[99:100]
	s_waitcnt vmcnt(2)
	v_add_f64 v[73:74], v[73:74], -v[103:104]
	s_waitcnt vmcnt(0)
	v_add_f64 v[75:76], v[75:76], -v[99:100]
	buffer_store_dword v73, off, s[20:23], 0 offset:64 ; 4-byte Folded Spill
	s_nop 0
	buffer_store_dword v74, off, s[20:23], 0 offset:68 ; 4-byte Folded Spill
	buffer_store_dword v75, off, s[20:23], 0 offset:72 ; 4-byte Folded Spill
	;; [unrolled: 1-line block ×3, first 2 shown]
	ds_read2_b64 v[99:102], v125 offset0:48 offset1:49
	s_waitcnt lgkmcnt(0)
	v_mul_f64 v[103:104], v[101:102], v[77:78]
	v_fma_f64 v[103:104], v[99:100], v[97:98], -v[103:104]
	v_mul_f64 v[99:100], v[99:100], v[77:78]
	v_add_f64 v[93:94], v[93:94], -v[103:104]
	v_fma_f64 v[99:100], v[101:102], v[97:98], v[99:100]
	v_add_f64 v[95:96], v[95:96], -v[99:100]
	ds_read2_b64 v[99:102], v125 offset0:50 offset1:51
	buffer_load_dword v73, off, s[20:23], 0 offset:32 ; 4-byte Folded Reload
	buffer_load_dword v74, off, s[20:23], 0 offset:36 ; 4-byte Folded Reload
	;; [unrolled: 1-line block ×4, first 2 shown]
	s_waitcnt lgkmcnt(0)
	v_mul_f64 v[103:104], v[101:102], v[77:78]
	v_fma_f64 v[103:104], v[99:100], v[97:98], -v[103:104]
	v_mul_f64 v[99:100], v[99:100], v[77:78]
	v_fma_f64 v[99:100], v[101:102], v[97:98], v[99:100]
	s_waitcnt vmcnt(2)
	v_add_f64 v[73:74], v[73:74], -v[103:104]
	s_waitcnt vmcnt(0)
	v_add_f64 v[75:76], v[75:76], -v[99:100]
	buffer_store_dword v73, off, s[20:23], 0 offset:32 ; 4-byte Folded Spill
	s_nop 0
	buffer_store_dword v74, off, s[20:23], 0 offset:36 ; 4-byte Folded Spill
	buffer_store_dword v75, off, s[20:23], 0 offset:40 ; 4-byte Folded Spill
	;; [unrolled: 1-line block ×3, first 2 shown]
	ds_read2_b64 v[99:102], v125 offset0:52 offset1:53
	buffer_load_dword v69, off, s[20:23], 0 offset:16 ; 4-byte Folded Reload
	buffer_load_dword v70, off, s[20:23], 0 offset:20 ; 4-byte Folded Reload
	;; [unrolled: 1-line block ×4, first 2 shown]
	v_mov_b32_e32 v75, v97
	v_mov_b32_e32 v76, v98
	s_waitcnt lgkmcnt(0)
	v_mul_f64 v[103:104], v[101:102], v[77:78]
	v_fma_f64 v[103:104], v[99:100], v[97:98], -v[103:104]
	v_mul_f64 v[99:100], v[99:100], v[77:78]
	v_fma_f64 v[99:100], v[101:102], v[97:98], v[99:100]
	s_waitcnt vmcnt(2)
	v_add_f64 v[69:70], v[69:70], -v[103:104]
	s_waitcnt vmcnt(0)
	v_add_f64 v[71:72], v[71:72], -v[99:100]
	buffer_store_dword v69, off, s[20:23], 0 offset:16 ; 4-byte Folded Spill
	s_nop 0
	buffer_store_dword v70, off, s[20:23], 0 offset:20 ; 4-byte Folded Spill
	buffer_store_dword v71, off, s[20:23], 0 offset:24 ; 4-byte Folded Spill
	;; [unrolled: 1-line block ×3, first 2 shown]
	ds_read2_b64 v[99:102], v125 offset0:54 offset1:55
	buffer_load_dword v65, off, s[20:23], 0 ; 4-byte Folded Reload
	buffer_load_dword v66, off, s[20:23], 0 offset:4 ; 4-byte Folded Reload
	buffer_load_dword v67, off, s[20:23], 0 offset:8 ; 4-byte Folded Reload
	;; [unrolled: 1-line block ×3, first 2 shown]
	s_waitcnt lgkmcnt(0)
	v_mul_f64 v[103:104], v[101:102], v[77:78]
	v_fma_f64 v[103:104], v[99:100], v[97:98], -v[103:104]
	v_mul_f64 v[99:100], v[99:100], v[77:78]
	v_fma_f64 v[99:100], v[101:102], v[97:98], v[99:100]
	s_waitcnt vmcnt(2)
	v_add_f64 v[65:66], v[65:66], -v[103:104]
	s_waitcnt vmcnt(0)
	v_add_f64 v[67:68], v[67:68], -v[99:100]
	buffer_store_dword v65, off, s[20:23], 0 ; 4-byte Folded Spill
	s_nop 0
	buffer_store_dword v66, off, s[20:23], 0 offset:4 ; 4-byte Folded Spill
	buffer_store_dword v67, off, s[20:23], 0 offset:8 ; 4-byte Folded Spill
	;; [unrolled: 1-line block ×3, first 2 shown]
	ds_read2_b64 v[99:102], v125 offset0:56 offset1:57
	s_waitcnt lgkmcnt(0)
	v_mul_f64 v[103:104], v[101:102], v[77:78]
	v_fma_f64 v[103:104], v[99:100], v[97:98], -v[103:104]
	v_mul_f64 v[99:100], v[99:100], v[77:78]
	v_add_f64 v[61:62], v[61:62], -v[103:104]
	v_fma_f64 v[99:100], v[101:102], v[97:98], v[99:100]
	v_add_f64 v[63:64], v[63:64], -v[99:100]
	ds_read2_b64 v[99:102], v125 offset0:58 offset1:59
	s_waitcnt lgkmcnt(0)
	v_mul_f64 v[103:104], v[101:102], v[77:78]
	v_fma_f64 v[103:104], v[99:100], v[97:98], -v[103:104]
	v_mul_f64 v[99:100], v[99:100], v[77:78]
	v_add_f64 v[57:58], v[57:58], -v[103:104]
	v_fma_f64 v[99:100], v[101:102], v[97:98], v[99:100]
	v_add_f64 v[59:60], v[59:60], -v[99:100]
	;; [unrolled: 8-line block ×16, first 2 shown]
	ds_read2_b64 v[99:102], v125 offset0:88 offset1:89
	buffer_load_dword v65, off, s[20:23], 0 offset:48 ; 4-byte Folded Reload
	buffer_load_dword v66, off, s[20:23], 0 offset:52 ; 4-byte Folded Reload
	;; [unrolled: 1-line block ×4, first 2 shown]
	s_waitcnt lgkmcnt(0)
	v_mul_f64 v[103:104], v[101:102], v[77:78]
	v_fma_f64 v[103:104], v[99:100], v[97:98], -v[103:104]
	v_mul_f64 v[99:100], v[99:100], v[77:78]
	v_fma_f64 v[99:100], v[101:102], v[97:98], v[99:100]
	s_waitcnt vmcnt(2)
	v_add_f64 v[65:66], v[65:66], -v[103:104]
	s_waitcnt vmcnt(0)
	v_add_f64 v[67:68], v[67:68], -v[99:100]
	buffer_store_dword v65, off, s[20:23], 0 offset:48 ; 4-byte Folded Spill
	s_nop 0
	buffer_store_dword v66, off, s[20:23], 0 offset:52 ; 4-byte Folded Spill
	buffer_store_dword v67, off, s[20:23], 0 offset:56 ; 4-byte Folded Spill
	;; [unrolled: 1-line block ×4, first 2 shown]
	s_nop 0
	buffer_store_dword v76, off, s[20:23], 0 offset:84 ; 4-byte Folded Spill
	buffer_store_dword v77, off, s[20:23], 0 offset:88 ; 4-byte Folded Spill
	;; [unrolled: 1-line block ×3, first 2 shown]
.LBB89_163:
	s_or_b64 exec, exec, s[2:3]
	v_cmp_eq_u32_e32 vcc, 18, v0
	s_waitcnt vmcnt(0)
	s_barrier
	s_and_saveexec_b64 s[4:5], vcc
	s_cbranch_execz .LBB89_170
; %bb.164:
	ds_write2_b64 v127, v[117:118], v[119:120] offset1:1
	ds_write2_b64 v125, v[79:80], v[81:82] offset0:38 offset1:39
	ds_write2_b64 v125, v[121:122], v[123:124] offset0:40 offset1:41
	ds_write2_b64 v125, v[109:110], v[111:112] offset0:42 offset1:43
	ds_write2_b64 v125, v[113:114], v[115:116] offset0:44 offset1:45
	buffer_load_dword v73, off, s[20:23], 0 offset:64 ; 4-byte Folded Reload
	buffer_load_dword v74, off, s[20:23], 0 offset:68 ; 4-byte Folded Reload
	;; [unrolled: 1-line block ×4, first 2 shown]
	s_waitcnt vmcnt(0)
	ds_write2_b64 v125, v[73:74], v[75:76] offset0:46 offset1:47
	ds_write2_b64 v125, v[93:94], v[95:96] offset0:48 offset1:49
	buffer_load_dword v73, off, s[20:23], 0 offset:32 ; 4-byte Folded Reload
	buffer_load_dword v74, off, s[20:23], 0 offset:36 ; 4-byte Folded Reload
	;; [unrolled: 1-line block ×4, first 2 shown]
	s_waitcnt vmcnt(0)
	ds_write2_b64 v125, v[73:74], v[75:76] offset0:50 offset1:51
	buffer_load_dword v69, off, s[20:23], 0 offset:16 ; 4-byte Folded Reload
	buffer_load_dword v70, off, s[20:23], 0 offset:20 ; 4-byte Folded Reload
	;; [unrolled: 1-line block ×4, first 2 shown]
	s_waitcnt vmcnt(0)
	ds_write2_b64 v125, v[69:70], v[71:72] offset0:52 offset1:53
	buffer_load_dword v65, off, s[20:23], 0 ; 4-byte Folded Reload
	buffer_load_dword v66, off, s[20:23], 0 offset:4 ; 4-byte Folded Reload
	buffer_load_dword v67, off, s[20:23], 0 offset:8 ; 4-byte Folded Reload
	;; [unrolled: 1-line block ×3, first 2 shown]
	s_waitcnt vmcnt(0)
	ds_write2_b64 v125, v[65:66], v[67:68] offset0:54 offset1:55
	ds_write2_b64 v125, v[61:62], v[63:64] offset0:56 offset1:57
	;; [unrolled: 1-line block ×17, first 2 shown]
	buffer_load_dword v65, off, s[20:23], 0 offset:48 ; 4-byte Folded Reload
	buffer_load_dword v66, off, s[20:23], 0 offset:52 ; 4-byte Folded Reload
	;; [unrolled: 1-line block ×4, first 2 shown]
	s_waitcnt vmcnt(0)
	ds_write2_b64 v125, v[65:66], v[67:68] offset0:88 offset1:89
	ds_read2_b64 v[97:100], v127 offset1:1
	s_waitcnt lgkmcnt(0)
	v_cmp_neq_f64_e32 vcc, 0, v[97:98]
	v_cmp_neq_f64_e64 s[2:3], 0, v[99:100]
	s_or_b64 s[2:3], vcc, s[2:3]
	s_and_b64 exec, exec, s[2:3]
	s_cbranch_execz .LBB89_170
; %bb.165:
	v_cmp_ngt_f64_e64 s[2:3], |v[97:98]|, |v[99:100]|
                                        ; implicit-def: $vgpr101_vgpr102
	s_and_saveexec_b64 s[6:7], s[2:3]
	s_xor_b64 s[2:3], exec, s[6:7]
                                        ; implicit-def: $vgpr103_vgpr104
	s_cbranch_execz .LBB89_167
; %bb.166:
	v_div_scale_f64 v[101:102], s[6:7], v[99:100], v[99:100], v[97:98]
	v_rcp_f64_e32 v[103:104], v[101:102]
	v_fma_f64 v[105:106], -v[101:102], v[103:104], 1.0
	v_fma_f64 v[103:104], v[103:104], v[105:106], v[103:104]
	v_div_scale_f64 v[105:106], vcc, v[97:98], v[99:100], v[97:98]
	v_fma_f64 v[107:108], -v[101:102], v[103:104], 1.0
	v_fma_f64 v[103:104], v[103:104], v[107:108], v[103:104]
	v_mul_f64 v[107:108], v[105:106], v[103:104]
	v_fma_f64 v[101:102], -v[101:102], v[107:108], v[105:106]
	v_div_fmas_f64 v[101:102], v[101:102], v[103:104], v[107:108]
	v_div_fixup_f64 v[101:102], v[101:102], v[99:100], v[97:98]
	v_fma_f64 v[97:98], v[97:98], v[101:102], v[99:100]
	v_div_scale_f64 v[99:100], s[6:7], v[97:98], v[97:98], 1.0
	v_div_scale_f64 v[107:108], vcc, 1.0, v[97:98], 1.0
	v_rcp_f64_e32 v[103:104], v[99:100]
	v_fma_f64 v[105:106], -v[99:100], v[103:104], 1.0
	v_fma_f64 v[103:104], v[103:104], v[105:106], v[103:104]
	v_fma_f64 v[105:106], -v[99:100], v[103:104], 1.0
	v_fma_f64 v[103:104], v[103:104], v[105:106], v[103:104]
	v_mul_f64 v[105:106], v[107:108], v[103:104]
	v_fma_f64 v[99:100], -v[99:100], v[105:106], v[107:108]
	v_div_fmas_f64 v[99:100], v[99:100], v[103:104], v[105:106]
	v_div_fixup_f64 v[103:104], v[99:100], v[97:98], 1.0
                                        ; implicit-def: $vgpr97_vgpr98
	v_mul_f64 v[101:102], v[101:102], v[103:104]
	v_xor_b32_e32 v104, 0x80000000, v104
.LBB89_167:
	s_andn2_saveexec_b64 s[2:3], s[2:3]
	s_cbranch_execz .LBB89_169
; %bb.168:
	v_div_scale_f64 v[101:102], s[6:7], v[97:98], v[97:98], v[99:100]
	v_rcp_f64_e32 v[103:104], v[101:102]
	v_fma_f64 v[105:106], -v[101:102], v[103:104], 1.0
	v_fma_f64 v[103:104], v[103:104], v[105:106], v[103:104]
	v_div_scale_f64 v[105:106], vcc, v[99:100], v[97:98], v[99:100]
	v_fma_f64 v[107:108], -v[101:102], v[103:104], 1.0
	v_fma_f64 v[103:104], v[103:104], v[107:108], v[103:104]
	v_mul_f64 v[107:108], v[105:106], v[103:104]
	v_fma_f64 v[101:102], -v[101:102], v[107:108], v[105:106]
	v_div_fmas_f64 v[101:102], v[101:102], v[103:104], v[107:108]
	v_div_fixup_f64 v[103:104], v[101:102], v[97:98], v[99:100]
	v_fma_f64 v[97:98], v[99:100], v[103:104], v[97:98]
	v_div_scale_f64 v[99:100], s[6:7], v[97:98], v[97:98], 1.0
	v_div_scale_f64 v[107:108], vcc, 1.0, v[97:98], 1.0
	v_rcp_f64_e32 v[101:102], v[99:100]
	v_fma_f64 v[105:106], -v[99:100], v[101:102], 1.0
	v_fma_f64 v[101:102], v[101:102], v[105:106], v[101:102]
	v_fma_f64 v[105:106], -v[99:100], v[101:102], 1.0
	v_fma_f64 v[101:102], v[101:102], v[105:106], v[101:102]
	v_mul_f64 v[105:106], v[107:108], v[101:102]
	v_fma_f64 v[99:100], -v[99:100], v[105:106], v[107:108]
	v_div_fmas_f64 v[99:100], v[99:100], v[101:102], v[105:106]
	v_div_fixup_f64 v[101:102], v[99:100], v[97:98], 1.0
	v_mul_f64 v[103:104], v[103:104], -v[101:102]
.LBB89_169:
	s_or_b64 exec, exec, s[2:3]
	ds_write2_b64 v127, v[101:102], v[103:104] offset1:1
.LBB89_170:
	s_or_b64 exec, exec, s[4:5]
	s_waitcnt lgkmcnt(0)
	s_barrier
	ds_read2_b64 v[65:68], v127 offset1:1
	v_cmp_lt_u32_e32 vcc, 18, v0
	s_waitcnt lgkmcnt(0)
	buffer_store_dword v65, off, s[20:23], 0 offset:1008 ; 4-byte Folded Spill
	s_nop 0
	buffer_store_dword v66, off, s[20:23], 0 offset:1012 ; 4-byte Folded Spill
	buffer_store_dword v67, off, s[20:23], 0 offset:1016 ; 4-byte Folded Spill
	;; [unrolled: 1-line block ×3, first 2 shown]
	s_and_saveexec_b64 s[2:3], vcc
	s_cbranch_execz .LBB89_172
; %bb.171:
	buffer_load_dword v65, off, s[20:23], 0 offset:1008 ; 4-byte Folded Reload
	buffer_load_dword v66, off, s[20:23], 0 offset:1012 ; 4-byte Folded Reload
	;; [unrolled: 1-line block ×4, first 2 shown]
	s_waitcnt vmcnt(2)
	v_mul_f64 v[99:100], v[65:66], v[119:120]
	s_waitcnt vmcnt(0)
	v_mul_f64 v[97:98], v[67:68], v[119:120]
	v_fma_f64 v[119:120], v[67:68], v[117:118], v[99:100]
	ds_read2_b64 v[99:102], v125 offset0:38 offset1:39
	v_fma_f64 v[97:98], v[65:66], v[117:118], -v[97:98]
	s_waitcnt lgkmcnt(0)
	v_mul_f64 v[103:104], v[101:102], v[119:120]
	v_mov_b32_e32 v118, v98
	v_mov_b32_e32 v117, v97
	v_fma_f64 v[103:104], v[99:100], v[97:98], -v[103:104]
	v_mul_f64 v[99:100], v[99:100], v[119:120]
	v_add_f64 v[79:80], v[79:80], -v[103:104]
	v_fma_f64 v[99:100], v[101:102], v[97:98], v[99:100]
	v_add_f64 v[81:82], v[81:82], -v[99:100]
	ds_read2_b64 v[99:102], v125 offset0:40 offset1:41
	s_waitcnt lgkmcnt(0)
	v_mul_f64 v[103:104], v[101:102], v[119:120]
	v_fma_f64 v[103:104], v[99:100], v[97:98], -v[103:104]
	v_mul_f64 v[99:100], v[99:100], v[119:120]
	v_add_f64 v[121:122], v[121:122], -v[103:104]
	v_fma_f64 v[99:100], v[101:102], v[97:98], v[99:100]
	v_add_f64 v[123:124], v[123:124], -v[99:100]
	ds_read2_b64 v[99:102], v125 offset0:42 offset1:43
	s_waitcnt lgkmcnt(0)
	v_mul_f64 v[103:104], v[101:102], v[119:120]
	;; [unrolled: 8-line block ×3, first 2 shown]
	v_fma_f64 v[103:104], v[99:100], v[97:98], -v[103:104]
	v_mul_f64 v[99:100], v[99:100], v[119:120]
	v_add_f64 v[113:114], v[113:114], -v[103:104]
	v_fma_f64 v[99:100], v[101:102], v[97:98], v[99:100]
	v_add_f64 v[115:116], v[115:116], -v[99:100]
	ds_read2_b64 v[99:102], v125 offset0:46 offset1:47
	buffer_load_dword v73, off, s[20:23], 0 offset:64 ; 4-byte Folded Reload
	buffer_load_dword v74, off, s[20:23], 0 offset:68 ; 4-byte Folded Reload
	;; [unrolled: 1-line block ×4, first 2 shown]
	s_waitcnt lgkmcnt(0)
	v_mul_f64 v[103:104], v[101:102], v[119:120]
	v_fma_f64 v[103:104], v[99:100], v[97:98], -v[103:104]
	v_mul_f64 v[99:100], v[99:100], v[119:120]
	v_fma_f64 v[99:100], v[101:102], v[97:98], v[99:100]
	s_waitcnt vmcnt(2)
	v_add_f64 v[73:74], v[73:74], -v[103:104]
	s_waitcnt vmcnt(0)
	v_add_f64 v[75:76], v[75:76], -v[99:100]
	buffer_store_dword v73, off, s[20:23], 0 offset:64 ; 4-byte Folded Spill
	s_nop 0
	buffer_store_dword v74, off, s[20:23], 0 offset:68 ; 4-byte Folded Spill
	buffer_store_dword v75, off, s[20:23], 0 offset:72 ; 4-byte Folded Spill
	;; [unrolled: 1-line block ×3, first 2 shown]
	ds_read2_b64 v[99:102], v125 offset0:48 offset1:49
	s_waitcnt lgkmcnt(0)
	v_mul_f64 v[103:104], v[101:102], v[119:120]
	v_fma_f64 v[103:104], v[99:100], v[97:98], -v[103:104]
	v_mul_f64 v[99:100], v[99:100], v[119:120]
	v_add_f64 v[93:94], v[93:94], -v[103:104]
	v_fma_f64 v[99:100], v[101:102], v[97:98], v[99:100]
	v_add_f64 v[95:96], v[95:96], -v[99:100]
	ds_read2_b64 v[99:102], v125 offset0:50 offset1:51
	buffer_load_dword v73, off, s[20:23], 0 offset:32 ; 4-byte Folded Reload
	buffer_load_dword v74, off, s[20:23], 0 offset:36 ; 4-byte Folded Reload
	;; [unrolled: 1-line block ×4, first 2 shown]
	s_waitcnt lgkmcnt(0)
	v_mul_f64 v[103:104], v[101:102], v[119:120]
	v_fma_f64 v[103:104], v[99:100], v[97:98], -v[103:104]
	v_mul_f64 v[99:100], v[99:100], v[119:120]
	v_fma_f64 v[99:100], v[101:102], v[97:98], v[99:100]
	s_waitcnt vmcnt(2)
	v_add_f64 v[73:74], v[73:74], -v[103:104]
	s_waitcnt vmcnt(0)
	v_add_f64 v[75:76], v[75:76], -v[99:100]
	buffer_store_dword v73, off, s[20:23], 0 offset:32 ; 4-byte Folded Spill
	s_nop 0
	buffer_store_dword v74, off, s[20:23], 0 offset:36 ; 4-byte Folded Spill
	buffer_store_dword v75, off, s[20:23], 0 offset:40 ; 4-byte Folded Spill
	;; [unrolled: 1-line block ×3, first 2 shown]
	ds_read2_b64 v[99:102], v125 offset0:52 offset1:53
	buffer_load_dword v69, off, s[20:23], 0 offset:16 ; 4-byte Folded Reload
	buffer_load_dword v70, off, s[20:23], 0 offset:20 ; 4-byte Folded Reload
	;; [unrolled: 1-line block ×4, first 2 shown]
	s_waitcnt lgkmcnt(0)
	v_mul_f64 v[103:104], v[101:102], v[119:120]
	v_fma_f64 v[103:104], v[99:100], v[97:98], -v[103:104]
	v_mul_f64 v[99:100], v[99:100], v[119:120]
	v_fma_f64 v[99:100], v[101:102], v[97:98], v[99:100]
	s_waitcnt vmcnt(2)
	v_add_f64 v[69:70], v[69:70], -v[103:104]
	s_waitcnt vmcnt(0)
	v_add_f64 v[71:72], v[71:72], -v[99:100]
	buffer_store_dword v69, off, s[20:23], 0 offset:16 ; 4-byte Folded Spill
	s_nop 0
	buffer_store_dword v70, off, s[20:23], 0 offset:20 ; 4-byte Folded Spill
	buffer_store_dword v71, off, s[20:23], 0 offset:24 ; 4-byte Folded Spill
	;; [unrolled: 1-line block ×3, first 2 shown]
	ds_read2_b64 v[99:102], v125 offset0:54 offset1:55
	buffer_load_dword v65, off, s[20:23], 0 ; 4-byte Folded Reload
	buffer_load_dword v66, off, s[20:23], 0 offset:4 ; 4-byte Folded Reload
	buffer_load_dword v67, off, s[20:23], 0 offset:8 ; 4-byte Folded Reload
	;; [unrolled: 1-line block ×3, first 2 shown]
	s_waitcnt lgkmcnt(0)
	v_mul_f64 v[103:104], v[101:102], v[119:120]
	v_fma_f64 v[103:104], v[99:100], v[97:98], -v[103:104]
	v_mul_f64 v[99:100], v[99:100], v[119:120]
	v_fma_f64 v[99:100], v[101:102], v[97:98], v[99:100]
	s_waitcnt vmcnt(2)
	v_add_f64 v[65:66], v[65:66], -v[103:104]
	s_waitcnt vmcnt(0)
	v_add_f64 v[67:68], v[67:68], -v[99:100]
	buffer_store_dword v65, off, s[20:23], 0 ; 4-byte Folded Spill
	s_nop 0
	buffer_store_dword v66, off, s[20:23], 0 offset:4 ; 4-byte Folded Spill
	buffer_store_dword v67, off, s[20:23], 0 offset:8 ; 4-byte Folded Spill
	;; [unrolled: 1-line block ×3, first 2 shown]
	ds_read2_b64 v[99:102], v125 offset0:56 offset1:57
	s_waitcnt lgkmcnt(0)
	v_mul_f64 v[103:104], v[101:102], v[119:120]
	v_fma_f64 v[103:104], v[99:100], v[97:98], -v[103:104]
	v_mul_f64 v[99:100], v[99:100], v[119:120]
	v_add_f64 v[61:62], v[61:62], -v[103:104]
	v_fma_f64 v[99:100], v[101:102], v[97:98], v[99:100]
	v_add_f64 v[63:64], v[63:64], -v[99:100]
	ds_read2_b64 v[99:102], v125 offset0:58 offset1:59
	s_waitcnt lgkmcnt(0)
	v_mul_f64 v[103:104], v[101:102], v[119:120]
	v_fma_f64 v[103:104], v[99:100], v[97:98], -v[103:104]
	v_mul_f64 v[99:100], v[99:100], v[119:120]
	v_add_f64 v[57:58], v[57:58], -v[103:104]
	v_fma_f64 v[99:100], v[101:102], v[97:98], v[99:100]
	v_add_f64 v[59:60], v[59:60], -v[99:100]
	;; [unrolled: 8-line block ×16, first 2 shown]
	ds_read2_b64 v[99:102], v125 offset0:88 offset1:89
	buffer_load_dword v65, off, s[20:23], 0 offset:48 ; 4-byte Folded Reload
	buffer_load_dword v66, off, s[20:23], 0 offset:52 ; 4-byte Folded Reload
	;; [unrolled: 1-line block ×4, first 2 shown]
	s_waitcnt lgkmcnt(0)
	v_mul_f64 v[103:104], v[101:102], v[119:120]
	v_fma_f64 v[103:104], v[99:100], v[97:98], -v[103:104]
	v_mul_f64 v[99:100], v[99:100], v[119:120]
	v_fma_f64 v[99:100], v[101:102], v[97:98], v[99:100]
	s_waitcnt vmcnt(2)
	v_add_f64 v[65:66], v[65:66], -v[103:104]
	s_waitcnt vmcnt(0)
	v_add_f64 v[67:68], v[67:68], -v[99:100]
	buffer_store_dword v65, off, s[20:23], 0 offset:48 ; 4-byte Folded Spill
	s_nop 0
	buffer_store_dword v66, off, s[20:23], 0 offset:52 ; 4-byte Folded Spill
	buffer_store_dword v67, off, s[20:23], 0 offset:56 ; 4-byte Folded Spill
	;; [unrolled: 1-line block ×3, first 2 shown]
.LBB89_172:
	s_or_b64 exec, exec, s[2:3]
	v_cmp_eq_u32_e32 vcc, 19, v0
	s_waitcnt vmcnt(0)
	s_barrier
	s_and_saveexec_b64 s[4:5], vcc
	s_cbranch_execz .LBB89_179
; %bb.173:
	ds_write2_b64 v127, v[79:80], v[81:82] offset1:1
	ds_write2_b64 v125, v[121:122], v[123:124] offset0:40 offset1:41
	ds_write2_b64 v125, v[109:110], v[111:112] offset0:42 offset1:43
	;; [unrolled: 1-line block ×3, first 2 shown]
	buffer_load_dword v73, off, s[20:23], 0 offset:64 ; 4-byte Folded Reload
	buffer_load_dword v74, off, s[20:23], 0 offset:68 ; 4-byte Folded Reload
	;; [unrolled: 1-line block ×4, first 2 shown]
	s_waitcnt vmcnt(0)
	ds_write2_b64 v125, v[73:74], v[75:76] offset0:46 offset1:47
	ds_write2_b64 v125, v[93:94], v[95:96] offset0:48 offset1:49
	buffer_load_dword v73, off, s[20:23], 0 offset:32 ; 4-byte Folded Reload
	buffer_load_dword v74, off, s[20:23], 0 offset:36 ; 4-byte Folded Reload
	;; [unrolled: 1-line block ×4, first 2 shown]
	s_waitcnt vmcnt(0)
	ds_write2_b64 v125, v[73:74], v[75:76] offset0:50 offset1:51
	buffer_load_dword v69, off, s[20:23], 0 offset:16 ; 4-byte Folded Reload
	buffer_load_dword v70, off, s[20:23], 0 offset:20 ; 4-byte Folded Reload
	;; [unrolled: 1-line block ×4, first 2 shown]
	s_waitcnt vmcnt(0)
	ds_write2_b64 v125, v[69:70], v[71:72] offset0:52 offset1:53
	buffer_load_dword v65, off, s[20:23], 0 ; 4-byte Folded Reload
	buffer_load_dword v66, off, s[20:23], 0 offset:4 ; 4-byte Folded Reload
	buffer_load_dword v67, off, s[20:23], 0 offset:8 ; 4-byte Folded Reload
	;; [unrolled: 1-line block ×3, first 2 shown]
	s_waitcnt vmcnt(0)
	ds_write2_b64 v125, v[65:66], v[67:68] offset0:54 offset1:55
	ds_write2_b64 v125, v[61:62], v[63:64] offset0:56 offset1:57
	;; [unrolled: 1-line block ×17, first 2 shown]
	buffer_load_dword v65, off, s[20:23], 0 offset:48 ; 4-byte Folded Reload
	buffer_load_dword v66, off, s[20:23], 0 offset:52 ; 4-byte Folded Reload
	;; [unrolled: 1-line block ×4, first 2 shown]
	s_waitcnt vmcnt(0)
	ds_write2_b64 v125, v[65:66], v[67:68] offset0:88 offset1:89
	ds_read2_b64 v[97:100], v127 offset1:1
	s_waitcnt lgkmcnt(0)
	v_cmp_neq_f64_e32 vcc, 0, v[97:98]
	v_cmp_neq_f64_e64 s[2:3], 0, v[99:100]
	s_or_b64 s[2:3], vcc, s[2:3]
	s_and_b64 exec, exec, s[2:3]
	s_cbranch_execz .LBB89_179
; %bb.174:
	v_cmp_ngt_f64_e64 s[2:3], |v[97:98]|, |v[99:100]|
                                        ; implicit-def: $vgpr101_vgpr102
	s_and_saveexec_b64 s[6:7], s[2:3]
	s_xor_b64 s[2:3], exec, s[6:7]
                                        ; implicit-def: $vgpr103_vgpr104
	s_cbranch_execz .LBB89_176
; %bb.175:
	v_div_scale_f64 v[101:102], s[6:7], v[99:100], v[99:100], v[97:98]
	v_rcp_f64_e32 v[103:104], v[101:102]
	v_fma_f64 v[105:106], -v[101:102], v[103:104], 1.0
	v_fma_f64 v[103:104], v[103:104], v[105:106], v[103:104]
	v_div_scale_f64 v[105:106], vcc, v[97:98], v[99:100], v[97:98]
	v_fma_f64 v[107:108], -v[101:102], v[103:104], 1.0
	v_fma_f64 v[103:104], v[103:104], v[107:108], v[103:104]
	v_mul_f64 v[107:108], v[105:106], v[103:104]
	v_fma_f64 v[101:102], -v[101:102], v[107:108], v[105:106]
	v_div_fmas_f64 v[101:102], v[101:102], v[103:104], v[107:108]
	v_div_fixup_f64 v[101:102], v[101:102], v[99:100], v[97:98]
	v_fma_f64 v[97:98], v[97:98], v[101:102], v[99:100]
	v_div_scale_f64 v[99:100], s[6:7], v[97:98], v[97:98], 1.0
	v_div_scale_f64 v[107:108], vcc, 1.0, v[97:98], 1.0
	v_rcp_f64_e32 v[103:104], v[99:100]
	v_fma_f64 v[105:106], -v[99:100], v[103:104], 1.0
	v_fma_f64 v[103:104], v[103:104], v[105:106], v[103:104]
	v_fma_f64 v[105:106], -v[99:100], v[103:104], 1.0
	v_fma_f64 v[103:104], v[103:104], v[105:106], v[103:104]
	v_mul_f64 v[105:106], v[107:108], v[103:104]
	v_fma_f64 v[99:100], -v[99:100], v[105:106], v[107:108]
	v_div_fmas_f64 v[99:100], v[99:100], v[103:104], v[105:106]
	v_div_fixup_f64 v[103:104], v[99:100], v[97:98], 1.0
                                        ; implicit-def: $vgpr97_vgpr98
	v_mul_f64 v[101:102], v[101:102], v[103:104]
	v_xor_b32_e32 v104, 0x80000000, v104
.LBB89_176:
	s_andn2_saveexec_b64 s[2:3], s[2:3]
	s_cbranch_execz .LBB89_178
; %bb.177:
	v_div_scale_f64 v[101:102], s[6:7], v[97:98], v[97:98], v[99:100]
	v_rcp_f64_e32 v[103:104], v[101:102]
	v_fma_f64 v[105:106], -v[101:102], v[103:104], 1.0
	v_fma_f64 v[103:104], v[103:104], v[105:106], v[103:104]
	v_div_scale_f64 v[105:106], vcc, v[99:100], v[97:98], v[99:100]
	v_fma_f64 v[107:108], -v[101:102], v[103:104], 1.0
	v_fma_f64 v[103:104], v[103:104], v[107:108], v[103:104]
	v_mul_f64 v[107:108], v[105:106], v[103:104]
	v_fma_f64 v[101:102], -v[101:102], v[107:108], v[105:106]
	v_div_fmas_f64 v[101:102], v[101:102], v[103:104], v[107:108]
	v_div_fixup_f64 v[103:104], v[101:102], v[97:98], v[99:100]
	v_fma_f64 v[97:98], v[99:100], v[103:104], v[97:98]
	v_div_scale_f64 v[99:100], s[6:7], v[97:98], v[97:98], 1.0
	v_div_scale_f64 v[107:108], vcc, 1.0, v[97:98], 1.0
	v_rcp_f64_e32 v[101:102], v[99:100]
	v_fma_f64 v[105:106], -v[99:100], v[101:102], 1.0
	v_fma_f64 v[101:102], v[101:102], v[105:106], v[101:102]
	v_fma_f64 v[105:106], -v[99:100], v[101:102], 1.0
	v_fma_f64 v[101:102], v[101:102], v[105:106], v[101:102]
	v_mul_f64 v[105:106], v[107:108], v[101:102]
	v_fma_f64 v[99:100], -v[99:100], v[105:106], v[107:108]
	v_div_fmas_f64 v[99:100], v[99:100], v[101:102], v[105:106]
	v_div_fixup_f64 v[101:102], v[99:100], v[97:98], 1.0
	v_mul_f64 v[103:104], v[103:104], -v[101:102]
.LBB89_178:
	s_or_b64 exec, exec, s[2:3]
	ds_write2_b64 v127, v[101:102], v[103:104] offset1:1
.LBB89_179:
	s_or_b64 exec, exec, s[4:5]
	s_waitcnt lgkmcnt(0)
	s_barrier
	ds_read2_b64 v[65:68], v127 offset1:1
	v_cmp_lt_u32_e32 vcc, 19, v0
	s_waitcnt lgkmcnt(0)
	buffer_store_dword v65, off, s[20:23], 0 offset:1024 ; 4-byte Folded Spill
	s_nop 0
	buffer_store_dword v66, off, s[20:23], 0 offset:1028 ; 4-byte Folded Spill
	buffer_store_dword v67, off, s[20:23], 0 offset:1032 ; 4-byte Folded Spill
	;; [unrolled: 1-line block ×3, first 2 shown]
	s_and_saveexec_b64 s[2:3], vcc
	s_cbranch_execz .LBB89_181
; %bb.180:
	buffer_load_dword v65, off, s[20:23], 0 offset:1024 ; 4-byte Folded Reload
	buffer_load_dword v66, off, s[20:23], 0 offset:1028 ; 4-byte Folded Reload
	;; [unrolled: 1-line block ×4, first 2 shown]
	s_waitcnt vmcnt(2)
	v_mul_f64 v[99:100], v[65:66], v[81:82]
	s_waitcnt vmcnt(0)
	v_mul_f64 v[97:98], v[67:68], v[81:82]
	v_fma_f64 v[81:82], v[67:68], v[79:80], v[99:100]
	ds_read2_b64 v[99:102], v125 offset0:40 offset1:41
	v_fma_f64 v[97:98], v[65:66], v[79:80], -v[97:98]
	s_waitcnt lgkmcnt(0)
	v_mul_f64 v[103:104], v[101:102], v[81:82]
	v_mov_b32_e32 v79, v97
	v_mov_b32_e32 v80, v98
	v_fma_f64 v[103:104], v[99:100], v[97:98], -v[103:104]
	v_mul_f64 v[99:100], v[99:100], v[81:82]
	v_add_f64 v[121:122], v[121:122], -v[103:104]
	v_fma_f64 v[99:100], v[101:102], v[97:98], v[99:100]
	v_add_f64 v[123:124], v[123:124], -v[99:100]
	ds_read2_b64 v[99:102], v125 offset0:42 offset1:43
	s_waitcnt lgkmcnt(0)
	v_mul_f64 v[103:104], v[101:102], v[81:82]
	v_fma_f64 v[103:104], v[99:100], v[97:98], -v[103:104]
	v_mul_f64 v[99:100], v[99:100], v[81:82]
	v_add_f64 v[109:110], v[109:110], -v[103:104]
	v_fma_f64 v[99:100], v[101:102], v[97:98], v[99:100]
	v_add_f64 v[111:112], v[111:112], -v[99:100]
	ds_read2_b64 v[99:102], v125 offset0:44 offset1:45
	s_waitcnt lgkmcnt(0)
	v_mul_f64 v[103:104], v[101:102], v[81:82]
	v_fma_f64 v[103:104], v[99:100], v[97:98], -v[103:104]
	v_mul_f64 v[99:100], v[99:100], v[81:82]
	v_add_f64 v[113:114], v[113:114], -v[103:104]
	v_fma_f64 v[99:100], v[101:102], v[97:98], v[99:100]
	v_add_f64 v[115:116], v[115:116], -v[99:100]
	ds_read2_b64 v[99:102], v125 offset0:46 offset1:47
	buffer_load_dword v73, off, s[20:23], 0 offset:64 ; 4-byte Folded Reload
	buffer_load_dword v74, off, s[20:23], 0 offset:68 ; 4-byte Folded Reload
	;; [unrolled: 1-line block ×4, first 2 shown]
	s_waitcnt lgkmcnt(0)
	v_mul_f64 v[103:104], v[101:102], v[81:82]
	v_fma_f64 v[103:104], v[99:100], v[97:98], -v[103:104]
	v_mul_f64 v[99:100], v[99:100], v[81:82]
	v_fma_f64 v[99:100], v[101:102], v[97:98], v[99:100]
	s_waitcnt vmcnt(2)
	v_add_f64 v[73:74], v[73:74], -v[103:104]
	s_waitcnt vmcnt(0)
	v_add_f64 v[75:76], v[75:76], -v[99:100]
	buffer_store_dword v73, off, s[20:23], 0 offset:64 ; 4-byte Folded Spill
	s_nop 0
	buffer_store_dword v74, off, s[20:23], 0 offset:68 ; 4-byte Folded Spill
	buffer_store_dword v75, off, s[20:23], 0 offset:72 ; 4-byte Folded Spill
	;; [unrolled: 1-line block ×3, first 2 shown]
	ds_read2_b64 v[99:102], v125 offset0:48 offset1:49
	s_waitcnt lgkmcnt(0)
	v_mul_f64 v[103:104], v[101:102], v[81:82]
	v_fma_f64 v[103:104], v[99:100], v[97:98], -v[103:104]
	v_mul_f64 v[99:100], v[99:100], v[81:82]
	v_add_f64 v[93:94], v[93:94], -v[103:104]
	v_fma_f64 v[99:100], v[101:102], v[97:98], v[99:100]
	v_add_f64 v[95:96], v[95:96], -v[99:100]
	ds_read2_b64 v[99:102], v125 offset0:50 offset1:51
	buffer_load_dword v73, off, s[20:23], 0 offset:32 ; 4-byte Folded Reload
	buffer_load_dword v74, off, s[20:23], 0 offset:36 ; 4-byte Folded Reload
	;; [unrolled: 1-line block ×4, first 2 shown]
	s_waitcnt lgkmcnt(0)
	v_mul_f64 v[103:104], v[101:102], v[81:82]
	v_fma_f64 v[103:104], v[99:100], v[97:98], -v[103:104]
	v_mul_f64 v[99:100], v[99:100], v[81:82]
	v_fma_f64 v[99:100], v[101:102], v[97:98], v[99:100]
	s_waitcnt vmcnt(2)
	v_add_f64 v[73:74], v[73:74], -v[103:104]
	s_waitcnt vmcnt(0)
	v_add_f64 v[75:76], v[75:76], -v[99:100]
	buffer_store_dword v73, off, s[20:23], 0 offset:32 ; 4-byte Folded Spill
	s_nop 0
	buffer_store_dword v74, off, s[20:23], 0 offset:36 ; 4-byte Folded Spill
	buffer_store_dword v75, off, s[20:23], 0 offset:40 ; 4-byte Folded Spill
	;; [unrolled: 1-line block ×3, first 2 shown]
	ds_read2_b64 v[99:102], v125 offset0:52 offset1:53
	buffer_load_dword v69, off, s[20:23], 0 offset:16 ; 4-byte Folded Reload
	buffer_load_dword v70, off, s[20:23], 0 offset:20 ; 4-byte Folded Reload
	;; [unrolled: 1-line block ×4, first 2 shown]
	s_waitcnt lgkmcnt(0)
	v_mul_f64 v[103:104], v[101:102], v[81:82]
	v_fma_f64 v[103:104], v[99:100], v[97:98], -v[103:104]
	v_mul_f64 v[99:100], v[99:100], v[81:82]
	v_fma_f64 v[99:100], v[101:102], v[97:98], v[99:100]
	s_waitcnt vmcnt(2)
	v_add_f64 v[69:70], v[69:70], -v[103:104]
	s_waitcnt vmcnt(0)
	v_add_f64 v[71:72], v[71:72], -v[99:100]
	buffer_store_dword v69, off, s[20:23], 0 offset:16 ; 4-byte Folded Spill
	s_nop 0
	buffer_store_dword v70, off, s[20:23], 0 offset:20 ; 4-byte Folded Spill
	buffer_store_dword v71, off, s[20:23], 0 offset:24 ; 4-byte Folded Spill
	;; [unrolled: 1-line block ×3, first 2 shown]
	ds_read2_b64 v[99:102], v125 offset0:54 offset1:55
	buffer_load_dword v65, off, s[20:23], 0 ; 4-byte Folded Reload
	buffer_load_dword v66, off, s[20:23], 0 offset:4 ; 4-byte Folded Reload
	buffer_load_dword v67, off, s[20:23], 0 offset:8 ; 4-byte Folded Reload
	;; [unrolled: 1-line block ×3, first 2 shown]
	s_waitcnt lgkmcnt(0)
	v_mul_f64 v[103:104], v[101:102], v[81:82]
	v_fma_f64 v[103:104], v[99:100], v[97:98], -v[103:104]
	v_mul_f64 v[99:100], v[99:100], v[81:82]
	v_fma_f64 v[99:100], v[101:102], v[97:98], v[99:100]
	s_waitcnt vmcnt(2)
	v_add_f64 v[65:66], v[65:66], -v[103:104]
	s_waitcnt vmcnt(0)
	v_add_f64 v[67:68], v[67:68], -v[99:100]
	buffer_store_dword v65, off, s[20:23], 0 ; 4-byte Folded Spill
	s_nop 0
	buffer_store_dword v66, off, s[20:23], 0 offset:4 ; 4-byte Folded Spill
	buffer_store_dword v67, off, s[20:23], 0 offset:8 ; 4-byte Folded Spill
	;; [unrolled: 1-line block ×3, first 2 shown]
	ds_read2_b64 v[99:102], v125 offset0:56 offset1:57
	s_waitcnt lgkmcnt(0)
	v_mul_f64 v[103:104], v[101:102], v[81:82]
	v_fma_f64 v[103:104], v[99:100], v[97:98], -v[103:104]
	v_mul_f64 v[99:100], v[99:100], v[81:82]
	v_add_f64 v[61:62], v[61:62], -v[103:104]
	v_fma_f64 v[99:100], v[101:102], v[97:98], v[99:100]
	v_add_f64 v[63:64], v[63:64], -v[99:100]
	ds_read2_b64 v[99:102], v125 offset0:58 offset1:59
	s_waitcnt lgkmcnt(0)
	v_mul_f64 v[103:104], v[101:102], v[81:82]
	v_fma_f64 v[103:104], v[99:100], v[97:98], -v[103:104]
	v_mul_f64 v[99:100], v[99:100], v[81:82]
	v_add_f64 v[57:58], v[57:58], -v[103:104]
	v_fma_f64 v[99:100], v[101:102], v[97:98], v[99:100]
	v_add_f64 v[59:60], v[59:60], -v[99:100]
	;; [unrolled: 8-line block ×16, first 2 shown]
	ds_read2_b64 v[99:102], v125 offset0:88 offset1:89
	buffer_load_dword v65, off, s[20:23], 0 offset:48 ; 4-byte Folded Reload
	buffer_load_dword v66, off, s[20:23], 0 offset:52 ; 4-byte Folded Reload
	;; [unrolled: 1-line block ×4, first 2 shown]
	s_waitcnt lgkmcnt(0)
	v_mul_f64 v[103:104], v[101:102], v[81:82]
	v_fma_f64 v[103:104], v[99:100], v[97:98], -v[103:104]
	v_mul_f64 v[99:100], v[99:100], v[81:82]
	v_fma_f64 v[99:100], v[101:102], v[97:98], v[99:100]
	s_waitcnt vmcnt(2)
	v_add_f64 v[65:66], v[65:66], -v[103:104]
	s_waitcnt vmcnt(0)
	v_add_f64 v[67:68], v[67:68], -v[99:100]
	buffer_store_dword v65, off, s[20:23], 0 offset:48 ; 4-byte Folded Spill
	s_nop 0
	buffer_store_dword v66, off, s[20:23], 0 offset:52 ; 4-byte Folded Spill
	buffer_store_dword v67, off, s[20:23], 0 offset:56 ; 4-byte Folded Spill
	buffer_store_dword v68, off, s[20:23], 0 offset:60 ; 4-byte Folded Spill
.LBB89_181:
	s_or_b64 exec, exec, s[2:3]
	v_cmp_eq_u32_e32 vcc, 20, v0
	s_waitcnt vmcnt(0)
	s_barrier
	s_and_saveexec_b64 s[4:5], vcc
	s_cbranch_execz .LBB89_188
; %bb.182:
	ds_write2_b64 v127, v[121:122], v[123:124] offset1:1
	ds_write2_b64 v125, v[109:110], v[111:112] offset0:42 offset1:43
	ds_write2_b64 v125, v[113:114], v[115:116] offset0:44 offset1:45
	buffer_load_dword v73, off, s[20:23], 0 offset:64 ; 4-byte Folded Reload
	buffer_load_dword v74, off, s[20:23], 0 offset:68 ; 4-byte Folded Reload
	;; [unrolled: 1-line block ×4, first 2 shown]
	s_waitcnt vmcnt(0)
	ds_write2_b64 v125, v[73:74], v[75:76] offset0:46 offset1:47
	ds_write2_b64 v125, v[93:94], v[95:96] offset0:48 offset1:49
	buffer_load_dword v73, off, s[20:23], 0 offset:32 ; 4-byte Folded Reload
	buffer_load_dword v74, off, s[20:23], 0 offset:36 ; 4-byte Folded Reload
	;; [unrolled: 1-line block ×4, first 2 shown]
	s_waitcnt vmcnt(0)
	ds_write2_b64 v125, v[73:74], v[75:76] offset0:50 offset1:51
	buffer_load_dword v69, off, s[20:23], 0 offset:16 ; 4-byte Folded Reload
	buffer_load_dword v70, off, s[20:23], 0 offset:20 ; 4-byte Folded Reload
	;; [unrolled: 1-line block ×4, first 2 shown]
	s_waitcnt vmcnt(0)
	ds_write2_b64 v125, v[69:70], v[71:72] offset0:52 offset1:53
	buffer_load_dword v65, off, s[20:23], 0 ; 4-byte Folded Reload
	buffer_load_dword v66, off, s[20:23], 0 offset:4 ; 4-byte Folded Reload
	buffer_load_dword v67, off, s[20:23], 0 offset:8 ; 4-byte Folded Reload
	;; [unrolled: 1-line block ×3, first 2 shown]
	s_waitcnt vmcnt(0)
	ds_write2_b64 v125, v[65:66], v[67:68] offset0:54 offset1:55
	ds_write2_b64 v125, v[61:62], v[63:64] offset0:56 offset1:57
	;; [unrolled: 1-line block ×17, first 2 shown]
	buffer_load_dword v65, off, s[20:23], 0 offset:48 ; 4-byte Folded Reload
	buffer_load_dword v66, off, s[20:23], 0 offset:52 ; 4-byte Folded Reload
	;; [unrolled: 1-line block ×4, first 2 shown]
	s_waitcnt vmcnt(0)
	ds_write2_b64 v125, v[65:66], v[67:68] offset0:88 offset1:89
	ds_read2_b64 v[97:100], v127 offset1:1
	s_waitcnt lgkmcnt(0)
	v_cmp_neq_f64_e32 vcc, 0, v[97:98]
	v_cmp_neq_f64_e64 s[2:3], 0, v[99:100]
	s_or_b64 s[2:3], vcc, s[2:3]
	s_and_b64 exec, exec, s[2:3]
	s_cbranch_execz .LBB89_188
; %bb.183:
	v_cmp_ngt_f64_e64 s[2:3], |v[97:98]|, |v[99:100]|
                                        ; implicit-def: $vgpr101_vgpr102
	s_and_saveexec_b64 s[6:7], s[2:3]
	s_xor_b64 s[2:3], exec, s[6:7]
                                        ; implicit-def: $vgpr103_vgpr104
	s_cbranch_execz .LBB89_185
; %bb.184:
	v_div_scale_f64 v[101:102], s[6:7], v[99:100], v[99:100], v[97:98]
	v_rcp_f64_e32 v[103:104], v[101:102]
	v_fma_f64 v[105:106], -v[101:102], v[103:104], 1.0
	v_fma_f64 v[103:104], v[103:104], v[105:106], v[103:104]
	v_div_scale_f64 v[105:106], vcc, v[97:98], v[99:100], v[97:98]
	v_fma_f64 v[107:108], -v[101:102], v[103:104], 1.0
	v_fma_f64 v[103:104], v[103:104], v[107:108], v[103:104]
	v_mul_f64 v[107:108], v[105:106], v[103:104]
	v_fma_f64 v[101:102], -v[101:102], v[107:108], v[105:106]
	v_div_fmas_f64 v[101:102], v[101:102], v[103:104], v[107:108]
	v_div_fixup_f64 v[101:102], v[101:102], v[99:100], v[97:98]
	v_fma_f64 v[97:98], v[97:98], v[101:102], v[99:100]
	v_div_scale_f64 v[99:100], s[6:7], v[97:98], v[97:98], 1.0
	v_div_scale_f64 v[107:108], vcc, 1.0, v[97:98], 1.0
	v_rcp_f64_e32 v[103:104], v[99:100]
	v_fma_f64 v[105:106], -v[99:100], v[103:104], 1.0
	v_fma_f64 v[103:104], v[103:104], v[105:106], v[103:104]
	v_fma_f64 v[105:106], -v[99:100], v[103:104], 1.0
	v_fma_f64 v[103:104], v[103:104], v[105:106], v[103:104]
	v_mul_f64 v[105:106], v[107:108], v[103:104]
	v_fma_f64 v[99:100], -v[99:100], v[105:106], v[107:108]
	v_div_fmas_f64 v[99:100], v[99:100], v[103:104], v[105:106]
	v_div_fixup_f64 v[103:104], v[99:100], v[97:98], 1.0
                                        ; implicit-def: $vgpr97_vgpr98
	v_mul_f64 v[101:102], v[101:102], v[103:104]
	v_xor_b32_e32 v104, 0x80000000, v104
.LBB89_185:
	s_andn2_saveexec_b64 s[2:3], s[2:3]
	s_cbranch_execz .LBB89_187
; %bb.186:
	v_div_scale_f64 v[101:102], s[6:7], v[97:98], v[97:98], v[99:100]
	v_rcp_f64_e32 v[103:104], v[101:102]
	v_fma_f64 v[105:106], -v[101:102], v[103:104], 1.0
	v_fma_f64 v[103:104], v[103:104], v[105:106], v[103:104]
	v_div_scale_f64 v[105:106], vcc, v[99:100], v[97:98], v[99:100]
	v_fma_f64 v[107:108], -v[101:102], v[103:104], 1.0
	v_fma_f64 v[103:104], v[103:104], v[107:108], v[103:104]
	v_mul_f64 v[107:108], v[105:106], v[103:104]
	v_fma_f64 v[101:102], -v[101:102], v[107:108], v[105:106]
	v_div_fmas_f64 v[101:102], v[101:102], v[103:104], v[107:108]
	v_div_fixup_f64 v[103:104], v[101:102], v[97:98], v[99:100]
	v_fma_f64 v[97:98], v[99:100], v[103:104], v[97:98]
	v_div_scale_f64 v[99:100], s[6:7], v[97:98], v[97:98], 1.0
	v_div_scale_f64 v[107:108], vcc, 1.0, v[97:98], 1.0
	v_rcp_f64_e32 v[101:102], v[99:100]
	v_fma_f64 v[105:106], -v[99:100], v[101:102], 1.0
	v_fma_f64 v[101:102], v[101:102], v[105:106], v[101:102]
	v_fma_f64 v[105:106], -v[99:100], v[101:102], 1.0
	v_fma_f64 v[101:102], v[101:102], v[105:106], v[101:102]
	v_mul_f64 v[105:106], v[107:108], v[101:102]
	v_fma_f64 v[99:100], -v[99:100], v[105:106], v[107:108]
	v_div_fmas_f64 v[99:100], v[99:100], v[101:102], v[105:106]
	v_div_fixup_f64 v[101:102], v[99:100], v[97:98], 1.0
	v_mul_f64 v[103:104], v[103:104], -v[101:102]
.LBB89_187:
	s_or_b64 exec, exec, s[2:3]
	ds_write2_b64 v127, v[101:102], v[103:104] offset1:1
.LBB89_188:
	s_or_b64 exec, exec, s[4:5]
	s_waitcnt lgkmcnt(0)
	s_barrier
	ds_read2_b64 v[65:68], v127 offset1:1
	v_cmp_lt_u32_e32 vcc, 20, v0
	s_waitcnt lgkmcnt(0)
	buffer_store_dword v65, off, s[20:23], 0 offset:1040 ; 4-byte Folded Spill
	s_nop 0
	buffer_store_dword v66, off, s[20:23], 0 offset:1044 ; 4-byte Folded Spill
	buffer_store_dword v67, off, s[20:23], 0 offset:1048 ; 4-byte Folded Spill
	;; [unrolled: 1-line block ×3, first 2 shown]
	s_and_saveexec_b64 s[2:3], vcc
	s_cbranch_execz .LBB89_190
; %bb.189:
	buffer_load_dword v65, off, s[20:23], 0 offset:1040 ; 4-byte Folded Reload
	buffer_load_dword v66, off, s[20:23], 0 offset:1044 ; 4-byte Folded Reload
	;; [unrolled: 1-line block ×4, first 2 shown]
	v_mov_b32_e32 v106, v96
	v_mov_b32_e32 v105, v95
	;; [unrolled: 1-line block ×4, first 2 shown]
	ds_read2_b64 v[99:102], v125 offset0:42 offset1:43
	s_waitcnt vmcnt(2)
	v_mul_f64 v[95:96], v[65:66], v[123:124]
	s_waitcnt vmcnt(0)
	v_mul_f64 v[97:98], v[67:68], v[123:124]
	v_fma_f64 v[123:124], v[67:68], v[121:122], v[95:96]
	v_fma_f64 v[97:98], v[65:66], v[121:122], -v[97:98]
	s_waitcnt lgkmcnt(0)
	v_mul_f64 v[93:94], v[101:102], v[123:124]
	v_mov_b32_e32 v122, v98
	v_mov_b32_e32 v121, v97
	v_fma_f64 v[93:94], v[99:100], v[97:98], -v[93:94]
	v_mul_f64 v[99:100], v[99:100], v[123:124]
	v_add_f64 v[109:110], v[109:110], -v[93:94]
	v_fma_f64 v[99:100], v[101:102], v[97:98], v[99:100]
	v_add_f64 v[111:112], v[111:112], -v[99:100]
	ds_read2_b64 v[99:102], v125 offset0:44 offset1:45
	s_waitcnt lgkmcnt(0)
	v_mul_f64 v[93:94], v[101:102], v[123:124]
	v_fma_f64 v[93:94], v[99:100], v[97:98], -v[93:94]
	v_mul_f64 v[99:100], v[99:100], v[123:124]
	v_add_f64 v[113:114], v[113:114], -v[93:94]
	v_fma_f64 v[99:100], v[101:102], v[97:98], v[99:100]
	v_add_f64 v[115:116], v[115:116], -v[99:100]
	ds_read2_b64 v[99:102], v125 offset0:46 offset1:47
	buffer_load_dword v73, off, s[20:23], 0 offset:64 ; 4-byte Folded Reload
	buffer_load_dword v74, off, s[20:23], 0 offset:68 ; 4-byte Folded Reload
	;; [unrolled: 1-line block ×4, first 2 shown]
	s_waitcnt lgkmcnt(0)
	v_mul_f64 v[93:94], v[101:102], v[123:124]
	v_fma_f64 v[93:94], v[99:100], v[97:98], -v[93:94]
	v_mul_f64 v[99:100], v[99:100], v[123:124]
	v_fma_f64 v[99:100], v[101:102], v[97:98], v[99:100]
	s_waitcnt vmcnt(2)
	v_add_f64 v[73:74], v[73:74], -v[93:94]
	s_waitcnt vmcnt(0)
	v_add_f64 v[75:76], v[75:76], -v[99:100]
	buffer_store_dword v73, off, s[20:23], 0 offset:64 ; 4-byte Folded Spill
	s_nop 0
	buffer_store_dword v74, off, s[20:23], 0 offset:68 ; 4-byte Folded Spill
	buffer_store_dword v75, off, s[20:23], 0 offset:72 ; 4-byte Folded Spill
	;; [unrolled: 1-line block ×3, first 2 shown]
	ds_read2_b64 v[99:102], v125 offset0:48 offset1:49
	s_waitcnt lgkmcnt(0)
	v_mul_f64 v[93:94], v[101:102], v[123:124]
	v_fma_f64 v[93:94], v[99:100], v[97:98], -v[93:94]
	v_mul_f64 v[99:100], v[99:100], v[123:124]
	v_add_f64 v[103:104], v[103:104], -v[93:94]
	v_fma_f64 v[99:100], v[101:102], v[97:98], v[99:100]
	v_add_f64 v[105:106], v[105:106], -v[99:100]
	ds_read2_b64 v[99:102], v125 offset0:50 offset1:51
	buffer_load_dword v73, off, s[20:23], 0 offset:32 ; 4-byte Folded Reload
	buffer_load_dword v74, off, s[20:23], 0 offset:36 ; 4-byte Folded Reload
	;; [unrolled: 1-line block ×4, first 2 shown]
	s_waitcnt lgkmcnt(0)
	v_mul_f64 v[93:94], v[101:102], v[123:124]
	v_fma_f64 v[93:94], v[99:100], v[97:98], -v[93:94]
	v_mul_f64 v[99:100], v[99:100], v[123:124]
	v_fma_f64 v[99:100], v[101:102], v[97:98], v[99:100]
	s_waitcnt vmcnt(2)
	v_add_f64 v[73:74], v[73:74], -v[93:94]
	s_waitcnt vmcnt(0)
	v_add_f64 v[75:76], v[75:76], -v[99:100]
	buffer_store_dword v73, off, s[20:23], 0 offset:32 ; 4-byte Folded Spill
	s_nop 0
	buffer_store_dword v74, off, s[20:23], 0 offset:36 ; 4-byte Folded Spill
	buffer_store_dword v75, off, s[20:23], 0 offset:40 ; 4-byte Folded Spill
	;; [unrolled: 1-line block ×3, first 2 shown]
	ds_read2_b64 v[99:102], v125 offset0:52 offset1:53
	buffer_load_dword v69, off, s[20:23], 0 offset:16 ; 4-byte Folded Reload
	buffer_load_dword v70, off, s[20:23], 0 offset:20 ; 4-byte Folded Reload
	;; [unrolled: 1-line block ×4, first 2 shown]
	s_waitcnt lgkmcnt(0)
	v_mul_f64 v[93:94], v[101:102], v[123:124]
	v_fma_f64 v[93:94], v[99:100], v[97:98], -v[93:94]
	v_mul_f64 v[99:100], v[99:100], v[123:124]
	v_fma_f64 v[99:100], v[101:102], v[97:98], v[99:100]
	s_waitcnt vmcnt(2)
	v_add_f64 v[69:70], v[69:70], -v[93:94]
	s_waitcnt vmcnt(0)
	v_add_f64 v[71:72], v[71:72], -v[99:100]
	buffer_store_dword v69, off, s[20:23], 0 offset:16 ; 4-byte Folded Spill
	s_nop 0
	buffer_store_dword v70, off, s[20:23], 0 offset:20 ; 4-byte Folded Spill
	buffer_store_dword v71, off, s[20:23], 0 offset:24 ; 4-byte Folded Spill
	;; [unrolled: 1-line block ×3, first 2 shown]
	ds_read2_b64 v[99:102], v125 offset0:54 offset1:55
	buffer_load_dword v65, off, s[20:23], 0 ; 4-byte Folded Reload
	buffer_load_dword v66, off, s[20:23], 0 offset:4 ; 4-byte Folded Reload
	buffer_load_dword v67, off, s[20:23], 0 offset:8 ; 4-byte Folded Reload
	;; [unrolled: 1-line block ×3, first 2 shown]
	s_waitcnt lgkmcnt(0)
	v_mul_f64 v[93:94], v[101:102], v[123:124]
	v_fma_f64 v[93:94], v[99:100], v[97:98], -v[93:94]
	v_mul_f64 v[99:100], v[99:100], v[123:124]
	v_fma_f64 v[99:100], v[101:102], v[97:98], v[99:100]
	s_waitcnt vmcnt(2)
	v_add_f64 v[65:66], v[65:66], -v[93:94]
	s_waitcnt vmcnt(0)
	v_add_f64 v[67:68], v[67:68], -v[99:100]
	buffer_store_dword v65, off, s[20:23], 0 ; 4-byte Folded Spill
	s_nop 0
	buffer_store_dword v66, off, s[20:23], 0 offset:4 ; 4-byte Folded Spill
	buffer_store_dword v67, off, s[20:23], 0 offset:8 ; 4-byte Folded Spill
	;; [unrolled: 1-line block ×3, first 2 shown]
	ds_read2_b64 v[99:102], v125 offset0:56 offset1:57
	s_waitcnt lgkmcnt(0)
	v_mul_f64 v[93:94], v[101:102], v[123:124]
	v_fma_f64 v[93:94], v[99:100], v[97:98], -v[93:94]
	v_mul_f64 v[99:100], v[99:100], v[123:124]
	v_add_f64 v[61:62], v[61:62], -v[93:94]
	v_fma_f64 v[99:100], v[101:102], v[97:98], v[99:100]
	v_add_f64 v[63:64], v[63:64], -v[99:100]
	ds_read2_b64 v[99:102], v125 offset0:58 offset1:59
	s_waitcnt lgkmcnt(0)
	v_mul_f64 v[93:94], v[101:102], v[123:124]
	v_fma_f64 v[93:94], v[99:100], v[97:98], -v[93:94]
	v_mul_f64 v[99:100], v[99:100], v[123:124]
	v_add_f64 v[57:58], v[57:58], -v[93:94]
	v_fma_f64 v[99:100], v[101:102], v[97:98], v[99:100]
	v_add_f64 v[59:60], v[59:60], -v[99:100]
	;; [unrolled: 8-line block ×16, first 2 shown]
	ds_read2_b64 v[99:102], v125 offset0:88 offset1:89
	buffer_load_dword v65, off, s[20:23], 0 offset:48 ; 4-byte Folded Reload
	buffer_load_dword v66, off, s[20:23], 0 offset:52 ; 4-byte Folded Reload
	;; [unrolled: 1-line block ×4, first 2 shown]
	s_waitcnt lgkmcnt(0)
	v_mul_f64 v[93:94], v[101:102], v[123:124]
	v_fma_f64 v[93:94], v[99:100], v[97:98], -v[93:94]
	v_mul_f64 v[99:100], v[99:100], v[123:124]
	v_fma_f64 v[99:100], v[101:102], v[97:98], v[99:100]
	s_waitcnt vmcnt(2)
	v_add_f64 v[65:66], v[65:66], -v[93:94]
	v_mov_b32_e32 v93, v103
	s_waitcnt vmcnt(0)
	v_add_f64 v[67:68], v[67:68], -v[99:100]
	v_mov_b32_e32 v94, v104
	v_mov_b32_e32 v95, v105
	;; [unrolled: 1-line block ×3, first 2 shown]
	buffer_store_dword v65, off, s[20:23], 0 offset:48 ; 4-byte Folded Spill
	s_nop 0
	buffer_store_dword v66, off, s[20:23], 0 offset:52 ; 4-byte Folded Spill
	buffer_store_dword v67, off, s[20:23], 0 offset:56 ; 4-byte Folded Spill
	;; [unrolled: 1-line block ×3, first 2 shown]
.LBB89_190:
	s_or_b64 exec, exec, s[2:3]
	v_cmp_eq_u32_e32 vcc, 21, v0
	s_waitcnt vmcnt(0)
	s_barrier
	s_and_saveexec_b64 s[4:5], vcc
	s_cbranch_execz .LBB89_197
; %bb.191:
	ds_write2_b64 v127, v[109:110], v[111:112] offset1:1
	ds_write2_b64 v125, v[113:114], v[115:116] offset0:44 offset1:45
	buffer_load_dword v73, off, s[20:23], 0 offset:64 ; 4-byte Folded Reload
	buffer_load_dword v74, off, s[20:23], 0 offset:68 ; 4-byte Folded Reload
	;; [unrolled: 1-line block ×4, first 2 shown]
	s_waitcnt vmcnt(0)
	ds_write2_b64 v125, v[73:74], v[75:76] offset0:46 offset1:47
	ds_write2_b64 v125, v[93:94], v[95:96] offset0:48 offset1:49
	buffer_load_dword v73, off, s[20:23], 0 offset:32 ; 4-byte Folded Reload
	buffer_load_dword v74, off, s[20:23], 0 offset:36 ; 4-byte Folded Reload
	;; [unrolled: 1-line block ×4, first 2 shown]
	s_waitcnt vmcnt(0)
	ds_write2_b64 v125, v[73:74], v[75:76] offset0:50 offset1:51
	buffer_load_dword v69, off, s[20:23], 0 offset:16 ; 4-byte Folded Reload
	buffer_load_dword v70, off, s[20:23], 0 offset:20 ; 4-byte Folded Reload
	;; [unrolled: 1-line block ×4, first 2 shown]
	s_waitcnt vmcnt(0)
	ds_write2_b64 v125, v[69:70], v[71:72] offset0:52 offset1:53
	buffer_load_dword v65, off, s[20:23], 0 ; 4-byte Folded Reload
	buffer_load_dword v66, off, s[20:23], 0 offset:4 ; 4-byte Folded Reload
	buffer_load_dword v67, off, s[20:23], 0 offset:8 ; 4-byte Folded Reload
	;; [unrolled: 1-line block ×3, first 2 shown]
	s_waitcnt vmcnt(0)
	ds_write2_b64 v125, v[65:66], v[67:68] offset0:54 offset1:55
	ds_write2_b64 v125, v[61:62], v[63:64] offset0:56 offset1:57
	ds_write2_b64 v125, v[57:58], v[59:60] offset0:58 offset1:59
	ds_write2_b64 v125, v[53:54], v[55:56] offset0:60 offset1:61
	ds_write2_b64 v125, v[49:50], v[51:52] offset0:62 offset1:63
	ds_write2_b64 v125, v[45:46], v[47:48] offset0:64 offset1:65
	ds_write2_b64 v125, v[41:42], v[43:44] offset0:66 offset1:67
	ds_write2_b64 v125, v[37:38], v[39:40] offset0:68 offset1:69
	ds_write2_b64 v125, v[33:34], v[35:36] offset0:70 offset1:71
	ds_write2_b64 v125, v[29:30], v[31:32] offset0:72 offset1:73
	ds_write2_b64 v125, v[25:26], v[27:28] offset0:74 offset1:75
	ds_write2_b64 v125, v[21:22], v[23:24] offset0:76 offset1:77
	ds_write2_b64 v125, v[17:18], v[19:20] offset0:78 offset1:79
	ds_write2_b64 v125, v[13:14], v[15:16] offset0:80 offset1:81
	ds_write2_b64 v125, v[9:10], v[11:12] offset0:82 offset1:83
	ds_write2_b64 v125, v[5:6], v[7:8] offset0:84 offset1:85
	ds_write2_b64 v125, v[1:2], v[3:4] offset0:86 offset1:87
	buffer_load_dword v65, off, s[20:23], 0 offset:48 ; 4-byte Folded Reload
	buffer_load_dword v66, off, s[20:23], 0 offset:52 ; 4-byte Folded Reload
	;; [unrolled: 1-line block ×4, first 2 shown]
	s_waitcnt vmcnt(0)
	ds_write2_b64 v125, v[65:66], v[67:68] offset0:88 offset1:89
	ds_read2_b64 v[97:100], v127 offset1:1
	s_waitcnt lgkmcnt(0)
	v_cmp_neq_f64_e32 vcc, 0, v[97:98]
	v_cmp_neq_f64_e64 s[2:3], 0, v[99:100]
	s_or_b64 s[2:3], vcc, s[2:3]
	s_and_b64 exec, exec, s[2:3]
	s_cbranch_execz .LBB89_197
; %bb.192:
	v_cmp_ngt_f64_e64 s[2:3], |v[97:98]|, |v[99:100]|
                                        ; implicit-def: $vgpr101_vgpr102
	s_and_saveexec_b64 s[6:7], s[2:3]
	s_xor_b64 s[2:3], exec, s[6:7]
                                        ; implicit-def: $vgpr103_vgpr104
	s_cbranch_execz .LBB89_194
; %bb.193:
	v_div_scale_f64 v[101:102], s[6:7], v[99:100], v[99:100], v[97:98]
	v_rcp_f64_e32 v[103:104], v[101:102]
	v_fma_f64 v[105:106], -v[101:102], v[103:104], 1.0
	v_fma_f64 v[103:104], v[103:104], v[105:106], v[103:104]
	v_div_scale_f64 v[105:106], vcc, v[97:98], v[99:100], v[97:98]
	v_fma_f64 v[107:108], -v[101:102], v[103:104], 1.0
	v_fma_f64 v[103:104], v[103:104], v[107:108], v[103:104]
	v_mul_f64 v[107:108], v[105:106], v[103:104]
	v_fma_f64 v[101:102], -v[101:102], v[107:108], v[105:106]
	v_div_fmas_f64 v[101:102], v[101:102], v[103:104], v[107:108]
	v_div_fixup_f64 v[101:102], v[101:102], v[99:100], v[97:98]
	v_fma_f64 v[97:98], v[97:98], v[101:102], v[99:100]
	v_div_scale_f64 v[99:100], s[6:7], v[97:98], v[97:98], 1.0
	v_div_scale_f64 v[107:108], vcc, 1.0, v[97:98], 1.0
	v_rcp_f64_e32 v[103:104], v[99:100]
	v_fma_f64 v[105:106], -v[99:100], v[103:104], 1.0
	v_fma_f64 v[103:104], v[103:104], v[105:106], v[103:104]
	v_fma_f64 v[105:106], -v[99:100], v[103:104], 1.0
	v_fma_f64 v[103:104], v[103:104], v[105:106], v[103:104]
	v_mul_f64 v[105:106], v[107:108], v[103:104]
	v_fma_f64 v[99:100], -v[99:100], v[105:106], v[107:108]
	v_div_fmas_f64 v[99:100], v[99:100], v[103:104], v[105:106]
	v_div_fixup_f64 v[103:104], v[99:100], v[97:98], 1.0
                                        ; implicit-def: $vgpr97_vgpr98
	v_mul_f64 v[101:102], v[101:102], v[103:104]
	v_xor_b32_e32 v104, 0x80000000, v104
.LBB89_194:
	s_andn2_saveexec_b64 s[2:3], s[2:3]
	s_cbranch_execz .LBB89_196
; %bb.195:
	v_div_scale_f64 v[101:102], s[6:7], v[97:98], v[97:98], v[99:100]
	v_rcp_f64_e32 v[103:104], v[101:102]
	v_fma_f64 v[105:106], -v[101:102], v[103:104], 1.0
	v_fma_f64 v[103:104], v[103:104], v[105:106], v[103:104]
	v_div_scale_f64 v[105:106], vcc, v[99:100], v[97:98], v[99:100]
	v_fma_f64 v[107:108], -v[101:102], v[103:104], 1.0
	v_fma_f64 v[103:104], v[103:104], v[107:108], v[103:104]
	v_mul_f64 v[107:108], v[105:106], v[103:104]
	v_fma_f64 v[101:102], -v[101:102], v[107:108], v[105:106]
	v_div_fmas_f64 v[101:102], v[101:102], v[103:104], v[107:108]
	v_div_fixup_f64 v[103:104], v[101:102], v[97:98], v[99:100]
	v_fma_f64 v[97:98], v[99:100], v[103:104], v[97:98]
	v_div_scale_f64 v[99:100], s[6:7], v[97:98], v[97:98], 1.0
	v_div_scale_f64 v[107:108], vcc, 1.0, v[97:98], 1.0
	v_rcp_f64_e32 v[101:102], v[99:100]
	v_fma_f64 v[105:106], -v[99:100], v[101:102], 1.0
	v_fma_f64 v[101:102], v[101:102], v[105:106], v[101:102]
	v_fma_f64 v[105:106], -v[99:100], v[101:102], 1.0
	v_fma_f64 v[101:102], v[101:102], v[105:106], v[101:102]
	v_mul_f64 v[105:106], v[107:108], v[101:102]
	v_fma_f64 v[99:100], -v[99:100], v[105:106], v[107:108]
	v_div_fmas_f64 v[99:100], v[99:100], v[101:102], v[105:106]
	v_div_fixup_f64 v[101:102], v[99:100], v[97:98], 1.0
	v_mul_f64 v[103:104], v[103:104], -v[101:102]
.LBB89_196:
	s_or_b64 exec, exec, s[2:3]
	ds_write2_b64 v127, v[101:102], v[103:104] offset1:1
.LBB89_197:
	s_or_b64 exec, exec, s[4:5]
	s_waitcnt lgkmcnt(0)
	s_barrier
	ds_read2_b64 v[65:68], v127 offset1:1
	v_cmp_lt_u32_e32 vcc, 21, v0
	s_waitcnt lgkmcnt(0)
	buffer_store_dword v65, off, s[20:23], 0 offset:1056 ; 4-byte Folded Spill
	s_nop 0
	buffer_store_dword v66, off, s[20:23], 0 offset:1060 ; 4-byte Folded Spill
	buffer_store_dword v67, off, s[20:23], 0 offset:1064 ; 4-byte Folded Spill
	;; [unrolled: 1-line block ×3, first 2 shown]
	s_and_saveexec_b64 s[2:3], vcc
	s_cbranch_execz .LBB89_199
; %bb.198:
	buffer_load_dword v65, off, s[20:23], 0 offset:1056 ; 4-byte Folded Reload
	buffer_load_dword v66, off, s[20:23], 0 offset:1060 ; 4-byte Folded Reload
	;; [unrolled: 1-line block ×4, first 2 shown]
	v_mov_b32_e32 v89, v91
	v_mov_b32_e32 v90, v92
	ds_read2_b64 v[99:102], v125 offset0:44 offset1:45
	s_waitcnt vmcnt(2)
	v_mul_f64 v[91:92], v[65:66], v[111:112]
	s_waitcnt vmcnt(0)
	v_mul_f64 v[97:98], v[67:68], v[111:112]
	v_fma_f64 v[111:112], v[67:68], v[109:110], v[91:92]
	v_mov_b32_e32 v92, v90
	v_fma_f64 v[97:98], v[65:66], v[109:110], -v[97:98]
	v_mov_b32_e32 v91, v89
	s_waitcnt lgkmcnt(0)
	v_mul_f64 v[89:90], v[101:102], v[111:112]
	v_mov_b32_e32 v110, v98
	v_mov_b32_e32 v109, v97
	v_fma_f64 v[89:90], v[99:100], v[97:98], -v[89:90]
	v_mul_f64 v[99:100], v[99:100], v[111:112]
	v_add_f64 v[113:114], v[113:114], -v[89:90]
	v_fma_f64 v[99:100], v[101:102], v[97:98], v[99:100]
	v_add_f64 v[115:116], v[115:116], -v[99:100]
	ds_read2_b64 v[99:102], v125 offset0:46 offset1:47
	buffer_load_dword v73, off, s[20:23], 0 offset:64 ; 4-byte Folded Reload
	buffer_load_dword v74, off, s[20:23], 0 offset:68 ; 4-byte Folded Reload
	;; [unrolled: 1-line block ×4, first 2 shown]
	s_waitcnt lgkmcnt(0)
	v_mul_f64 v[89:90], v[101:102], v[111:112]
	v_fma_f64 v[89:90], v[99:100], v[97:98], -v[89:90]
	v_mul_f64 v[99:100], v[99:100], v[111:112]
	v_fma_f64 v[99:100], v[101:102], v[97:98], v[99:100]
	s_waitcnt vmcnt(2)
	v_add_f64 v[73:74], v[73:74], -v[89:90]
	s_waitcnt vmcnt(0)
	v_add_f64 v[75:76], v[75:76], -v[99:100]
	buffer_store_dword v73, off, s[20:23], 0 offset:64 ; 4-byte Folded Spill
	s_nop 0
	buffer_store_dword v74, off, s[20:23], 0 offset:68 ; 4-byte Folded Spill
	buffer_store_dword v75, off, s[20:23], 0 offset:72 ; 4-byte Folded Spill
	;; [unrolled: 1-line block ×3, first 2 shown]
	ds_read2_b64 v[99:102], v125 offset0:48 offset1:49
	s_waitcnt lgkmcnt(0)
	v_mul_f64 v[89:90], v[101:102], v[111:112]
	v_fma_f64 v[89:90], v[99:100], v[97:98], -v[89:90]
	v_mul_f64 v[99:100], v[99:100], v[111:112]
	v_add_f64 v[93:94], v[93:94], -v[89:90]
	v_fma_f64 v[99:100], v[101:102], v[97:98], v[99:100]
	v_add_f64 v[95:96], v[95:96], -v[99:100]
	ds_read2_b64 v[99:102], v125 offset0:50 offset1:51
	buffer_load_dword v73, off, s[20:23], 0 offset:32 ; 4-byte Folded Reload
	buffer_load_dword v74, off, s[20:23], 0 offset:36 ; 4-byte Folded Reload
	;; [unrolled: 1-line block ×4, first 2 shown]
	s_waitcnt lgkmcnt(0)
	v_mul_f64 v[89:90], v[101:102], v[111:112]
	v_fma_f64 v[89:90], v[99:100], v[97:98], -v[89:90]
	v_mul_f64 v[99:100], v[99:100], v[111:112]
	v_fma_f64 v[99:100], v[101:102], v[97:98], v[99:100]
	s_waitcnt vmcnt(2)
	v_add_f64 v[73:74], v[73:74], -v[89:90]
	s_waitcnt vmcnt(0)
	v_add_f64 v[75:76], v[75:76], -v[99:100]
	buffer_store_dword v73, off, s[20:23], 0 offset:32 ; 4-byte Folded Spill
	s_nop 0
	buffer_store_dword v74, off, s[20:23], 0 offset:36 ; 4-byte Folded Spill
	buffer_store_dword v75, off, s[20:23], 0 offset:40 ; 4-byte Folded Spill
	;; [unrolled: 1-line block ×3, first 2 shown]
	ds_read2_b64 v[99:102], v125 offset0:52 offset1:53
	buffer_load_dword v69, off, s[20:23], 0 offset:16 ; 4-byte Folded Reload
	buffer_load_dword v70, off, s[20:23], 0 offset:20 ; 4-byte Folded Reload
	;; [unrolled: 1-line block ×4, first 2 shown]
	s_waitcnt lgkmcnt(0)
	v_mul_f64 v[89:90], v[101:102], v[111:112]
	v_fma_f64 v[89:90], v[99:100], v[97:98], -v[89:90]
	v_mul_f64 v[99:100], v[99:100], v[111:112]
	v_fma_f64 v[99:100], v[101:102], v[97:98], v[99:100]
	s_waitcnt vmcnt(2)
	v_add_f64 v[69:70], v[69:70], -v[89:90]
	s_waitcnt vmcnt(0)
	v_add_f64 v[71:72], v[71:72], -v[99:100]
	buffer_store_dword v69, off, s[20:23], 0 offset:16 ; 4-byte Folded Spill
	s_nop 0
	buffer_store_dword v70, off, s[20:23], 0 offset:20 ; 4-byte Folded Spill
	buffer_store_dword v71, off, s[20:23], 0 offset:24 ; 4-byte Folded Spill
	;; [unrolled: 1-line block ×3, first 2 shown]
	ds_read2_b64 v[99:102], v125 offset0:54 offset1:55
	buffer_load_dword v65, off, s[20:23], 0 ; 4-byte Folded Reload
	buffer_load_dword v66, off, s[20:23], 0 offset:4 ; 4-byte Folded Reload
	buffer_load_dword v67, off, s[20:23], 0 offset:8 ; 4-byte Folded Reload
	;; [unrolled: 1-line block ×3, first 2 shown]
	s_waitcnt lgkmcnt(0)
	v_mul_f64 v[89:90], v[101:102], v[111:112]
	v_fma_f64 v[89:90], v[99:100], v[97:98], -v[89:90]
	v_mul_f64 v[99:100], v[99:100], v[111:112]
	v_fma_f64 v[99:100], v[101:102], v[97:98], v[99:100]
	s_waitcnt vmcnt(2)
	v_add_f64 v[65:66], v[65:66], -v[89:90]
	s_waitcnt vmcnt(0)
	v_add_f64 v[67:68], v[67:68], -v[99:100]
	buffer_store_dword v65, off, s[20:23], 0 ; 4-byte Folded Spill
	s_nop 0
	buffer_store_dword v66, off, s[20:23], 0 offset:4 ; 4-byte Folded Spill
	buffer_store_dword v67, off, s[20:23], 0 offset:8 ; 4-byte Folded Spill
	;; [unrolled: 1-line block ×3, first 2 shown]
	ds_read2_b64 v[99:102], v125 offset0:56 offset1:57
	s_waitcnt lgkmcnt(0)
	v_mul_f64 v[89:90], v[101:102], v[111:112]
	v_fma_f64 v[89:90], v[99:100], v[97:98], -v[89:90]
	v_mul_f64 v[99:100], v[99:100], v[111:112]
	v_add_f64 v[61:62], v[61:62], -v[89:90]
	v_fma_f64 v[99:100], v[101:102], v[97:98], v[99:100]
	v_add_f64 v[63:64], v[63:64], -v[99:100]
	ds_read2_b64 v[99:102], v125 offset0:58 offset1:59
	s_waitcnt lgkmcnt(0)
	v_mul_f64 v[89:90], v[101:102], v[111:112]
	v_fma_f64 v[89:90], v[99:100], v[97:98], -v[89:90]
	v_mul_f64 v[99:100], v[99:100], v[111:112]
	v_add_f64 v[57:58], v[57:58], -v[89:90]
	v_fma_f64 v[99:100], v[101:102], v[97:98], v[99:100]
	v_add_f64 v[59:60], v[59:60], -v[99:100]
	;; [unrolled: 8-line block ×16, first 2 shown]
	ds_read2_b64 v[99:102], v125 offset0:88 offset1:89
	buffer_load_dword v65, off, s[20:23], 0 offset:48 ; 4-byte Folded Reload
	buffer_load_dword v66, off, s[20:23], 0 offset:52 ; 4-byte Folded Reload
	;; [unrolled: 1-line block ×4, first 2 shown]
	s_waitcnt lgkmcnt(0)
	v_mul_f64 v[89:90], v[101:102], v[111:112]
	v_fma_f64 v[89:90], v[99:100], v[97:98], -v[89:90]
	v_mul_f64 v[99:100], v[99:100], v[111:112]
	v_fma_f64 v[99:100], v[101:102], v[97:98], v[99:100]
	s_waitcnt vmcnt(2)
	v_add_f64 v[65:66], v[65:66], -v[89:90]
	s_waitcnt vmcnt(0)
	v_add_f64 v[67:68], v[67:68], -v[99:100]
	buffer_store_dword v65, off, s[20:23], 0 offset:48 ; 4-byte Folded Spill
	s_nop 0
	buffer_store_dword v66, off, s[20:23], 0 offset:52 ; 4-byte Folded Spill
	buffer_store_dword v67, off, s[20:23], 0 offset:56 ; 4-byte Folded Spill
	;; [unrolled: 1-line block ×3, first 2 shown]
.LBB89_199:
	s_or_b64 exec, exec, s[2:3]
	v_cmp_eq_u32_e32 vcc, 22, v0
	s_waitcnt vmcnt(0)
	s_barrier
	s_and_saveexec_b64 s[4:5], vcc
	s_cbranch_execz .LBB89_206
; %bb.200:
	ds_write2_b64 v127, v[113:114], v[115:116] offset1:1
	buffer_load_dword v73, off, s[20:23], 0 offset:64 ; 4-byte Folded Reload
	buffer_load_dword v74, off, s[20:23], 0 offset:68 ; 4-byte Folded Reload
	;; [unrolled: 1-line block ×4, first 2 shown]
	s_waitcnt vmcnt(0)
	ds_write2_b64 v125, v[73:74], v[75:76] offset0:46 offset1:47
	ds_write2_b64 v125, v[93:94], v[95:96] offset0:48 offset1:49
	buffer_load_dword v73, off, s[20:23], 0 offset:32 ; 4-byte Folded Reload
	buffer_load_dword v74, off, s[20:23], 0 offset:36 ; 4-byte Folded Reload
	;; [unrolled: 1-line block ×4, first 2 shown]
	s_waitcnt vmcnt(0)
	ds_write2_b64 v125, v[73:74], v[75:76] offset0:50 offset1:51
	buffer_load_dword v69, off, s[20:23], 0 offset:16 ; 4-byte Folded Reload
	buffer_load_dword v70, off, s[20:23], 0 offset:20 ; 4-byte Folded Reload
	;; [unrolled: 1-line block ×4, first 2 shown]
	s_waitcnt vmcnt(0)
	ds_write2_b64 v125, v[69:70], v[71:72] offset0:52 offset1:53
	buffer_load_dword v65, off, s[20:23], 0 ; 4-byte Folded Reload
	buffer_load_dword v66, off, s[20:23], 0 offset:4 ; 4-byte Folded Reload
	buffer_load_dword v67, off, s[20:23], 0 offset:8 ; 4-byte Folded Reload
	;; [unrolled: 1-line block ×3, first 2 shown]
	s_waitcnt vmcnt(0)
	ds_write2_b64 v125, v[65:66], v[67:68] offset0:54 offset1:55
	ds_write2_b64 v125, v[61:62], v[63:64] offset0:56 offset1:57
	ds_write2_b64 v125, v[57:58], v[59:60] offset0:58 offset1:59
	ds_write2_b64 v125, v[53:54], v[55:56] offset0:60 offset1:61
	ds_write2_b64 v125, v[49:50], v[51:52] offset0:62 offset1:63
	ds_write2_b64 v125, v[45:46], v[47:48] offset0:64 offset1:65
	ds_write2_b64 v125, v[41:42], v[43:44] offset0:66 offset1:67
	ds_write2_b64 v125, v[37:38], v[39:40] offset0:68 offset1:69
	ds_write2_b64 v125, v[33:34], v[35:36] offset0:70 offset1:71
	ds_write2_b64 v125, v[29:30], v[31:32] offset0:72 offset1:73
	ds_write2_b64 v125, v[25:26], v[27:28] offset0:74 offset1:75
	ds_write2_b64 v125, v[21:22], v[23:24] offset0:76 offset1:77
	ds_write2_b64 v125, v[17:18], v[19:20] offset0:78 offset1:79
	ds_write2_b64 v125, v[13:14], v[15:16] offset0:80 offset1:81
	ds_write2_b64 v125, v[9:10], v[11:12] offset0:82 offset1:83
	ds_write2_b64 v125, v[5:6], v[7:8] offset0:84 offset1:85
	ds_write2_b64 v125, v[1:2], v[3:4] offset0:86 offset1:87
	buffer_load_dword v65, off, s[20:23], 0 offset:48 ; 4-byte Folded Reload
	buffer_load_dword v66, off, s[20:23], 0 offset:52 ; 4-byte Folded Reload
	;; [unrolled: 1-line block ×4, first 2 shown]
	s_waitcnt vmcnt(0)
	ds_write2_b64 v125, v[65:66], v[67:68] offset0:88 offset1:89
	ds_read2_b64 v[97:100], v127 offset1:1
	s_waitcnt lgkmcnt(0)
	v_cmp_neq_f64_e32 vcc, 0, v[97:98]
	v_cmp_neq_f64_e64 s[2:3], 0, v[99:100]
	s_or_b64 s[2:3], vcc, s[2:3]
	s_and_b64 exec, exec, s[2:3]
	s_cbranch_execz .LBB89_206
; %bb.201:
	v_cmp_ngt_f64_e64 s[2:3], |v[97:98]|, |v[99:100]|
                                        ; implicit-def: $vgpr101_vgpr102
	s_and_saveexec_b64 s[6:7], s[2:3]
	s_xor_b64 s[2:3], exec, s[6:7]
                                        ; implicit-def: $vgpr103_vgpr104
	s_cbranch_execz .LBB89_203
; %bb.202:
	v_div_scale_f64 v[101:102], s[6:7], v[99:100], v[99:100], v[97:98]
	v_rcp_f64_e32 v[103:104], v[101:102]
	v_fma_f64 v[105:106], -v[101:102], v[103:104], 1.0
	v_fma_f64 v[103:104], v[103:104], v[105:106], v[103:104]
	v_div_scale_f64 v[105:106], vcc, v[97:98], v[99:100], v[97:98]
	v_fma_f64 v[107:108], -v[101:102], v[103:104], 1.0
	v_fma_f64 v[103:104], v[103:104], v[107:108], v[103:104]
	v_mul_f64 v[107:108], v[105:106], v[103:104]
	v_fma_f64 v[101:102], -v[101:102], v[107:108], v[105:106]
	v_div_fmas_f64 v[101:102], v[101:102], v[103:104], v[107:108]
	v_div_fixup_f64 v[101:102], v[101:102], v[99:100], v[97:98]
	v_fma_f64 v[97:98], v[97:98], v[101:102], v[99:100]
	v_div_scale_f64 v[99:100], s[6:7], v[97:98], v[97:98], 1.0
	v_div_scale_f64 v[107:108], vcc, 1.0, v[97:98], 1.0
	v_rcp_f64_e32 v[103:104], v[99:100]
	v_fma_f64 v[105:106], -v[99:100], v[103:104], 1.0
	v_fma_f64 v[103:104], v[103:104], v[105:106], v[103:104]
	v_fma_f64 v[105:106], -v[99:100], v[103:104], 1.0
	v_fma_f64 v[103:104], v[103:104], v[105:106], v[103:104]
	v_mul_f64 v[105:106], v[107:108], v[103:104]
	v_fma_f64 v[99:100], -v[99:100], v[105:106], v[107:108]
	v_div_fmas_f64 v[99:100], v[99:100], v[103:104], v[105:106]
	v_div_fixup_f64 v[103:104], v[99:100], v[97:98], 1.0
                                        ; implicit-def: $vgpr97_vgpr98
	v_mul_f64 v[101:102], v[101:102], v[103:104]
	v_xor_b32_e32 v104, 0x80000000, v104
.LBB89_203:
	s_andn2_saveexec_b64 s[2:3], s[2:3]
	s_cbranch_execz .LBB89_205
; %bb.204:
	v_div_scale_f64 v[101:102], s[6:7], v[97:98], v[97:98], v[99:100]
	v_rcp_f64_e32 v[103:104], v[101:102]
	v_fma_f64 v[105:106], -v[101:102], v[103:104], 1.0
	v_fma_f64 v[103:104], v[103:104], v[105:106], v[103:104]
	v_div_scale_f64 v[105:106], vcc, v[99:100], v[97:98], v[99:100]
	v_fma_f64 v[107:108], -v[101:102], v[103:104], 1.0
	v_fma_f64 v[103:104], v[103:104], v[107:108], v[103:104]
	v_mul_f64 v[107:108], v[105:106], v[103:104]
	v_fma_f64 v[101:102], -v[101:102], v[107:108], v[105:106]
	v_div_fmas_f64 v[101:102], v[101:102], v[103:104], v[107:108]
	v_div_fixup_f64 v[103:104], v[101:102], v[97:98], v[99:100]
	v_fma_f64 v[97:98], v[99:100], v[103:104], v[97:98]
	v_div_scale_f64 v[99:100], s[6:7], v[97:98], v[97:98], 1.0
	v_div_scale_f64 v[107:108], vcc, 1.0, v[97:98], 1.0
	v_rcp_f64_e32 v[101:102], v[99:100]
	v_fma_f64 v[105:106], -v[99:100], v[101:102], 1.0
	v_fma_f64 v[101:102], v[101:102], v[105:106], v[101:102]
	v_fma_f64 v[105:106], -v[99:100], v[101:102], 1.0
	v_fma_f64 v[101:102], v[101:102], v[105:106], v[101:102]
	v_mul_f64 v[105:106], v[107:108], v[101:102]
	v_fma_f64 v[99:100], -v[99:100], v[105:106], v[107:108]
	v_div_fmas_f64 v[99:100], v[99:100], v[101:102], v[105:106]
	v_div_fixup_f64 v[101:102], v[99:100], v[97:98], 1.0
	v_mul_f64 v[103:104], v[103:104], -v[101:102]
.LBB89_205:
	s_or_b64 exec, exec, s[2:3]
	ds_write2_b64 v127, v[101:102], v[103:104] offset1:1
.LBB89_206:
	s_or_b64 exec, exec, s[4:5]
	s_waitcnt lgkmcnt(0)
	s_barrier
	ds_read2_b64 v[65:68], v127 offset1:1
	v_cmp_lt_u32_e32 vcc, 22, v0
	s_waitcnt lgkmcnt(0)
	buffer_store_dword v65, off, s[20:23], 0 offset:1072 ; 4-byte Folded Spill
	s_nop 0
	buffer_store_dword v66, off, s[20:23], 0 offset:1076 ; 4-byte Folded Spill
	buffer_store_dword v67, off, s[20:23], 0 offset:1080 ; 4-byte Folded Spill
	buffer_store_dword v68, off, s[20:23], 0 offset:1084 ; 4-byte Folded Spill
	s_and_saveexec_b64 s[2:3], vcc
	s_cbranch_execz .LBB89_208
; %bb.207:
	buffer_load_dword v65, off, s[20:23], 0 offset:1072 ; 4-byte Folded Reload
	buffer_load_dword v66, off, s[20:23], 0 offset:1076 ; 4-byte Folded Reload
	;; [unrolled: 1-line block ×4, first 2 shown]
	ds_read2_b64 v[99:102], v125 offset0:46 offset1:47
	buffer_load_dword v73, off, s[20:23], 0 offset:64 ; 4-byte Folded Reload
	buffer_load_dword v74, off, s[20:23], 0 offset:68 ; 4-byte Folded Reload
	buffer_load_dword v75, off, s[20:23], 0 offset:72 ; 4-byte Folded Reload
	buffer_load_dword v76, off, s[20:23], 0 offset:76 ; 4-byte Folded Reload
	v_mov_b32_e32 v90, v86
	v_mov_b32_e32 v89, v85
	v_mov_b32_e32 v85, v87
	v_mov_b32_e32 v86, v88
	s_waitcnt vmcnt(6)
	v_mul_f64 v[87:88], v[65:66], v[115:116]
	s_waitcnt vmcnt(4)
	v_mul_f64 v[97:98], v[67:68], v[115:116]
	v_fma_f64 v[115:116], v[67:68], v[113:114], v[87:88]
	v_mov_b32_e32 v88, v86
	v_fma_f64 v[97:98], v[65:66], v[113:114], -v[97:98]
	v_mov_b32_e32 v87, v85
	s_waitcnt lgkmcnt(0)
	v_mul_f64 v[85:86], v[101:102], v[115:116]
	v_mov_b32_e32 v114, v98
	v_mov_b32_e32 v113, v97
	v_fma_f64 v[85:86], v[99:100], v[97:98], -v[85:86]
	v_mul_f64 v[99:100], v[99:100], v[115:116]
	s_waitcnt vmcnt(2)
	v_add_f64 v[73:74], v[73:74], -v[85:86]
	v_fma_f64 v[99:100], v[101:102], v[97:98], v[99:100]
	s_waitcnt vmcnt(0)
	v_add_f64 v[75:76], v[75:76], -v[99:100]
	buffer_store_dword v73, off, s[20:23], 0 offset:64 ; 4-byte Folded Spill
	s_nop 0
	buffer_store_dword v74, off, s[20:23], 0 offset:68 ; 4-byte Folded Spill
	buffer_store_dword v75, off, s[20:23], 0 offset:72 ; 4-byte Folded Spill
	;; [unrolled: 1-line block ×3, first 2 shown]
	ds_read2_b64 v[99:102], v125 offset0:48 offset1:49
	s_waitcnt lgkmcnt(0)
	v_mul_f64 v[85:86], v[101:102], v[115:116]
	v_fma_f64 v[85:86], v[99:100], v[97:98], -v[85:86]
	v_mul_f64 v[99:100], v[99:100], v[115:116]
	v_add_f64 v[93:94], v[93:94], -v[85:86]
	v_fma_f64 v[99:100], v[101:102], v[97:98], v[99:100]
	v_add_f64 v[95:96], v[95:96], -v[99:100]
	ds_read2_b64 v[99:102], v125 offset0:50 offset1:51
	buffer_load_dword v73, off, s[20:23], 0 offset:32 ; 4-byte Folded Reload
	buffer_load_dword v74, off, s[20:23], 0 offset:36 ; 4-byte Folded Reload
	buffer_load_dword v75, off, s[20:23], 0 offset:40 ; 4-byte Folded Reload
	buffer_load_dword v76, off, s[20:23], 0 offset:44 ; 4-byte Folded Reload
	s_waitcnt lgkmcnt(0)
	v_mul_f64 v[85:86], v[101:102], v[115:116]
	v_fma_f64 v[85:86], v[99:100], v[97:98], -v[85:86]
	v_mul_f64 v[99:100], v[99:100], v[115:116]
	v_fma_f64 v[99:100], v[101:102], v[97:98], v[99:100]
	s_waitcnt vmcnt(2)
	v_add_f64 v[73:74], v[73:74], -v[85:86]
	s_waitcnt vmcnt(0)
	v_add_f64 v[75:76], v[75:76], -v[99:100]
	buffer_store_dword v73, off, s[20:23], 0 offset:32 ; 4-byte Folded Spill
	s_nop 0
	buffer_store_dword v74, off, s[20:23], 0 offset:36 ; 4-byte Folded Spill
	buffer_store_dword v75, off, s[20:23], 0 offset:40 ; 4-byte Folded Spill
	;; [unrolled: 1-line block ×3, first 2 shown]
	ds_read2_b64 v[99:102], v125 offset0:52 offset1:53
	buffer_load_dword v69, off, s[20:23], 0 offset:16 ; 4-byte Folded Reload
	buffer_load_dword v70, off, s[20:23], 0 offset:20 ; 4-byte Folded Reload
	;; [unrolled: 1-line block ×4, first 2 shown]
	s_waitcnt lgkmcnt(0)
	v_mul_f64 v[85:86], v[101:102], v[115:116]
	v_fma_f64 v[85:86], v[99:100], v[97:98], -v[85:86]
	v_mul_f64 v[99:100], v[99:100], v[115:116]
	v_fma_f64 v[99:100], v[101:102], v[97:98], v[99:100]
	s_waitcnt vmcnt(2)
	v_add_f64 v[69:70], v[69:70], -v[85:86]
	s_waitcnt vmcnt(0)
	v_add_f64 v[71:72], v[71:72], -v[99:100]
	buffer_store_dword v69, off, s[20:23], 0 offset:16 ; 4-byte Folded Spill
	s_nop 0
	buffer_store_dword v70, off, s[20:23], 0 offset:20 ; 4-byte Folded Spill
	buffer_store_dword v71, off, s[20:23], 0 offset:24 ; 4-byte Folded Spill
	;; [unrolled: 1-line block ×3, first 2 shown]
	ds_read2_b64 v[99:102], v125 offset0:54 offset1:55
	buffer_load_dword v65, off, s[20:23], 0 ; 4-byte Folded Reload
	buffer_load_dword v66, off, s[20:23], 0 offset:4 ; 4-byte Folded Reload
	buffer_load_dword v67, off, s[20:23], 0 offset:8 ; 4-byte Folded Reload
	;; [unrolled: 1-line block ×3, first 2 shown]
	s_waitcnt lgkmcnt(0)
	v_mul_f64 v[85:86], v[101:102], v[115:116]
	v_fma_f64 v[85:86], v[99:100], v[97:98], -v[85:86]
	v_mul_f64 v[99:100], v[99:100], v[115:116]
	v_fma_f64 v[99:100], v[101:102], v[97:98], v[99:100]
	s_waitcnt vmcnt(2)
	v_add_f64 v[65:66], v[65:66], -v[85:86]
	s_waitcnt vmcnt(0)
	v_add_f64 v[67:68], v[67:68], -v[99:100]
	buffer_store_dword v65, off, s[20:23], 0 ; 4-byte Folded Spill
	s_nop 0
	buffer_store_dword v66, off, s[20:23], 0 offset:4 ; 4-byte Folded Spill
	buffer_store_dword v67, off, s[20:23], 0 offset:8 ; 4-byte Folded Spill
	;; [unrolled: 1-line block ×3, first 2 shown]
	ds_read2_b64 v[99:102], v125 offset0:56 offset1:57
	s_waitcnt lgkmcnt(0)
	v_mul_f64 v[85:86], v[101:102], v[115:116]
	v_fma_f64 v[85:86], v[99:100], v[97:98], -v[85:86]
	v_mul_f64 v[99:100], v[99:100], v[115:116]
	v_add_f64 v[61:62], v[61:62], -v[85:86]
	v_fma_f64 v[99:100], v[101:102], v[97:98], v[99:100]
	v_add_f64 v[63:64], v[63:64], -v[99:100]
	ds_read2_b64 v[99:102], v125 offset0:58 offset1:59
	s_waitcnt lgkmcnt(0)
	v_mul_f64 v[85:86], v[101:102], v[115:116]
	v_fma_f64 v[85:86], v[99:100], v[97:98], -v[85:86]
	v_mul_f64 v[99:100], v[99:100], v[115:116]
	v_add_f64 v[57:58], v[57:58], -v[85:86]
	v_fma_f64 v[99:100], v[101:102], v[97:98], v[99:100]
	v_add_f64 v[59:60], v[59:60], -v[99:100]
	;; [unrolled: 8-line block ×16, first 2 shown]
	ds_read2_b64 v[99:102], v125 offset0:88 offset1:89
	buffer_load_dword v65, off, s[20:23], 0 offset:48 ; 4-byte Folded Reload
	buffer_load_dword v66, off, s[20:23], 0 offset:52 ; 4-byte Folded Reload
	;; [unrolled: 1-line block ×4, first 2 shown]
	s_waitcnt lgkmcnt(0)
	v_mul_f64 v[85:86], v[101:102], v[115:116]
	v_fma_f64 v[85:86], v[99:100], v[97:98], -v[85:86]
	v_mul_f64 v[99:100], v[99:100], v[115:116]
	v_fma_f64 v[99:100], v[101:102], v[97:98], v[99:100]
	s_waitcnt vmcnt(2)
	v_add_f64 v[65:66], v[65:66], -v[85:86]
	v_mov_b32_e32 v85, v89
	s_waitcnt vmcnt(0)
	v_add_f64 v[67:68], v[67:68], -v[99:100]
	v_mov_b32_e32 v86, v90
	buffer_store_dword v65, off, s[20:23], 0 offset:48 ; 4-byte Folded Spill
	s_nop 0
	buffer_store_dword v66, off, s[20:23], 0 offset:52 ; 4-byte Folded Spill
	buffer_store_dword v67, off, s[20:23], 0 offset:56 ; 4-byte Folded Spill
	;; [unrolled: 1-line block ×3, first 2 shown]
.LBB89_208:
	s_or_b64 exec, exec, s[2:3]
	v_cmp_eq_u32_e32 vcc, 23, v0
	s_waitcnt vmcnt(0)
	s_barrier
	s_and_saveexec_b64 s[4:5], vcc
	s_cbranch_execz .LBB89_215
; %bb.209:
	buffer_load_dword v73, off, s[20:23], 0 offset:64 ; 4-byte Folded Reload
	buffer_load_dword v74, off, s[20:23], 0 offset:68 ; 4-byte Folded Reload
	buffer_load_dword v75, off, s[20:23], 0 offset:72 ; 4-byte Folded Reload
	buffer_load_dword v76, off, s[20:23], 0 offset:76 ; 4-byte Folded Reload
	s_waitcnt vmcnt(0)
	ds_write2_b64 v127, v[73:74], v[75:76] offset1:1
	ds_write2_b64 v125, v[93:94], v[95:96] offset0:48 offset1:49
	buffer_load_dword v73, off, s[20:23], 0 offset:32 ; 4-byte Folded Reload
	buffer_load_dword v74, off, s[20:23], 0 offset:36 ; 4-byte Folded Reload
	;; [unrolled: 1-line block ×4, first 2 shown]
	s_waitcnt vmcnt(0)
	ds_write2_b64 v125, v[73:74], v[75:76] offset0:50 offset1:51
	buffer_load_dword v69, off, s[20:23], 0 offset:16 ; 4-byte Folded Reload
	buffer_load_dword v70, off, s[20:23], 0 offset:20 ; 4-byte Folded Reload
	;; [unrolled: 1-line block ×4, first 2 shown]
	s_waitcnt vmcnt(0)
	ds_write2_b64 v125, v[69:70], v[71:72] offset0:52 offset1:53
	buffer_load_dword v65, off, s[20:23], 0 ; 4-byte Folded Reload
	buffer_load_dword v66, off, s[20:23], 0 offset:4 ; 4-byte Folded Reload
	buffer_load_dword v67, off, s[20:23], 0 offset:8 ; 4-byte Folded Reload
	;; [unrolled: 1-line block ×3, first 2 shown]
	s_waitcnt vmcnt(0)
	ds_write2_b64 v125, v[65:66], v[67:68] offset0:54 offset1:55
	ds_write2_b64 v125, v[61:62], v[63:64] offset0:56 offset1:57
	;; [unrolled: 1-line block ×17, first 2 shown]
	buffer_load_dword v65, off, s[20:23], 0 offset:48 ; 4-byte Folded Reload
	buffer_load_dword v66, off, s[20:23], 0 offset:52 ; 4-byte Folded Reload
	;; [unrolled: 1-line block ×4, first 2 shown]
	s_waitcnt vmcnt(0)
	ds_write2_b64 v125, v[65:66], v[67:68] offset0:88 offset1:89
	ds_read2_b64 v[97:100], v127 offset1:1
	s_waitcnt lgkmcnt(0)
	v_cmp_neq_f64_e32 vcc, 0, v[97:98]
	v_cmp_neq_f64_e64 s[2:3], 0, v[99:100]
	s_or_b64 s[2:3], vcc, s[2:3]
	s_and_b64 exec, exec, s[2:3]
	s_cbranch_execz .LBB89_215
; %bb.210:
	v_cmp_ngt_f64_e64 s[2:3], |v[97:98]|, |v[99:100]|
                                        ; implicit-def: $vgpr101_vgpr102
	s_and_saveexec_b64 s[6:7], s[2:3]
	s_xor_b64 s[2:3], exec, s[6:7]
                                        ; implicit-def: $vgpr103_vgpr104
	s_cbranch_execz .LBB89_212
; %bb.211:
	v_div_scale_f64 v[101:102], s[6:7], v[99:100], v[99:100], v[97:98]
	v_rcp_f64_e32 v[103:104], v[101:102]
	v_fma_f64 v[105:106], -v[101:102], v[103:104], 1.0
	v_fma_f64 v[103:104], v[103:104], v[105:106], v[103:104]
	v_div_scale_f64 v[105:106], vcc, v[97:98], v[99:100], v[97:98]
	v_fma_f64 v[107:108], -v[101:102], v[103:104], 1.0
	v_fma_f64 v[103:104], v[103:104], v[107:108], v[103:104]
	v_mul_f64 v[107:108], v[105:106], v[103:104]
	v_fma_f64 v[101:102], -v[101:102], v[107:108], v[105:106]
	v_div_fmas_f64 v[101:102], v[101:102], v[103:104], v[107:108]
	v_div_fixup_f64 v[101:102], v[101:102], v[99:100], v[97:98]
	v_fma_f64 v[97:98], v[97:98], v[101:102], v[99:100]
	v_div_scale_f64 v[99:100], s[6:7], v[97:98], v[97:98], 1.0
	v_div_scale_f64 v[107:108], vcc, 1.0, v[97:98], 1.0
	v_rcp_f64_e32 v[103:104], v[99:100]
	v_fma_f64 v[105:106], -v[99:100], v[103:104], 1.0
	v_fma_f64 v[103:104], v[103:104], v[105:106], v[103:104]
	v_fma_f64 v[105:106], -v[99:100], v[103:104], 1.0
	v_fma_f64 v[103:104], v[103:104], v[105:106], v[103:104]
	v_mul_f64 v[105:106], v[107:108], v[103:104]
	v_fma_f64 v[99:100], -v[99:100], v[105:106], v[107:108]
	v_div_fmas_f64 v[99:100], v[99:100], v[103:104], v[105:106]
	v_div_fixup_f64 v[103:104], v[99:100], v[97:98], 1.0
                                        ; implicit-def: $vgpr97_vgpr98
	v_mul_f64 v[101:102], v[101:102], v[103:104]
	v_xor_b32_e32 v104, 0x80000000, v104
.LBB89_212:
	s_andn2_saveexec_b64 s[2:3], s[2:3]
	s_cbranch_execz .LBB89_214
; %bb.213:
	v_div_scale_f64 v[101:102], s[6:7], v[97:98], v[97:98], v[99:100]
	v_rcp_f64_e32 v[103:104], v[101:102]
	v_fma_f64 v[105:106], -v[101:102], v[103:104], 1.0
	v_fma_f64 v[103:104], v[103:104], v[105:106], v[103:104]
	v_div_scale_f64 v[105:106], vcc, v[99:100], v[97:98], v[99:100]
	v_fma_f64 v[107:108], -v[101:102], v[103:104], 1.0
	v_fma_f64 v[103:104], v[103:104], v[107:108], v[103:104]
	v_mul_f64 v[107:108], v[105:106], v[103:104]
	v_fma_f64 v[101:102], -v[101:102], v[107:108], v[105:106]
	v_div_fmas_f64 v[101:102], v[101:102], v[103:104], v[107:108]
	v_div_fixup_f64 v[103:104], v[101:102], v[97:98], v[99:100]
	v_fma_f64 v[97:98], v[99:100], v[103:104], v[97:98]
	v_div_scale_f64 v[99:100], s[6:7], v[97:98], v[97:98], 1.0
	v_div_scale_f64 v[107:108], vcc, 1.0, v[97:98], 1.0
	v_rcp_f64_e32 v[101:102], v[99:100]
	v_fma_f64 v[105:106], -v[99:100], v[101:102], 1.0
	v_fma_f64 v[101:102], v[101:102], v[105:106], v[101:102]
	v_fma_f64 v[105:106], -v[99:100], v[101:102], 1.0
	v_fma_f64 v[101:102], v[101:102], v[105:106], v[101:102]
	v_mul_f64 v[105:106], v[107:108], v[101:102]
	v_fma_f64 v[99:100], -v[99:100], v[105:106], v[107:108]
	v_div_fmas_f64 v[99:100], v[99:100], v[101:102], v[105:106]
	v_div_fixup_f64 v[101:102], v[99:100], v[97:98], 1.0
	v_mul_f64 v[103:104], v[103:104], -v[101:102]
.LBB89_214:
	s_or_b64 exec, exec, s[2:3]
	ds_write2_b64 v127, v[101:102], v[103:104] offset1:1
.LBB89_215:
	s_or_b64 exec, exec, s[4:5]
	s_waitcnt lgkmcnt(0)
	s_barrier
	ds_read2_b64 v[65:68], v127 offset1:1
	v_cmp_lt_u32_e32 vcc, 23, v0
	s_waitcnt lgkmcnt(0)
	buffer_store_dword v65, off, s[20:23], 0 offset:1088 ; 4-byte Folded Spill
	s_nop 0
	buffer_store_dword v66, off, s[20:23], 0 offset:1092 ; 4-byte Folded Spill
	buffer_store_dword v67, off, s[20:23], 0 offset:1096 ; 4-byte Folded Spill
	;; [unrolled: 1-line block ×3, first 2 shown]
	s_mov_b64 s[2:3], exec
	s_and_b64 s[4:5], s[2:3], vcc
	buffer_store_dword v79, off, s[20:23], 0 offset:368 ; 4-byte Folded Spill
	s_nop 0
	buffer_store_dword v80, off, s[20:23], 0 offset:372 ; 4-byte Folded Spill
	buffer_store_dword v81, off, s[20:23], 0 offset:376 ; 4-byte Folded Spill
	;; [unrolled: 1-line block ×3, first 2 shown]
	s_mov_b64 exec, s[4:5]
	s_cbranch_execz .LBB89_217
; %bb.216:
	buffer_load_dword v75, off, s[20:23], 0 offset:64 ; 4-byte Folded Reload
	buffer_load_dword v76, off, s[20:23], 0 offset:68 ; 4-byte Folded Reload
	;; [unrolled: 1-line block ×8, first 2 shown]
	v_mov_b32_e32 v90, v84
	v_mov_b32_e32 v89, v83
	ds_read2_b64 v[99:102], v125 offset0:48 offset1:49
	s_waitcnt vmcnt(2)
	v_mul_f64 v[83:84], v[65:66], v[77:78]
	s_waitcnt vmcnt(0)
	v_mul_f64 v[97:98], v[67:68], v[77:78]
	v_fma_f64 v[77:78], v[67:68], v[75:76], v[83:84]
	v_mov_b32_e32 v83, v89
	v_fma_f64 v[97:98], v[65:66], v[75:76], -v[97:98]
	v_mov_b32_e32 v84, v90
	s_waitcnt lgkmcnt(0)
	v_mul_f64 v[81:82], v[101:102], v[77:78]
	v_fma_f64 v[81:82], v[99:100], v[97:98], -v[81:82]
	v_mul_f64 v[99:100], v[99:100], v[77:78]
	v_add_f64 v[93:94], v[93:94], -v[81:82]
	v_fma_f64 v[99:100], v[101:102], v[97:98], v[99:100]
	v_add_f64 v[95:96], v[95:96], -v[99:100]
	ds_read2_b64 v[99:102], v125 offset0:50 offset1:51
	buffer_load_dword v73, off, s[20:23], 0 offset:32 ; 4-byte Folded Reload
	buffer_load_dword v74, off, s[20:23], 0 offset:36 ; 4-byte Folded Reload
	;; [unrolled: 1-line block ×4, first 2 shown]
	s_waitcnt lgkmcnt(0)
	v_mul_f64 v[81:82], v[101:102], v[77:78]
	v_fma_f64 v[81:82], v[99:100], v[97:98], -v[81:82]
	v_mul_f64 v[99:100], v[99:100], v[77:78]
	v_fma_f64 v[99:100], v[101:102], v[97:98], v[99:100]
	s_waitcnt vmcnt(2)
	v_add_f64 v[73:74], v[73:74], -v[81:82]
	s_waitcnt vmcnt(0)
	v_add_f64 v[75:76], v[75:76], -v[99:100]
	buffer_store_dword v73, off, s[20:23], 0 offset:32 ; 4-byte Folded Spill
	s_nop 0
	buffer_store_dword v74, off, s[20:23], 0 offset:36 ; 4-byte Folded Spill
	buffer_store_dword v75, off, s[20:23], 0 offset:40 ; 4-byte Folded Spill
	;; [unrolled: 1-line block ×3, first 2 shown]
	ds_read2_b64 v[99:102], v125 offset0:52 offset1:53
	buffer_load_dword v69, off, s[20:23], 0 offset:16 ; 4-byte Folded Reload
	buffer_load_dword v70, off, s[20:23], 0 offset:20 ; 4-byte Folded Reload
	;; [unrolled: 1-line block ×4, first 2 shown]
	v_mov_b32_e32 v75, v97
	v_mov_b32_e32 v76, v98
	s_waitcnt lgkmcnt(0)
	v_mul_f64 v[81:82], v[101:102], v[77:78]
	v_fma_f64 v[81:82], v[99:100], v[97:98], -v[81:82]
	v_mul_f64 v[99:100], v[99:100], v[77:78]
	v_fma_f64 v[99:100], v[101:102], v[97:98], v[99:100]
	s_waitcnt vmcnt(2)
	v_add_f64 v[69:70], v[69:70], -v[81:82]
	s_waitcnt vmcnt(0)
	v_add_f64 v[71:72], v[71:72], -v[99:100]
	buffer_store_dword v69, off, s[20:23], 0 offset:16 ; 4-byte Folded Spill
	s_nop 0
	buffer_store_dword v70, off, s[20:23], 0 offset:20 ; 4-byte Folded Spill
	buffer_store_dword v71, off, s[20:23], 0 offset:24 ; 4-byte Folded Spill
	;; [unrolled: 1-line block ×3, first 2 shown]
	ds_read2_b64 v[99:102], v125 offset0:54 offset1:55
	buffer_load_dword v65, off, s[20:23], 0 ; 4-byte Folded Reload
	buffer_load_dword v66, off, s[20:23], 0 offset:4 ; 4-byte Folded Reload
	buffer_load_dword v67, off, s[20:23], 0 offset:8 ; 4-byte Folded Reload
	;; [unrolled: 1-line block ×3, first 2 shown]
	s_waitcnt lgkmcnt(0)
	v_mul_f64 v[81:82], v[101:102], v[77:78]
	v_fma_f64 v[81:82], v[99:100], v[97:98], -v[81:82]
	v_mul_f64 v[99:100], v[99:100], v[77:78]
	v_fma_f64 v[99:100], v[101:102], v[97:98], v[99:100]
	s_waitcnt vmcnt(2)
	v_add_f64 v[65:66], v[65:66], -v[81:82]
	s_waitcnt vmcnt(0)
	v_add_f64 v[67:68], v[67:68], -v[99:100]
	buffer_store_dword v65, off, s[20:23], 0 ; 4-byte Folded Spill
	s_nop 0
	buffer_store_dword v66, off, s[20:23], 0 offset:4 ; 4-byte Folded Spill
	buffer_store_dword v67, off, s[20:23], 0 offset:8 ; 4-byte Folded Spill
	;; [unrolled: 1-line block ×3, first 2 shown]
	ds_read2_b64 v[99:102], v125 offset0:56 offset1:57
	s_waitcnt lgkmcnt(0)
	v_mul_f64 v[81:82], v[101:102], v[77:78]
	v_fma_f64 v[81:82], v[99:100], v[97:98], -v[81:82]
	v_mul_f64 v[99:100], v[99:100], v[77:78]
	v_add_f64 v[61:62], v[61:62], -v[81:82]
	v_fma_f64 v[99:100], v[101:102], v[97:98], v[99:100]
	v_add_f64 v[63:64], v[63:64], -v[99:100]
	ds_read2_b64 v[99:102], v125 offset0:58 offset1:59
	s_waitcnt lgkmcnt(0)
	v_mul_f64 v[81:82], v[101:102], v[77:78]
	v_fma_f64 v[81:82], v[99:100], v[97:98], -v[81:82]
	v_mul_f64 v[99:100], v[99:100], v[77:78]
	v_add_f64 v[57:58], v[57:58], -v[81:82]
	v_fma_f64 v[99:100], v[101:102], v[97:98], v[99:100]
	v_add_f64 v[59:60], v[59:60], -v[99:100]
	;; [unrolled: 8-line block ×16, first 2 shown]
	ds_read2_b64 v[99:102], v125 offset0:88 offset1:89
	buffer_load_dword v65, off, s[20:23], 0 offset:48 ; 4-byte Folded Reload
	buffer_load_dword v66, off, s[20:23], 0 offset:52 ; 4-byte Folded Reload
	;; [unrolled: 1-line block ×4, first 2 shown]
	s_waitcnt lgkmcnt(0)
	v_mul_f64 v[81:82], v[101:102], v[77:78]
	v_fma_f64 v[81:82], v[99:100], v[97:98], -v[81:82]
	v_mul_f64 v[99:100], v[99:100], v[77:78]
	v_fma_f64 v[99:100], v[101:102], v[97:98], v[99:100]
	s_waitcnt vmcnt(2)
	v_add_f64 v[65:66], v[65:66], -v[81:82]
	buffer_load_dword v79, off, s[20:23], 0 offset:368 ; 4-byte Folded Reload
	buffer_load_dword v80, off, s[20:23], 0 offset:372 ; 4-byte Folded Reload
	;; [unrolled: 1-line block ×4, first 2 shown]
	s_waitcnt vmcnt(4)
	v_add_f64 v[67:68], v[67:68], -v[99:100]
	buffer_store_dword v65, off, s[20:23], 0 offset:48 ; 4-byte Folded Spill
	s_nop 0
	buffer_store_dword v66, off, s[20:23], 0 offset:52 ; 4-byte Folded Spill
	buffer_store_dword v67, off, s[20:23], 0 offset:56 ; 4-byte Folded Spill
	;; [unrolled: 1-line block ×4, first 2 shown]
	s_nop 0
	buffer_store_dword v76, off, s[20:23], 0 offset:68 ; 4-byte Folded Spill
	buffer_store_dword v77, off, s[20:23], 0 offset:72 ; 4-byte Folded Spill
	;; [unrolled: 1-line block ×3, first 2 shown]
.LBB89_217:
	s_or_b64 exec, exec, s[2:3]
	v_cmp_eq_u32_e32 vcc, 24, v0
	s_waitcnt vmcnt(0)
	s_barrier
	s_and_saveexec_b64 s[4:5], vcc
	s_cbranch_execz .LBB89_224
; %bb.218:
	ds_write2_b64 v127, v[93:94], v[95:96] offset1:1
	buffer_load_dword v73, off, s[20:23], 0 offset:32 ; 4-byte Folded Reload
	buffer_load_dword v74, off, s[20:23], 0 offset:36 ; 4-byte Folded Reload
	buffer_load_dword v75, off, s[20:23], 0 offset:40 ; 4-byte Folded Reload
	buffer_load_dword v76, off, s[20:23], 0 offset:44 ; 4-byte Folded Reload
	s_waitcnt vmcnt(0)
	ds_write2_b64 v125, v[73:74], v[75:76] offset0:50 offset1:51
	buffer_load_dword v69, off, s[20:23], 0 offset:16 ; 4-byte Folded Reload
	buffer_load_dword v70, off, s[20:23], 0 offset:20 ; 4-byte Folded Reload
	;; [unrolled: 1-line block ×4, first 2 shown]
	s_waitcnt vmcnt(0)
	ds_write2_b64 v125, v[69:70], v[71:72] offset0:52 offset1:53
	buffer_load_dword v65, off, s[20:23], 0 ; 4-byte Folded Reload
	buffer_load_dword v66, off, s[20:23], 0 offset:4 ; 4-byte Folded Reload
	buffer_load_dword v67, off, s[20:23], 0 offset:8 ; 4-byte Folded Reload
	;; [unrolled: 1-line block ×3, first 2 shown]
	s_waitcnt vmcnt(0)
	ds_write2_b64 v125, v[65:66], v[67:68] offset0:54 offset1:55
	ds_write2_b64 v125, v[61:62], v[63:64] offset0:56 offset1:57
	;; [unrolled: 1-line block ×17, first 2 shown]
	buffer_load_dword v65, off, s[20:23], 0 offset:48 ; 4-byte Folded Reload
	buffer_load_dword v66, off, s[20:23], 0 offset:52 ; 4-byte Folded Reload
	;; [unrolled: 1-line block ×4, first 2 shown]
	s_waitcnt vmcnt(0)
	ds_write2_b64 v125, v[65:66], v[67:68] offset0:88 offset1:89
	ds_read2_b64 v[97:100], v127 offset1:1
	s_waitcnt lgkmcnt(0)
	v_cmp_neq_f64_e32 vcc, 0, v[97:98]
	v_cmp_neq_f64_e64 s[2:3], 0, v[99:100]
	s_or_b64 s[2:3], vcc, s[2:3]
	s_and_b64 exec, exec, s[2:3]
	s_cbranch_execz .LBB89_224
; %bb.219:
	v_cmp_ngt_f64_e64 s[2:3], |v[97:98]|, |v[99:100]|
                                        ; implicit-def: $vgpr101_vgpr102
	s_and_saveexec_b64 s[6:7], s[2:3]
	s_xor_b64 s[2:3], exec, s[6:7]
                                        ; implicit-def: $vgpr103_vgpr104
	s_cbranch_execz .LBB89_221
; %bb.220:
	v_div_scale_f64 v[101:102], s[6:7], v[99:100], v[99:100], v[97:98]
	v_rcp_f64_e32 v[103:104], v[101:102]
	v_fma_f64 v[105:106], -v[101:102], v[103:104], 1.0
	v_fma_f64 v[103:104], v[103:104], v[105:106], v[103:104]
	v_div_scale_f64 v[105:106], vcc, v[97:98], v[99:100], v[97:98]
	v_fma_f64 v[107:108], -v[101:102], v[103:104], 1.0
	v_fma_f64 v[103:104], v[103:104], v[107:108], v[103:104]
	v_mul_f64 v[107:108], v[105:106], v[103:104]
	v_fma_f64 v[101:102], -v[101:102], v[107:108], v[105:106]
	v_div_fmas_f64 v[101:102], v[101:102], v[103:104], v[107:108]
	v_div_fixup_f64 v[101:102], v[101:102], v[99:100], v[97:98]
	v_fma_f64 v[97:98], v[97:98], v[101:102], v[99:100]
	v_div_scale_f64 v[99:100], s[6:7], v[97:98], v[97:98], 1.0
	v_div_scale_f64 v[107:108], vcc, 1.0, v[97:98], 1.0
	v_rcp_f64_e32 v[103:104], v[99:100]
	v_fma_f64 v[105:106], -v[99:100], v[103:104], 1.0
	v_fma_f64 v[103:104], v[103:104], v[105:106], v[103:104]
	v_fma_f64 v[105:106], -v[99:100], v[103:104], 1.0
	v_fma_f64 v[103:104], v[103:104], v[105:106], v[103:104]
	v_mul_f64 v[105:106], v[107:108], v[103:104]
	v_fma_f64 v[99:100], -v[99:100], v[105:106], v[107:108]
	v_div_fmas_f64 v[99:100], v[99:100], v[103:104], v[105:106]
	v_div_fixup_f64 v[103:104], v[99:100], v[97:98], 1.0
                                        ; implicit-def: $vgpr97_vgpr98
	v_mul_f64 v[101:102], v[101:102], v[103:104]
	v_xor_b32_e32 v104, 0x80000000, v104
.LBB89_221:
	s_andn2_saveexec_b64 s[2:3], s[2:3]
	s_cbranch_execz .LBB89_223
; %bb.222:
	v_div_scale_f64 v[101:102], s[6:7], v[97:98], v[97:98], v[99:100]
	v_rcp_f64_e32 v[103:104], v[101:102]
	v_fma_f64 v[105:106], -v[101:102], v[103:104], 1.0
	v_fma_f64 v[103:104], v[103:104], v[105:106], v[103:104]
	v_div_scale_f64 v[105:106], vcc, v[99:100], v[97:98], v[99:100]
	v_fma_f64 v[107:108], -v[101:102], v[103:104], 1.0
	v_fma_f64 v[103:104], v[103:104], v[107:108], v[103:104]
	v_mul_f64 v[107:108], v[105:106], v[103:104]
	v_fma_f64 v[101:102], -v[101:102], v[107:108], v[105:106]
	v_div_fmas_f64 v[101:102], v[101:102], v[103:104], v[107:108]
	v_div_fixup_f64 v[103:104], v[101:102], v[97:98], v[99:100]
	v_fma_f64 v[97:98], v[99:100], v[103:104], v[97:98]
	v_div_scale_f64 v[99:100], s[6:7], v[97:98], v[97:98], 1.0
	v_div_scale_f64 v[107:108], vcc, 1.0, v[97:98], 1.0
	v_rcp_f64_e32 v[101:102], v[99:100]
	v_fma_f64 v[105:106], -v[99:100], v[101:102], 1.0
	v_fma_f64 v[101:102], v[101:102], v[105:106], v[101:102]
	v_fma_f64 v[105:106], -v[99:100], v[101:102], 1.0
	v_fma_f64 v[101:102], v[101:102], v[105:106], v[101:102]
	v_mul_f64 v[105:106], v[107:108], v[101:102]
	v_fma_f64 v[99:100], -v[99:100], v[105:106], v[107:108]
	v_div_fmas_f64 v[99:100], v[99:100], v[101:102], v[105:106]
	v_div_fixup_f64 v[101:102], v[99:100], v[97:98], 1.0
	v_mul_f64 v[103:104], v[103:104], -v[101:102]
.LBB89_223:
	s_or_b64 exec, exec, s[2:3]
	ds_write2_b64 v127, v[101:102], v[103:104] offset1:1
.LBB89_224:
	s_or_b64 exec, exec, s[4:5]
	s_waitcnt lgkmcnt(0)
	s_barrier
	ds_read2_b64 v[65:68], v127 offset1:1
	v_cmp_lt_u32_e32 vcc, 24, v0
	s_waitcnt lgkmcnt(0)
	buffer_store_dword v65, off, s[20:23], 0 offset:1104 ; 4-byte Folded Spill
	s_nop 0
	buffer_store_dword v66, off, s[20:23], 0 offset:1108 ; 4-byte Folded Spill
	buffer_store_dword v67, off, s[20:23], 0 offset:1112 ; 4-byte Folded Spill
	;; [unrolled: 1-line block ×3, first 2 shown]
	s_and_saveexec_b64 s[2:3], vcc
	s_cbranch_execz .LBB89_226
; %bb.225:
	buffer_load_dword v65, off, s[20:23], 0 offset:1104 ; 4-byte Folded Reload
	buffer_load_dword v66, off, s[20:23], 0 offset:1108 ; 4-byte Folded Reload
	;; [unrolled: 1-line block ×4, first 2 shown]
	s_waitcnt vmcnt(2)
	v_mul_f64 v[79:80], v[65:66], v[95:96]
	s_waitcnt vmcnt(0)
	v_mul_f64 v[97:98], v[67:68], v[95:96]
	v_fma_f64 v[95:96], v[67:68], v[93:94], v[79:80]
	buffer_load_dword v79, off, s[20:23], 0 offset:368 ; 4-byte Folded Reload
	buffer_load_dword v80, off, s[20:23], 0 offset:372 ; 4-byte Folded Reload
	;; [unrolled: 1-line block ×4, first 2 shown]
	ds_read2_b64 v[99:102], v125 offset0:50 offset1:51
	v_fma_f64 v[97:98], v[65:66], v[93:94], -v[97:98]
	s_waitcnt lgkmcnt(0)
	v_mul_f64 v[77:78], v[101:102], v[95:96]
	v_mov_b32_e32 v93, v97
	v_mov_b32_e32 v94, v98
	v_fma_f64 v[77:78], v[99:100], v[97:98], -v[77:78]
	v_mul_f64 v[99:100], v[99:100], v[95:96]
	v_fma_f64 v[99:100], v[101:102], v[97:98], v[99:100]
	buffer_load_dword v101, off, s[20:23], 0 offset:32 ; 4-byte Folded Reload
	buffer_load_dword v102, off, s[20:23], 0 offset:36 ; 4-byte Folded Reload
	;; [unrolled: 1-line block ×4, first 2 shown]
	s_waitcnt vmcnt(2)
	v_add_f64 v[101:102], v[101:102], -v[77:78]
	s_waitcnt vmcnt(0)
	v_add_f64 v[103:104], v[103:104], -v[99:100]
	buffer_store_dword v101, off, s[20:23], 0 offset:32 ; 4-byte Folded Spill
	s_nop 0
	buffer_store_dword v102, off, s[20:23], 0 offset:36 ; 4-byte Folded Spill
	buffer_store_dword v103, off, s[20:23], 0 offset:40 ; 4-byte Folded Spill
	;; [unrolled: 1-line block ×3, first 2 shown]
	ds_read2_b64 v[99:102], v125 offset0:52 offset1:53
	buffer_load_dword v69, off, s[20:23], 0 offset:16 ; 4-byte Folded Reload
	buffer_load_dword v70, off, s[20:23], 0 offset:20 ; 4-byte Folded Reload
	;; [unrolled: 1-line block ×4, first 2 shown]
	s_waitcnt lgkmcnt(0)
	v_mul_f64 v[77:78], v[101:102], v[95:96]
	v_fma_f64 v[77:78], v[99:100], v[97:98], -v[77:78]
	v_mul_f64 v[99:100], v[99:100], v[95:96]
	v_fma_f64 v[99:100], v[101:102], v[97:98], v[99:100]
	s_waitcnt vmcnt(2)
	v_add_f64 v[69:70], v[69:70], -v[77:78]
	s_waitcnt vmcnt(0)
	v_add_f64 v[71:72], v[71:72], -v[99:100]
	buffer_store_dword v69, off, s[20:23], 0 offset:16 ; 4-byte Folded Spill
	s_nop 0
	buffer_store_dword v70, off, s[20:23], 0 offset:20 ; 4-byte Folded Spill
	buffer_store_dword v71, off, s[20:23], 0 offset:24 ; 4-byte Folded Spill
	;; [unrolled: 1-line block ×3, first 2 shown]
	ds_read2_b64 v[99:102], v125 offset0:54 offset1:55
	buffer_load_dword v65, off, s[20:23], 0 ; 4-byte Folded Reload
	buffer_load_dword v66, off, s[20:23], 0 offset:4 ; 4-byte Folded Reload
	buffer_load_dword v67, off, s[20:23], 0 offset:8 ; 4-byte Folded Reload
	;; [unrolled: 1-line block ×3, first 2 shown]
	s_waitcnt lgkmcnt(0)
	v_mul_f64 v[77:78], v[101:102], v[95:96]
	v_fma_f64 v[77:78], v[99:100], v[97:98], -v[77:78]
	v_mul_f64 v[99:100], v[99:100], v[95:96]
	v_fma_f64 v[99:100], v[101:102], v[97:98], v[99:100]
	s_waitcnt vmcnt(2)
	v_add_f64 v[65:66], v[65:66], -v[77:78]
	s_waitcnt vmcnt(0)
	v_add_f64 v[67:68], v[67:68], -v[99:100]
	buffer_store_dword v65, off, s[20:23], 0 ; 4-byte Folded Spill
	s_nop 0
	buffer_store_dword v66, off, s[20:23], 0 offset:4 ; 4-byte Folded Spill
	buffer_store_dword v67, off, s[20:23], 0 offset:8 ; 4-byte Folded Spill
	;; [unrolled: 1-line block ×3, first 2 shown]
	ds_read2_b64 v[99:102], v125 offset0:56 offset1:57
	s_waitcnt lgkmcnt(0)
	v_mul_f64 v[77:78], v[101:102], v[95:96]
	v_fma_f64 v[77:78], v[99:100], v[97:98], -v[77:78]
	v_mul_f64 v[99:100], v[99:100], v[95:96]
	v_add_f64 v[61:62], v[61:62], -v[77:78]
	v_fma_f64 v[99:100], v[101:102], v[97:98], v[99:100]
	v_add_f64 v[63:64], v[63:64], -v[99:100]
	ds_read2_b64 v[99:102], v125 offset0:58 offset1:59
	s_waitcnt lgkmcnt(0)
	v_mul_f64 v[77:78], v[101:102], v[95:96]
	v_fma_f64 v[77:78], v[99:100], v[97:98], -v[77:78]
	v_mul_f64 v[99:100], v[99:100], v[95:96]
	v_add_f64 v[57:58], v[57:58], -v[77:78]
	v_fma_f64 v[99:100], v[101:102], v[97:98], v[99:100]
	v_add_f64 v[59:60], v[59:60], -v[99:100]
	;; [unrolled: 8-line block ×16, first 2 shown]
	ds_read2_b64 v[99:102], v125 offset0:88 offset1:89
	buffer_load_dword v65, off, s[20:23], 0 offset:48 ; 4-byte Folded Reload
	buffer_load_dword v66, off, s[20:23], 0 offset:52 ; 4-byte Folded Reload
	;; [unrolled: 1-line block ×4, first 2 shown]
	s_waitcnt lgkmcnt(0)
	v_mul_f64 v[77:78], v[101:102], v[95:96]
	v_fma_f64 v[77:78], v[99:100], v[97:98], -v[77:78]
	v_mul_f64 v[99:100], v[99:100], v[95:96]
	v_fma_f64 v[99:100], v[101:102], v[97:98], v[99:100]
	s_waitcnt vmcnt(2)
	v_add_f64 v[65:66], v[65:66], -v[77:78]
	s_waitcnt vmcnt(0)
	v_add_f64 v[67:68], v[67:68], -v[99:100]
	buffer_store_dword v65, off, s[20:23], 0 offset:48 ; 4-byte Folded Spill
	s_nop 0
	buffer_store_dword v66, off, s[20:23], 0 offset:52 ; 4-byte Folded Spill
	buffer_store_dword v67, off, s[20:23], 0 offset:56 ; 4-byte Folded Spill
	;; [unrolled: 1-line block ×3, first 2 shown]
.LBB89_226:
	s_or_b64 exec, exec, s[2:3]
	v_cmp_eq_u32_e32 vcc, 25, v0
	s_waitcnt vmcnt(0)
	s_barrier
	s_and_saveexec_b64 s[4:5], vcc
	s_cbranch_execz .LBB89_233
; %bb.227:
	buffer_load_dword v73, off, s[20:23], 0 offset:32 ; 4-byte Folded Reload
	buffer_load_dword v74, off, s[20:23], 0 offset:36 ; 4-byte Folded Reload
	;; [unrolled: 1-line block ×4, first 2 shown]
	s_waitcnt vmcnt(0)
	ds_write2_b64 v127, v[73:74], v[75:76] offset1:1
	buffer_load_dword v69, off, s[20:23], 0 offset:16 ; 4-byte Folded Reload
	buffer_load_dword v70, off, s[20:23], 0 offset:20 ; 4-byte Folded Reload
	;; [unrolled: 1-line block ×4, first 2 shown]
	s_waitcnt vmcnt(0)
	ds_write2_b64 v125, v[69:70], v[71:72] offset0:52 offset1:53
	buffer_load_dword v65, off, s[20:23], 0 ; 4-byte Folded Reload
	buffer_load_dword v66, off, s[20:23], 0 offset:4 ; 4-byte Folded Reload
	buffer_load_dword v67, off, s[20:23], 0 offset:8 ; 4-byte Folded Reload
	;; [unrolled: 1-line block ×3, first 2 shown]
	s_waitcnt vmcnt(0)
	ds_write2_b64 v125, v[65:66], v[67:68] offset0:54 offset1:55
	ds_write2_b64 v125, v[61:62], v[63:64] offset0:56 offset1:57
	ds_write2_b64 v125, v[57:58], v[59:60] offset0:58 offset1:59
	ds_write2_b64 v125, v[53:54], v[55:56] offset0:60 offset1:61
	ds_write2_b64 v125, v[49:50], v[51:52] offset0:62 offset1:63
	ds_write2_b64 v125, v[45:46], v[47:48] offset0:64 offset1:65
	ds_write2_b64 v125, v[41:42], v[43:44] offset0:66 offset1:67
	ds_write2_b64 v125, v[37:38], v[39:40] offset0:68 offset1:69
	ds_write2_b64 v125, v[33:34], v[35:36] offset0:70 offset1:71
	ds_write2_b64 v125, v[29:30], v[31:32] offset0:72 offset1:73
	ds_write2_b64 v125, v[25:26], v[27:28] offset0:74 offset1:75
	ds_write2_b64 v125, v[21:22], v[23:24] offset0:76 offset1:77
	ds_write2_b64 v125, v[17:18], v[19:20] offset0:78 offset1:79
	ds_write2_b64 v125, v[13:14], v[15:16] offset0:80 offset1:81
	ds_write2_b64 v125, v[9:10], v[11:12] offset0:82 offset1:83
	ds_write2_b64 v125, v[5:6], v[7:8] offset0:84 offset1:85
	ds_write2_b64 v125, v[1:2], v[3:4] offset0:86 offset1:87
	buffer_load_dword v65, off, s[20:23], 0 offset:48 ; 4-byte Folded Reload
	buffer_load_dword v66, off, s[20:23], 0 offset:52 ; 4-byte Folded Reload
	;; [unrolled: 1-line block ×4, first 2 shown]
	s_waitcnt vmcnt(0)
	ds_write2_b64 v125, v[65:66], v[67:68] offset0:88 offset1:89
	ds_read2_b64 v[97:100], v127 offset1:1
	s_waitcnt lgkmcnt(0)
	v_cmp_neq_f64_e32 vcc, 0, v[97:98]
	v_cmp_neq_f64_e64 s[2:3], 0, v[99:100]
	s_or_b64 s[2:3], vcc, s[2:3]
	s_and_b64 exec, exec, s[2:3]
	s_cbranch_execz .LBB89_233
; %bb.228:
	v_cmp_ngt_f64_e64 s[2:3], |v[97:98]|, |v[99:100]|
                                        ; implicit-def: $vgpr101_vgpr102
	s_and_saveexec_b64 s[6:7], s[2:3]
	s_xor_b64 s[2:3], exec, s[6:7]
                                        ; implicit-def: $vgpr103_vgpr104
	s_cbranch_execz .LBB89_230
; %bb.229:
	v_div_scale_f64 v[101:102], s[6:7], v[99:100], v[99:100], v[97:98]
	v_rcp_f64_e32 v[103:104], v[101:102]
	v_fma_f64 v[105:106], -v[101:102], v[103:104], 1.0
	v_fma_f64 v[103:104], v[103:104], v[105:106], v[103:104]
	v_div_scale_f64 v[105:106], vcc, v[97:98], v[99:100], v[97:98]
	v_fma_f64 v[107:108], -v[101:102], v[103:104], 1.0
	v_fma_f64 v[103:104], v[103:104], v[107:108], v[103:104]
	v_mul_f64 v[107:108], v[105:106], v[103:104]
	v_fma_f64 v[101:102], -v[101:102], v[107:108], v[105:106]
	v_div_fmas_f64 v[101:102], v[101:102], v[103:104], v[107:108]
	v_div_fixup_f64 v[101:102], v[101:102], v[99:100], v[97:98]
	v_fma_f64 v[97:98], v[97:98], v[101:102], v[99:100]
	v_div_scale_f64 v[99:100], s[6:7], v[97:98], v[97:98], 1.0
	v_div_scale_f64 v[107:108], vcc, 1.0, v[97:98], 1.0
	v_rcp_f64_e32 v[103:104], v[99:100]
	v_fma_f64 v[105:106], -v[99:100], v[103:104], 1.0
	v_fma_f64 v[103:104], v[103:104], v[105:106], v[103:104]
	v_fma_f64 v[105:106], -v[99:100], v[103:104], 1.0
	v_fma_f64 v[103:104], v[103:104], v[105:106], v[103:104]
	v_mul_f64 v[105:106], v[107:108], v[103:104]
	v_fma_f64 v[99:100], -v[99:100], v[105:106], v[107:108]
	v_div_fmas_f64 v[99:100], v[99:100], v[103:104], v[105:106]
	v_div_fixup_f64 v[103:104], v[99:100], v[97:98], 1.0
                                        ; implicit-def: $vgpr97_vgpr98
	v_mul_f64 v[101:102], v[101:102], v[103:104]
	v_xor_b32_e32 v104, 0x80000000, v104
.LBB89_230:
	s_andn2_saveexec_b64 s[2:3], s[2:3]
	s_cbranch_execz .LBB89_232
; %bb.231:
	v_div_scale_f64 v[101:102], s[6:7], v[97:98], v[97:98], v[99:100]
	v_rcp_f64_e32 v[103:104], v[101:102]
	v_fma_f64 v[105:106], -v[101:102], v[103:104], 1.0
	v_fma_f64 v[103:104], v[103:104], v[105:106], v[103:104]
	v_div_scale_f64 v[105:106], vcc, v[99:100], v[97:98], v[99:100]
	v_fma_f64 v[107:108], -v[101:102], v[103:104], 1.0
	v_fma_f64 v[103:104], v[103:104], v[107:108], v[103:104]
	v_mul_f64 v[107:108], v[105:106], v[103:104]
	v_fma_f64 v[101:102], -v[101:102], v[107:108], v[105:106]
	v_div_fmas_f64 v[101:102], v[101:102], v[103:104], v[107:108]
	v_div_fixup_f64 v[103:104], v[101:102], v[97:98], v[99:100]
	v_fma_f64 v[97:98], v[99:100], v[103:104], v[97:98]
	v_div_scale_f64 v[99:100], s[6:7], v[97:98], v[97:98], 1.0
	v_div_scale_f64 v[107:108], vcc, 1.0, v[97:98], 1.0
	v_rcp_f64_e32 v[101:102], v[99:100]
	v_fma_f64 v[105:106], -v[99:100], v[101:102], 1.0
	v_fma_f64 v[101:102], v[101:102], v[105:106], v[101:102]
	v_fma_f64 v[105:106], -v[99:100], v[101:102], 1.0
	v_fma_f64 v[101:102], v[101:102], v[105:106], v[101:102]
	v_mul_f64 v[105:106], v[107:108], v[101:102]
	v_fma_f64 v[99:100], -v[99:100], v[105:106], v[107:108]
	v_div_fmas_f64 v[99:100], v[99:100], v[101:102], v[105:106]
	v_div_fixup_f64 v[101:102], v[99:100], v[97:98], 1.0
	v_mul_f64 v[103:104], v[103:104], -v[101:102]
.LBB89_232:
	s_or_b64 exec, exec, s[2:3]
	ds_write2_b64 v127, v[101:102], v[103:104] offset1:1
.LBB89_233:
	s_or_b64 exec, exec, s[4:5]
	s_waitcnt lgkmcnt(0)
	s_barrier
	ds_read2_b64 v[65:68], v127 offset1:1
	v_cmp_lt_u32_e32 vcc, 25, v0
	s_waitcnt lgkmcnt(0)
	buffer_store_dword v65, off, s[20:23], 0 offset:1120 ; 4-byte Folded Spill
	s_nop 0
	buffer_store_dword v66, off, s[20:23], 0 offset:1124 ; 4-byte Folded Spill
	buffer_store_dword v67, off, s[20:23], 0 offset:1128 ; 4-byte Folded Spill
	buffer_store_dword v68, off, s[20:23], 0 offset:1132 ; 4-byte Folded Spill
	s_and_saveexec_b64 s[2:3], vcc
	s_cbranch_execz .LBB89_235
; %bb.234:
	buffer_load_dword v73, off, s[20:23], 0 offset:32 ; 4-byte Folded Reload
	buffer_load_dword v74, off, s[20:23], 0 offset:36 ; 4-byte Folded Reload
	;; [unrolled: 1-line block ×8, first 2 shown]
	ds_read2_b64 v[99:102], v125 offset0:52 offset1:53
	buffer_load_dword v69, off, s[20:23], 0 offset:16 ; 4-byte Folded Reload
	buffer_load_dword v70, off, s[20:23], 0 offset:20 ; 4-byte Folded Reload
	;; [unrolled: 1-line block ×4, first 2 shown]
	s_waitcnt vmcnt(4)
	v_mul_f64 v[97:98], v[67:68], v[75:76]
	v_mul_f64 v[75:76], v[65:66], v[75:76]
	v_fma_f64 v[97:98], v[65:66], v[73:74], -v[97:98]
	v_fma_f64 v[75:76], v[67:68], v[73:74], v[75:76]
	s_waitcnt lgkmcnt(0)
	v_mul_f64 v[73:74], v[101:102], v[75:76]
	v_fma_f64 v[73:74], v[99:100], v[97:98], -v[73:74]
	v_mul_f64 v[99:100], v[99:100], v[75:76]
	s_waitcnt vmcnt(2)
	v_add_f64 v[69:70], v[69:70], -v[73:74]
	v_fma_f64 v[99:100], v[101:102], v[97:98], v[99:100]
	s_waitcnt vmcnt(0)
	v_add_f64 v[71:72], v[71:72], -v[99:100]
	buffer_store_dword v69, off, s[20:23], 0 offset:16 ; 4-byte Folded Spill
	s_nop 0
	buffer_store_dword v70, off, s[20:23], 0 offset:20 ; 4-byte Folded Spill
	buffer_store_dword v71, off, s[20:23], 0 offset:24 ; 4-byte Folded Spill
	;; [unrolled: 1-line block ×3, first 2 shown]
	ds_read2_b64 v[99:102], v125 offset0:54 offset1:55
	buffer_load_dword v65, off, s[20:23], 0 ; 4-byte Folded Reload
	buffer_load_dword v66, off, s[20:23], 0 offset:4 ; 4-byte Folded Reload
	buffer_load_dword v67, off, s[20:23], 0 offset:8 ; 4-byte Folded Reload
	;; [unrolled: 1-line block ×3, first 2 shown]
	s_waitcnt lgkmcnt(0)
	v_mul_f64 v[73:74], v[101:102], v[75:76]
	v_fma_f64 v[73:74], v[99:100], v[97:98], -v[73:74]
	v_mul_f64 v[99:100], v[99:100], v[75:76]
	v_fma_f64 v[99:100], v[101:102], v[97:98], v[99:100]
	s_waitcnt vmcnt(2)
	v_add_f64 v[65:66], v[65:66], -v[73:74]
	s_waitcnt vmcnt(0)
	v_add_f64 v[67:68], v[67:68], -v[99:100]
	buffer_store_dword v65, off, s[20:23], 0 ; 4-byte Folded Spill
	s_nop 0
	buffer_store_dword v66, off, s[20:23], 0 offset:4 ; 4-byte Folded Spill
	buffer_store_dword v67, off, s[20:23], 0 offset:8 ; 4-byte Folded Spill
	;; [unrolled: 1-line block ×3, first 2 shown]
	ds_read2_b64 v[99:102], v125 offset0:56 offset1:57
	s_waitcnt lgkmcnt(0)
	v_mul_f64 v[73:74], v[101:102], v[75:76]
	v_fma_f64 v[73:74], v[99:100], v[97:98], -v[73:74]
	v_mul_f64 v[99:100], v[99:100], v[75:76]
	v_add_f64 v[61:62], v[61:62], -v[73:74]
	v_fma_f64 v[99:100], v[101:102], v[97:98], v[99:100]
	v_add_f64 v[63:64], v[63:64], -v[99:100]
	ds_read2_b64 v[99:102], v125 offset0:58 offset1:59
	s_waitcnt lgkmcnt(0)
	v_mul_f64 v[73:74], v[101:102], v[75:76]
	v_fma_f64 v[73:74], v[99:100], v[97:98], -v[73:74]
	v_mul_f64 v[99:100], v[99:100], v[75:76]
	v_add_f64 v[57:58], v[57:58], -v[73:74]
	v_fma_f64 v[99:100], v[101:102], v[97:98], v[99:100]
	v_add_f64 v[59:60], v[59:60], -v[99:100]
	;; [unrolled: 8-line block ×16, first 2 shown]
	ds_read2_b64 v[99:102], v125 offset0:88 offset1:89
	buffer_load_dword v65, off, s[20:23], 0 offset:48 ; 4-byte Folded Reload
	buffer_load_dword v66, off, s[20:23], 0 offset:52 ; 4-byte Folded Reload
	;; [unrolled: 1-line block ×4, first 2 shown]
	s_waitcnt lgkmcnt(0)
	v_mul_f64 v[73:74], v[101:102], v[75:76]
	v_fma_f64 v[73:74], v[99:100], v[97:98], -v[73:74]
	v_mul_f64 v[99:100], v[99:100], v[75:76]
	v_fma_f64 v[99:100], v[101:102], v[97:98], v[99:100]
	s_waitcnt vmcnt(2)
	v_add_f64 v[65:66], v[65:66], -v[73:74]
	v_mov_b32_e32 v73, v97
	s_waitcnt vmcnt(0)
	v_add_f64 v[67:68], v[67:68], -v[99:100]
	v_mov_b32_e32 v74, v98
	buffer_store_dword v65, off, s[20:23], 0 offset:48 ; 4-byte Folded Spill
	s_nop 0
	buffer_store_dword v66, off, s[20:23], 0 offset:52 ; 4-byte Folded Spill
	buffer_store_dword v67, off, s[20:23], 0 offset:56 ; 4-byte Folded Spill
	;; [unrolled: 1-line block ×4, first 2 shown]
	s_nop 0
	buffer_store_dword v74, off, s[20:23], 0 offset:36 ; 4-byte Folded Spill
	buffer_store_dword v75, off, s[20:23], 0 offset:40 ; 4-byte Folded Spill
	;; [unrolled: 1-line block ×3, first 2 shown]
.LBB89_235:
	s_or_b64 exec, exec, s[2:3]
	s_waitcnt vmcnt(0)
	s_barrier
	v_cmp_eq_u32_e32 vcc, 26, v0
	s_mov_b64 s[4:5], exec
	buffer_load_dword v75, off, s[20:23], 0 offset:48 ; 4-byte Folded Reload
	buffer_load_dword v76, off, s[20:23], 0 offset:52 ; 4-byte Folded Reload
	;; [unrolled: 1-line block ×4, first 2 shown]
	s_and_b64 s[2:3], s[4:5], vcc
	s_mov_b64 exec, s[2:3]
	s_cbranch_execz .LBB89_242
; %bb.236:
	buffer_load_dword v69, off, s[20:23], 0 offset:16 ; 4-byte Folded Reload
	buffer_load_dword v70, off, s[20:23], 0 offset:20 ; 4-byte Folded Reload
	;; [unrolled: 1-line block ×4, first 2 shown]
	s_waitcnt vmcnt(0)
	ds_write2_b64 v127, v[69:70], v[71:72] offset1:1
	buffer_load_dword v65, off, s[20:23], 0 ; 4-byte Folded Reload
	buffer_load_dword v66, off, s[20:23], 0 offset:4 ; 4-byte Folded Reload
	buffer_load_dword v67, off, s[20:23], 0 offset:8 ; 4-byte Folded Reload
	;; [unrolled: 1-line block ×3, first 2 shown]
	s_waitcnt vmcnt(0)
	ds_write2_b64 v125, v[65:66], v[67:68] offset0:54 offset1:55
	ds_write2_b64 v125, v[61:62], v[63:64] offset0:56 offset1:57
	;; [unrolled: 1-line block ×18, first 2 shown]
	ds_read2_b64 v[97:100], v127 offset1:1
	s_waitcnt lgkmcnt(0)
	v_cmp_neq_f64_e32 vcc, 0, v[97:98]
	v_cmp_neq_f64_e64 s[2:3], 0, v[99:100]
	s_or_b64 s[2:3], vcc, s[2:3]
	s_and_b64 exec, exec, s[2:3]
	s_cbranch_execz .LBB89_242
; %bb.237:
	v_cmp_ngt_f64_e64 s[2:3], |v[97:98]|, |v[99:100]|
                                        ; implicit-def: $vgpr101_vgpr102
	s_and_saveexec_b64 s[6:7], s[2:3]
	s_xor_b64 s[2:3], exec, s[6:7]
                                        ; implicit-def: $vgpr103_vgpr104
	s_cbranch_execz .LBB89_239
; %bb.238:
	v_div_scale_f64 v[101:102], s[6:7], v[99:100], v[99:100], v[97:98]
	v_rcp_f64_e32 v[103:104], v[101:102]
	v_fma_f64 v[105:106], -v[101:102], v[103:104], 1.0
	v_fma_f64 v[103:104], v[103:104], v[105:106], v[103:104]
	v_div_scale_f64 v[105:106], vcc, v[97:98], v[99:100], v[97:98]
	v_fma_f64 v[107:108], -v[101:102], v[103:104], 1.0
	v_fma_f64 v[103:104], v[103:104], v[107:108], v[103:104]
	v_mul_f64 v[107:108], v[105:106], v[103:104]
	v_fma_f64 v[101:102], -v[101:102], v[107:108], v[105:106]
	v_div_fmas_f64 v[101:102], v[101:102], v[103:104], v[107:108]
	v_div_fixup_f64 v[101:102], v[101:102], v[99:100], v[97:98]
	v_fma_f64 v[97:98], v[97:98], v[101:102], v[99:100]
	v_div_scale_f64 v[99:100], s[6:7], v[97:98], v[97:98], 1.0
	v_div_scale_f64 v[107:108], vcc, 1.0, v[97:98], 1.0
	v_rcp_f64_e32 v[103:104], v[99:100]
	v_fma_f64 v[105:106], -v[99:100], v[103:104], 1.0
	v_fma_f64 v[103:104], v[103:104], v[105:106], v[103:104]
	v_fma_f64 v[105:106], -v[99:100], v[103:104], 1.0
	v_fma_f64 v[103:104], v[103:104], v[105:106], v[103:104]
	v_mul_f64 v[105:106], v[107:108], v[103:104]
	v_fma_f64 v[99:100], -v[99:100], v[105:106], v[107:108]
	v_div_fmas_f64 v[99:100], v[99:100], v[103:104], v[105:106]
	v_div_fixup_f64 v[103:104], v[99:100], v[97:98], 1.0
                                        ; implicit-def: $vgpr97_vgpr98
	v_mul_f64 v[101:102], v[101:102], v[103:104]
	v_xor_b32_e32 v104, 0x80000000, v104
.LBB89_239:
	s_andn2_saveexec_b64 s[2:3], s[2:3]
	s_cbranch_execz .LBB89_241
; %bb.240:
	v_div_scale_f64 v[101:102], s[6:7], v[97:98], v[97:98], v[99:100]
	v_rcp_f64_e32 v[103:104], v[101:102]
	v_fma_f64 v[105:106], -v[101:102], v[103:104], 1.0
	v_fma_f64 v[103:104], v[103:104], v[105:106], v[103:104]
	v_div_scale_f64 v[105:106], vcc, v[99:100], v[97:98], v[99:100]
	v_fma_f64 v[107:108], -v[101:102], v[103:104], 1.0
	v_fma_f64 v[103:104], v[103:104], v[107:108], v[103:104]
	v_mul_f64 v[107:108], v[105:106], v[103:104]
	v_fma_f64 v[101:102], -v[101:102], v[107:108], v[105:106]
	v_div_fmas_f64 v[101:102], v[101:102], v[103:104], v[107:108]
	v_div_fixup_f64 v[103:104], v[101:102], v[97:98], v[99:100]
	v_fma_f64 v[97:98], v[99:100], v[103:104], v[97:98]
	v_div_scale_f64 v[99:100], s[6:7], v[97:98], v[97:98], 1.0
	v_div_scale_f64 v[107:108], vcc, 1.0, v[97:98], 1.0
	v_rcp_f64_e32 v[101:102], v[99:100]
	v_fma_f64 v[105:106], -v[99:100], v[101:102], 1.0
	v_fma_f64 v[101:102], v[101:102], v[105:106], v[101:102]
	v_fma_f64 v[105:106], -v[99:100], v[101:102], 1.0
	v_fma_f64 v[101:102], v[101:102], v[105:106], v[101:102]
	v_mul_f64 v[105:106], v[107:108], v[101:102]
	v_fma_f64 v[99:100], -v[99:100], v[105:106], v[107:108]
	v_div_fmas_f64 v[99:100], v[99:100], v[101:102], v[105:106]
	v_div_fixup_f64 v[101:102], v[99:100], v[97:98], 1.0
	v_mul_f64 v[103:104], v[103:104], -v[101:102]
.LBB89_241:
	s_or_b64 exec, exec, s[2:3]
	ds_write2_b64 v127, v[101:102], v[103:104] offset1:1
.LBB89_242:
	s_or_b64 exec, exec, s[4:5]
	s_waitcnt vmcnt(0) lgkmcnt(0)
	s_barrier
	ds_read2_b64 v[65:68], v127 offset1:1
	v_cmp_lt_u32_e32 vcc, 26, v0
	s_waitcnt lgkmcnt(0)
	buffer_store_dword v65, off, s[20:23], 0 offset:1136 ; 4-byte Folded Spill
	s_nop 0
	buffer_store_dword v66, off, s[20:23], 0 offset:1140 ; 4-byte Folded Spill
	buffer_store_dword v67, off, s[20:23], 0 offset:1144 ; 4-byte Folded Spill
	;; [unrolled: 1-line block ×3, first 2 shown]
	s_and_saveexec_b64 s[2:3], vcc
	s_cbranch_execz .LBB89_244
; %bb.243:
	buffer_load_dword v69, off, s[20:23], 0 offset:16 ; 4-byte Folded Reload
	buffer_load_dword v70, off, s[20:23], 0 offset:20 ; 4-byte Folded Reload
	buffer_load_dword v71, off, s[20:23], 0 offset:24 ; 4-byte Folded Reload
	buffer_load_dword v72, off, s[20:23], 0 offset:28 ; 4-byte Folded Reload
	buffer_load_dword v65, off, s[20:23], 0 offset:1136 ; 4-byte Folded Reload
	buffer_load_dword v66, off, s[20:23], 0 offset:1140 ; 4-byte Folded Reload
	buffer_load_dword v67, off, s[20:23], 0 offset:1144 ; 4-byte Folded Reload
	buffer_load_dword v68, off, s[20:23], 0 offset:1148 ; 4-byte Folded Reload
	ds_read2_b64 v[99:102], v125 offset0:54 offset1:55
	s_waitcnt vmcnt(0)
	v_mul_f64 v[97:98], v[67:68], v[71:72]
	v_mul_f64 v[71:72], v[65:66], v[71:72]
	v_fma_f64 v[97:98], v[65:66], v[69:70], -v[97:98]
	v_fma_f64 v[71:72], v[67:68], v[69:70], v[71:72]
	buffer_load_dword v65, off, s[20:23], 0 ; 4-byte Folded Reload
	buffer_load_dword v66, off, s[20:23], 0 offset:4 ; 4-byte Folded Reload
	buffer_load_dword v67, off, s[20:23], 0 offset:8 ; 4-byte Folded Reload
	;; [unrolled: 1-line block ×3, first 2 shown]
	s_waitcnt lgkmcnt(0)
	v_mul_f64 v[69:70], v[101:102], v[71:72]
	v_fma_f64 v[69:70], v[99:100], v[97:98], -v[69:70]
	v_mul_f64 v[99:100], v[99:100], v[71:72]
	v_fma_f64 v[99:100], v[101:102], v[97:98], v[99:100]
	s_waitcnt vmcnt(2)
	v_add_f64 v[65:66], v[65:66], -v[69:70]
	s_waitcnt vmcnt(0)
	v_add_f64 v[67:68], v[67:68], -v[99:100]
	buffer_store_dword v65, off, s[20:23], 0 ; 4-byte Folded Spill
	s_nop 0
	buffer_store_dword v66, off, s[20:23], 0 offset:4 ; 4-byte Folded Spill
	buffer_store_dword v67, off, s[20:23], 0 offset:8 ; 4-byte Folded Spill
	buffer_store_dword v68, off, s[20:23], 0 offset:12 ; 4-byte Folded Spill
	ds_read2_b64 v[99:102], v125 offset0:56 offset1:57
	s_waitcnt lgkmcnt(0)
	v_mul_f64 v[69:70], v[101:102], v[71:72]
	v_fma_f64 v[69:70], v[99:100], v[97:98], -v[69:70]
	v_mul_f64 v[99:100], v[99:100], v[71:72]
	v_add_f64 v[61:62], v[61:62], -v[69:70]
	v_fma_f64 v[99:100], v[101:102], v[97:98], v[99:100]
	v_add_f64 v[63:64], v[63:64], -v[99:100]
	ds_read2_b64 v[99:102], v125 offset0:58 offset1:59
	s_waitcnt lgkmcnt(0)
	v_mul_f64 v[69:70], v[101:102], v[71:72]
	v_fma_f64 v[69:70], v[99:100], v[97:98], -v[69:70]
	v_mul_f64 v[99:100], v[99:100], v[71:72]
	v_add_f64 v[57:58], v[57:58], -v[69:70]
	v_fma_f64 v[99:100], v[101:102], v[97:98], v[99:100]
	v_add_f64 v[59:60], v[59:60], -v[99:100]
	;; [unrolled: 8-line block ×16, first 2 shown]
	ds_read2_b64 v[99:102], v125 offset0:88 offset1:89
	s_waitcnt lgkmcnt(0)
	v_mul_f64 v[69:70], v[101:102], v[71:72]
	v_fma_f64 v[69:70], v[99:100], v[97:98], -v[69:70]
	v_mul_f64 v[99:100], v[99:100], v[71:72]
	v_add_f64 v[75:76], v[75:76], -v[69:70]
	v_fma_f64 v[99:100], v[101:102], v[97:98], v[99:100]
	v_mov_b32_e32 v69, v97
	v_mov_b32_e32 v70, v98
	buffer_store_dword v69, off, s[20:23], 0 offset:16 ; 4-byte Folded Spill
	s_nop 0
	buffer_store_dword v70, off, s[20:23], 0 offset:20 ; 4-byte Folded Spill
	buffer_store_dword v71, off, s[20:23], 0 offset:24 ; 4-byte Folded Spill
	;; [unrolled: 1-line block ×3, first 2 shown]
	v_add_f64 v[77:78], v[77:78], -v[99:100]
.LBB89_244:
	s_or_b64 exec, exec, s[2:3]
	v_cmp_eq_u32_e32 vcc, 27, v0
	s_waitcnt vmcnt(0)
	s_barrier
	s_and_saveexec_b64 s[4:5], vcc
	s_cbranch_execz .LBB89_251
; %bb.245:
	buffer_load_dword v65, off, s[20:23], 0 ; 4-byte Folded Reload
	buffer_load_dword v66, off, s[20:23], 0 offset:4 ; 4-byte Folded Reload
	buffer_load_dword v67, off, s[20:23], 0 offset:8 ; 4-byte Folded Reload
	;; [unrolled: 1-line block ×3, first 2 shown]
	s_waitcnt vmcnt(0)
	ds_write2_b64 v127, v[65:66], v[67:68] offset1:1
	ds_write2_b64 v125, v[61:62], v[63:64] offset0:56 offset1:57
	ds_write2_b64 v125, v[57:58], v[59:60] offset0:58 offset1:59
	ds_write2_b64 v125, v[53:54], v[55:56] offset0:60 offset1:61
	ds_write2_b64 v125, v[49:50], v[51:52] offset0:62 offset1:63
	ds_write2_b64 v125, v[45:46], v[47:48] offset0:64 offset1:65
	ds_write2_b64 v125, v[41:42], v[43:44] offset0:66 offset1:67
	ds_write2_b64 v125, v[37:38], v[39:40] offset0:68 offset1:69
	ds_write2_b64 v125, v[33:34], v[35:36] offset0:70 offset1:71
	ds_write2_b64 v125, v[29:30], v[31:32] offset0:72 offset1:73
	ds_write2_b64 v125, v[25:26], v[27:28] offset0:74 offset1:75
	ds_write2_b64 v125, v[21:22], v[23:24] offset0:76 offset1:77
	ds_write2_b64 v125, v[17:18], v[19:20] offset0:78 offset1:79
	ds_write2_b64 v125, v[13:14], v[15:16] offset0:80 offset1:81
	ds_write2_b64 v125, v[9:10], v[11:12] offset0:82 offset1:83
	ds_write2_b64 v125, v[5:6], v[7:8] offset0:84 offset1:85
	ds_write2_b64 v125, v[1:2], v[3:4] offset0:86 offset1:87
	ds_write2_b64 v125, v[75:76], v[77:78] offset0:88 offset1:89
	ds_read2_b64 v[97:100], v127 offset1:1
	s_waitcnt lgkmcnt(0)
	v_cmp_neq_f64_e32 vcc, 0, v[97:98]
	v_cmp_neq_f64_e64 s[2:3], 0, v[99:100]
	s_or_b64 s[2:3], vcc, s[2:3]
	s_and_b64 exec, exec, s[2:3]
	s_cbranch_execz .LBB89_251
; %bb.246:
	v_cmp_ngt_f64_e64 s[2:3], |v[97:98]|, |v[99:100]|
                                        ; implicit-def: $vgpr101_vgpr102
	s_and_saveexec_b64 s[6:7], s[2:3]
	s_xor_b64 s[2:3], exec, s[6:7]
                                        ; implicit-def: $vgpr103_vgpr104
	s_cbranch_execz .LBB89_248
; %bb.247:
	v_div_scale_f64 v[101:102], s[6:7], v[99:100], v[99:100], v[97:98]
	v_rcp_f64_e32 v[103:104], v[101:102]
	v_fma_f64 v[105:106], -v[101:102], v[103:104], 1.0
	v_fma_f64 v[103:104], v[103:104], v[105:106], v[103:104]
	v_div_scale_f64 v[105:106], vcc, v[97:98], v[99:100], v[97:98]
	v_fma_f64 v[107:108], -v[101:102], v[103:104], 1.0
	v_fma_f64 v[103:104], v[103:104], v[107:108], v[103:104]
	v_mul_f64 v[107:108], v[105:106], v[103:104]
	v_fma_f64 v[101:102], -v[101:102], v[107:108], v[105:106]
	v_div_fmas_f64 v[101:102], v[101:102], v[103:104], v[107:108]
	v_div_fixup_f64 v[101:102], v[101:102], v[99:100], v[97:98]
	v_fma_f64 v[97:98], v[97:98], v[101:102], v[99:100]
	v_div_scale_f64 v[99:100], s[6:7], v[97:98], v[97:98], 1.0
	v_div_scale_f64 v[107:108], vcc, 1.0, v[97:98], 1.0
	v_rcp_f64_e32 v[103:104], v[99:100]
	v_fma_f64 v[105:106], -v[99:100], v[103:104], 1.0
	v_fma_f64 v[103:104], v[103:104], v[105:106], v[103:104]
	v_fma_f64 v[105:106], -v[99:100], v[103:104], 1.0
	v_fma_f64 v[103:104], v[103:104], v[105:106], v[103:104]
	v_mul_f64 v[105:106], v[107:108], v[103:104]
	v_fma_f64 v[99:100], -v[99:100], v[105:106], v[107:108]
	v_div_fmas_f64 v[99:100], v[99:100], v[103:104], v[105:106]
	v_div_fixup_f64 v[103:104], v[99:100], v[97:98], 1.0
                                        ; implicit-def: $vgpr97_vgpr98
	v_mul_f64 v[101:102], v[101:102], v[103:104]
	v_xor_b32_e32 v104, 0x80000000, v104
.LBB89_248:
	s_andn2_saveexec_b64 s[2:3], s[2:3]
	s_cbranch_execz .LBB89_250
; %bb.249:
	v_div_scale_f64 v[101:102], s[6:7], v[97:98], v[97:98], v[99:100]
	v_rcp_f64_e32 v[103:104], v[101:102]
	v_fma_f64 v[105:106], -v[101:102], v[103:104], 1.0
	v_fma_f64 v[103:104], v[103:104], v[105:106], v[103:104]
	v_div_scale_f64 v[105:106], vcc, v[99:100], v[97:98], v[99:100]
	v_fma_f64 v[107:108], -v[101:102], v[103:104], 1.0
	v_fma_f64 v[103:104], v[103:104], v[107:108], v[103:104]
	v_mul_f64 v[107:108], v[105:106], v[103:104]
	v_fma_f64 v[101:102], -v[101:102], v[107:108], v[105:106]
	v_div_fmas_f64 v[101:102], v[101:102], v[103:104], v[107:108]
	v_div_fixup_f64 v[103:104], v[101:102], v[97:98], v[99:100]
	v_fma_f64 v[97:98], v[99:100], v[103:104], v[97:98]
	v_div_scale_f64 v[99:100], s[6:7], v[97:98], v[97:98], 1.0
	v_div_scale_f64 v[107:108], vcc, 1.0, v[97:98], 1.0
	v_rcp_f64_e32 v[101:102], v[99:100]
	v_fma_f64 v[105:106], -v[99:100], v[101:102], 1.0
	v_fma_f64 v[101:102], v[101:102], v[105:106], v[101:102]
	v_fma_f64 v[105:106], -v[99:100], v[101:102], 1.0
	v_fma_f64 v[101:102], v[101:102], v[105:106], v[101:102]
	v_mul_f64 v[105:106], v[107:108], v[101:102]
	v_fma_f64 v[99:100], -v[99:100], v[105:106], v[107:108]
	v_div_fmas_f64 v[99:100], v[99:100], v[101:102], v[105:106]
	v_div_fixup_f64 v[101:102], v[99:100], v[97:98], 1.0
	v_mul_f64 v[103:104], v[103:104], -v[101:102]
.LBB89_250:
	s_or_b64 exec, exec, s[2:3]
	ds_write2_b64 v127, v[101:102], v[103:104] offset1:1
.LBB89_251:
	s_or_b64 exec, exec, s[4:5]
	s_waitcnt lgkmcnt(0)
	s_barrier
	ds_read2_b64 v[65:68], v127 offset1:1
	v_cmp_lt_u32_e32 vcc, 27, v0
	s_waitcnt lgkmcnt(0)
	buffer_store_dword v65, off, s[20:23], 0 offset:48 ; 4-byte Folded Spill
	s_nop 0
	buffer_store_dword v66, off, s[20:23], 0 offset:52 ; 4-byte Folded Spill
	buffer_store_dword v67, off, s[20:23], 0 offset:56 ; 4-byte Folded Spill
	;; [unrolled: 1-line block ×3, first 2 shown]
	s_and_saveexec_b64 s[2:3], vcc
	s_cbranch_execz .LBB89_253
; %bb.252:
	buffer_load_dword v65, off, s[20:23], 0 ; 4-byte Folded Reload
	buffer_load_dword v66, off, s[20:23], 0 offset:4 ; 4-byte Folded Reload
	buffer_load_dword v67, off, s[20:23], 0 offset:8 ; 4-byte Folded Reload
	buffer_load_dword v68, off, s[20:23], 0 offset:12 ; 4-byte Folded Reload
	buffer_load_dword v69, off, s[20:23], 0 offset:48 ; 4-byte Folded Reload
	buffer_load_dword v70, off, s[20:23], 0 offset:52 ; 4-byte Folded Reload
	buffer_load_dword v71, off, s[20:23], 0 offset:56 ; 4-byte Folded Reload
	buffer_load_dword v72, off, s[20:23], 0 offset:60 ; 4-byte Folded Reload
	ds_read2_b64 v[99:102], v125 offset0:56 offset1:57
	s_waitcnt vmcnt(0)
	v_mul_f64 v[97:98], v[71:72], v[67:68]
	v_mul_f64 v[67:68], v[69:70], v[67:68]
	v_fma_f64 v[97:98], v[69:70], v[65:66], -v[97:98]
	v_fma_f64 v[67:68], v[71:72], v[65:66], v[67:68]
	s_waitcnt lgkmcnt(0)
	v_mul_f64 v[65:66], v[101:102], v[67:68]
	v_fma_f64 v[65:66], v[99:100], v[97:98], -v[65:66]
	v_mul_f64 v[99:100], v[99:100], v[67:68]
	v_add_f64 v[61:62], v[61:62], -v[65:66]
	v_fma_f64 v[99:100], v[101:102], v[97:98], v[99:100]
	v_add_f64 v[63:64], v[63:64], -v[99:100]
	ds_read2_b64 v[99:102], v125 offset0:58 offset1:59
	s_waitcnt lgkmcnt(0)
	v_mul_f64 v[65:66], v[101:102], v[67:68]
	v_fma_f64 v[65:66], v[99:100], v[97:98], -v[65:66]
	v_mul_f64 v[99:100], v[99:100], v[67:68]
	v_add_f64 v[57:58], v[57:58], -v[65:66]
	v_fma_f64 v[99:100], v[101:102], v[97:98], v[99:100]
	v_add_f64 v[59:60], v[59:60], -v[99:100]
	ds_read2_b64 v[99:102], v125 offset0:60 offset1:61
	;; [unrolled: 8-line block ×16, first 2 shown]
	s_waitcnt lgkmcnt(0)
	v_mul_f64 v[65:66], v[101:102], v[67:68]
	v_fma_f64 v[65:66], v[99:100], v[97:98], -v[65:66]
	v_mul_f64 v[99:100], v[99:100], v[67:68]
	v_add_f64 v[75:76], v[75:76], -v[65:66]
	v_fma_f64 v[99:100], v[101:102], v[97:98], v[99:100]
	v_mov_b32_e32 v65, v97
	v_mov_b32_e32 v66, v98
	buffer_store_dword v65, off, s[20:23], 0 ; 4-byte Folded Spill
	s_nop 0
	buffer_store_dword v66, off, s[20:23], 0 offset:4 ; 4-byte Folded Spill
	buffer_store_dword v67, off, s[20:23], 0 offset:8 ; 4-byte Folded Spill
	;; [unrolled: 1-line block ×3, first 2 shown]
	v_add_f64 v[77:78], v[77:78], -v[99:100]
.LBB89_253:
	s_or_b64 exec, exec, s[2:3]
	v_cmp_eq_u32_e32 vcc, 28, v0
	s_waitcnt vmcnt(0)
	s_barrier
	s_and_saveexec_b64 s[4:5], vcc
	s_cbranch_execz .LBB89_260
; %bb.254:
	ds_write2_b64 v127, v[61:62], v[63:64] offset1:1
	ds_write2_b64 v125, v[57:58], v[59:60] offset0:58 offset1:59
	ds_write2_b64 v125, v[53:54], v[55:56] offset0:60 offset1:61
	;; [unrolled: 1-line block ×16, first 2 shown]
	ds_read2_b64 v[97:100], v127 offset1:1
	s_waitcnt lgkmcnt(0)
	v_cmp_neq_f64_e32 vcc, 0, v[97:98]
	v_cmp_neq_f64_e64 s[2:3], 0, v[99:100]
	s_or_b64 s[2:3], vcc, s[2:3]
	s_and_b64 exec, exec, s[2:3]
	s_cbranch_execz .LBB89_260
; %bb.255:
	v_cmp_ngt_f64_e64 s[2:3], |v[97:98]|, |v[99:100]|
                                        ; implicit-def: $vgpr101_vgpr102
	s_and_saveexec_b64 s[6:7], s[2:3]
	s_xor_b64 s[2:3], exec, s[6:7]
                                        ; implicit-def: $vgpr103_vgpr104
	s_cbranch_execz .LBB89_257
; %bb.256:
	v_div_scale_f64 v[101:102], s[6:7], v[99:100], v[99:100], v[97:98]
	v_rcp_f64_e32 v[103:104], v[101:102]
	v_fma_f64 v[105:106], -v[101:102], v[103:104], 1.0
	v_fma_f64 v[103:104], v[103:104], v[105:106], v[103:104]
	v_div_scale_f64 v[105:106], vcc, v[97:98], v[99:100], v[97:98]
	v_fma_f64 v[107:108], -v[101:102], v[103:104], 1.0
	v_fma_f64 v[103:104], v[103:104], v[107:108], v[103:104]
	v_mul_f64 v[107:108], v[105:106], v[103:104]
	v_fma_f64 v[101:102], -v[101:102], v[107:108], v[105:106]
	v_div_fmas_f64 v[101:102], v[101:102], v[103:104], v[107:108]
	v_div_fixup_f64 v[101:102], v[101:102], v[99:100], v[97:98]
	v_fma_f64 v[97:98], v[97:98], v[101:102], v[99:100]
	v_div_scale_f64 v[99:100], s[6:7], v[97:98], v[97:98], 1.0
	v_div_scale_f64 v[107:108], vcc, 1.0, v[97:98], 1.0
	v_rcp_f64_e32 v[103:104], v[99:100]
	v_fma_f64 v[105:106], -v[99:100], v[103:104], 1.0
	v_fma_f64 v[103:104], v[103:104], v[105:106], v[103:104]
	v_fma_f64 v[105:106], -v[99:100], v[103:104], 1.0
	v_fma_f64 v[103:104], v[103:104], v[105:106], v[103:104]
	v_mul_f64 v[105:106], v[107:108], v[103:104]
	v_fma_f64 v[99:100], -v[99:100], v[105:106], v[107:108]
	v_div_fmas_f64 v[99:100], v[99:100], v[103:104], v[105:106]
	v_div_fixup_f64 v[103:104], v[99:100], v[97:98], 1.0
                                        ; implicit-def: $vgpr97_vgpr98
	v_mul_f64 v[101:102], v[101:102], v[103:104]
	v_xor_b32_e32 v104, 0x80000000, v104
.LBB89_257:
	s_andn2_saveexec_b64 s[2:3], s[2:3]
	s_cbranch_execz .LBB89_259
; %bb.258:
	v_div_scale_f64 v[101:102], s[6:7], v[97:98], v[97:98], v[99:100]
	v_rcp_f64_e32 v[103:104], v[101:102]
	v_fma_f64 v[105:106], -v[101:102], v[103:104], 1.0
	v_fma_f64 v[103:104], v[103:104], v[105:106], v[103:104]
	v_div_scale_f64 v[105:106], vcc, v[99:100], v[97:98], v[99:100]
	v_fma_f64 v[107:108], -v[101:102], v[103:104], 1.0
	v_fma_f64 v[103:104], v[103:104], v[107:108], v[103:104]
	v_mul_f64 v[107:108], v[105:106], v[103:104]
	v_fma_f64 v[101:102], -v[101:102], v[107:108], v[105:106]
	v_div_fmas_f64 v[101:102], v[101:102], v[103:104], v[107:108]
	v_div_fixup_f64 v[103:104], v[101:102], v[97:98], v[99:100]
	v_fma_f64 v[97:98], v[99:100], v[103:104], v[97:98]
	v_div_scale_f64 v[99:100], s[6:7], v[97:98], v[97:98], 1.0
	v_div_scale_f64 v[107:108], vcc, 1.0, v[97:98], 1.0
	v_rcp_f64_e32 v[101:102], v[99:100]
	v_fma_f64 v[105:106], -v[99:100], v[101:102], 1.0
	v_fma_f64 v[101:102], v[101:102], v[105:106], v[101:102]
	v_fma_f64 v[105:106], -v[99:100], v[101:102], 1.0
	v_fma_f64 v[101:102], v[101:102], v[105:106], v[101:102]
	v_mul_f64 v[105:106], v[107:108], v[101:102]
	v_fma_f64 v[99:100], -v[99:100], v[105:106], v[107:108]
	v_div_fmas_f64 v[99:100], v[99:100], v[101:102], v[105:106]
	v_div_fixup_f64 v[101:102], v[99:100], v[97:98], 1.0
	v_mul_f64 v[103:104], v[103:104], -v[101:102]
.LBB89_259:
	s_or_b64 exec, exec, s[2:3]
	ds_write2_b64 v127, v[101:102], v[103:104] offset1:1
.LBB89_260:
	s_or_b64 exec, exec, s[4:5]
	s_waitcnt lgkmcnt(0)
	s_barrier
	ds_read2_b64 v[65:68], v127 offset1:1
	v_cmp_lt_u32_e32 vcc, 28, v0
	s_waitcnt lgkmcnt(0)
	buffer_store_dword v65, off, s[20:23], 0 offset:1152 ; 4-byte Folded Spill
	s_nop 0
	buffer_store_dword v66, off, s[20:23], 0 offset:1156 ; 4-byte Folded Spill
	buffer_store_dword v67, off, s[20:23], 0 offset:1160 ; 4-byte Folded Spill
	buffer_store_dword v68, off, s[20:23], 0 offset:1164 ; 4-byte Folded Spill
	s_and_saveexec_b64 s[2:3], vcc
	s_cbranch_execz .LBB89_262
; %bb.261:
	buffer_load_dword v65, off, s[20:23], 0 offset:1152 ; 4-byte Folded Reload
	buffer_load_dword v66, off, s[20:23], 0 offset:1156 ; 4-byte Folded Reload
	;; [unrolled: 1-line block ×4, first 2 shown]
	ds_read2_b64 v[99:102], v125 offset0:58 offset1:59
	s_waitcnt vmcnt(2)
	v_mul_f64 v[97:98], v[65:66], v[63:64]
	s_waitcnt vmcnt(0)
	v_mul_f64 v[63:64], v[67:68], v[63:64]
	v_fma_f64 v[97:98], v[67:68], v[61:62], v[97:98]
	v_fma_f64 v[61:62], v[65:66], v[61:62], -v[63:64]
	s_waitcnt lgkmcnt(0)
	v_mul_f64 v[63:64], v[101:102], v[97:98]
	v_fma_f64 v[63:64], v[99:100], v[61:62], -v[63:64]
	v_mul_f64 v[99:100], v[99:100], v[97:98]
	v_add_f64 v[57:58], v[57:58], -v[63:64]
	v_fma_f64 v[99:100], v[101:102], v[61:62], v[99:100]
	v_add_f64 v[59:60], v[59:60], -v[99:100]
	ds_read2_b64 v[99:102], v125 offset0:60 offset1:61
	s_waitcnt lgkmcnt(0)
	v_mul_f64 v[63:64], v[101:102], v[97:98]
	v_fma_f64 v[63:64], v[99:100], v[61:62], -v[63:64]
	v_mul_f64 v[99:100], v[99:100], v[97:98]
	v_add_f64 v[53:54], v[53:54], -v[63:64]
	v_fma_f64 v[99:100], v[101:102], v[61:62], v[99:100]
	v_add_f64 v[55:56], v[55:56], -v[99:100]
	ds_read2_b64 v[99:102], v125 offset0:62 offset1:63
	s_waitcnt lgkmcnt(0)
	v_mul_f64 v[63:64], v[101:102], v[97:98]
	v_fma_f64 v[63:64], v[99:100], v[61:62], -v[63:64]
	v_mul_f64 v[99:100], v[99:100], v[97:98]
	v_add_f64 v[49:50], v[49:50], -v[63:64]
	v_fma_f64 v[99:100], v[101:102], v[61:62], v[99:100]
	v_add_f64 v[51:52], v[51:52], -v[99:100]
	ds_read2_b64 v[99:102], v125 offset0:64 offset1:65
	s_waitcnt lgkmcnt(0)
	v_mul_f64 v[63:64], v[101:102], v[97:98]
	v_fma_f64 v[63:64], v[99:100], v[61:62], -v[63:64]
	v_mul_f64 v[99:100], v[99:100], v[97:98]
	v_add_f64 v[45:46], v[45:46], -v[63:64]
	v_fma_f64 v[99:100], v[101:102], v[61:62], v[99:100]
	v_add_f64 v[47:48], v[47:48], -v[99:100]
	ds_read2_b64 v[99:102], v125 offset0:66 offset1:67
	s_waitcnt lgkmcnt(0)
	v_mul_f64 v[63:64], v[101:102], v[97:98]
	v_fma_f64 v[63:64], v[99:100], v[61:62], -v[63:64]
	v_mul_f64 v[99:100], v[99:100], v[97:98]
	v_add_f64 v[41:42], v[41:42], -v[63:64]
	v_fma_f64 v[99:100], v[101:102], v[61:62], v[99:100]
	v_add_f64 v[43:44], v[43:44], -v[99:100]
	ds_read2_b64 v[99:102], v125 offset0:68 offset1:69
	s_waitcnt lgkmcnt(0)
	v_mul_f64 v[63:64], v[101:102], v[97:98]
	v_fma_f64 v[63:64], v[99:100], v[61:62], -v[63:64]
	v_mul_f64 v[99:100], v[99:100], v[97:98]
	v_add_f64 v[37:38], v[37:38], -v[63:64]
	v_fma_f64 v[99:100], v[101:102], v[61:62], v[99:100]
	v_add_f64 v[39:40], v[39:40], -v[99:100]
	ds_read2_b64 v[99:102], v125 offset0:70 offset1:71
	s_waitcnt lgkmcnt(0)
	v_mul_f64 v[63:64], v[101:102], v[97:98]
	v_fma_f64 v[63:64], v[99:100], v[61:62], -v[63:64]
	v_mul_f64 v[99:100], v[99:100], v[97:98]
	v_add_f64 v[33:34], v[33:34], -v[63:64]
	v_fma_f64 v[99:100], v[101:102], v[61:62], v[99:100]
	v_add_f64 v[35:36], v[35:36], -v[99:100]
	ds_read2_b64 v[99:102], v125 offset0:72 offset1:73
	s_waitcnt lgkmcnt(0)
	v_mul_f64 v[63:64], v[101:102], v[97:98]
	v_fma_f64 v[63:64], v[99:100], v[61:62], -v[63:64]
	v_mul_f64 v[99:100], v[99:100], v[97:98]
	v_add_f64 v[29:30], v[29:30], -v[63:64]
	v_fma_f64 v[99:100], v[101:102], v[61:62], v[99:100]
	v_add_f64 v[31:32], v[31:32], -v[99:100]
	ds_read2_b64 v[99:102], v125 offset0:74 offset1:75
	s_waitcnt lgkmcnt(0)
	v_mul_f64 v[63:64], v[101:102], v[97:98]
	v_fma_f64 v[63:64], v[99:100], v[61:62], -v[63:64]
	v_mul_f64 v[99:100], v[99:100], v[97:98]
	v_add_f64 v[25:26], v[25:26], -v[63:64]
	v_fma_f64 v[99:100], v[101:102], v[61:62], v[99:100]
	v_add_f64 v[27:28], v[27:28], -v[99:100]
	ds_read2_b64 v[99:102], v125 offset0:76 offset1:77
	s_waitcnt lgkmcnt(0)
	v_mul_f64 v[63:64], v[101:102], v[97:98]
	v_fma_f64 v[63:64], v[99:100], v[61:62], -v[63:64]
	v_mul_f64 v[99:100], v[99:100], v[97:98]
	v_add_f64 v[21:22], v[21:22], -v[63:64]
	v_fma_f64 v[99:100], v[101:102], v[61:62], v[99:100]
	v_add_f64 v[23:24], v[23:24], -v[99:100]
	ds_read2_b64 v[99:102], v125 offset0:78 offset1:79
	s_waitcnt lgkmcnt(0)
	v_mul_f64 v[63:64], v[101:102], v[97:98]
	v_fma_f64 v[63:64], v[99:100], v[61:62], -v[63:64]
	v_mul_f64 v[99:100], v[99:100], v[97:98]
	v_add_f64 v[17:18], v[17:18], -v[63:64]
	v_fma_f64 v[99:100], v[101:102], v[61:62], v[99:100]
	v_add_f64 v[19:20], v[19:20], -v[99:100]
	ds_read2_b64 v[99:102], v125 offset0:80 offset1:81
	s_waitcnt lgkmcnt(0)
	v_mul_f64 v[63:64], v[101:102], v[97:98]
	v_fma_f64 v[63:64], v[99:100], v[61:62], -v[63:64]
	v_mul_f64 v[99:100], v[99:100], v[97:98]
	v_add_f64 v[13:14], v[13:14], -v[63:64]
	v_fma_f64 v[99:100], v[101:102], v[61:62], v[99:100]
	v_add_f64 v[15:16], v[15:16], -v[99:100]
	ds_read2_b64 v[99:102], v125 offset0:82 offset1:83
	s_waitcnt lgkmcnt(0)
	v_mul_f64 v[63:64], v[101:102], v[97:98]
	v_fma_f64 v[63:64], v[99:100], v[61:62], -v[63:64]
	v_mul_f64 v[99:100], v[99:100], v[97:98]
	v_add_f64 v[9:10], v[9:10], -v[63:64]
	v_fma_f64 v[99:100], v[101:102], v[61:62], v[99:100]
	v_add_f64 v[11:12], v[11:12], -v[99:100]
	ds_read2_b64 v[99:102], v125 offset0:84 offset1:85
	s_waitcnt lgkmcnt(0)
	v_mul_f64 v[63:64], v[101:102], v[97:98]
	v_fma_f64 v[63:64], v[99:100], v[61:62], -v[63:64]
	v_mul_f64 v[99:100], v[99:100], v[97:98]
	v_add_f64 v[5:6], v[5:6], -v[63:64]
	v_fma_f64 v[99:100], v[101:102], v[61:62], v[99:100]
	v_add_f64 v[7:8], v[7:8], -v[99:100]
	ds_read2_b64 v[99:102], v125 offset0:86 offset1:87
	s_waitcnt lgkmcnt(0)
	v_mul_f64 v[63:64], v[101:102], v[97:98]
	v_fma_f64 v[63:64], v[99:100], v[61:62], -v[63:64]
	v_mul_f64 v[99:100], v[99:100], v[97:98]
	v_add_f64 v[1:2], v[1:2], -v[63:64]
	v_fma_f64 v[99:100], v[101:102], v[61:62], v[99:100]
	v_add_f64 v[3:4], v[3:4], -v[99:100]
	ds_read2_b64 v[99:102], v125 offset0:88 offset1:89
	s_waitcnt lgkmcnt(0)
	v_mul_f64 v[63:64], v[101:102], v[97:98]
	v_fma_f64 v[63:64], v[99:100], v[61:62], -v[63:64]
	v_mul_f64 v[99:100], v[99:100], v[97:98]
	v_add_f64 v[75:76], v[75:76], -v[63:64]
	v_fma_f64 v[99:100], v[101:102], v[61:62], v[99:100]
	v_mov_b32_e32 v63, v97
	v_mov_b32_e32 v64, v98
	v_add_f64 v[77:78], v[77:78], -v[99:100]
.LBB89_262:
	s_or_b64 exec, exec, s[2:3]
	v_cmp_eq_u32_e32 vcc, 29, v0
	s_waitcnt vmcnt(0)
	s_barrier
	s_and_saveexec_b64 s[4:5], vcc
	s_cbranch_execz .LBB89_269
; %bb.263:
	ds_write2_b64 v127, v[57:58], v[59:60] offset1:1
	ds_write2_b64 v125, v[53:54], v[55:56] offset0:60 offset1:61
	ds_write2_b64 v125, v[49:50], v[51:52] offset0:62 offset1:63
	;; [unrolled: 1-line block ×15, first 2 shown]
	ds_read2_b64 v[97:100], v127 offset1:1
	s_waitcnt lgkmcnt(0)
	v_cmp_neq_f64_e32 vcc, 0, v[97:98]
	v_cmp_neq_f64_e64 s[2:3], 0, v[99:100]
	s_or_b64 s[2:3], vcc, s[2:3]
	s_and_b64 exec, exec, s[2:3]
	s_cbranch_execz .LBB89_269
; %bb.264:
	v_cmp_ngt_f64_e64 s[2:3], |v[97:98]|, |v[99:100]|
                                        ; implicit-def: $vgpr101_vgpr102
	s_and_saveexec_b64 s[6:7], s[2:3]
	s_xor_b64 s[2:3], exec, s[6:7]
                                        ; implicit-def: $vgpr103_vgpr104
	s_cbranch_execz .LBB89_266
; %bb.265:
	v_div_scale_f64 v[101:102], s[6:7], v[99:100], v[99:100], v[97:98]
	v_rcp_f64_e32 v[103:104], v[101:102]
	v_fma_f64 v[105:106], -v[101:102], v[103:104], 1.0
	v_fma_f64 v[103:104], v[103:104], v[105:106], v[103:104]
	v_div_scale_f64 v[105:106], vcc, v[97:98], v[99:100], v[97:98]
	v_fma_f64 v[107:108], -v[101:102], v[103:104], 1.0
	v_fma_f64 v[103:104], v[103:104], v[107:108], v[103:104]
	v_mul_f64 v[107:108], v[105:106], v[103:104]
	v_fma_f64 v[101:102], -v[101:102], v[107:108], v[105:106]
	v_div_fmas_f64 v[101:102], v[101:102], v[103:104], v[107:108]
	v_div_fixup_f64 v[101:102], v[101:102], v[99:100], v[97:98]
	v_fma_f64 v[97:98], v[97:98], v[101:102], v[99:100]
	v_div_scale_f64 v[99:100], s[6:7], v[97:98], v[97:98], 1.0
	v_div_scale_f64 v[107:108], vcc, 1.0, v[97:98], 1.0
	v_rcp_f64_e32 v[103:104], v[99:100]
	v_fma_f64 v[105:106], -v[99:100], v[103:104], 1.0
	v_fma_f64 v[103:104], v[103:104], v[105:106], v[103:104]
	v_fma_f64 v[105:106], -v[99:100], v[103:104], 1.0
	v_fma_f64 v[103:104], v[103:104], v[105:106], v[103:104]
	v_mul_f64 v[105:106], v[107:108], v[103:104]
	v_fma_f64 v[99:100], -v[99:100], v[105:106], v[107:108]
	v_div_fmas_f64 v[99:100], v[99:100], v[103:104], v[105:106]
	v_div_fixup_f64 v[103:104], v[99:100], v[97:98], 1.0
                                        ; implicit-def: $vgpr97_vgpr98
	v_mul_f64 v[101:102], v[101:102], v[103:104]
	v_xor_b32_e32 v104, 0x80000000, v104
.LBB89_266:
	s_andn2_saveexec_b64 s[2:3], s[2:3]
	s_cbranch_execz .LBB89_268
; %bb.267:
	v_div_scale_f64 v[101:102], s[6:7], v[97:98], v[97:98], v[99:100]
	v_rcp_f64_e32 v[103:104], v[101:102]
	v_fma_f64 v[105:106], -v[101:102], v[103:104], 1.0
	v_fma_f64 v[103:104], v[103:104], v[105:106], v[103:104]
	v_div_scale_f64 v[105:106], vcc, v[99:100], v[97:98], v[99:100]
	v_fma_f64 v[107:108], -v[101:102], v[103:104], 1.0
	v_fma_f64 v[103:104], v[103:104], v[107:108], v[103:104]
	v_mul_f64 v[107:108], v[105:106], v[103:104]
	v_fma_f64 v[101:102], -v[101:102], v[107:108], v[105:106]
	v_div_fmas_f64 v[101:102], v[101:102], v[103:104], v[107:108]
	v_div_fixup_f64 v[103:104], v[101:102], v[97:98], v[99:100]
	v_fma_f64 v[97:98], v[99:100], v[103:104], v[97:98]
	v_div_scale_f64 v[99:100], s[6:7], v[97:98], v[97:98], 1.0
	v_div_scale_f64 v[107:108], vcc, 1.0, v[97:98], 1.0
	v_rcp_f64_e32 v[101:102], v[99:100]
	v_fma_f64 v[105:106], -v[99:100], v[101:102], 1.0
	v_fma_f64 v[101:102], v[101:102], v[105:106], v[101:102]
	v_fma_f64 v[105:106], -v[99:100], v[101:102], 1.0
	v_fma_f64 v[101:102], v[101:102], v[105:106], v[101:102]
	v_mul_f64 v[105:106], v[107:108], v[101:102]
	v_fma_f64 v[99:100], -v[99:100], v[105:106], v[107:108]
	v_div_fmas_f64 v[99:100], v[99:100], v[101:102], v[105:106]
	v_div_fixup_f64 v[101:102], v[99:100], v[97:98], 1.0
	v_mul_f64 v[103:104], v[103:104], -v[101:102]
.LBB89_268:
	s_or_b64 exec, exec, s[2:3]
	ds_write2_b64 v127, v[101:102], v[103:104] offset1:1
.LBB89_269:
	s_or_b64 exec, exec, s[4:5]
	s_waitcnt lgkmcnt(0)
	s_barrier
	ds_read2_b64 v[65:68], v127 offset1:1
	v_cmp_lt_u32_e32 vcc, 29, v0
	s_waitcnt lgkmcnt(0)
	buffer_store_dword v65, off, s[20:23], 0 offset:1168 ; 4-byte Folded Spill
	s_nop 0
	buffer_store_dword v66, off, s[20:23], 0 offset:1172 ; 4-byte Folded Spill
	buffer_store_dword v67, off, s[20:23], 0 offset:1176 ; 4-byte Folded Spill
	buffer_store_dword v68, off, s[20:23], 0 offset:1180 ; 4-byte Folded Spill
	s_and_saveexec_b64 s[2:3], vcc
	s_cbranch_execz .LBB89_271
; %bb.270:
	buffer_load_dword v65, off, s[20:23], 0 offset:1168 ; 4-byte Folded Reload
	buffer_load_dword v66, off, s[20:23], 0 offset:1172 ; 4-byte Folded Reload
	;; [unrolled: 1-line block ×4, first 2 shown]
	ds_read2_b64 v[99:102], v125 offset0:60 offset1:61
	s_waitcnt vmcnt(2)
	v_mul_f64 v[97:98], v[65:66], v[59:60]
	s_waitcnt vmcnt(0)
	v_mul_f64 v[59:60], v[67:68], v[59:60]
	v_fma_f64 v[97:98], v[67:68], v[57:58], v[97:98]
	v_fma_f64 v[57:58], v[65:66], v[57:58], -v[59:60]
	s_waitcnt lgkmcnt(0)
	v_mul_f64 v[59:60], v[101:102], v[97:98]
	v_fma_f64 v[59:60], v[99:100], v[57:58], -v[59:60]
	v_mul_f64 v[99:100], v[99:100], v[97:98]
	v_add_f64 v[53:54], v[53:54], -v[59:60]
	v_fma_f64 v[99:100], v[101:102], v[57:58], v[99:100]
	v_add_f64 v[55:56], v[55:56], -v[99:100]
	ds_read2_b64 v[99:102], v125 offset0:62 offset1:63
	s_waitcnt lgkmcnt(0)
	v_mul_f64 v[59:60], v[101:102], v[97:98]
	v_fma_f64 v[59:60], v[99:100], v[57:58], -v[59:60]
	v_mul_f64 v[99:100], v[99:100], v[97:98]
	v_add_f64 v[49:50], v[49:50], -v[59:60]
	v_fma_f64 v[99:100], v[101:102], v[57:58], v[99:100]
	v_add_f64 v[51:52], v[51:52], -v[99:100]
	ds_read2_b64 v[99:102], v125 offset0:64 offset1:65
	;; [unrolled: 8-line block ×14, first 2 shown]
	s_waitcnt lgkmcnt(0)
	v_mul_f64 v[59:60], v[101:102], v[97:98]
	v_fma_f64 v[59:60], v[99:100], v[57:58], -v[59:60]
	v_mul_f64 v[99:100], v[99:100], v[97:98]
	v_add_f64 v[75:76], v[75:76], -v[59:60]
	v_fma_f64 v[99:100], v[101:102], v[57:58], v[99:100]
	v_mov_b32_e32 v59, v97
	v_mov_b32_e32 v60, v98
	v_add_f64 v[77:78], v[77:78], -v[99:100]
.LBB89_271:
	s_or_b64 exec, exec, s[2:3]
	v_cmp_eq_u32_e32 vcc, 30, v0
	s_waitcnt vmcnt(0)
	s_barrier
	s_and_saveexec_b64 s[4:5], vcc
	s_cbranch_execz .LBB89_278
; %bb.272:
	ds_write2_b64 v127, v[53:54], v[55:56] offset1:1
	ds_write2_b64 v125, v[49:50], v[51:52] offset0:62 offset1:63
	ds_write2_b64 v125, v[45:46], v[47:48] offset0:64 offset1:65
	;; [unrolled: 1-line block ×14, first 2 shown]
	ds_read2_b64 v[97:100], v127 offset1:1
	s_waitcnt lgkmcnt(0)
	v_cmp_neq_f64_e32 vcc, 0, v[97:98]
	v_cmp_neq_f64_e64 s[2:3], 0, v[99:100]
	s_or_b64 s[2:3], vcc, s[2:3]
	s_and_b64 exec, exec, s[2:3]
	s_cbranch_execz .LBB89_278
; %bb.273:
	v_cmp_ngt_f64_e64 s[2:3], |v[97:98]|, |v[99:100]|
                                        ; implicit-def: $vgpr101_vgpr102
	s_and_saveexec_b64 s[6:7], s[2:3]
	s_xor_b64 s[2:3], exec, s[6:7]
                                        ; implicit-def: $vgpr103_vgpr104
	s_cbranch_execz .LBB89_275
; %bb.274:
	v_div_scale_f64 v[101:102], s[6:7], v[99:100], v[99:100], v[97:98]
	v_rcp_f64_e32 v[103:104], v[101:102]
	v_fma_f64 v[105:106], -v[101:102], v[103:104], 1.0
	v_fma_f64 v[103:104], v[103:104], v[105:106], v[103:104]
	v_div_scale_f64 v[105:106], vcc, v[97:98], v[99:100], v[97:98]
	v_fma_f64 v[107:108], -v[101:102], v[103:104], 1.0
	v_fma_f64 v[103:104], v[103:104], v[107:108], v[103:104]
	v_mul_f64 v[107:108], v[105:106], v[103:104]
	v_fma_f64 v[101:102], -v[101:102], v[107:108], v[105:106]
	v_div_fmas_f64 v[101:102], v[101:102], v[103:104], v[107:108]
	v_div_fixup_f64 v[101:102], v[101:102], v[99:100], v[97:98]
	v_fma_f64 v[97:98], v[97:98], v[101:102], v[99:100]
	v_div_scale_f64 v[99:100], s[6:7], v[97:98], v[97:98], 1.0
	v_div_scale_f64 v[107:108], vcc, 1.0, v[97:98], 1.0
	v_rcp_f64_e32 v[103:104], v[99:100]
	v_fma_f64 v[105:106], -v[99:100], v[103:104], 1.0
	v_fma_f64 v[103:104], v[103:104], v[105:106], v[103:104]
	v_fma_f64 v[105:106], -v[99:100], v[103:104], 1.0
	v_fma_f64 v[103:104], v[103:104], v[105:106], v[103:104]
	v_mul_f64 v[105:106], v[107:108], v[103:104]
	v_fma_f64 v[99:100], -v[99:100], v[105:106], v[107:108]
	v_div_fmas_f64 v[99:100], v[99:100], v[103:104], v[105:106]
	v_div_fixup_f64 v[103:104], v[99:100], v[97:98], 1.0
                                        ; implicit-def: $vgpr97_vgpr98
	v_mul_f64 v[101:102], v[101:102], v[103:104]
	v_xor_b32_e32 v104, 0x80000000, v104
.LBB89_275:
	s_andn2_saveexec_b64 s[2:3], s[2:3]
	s_cbranch_execz .LBB89_277
; %bb.276:
	v_div_scale_f64 v[101:102], s[6:7], v[97:98], v[97:98], v[99:100]
	v_rcp_f64_e32 v[103:104], v[101:102]
	v_fma_f64 v[105:106], -v[101:102], v[103:104], 1.0
	v_fma_f64 v[103:104], v[103:104], v[105:106], v[103:104]
	v_div_scale_f64 v[105:106], vcc, v[99:100], v[97:98], v[99:100]
	v_fma_f64 v[107:108], -v[101:102], v[103:104], 1.0
	v_fma_f64 v[103:104], v[103:104], v[107:108], v[103:104]
	v_mul_f64 v[107:108], v[105:106], v[103:104]
	v_fma_f64 v[101:102], -v[101:102], v[107:108], v[105:106]
	v_div_fmas_f64 v[101:102], v[101:102], v[103:104], v[107:108]
	v_div_fixup_f64 v[103:104], v[101:102], v[97:98], v[99:100]
	v_fma_f64 v[97:98], v[99:100], v[103:104], v[97:98]
	v_div_scale_f64 v[99:100], s[6:7], v[97:98], v[97:98], 1.0
	v_div_scale_f64 v[107:108], vcc, 1.0, v[97:98], 1.0
	v_rcp_f64_e32 v[101:102], v[99:100]
	v_fma_f64 v[105:106], -v[99:100], v[101:102], 1.0
	v_fma_f64 v[101:102], v[101:102], v[105:106], v[101:102]
	v_fma_f64 v[105:106], -v[99:100], v[101:102], 1.0
	v_fma_f64 v[101:102], v[101:102], v[105:106], v[101:102]
	v_mul_f64 v[105:106], v[107:108], v[101:102]
	v_fma_f64 v[99:100], -v[99:100], v[105:106], v[107:108]
	v_div_fmas_f64 v[99:100], v[99:100], v[101:102], v[105:106]
	v_div_fixup_f64 v[101:102], v[99:100], v[97:98], 1.0
	v_mul_f64 v[103:104], v[103:104], -v[101:102]
.LBB89_277:
	s_or_b64 exec, exec, s[2:3]
	ds_write2_b64 v127, v[101:102], v[103:104] offset1:1
.LBB89_278:
	s_or_b64 exec, exec, s[4:5]
	s_waitcnt lgkmcnt(0)
	s_barrier
	ds_read2_b64 v[65:68], v127 offset1:1
	v_cmp_lt_u32_e32 vcc, 30, v0
	s_waitcnt lgkmcnt(0)
	buffer_store_dword v65, off, s[20:23], 0 offset:1184 ; 4-byte Folded Spill
	s_nop 0
	buffer_store_dword v66, off, s[20:23], 0 offset:1188 ; 4-byte Folded Spill
	buffer_store_dword v67, off, s[20:23], 0 offset:1192 ; 4-byte Folded Spill
	;; [unrolled: 1-line block ×3, first 2 shown]
	s_and_saveexec_b64 s[2:3], vcc
	s_cbranch_execz .LBB89_280
; %bb.279:
	buffer_load_dword v65, off, s[20:23], 0 offset:1184 ; 4-byte Folded Reload
	buffer_load_dword v66, off, s[20:23], 0 offset:1188 ; 4-byte Folded Reload
	;; [unrolled: 1-line block ×4, first 2 shown]
	ds_read2_b64 v[99:102], v125 offset0:62 offset1:63
	s_waitcnt vmcnt(2)
	v_mul_f64 v[97:98], v[65:66], v[55:56]
	s_waitcnt vmcnt(0)
	v_mul_f64 v[55:56], v[67:68], v[55:56]
	v_fma_f64 v[97:98], v[67:68], v[53:54], v[97:98]
	v_fma_f64 v[53:54], v[65:66], v[53:54], -v[55:56]
	s_waitcnt lgkmcnt(0)
	v_mul_f64 v[55:56], v[101:102], v[97:98]
	v_fma_f64 v[55:56], v[99:100], v[53:54], -v[55:56]
	v_mul_f64 v[99:100], v[99:100], v[97:98]
	v_add_f64 v[49:50], v[49:50], -v[55:56]
	v_fma_f64 v[99:100], v[101:102], v[53:54], v[99:100]
	v_add_f64 v[51:52], v[51:52], -v[99:100]
	ds_read2_b64 v[99:102], v125 offset0:64 offset1:65
	s_waitcnt lgkmcnt(0)
	v_mul_f64 v[55:56], v[101:102], v[97:98]
	v_fma_f64 v[55:56], v[99:100], v[53:54], -v[55:56]
	v_mul_f64 v[99:100], v[99:100], v[97:98]
	v_add_f64 v[45:46], v[45:46], -v[55:56]
	v_fma_f64 v[99:100], v[101:102], v[53:54], v[99:100]
	v_add_f64 v[47:48], v[47:48], -v[99:100]
	ds_read2_b64 v[99:102], v125 offset0:66 offset1:67
	;; [unrolled: 8-line block ×13, first 2 shown]
	s_waitcnt lgkmcnt(0)
	v_mul_f64 v[55:56], v[101:102], v[97:98]
	v_fma_f64 v[55:56], v[99:100], v[53:54], -v[55:56]
	v_mul_f64 v[99:100], v[99:100], v[97:98]
	v_add_f64 v[75:76], v[75:76], -v[55:56]
	v_fma_f64 v[99:100], v[101:102], v[53:54], v[99:100]
	v_mov_b32_e32 v55, v97
	v_mov_b32_e32 v56, v98
	v_add_f64 v[77:78], v[77:78], -v[99:100]
.LBB89_280:
	s_or_b64 exec, exec, s[2:3]
	v_cmp_eq_u32_e32 vcc, 31, v0
	s_waitcnt vmcnt(0)
	s_barrier
	s_and_saveexec_b64 s[4:5], vcc
	s_cbranch_execz .LBB89_287
; %bb.281:
	ds_write2_b64 v127, v[49:50], v[51:52] offset1:1
	ds_write2_b64 v125, v[45:46], v[47:48] offset0:64 offset1:65
	ds_write2_b64 v125, v[41:42], v[43:44] offset0:66 offset1:67
	;; [unrolled: 1-line block ×13, first 2 shown]
	ds_read2_b64 v[97:100], v127 offset1:1
	s_waitcnt lgkmcnt(0)
	v_cmp_neq_f64_e32 vcc, 0, v[97:98]
	v_cmp_neq_f64_e64 s[2:3], 0, v[99:100]
	s_or_b64 s[2:3], vcc, s[2:3]
	s_and_b64 exec, exec, s[2:3]
	s_cbranch_execz .LBB89_287
; %bb.282:
	v_cmp_ngt_f64_e64 s[2:3], |v[97:98]|, |v[99:100]|
                                        ; implicit-def: $vgpr101_vgpr102
	s_and_saveexec_b64 s[6:7], s[2:3]
	s_xor_b64 s[2:3], exec, s[6:7]
                                        ; implicit-def: $vgpr103_vgpr104
	s_cbranch_execz .LBB89_284
; %bb.283:
	v_div_scale_f64 v[101:102], s[6:7], v[99:100], v[99:100], v[97:98]
	v_rcp_f64_e32 v[103:104], v[101:102]
	v_fma_f64 v[105:106], -v[101:102], v[103:104], 1.0
	v_fma_f64 v[103:104], v[103:104], v[105:106], v[103:104]
	v_div_scale_f64 v[105:106], vcc, v[97:98], v[99:100], v[97:98]
	v_fma_f64 v[107:108], -v[101:102], v[103:104], 1.0
	v_fma_f64 v[103:104], v[103:104], v[107:108], v[103:104]
	v_mul_f64 v[107:108], v[105:106], v[103:104]
	v_fma_f64 v[101:102], -v[101:102], v[107:108], v[105:106]
	v_div_fmas_f64 v[101:102], v[101:102], v[103:104], v[107:108]
	v_div_fixup_f64 v[101:102], v[101:102], v[99:100], v[97:98]
	v_fma_f64 v[97:98], v[97:98], v[101:102], v[99:100]
	v_div_scale_f64 v[99:100], s[6:7], v[97:98], v[97:98], 1.0
	v_div_scale_f64 v[107:108], vcc, 1.0, v[97:98], 1.0
	v_rcp_f64_e32 v[103:104], v[99:100]
	v_fma_f64 v[105:106], -v[99:100], v[103:104], 1.0
	v_fma_f64 v[103:104], v[103:104], v[105:106], v[103:104]
	v_fma_f64 v[105:106], -v[99:100], v[103:104], 1.0
	v_fma_f64 v[103:104], v[103:104], v[105:106], v[103:104]
	v_mul_f64 v[105:106], v[107:108], v[103:104]
	v_fma_f64 v[99:100], -v[99:100], v[105:106], v[107:108]
	v_div_fmas_f64 v[99:100], v[99:100], v[103:104], v[105:106]
	v_div_fixup_f64 v[103:104], v[99:100], v[97:98], 1.0
                                        ; implicit-def: $vgpr97_vgpr98
	v_mul_f64 v[101:102], v[101:102], v[103:104]
	v_xor_b32_e32 v104, 0x80000000, v104
.LBB89_284:
	s_andn2_saveexec_b64 s[2:3], s[2:3]
	s_cbranch_execz .LBB89_286
; %bb.285:
	v_div_scale_f64 v[101:102], s[6:7], v[97:98], v[97:98], v[99:100]
	v_rcp_f64_e32 v[103:104], v[101:102]
	v_fma_f64 v[105:106], -v[101:102], v[103:104], 1.0
	v_fma_f64 v[103:104], v[103:104], v[105:106], v[103:104]
	v_div_scale_f64 v[105:106], vcc, v[99:100], v[97:98], v[99:100]
	v_fma_f64 v[107:108], -v[101:102], v[103:104], 1.0
	v_fma_f64 v[103:104], v[103:104], v[107:108], v[103:104]
	v_mul_f64 v[107:108], v[105:106], v[103:104]
	v_fma_f64 v[101:102], -v[101:102], v[107:108], v[105:106]
	v_div_fmas_f64 v[101:102], v[101:102], v[103:104], v[107:108]
	v_div_fixup_f64 v[103:104], v[101:102], v[97:98], v[99:100]
	v_fma_f64 v[97:98], v[99:100], v[103:104], v[97:98]
	v_div_scale_f64 v[99:100], s[6:7], v[97:98], v[97:98], 1.0
	v_div_scale_f64 v[107:108], vcc, 1.0, v[97:98], 1.0
	v_rcp_f64_e32 v[101:102], v[99:100]
	v_fma_f64 v[105:106], -v[99:100], v[101:102], 1.0
	v_fma_f64 v[101:102], v[101:102], v[105:106], v[101:102]
	v_fma_f64 v[105:106], -v[99:100], v[101:102], 1.0
	v_fma_f64 v[101:102], v[101:102], v[105:106], v[101:102]
	v_mul_f64 v[105:106], v[107:108], v[101:102]
	v_fma_f64 v[99:100], -v[99:100], v[105:106], v[107:108]
	v_div_fmas_f64 v[99:100], v[99:100], v[101:102], v[105:106]
	v_div_fixup_f64 v[101:102], v[99:100], v[97:98], 1.0
	v_mul_f64 v[103:104], v[103:104], -v[101:102]
.LBB89_286:
	s_or_b64 exec, exec, s[2:3]
	ds_write2_b64 v127, v[101:102], v[103:104] offset1:1
.LBB89_287:
	s_or_b64 exec, exec, s[4:5]
	s_waitcnt lgkmcnt(0)
	s_barrier
	ds_read2_b64 v[65:68], v127 offset1:1
	v_cmp_lt_u32_e32 vcc, 31, v0
	s_waitcnt lgkmcnt(0)
	buffer_store_dword v65, off, s[20:23], 0 offset:1200 ; 4-byte Folded Spill
	s_nop 0
	buffer_store_dword v66, off, s[20:23], 0 offset:1204 ; 4-byte Folded Spill
	buffer_store_dword v67, off, s[20:23], 0 offset:1208 ; 4-byte Folded Spill
	;; [unrolled: 1-line block ×3, first 2 shown]
	s_and_saveexec_b64 s[2:3], vcc
	s_cbranch_execz .LBB89_289
; %bb.288:
	buffer_load_dword v65, off, s[20:23], 0 offset:1200 ; 4-byte Folded Reload
	buffer_load_dword v66, off, s[20:23], 0 offset:1204 ; 4-byte Folded Reload
	buffer_load_dword v67, off, s[20:23], 0 offset:1208 ; 4-byte Folded Reload
	buffer_load_dword v68, off, s[20:23], 0 offset:1212 ; 4-byte Folded Reload
	ds_read2_b64 v[99:102], v125 offset0:64 offset1:65
	s_waitcnt vmcnt(2)
	v_mul_f64 v[97:98], v[65:66], v[51:52]
	s_waitcnt vmcnt(0)
	v_mul_f64 v[51:52], v[67:68], v[51:52]
	v_fma_f64 v[97:98], v[67:68], v[49:50], v[97:98]
	v_fma_f64 v[49:50], v[65:66], v[49:50], -v[51:52]
	s_waitcnt lgkmcnt(0)
	v_mul_f64 v[51:52], v[101:102], v[97:98]
	v_fma_f64 v[51:52], v[99:100], v[49:50], -v[51:52]
	v_mul_f64 v[99:100], v[99:100], v[97:98]
	v_add_f64 v[45:46], v[45:46], -v[51:52]
	v_fma_f64 v[99:100], v[101:102], v[49:50], v[99:100]
	v_add_f64 v[47:48], v[47:48], -v[99:100]
	ds_read2_b64 v[99:102], v125 offset0:66 offset1:67
	s_waitcnt lgkmcnt(0)
	v_mul_f64 v[51:52], v[101:102], v[97:98]
	v_fma_f64 v[51:52], v[99:100], v[49:50], -v[51:52]
	v_mul_f64 v[99:100], v[99:100], v[97:98]
	v_add_f64 v[41:42], v[41:42], -v[51:52]
	v_fma_f64 v[99:100], v[101:102], v[49:50], v[99:100]
	v_add_f64 v[43:44], v[43:44], -v[99:100]
	ds_read2_b64 v[99:102], v125 offset0:68 offset1:69
	;; [unrolled: 8-line block ×12, first 2 shown]
	s_waitcnt lgkmcnt(0)
	v_mul_f64 v[51:52], v[101:102], v[97:98]
	v_fma_f64 v[51:52], v[99:100], v[49:50], -v[51:52]
	v_mul_f64 v[99:100], v[99:100], v[97:98]
	v_add_f64 v[75:76], v[75:76], -v[51:52]
	v_fma_f64 v[99:100], v[101:102], v[49:50], v[99:100]
	v_mov_b32_e32 v51, v97
	v_mov_b32_e32 v52, v98
	v_add_f64 v[77:78], v[77:78], -v[99:100]
.LBB89_289:
	s_or_b64 exec, exec, s[2:3]
	v_cmp_eq_u32_e32 vcc, 32, v0
	s_waitcnt vmcnt(0)
	s_barrier
	s_and_saveexec_b64 s[4:5], vcc
	s_cbranch_execz .LBB89_296
; %bb.290:
	ds_write2_b64 v127, v[45:46], v[47:48] offset1:1
	ds_write2_b64 v125, v[41:42], v[43:44] offset0:66 offset1:67
	ds_write2_b64 v125, v[37:38], v[39:40] offset0:68 offset1:69
	;; [unrolled: 1-line block ×12, first 2 shown]
	ds_read2_b64 v[97:100], v127 offset1:1
	s_waitcnt lgkmcnt(0)
	v_cmp_neq_f64_e32 vcc, 0, v[97:98]
	v_cmp_neq_f64_e64 s[2:3], 0, v[99:100]
	s_or_b64 s[2:3], vcc, s[2:3]
	s_and_b64 exec, exec, s[2:3]
	s_cbranch_execz .LBB89_296
; %bb.291:
	v_cmp_ngt_f64_e64 s[2:3], |v[97:98]|, |v[99:100]|
                                        ; implicit-def: $vgpr101_vgpr102
	s_and_saveexec_b64 s[6:7], s[2:3]
	s_xor_b64 s[2:3], exec, s[6:7]
                                        ; implicit-def: $vgpr103_vgpr104
	s_cbranch_execz .LBB89_293
; %bb.292:
	v_div_scale_f64 v[101:102], s[6:7], v[99:100], v[99:100], v[97:98]
	v_rcp_f64_e32 v[103:104], v[101:102]
	v_fma_f64 v[105:106], -v[101:102], v[103:104], 1.0
	v_fma_f64 v[103:104], v[103:104], v[105:106], v[103:104]
	v_div_scale_f64 v[105:106], vcc, v[97:98], v[99:100], v[97:98]
	v_fma_f64 v[107:108], -v[101:102], v[103:104], 1.0
	v_fma_f64 v[103:104], v[103:104], v[107:108], v[103:104]
	v_mul_f64 v[107:108], v[105:106], v[103:104]
	v_fma_f64 v[101:102], -v[101:102], v[107:108], v[105:106]
	v_div_fmas_f64 v[101:102], v[101:102], v[103:104], v[107:108]
	v_div_fixup_f64 v[101:102], v[101:102], v[99:100], v[97:98]
	v_fma_f64 v[97:98], v[97:98], v[101:102], v[99:100]
	v_div_scale_f64 v[99:100], s[6:7], v[97:98], v[97:98], 1.0
	v_div_scale_f64 v[107:108], vcc, 1.0, v[97:98], 1.0
	v_rcp_f64_e32 v[103:104], v[99:100]
	v_fma_f64 v[105:106], -v[99:100], v[103:104], 1.0
	v_fma_f64 v[103:104], v[103:104], v[105:106], v[103:104]
	v_fma_f64 v[105:106], -v[99:100], v[103:104], 1.0
	v_fma_f64 v[103:104], v[103:104], v[105:106], v[103:104]
	v_mul_f64 v[105:106], v[107:108], v[103:104]
	v_fma_f64 v[99:100], -v[99:100], v[105:106], v[107:108]
	v_div_fmas_f64 v[99:100], v[99:100], v[103:104], v[105:106]
	v_div_fixup_f64 v[103:104], v[99:100], v[97:98], 1.0
                                        ; implicit-def: $vgpr97_vgpr98
	v_mul_f64 v[101:102], v[101:102], v[103:104]
	v_xor_b32_e32 v104, 0x80000000, v104
.LBB89_293:
	s_andn2_saveexec_b64 s[2:3], s[2:3]
	s_cbranch_execz .LBB89_295
; %bb.294:
	v_div_scale_f64 v[101:102], s[6:7], v[97:98], v[97:98], v[99:100]
	v_rcp_f64_e32 v[103:104], v[101:102]
	v_fma_f64 v[105:106], -v[101:102], v[103:104], 1.0
	v_fma_f64 v[103:104], v[103:104], v[105:106], v[103:104]
	v_div_scale_f64 v[105:106], vcc, v[99:100], v[97:98], v[99:100]
	v_fma_f64 v[107:108], -v[101:102], v[103:104], 1.0
	v_fma_f64 v[103:104], v[103:104], v[107:108], v[103:104]
	v_mul_f64 v[107:108], v[105:106], v[103:104]
	v_fma_f64 v[101:102], -v[101:102], v[107:108], v[105:106]
	v_div_fmas_f64 v[101:102], v[101:102], v[103:104], v[107:108]
	v_div_fixup_f64 v[103:104], v[101:102], v[97:98], v[99:100]
	v_fma_f64 v[97:98], v[99:100], v[103:104], v[97:98]
	v_div_scale_f64 v[99:100], s[6:7], v[97:98], v[97:98], 1.0
	v_div_scale_f64 v[107:108], vcc, 1.0, v[97:98], 1.0
	v_rcp_f64_e32 v[101:102], v[99:100]
	v_fma_f64 v[105:106], -v[99:100], v[101:102], 1.0
	v_fma_f64 v[101:102], v[101:102], v[105:106], v[101:102]
	v_fma_f64 v[105:106], -v[99:100], v[101:102], 1.0
	v_fma_f64 v[101:102], v[101:102], v[105:106], v[101:102]
	v_mul_f64 v[105:106], v[107:108], v[101:102]
	v_fma_f64 v[99:100], -v[99:100], v[105:106], v[107:108]
	v_div_fmas_f64 v[99:100], v[99:100], v[101:102], v[105:106]
	v_div_fixup_f64 v[101:102], v[99:100], v[97:98], 1.0
	v_mul_f64 v[103:104], v[103:104], -v[101:102]
.LBB89_295:
	s_or_b64 exec, exec, s[2:3]
	ds_write2_b64 v127, v[101:102], v[103:104] offset1:1
.LBB89_296:
	s_or_b64 exec, exec, s[4:5]
	s_waitcnt lgkmcnt(0)
	s_barrier
	ds_read2_b64 v[65:68], v127 offset1:1
	v_cmp_lt_u32_e32 vcc, 32, v0
	s_waitcnt lgkmcnt(0)
	buffer_store_dword v65, off, s[20:23], 0 offset:1216 ; 4-byte Folded Spill
	s_nop 0
	buffer_store_dword v66, off, s[20:23], 0 offset:1220 ; 4-byte Folded Spill
	buffer_store_dword v67, off, s[20:23], 0 offset:1224 ; 4-byte Folded Spill
	;; [unrolled: 1-line block ×3, first 2 shown]
	s_and_saveexec_b64 s[2:3], vcc
	s_cbranch_execz .LBB89_298
; %bb.297:
	buffer_load_dword v65, off, s[20:23], 0 offset:1216 ; 4-byte Folded Reload
	buffer_load_dword v66, off, s[20:23], 0 offset:1220 ; 4-byte Folded Reload
	;; [unrolled: 1-line block ×4, first 2 shown]
	ds_read2_b64 v[99:102], v125 offset0:66 offset1:67
	s_waitcnt vmcnt(2)
	v_mul_f64 v[97:98], v[65:66], v[47:48]
	s_waitcnt vmcnt(0)
	v_mul_f64 v[47:48], v[67:68], v[47:48]
	v_fma_f64 v[97:98], v[67:68], v[45:46], v[97:98]
	v_fma_f64 v[45:46], v[65:66], v[45:46], -v[47:48]
	s_waitcnt lgkmcnt(0)
	v_mul_f64 v[47:48], v[101:102], v[97:98]
	v_fma_f64 v[47:48], v[99:100], v[45:46], -v[47:48]
	v_mul_f64 v[99:100], v[99:100], v[97:98]
	v_add_f64 v[41:42], v[41:42], -v[47:48]
	v_fma_f64 v[99:100], v[101:102], v[45:46], v[99:100]
	v_add_f64 v[43:44], v[43:44], -v[99:100]
	ds_read2_b64 v[99:102], v125 offset0:68 offset1:69
	s_waitcnt lgkmcnt(0)
	v_mul_f64 v[47:48], v[101:102], v[97:98]
	v_fma_f64 v[47:48], v[99:100], v[45:46], -v[47:48]
	v_mul_f64 v[99:100], v[99:100], v[97:98]
	v_add_f64 v[37:38], v[37:38], -v[47:48]
	v_fma_f64 v[99:100], v[101:102], v[45:46], v[99:100]
	v_add_f64 v[39:40], v[39:40], -v[99:100]
	ds_read2_b64 v[99:102], v125 offset0:70 offset1:71
	;; [unrolled: 8-line block ×11, first 2 shown]
	s_waitcnt lgkmcnt(0)
	v_mul_f64 v[47:48], v[101:102], v[97:98]
	v_fma_f64 v[47:48], v[99:100], v[45:46], -v[47:48]
	v_mul_f64 v[99:100], v[99:100], v[97:98]
	v_add_f64 v[75:76], v[75:76], -v[47:48]
	v_fma_f64 v[99:100], v[101:102], v[45:46], v[99:100]
	v_mov_b32_e32 v47, v97
	v_mov_b32_e32 v48, v98
	v_add_f64 v[77:78], v[77:78], -v[99:100]
.LBB89_298:
	s_or_b64 exec, exec, s[2:3]
	v_cmp_eq_u32_e32 vcc, 33, v0
	s_waitcnt vmcnt(0)
	s_barrier
	s_and_saveexec_b64 s[4:5], vcc
	s_cbranch_execz .LBB89_305
; %bb.299:
	ds_write2_b64 v127, v[41:42], v[43:44] offset1:1
	ds_write2_b64 v125, v[37:38], v[39:40] offset0:68 offset1:69
	ds_write2_b64 v125, v[33:34], v[35:36] offset0:70 offset1:71
	;; [unrolled: 1-line block ×11, first 2 shown]
	ds_read2_b64 v[97:100], v127 offset1:1
	s_waitcnt lgkmcnt(0)
	v_cmp_neq_f64_e32 vcc, 0, v[97:98]
	v_cmp_neq_f64_e64 s[2:3], 0, v[99:100]
	s_or_b64 s[2:3], vcc, s[2:3]
	s_and_b64 exec, exec, s[2:3]
	s_cbranch_execz .LBB89_305
; %bb.300:
	v_cmp_ngt_f64_e64 s[2:3], |v[97:98]|, |v[99:100]|
                                        ; implicit-def: $vgpr101_vgpr102
	s_and_saveexec_b64 s[6:7], s[2:3]
	s_xor_b64 s[2:3], exec, s[6:7]
                                        ; implicit-def: $vgpr103_vgpr104
	s_cbranch_execz .LBB89_302
; %bb.301:
	v_div_scale_f64 v[101:102], s[6:7], v[99:100], v[99:100], v[97:98]
	v_rcp_f64_e32 v[103:104], v[101:102]
	v_fma_f64 v[105:106], -v[101:102], v[103:104], 1.0
	v_fma_f64 v[103:104], v[103:104], v[105:106], v[103:104]
	v_div_scale_f64 v[105:106], vcc, v[97:98], v[99:100], v[97:98]
	v_fma_f64 v[107:108], -v[101:102], v[103:104], 1.0
	v_fma_f64 v[103:104], v[103:104], v[107:108], v[103:104]
	v_mul_f64 v[107:108], v[105:106], v[103:104]
	v_fma_f64 v[101:102], -v[101:102], v[107:108], v[105:106]
	v_div_fmas_f64 v[101:102], v[101:102], v[103:104], v[107:108]
	v_div_fixup_f64 v[101:102], v[101:102], v[99:100], v[97:98]
	v_fma_f64 v[97:98], v[97:98], v[101:102], v[99:100]
	v_div_scale_f64 v[99:100], s[6:7], v[97:98], v[97:98], 1.0
	v_div_scale_f64 v[107:108], vcc, 1.0, v[97:98], 1.0
	v_rcp_f64_e32 v[103:104], v[99:100]
	v_fma_f64 v[105:106], -v[99:100], v[103:104], 1.0
	v_fma_f64 v[103:104], v[103:104], v[105:106], v[103:104]
	v_fma_f64 v[105:106], -v[99:100], v[103:104], 1.0
	v_fma_f64 v[103:104], v[103:104], v[105:106], v[103:104]
	v_mul_f64 v[105:106], v[107:108], v[103:104]
	v_fma_f64 v[99:100], -v[99:100], v[105:106], v[107:108]
	v_div_fmas_f64 v[99:100], v[99:100], v[103:104], v[105:106]
	v_div_fixup_f64 v[103:104], v[99:100], v[97:98], 1.0
                                        ; implicit-def: $vgpr97_vgpr98
	v_mul_f64 v[101:102], v[101:102], v[103:104]
	v_xor_b32_e32 v104, 0x80000000, v104
.LBB89_302:
	s_andn2_saveexec_b64 s[2:3], s[2:3]
	s_cbranch_execz .LBB89_304
; %bb.303:
	v_div_scale_f64 v[101:102], s[6:7], v[97:98], v[97:98], v[99:100]
	v_rcp_f64_e32 v[103:104], v[101:102]
	v_fma_f64 v[105:106], -v[101:102], v[103:104], 1.0
	v_fma_f64 v[103:104], v[103:104], v[105:106], v[103:104]
	v_div_scale_f64 v[105:106], vcc, v[99:100], v[97:98], v[99:100]
	v_fma_f64 v[107:108], -v[101:102], v[103:104], 1.0
	v_fma_f64 v[103:104], v[103:104], v[107:108], v[103:104]
	v_mul_f64 v[107:108], v[105:106], v[103:104]
	v_fma_f64 v[101:102], -v[101:102], v[107:108], v[105:106]
	v_div_fmas_f64 v[101:102], v[101:102], v[103:104], v[107:108]
	v_div_fixup_f64 v[103:104], v[101:102], v[97:98], v[99:100]
	v_fma_f64 v[97:98], v[99:100], v[103:104], v[97:98]
	v_div_scale_f64 v[99:100], s[6:7], v[97:98], v[97:98], 1.0
	v_div_scale_f64 v[107:108], vcc, 1.0, v[97:98], 1.0
	v_rcp_f64_e32 v[101:102], v[99:100]
	v_fma_f64 v[105:106], -v[99:100], v[101:102], 1.0
	v_fma_f64 v[101:102], v[101:102], v[105:106], v[101:102]
	v_fma_f64 v[105:106], -v[99:100], v[101:102], 1.0
	v_fma_f64 v[101:102], v[101:102], v[105:106], v[101:102]
	v_mul_f64 v[105:106], v[107:108], v[101:102]
	v_fma_f64 v[99:100], -v[99:100], v[105:106], v[107:108]
	v_div_fmas_f64 v[99:100], v[99:100], v[101:102], v[105:106]
	v_div_fixup_f64 v[101:102], v[99:100], v[97:98], 1.0
	v_mul_f64 v[103:104], v[103:104], -v[101:102]
.LBB89_304:
	s_or_b64 exec, exec, s[2:3]
	ds_write2_b64 v127, v[101:102], v[103:104] offset1:1
.LBB89_305:
	s_or_b64 exec, exec, s[4:5]
	s_waitcnt lgkmcnt(0)
	s_barrier
	ds_read2_b64 v[65:68], v127 offset1:1
	v_cmp_lt_u32_e32 vcc, 33, v0
	s_waitcnt lgkmcnt(0)
	buffer_store_dword v65, off, s[20:23], 0 offset:1232 ; 4-byte Folded Spill
	s_nop 0
	buffer_store_dword v66, off, s[20:23], 0 offset:1236 ; 4-byte Folded Spill
	buffer_store_dword v67, off, s[20:23], 0 offset:1240 ; 4-byte Folded Spill
	;; [unrolled: 1-line block ×3, first 2 shown]
	s_and_saveexec_b64 s[2:3], vcc
	s_cbranch_execz .LBB89_307
; %bb.306:
	buffer_load_dword v65, off, s[20:23], 0 offset:1232 ; 4-byte Folded Reload
	buffer_load_dword v66, off, s[20:23], 0 offset:1236 ; 4-byte Folded Reload
	;; [unrolled: 1-line block ×4, first 2 shown]
	ds_read2_b64 v[99:102], v125 offset0:68 offset1:69
	s_waitcnt vmcnt(2)
	v_mul_f64 v[97:98], v[65:66], v[43:44]
	s_waitcnt vmcnt(0)
	v_mul_f64 v[43:44], v[67:68], v[43:44]
	v_fma_f64 v[97:98], v[67:68], v[41:42], v[97:98]
	v_fma_f64 v[41:42], v[65:66], v[41:42], -v[43:44]
	s_waitcnt lgkmcnt(0)
	v_mul_f64 v[43:44], v[101:102], v[97:98]
	v_fma_f64 v[43:44], v[99:100], v[41:42], -v[43:44]
	v_mul_f64 v[99:100], v[99:100], v[97:98]
	v_add_f64 v[37:38], v[37:38], -v[43:44]
	v_fma_f64 v[99:100], v[101:102], v[41:42], v[99:100]
	v_add_f64 v[39:40], v[39:40], -v[99:100]
	ds_read2_b64 v[99:102], v125 offset0:70 offset1:71
	s_waitcnt lgkmcnt(0)
	v_mul_f64 v[43:44], v[101:102], v[97:98]
	v_fma_f64 v[43:44], v[99:100], v[41:42], -v[43:44]
	v_mul_f64 v[99:100], v[99:100], v[97:98]
	v_add_f64 v[33:34], v[33:34], -v[43:44]
	v_fma_f64 v[99:100], v[101:102], v[41:42], v[99:100]
	v_add_f64 v[35:36], v[35:36], -v[99:100]
	ds_read2_b64 v[99:102], v125 offset0:72 offset1:73
	;; [unrolled: 8-line block ×10, first 2 shown]
	s_waitcnt lgkmcnt(0)
	v_mul_f64 v[43:44], v[101:102], v[97:98]
	v_fma_f64 v[43:44], v[99:100], v[41:42], -v[43:44]
	v_mul_f64 v[99:100], v[99:100], v[97:98]
	v_add_f64 v[75:76], v[75:76], -v[43:44]
	v_fma_f64 v[99:100], v[101:102], v[41:42], v[99:100]
	v_mov_b32_e32 v43, v97
	v_mov_b32_e32 v44, v98
	v_add_f64 v[77:78], v[77:78], -v[99:100]
.LBB89_307:
	s_or_b64 exec, exec, s[2:3]
	v_cmp_eq_u32_e32 vcc, 34, v0
	s_waitcnt vmcnt(0)
	s_barrier
	s_and_saveexec_b64 s[4:5], vcc
	s_cbranch_execz .LBB89_314
; %bb.308:
	ds_write2_b64 v127, v[37:38], v[39:40] offset1:1
	ds_write2_b64 v125, v[33:34], v[35:36] offset0:70 offset1:71
	ds_write2_b64 v125, v[29:30], v[31:32] offset0:72 offset1:73
	;; [unrolled: 1-line block ×10, first 2 shown]
	ds_read2_b64 v[97:100], v127 offset1:1
	s_waitcnt lgkmcnt(0)
	v_cmp_neq_f64_e32 vcc, 0, v[97:98]
	v_cmp_neq_f64_e64 s[2:3], 0, v[99:100]
	s_or_b64 s[2:3], vcc, s[2:3]
	s_and_b64 exec, exec, s[2:3]
	s_cbranch_execz .LBB89_314
; %bb.309:
	v_cmp_ngt_f64_e64 s[2:3], |v[97:98]|, |v[99:100]|
                                        ; implicit-def: $vgpr101_vgpr102
	s_and_saveexec_b64 s[6:7], s[2:3]
	s_xor_b64 s[2:3], exec, s[6:7]
                                        ; implicit-def: $vgpr103_vgpr104
	s_cbranch_execz .LBB89_311
; %bb.310:
	v_div_scale_f64 v[101:102], s[6:7], v[99:100], v[99:100], v[97:98]
	v_rcp_f64_e32 v[103:104], v[101:102]
	v_fma_f64 v[105:106], -v[101:102], v[103:104], 1.0
	v_fma_f64 v[103:104], v[103:104], v[105:106], v[103:104]
	v_div_scale_f64 v[105:106], vcc, v[97:98], v[99:100], v[97:98]
	v_fma_f64 v[107:108], -v[101:102], v[103:104], 1.0
	v_fma_f64 v[103:104], v[103:104], v[107:108], v[103:104]
	v_mul_f64 v[107:108], v[105:106], v[103:104]
	v_fma_f64 v[101:102], -v[101:102], v[107:108], v[105:106]
	v_div_fmas_f64 v[101:102], v[101:102], v[103:104], v[107:108]
	v_div_fixup_f64 v[101:102], v[101:102], v[99:100], v[97:98]
	v_fma_f64 v[97:98], v[97:98], v[101:102], v[99:100]
	v_div_scale_f64 v[99:100], s[6:7], v[97:98], v[97:98], 1.0
	v_div_scale_f64 v[107:108], vcc, 1.0, v[97:98], 1.0
	v_rcp_f64_e32 v[103:104], v[99:100]
	v_fma_f64 v[105:106], -v[99:100], v[103:104], 1.0
	v_fma_f64 v[103:104], v[103:104], v[105:106], v[103:104]
	v_fma_f64 v[105:106], -v[99:100], v[103:104], 1.0
	v_fma_f64 v[103:104], v[103:104], v[105:106], v[103:104]
	v_mul_f64 v[105:106], v[107:108], v[103:104]
	v_fma_f64 v[99:100], -v[99:100], v[105:106], v[107:108]
	v_div_fmas_f64 v[99:100], v[99:100], v[103:104], v[105:106]
	v_div_fixup_f64 v[103:104], v[99:100], v[97:98], 1.0
                                        ; implicit-def: $vgpr97_vgpr98
	v_mul_f64 v[101:102], v[101:102], v[103:104]
	v_xor_b32_e32 v104, 0x80000000, v104
.LBB89_311:
	s_andn2_saveexec_b64 s[2:3], s[2:3]
	s_cbranch_execz .LBB89_313
; %bb.312:
	v_div_scale_f64 v[101:102], s[6:7], v[97:98], v[97:98], v[99:100]
	v_rcp_f64_e32 v[103:104], v[101:102]
	v_fma_f64 v[105:106], -v[101:102], v[103:104], 1.0
	v_fma_f64 v[103:104], v[103:104], v[105:106], v[103:104]
	v_div_scale_f64 v[105:106], vcc, v[99:100], v[97:98], v[99:100]
	v_fma_f64 v[107:108], -v[101:102], v[103:104], 1.0
	v_fma_f64 v[103:104], v[103:104], v[107:108], v[103:104]
	v_mul_f64 v[107:108], v[105:106], v[103:104]
	v_fma_f64 v[101:102], -v[101:102], v[107:108], v[105:106]
	v_div_fmas_f64 v[101:102], v[101:102], v[103:104], v[107:108]
	v_div_fixup_f64 v[103:104], v[101:102], v[97:98], v[99:100]
	v_fma_f64 v[97:98], v[99:100], v[103:104], v[97:98]
	v_div_scale_f64 v[99:100], s[6:7], v[97:98], v[97:98], 1.0
	v_div_scale_f64 v[107:108], vcc, 1.0, v[97:98], 1.0
	v_rcp_f64_e32 v[101:102], v[99:100]
	v_fma_f64 v[105:106], -v[99:100], v[101:102], 1.0
	v_fma_f64 v[101:102], v[101:102], v[105:106], v[101:102]
	v_fma_f64 v[105:106], -v[99:100], v[101:102], 1.0
	v_fma_f64 v[101:102], v[101:102], v[105:106], v[101:102]
	v_mul_f64 v[105:106], v[107:108], v[101:102]
	v_fma_f64 v[99:100], -v[99:100], v[105:106], v[107:108]
	v_div_fmas_f64 v[99:100], v[99:100], v[101:102], v[105:106]
	v_div_fixup_f64 v[101:102], v[99:100], v[97:98], 1.0
	v_mul_f64 v[103:104], v[103:104], -v[101:102]
.LBB89_313:
	s_or_b64 exec, exec, s[2:3]
	ds_write2_b64 v127, v[101:102], v[103:104] offset1:1
.LBB89_314:
	s_or_b64 exec, exec, s[4:5]
	s_waitcnt lgkmcnt(0)
	s_barrier
	ds_read2_b64 v[65:68], v127 offset1:1
	v_cmp_lt_u32_e32 vcc, 34, v0
	s_waitcnt lgkmcnt(0)
	buffer_store_dword v65, off, s[20:23], 0 offset:1248 ; 4-byte Folded Spill
	s_nop 0
	buffer_store_dword v66, off, s[20:23], 0 offset:1252 ; 4-byte Folded Spill
	buffer_store_dword v67, off, s[20:23], 0 offset:1256 ; 4-byte Folded Spill
	;; [unrolled: 1-line block ×3, first 2 shown]
	s_and_saveexec_b64 s[2:3], vcc
	s_cbranch_execz .LBB89_316
; %bb.315:
	buffer_load_dword v65, off, s[20:23], 0 offset:1248 ; 4-byte Folded Reload
	buffer_load_dword v66, off, s[20:23], 0 offset:1252 ; 4-byte Folded Reload
	;; [unrolled: 1-line block ×4, first 2 shown]
	ds_read2_b64 v[99:102], v125 offset0:70 offset1:71
	s_waitcnt vmcnt(2)
	v_mul_f64 v[97:98], v[65:66], v[39:40]
	s_waitcnt vmcnt(0)
	v_mul_f64 v[39:40], v[67:68], v[39:40]
	v_fma_f64 v[97:98], v[67:68], v[37:38], v[97:98]
	v_fma_f64 v[37:38], v[65:66], v[37:38], -v[39:40]
	s_waitcnt lgkmcnt(0)
	v_mul_f64 v[39:40], v[101:102], v[97:98]
	v_fma_f64 v[39:40], v[99:100], v[37:38], -v[39:40]
	v_mul_f64 v[99:100], v[99:100], v[97:98]
	v_add_f64 v[33:34], v[33:34], -v[39:40]
	v_fma_f64 v[99:100], v[101:102], v[37:38], v[99:100]
	v_add_f64 v[35:36], v[35:36], -v[99:100]
	ds_read2_b64 v[99:102], v125 offset0:72 offset1:73
	s_waitcnt lgkmcnt(0)
	v_mul_f64 v[39:40], v[101:102], v[97:98]
	v_fma_f64 v[39:40], v[99:100], v[37:38], -v[39:40]
	v_mul_f64 v[99:100], v[99:100], v[97:98]
	v_add_f64 v[29:30], v[29:30], -v[39:40]
	v_fma_f64 v[99:100], v[101:102], v[37:38], v[99:100]
	v_add_f64 v[31:32], v[31:32], -v[99:100]
	ds_read2_b64 v[99:102], v125 offset0:74 offset1:75
	;; [unrolled: 8-line block ×9, first 2 shown]
	s_waitcnt lgkmcnt(0)
	v_mul_f64 v[39:40], v[101:102], v[97:98]
	v_fma_f64 v[39:40], v[99:100], v[37:38], -v[39:40]
	v_mul_f64 v[99:100], v[99:100], v[97:98]
	v_add_f64 v[75:76], v[75:76], -v[39:40]
	v_fma_f64 v[99:100], v[101:102], v[37:38], v[99:100]
	v_mov_b32_e32 v39, v97
	v_mov_b32_e32 v40, v98
	v_add_f64 v[77:78], v[77:78], -v[99:100]
.LBB89_316:
	s_or_b64 exec, exec, s[2:3]
	v_cmp_eq_u32_e32 vcc, 35, v0
	s_waitcnt vmcnt(0)
	s_barrier
	s_and_saveexec_b64 s[4:5], vcc
	s_cbranch_execz .LBB89_323
; %bb.317:
	ds_write2_b64 v127, v[33:34], v[35:36] offset1:1
	ds_write2_b64 v125, v[29:30], v[31:32] offset0:72 offset1:73
	ds_write2_b64 v125, v[25:26], v[27:28] offset0:74 offset1:75
	;; [unrolled: 1-line block ×9, first 2 shown]
	ds_read2_b64 v[97:100], v127 offset1:1
	s_waitcnt lgkmcnt(0)
	v_cmp_neq_f64_e32 vcc, 0, v[97:98]
	v_cmp_neq_f64_e64 s[2:3], 0, v[99:100]
	s_or_b64 s[2:3], vcc, s[2:3]
	s_and_b64 exec, exec, s[2:3]
	s_cbranch_execz .LBB89_323
; %bb.318:
	v_cmp_ngt_f64_e64 s[2:3], |v[97:98]|, |v[99:100]|
                                        ; implicit-def: $vgpr101_vgpr102
	s_and_saveexec_b64 s[6:7], s[2:3]
	s_xor_b64 s[2:3], exec, s[6:7]
                                        ; implicit-def: $vgpr103_vgpr104
	s_cbranch_execz .LBB89_320
; %bb.319:
	v_div_scale_f64 v[101:102], s[6:7], v[99:100], v[99:100], v[97:98]
	v_rcp_f64_e32 v[103:104], v[101:102]
	v_fma_f64 v[105:106], -v[101:102], v[103:104], 1.0
	v_fma_f64 v[103:104], v[103:104], v[105:106], v[103:104]
	v_div_scale_f64 v[105:106], vcc, v[97:98], v[99:100], v[97:98]
	v_fma_f64 v[107:108], -v[101:102], v[103:104], 1.0
	v_fma_f64 v[103:104], v[103:104], v[107:108], v[103:104]
	v_mul_f64 v[107:108], v[105:106], v[103:104]
	v_fma_f64 v[101:102], -v[101:102], v[107:108], v[105:106]
	v_div_fmas_f64 v[101:102], v[101:102], v[103:104], v[107:108]
	v_div_fixup_f64 v[101:102], v[101:102], v[99:100], v[97:98]
	v_fma_f64 v[97:98], v[97:98], v[101:102], v[99:100]
	v_div_scale_f64 v[99:100], s[6:7], v[97:98], v[97:98], 1.0
	v_div_scale_f64 v[107:108], vcc, 1.0, v[97:98], 1.0
	v_rcp_f64_e32 v[103:104], v[99:100]
	v_fma_f64 v[105:106], -v[99:100], v[103:104], 1.0
	v_fma_f64 v[103:104], v[103:104], v[105:106], v[103:104]
	v_fma_f64 v[105:106], -v[99:100], v[103:104], 1.0
	v_fma_f64 v[103:104], v[103:104], v[105:106], v[103:104]
	v_mul_f64 v[105:106], v[107:108], v[103:104]
	v_fma_f64 v[99:100], -v[99:100], v[105:106], v[107:108]
	v_div_fmas_f64 v[99:100], v[99:100], v[103:104], v[105:106]
	v_div_fixup_f64 v[103:104], v[99:100], v[97:98], 1.0
                                        ; implicit-def: $vgpr97_vgpr98
	v_mul_f64 v[101:102], v[101:102], v[103:104]
	v_xor_b32_e32 v104, 0x80000000, v104
.LBB89_320:
	s_andn2_saveexec_b64 s[2:3], s[2:3]
	s_cbranch_execz .LBB89_322
; %bb.321:
	v_div_scale_f64 v[101:102], s[6:7], v[97:98], v[97:98], v[99:100]
	v_rcp_f64_e32 v[103:104], v[101:102]
	v_fma_f64 v[105:106], -v[101:102], v[103:104], 1.0
	v_fma_f64 v[103:104], v[103:104], v[105:106], v[103:104]
	v_div_scale_f64 v[105:106], vcc, v[99:100], v[97:98], v[99:100]
	v_fma_f64 v[107:108], -v[101:102], v[103:104], 1.0
	v_fma_f64 v[103:104], v[103:104], v[107:108], v[103:104]
	v_mul_f64 v[107:108], v[105:106], v[103:104]
	v_fma_f64 v[101:102], -v[101:102], v[107:108], v[105:106]
	v_div_fmas_f64 v[101:102], v[101:102], v[103:104], v[107:108]
	v_div_fixup_f64 v[103:104], v[101:102], v[97:98], v[99:100]
	v_fma_f64 v[97:98], v[99:100], v[103:104], v[97:98]
	v_div_scale_f64 v[99:100], s[6:7], v[97:98], v[97:98], 1.0
	v_div_scale_f64 v[107:108], vcc, 1.0, v[97:98], 1.0
	v_rcp_f64_e32 v[101:102], v[99:100]
	v_fma_f64 v[105:106], -v[99:100], v[101:102], 1.0
	v_fma_f64 v[101:102], v[101:102], v[105:106], v[101:102]
	v_fma_f64 v[105:106], -v[99:100], v[101:102], 1.0
	v_fma_f64 v[101:102], v[101:102], v[105:106], v[101:102]
	v_mul_f64 v[105:106], v[107:108], v[101:102]
	v_fma_f64 v[99:100], -v[99:100], v[105:106], v[107:108]
	v_div_fmas_f64 v[99:100], v[99:100], v[101:102], v[105:106]
	v_div_fixup_f64 v[101:102], v[99:100], v[97:98], 1.0
	v_mul_f64 v[103:104], v[103:104], -v[101:102]
.LBB89_322:
	s_or_b64 exec, exec, s[2:3]
	ds_write2_b64 v127, v[101:102], v[103:104] offset1:1
.LBB89_323:
	s_or_b64 exec, exec, s[4:5]
	s_waitcnt lgkmcnt(0)
	s_barrier
	ds_read2_b64 v[65:68], v127 offset1:1
	v_cmp_lt_u32_e32 vcc, 35, v0
	s_waitcnt lgkmcnt(0)
	buffer_store_dword v65, off, s[20:23], 0 offset:1264 ; 4-byte Folded Spill
	s_nop 0
	buffer_store_dword v66, off, s[20:23], 0 offset:1268 ; 4-byte Folded Spill
	buffer_store_dword v67, off, s[20:23], 0 offset:1272 ; 4-byte Folded Spill
	;; [unrolled: 1-line block ×3, first 2 shown]
	s_and_saveexec_b64 s[2:3], vcc
	s_cbranch_execz .LBB89_325
; %bb.324:
	buffer_load_dword v65, off, s[20:23], 0 offset:1264 ; 4-byte Folded Reload
	buffer_load_dword v66, off, s[20:23], 0 offset:1268 ; 4-byte Folded Reload
	;; [unrolled: 1-line block ×4, first 2 shown]
	ds_read2_b64 v[99:102], v125 offset0:72 offset1:73
	s_waitcnt vmcnt(2)
	v_mul_f64 v[97:98], v[65:66], v[35:36]
	s_waitcnt vmcnt(0)
	v_mul_f64 v[35:36], v[67:68], v[35:36]
	v_fma_f64 v[97:98], v[67:68], v[33:34], v[97:98]
	v_fma_f64 v[33:34], v[65:66], v[33:34], -v[35:36]
	s_waitcnt lgkmcnt(0)
	v_mul_f64 v[35:36], v[101:102], v[97:98]
	v_fma_f64 v[35:36], v[99:100], v[33:34], -v[35:36]
	v_mul_f64 v[99:100], v[99:100], v[97:98]
	v_add_f64 v[29:30], v[29:30], -v[35:36]
	v_fma_f64 v[99:100], v[101:102], v[33:34], v[99:100]
	v_add_f64 v[31:32], v[31:32], -v[99:100]
	ds_read2_b64 v[99:102], v125 offset0:74 offset1:75
	s_waitcnt lgkmcnt(0)
	v_mul_f64 v[35:36], v[101:102], v[97:98]
	v_fma_f64 v[35:36], v[99:100], v[33:34], -v[35:36]
	v_mul_f64 v[99:100], v[99:100], v[97:98]
	v_add_f64 v[25:26], v[25:26], -v[35:36]
	v_fma_f64 v[99:100], v[101:102], v[33:34], v[99:100]
	v_add_f64 v[27:28], v[27:28], -v[99:100]
	ds_read2_b64 v[99:102], v125 offset0:76 offset1:77
	;; [unrolled: 8-line block ×8, first 2 shown]
	s_waitcnt lgkmcnt(0)
	v_mul_f64 v[35:36], v[101:102], v[97:98]
	v_fma_f64 v[35:36], v[99:100], v[33:34], -v[35:36]
	v_mul_f64 v[99:100], v[99:100], v[97:98]
	v_add_f64 v[75:76], v[75:76], -v[35:36]
	v_fma_f64 v[99:100], v[101:102], v[33:34], v[99:100]
	v_mov_b32_e32 v35, v97
	v_mov_b32_e32 v36, v98
	v_add_f64 v[77:78], v[77:78], -v[99:100]
.LBB89_325:
	s_or_b64 exec, exec, s[2:3]
	v_cmp_eq_u32_e32 vcc, 36, v0
	s_waitcnt vmcnt(0)
	s_barrier
	s_and_saveexec_b64 s[4:5], vcc
	s_cbranch_execz .LBB89_332
; %bb.326:
	ds_write2_b64 v127, v[29:30], v[31:32] offset1:1
	ds_write2_b64 v125, v[25:26], v[27:28] offset0:74 offset1:75
	ds_write2_b64 v125, v[21:22], v[23:24] offset0:76 offset1:77
	;; [unrolled: 1-line block ×8, first 2 shown]
	ds_read2_b64 v[97:100], v127 offset1:1
	s_waitcnt lgkmcnt(0)
	v_cmp_neq_f64_e32 vcc, 0, v[97:98]
	v_cmp_neq_f64_e64 s[2:3], 0, v[99:100]
	s_or_b64 s[2:3], vcc, s[2:3]
	s_and_b64 exec, exec, s[2:3]
	s_cbranch_execz .LBB89_332
; %bb.327:
	v_cmp_ngt_f64_e64 s[2:3], |v[97:98]|, |v[99:100]|
                                        ; implicit-def: $vgpr101_vgpr102
	s_and_saveexec_b64 s[6:7], s[2:3]
	s_xor_b64 s[2:3], exec, s[6:7]
                                        ; implicit-def: $vgpr103_vgpr104
	s_cbranch_execz .LBB89_329
; %bb.328:
	v_div_scale_f64 v[101:102], s[6:7], v[99:100], v[99:100], v[97:98]
	v_rcp_f64_e32 v[103:104], v[101:102]
	v_fma_f64 v[105:106], -v[101:102], v[103:104], 1.0
	v_fma_f64 v[103:104], v[103:104], v[105:106], v[103:104]
	v_div_scale_f64 v[105:106], vcc, v[97:98], v[99:100], v[97:98]
	v_fma_f64 v[107:108], -v[101:102], v[103:104], 1.0
	v_fma_f64 v[103:104], v[103:104], v[107:108], v[103:104]
	v_mul_f64 v[107:108], v[105:106], v[103:104]
	v_fma_f64 v[101:102], -v[101:102], v[107:108], v[105:106]
	v_div_fmas_f64 v[101:102], v[101:102], v[103:104], v[107:108]
	v_div_fixup_f64 v[101:102], v[101:102], v[99:100], v[97:98]
	v_fma_f64 v[97:98], v[97:98], v[101:102], v[99:100]
	v_div_scale_f64 v[99:100], s[6:7], v[97:98], v[97:98], 1.0
	v_div_scale_f64 v[107:108], vcc, 1.0, v[97:98], 1.0
	v_rcp_f64_e32 v[103:104], v[99:100]
	v_fma_f64 v[105:106], -v[99:100], v[103:104], 1.0
	v_fma_f64 v[103:104], v[103:104], v[105:106], v[103:104]
	v_fma_f64 v[105:106], -v[99:100], v[103:104], 1.0
	v_fma_f64 v[103:104], v[103:104], v[105:106], v[103:104]
	v_mul_f64 v[105:106], v[107:108], v[103:104]
	v_fma_f64 v[99:100], -v[99:100], v[105:106], v[107:108]
	v_div_fmas_f64 v[99:100], v[99:100], v[103:104], v[105:106]
	v_div_fixup_f64 v[103:104], v[99:100], v[97:98], 1.0
                                        ; implicit-def: $vgpr97_vgpr98
	v_mul_f64 v[101:102], v[101:102], v[103:104]
	v_xor_b32_e32 v104, 0x80000000, v104
.LBB89_329:
	s_andn2_saveexec_b64 s[2:3], s[2:3]
	s_cbranch_execz .LBB89_331
; %bb.330:
	v_div_scale_f64 v[101:102], s[6:7], v[97:98], v[97:98], v[99:100]
	v_rcp_f64_e32 v[103:104], v[101:102]
	v_fma_f64 v[105:106], -v[101:102], v[103:104], 1.0
	v_fma_f64 v[103:104], v[103:104], v[105:106], v[103:104]
	v_div_scale_f64 v[105:106], vcc, v[99:100], v[97:98], v[99:100]
	v_fma_f64 v[107:108], -v[101:102], v[103:104], 1.0
	v_fma_f64 v[103:104], v[103:104], v[107:108], v[103:104]
	v_mul_f64 v[107:108], v[105:106], v[103:104]
	v_fma_f64 v[101:102], -v[101:102], v[107:108], v[105:106]
	v_div_fmas_f64 v[101:102], v[101:102], v[103:104], v[107:108]
	v_div_fixup_f64 v[103:104], v[101:102], v[97:98], v[99:100]
	v_fma_f64 v[97:98], v[99:100], v[103:104], v[97:98]
	v_div_scale_f64 v[99:100], s[6:7], v[97:98], v[97:98], 1.0
	v_div_scale_f64 v[107:108], vcc, 1.0, v[97:98], 1.0
	v_rcp_f64_e32 v[101:102], v[99:100]
	v_fma_f64 v[105:106], -v[99:100], v[101:102], 1.0
	v_fma_f64 v[101:102], v[101:102], v[105:106], v[101:102]
	v_fma_f64 v[105:106], -v[99:100], v[101:102], 1.0
	v_fma_f64 v[101:102], v[101:102], v[105:106], v[101:102]
	v_mul_f64 v[105:106], v[107:108], v[101:102]
	v_fma_f64 v[99:100], -v[99:100], v[105:106], v[107:108]
	v_div_fmas_f64 v[99:100], v[99:100], v[101:102], v[105:106]
	v_div_fixup_f64 v[101:102], v[99:100], v[97:98], 1.0
	v_mul_f64 v[103:104], v[103:104], -v[101:102]
.LBB89_331:
	s_or_b64 exec, exec, s[2:3]
	ds_write2_b64 v127, v[101:102], v[103:104] offset1:1
.LBB89_332:
	s_or_b64 exec, exec, s[4:5]
	s_waitcnt lgkmcnt(0)
	s_barrier
	ds_read2_b64 v[65:68], v127 offset1:1
	v_cmp_lt_u32_e32 vcc, 36, v0
	s_waitcnt lgkmcnt(0)
	buffer_store_dword v65, off, s[20:23], 0 offset:1280 ; 4-byte Folded Spill
	s_nop 0
	buffer_store_dword v66, off, s[20:23], 0 offset:1284 ; 4-byte Folded Spill
	buffer_store_dword v67, off, s[20:23], 0 offset:1288 ; 4-byte Folded Spill
	buffer_store_dword v68, off, s[20:23], 0 offset:1292 ; 4-byte Folded Spill
	s_and_saveexec_b64 s[2:3], vcc
	s_cbranch_execz .LBB89_334
; %bb.333:
	buffer_load_dword v65, off, s[20:23], 0 offset:1280 ; 4-byte Folded Reload
	buffer_load_dword v66, off, s[20:23], 0 offset:1284 ; 4-byte Folded Reload
	;; [unrolled: 1-line block ×4, first 2 shown]
	ds_read2_b64 v[99:102], v125 offset0:74 offset1:75
	s_waitcnt vmcnt(2)
	v_mul_f64 v[97:98], v[65:66], v[31:32]
	s_waitcnt vmcnt(0)
	v_mul_f64 v[31:32], v[67:68], v[31:32]
	v_fma_f64 v[97:98], v[67:68], v[29:30], v[97:98]
	v_fma_f64 v[29:30], v[65:66], v[29:30], -v[31:32]
	s_waitcnt lgkmcnt(0)
	v_mul_f64 v[31:32], v[101:102], v[97:98]
	v_fma_f64 v[31:32], v[99:100], v[29:30], -v[31:32]
	v_mul_f64 v[99:100], v[99:100], v[97:98]
	v_add_f64 v[25:26], v[25:26], -v[31:32]
	v_fma_f64 v[99:100], v[101:102], v[29:30], v[99:100]
	v_add_f64 v[27:28], v[27:28], -v[99:100]
	ds_read2_b64 v[99:102], v125 offset0:76 offset1:77
	s_waitcnt lgkmcnt(0)
	v_mul_f64 v[31:32], v[101:102], v[97:98]
	v_fma_f64 v[31:32], v[99:100], v[29:30], -v[31:32]
	v_mul_f64 v[99:100], v[99:100], v[97:98]
	v_add_f64 v[21:22], v[21:22], -v[31:32]
	v_fma_f64 v[99:100], v[101:102], v[29:30], v[99:100]
	v_add_f64 v[23:24], v[23:24], -v[99:100]
	ds_read2_b64 v[99:102], v125 offset0:78 offset1:79
	;; [unrolled: 8-line block ×7, first 2 shown]
	s_waitcnt lgkmcnt(0)
	v_mul_f64 v[31:32], v[101:102], v[97:98]
	v_fma_f64 v[31:32], v[99:100], v[29:30], -v[31:32]
	v_mul_f64 v[99:100], v[99:100], v[97:98]
	v_add_f64 v[75:76], v[75:76], -v[31:32]
	v_fma_f64 v[99:100], v[101:102], v[29:30], v[99:100]
	v_mov_b32_e32 v31, v97
	v_mov_b32_e32 v32, v98
	v_add_f64 v[77:78], v[77:78], -v[99:100]
.LBB89_334:
	s_or_b64 exec, exec, s[2:3]
	v_cmp_eq_u32_e32 vcc, 37, v0
	s_waitcnt vmcnt(0)
	s_barrier
	s_and_saveexec_b64 s[4:5], vcc
	s_cbranch_execz .LBB89_341
; %bb.335:
	ds_write2_b64 v127, v[25:26], v[27:28] offset1:1
	ds_write2_b64 v125, v[21:22], v[23:24] offset0:76 offset1:77
	ds_write2_b64 v125, v[17:18], v[19:20] offset0:78 offset1:79
	;; [unrolled: 1-line block ×7, first 2 shown]
	ds_read2_b64 v[97:100], v127 offset1:1
	s_waitcnt lgkmcnt(0)
	v_cmp_neq_f64_e32 vcc, 0, v[97:98]
	v_cmp_neq_f64_e64 s[2:3], 0, v[99:100]
	s_or_b64 s[2:3], vcc, s[2:3]
	s_and_b64 exec, exec, s[2:3]
	s_cbranch_execz .LBB89_341
; %bb.336:
	v_cmp_ngt_f64_e64 s[2:3], |v[97:98]|, |v[99:100]|
                                        ; implicit-def: $vgpr101_vgpr102
	s_and_saveexec_b64 s[6:7], s[2:3]
	s_xor_b64 s[2:3], exec, s[6:7]
                                        ; implicit-def: $vgpr103_vgpr104
	s_cbranch_execz .LBB89_338
; %bb.337:
	v_div_scale_f64 v[101:102], s[6:7], v[99:100], v[99:100], v[97:98]
	v_rcp_f64_e32 v[103:104], v[101:102]
	v_fma_f64 v[105:106], -v[101:102], v[103:104], 1.0
	v_fma_f64 v[103:104], v[103:104], v[105:106], v[103:104]
	v_div_scale_f64 v[105:106], vcc, v[97:98], v[99:100], v[97:98]
	v_fma_f64 v[107:108], -v[101:102], v[103:104], 1.0
	v_fma_f64 v[103:104], v[103:104], v[107:108], v[103:104]
	v_mul_f64 v[107:108], v[105:106], v[103:104]
	v_fma_f64 v[101:102], -v[101:102], v[107:108], v[105:106]
	v_div_fmas_f64 v[101:102], v[101:102], v[103:104], v[107:108]
	v_div_fixup_f64 v[101:102], v[101:102], v[99:100], v[97:98]
	v_fma_f64 v[97:98], v[97:98], v[101:102], v[99:100]
	v_div_scale_f64 v[99:100], s[6:7], v[97:98], v[97:98], 1.0
	v_div_scale_f64 v[107:108], vcc, 1.0, v[97:98], 1.0
	v_rcp_f64_e32 v[103:104], v[99:100]
	v_fma_f64 v[105:106], -v[99:100], v[103:104], 1.0
	v_fma_f64 v[103:104], v[103:104], v[105:106], v[103:104]
	v_fma_f64 v[105:106], -v[99:100], v[103:104], 1.0
	v_fma_f64 v[103:104], v[103:104], v[105:106], v[103:104]
	v_mul_f64 v[105:106], v[107:108], v[103:104]
	v_fma_f64 v[99:100], -v[99:100], v[105:106], v[107:108]
	v_div_fmas_f64 v[99:100], v[99:100], v[103:104], v[105:106]
	v_div_fixup_f64 v[103:104], v[99:100], v[97:98], 1.0
                                        ; implicit-def: $vgpr97_vgpr98
	v_mul_f64 v[101:102], v[101:102], v[103:104]
	v_xor_b32_e32 v104, 0x80000000, v104
.LBB89_338:
	s_andn2_saveexec_b64 s[2:3], s[2:3]
	s_cbranch_execz .LBB89_340
; %bb.339:
	v_div_scale_f64 v[101:102], s[6:7], v[97:98], v[97:98], v[99:100]
	v_rcp_f64_e32 v[103:104], v[101:102]
	v_fma_f64 v[105:106], -v[101:102], v[103:104], 1.0
	v_fma_f64 v[103:104], v[103:104], v[105:106], v[103:104]
	v_div_scale_f64 v[105:106], vcc, v[99:100], v[97:98], v[99:100]
	v_fma_f64 v[107:108], -v[101:102], v[103:104], 1.0
	v_fma_f64 v[103:104], v[103:104], v[107:108], v[103:104]
	v_mul_f64 v[107:108], v[105:106], v[103:104]
	v_fma_f64 v[101:102], -v[101:102], v[107:108], v[105:106]
	v_div_fmas_f64 v[101:102], v[101:102], v[103:104], v[107:108]
	v_div_fixup_f64 v[103:104], v[101:102], v[97:98], v[99:100]
	v_fma_f64 v[97:98], v[99:100], v[103:104], v[97:98]
	v_div_scale_f64 v[99:100], s[6:7], v[97:98], v[97:98], 1.0
	v_div_scale_f64 v[107:108], vcc, 1.0, v[97:98], 1.0
	v_rcp_f64_e32 v[101:102], v[99:100]
	v_fma_f64 v[105:106], -v[99:100], v[101:102], 1.0
	v_fma_f64 v[101:102], v[101:102], v[105:106], v[101:102]
	v_fma_f64 v[105:106], -v[99:100], v[101:102], 1.0
	v_fma_f64 v[101:102], v[101:102], v[105:106], v[101:102]
	v_mul_f64 v[105:106], v[107:108], v[101:102]
	v_fma_f64 v[99:100], -v[99:100], v[105:106], v[107:108]
	v_div_fmas_f64 v[99:100], v[99:100], v[101:102], v[105:106]
	v_div_fixup_f64 v[101:102], v[99:100], v[97:98], 1.0
	v_mul_f64 v[103:104], v[103:104], -v[101:102]
.LBB89_340:
	s_or_b64 exec, exec, s[2:3]
	ds_write2_b64 v127, v[101:102], v[103:104] offset1:1
.LBB89_341:
	s_or_b64 exec, exec, s[4:5]
	s_waitcnt lgkmcnt(0)
	s_barrier
	ds_read2_b64 v[65:68], v127 offset1:1
	v_cmp_lt_u32_e32 vcc, 37, v0
	s_waitcnt lgkmcnt(0)
	buffer_store_dword v65, off, s[20:23], 0 offset:1296 ; 4-byte Folded Spill
	s_nop 0
	buffer_store_dword v66, off, s[20:23], 0 offset:1300 ; 4-byte Folded Spill
	buffer_store_dword v67, off, s[20:23], 0 offset:1304 ; 4-byte Folded Spill
	;; [unrolled: 1-line block ×3, first 2 shown]
	s_and_saveexec_b64 s[2:3], vcc
	s_cbranch_execz .LBB89_343
; %bb.342:
	buffer_load_dword v65, off, s[20:23], 0 offset:1296 ; 4-byte Folded Reload
	buffer_load_dword v66, off, s[20:23], 0 offset:1300 ; 4-byte Folded Reload
	;; [unrolled: 1-line block ×4, first 2 shown]
	ds_read2_b64 v[99:102], v125 offset0:76 offset1:77
	s_waitcnt vmcnt(2)
	v_mul_f64 v[97:98], v[65:66], v[27:28]
	s_waitcnt vmcnt(0)
	v_mul_f64 v[27:28], v[67:68], v[27:28]
	v_fma_f64 v[97:98], v[67:68], v[25:26], v[97:98]
	v_fma_f64 v[25:26], v[65:66], v[25:26], -v[27:28]
	s_waitcnt lgkmcnt(0)
	v_mul_f64 v[27:28], v[101:102], v[97:98]
	v_fma_f64 v[27:28], v[99:100], v[25:26], -v[27:28]
	v_mul_f64 v[99:100], v[99:100], v[97:98]
	v_add_f64 v[21:22], v[21:22], -v[27:28]
	v_fma_f64 v[99:100], v[101:102], v[25:26], v[99:100]
	v_add_f64 v[23:24], v[23:24], -v[99:100]
	ds_read2_b64 v[99:102], v125 offset0:78 offset1:79
	s_waitcnt lgkmcnt(0)
	v_mul_f64 v[27:28], v[101:102], v[97:98]
	v_fma_f64 v[27:28], v[99:100], v[25:26], -v[27:28]
	v_mul_f64 v[99:100], v[99:100], v[97:98]
	v_add_f64 v[17:18], v[17:18], -v[27:28]
	v_fma_f64 v[99:100], v[101:102], v[25:26], v[99:100]
	v_add_f64 v[19:20], v[19:20], -v[99:100]
	ds_read2_b64 v[99:102], v125 offset0:80 offset1:81
	;; [unrolled: 8-line block ×6, first 2 shown]
	s_waitcnt lgkmcnt(0)
	v_mul_f64 v[27:28], v[101:102], v[97:98]
	v_fma_f64 v[27:28], v[99:100], v[25:26], -v[27:28]
	v_mul_f64 v[99:100], v[99:100], v[97:98]
	v_add_f64 v[75:76], v[75:76], -v[27:28]
	v_fma_f64 v[99:100], v[101:102], v[25:26], v[99:100]
	v_mov_b32_e32 v27, v97
	v_mov_b32_e32 v28, v98
	v_add_f64 v[77:78], v[77:78], -v[99:100]
.LBB89_343:
	s_or_b64 exec, exec, s[2:3]
	v_cmp_eq_u32_e32 vcc, 38, v0
	s_waitcnt vmcnt(0)
	s_barrier
	s_and_saveexec_b64 s[4:5], vcc
	s_cbranch_execz .LBB89_350
; %bb.344:
	ds_write2_b64 v127, v[21:22], v[23:24] offset1:1
	ds_write2_b64 v125, v[17:18], v[19:20] offset0:78 offset1:79
	ds_write2_b64 v125, v[13:14], v[15:16] offset0:80 offset1:81
	ds_write2_b64 v125, v[9:10], v[11:12] offset0:82 offset1:83
	ds_write2_b64 v125, v[5:6], v[7:8] offset0:84 offset1:85
	ds_write2_b64 v125, v[1:2], v[3:4] offset0:86 offset1:87
	ds_write2_b64 v125, v[75:76], v[77:78] offset0:88 offset1:89
	ds_read2_b64 v[97:100], v127 offset1:1
	s_waitcnt lgkmcnt(0)
	v_cmp_neq_f64_e32 vcc, 0, v[97:98]
	v_cmp_neq_f64_e64 s[2:3], 0, v[99:100]
	s_or_b64 s[2:3], vcc, s[2:3]
	s_and_b64 exec, exec, s[2:3]
	s_cbranch_execz .LBB89_350
; %bb.345:
	v_cmp_ngt_f64_e64 s[2:3], |v[97:98]|, |v[99:100]|
                                        ; implicit-def: $vgpr101_vgpr102
	s_and_saveexec_b64 s[6:7], s[2:3]
	s_xor_b64 s[2:3], exec, s[6:7]
                                        ; implicit-def: $vgpr103_vgpr104
	s_cbranch_execz .LBB89_347
; %bb.346:
	v_div_scale_f64 v[101:102], s[6:7], v[99:100], v[99:100], v[97:98]
	v_rcp_f64_e32 v[103:104], v[101:102]
	v_fma_f64 v[105:106], -v[101:102], v[103:104], 1.0
	v_fma_f64 v[103:104], v[103:104], v[105:106], v[103:104]
	v_div_scale_f64 v[105:106], vcc, v[97:98], v[99:100], v[97:98]
	v_fma_f64 v[107:108], -v[101:102], v[103:104], 1.0
	v_fma_f64 v[103:104], v[103:104], v[107:108], v[103:104]
	v_mul_f64 v[107:108], v[105:106], v[103:104]
	v_fma_f64 v[101:102], -v[101:102], v[107:108], v[105:106]
	v_div_fmas_f64 v[101:102], v[101:102], v[103:104], v[107:108]
	v_div_fixup_f64 v[101:102], v[101:102], v[99:100], v[97:98]
	v_fma_f64 v[97:98], v[97:98], v[101:102], v[99:100]
	v_div_scale_f64 v[99:100], s[6:7], v[97:98], v[97:98], 1.0
	v_div_scale_f64 v[107:108], vcc, 1.0, v[97:98], 1.0
	v_rcp_f64_e32 v[103:104], v[99:100]
	v_fma_f64 v[105:106], -v[99:100], v[103:104], 1.0
	v_fma_f64 v[103:104], v[103:104], v[105:106], v[103:104]
	v_fma_f64 v[105:106], -v[99:100], v[103:104], 1.0
	v_fma_f64 v[103:104], v[103:104], v[105:106], v[103:104]
	v_mul_f64 v[105:106], v[107:108], v[103:104]
	v_fma_f64 v[99:100], -v[99:100], v[105:106], v[107:108]
	v_div_fmas_f64 v[99:100], v[99:100], v[103:104], v[105:106]
	v_div_fixup_f64 v[103:104], v[99:100], v[97:98], 1.0
                                        ; implicit-def: $vgpr97_vgpr98
	v_mul_f64 v[101:102], v[101:102], v[103:104]
	v_xor_b32_e32 v104, 0x80000000, v104
.LBB89_347:
	s_andn2_saveexec_b64 s[2:3], s[2:3]
	s_cbranch_execz .LBB89_349
; %bb.348:
	v_div_scale_f64 v[101:102], s[6:7], v[97:98], v[97:98], v[99:100]
	v_rcp_f64_e32 v[103:104], v[101:102]
	v_fma_f64 v[105:106], -v[101:102], v[103:104], 1.0
	v_fma_f64 v[103:104], v[103:104], v[105:106], v[103:104]
	v_div_scale_f64 v[105:106], vcc, v[99:100], v[97:98], v[99:100]
	v_fma_f64 v[107:108], -v[101:102], v[103:104], 1.0
	v_fma_f64 v[103:104], v[103:104], v[107:108], v[103:104]
	v_mul_f64 v[107:108], v[105:106], v[103:104]
	v_fma_f64 v[101:102], -v[101:102], v[107:108], v[105:106]
	v_div_fmas_f64 v[101:102], v[101:102], v[103:104], v[107:108]
	v_div_fixup_f64 v[103:104], v[101:102], v[97:98], v[99:100]
	v_fma_f64 v[97:98], v[99:100], v[103:104], v[97:98]
	v_div_scale_f64 v[99:100], s[6:7], v[97:98], v[97:98], 1.0
	v_div_scale_f64 v[107:108], vcc, 1.0, v[97:98], 1.0
	v_rcp_f64_e32 v[101:102], v[99:100]
	v_fma_f64 v[105:106], -v[99:100], v[101:102], 1.0
	v_fma_f64 v[101:102], v[101:102], v[105:106], v[101:102]
	v_fma_f64 v[105:106], -v[99:100], v[101:102], 1.0
	v_fma_f64 v[101:102], v[101:102], v[105:106], v[101:102]
	v_mul_f64 v[105:106], v[107:108], v[101:102]
	v_fma_f64 v[99:100], -v[99:100], v[105:106], v[107:108]
	v_div_fmas_f64 v[99:100], v[99:100], v[101:102], v[105:106]
	v_div_fixup_f64 v[101:102], v[99:100], v[97:98], 1.0
	v_mul_f64 v[103:104], v[103:104], -v[101:102]
.LBB89_349:
	s_or_b64 exec, exec, s[2:3]
	ds_write2_b64 v127, v[101:102], v[103:104] offset1:1
.LBB89_350:
	s_or_b64 exec, exec, s[4:5]
	s_waitcnt lgkmcnt(0)
	s_barrier
	ds_read2_b64 v[65:68], v127 offset1:1
	v_cmp_lt_u32_e32 vcc, 38, v0
	s_waitcnt lgkmcnt(0)
	buffer_store_dword v65, off, s[20:23], 0 offset:1312 ; 4-byte Folded Spill
	s_nop 0
	buffer_store_dword v66, off, s[20:23], 0 offset:1316 ; 4-byte Folded Spill
	buffer_store_dword v67, off, s[20:23], 0 offset:1320 ; 4-byte Folded Spill
	;; [unrolled: 1-line block ×3, first 2 shown]
	s_and_saveexec_b64 s[2:3], vcc
	s_cbranch_execz .LBB89_352
; %bb.351:
	buffer_load_dword v65, off, s[20:23], 0 offset:1312 ; 4-byte Folded Reload
	buffer_load_dword v66, off, s[20:23], 0 offset:1316 ; 4-byte Folded Reload
	buffer_load_dword v67, off, s[20:23], 0 offset:1320 ; 4-byte Folded Reload
	buffer_load_dword v68, off, s[20:23], 0 offset:1324 ; 4-byte Folded Reload
	ds_read2_b64 v[99:102], v125 offset0:78 offset1:79
	s_waitcnt vmcnt(2)
	v_mul_f64 v[97:98], v[65:66], v[23:24]
	s_waitcnt vmcnt(0)
	v_mul_f64 v[23:24], v[67:68], v[23:24]
	v_fma_f64 v[97:98], v[67:68], v[21:22], v[97:98]
	v_fma_f64 v[21:22], v[65:66], v[21:22], -v[23:24]
	s_waitcnt lgkmcnt(0)
	v_mul_f64 v[23:24], v[101:102], v[97:98]
	v_fma_f64 v[23:24], v[99:100], v[21:22], -v[23:24]
	v_mul_f64 v[99:100], v[99:100], v[97:98]
	v_add_f64 v[17:18], v[17:18], -v[23:24]
	v_fma_f64 v[99:100], v[101:102], v[21:22], v[99:100]
	v_add_f64 v[19:20], v[19:20], -v[99:100]
	ds_read2_b64 v[99:102], v125 offset0:80 offset1:81
	s_waitcnt lgkmcnt(0)
	v_mul_f64 v[23:24], v[101:102], v[97:98]
	v_fma_f64 v[23:24], v[99:100], v[21:22], -v[23:24]
	v_mul_f64 v[99:100], v[99:100], v[97:98]
	v_add_f64 v[13:14], v[13:14], -v[23:24]
	v_fma_f64 v[99:100], v[101:102], v[21:22], v[99:100]
	v_add_f64 v[15:16], v[15:16], -v[99:100]
	ds_read2_b64 v[99:102], v125 offset0:82 offset1:83
	s_waitcnt lgkmcnt(0)
	v_mul_f64 v[23:24], v[101:102], v[97:98]
	v_fma_f64 v[23:24], v[99:100], v[21:22], -v[23:24]
	v_mul_f64 v[99:100], v[99:100], v[97:98]
	v_add_f64 v[9:10], v[9:10], -v[23:24]
	v_fma_f64 v[99:100], v[101:102], v[21:22], v[99:100]
	v_add_f64 v[11:12], v[11:12], -v[99:100]
	ds_read2_b64 v[99:102], v125 offset0:84 offset1:85
	s_waitcnt lgkmcnt(0)
	v_mul_f64 v[23:24], v[101:102], v[97:98]
	v_fma_f64 v[23:24], v[99:100], v[21:22], -v[23:24]
	v_mul_f64 v[99:100], v[99:100], v[97:98]
	v_add_f64 v[5:6], v[5:6], -v[23:24]
	v_fma_f64 v[99:100], v[101:102], v[21:22], v[99:100]
	v_add_f64 v[7:8], v[7:8], -v[99:100]
	ds_read2_b64 v[99:102], v125 offset0:86 offset1:87
	s_waitcnt lgkmcnt(0)
	v_mul_f64 v[23:24], v[101:102], v[97:98]
	v_fma_f64 v[23:24], v[99:100], v[21:22], -v[23:24]
	v_mul_f64 v[99:100], v[99:100], v[97:98]
	v_add_f64 v[1:2], v[1:2], -v[23:24]
	v_fma_f64 v[99:100], v[101:102], v[21:22], v[99:100]
	v_add_f64 v[3:4], v[3:4], -v[99:100]
	ds_read2_b64 v[99:102], v125 offset0:88 offset1:89
	s_waitcnt lgkmcnt(0)
	v_mul_f64 v[23:24], v[101:102], v[97:98]
	v_fma_f64 v[23:24], v[99:100], v[21:22], -v[23:24]
	v_mul_f64 v[99:100], v[99:100], v[97:98]
	v_add_f64 v[75:76], v[75:76], -v[23:24]
	v_fma_f64 v[99:100], v[101:102], v[21:22], v[99:100]
	v_mov_b32_e32 v23, v97
	v_mov_b32_e32 v24, v98
	v_add_f64 v[77:78], v[77:78], -v[99:100]
.LBB89_352:
	s_or_b64 exec, exec, s[2:3]
	v_cmp_eq_u32_e32 vcc, 39, v0
	s_waitcnt vmcnt(0)
	s_barrier
	s_and_saveexec_b64 s[4:5], vcc
	s_cbranch_execz .LBB89_359
; %bb.353:
	ds_write2_b64 v127, v[17:18], v[19:20] offset1:1
	ds_write2_b64 v125, v[13:14], v[15:16] offset0:80 offset1:81
	ds_write2_b64 v125, v[9:10], v[11:12] offset0:82 offset1:83
	;; [unrolled: 1-line block ×5, first 2 shown]
	ds_read2_b64 v[97:100], v127 offset1:1
	s_waitcnt lgkmcnt(0)
	v_cmp_neq_f64_e32 vcc, 0, v[97:98]
	v_cmp_neq_f64_e64 s[2:3], 0, v[99:100]
	s_or_b64 s[2:3], vcc, s[2:3]
	s_and_b64 exec, exec, s[2:3]
	s_cbranch_execz .LBB89_359
; %bb.354:
	v_cmp_ngt_f64_e64 s[2:3], |v[97:98]|, |v[99:100]|
                                        ; implicit-def: $vgpr101_vgpr102
	s_and_saveexec_b64 s[6:7], s[2:3]
	s_xor_b64 s[2:3], exec, s[6:7]
                                        ; implicit-def: $vgpr103_vgpr104
	s_cbranch_execz .LBB89_356
; %bb.355:
	v_div_scale_f64 v[101:102], s[6:7], v[99:100], v[99:100], v[97:98]
	v_rcp_f64_e32 v[103:104], v[101:102]
	v_fma_f64 v[105:106], -v[101:102], v[103:104], 1.0
	v_fma_f64 v[103:104], v[103:104], v[105:106], v[103:104]
	v_div_scale_f64 v[105:106], vcc, v[97:98], v[99:100], v[97:98]
	v_fma_f64 v[107:108], -v[101:102], v[103:104], 1.0
	v_fma_f64 v[103:104], v[103:104], v[107:108], v[103:104]
	v_mul_f64 v[107:108], v[105:106], v[103:104]
	v_fma_f64 v[101:102], -v[101:102], v[107:108], v[105:106]
	v_div_fmas_f64 v[101:102], v[101:102], v[103:104], v[107:108]
	v_div_fixup_f64 v[101:102], v[101:102], v[99:100], v[97:98]
	v_fma_f64 v[97:98], v[97:98], v[101:102], v[99:100]
	v_div_scale_f64 v[99:100], s[6:7], v[97:98], v[97:98], 1.0
	v_div_scale_f64 v[107:108], vcc, 1.0, v[97:98], 1.0
	v_rcp_f64_e32 v[103:104], v[99:100]
	v_fma_f64 v[105:106], -v[99:100], v[103:104], 1.0
	v_fma_f64 v[103:104], v[103:104], v[105:106], v[103:104]
	v_fma_f64 v[105:106], -v[99:100], v[103:104], 1.0
	v_fma_f64 v[103:104], v[103:104], v[105:106], v[103:104]
	v_mul_f64 v[105:106], v[107:108], v[103:104]
	v_fma_f64 v[99:100], -v[99:100], v[105:106], v[107:108]
	v_div_fmas_f64 v[99:100], v[99:100], v[103:104], v[105:106]
	v_div_fixup_f64 v[103:104], v[99:100], v[97:98], 1.0
                                        ; implicit-def: $vgpr97_vgpr98
	v_mul_f64 v[101:102], v[101:102], v[103:104]
	v_xor_b32_e32 v104, 0x80000000, v104
.LBB89_356:
	s_andn2_saveexec_b64 s[2:3], s[2:3]
	s_cbranch_execz .LBB89_358
; %bb.357:
	v_div_scale_f64 v[101:102], s[6:7], v[97:98], v[97:98], v[99:100]
	v_rcp_f64_e32 v[103:104], v[101:102]
	v_fma_f64 v[105:106], -v[101:102], v[103:104], 1.0
	v_fma_f64 v[103:104], v[103:104], v[105:106], v[103:104]
	v_div_scale_f64 v[105:106], vcc, v[99:100], v[97:98], v[99:100]
	v_fma_f64 v[107:108], -v[101:102], v[103:104], 1.0
	v_fma_f64 v[103:104], v[103:104], v[107:108], v[103:104]
	v_mul_f64 v[107:108], v[105:106], v[103:104]
	v_fma_f64 v[101:102], -v[101:102], v[107:108], v[105:106]
	v_div_fmas_f64 v[101:102], v[101:102], v[103:104], v[107:108]
	v_div_fixup_f64 v[103:104], v[101:102], v[97:98], v[99:100]
	v_fma_f64 v[97:98], v[99:100], v[103:104], v[97:98]
	v_div_scale_f64 v[99:100], s[6:7], v[97:98], v[97:98], 1.0
	v_div_scale_f64 v[107:108], vcc, 1.0, v[97:98], 1.0
	v_rcp_f64_e32 v[101:102], v[99:100]
	v_fma_f64 v[105:106], -v[99:100], v[101:102], 1.0
	v_fma_f64 v[101:102], v[101:102], v[105:106], v[101:102]
	v_fma_f64 v[105:106], -v[99:100], v[101:102], 1.0
	v_fma_f64 v[101:102], v[101:102], v[105:106], v[101:102]
	v_mul_f64 v[105:106], v[107:108], v[101:102]
	v_fma_f64 v[99:100], -v[99:100], v[105:106], v[107:108]
	v_div_fmas_f64 v[99:100], v[99:100], v[101:102], v[105:106]
	v_div_fixup_f64 v[101:102], v[99:100], v[97:98], 1.0
	v_mul_f64 v[103:104], v[103:104], -v[101:102]
.LBB89_358:
	s_or_b64 exec, exec, s[2:3]
	ds_write2_b64 v127, v[101:102], v[103:104] offset1:1
.LBB89_359:
	s_or_b64 exec, exec, s[4:5]
	s_waitcnt lgkmcnt(0)
	s_barrier
	ds_read2_b64 v[65:68], v127 offset1:1
	v_cmp_lt_u32_e32 vcc, 39, v0
	s_waitcnt lgkmcnt(0)
	buffer_store_dword v65, off, s[20:23], 0 offset:1328 ; 4-byte Folded Spill
	s_nop 0
	buffer_store_dword v66, off, s[20:23], 0 offset:1332 ; 4-byte Folded Spill
	buffer_store_dword v67, off, s[20:23], 0 offset:1336 ; 4-byte Folded Spill
	;; [unrolled: 1-line block ×3, first 2 shown]
	s_and_saveexec_b64 s[2:3], vcc
	s_cbranch_execz .LBB89_361
; %bb.360:
	buffer_load_dword v65, off, s[20:23], 0 offset:1328 ; 4-byte Folded Reload
	buffer_load_dword v66, off, s[20:23], 0 offset:1332 ; 4-byte Folded Reload
	;; [unrolled: 1-line block ×4, first 2 shown]
	s_waitcnt vmcnt(2)
	v_mul_f64 v[97:98], v[65:66], v[19:20]
	s_waitcnt vmcnt(0)
	v_mul_f64 v[19:20], v[67:68], v[19:20]
	v_fma_f64 v[101:102], v[67:68], v[17:18], v[97:98]
	ds_read2_b64 v[97:100], v125 offset0:80 offset1:81
	v_fma_f64 v[17:18], v[65:66], v[17:18], -v[19:20]
	s_waitcnt lgkmcnt(0)
	v_mul_f64 v[19:20], v[99:100], v[101:102]
	v_fma_f64 v[19:20], v[97:98], v[17:18], -v[19:20]
	v_mul_f64 v[97:98], v[97:98], v[101:102]
	v_add_f64 v[13:14], v[13:14], -v[19:20]
	v_fma_f64 v[97:98], v[99:100], v[17:18], v[97:98]
	v_add_f64 v[15:16], v[15:16], -v[97:98]
	ds_read2_b64 v[97:100], v125 offset0:82 offset1:83
	s_waitcnt lgkmcnt(0)
	v_mul_f64 v[19:20], v[99:100], v[101:102]
	v_fma_f64 v[19:20], v[97:98], v[17:18], -v[19:20]
	v_mul_f64 v[97:98], v[97:98], v[101:102]
	v_add_f64 v[9:10], v[9:10], -v[19:20]
	v_fma_f64 v[97:98], v[99:100], v[17:18], v[97:98]
	v_add_f64 v[11:12], v[11:12], -v[97:98]
	ds_read2_b64 v[97:100], v125 offset0:84 offset1:85
	;; [unrolled: 8-line block ×4, first 2 shown]
	s_waitcnt lgkmcnt(0)
	v_mul_f64 v[19:20], v[99:100], v[101:102]
	v_fma_f64 v[19:20], v[97:98], v[17:18], -v[19:20]
	v_mul_f64 v[97:98], v[97:98], v[101:102]
	v_add_f64 v[75:76], v[75:76], -v[19:20]
	v_fma_f64 v[97:98], v[99:100], v[17:18], v[97:98]
	v_mov_b32_e32 v19, v101
	v_mov_b32_e32 v20, v102
	v_add_f64 v[77:78], v[77:78], -v[97:98]
.LBB89_361:
	s_or_b64 exec, exec, s[2:3]
	v_cmp_eq_u32_e32 vcc, 40, v0
	s_waitcnt vmcnt(0)
	s_barrier
	s_and_saveexec_b64 s[4:5], vcc
	s_cbranch_execz .LBB89_368
; %bb.362:
	ds_write2_b64 v127, v[13:14], v[15:16] offset1:1
	ds_write2_b64 v125, v[9:10], v[11:12] offset0:82 offset1:83
	ds_write2_b64 v125, v[5:6], v[7:8] offset0:84 offset1:85
	;; [unrolled: 1-line block ×4, first 2 shown]
	ds_read2_b64 v[97:100], v127 offset1:1
	s_waitcnt lgkmcnt(0)
	v_cmp_neq_f64_e32 vcc, 0, v[97:98]
	v_cmp_neq_f64_e64 s[2:3], 0, v[99:100]
	s_or_b64 s[2:3], vcc, s[2:3]
	s_and_b64 exec, exec, s[2:3]
	s_cbranch_execz .LBB89_368
; %bb.363:
	v_cmp_ngt_f64_e64 s[2:3], |v[97:98]|, |v[99:100]|
                                        ; implicit-def: $vgpr101_vgpr102
	s_and_saveexec_b64 s[6:7], s[2:3]
	s_xor_b64 s[2:3], exec, s[6:7]
                                        ; implicit-def: $vgpr103_vgpr104
	s_cbranch_execz .LBB89_365
; %bb.364:
	v_div_scale_f64 v[101:102], s[6:7], v[99:100], v[99:100], v[97:98]
	v_rcp_f64_e32 v[103:104], v[101:102]
	v_fma_f64 v[105:106], -v[101:102], v[103:104], 1.0
	v_fma_f64 v[103:104], v[103:104], v[105:106], v[103:104]
	v_div_scale_f64 v[105:106], vcc, v[97:98], v[99:100], v[97:98]
	v_fma_f64 v[107:108], -v[101:102], v[103:104], 1.0
	v_fma_f64 v[103:104], v[103:104], v[107:108], v[103:104]
	v_mul_f64 v[107:108], v[105:106], v[103:104]
	v_fma_f64 v[101:102], -v[101:102], v[107:108], v[105:106]
	v_div_fmas_f64 v[101:102], v[101:102], v[103:104], v[107:108]
	v_div_fixup_f64 v[101:102], v[101:102], v[99:100], v[97:98]
	v_fma_f64 v[97:98], v[97:98], v[101:102], v[99:100]
	v_div_scale_f64 v[99:100], s[6:7], v[97:98], v[97:98], 1.0
	v_div_scale_f64 v[107:108], vcc, 1.0, v[97:98], 1.0
	v_rcp_f64_e32 v[103:104], v[99:100]
	v_fma_f64 v[105:106], -v[99:100], v[103:104], 1.0
	v_fma_f64 v[103:104], v[103:104], v[105:106], v[103:104]
	v_fma_f64 v[105:106], -v[99:100], v[103:104], 1.0
	v_fma_f64 v[103:104], v[103:104], v[105:106], v[103:104]
	v_mul_f64 v[105:106], v[107:108], v[103:104]
	v_fma_f64 v[99:100], -v[99:100], v[105:106], v[107:108]
	v_div_fmas_f64 v[99:100], v[99:100], v[103:104], v[105:106]
	v_div_fixup_f64 v[103:104], v[99:100], v[97:98], 1.0
                                        ; implicit-def: $vgpr97_vgpr98
	v_mul_f64 v[101:102], v[101:102], v[103:104]
	v_xor_b32_e32 v104, 0x80000000, v104
.LBB89_365:
	s_andn2_saveexec_b64 s[2:3], s[2:3]
	s_cbranch_execz .LBB89_367
; %bb.366:
	v_div_scale_f64 v[101:102], s[6:7], v[97:98], v[97:98], v[99:100]
	v_rcp_f64_e32 v[103:104], v[101:102]
	v_fma_f64 v[105:106], -v[101:102], v[103:104], 1.0
	v_fma_f64 v[103:104], v[103:104], v[105:106], v[103:104]
	v_div_scale_f64 v[105:106], vcc, v[99:100], v[97:98], v[99:100]
	v_fma_f64 v[107:108], -v[101:102], v[103:104], 1.0
	v_fma_f64 v[103:104], v[103:104], v[107:108], v[103:104]
	v_mul_f64 v[107:108], v[105:106], v[103:104]
	v_fma_f64 v[101:102], -v[101:102], v[107:108], v[105:106]
	v_div_fmas_f64 v[101:102], v[101:102], v[103:104], v[107:108]
	v_div_fixup_f64 v[103:104], v[101:102], v[97:98], v[99:100]
	v_fma_f64 v[97:98], v[99:100], v[103:104], v[97:98]
	v_div_scale_f64 v[99:100], s[6:7], v[97:98], v[97:98], 1.0
	v_div_scale_f64 v[107:108], vcc, 1.0, v[97:98], 1.0
	v_rcp_f64_e32 v[101:102], v[99:100]
	v_fma_f64 v[105:106], -v[99:100], v[101:102], 1.0
	v_fma_f64 v[101:102], v[101:102], v[105:106], v[101:102]
	v_fma_f64 v[105:106], -v[99:100], v[101:102], 1.0
	v_fma_f64 v[101:102], v[101:102], v[105:106], v[101:102]
	v_mul_f64 v[105:106], v[107:108], v[101:102]
	v_fma_f64 v[99:100], -v[99:100], v[105:106], v[107:108]
	v_div_fmas_f64 v[99:100], v[99:100], v[101:102], v[105:106]
	v_div_fixup_f64 v[101:102], v[99:100], v[97:98], 1.0
	v_mul_f64 v[103:104], v[103:104], -v[101:102]
.LBB89_367:
	s_or_b64 exec, exec, s[2:3]
	ds_write2_b64 v127, v[101:102], v[103:104] offset1:1
.LBB89_368:
	s_or_b64 exec, exec, s[4:5]
	s_waitcnt lgkmcnt(0)
	s_barrier
	ds_read2_b64 v[65:68], v127 offset1:1
	v_cmp_lt_u32_e32 vcc, 40, v0
	s_waitcnt lgkmcnt(0)
	buffer_store_dword v65, off, s[20:23], 0 offset:1344 ; 4-byte Folded Spill
	s_nop 0
	buffer_store_dword v66, off, s[20:23], 0 offset:1348 ; 4-byte Folded Spill
	buffer_store_dword v67, off, s[20:23], 0 offset:1352 ; 4-byte Folded Spill
	;; [unrolled: 1-line block ×3, first 2 shown]
	s_and_saveexec_b64 s[2:3], vcc
	s_cbranch_execz .LBB89_370
; %bb.369:
	buffer_load_dword v65, off, s[20:23], 0 offset:1344 ; 4-byte Folded Reload
	buffer_load_dword v66, off, s[20:23], 0 offset:1348 ; 4-byte Folded Reload
	buffer_load_dword v67, off, s[20:23], 0 offset:1352 ; 4-byte Folded Reload
	buffer_load_dword v68, off, s[20:23], 0 offset:1356 ; 4-byte Folded Reload
	s_waitcnt vmcnt(2)
	v_mul_f64 v[97:98], v[65:66], v[15:16]
	s_waitcnt vmcnt(0)
	v_mul_f64 v[15:16], v[67:68], v[15:16]
	v_fma_f64 v[101:102], v[67:68], v[13:14], v[97:98]
	ds_read2_b64 v[97:100], v125 offset0:82 offset1:83
	v_fma_f64 v[13:14], v[65:66], v[13:14], -v[15:16]
	s_waitcnt lgkmcnt(0)
	v_mul_f64 v[15:16], v[99:100], v[101:102]
	v_fma_f64 v[15:16], v[97:98], v[13:14], -v[15:16]
	v_mul_f64 v[97:98], v[97:98], v[101:102]
	v_add_f64 v[9:10], v[9:10], -v[15:16]
	v_fma_f64 v[97:98], v[99:100], v[13:14], v[97:98]
	v_add_f64 v[11:12], v[11:12], -v[97:98]
	ds_read2_b64 v[97:100], v125 offset0:84 offset1:85
	s_waitcnt lgkmcnt(0)
	v_mul_f64 v[15:16], v[99:100], v[101:102]
	v_fma_f64 v[15:16], v[97:98], v[13:14], -v[15:16]
	v_mul_f64 v[97:98], v[97:98], v[101:102]
	v_add_f64 v[5:6], v[5:6], -v[15:16]
	v_fma_f64 v[97:98], v[99:100], v[13:14], v[97:98]
	v_add_f64 v[7:8], v[7:8], -v[97:98]
	ds_read2_b64 v[97:100], v125 offset0:86 offset1:87
	;; [unrolled: 8-line block ×3, first 2 shown]
	s_waitcnt lgkmcnt(0)
	v_mul_f64 v[15:16], v[99:100], v[101:102]
	v_fma_f64 v[15:16], v[97:98], v[13:14], -v[15:16]
	v_mul_f64 v[97:98], v[97:98], v[101:102]
	v_add_f64 v[75:76], v[75:76], -v[15:16]
	v_fma_f64 v[97:98], v[99:100], v[13:14], v[97:98]
	v_mov_b32_e32 v15, v101
	v_mov_b32_e32 v16, v102
	v_add_f64 v[77:78], v[77:78], -v[97:98]
.LBB89_370:
	s_or_b64 exec, exec, s[2:3]
	v_cmp_eq_u32_e32 vcc, 41, v0
	s_waitcnt vmcnt(0)
	s_barrier
	s_and_saveexec_b64 s[4:5], vcc
	s_cbranch_execz .LBB89_377
; %bb.371:
	ds_write2_b64 v127, v[9:10], v[11:12] offset1:1
	ds_write2_b64 v125, v[5:6], v[7:8] offset0:84 offset1:85
	ds_write2_b64 v125, v[1:2], v[3:4] offset0:86 offset1:87
	;; [unrolled: 1-line block ×3, first 2 shown]
	ds_read2_b64 v[97:100], v127 offset1:1
	s_waitcnt lgkmcnt(0)
	v_cmp_neq_f64_e32 vcc, 0, v[97:98]
	v_cmp_neq_f64_e64 s[2:3], 0, v[99:100]
	s_or_b64 s[2:3], vcc, s[2:3]
	s_and_b64 exec, exec, s[2:3]
	s_cbranch_execz .LBB89_377
; %bb.372:
	v_cmp_ngt_f64_e64 s[2:3], |v[97:98]|, |v[99:100]|
                                        ; implicit-def: $vgpr101_vgpr102
	s_and_saveexec_b64 s[6:7], s[2:3]
	s_xor_b64 s[2:3], exec, s[6:7]
                                        ; implicit-def: $vgpr103_vgpr104
	s_cbranch_execz .LBB89_374
; %bb.373:
	v_div_scale_f64 v[101:102], s[6:7], v[99:100], v[99:100], v[97:98]
	v_rcp_f64_e32 v[103:104], v[101:102]
	v_fma_f64 v[105:106], -v[101:102], v[103:104], 1.0
	v_fma_f64 v[103:104], v[103:104], v[105:106], v[103:104]
	v_div_scale_f64 v[105:106], vcc, v[97:98], v[99:100], v[97:98]
	v_fma_f64 v[107:108], -v[101:102], v[103:104], 1.0
	v_fma_f64 v[103:104], v[103:104], v[107:108], v[103:104]
	v_mul_f64 v[107:108], v[105:106], v[103:104]
	v_fma_f64 v[101:102], -v[101:102], v[107:108], v[105:106]
	v_div_fmas_f64 v[101:102], v[101:102], v[103:104], v[107:108]
	v_div_fixup_f64 v[101:102], v[101:102], v[99:100], v[97:98]
	v_fma_f64 v[97:98], v[97:98], v[101:102], v[99:100]
	v_div_scale_f64 v[99:100], s[6:7], v[97:98], v[97:98], 1.0
	v_div_scale_f64 v[107:108], vcc, 1.0, v[97:98], 1.0
	v_rcp_f64_e32 v[103:104], v[99:100]
	v_fma_f64 v[105:106], -v[99:100], v[103:104], 1.0
	v_fma_f64 v[103:104], v[103:104], v[105:106], v[103:104]
	v_fma_f64 v[105:106], -v[99:100], v[103:104], 1.0
	v_fma_f64 v[103:104], v[103:104], v[105:106], v[103:104]
	v_mul_f64 v[105:106], v[107:108], v[103:104]
	v_fma_f64 v[99:100], -v[99:100], v[105:106], v[107:108]
	v_div_fmas_f64 v[99:100], v[99:100], v[103:104], v[105:106]
	v_div_fixup_f64 v[103:104], v[99:100], v[97:98], 1.0
                                        ; implicit-def: $vgpr97_vgpr98
	v_mul_f64 v[101:102], v[101:102], v[103:104]
	v_xor_b32_e32 v104, 0x80000000, v104
.LBB89_374:
	s_andn2_saveexec_b64 s[2:3], s[2:3]
	s_cbranch_execz .LBB89_376
; %bb.375:
	v_div_scale_f64 v[101:102], s[6:7], v[97:98], v[97:98], v[99:100]
	v_rcp_f64_e32 v[103:104], v[101:102]
	v_fma_f64 v[105:106], -v[101:102], v[103:104], 1.0
	v_fma_f64 v[103:104], v[103:104], v[105:106], v[103:104]
	v_div_scale_f64 v[105:106], vcc, v[99:100], v[97:98], v[99:100]
	v_fma_f64 v[107:108], -v[101:102], v[103:104], 1.0
	v_fma_f64 v[103:104], v[103:104], v[107:108], v[103:104]
	v_mul_f64 v[107:108], v[105:106], v[103:104]
	v_fma_f64 v[101:102], -v[101:102], v[107:108], v[105:106]
	v_div_fmas_f64 v[101:102], v[101:102], v[103:104], v[107:108]
	v_div_fixup_f64 v[103:104], v[101:102], v[97:98], v[99:100]
	v_fma_f64 v[97:98], v[99:100], v[103:104], v[97:98]
	v_div_scale_f64 v[99:100], s[6:7], v[97:98], v[97:98], 1.0
	v_div_scale_f64 v[107:108], vcc, 1.0, v[97:98], 1.0
	v_rcp_f64_e32 v[101:102], v[99:100]
	v_fma_f64 v[105:106], -v[99:100], v[101:102], 1.0
	v_fma_f64 v[101:102], v[101:102], v[105:106], v[101:102]
	v_fma_f64 v[105:106], -v[99:100], v[101:102], 1.0
	v_fma_f64 v[101:102], v[101:102], v[105:106], v[101:102]
	v_mul_f64 v[105:106], v[107:108], v[101:102]
	v_fma_f64 v[99:100], -v[99:100], v[105:106], v[107:108]
	v_div_fmas_f64 v[99:100], v[99:100], v[101:102], v[105:106]
	v_div_fixup_f64 v[101:102], v[99:100], v[97:98], 1.0
	v_mul_f64 v[103:104], v[103:104], -v[101:102]
.LBB89_376:
	s_or_b64 exec, exec, s[2:3]
	ds_write2_b64 v127, v[101:102], v[103:104] offset1:1
.LBB89_377:
	s_or_b64 exec, exec, s[4:5]
	s_waitcnt lgkmcnt(0)
	s_barrier
	ds_read2_b64 v[65:68], v127 offset1:1
	v_cmp_lt_u32_e32 vcc, 41, v0
	s_waitcnt lgkmcnt(0)
	buffer_store_dword v65, off, s[20:23], 0 offset:1360 ; 4-byte Folded Spill
	s_nop 0
	buffer_store_dword v66, off, s[20:23], 0 offset:1364 ; 4-byte Folded Spill
	buffer_store_dword v67, off, s[20:23], 0 offset:1368 ; 4-byte Folded Spill
	;; [unrolled: 1-line block ×3, first 2 shown]
	s_and_saveexec_b64 s[2:3], vcc
	s_cbranch_execz .LBB89_379
; %bb.378:
	buffer_load_dword v65, off, s[20:23], 0 offset:1360 ; 4-byte Folded Reload
	buffer_load_dword v66, off, s[20:23], 0 offset:1364 ; 4-byte Folded Reload
	;; [unrolled: 1-line block ×4, first 2 shown]
	s_waitcnt vmcnt(2)
	v_mul_f64 v[97:98], v[65:66], v[11:12]
	s_waitcnt vmcnt(0)
	v_mul_f64 v[11:12], v[67:68], v[11:12]
	v_fma_f64 v[101:102], v[67:68], v[9:10], v[97:98]
	ds_read2_b64 v[97:100], v125 offset0:84 offset1:85
	v_fma_f64 v[9:10], v[65:66], v[9:10], -v[11:12]
	s_waitcnt lgkmcnt(0)
	v_mul_f64 v[11:12], v[99:100], v[101:102]
	v_fma_f64 v[11:12], v[97:98], v[9:10], -v[11:12]
	v_mul_f64 v[97:98], v[97:98], v[101:102]
	v_add_f64 v[5:6], v[5:6], -v[11:12]
	v_fma_f64 v[97:98], v[99:100], v[9:10], v[97:98]
	v_add_f64 v[7:8], v[7:8], -v[97:98]
	ds_read2_b64 v[97:100], v125 offset0:86 offset1:87
	s_waitcnt lgkmcnt(0)
	v_mul_f64 v[11:12], v[99:100], v[101:102]
	v_fma_f64 v[11:12], v[97:98], v[9:10], -v[11:12]
	v_mul_f64 v[97:98], v[97:98], v[101:102]
	v_add_f64 v[1:2], v[1:2], -v[11:12]
	v_fma_f64 v[97:98], v[99:100], v[9:10], v[97:98]
	v_add_f64 v[3:4], v[3:4], -v[97:98]
	ds_read2_b64 v[97:100], v125 offset0:88 offset1:89
	s_waitcnt lgkmcnt(0)
	v_mul_f64 v[11:12], v[99:100], v[101:102]
	v_fma_f64 v[11:12], v[97:98], v[9:10], -v[11:12]
	v_mul_f64 v[97:98], v[97:98], v[101:102]
	v_add_f64 v[75:76], v[75:76], -v[11:12]
	v_fma_f64 v[97:98], v[99:100], v[9:10], v[97:98]
	v_mov_b32_e32 v11, v101
	v_mov_b32_e32 v12, v102
	v_add_f64 v[77:78], v[77:78], -v[97:98]
.LBB89_379:
	s_or_b64 exec, exec, s[2:3]
	v_cmp_eq_u32_e32 vcc, 42, v0
	s_waitcnt vmcnt(0)
	s_barrier
	s_and_saveexec_b64 s[4:5], vcc
	s_cbranch_execz .LBB89_386
; %bb.380:
	ds_write2_b64 v127, v[5:6], v[7:8] offset1:1
	ds_write2_b64 v125, v[1:2], v[3:4] offset0:86 offset1:87
	ds_write2_b64 v125, v[75:76], v[77:78] offset0:88 offset1:89
	ds_read2_b64 v[97:100], v127 offset1:1
	s_waitcnt lgkmcnt(0)
	v_cmp_neq_f64_e32 vcc, 0, v[97:98]
	v_cmp_neq_f64_e64 s[2:3], 0, v[99:100]
	s_or_b64 s[2:3], vcc, s[2:3]
	s_and_b64 exec, exec, s[2:3]
	s_cbranch_execz .LBB89_386
; %bb.381:
	v_cmp_ngt_f64_e64 s[2:3], |v[97:98]|, |v[99:100]|
                                        ; implicit-def: $vgpr101_vgpr102
	s_and_saveexec_b64 s[6:7], s[2:3]
	s_xor_b64 s[2:3], exec, s[6:7]
                                        ; implicit-def: $vgpr103_vgpr104
	s_cbranch_execz .LBB89_383
; %bb.382:
	v_div_scale_f64 v[101:102], s[6:7], v[99:100], v[99:100], v[97:98]
	v_rcp_f64_e32 v[103:104], v[101:102]
	v_fma_f64 v[105:106], -v[101:102], v[103:104], 1.0
	v_fma_f64 v[103:104], v[103:104], v[105:106], v[103:104]
	v_div_scale_f64 v[105:106], vcc, v[97:98], v[99:100], v[97:98]
	v_fma_f64 v[107:108], -v[101:102], v[103:104], 1.0
	v_fma_f64 v[103:104], v[103:104], v[107:108], v[103:104]
	v_mul_f64 v[107:108], v[105:106], v[103:104]
	v_fma_f64 v[101:102], -v[101:102], v[107:108], v[105:106]
	v_div_fmas_f64 v[101:102], v[101:102], v[103:104], v[107:108]
	v_div_fixup_f64 v[101:102], v[101:102], v[99:100], v[97:98]
	v_fma_f64 v[97:98], v[97:98], v[101:102], v[99:100]
	v_div_scale_f64 v[99:100], s[6:7], v[97:98], v[97:98], 1.0
	v_div_scale_f64 v[107:108], vcc, 1.0, v[97:98], 1.0
	v_rcp_f64_e32 v[103:104], v[99:100]
	v_fma_f64 v[105:106], -v[99:100], v[103:104], 1.0
	v_fma_f64 v[103:104], v[103:104], v[105:106], v[103:104]
	v_fma_f64 v[105:106], -v[99:100], v[103:104], 1.0
	v_fma_f64 v[103:104], v[103:104], v[105:106], v[103:104]
	v_mul_f64 v[105:106], v[107:108], v[103:104]
	v_fma_f64 v[99:100], -v[99:100], v[105:106], v[107:108]
	v_div_fmas_f64 v[99:100], v[99:100], v[103:104], v[105:106]
	v_div_fixup_f64 v[103:104], v[99:100], v[97:98], 1.0
                                        ; implicit-def: $vgpr97_vgpr98
	v_mul_f64 v[101:102], v[101:102], v[103:104]
	v_xor_b32_e32 v104, 0x80000000, v104
.LBB89_383:
	s_andn2_saveexec_b64 s[2:3], s[2:3]
	s_cbranch_execz .LBB89_385
; %bb.384:
	v_div_scale_f64 v[101:102], s[6:7], v[97:98], v[97:98], v[99:100]
	v_rcp_f64_e32 v[103:104], v[101:102]
	v_fma_f64 v[105:106], -v[101:102], v[103:104], 1.0
	v_fma_f64 v[103:104], v[103:104], v[105:106], v[103:104]
	v_div_scale_f64 v[105:106], vcc, v[99:100], v[97:98], v[99:100]
	v_fma_f64 v[107:108], -v[101:102], v[103:104], 1.0
	v_fma_f64 v[103:104], v[103:104], v[107:108], v[103:104]
	v_mul_f64 v[107:108], v[105:106], v[103:104]
	v_fma_f64 v[101:102], -v[101:102], v[107:108], v[105:106]
	v_div_fmas_f64 v[101:102], v[101:102], v[103:104], v[107:108]
	v_div_fixup_f64 v[103:104], v[101:102], v[97:98], v[99:100]
	v_fma_f64 v[97:98], v[99:100], v[103:104], v[97:98]
	v_div_scale_f64 v[99:100], s[6:7], v[97:98], v[97:98], 1.0
	v_div_scale_f64 v[107:108], vcc, 1.0, v[97:98], 1.0
	v_rcp_f64_e32 v[101:102], v[99:100]
	v_fma_f64 v[105:106], -v[99:100], v[101:102], 1.0
	v_fma_f64 v[101:102], v[101:102], v[105:106], v[101:102]
	v_fma_f64 v[105:106], -v[99:100], v[101:102], 1.0
	v_fma_f64 v[101:102], v[101:102], v[105:106], v[101:102]
	v_mul_f64 v[105:106], v[107:108], v[101:102]
	v_fma_f64 v[99:100], -v[99:100], v[105:106], v[107:108]
	v_div_fmas_f64 v[99:100], v[99:100], v[101:102], v[105:106]
	v_div_fixup_f64 v[101:102], v[99:100], v[97:98], 1.0
	v_mul_f64 v[103:104], v[103:104], -v[101:102]
.LBB89_385:
	s_or_b64 exec, exec, s[2:3]
	ds_write2_b64 v127, v[101:102], v[103:104] offset1:1
.LBB89_386:
	s_or_b64 exec, exec, s[4:5]
	s_waitcnt lgkmcnt(0)
	s_barrier
	ds_read2_b64 v[65:68], v127 offset1:1
	v_cmp_lt_u32_e32 vcc, 42, v0
	s_and_saveexec_b64 s[2:3], vcc
	s_cbranch_execz .LBB89_388
; %bb.387:
	s_waitcnt lgkmcnt(0)
	v_mul_f64 v[97:98], v[65:66], v[7:8]
	v_mul_f64 v[7:8], v[67:68], v[7:8]
	v_fma_f64 v[105:106], v[67:68], v[5:6], v[97:98]
	ds_read2_b64 v[97:100], v125 offset0:86 offset1:87
	v_fma_f64 v[5:6], v[65:66], v[5:6], -v[7:8]
	s_waitcnt lgkmcnt(0)
	v_mul_f64 v[7:8], v[99:100], v[105:106]
	v_fma_f64 v[7:8], v[97:98], v[5:6], -v[7:8]
	v_mul_f64 v[97:98], v[97:98], v[105:106]
	v_add_f64 v[1:2], v[1:2], -v[7:8]
	v_fma_f64 v[97:98], v[99:100], v[5:6], v[97:98]
	v_add_f64 v[3:4], v[3:4], -v[97:98]
	ds_read2_b64 v[97:100], v125 offset0:88 offset1:89
	s_waitcnt lgkmcnt(0)
	v_mul_f64 v[7:8], v[99:100], v[105:106]
	v_fma_f64 v[7:8], v[97:98], v[5:6], -v[7:8]
	v_mul_f64 v[97:98], v[97:98], v[105:106]
	v_add_f64 v[75:76], v[75:76], -v[7:8]
	v_fma_f64 v[97:98], v[99:100], v[5:6], v[97:98]
	v_mov_b32_e32 v7, v105
	v_mov_b32_e32 v8, v106
	v_add_f64 v[77:78], v[77:78], -v[97:98]
.LBB89_388:
	s_or_b64 exec, exec, s[2:3]
	v_cmp_eq_u32_e32 vcc, 43, v0
	s_waitcnt lgkmcnt(0)
	s_barrier
	s_and_saveexec_b64 s[4:5], vcc
	s_cbranch_execz .LBB89_395
; %bb.389:
	ds_write2_b64 v127, v[1:2], v[3:4] offset1:1
	ds_write2_b64 v125, v[75:76], v[77:78] offset0:88 offset1:89
	ds_read2_b64 v[97:100], v127 offset1:1
	s_waitcnt lgkmcnt(0)
	v_cmp_neq_f64_e32 vcc, 0, v[97:98]
	v_cmp_neq_f64_e64 s[2:3], 0, v[99:100]
	s_or_b64 s[2:3], vcc, s[2:3]
	s_and_b64 exec, exec, s[2:3]
	s_cbranch_execz .LBB89_395
; %bb.390:
	v_cmp_ngt_f64_e64 s[2:3], |v[97:98]|, |v[99:100]|
                                        ; implicit-def: $vgpr105_vgpr106
	s_and_saveexec_b64 s[6:7], s[2:3]
	s_xor_b64 s[2:3], exec, s[6:7]
                                        ; implicit-def: $vgpr107_vgpr108
	s_cbranch_execz .LBB89_392
; %bb.391:
	v_div_scale_f64 v[105:106], s[6:7], v[99:100], v[99:100], v[97:98]
	v_mov_b32_e32 v69, v75
	v_mov_b32_e32 v70, v76
	;; [unrolled: 1-line block ×8, first 2 shown]
	v_div_scale_f64 v[95:96], vcc, v[97:98], v[99:100], v[97:98]
	v_rcp_f64_e32 v[107:108], v[105:106]
	v_fma_f64 v[93:94], -v[105:106], v[107:108], 1.0
	v_fma_f64 v[93:94], v[107:108], v[93:94], v[107:108]
	v_fma_f64 v[107:108], -v[105:106], v[93:94], 1.0
	v_fma_f64 v[93:94], v[93:94], v[107:108], v[93:94]
	v_mul_f64 v[107:108], v[95:96], v[93:94]
	v_fma_f64 v[95:96], -v[105:106], v[107:108], v[95:96]
	v_div_fmas_f64 v[93:94], v[95:96], v[93:94], v[107:108]
	v_div_fixup_f64 v[93:94], v[93:94], v[99:100], v[97:98]
	v_fma_f64 v[95:96], v[97:98], v[93:94], v[99:100]
	v_div_scale_f64 v[97:98], s[6:7], v[95:96], v[95:96], 1.0
	v_div_scale_f64 v[107:108], vcc, 1.0, v[95:96], 1.0
	v_rcp_f64_e32 v[99:100], v[97:98]
	v_fma_f64 v[105:106], -v[97:98], v[99:100], 1.0
	v_fma_f64 v[99:100], v[99:100], v[105:106], v[99:100]
	v_fma_f64 v[105:106], -v[97:98], v[99:100], 1.0
	v_fma_f64 v[99:100], v[99:100], v[105:106], v[99:100]
	v_mul_f64 v[105:106], v[107:108], v[99:100]
	v_fma_f64 v[97:98], -v[97:98], v[105:106], v[107:108]
	v_div_fmas_f64 v[97:98], v[97:98], v[99:100], v[105:106]
	v_div_fixup_f64 v[107:108], v[97:98], v[95:96], 1.0
                                        ; implicit-def: $vgpr97_vgpr98
	v_mul_f64 v[105:106], v[93:94], v[107:108]
	v_mov_b32_e32 v96, v76
	v_mov_b32_e32 v95, v75
	;; [unrolled: 1-line block ×8, first 2 shown]
	v_xor_b32_e32 v108, 0x80000000, v108
.LBB89_392:
	s_andn2_saveexec_b64 s[2:3], s[2:3]
	s_cbranch_execz .LBB89_394
; %bb.393:
	v_mov_b32_e32 v69, v75
	v_mov_b32_e32 v70, v76
	;; [unrolled: 1-line block ×8, first 2 shown]
	v_div_scale_f64 v[93:94], s[6:7], v[97:98], v[97:98], v[99:100]
	v_rcp_f64_e32 v[95:96], v[93:94]
	v_fma_f64 v[105:106], -v[93:94], v[95:96], 1.0
	v_fma_f64 v[95:96], v[95:96], v[105:106], v[95:96]
	v_div_scale_f64 v[105:106], vcc, v[99:100], v[97:98], v[99:100]
	v_fma_f64 v[107:108], -v[93:94], v[95:96], 1.0
	v_fma_f64 v[95:96], v[95:96], v[107:108], v[95:96]
	v_mul_f64 v[107:108], v[105:106], v[95:96]
	v_fma_f64 v[93:94], -v[93:94], v[107:108], v[105:106]
	v_div_fmas_f64 v[93:94], v[93:94], v[95:96], v[107:108]
	v_div_fixup_f64 v[93:94], v[93:94], v[97:98], v[99:100]
	v_fma_f64 v[95:96], v[99:100], v[93:94], v[97:98]
	v_div_scale_f64 v[97:98], s[6:7], v[95:96], v[95:96], 1.0
	v_div_scale_f64 v[107:108], vcc, 1.0, v[95:96], 1.0
	v_rcp_f64_e32 v[99:100], v[97:98]
	v_fma_f64 v[105:106], -v[97:98], v[99:100], 1.0
	v_fma_f64 v[99:100], v[99:100], v[105:106], v[99:100]
	v_fma_f64 v[105:106], -v[97:98], v[99:100], 1.0
	v_fma_f64 v[99:100], v[99:100], v[105:106], v[99:100]
	v_mul_f64 v[105:106], v[107:108], v[99:100]
	v_fma_f64 v[97:98], -v[97:98], v[105:106], v[107:108]
	v_div_fmas_f64 v[97:98], v[97:98], v[99:100], v[105:106]
	v_div_fixup_f64 v[105:106], v[97:98], v[95:96], 1.0
	v_mul_f64 v[107:108], v[93:94], -v[105:106]
	v_mov_b32_e32 v96, v76
	v_mov_b32_e32 v95, v75
	;; [unrolled: 1-line block ×8, first 2 shown]
.LBB89_394:
	s_or_b64 exec, exec, s[2:3]
	ds_write2_b64 v127, v[105:106], v[107:108] offset1:1
.LBB89_395:
	s_or_b64 exec, exec, s[4:5]
	s_waitcnt lgkmcnt(0)
	s_barrier
	ds_read2_b64 v[97:100], v127 offset1:1
	v_cmp_lt_u32_e32 vcc, 43, v0
	s_and_saveexec_b64 s[2:3], vcc
	s_cbranch_execz .LBB89_397
; %bb.396:
	v_mov_b32_e32 v69, v75
	v_mov_b32_e32 v70, v76
	;; [unrolled: 1-line block ×12, first 2 shown]
	s_waitcnt lgkmcnt(0)
	v_mul_f64 v[93:94], v[97:98], v[3:4]
	v_mul_f64 v[3:4], v[99:100], v[3:4]
	ds_read2_b64 v[105:108], v125 offset0:88 offset1:89
	v_fma_f64 v[93:94], v[99:100], v[1:2], v[93:94]
	v_fma_f64 v[1:2], v[97:98], v[1:2], -v[3:4]
	s_waitcnt lgkmcnt(0)
	v_mul_f64 v[95:96], v[105:106], v[93:94]
	v_mul_f64 v[3:4], v[107:108], v[93:94]
	v_fma_f64 v[95:96], v[107:108], v[1:2], v[95:96]
	v_fma_f64 v[3:4], v[105:106], v[1:2], -v[3:4]
	v_add_f64 v[71:72], v[71:72], -v[95:96]
	v_add_f64 v[69:70], v[69:70], -v[3:4]
	v_mov_b32_e32 v3, v93
	v_mov_b32_e32 v4, v94
	;; [unrolled: 1-line block ×14, first 2 shown]
.LBB89_397:
	s_or_b64 exec, exec, s[2:3]
	v_cmp_eq_u32_e32 vcc, 44, v0
	s_waitcnt lgkmcnt(0)
	s_barrier
	s_and_saveexec_b64 s[4:5], vcc
	s_cbranch_execz .LBB89_404
; %bb.398:
	v_cmp_neq_f64_e32 vcc, 0, v[75:76]
	v_cmp_neq_f64_e64 s[2:3], 0, v[77:78]
	ds_write2_b64 v127, v[75:76], v[77:78] offset1:1
	s_or_b64 s[2:3], vcc, s[2:3]
	s_and_b64 exec, exec, s[2:3]
	s_cbranch_execz .LBB89_404
; %bb.399:
	v_cmp_ngt_f64_e64 s[2:3], |v[75:76]|, |v[77:78]|
                                        ; implicit-def: $vgpr105_vgpr106
	s_and_saveexec_b64 s[6:7], s[2:3]
	s_xor_b64 s[2:3], exec, s[6:7]
                                        ; implicit-def: $vgpr107_vgpr108
	s_cbranch_execz .LBB89_401
; %bb.400:
	v_mov_b32_e32 v69, v93
	v_mov_b32_e32 v70, v94
	;; [unrolled: 1-line block ×4, first 2 shown]
	v_div_scale_f64 v[93:94], s[6:7], v[77:78], v[77:78], v[75:76]
	v_mov_b32_e32 v79, v121
	v_mov_b32_e32 v101, v117
	;; [unrolled: 1-line block ×14, first 2 shown]
	v_rcp_f64_e32 v[95:96], v[93:94]
	v_mov_b32_e32 v110, v2
	v_mov_b32_e32 v109, v1
	;; [unrolled: 1-line block ×15, first 2 shown]
	v_fma_f64 v[105:106], -v[93:94], v[95:96], 1.0
	v_mov_b32_e32 v14, v18
	v_mov_b32_e32 v15, v19
	;; [unrolled: 1-line block ×7, first 2 shown]
	v_fma_f64 v[95:96], v[95:96], v[105:106], v[95:96]
	v_div_scale_f64 v[105:106], vcc, v[75:76], v[77:78], v[75:76]
	v_mov_b32_e32 v21, v25
	v_mov_b32_e32 v22, v26
	;; [unrolled: 1-line block ×5, first 2 shown]
	v_fma_f64 v[107:108], -v[93:94], v[95:96], 1.0
	v_mov_b32_e32 v26, v30
	v_mov_b32_e32 v27, v31
	;; [unrolled: 1-line block ×7, first 2 shown]
	v_fma_f64 v[95:96], v[95:96], v[107:108], v[95:96]
	v_mov_b32_e32 v33, v37
	v_mov_b32_e32 v34, v38
	;; [unrolled: 1-line block ×7, first 2 shown]
	v_mul_f64 v[107:108], v[105:106], v[95:96]
	v_mov_b32_e32 v40, v116
	v_mov_b32_e32 v116, v44
	;; [unrolled: 1-line block ×7, first 2 shown]
	v_fma_f64 v[93:94], -v[93:94], v[107:108], v[105:106]
	v_mov_b32_e32 v43, v47
	v_mov_b32_e32 v44, v48
	v_mov_b32_e32 v45, v49
	v_mov_b32_e32 v46, v50
	v_mov_b32_e32 v47, v51
	v_mov_b32_e32 v48, v52
	v_mov_b32_e32 v49, v53
	v_div_fmas_f64 v[93:94], v[93:94], v[95:96], v[107:108]
	v_mov_b32_e32 v52, v56
	v_mov_b32_e32 v50, v54
	;; [unrolled: 1-line block ×15, first 2 shown]
	v_div_fixup_f64 v[93:94], v[93:94], v[77:78], v[75:76]
	v_mov_b32_e32 v41, v113
	v_mov_b32_e32 v42, v114
	;; [unrolled: 1-line block ×7, first 2 shown]
	v_fma_f64 v[95:96], v[75:76], v[93:94], v[77:78]
	v_mov_b32_e32 v113, v37
	v_mov_b32_e32 v40, v36
	;; [unrolled: 1-line block ×7, first 2 shown]
	v_div_scale_f64 v[105:106], s[6:7], v[95:96], v[95:96], 1.0
	v_mov_b32_e32 v34, v30
	v_mov_b32_e32 v33, v29
	;; [unrolled: 1-line block ×14, first 2 shown]
	v_rcp_f64_e32 v[107:108], v[105:106]
	v_mov_b32_e32 v20, v16
	v_mov_b32_e32 v19, v15
	;; [unrolled: 1-line block ×28, first 2 shown]
	buffer_load_dword v79, off, s[20:23], 0 offset:368 ; 4-byte Folded Reload
	buffer_load_dword v80, off, s[20:23], 0 offset:372 ; 4-byte Folded Reload
	;; [unrolled: 1-line block ×4, first 2 shown]
	v_fma_f64 v[125:126], -v[105:106], v[107:108], 1.0
	v_div_scale_f64 v[89:90], vcc, 1.0, v[95:96], 1.0
	v_mov_b32_e32 v118, v88
	v_mov_b32_e32 v117, v87
	;; [unrolled: 1-line block ×5, first 2 shown]
	v_fma_f64 v[107:108], v[107:108], v[125:126], v[107:108]
	v_mov_b32_e32 v86, v92
	v_fma_f64 v[125:126], -v[105:106], v[107:108], 1.0
	v_fma_f64 v[91:92], v[107:108], v[125:126], v[107:108]
	v_mul_f64 v[107:108], v[89:90], v[91:92]
	v_fma_f64 v[89:90], -v[105:106], v[107:108], v[89:90]
	v_div_fmas_f64 v[89:90], v[89:90], v[91:92], v[107:108]
	v_mov_b32_e32 v92, v86
	v_mov_b32_e32 v91, v85
	;; [unrolled: 1-line block ×10, first 2 shown]
	v_div_fixup_f64 v[107:108], v[89:90], v[95:96], 1.0
	v_mul_f64 v[105:106], v[93:94], v[107:108]
	v_mov_b32_e32 v96, v72
	v_mov_b32_e32 v95, v71
	;; [unrolled: 1-line block ×4, first 2 shown]
	v_xor_b32_e32 v108, 0x80000000, v108
.LBB89_401:
	s_andn2_saveexec_b64 s[2:3], s[2:3]
	s_cbranch_execz .LBB89_403
; %bb.402:
	v_div_scale_f64 v[89:90], s[6:7], v[75:76], v[75:76], v[77:78]
	v_mov_b32_e32 v126, v92
	v_mov_b32_e32 v125, v91
	;; [unrolled: 1-line block ×10, first 2 shown]
	v_rcp_f64_e32 v[91:92], v[89:90]
	v_fma_f64 v[93:94], -v[89:90], v[91:92], 1.0
	v_fma_f64 v[91:92], v[91:92], v[93:94], v[91:92]
	v_div_scale_f64 v[93:94], vcc, v[71:72], v[69:70], v[71:72]
	v_fma_f64 v[95:96], -v[89:90], v[91:92], 1.0
	v_fma_f64 v[91:92], v[91:92], v[95:96], v[91:92]
	v_mul_f64 v[95:96], v[93:94], v[91:92]
	v_fma_f64 v[89:90], -v[89:90], v[95:96], v[93:94]
	v_div_fmas_f64 v[89:90], v[89:90], v[91:92], v[95:96]
	v_div_fixup_f64 v[89:90], v[89:90], v[69:70], v[71:72]
	v_fma_f64 v[91:92], v[71:72], v[89:90], v[69:70]
	v_div_scale_f64 v[93:94], s[6:7], v[91:92], v[91:92], 1.0
	v_div_scale_f64 v[107:108], vcc, 1.0, v[91:92], 1.0
	v_rcp_f64_e32 v[95:96], v[93:94]
	v_fma_f64 v[105:106], -v[93:94], v[95:96], 1.0
	v_fma_f64 v[95:96], v[95:96], v[105:106], v[95:96]
	v_fma_f64 v[105:106], -v[93:94], v[95:96], 1.0
	v_fma_f64 v[95:96], v[95:96], v[105:106], v[95:96]
	v_mul_f64 v[105:106], v[107:108], v[95:96]
	v_fma_f64 v[93:94], -v[93:94], v[105:106], v[107:108]
	v_div_fmas_f64 v[93:94], v[93:94], v[95:96], v[105:106]
	v_div_fixup_f64 v[105:106], v[93:94], v[91:92], 1.0
	v_mov_b32_e32 v96, v76
	v_mov_b32_e32 v95, v75
	;; [unrolled: 1-line block ×7, first 2 shown]
	v_mul_f64 v[107:108], v[89:90], -v[105:106]
	v_mov_b32_e32 v76, v70
	v_mov_b32_e32 v75, v69
	;; [unrolled: 1-line block ×3, first 2 shown]
.LBB89_403:
	s_or_b64 exec, exec, s[2:3]
	ds_write2_b64 v127, v[105:106], v[107:108] offset1:1
.LBB89_404:
	s_or_b64 exec, exec, s[4:5]
	s_waitcnt vmcnt(0) lgkmcnt(0)
	s_barrier
	ds_read2_b64 v[105:108], v127 offset1:1
	s_waitcnt lgkmcnt(0)
	s_barrier
	s_and_saveexec_b64 s[2:3], s[0:1]
	s_cbranch_execz .LBB89_407
; %bb.405:
	buffer_load_dword v69, off, s[20:23], 0 offset:720 ; 4-byte Folded Reload
	buffer_load_dword v70, off, s[20:23], 0 offset:724 ; 4-byte Folded Reload
	;; [unrolled: 1-line block ×4, first 2 shown]
	s_waitcnt vmcnt(2)
	v_cmp_eq_f64_e32 vcc, 0, v[69:70]
	s_waitcnt vmcnt(0)
	v_cmp_eq_f64_e64 s[0:1], 0, v[71:72]
	buffer_load_dword v69, off, s[20:23], 0 offset:736 ; 4-byte Folded Reload
	buffer_load_dword v70, off, s[20:23], 0 offset:740 ; 4-byte Folded Reload
	;; [unrolled: 1-line block ×4, first 2 shown]
	s_and_b64 s[4:5], vcc, s[0:1]
	v_cndmask_b32_e64 v89, 0, 1, s[4:5]
	s_waitcnt vmcnt(2)
	v_cmp_neq_f64_e32 vcc, 0, v[69:70]
	s_waitcnt vmcnt(0)
	v_cmp_neq_f64_e64 s[0:1], 0, v[71:72]
	buffer_load_dword v69, off, s[20:23], 0 offset:752 ; 4-byte Folded Reload
	buffer_load_dword v70, off, s[20:23], 0 offset:756 ; 4-byte Folded Reload
	;; [unrolled: 1-line block ×4, first 2 shown]
	s_or_b64 s[0:1], vcc, s[0:1]
	s_or_b64 vcc, s[0:1], s[4:5]
	v_cndmask_b32_e32 v89, 2, v89, vcc
	s_waitcnt vmcnt(2)
	v_cmp_eq_f64_e32 vcc, 0, v[69:70]
	s_waitcnt vmcnt(0)
	v_cmp_eq_f64_e64 s[0:1], 0, v[71:72]
	buffer_load_dword v69, off, s[20:23], 0 offset:768 ; 4-byte Folded Reload
	buffer_load_dword v70, off, s[20:23], 0 offset:772 ; 4-byte Folded Reload
	buffer_load_dword v71, off, s[20:23], 0 offset:776 ; 4-byte Folded Reload
	buffer_load_dword v72, off, s[20:23], 0 offset:780 ; 4-byte Folded Reload
	s_and_b64 s[0:1], vcc, s[0:1]
	v_cmp_eq_u32_e32 vcc, 0, v89
	s_and_b64 s[0:1], s[0:1], vcc
	v_cndmask_b32_e64 v89, v89, 3, s[0:1]
	s_waitcnt vmcnt(2)
	v_cmp_eq_f64_e32 vcc, 0, v[69:70]
	s_waitcnt vmcnt(0)
	v_cmp_eq_f64_e64 s[0:1], 0, v[71:72]
	buffer_load_dword v69, off, s[20:23], 0 offset:784 ; 4-byte Folded Reload
	buffer_load_dword v70, off, s[20:23], 0 offset:788 ; 4-byte Folded Reload
	buffer_load_dword v71, off, s[20:23], 0 offset:792 ; 4-byte Folded Reload
	buffer_load_dword v72, off, s[20:23], 0 offset:796 ; 4-byte Folded Reload
	s_and_b64 s[0:1], vcc, s[0:1]
	v_cmp_eq_u32_e32 vcc, 0, v89
	s_and_b64 s[0:1], s[0:1], vcc
	v_cndmask_b32_e64 v89, v89, 4, s[0:1]
	;; [unrolled: 12-line block ×39, first 2 shown]
	s_waitcnt vmcnt(2)
	v_cmp_eq_f64_e32 vcc, 0, v[69:70]
	s_waitcnt vmcnt(0)
	v_cmp_eq_f64_e64 s[0:1], 0, v[71:72]
	s_and_b64 s[0:1], vcc, s[0:1]
	v_cmp_eq_u32_e32 vcc, 0, v89
	s_and_b64 s[0:1], s[0:1], vcc
	v_cndmask_b32_e64 v89, v89, 42, s[0:1]
	v_cmp_eq_f64_e32 vcc, 0, v[65:66]
	v_cmp_eq_f64_e64 s[0:1], 0, v[67:68]
	s_and_b64 s[0:1], vcc, s[0:1]
	v_cmp_eq_u32_e32 vcc, 0, v89
	s_and_b64 s[0:1], s[0:1], vcc
	v_cndmask_b32_e64 v89, v89, 43, s[0:1]
	v_cmp_eq_f64_e32 vcc, 0, v[97:98]
	;; [unrolled: 6-line block ×3, first 2 shown]
	v_cmp_eq_f64_e64 s[0:1], 0, v[107:108]
	s_and_b64 s[0:1], vcc, s[0:1]
	v_cmp_eq_u32_e32 vcc, 0, v89
	s_and_b64 s[0:1], s[0:1], vcc
	v_cndmask_b32_e64 v99, v89, 45, s[0:1]
	v_lshlrev_b64 v[89:90], 2, v[87:88]
	v_cmp_ne_u32_e64 s[0:1], 0, v99
	v_add_co_u32_e32 v97, vcc, s10, v89
	v_mov_b32_e32 v89, s11
	v_addc_co_u32_e32 v98, vcc, v89, v90, vcc
	global_load_dword v89, v[97:98], off
	s_waitcnt vmcnt(0)
	v_cmp_eq_u32_e32 vcc, 0, v89
	s_and_b64 s[0:1], vcc, s[0:1]
	s_and_b64 exec, exec, s[0:1]
	s_cbranch_execz .LBB89_407
; %bb.406:
	v_add_u32_e32 v89, s13, v99
	global_store_dword v[97:98], v89, off
.LBB89_407:
	s_or_b64 exec, exec, s[2:3]
	buffer_load_dword v69, off, s[20:23], 0 offset:704 ; 4-byte Folded Reload
	buffer_load_dword v70, off, s[20:23], 0 offset:708 ; 4-byte Folded Reload
	;; [unrolled: 1-line block ×6, first 2 shown]
	v_mul_f64 v[89:90], v[105:106], v[77:78]
	v_cmp_lt_u32_e32 vcc, 44, v0
	v_fma_f64 v[89:90], v[107:108], v[75:76], v[89:90]
	v_cndmask_b32_e32 v100, v78, v90, vcc
	v_cndmask_b32_e32 v99, v77, v89, vcc
	s_waitcnt vmcnt(0)
	global_store_dwordx4 v[69:70], v[65:68], off
	buffer_load_dword v69, off, s[20:23], 0 offset:712 ; 4-byte Folded Reload
	s_nop 0
	buffer_load_dword v70, off, s[20:23], 0 offset:716 ; 4-byte Folded Reload
	buffer_load_dword v71, off, s[20:23], 0 offset:336 ; 4-byte Folded Reload
	;; [unrolled: 1-line block ×5, first 2 shown]
	s_waitcnt vmcnt(0)
	global_store_dwordx4 v[69:70], v[71:74], off
	buffer_load_dword v69, off, s[20:23], 0 offset:320 ; 4-byte Folded Reload
	s_nop 0
	buffer_load_dword v70, off, s[20:23], 0 offset:324 ; 4-byte Folded Reload
	buffer_load_dword v71, off, s[20:23], 0 offset:328 ; 4-byte Folded Reload
	;; [unrolled: 1-line block ×3, first 2 shown]
	s_waitcnt vmcnt(0)
	global_store_dwordx4 v[91:92], v[69:72], off
	buffer_load_dword v87, off, s[20:23], 0 offset:384 ; 4-byte Folded Reload
	buffer_load_dword v88, off, s[20:23], 0 offset:388 ; 4-byte Folded Reload
	s_nop 0
	buffer_load_dword v69, off, s[20:23], 0 offset:304 ; 4-byte Folded Reload
	buffer_load_dword v70, off, s[20:23], 0 offset:308 ; 4-byte Folded Reload
	;; [unrolled: 1-line block ×4, first 2 shown]
	v_mul_f64 v[91:92], v[107:108], v[77:78]
	v_fma_f64 v[91:92], v[105:106], v[75:76], -v[91:92]
	v_cndmask_b32_e32 v98, v76, v92, vcc
	v_cndmask_b32_e32 v97, v75, v91, vcc
	s_waitcnt vmcnt(0)
	global_store_dwordx4 v[87:88], v[69:72], off
	buffer_load_dword v69, off, s[20:23], 0 offset:288 ; 4-byte Folded Reload
	s_nop 0
	buffer_load_dword v70, off, s[20:23], 0 offset:292 ; 4-byte Folded Reload
	buffer_load_dword v71, off, s[20:23], 0 offset:296 ; 4-byte Folded Reload
	buffer_load_dword v72, off, s[20:23], 0 offset:300 ; 4-byte Folded Reload
	s_waitcnt vmcnt(0)
	global_store_dwordx4 v[85:86], v[69:72], off
	buffer_load_dword v85, off, s[20:23], 0 offset:392 ; 4-byte Folded Reload
	s_nop 0
	buffer_load_dword v86, off, s[20:23], 0 offset:396 ; 4-byte Folded Reload
	buffer_load_dword v69, off, s[20:23], 0 offset:272 ; 4-byte Folded Reload
	buffer_load_dword v70, off, s[20:23], 0 offset:276 ; 4-byte Folded Reload
	buffer_load_dword v71, off, s[20:23], 0 offset:280 ; 4-byte Folded Reload
	buffer_load_dword v72, off, s[20:23], 0 offset:284 ; 4-byte Folded Reload
	s_waitcnt vmcnt(0)
	global_store_dwordx4 v[85:86], v[69:72], off
	buffer_load_dword v85, off, s[20:23], 0 offset:400 ; 4-byte Folded Reload
	s_nop 0
	buffer_load_dword v86, off, s[20:23], 0 offset:404 ; 4-byte Folded Reload
	buffer_load_dword v69, off, s[20:23], 0 offset:256 ; 4-byte Folded Reload
	;; [unrolled: 9-line block ×13, first 2 shown]
	buffer_load_dword v70, off, s[20:23], 0 offset:84 ; 4-byte Folded Reload
	buffer_load_dword v71, off, s[20:23], 0 offset:88 ; 4-byte Folded Reload
	;; [unrolled: 1-line block ×3, first 2 shown]
	s_waitcnt vmcnt(0)
	global_store_dwordx4 v[85:86], v[69:72], off
	buffer_load_dword v85, off, s[20:23], 0 offset:496 ; 4-byte Folded Reload
	s_nop 0
	buffer_load_dword v86, off, s[20:23], 0 offset:500 ; 4-byte Folded Reload
	s_waitcnt vmcnt(0)
	global_store_dwordx4 v[85:86], v[117:120], off
	buffer_load_dword v85, off, s[20:23], 0 offset:504 ; 4-byte Folded Reload
	s_nop 0
	buffer_load_dword v86, off, s[20:23], 0 offset:508 ; 4-byte Folded Reload
	;; [unrolled: 5-line block ×5, first 2 shown]
	s_waitcnt vmcnt(0)
	global_store_dwordx4 v[85:86], v[113:116], off
	buffer_load_dword v73, off, s[20:23], 0 offset:680 ; 4-byte Folded Reload
	buffer_load_dword v74, off, s[20:23], 0 offset:684 ; 4-byte Folded Reload
	;; [unrolled: 1-line block ×6, first 2 shown]
	s_waitcnt vmcnt(0)
	global_store_dwordx4 v[73:74], v[75:78], off
	buffer_load_dword v73, off, s[20:23], 0 offset:672 ; 4-byte Folded Reload
	s_nop 0
	buffer_load_dword v74, off, s[20:23], 0 offset:676 ; 4-byte Folded Reload
	s_waitcnt vmcnt(0)
	global_store_dwordx4 v[73:74], v[93:96], off
	buffer_load_dword v77, off, s[20:23], 0 offset:536 ; 4-byte Folded Reload
	buffer_load_dword v78, off, s[20:23], 0 offset:540 ; 4-byte Folded Reload
	s_nop 0
	buffer_load_dword v73, off, s[20:23], 0 offset:32 ; 4-byte Folded Reload
	buffer_load_dword v74, off, s[20:23], 0 offset:36 ; 4-byte Folded Reload
	;; [unrolled: 1-line block ×4, first 2 shown]
	s_waitcnt vmcnt(0)
	global_store_dwordx4 v[77:78], v[73:76], off
	buffer_load_dword v69, off, s[20:23], 0 offset:16 ; 4-byte Folded Reload
	buffer_load_dword v70, off, s[20:23], 0 offset:20 ; 4-byte Folded Reload
	;; [unrolled: 1-line block ×4, first 2 shown]
	s_waitcnt vmcnt(0)
	global_store_dwordx4 v[83:84], v[69:72], off
	buffer_load_dword v69, off, s[20:23], 0 offset:696 ; 4-byte Folded Reload
	s_nop 0
	buffer_load_dword v70, off, s[20:23], 0 offset:700 ; 4-byte Folded Reload
	buffer_load_dword v65, off, s[20:23], 0 ; 4-byte Folded Reload
	buffer_load_dword v66, off, s[20:23], 0 offset:4 ; 4-byte Folded Reload
	buffer_load_dword v67, off, s[20:23], 0 offset:8 ; 4-byte Folded Reload
	;; [unrolled: 1-line block ×3, first 2 shown]
	s_waitcnt vmcnt(0)
	global_store_dwordx4 v[69:70], v[65:68], off
	buffer_load_dword v65, off, s[20:23], 0 offset:688 ; 4-byte Folded Reload
	s_nop 0
	buffer_load_dword v66, off, s[20:23], 0 offset:692 ; 4-byte Folded Reload
	s_waitcnt vmcnt(0)
	global_store_dwordx4 v[65:66], v[61:64], off
	buffer_load_dword v61, off, s[20:23], 0 offset:544 ; 4-byte Folded Reload
	s_nop 0
	buffer_load_dword v62, off, s[20:23], 0 offset:548 ; 4-byte Folded Reload
	;; [unrolled: 5-line block ×17, first 2 shown]
	s_waitcnt vmcnt(0)
	global_store_dwordx4 v[0:1], v[97:100], off
.LBB89_408:
	s_endpgm
	.section	.rodata,"a",@progbits
	.p2align	6, 0x0
	.amdhsa_kernel _ZN9rocsolver6v33100L23getf2_npvt_small_kernelILi45E19rocblas_complex_numIdEiiPS3_EEvT1_T3_lS5_lPT2_S5_S5_
		.amdhsa_group_segment_fixed_size 0
		.amdhsa_private_segment_fixed_size 1380
		.amdhsa_kernarg_size 312
		.amdhsa_user_sgpr_count 6
		.amdhsa_user_sgpr_private_segment_buffer 1
		.amdhsa_user_sgpr_dispatch_ptr 0
		.amdhsa_user_sgpr_queue_ptr 0
		.amdhsa_user_sgpr_kernarg_segment_ptr 1
		.amdhsa_user_sgpr_dispatch_id 0
		.amdhsa_user_sgpr_flat_scratch_init 0
		.amdhsa_user_sgpr_private_segment_size 0
		.amdhsa_uses_dynamic_stack 0
		.amdhsa_system_sgpr_private_segment_wavefront_offset 1
		.amdhsa_system_sgpr_workgroup_id_x 1
		.amdhsa_system_sgpr_workgroup_id_y 1
		.amdhsa_system_sgpr_workgroup_id_z 0
		.amdhsa_system_sgpr_workgroup_info 0
		.amdhsa_system_vgpr_workitem_id 1
		.amdhsa_next_free_vgpr 128
		.amdhsa_next_free_sgpr 24
		.amdhsa_reserve_vcc 1
		.amdhsa_reserve_flat_scratch 0
		.amdhsa_float_round_mode_32 0
		.amdhsa_float_round_mode_16_64 0
		.amdhsa_float_denorm_mode_32 3
		.amdhsa_float_denorm_mode_16_64 3
		.amdhsa_dx10_clamp 1
		.amdhsa_ieee_mode 1
		.amdhsa_fp16_overflow 0
		.amdhsa_exception_fp_ieee_invalid_op 0
		.amdhsa_exception_fp_denorm_src 0
		.amdhsa_exception_fp_ieee_div_zero 0
		.amdhsa_exception_fp_ieee_overflow 0
		.amdhsa_exception_fp_ieee_underflow 0
		.amdhsa_exception_fp_ieee_inexact 0
		.amdhsa_exception_int_div_zero 0
	.end_amdhsa_kernel
	.section	.text._ZN9rocsolver6v33100L23getf2_npvt_small_kernelILi45E19rocblas_complex_numIdEiiPS3_EEvT1_T3_lS5_lPT2_S5_S5_,"axG",@progbits,_ZN9rocsolver6v33100L23getf2_npvt_small_kernelILi45E19rocblas_complex_numIdEiiPS3_EEvT1_T3_lS5_lPT2_S5_S5_,comdat
.Lfunc_end89:
	.size	_ZN9rocsolver6v33100L23getf2_npvt_small_kernelILi45E19rocblas_complex_numIdEiiPS3_EEvT1_T3_lS5_lPT2_S5_S5_, .Lfunc_end89-_ZN9rocsolver6v33100L23getf2_npvt_small_kernelILi45E19rocblas_complex_numIdEiiPS3_EEvT1_T3_lS5_lPT2_S5_S5_
                                        ; -- End function
	.set _ZN9rocsolver6v33100L23getf2_npvt_small_kernelILi45E19rocblas_complex_numIdEiiPS3_EEvT1_T3_lS5_lPT2_S5_S5_.num_vgpr, 128
	.set _ZN9rocsolver6v33100L23getf2_npvt_small_kernelILi45E19rocblas_complex_numIdEiiPS3_EEvT1_T3_lS5_lPT2_S5_S5_.num_agpr, 0
	.set _ZN9rocsolver6v33100L23getf2_npvt_small_kernelILi45E19rocblas_complex_numIdEiiPS3_EEvT1_T3_lS5_lPT2_S5_S5_.numbered_sgpr, 24
	.set _ZN9rocsolver6v33100L23getf2_npvt_small_kernelILi45E19rocblas_complex_numIdEiiPS3_EEvT1_T3_lS5_lPT2_S5_S5_.num_named_barrier, 0
	.set _ZN9rocsolver6v33100L23getf2_npvt_small_kernelILi45E19rocblas_complex_numIdEiiPS3_EEvT1_T3_lS5_lPT2_S5_S5_.private_seg_size, 1380
	.set _ZN9rocsolver6v33100L23getf2_npvt_small_kernelILi45E19rocblas_complex_numIdEiiPS3_EEvT1_T3_lS5_lPT2_S5_S5_.uses_vcc, 1
	.set _ZN9rocsolver6v33100L23getf2_npvt_small_kernelILi45E19rocblas_complex_numIdEiiPS3_EEvT1_T3_lS5_lPT2_S5_S5_.uses_flat_scratch, 0
	.set _ZN9rocsolver6v33100L23getf2_npvt_small_kernelILi45E19rocblas_complex_numIdEiiPS3_EEvT1_T3_lS5_lPT2_S5_S5_.has_dyn_sized_stack, 0
	.set _ZN9rocsolver6v33100L23getf2_npvt_small_kernelILi45E19rocblas_complex_numIdEiiPS3_EEvT1_T3_lS5_lPT2_S5_S5_.has_recursion, 0
	.set _ZN9rocsolver6v33100L23getf2_npvt_small_kernelILi45E19rocblas_complex_numIdEiiPS3_EEvT1_T3_lS5_lPT2_S5_S5_.has_indirect_call, 0
	.section	.AMDGPU.csdata,"",@progbits
; Kernel info:
; codeLenInByte = 139600
; TotalNumSgprs: 28
; NumVgprs: 128
; ScratchSize: 1380
; MemoryBound: 1
; FloatMode: 240
; IeeeMode: 1
; LDSByteSize: 0 bytes/workgroup (compile time only)
; SGPRBlocks: 3
; VGPRBlocks: 31
; NumSGPRsForWavesPerEU: 28
; NumVGPRsForWavesPerEU: 128
; Occupancy: 2
; WaveLimiterHint : 0
; COMPUTE_PGM_RSRC2:SCRATCH_EN: 1
; COMPUTE_PGM_RSRC2:USER_SGPR: 6
; COMPUTE_PGM_RSRC2:TRAP_HANDLER: 0
; COMPUTE_PGM_RSRC2:TGID_X_EN: 1
; COMPUTE_PGM_RSRC2:TGID_Y_EN: 1
; COMPUTE_PGM_RSRC2:TGID_Z_EN: 0
; COMPUTE_PGM_RSRC2:TIDIG_COMP_CNT: 1
	.section	.text._ZN9rocsolver6v33100L18getf2_small_kernelILi46E19rocblas_complex_numIdEiiPS3_EEvT1_T3_lS5_lPS5_llPT2_S5_S5_S7_l,"axG",@progbits,_ZN9rocsolver6v33100L18getf2_small_kernelILi46E19rocblas_complex_numIdEiiPS3_EEvT1_T3_lS5_lPS5_llPT2_S5_S5_S7_l,comdat
	.globl	_ZN9rocsolver6v33100L18getf2_small_kernelILi46E19rocblas_complex_numIdEiiPS3_EEvT1_T3_lS5_lPS5_llPT2_S5_S5_S7_l ; -- Begin function _ZN9rocsolver6v33100L18getf2_small_kernelILi46E19rocblas_complex_numIdEiiPS3_EEvT1_T3_lS5_lPS5_llPT2_S5_S5_S7_l
	.p2align	8
	.type	_ZN9rocsolver6v33100L18getf2_small_kernelILi46E19rocblas_complex_numIdEiiPS3_EEvT1_T3_lS5_lPS5_llPT2_S5_S5_S7_l,@function
_ZN9rocsolver6v33100L18getf2_small_kernelILi46E19rocblas_complex_numIdEiiPS3_EEvT1_T3_lS5_lPS5_llPT2_S5_S5_S7_l: ; @_ZN9rocsolver6v33100L18getf2_small_kernelILi46E19rocblas_complex_numIdEiiPS3_EEvT1_T3_lS5_lPS5_llPT2_S5_S5_S7_l
; %bb.0:
	s_mov_b64 s[26:27], s[2:3]
	s_mov_b64 s[24:25], s[0:1]
	s_load_dword s0, s[4:5], 0x6c
	s_load_dwordx2 s[16:17], s[4:5], 0x48
	s_add_u32 s24, s24, s8
	s_addc_u32 s25, s25, 0
	s_waitcnt lgkmcnt(0)
	s_lshr_b32 s0, s0, 16
	s_mul_i32 s7, s7, s0
	v_add_u32_e32 v6, s7, v1
	v_cmp_gt_i32_e32 vcc, s16, v6
	s_and_saveexec_b64 s[0:1], vcc
	s_cbranch_execnz .LBB90_1
; %bb.968:
	s_getpc_b64 s[28:29]
.Lpost_getpc4:
	s_add_u32 s28, s28, (.LBB90_967-.Lpost_getpc4)&4294967295
	s_addc_u32 s29, s29, (.LBB90_967-.Lpost_getpc4)>>32
	s_setpc_b64 s[28:29]
.LBB90_1:
	s_load_dwordx4 s[0:3], s[4:5], 0x50
	v_mov_b32_e32 v2, 0
	v_ashrrev_i32_e32 v7, 31, v6
	v_mov_b32_e32 v3, 0
	buffer_store_dword v2, off, s[24:27], 0 offset:304 ; 4-byte Folded Spill
	s_nop 0
	buffer_store_dword v3, off, s[24:27], 0 offset:308 ; 4-byte Folded Spill
	s_waitcnt lgkmcnt(0)
	s_cmp_eq_u64 s[0:1], 0
	s_cselect_b64 s[6:7], -1, 0
	s_and_b64 vcc, exec, s[6:7]
	s_cbranch_vccnz .LBB90_3
; %bb.2:
	v_mul_lo_u32 v4, s3, v6
	v_mul_lo_u32 v5, s2, v7
	v_mad_u64_u32 v[2:3], s[2:3], s2, v6, 0
	v_add3_u32 v3, v3, v5, v4
	v_lshlrev_b64 v[2:3], 2, v[2:3]
	v_mov_b32_e32 v4, s1
	v_add_co_u32_e32 v2, vcc, s0, v2
	v_addc_co_u32_e32 v3, vcc, v4, v3, vcc
	buffer_store_dword v2, off, s[24:27], 0 offset:304 ; 4-byte Folded Spill
	s_nop 0
	buffer_store_dword v3, off, s[24:27], 0 offset:308 ; 4-byte Folded Spill
.LBB90_3:
	s_load_dwordx8 s[8:15], s[4:5], 0x20
	s_load_dwordx4 s[20:23], s[4:5], 0x8
	s_load_dword s2, s[4:5], 0x18
	v_lshlrev_b32_e32 v64, 4, v0
	s_waitcnt lgkmcnt(0)
	v_mul_lo_u32 v4, s9, v6
	v_mul_lo_u32 v5, s8, v7
	buffer_store_dword v6, off, s[24:27], 0 offset:360 ; 4-byte Folded Spill
	s_nop 0
	buffer_store_dword v7, off, s[24:27], 0 offset:364 ; 4-byte Folded Spill
	s_add_i32 s16, s2, s2
	s_ashr_i32 s3, s2, 31
	v_mad_u64_u32 v[2:3], s[0:1], s8, v6, 0
	v_mov_b32_e32 v6, s21
	s_lshl_b64 s[0:1], s[22:23], 4
	v_add3_u32 v3, v3, v5, v4
	v_lshlrev_b64 v[2:3], 4, v[2:3]
	v_mov_b32_e32 v4, s1
	v_add_co_u32_e32 v2, vcc, s20, v2
	v_addc_co_u32_e32 v3, vcc, v6, v3, vcc
	v_add_co_u32_e32 v127, vcc, s0, v2
	v_addc_co_u32_e32 v93, vcc, v3, v4, vcc
	v_add_u32_e32 v4, s16, v0
	v_ashrrev_i32_e32 v5, 31, v4
	v_lshlrev_b64 v[2:3], 4, v[4:5]
	v_add_u32_e32 v6, s2, v4
	v_ashrrev_i32_e32 v7, 31, v6
	v_add_co_u32_e32 v2, vcc, v127, v2
	v_lshlrev_b64 v[4:5], 4, v[6:7]
	v_add_u32_e32 v8, s2, v6
	v_addc_co_u32_e32 v3, vcc, v93, v3, vcc
	v_ashrrev_i32_e32 v9, 31, v8
	v_add_co_u32_e32 v4, vcc, v127, v4
	v_lshlrev_b64 v[6:7], 4, v[8:9]
	v_add_u32_e32 v10, s2, v8
	v_addc_co_u32_e32 v5, vcc, v93, v5, vcc
	;; [unrolled: 5-line block ×28, first 2 shown]
	v_ashrrev_i32_e32 v61, 31, v60
	v_add_co_u32_e32 v58, vcc, v127, v58
	v_lshlrev_b64 v[61:62], 4, v[60:61]
	v_addc_co_u32_e32 v59, vcc, v93, v59, vcc
	v_add_u32_e32 v60, s2, v60
	v_add_co_u32_e32 v117, vcc, v127, v61
	v_ashrrev_i32_e32 v61, 31, v60
	v_addc_co_u32_e32 v118, vcc, v93, v62, vcc
	v_lshlrev_b64 v[61:62], 4, v[60:61]
	v_add_u32_e32 v60, s2, v60
	v_add_co_u32_e32 v119, vcc, v127, v61
	v_ashrrev_i32_e32 v61, 31, v60
	v_addc_co_u32_e32 v120, vcc, v93, v62, vcc
	v_lshlrev_b64 v[61:62], 4, v[60:61]
	;; [unrolled: 5-line block ×12, first 2 shown]
	v_add_u32_e32 v60, s2, v60
	v_add_co_u32_e32 v103, vcc, v127, v61
	v_ashrrev_i32_e32 v61, 31, v60
	s_lshl_b64 s[8:9], s[2:3], 4
	s_load_dword s3, s[4:5], 0x0
	v_addc_co_u32_e32 v104, vcc, v93, v62, vcc
	v_lshlrev_b64 v[61:62], 4, v[60:61]
	v_add_u32_e32 v60, s2, v60
	v_add_co_u32_e32 v97, vcc, v127, v61
	v_ashrrev_i32_e32 v61, 31, v60
	v_lshlrev_b64 v[60:61], 4, v[60:61]
	v_addc_co_u32_e32 v98, vcc, v93, v62, vcc
	s_waitcnt lgkmcnt(0)
	s_max_i32 s0, s3, 46
	v_add_co_u32_e32 v99, vcc, v127, v60
	v_mul_lo_u32 v95, s0, v1
	v_addc_co_u32_e32 v100, vcc, v93, v61, vcc
	v_add_co_u32_e32 v62, vcc, v127, v64
	v_addc_co_u32_e32 v63, vcc, 0, v93, vcc
	v_mov_b32_e32 v61, s9
	v_add_co_u32_e32 v60, vcc, s8, v62
	v_lshl_add_u32 v94, v95, 4, 0
	v_addc_co_u32_e32 v61, vcc, v63, v61, vcc
	v_add_u32_e32 v1, v94, v64
	global_load_dwordx4 v[62:65], v[62:63], off
	s_nop 0
	global_load_dwordx4 v[66:69], v[60:61], off
	s_waitcnt vmcnt(0)
	buffer_store_dword v66, off, s[24:27], 0 offset:328 ; 4-byte Folded Spill
	s_nop 0
	buffer_store_dword v67, off, s[24:27], 0 offset:332 ; 4-byte Folded Spill
	buffer_store_dword v68, off, s[24:27], 0 offset:336 ; 4-byte Folded Spill
	;; [unrolled: 1-line block ×4, first 2 shown]
	s_nop 0
	buffer_store_dword v63, off, s[24:27], 0 offset:348 ; 4-byte Folded Spill
	buffer_store_dword v64, off, s[24:27], 0 offset:352 ; 4-byte Folded Spill
	;; [unrolled: 1-line block ×3, first 2 shown]
	s_load_dwordx2 s[4:5], s[4:5], 0x40
	s_cmp_lt_i32 s3, 2
	ds_write2_b64 v1, v[62:63], v[64:65] offset1:1
	global_load_dwordx4 v[60:63], v[2:3], off
	s_waitcnt vmcnt(0)
	buffer_store_dword v60, off, s[24:27], 0 offset:312 ; 4-byte Folded Spill
	s_nop 0
	buffer_store_dword v61, off, s[24:27], 0 offset:316 ; 4-byte Folded Spill
	buffer_store_dword v62, off, s[24:27], 0 offset:320 ; 4-byte Folded Spill
	buffer_store_dword v63, off, s[24:27], 0 offset:324 ; 4-byte Folded Spill
	global_load_dwordx4 v[1:4], v[4:5], off
	s_waitcnt vmcnt(0)
	buffer_store_dword v1, off, s[24:27], 0 offset:288 ; 4-byte Folded Spill
	s_nop 0
	buffer_store_dword v2, off, s[24:27], 0 offset:292 ; 4-byte Folded Spill
	buffer_store_dword v3, off, s[24:27], 0 offset:296 ; 4-byte Folded Spill
	buffer_store_dword v4, off, s[24:27], 0 offset:300 ; 4-byte Folded Spill
	;; [unrolled: 7-line block ×19, first 2 shown]
	global_load_dwordx4 v[1:4], v[40:41], off
	s_waitcnt vmcnt(0)
	buffer_store_dword v1, off, s[24:27], 0 ; 4-byte Folded Spill
	s_nop 0
	buffer_store_dword v2, off, s[24:27], 0 offset:4 ; 4-byte Folded Spill
	buffer_store_dword v3, off, s[24:27], 0 offset:8 ; 4-byte Folded Spill
	buffer_store_dword v4, off, s[24:27], 0 offset:12 ; 4-byte Folded Spill
	global_load_dwordx4 v[111:114], v[42:43], off
	global_load_dwordx4 v[89:92], v[44:45], off
	;; [unrolled: 1-line block ×8, first 2 shown]
	s_nop 0
	global_load_dwordx4 v[57:60], v[58:59], off
	s_nop 0
	global_load_dwordx4 v[53:56], v[117:118], off
	global_load_dwordx4 v[49:52], v[119:120], off
	;; [unrolled: 1-line block ×15, first 2 shown]
	s_waitcnt vmcnt(0) lgkmcnt(0)
	s_barrier
	ds_read2_b64 v[117:120], v94 offset1:1
	v_lshlrev_b32_e32 v101, 4, v95
	v_mov_b32_e32 v97, 0
	s_cbranch_scc1 .LBB90_6
; %bb.4:
	v_add3_u32 v95, v101, 0, 16
	s_mov_b32 s0, 1
	v_mov_b32_e32 v97, 0
.LBB90_5:                               ; =>This Inner Loop Header: Depth=1
	s_waitcnt lgkmcnt(0)
	v_cmp_gt_f64_e32 vcc, 0, v[117:118]
	v_xor_b32_e32 v96, 0x80000000, v118
	ds_read2_b64 v[102:105], v95 offset1:1
	v_mov_b32_e32 v98, v117
	v_mov_b32_e32 v106, v119
	v_add_u32_e32 v95, 16, v95
	s_waitcnt lgkmcnt(0)
	v_mov_b32_e32 v108, v104
	v_cndmask_b32_e32 v99, v118, v96, vcc
	v_cmp_gt_f64_e32 vcc, 0, v[119:120]
	v_xor_b32_e32 v96, 0x80000000, v120
	v_cndmask_b32_e32 v107, v120, v96, vcc
	v_cmp_gt_f64_e32 vcc, 0, v[102:103]
	v_xor_b32_e32 v96, 0x80000000, v103
	v_add_f64 v[98:99], v[98:99], v[106:107]
	v_mov_b32_e32 v106, v102
	v_cndmask_b32_e32 v107, v103, v96, vcc
	v_cmp_gt_f64_e32 vcc, 0, v[104:105]
	v_xor_b32_e32 v96, 0x80000000, v105
	v_cndmask_b32_e32 v109, v105, v96, vcc
	v_add_f64 v[106:107], v[106:107], v[108:109]
	v_mov_b32_e32 v96, s0
	s_add_i32 s0, s0, 1
	s_cmp_eq_u32 s3, s0
	v_cmp_lt_f64_e32 vcc, v[98:99], v[106:107]
	v_cndmask_b32_e32 v118, v118, v103, vcc
	v_cndmask_b32_e32 v117, v117, v102, vcc
	;; [unrolled: 1-line block ×5, first 2 shown]
	s_cbranch_scc0 .LBB90_5
.LBB90_6:
	buffer_load_dword v115, off, s[24:27], 0 offset:360 ; 4-byte Folded Reload
	buffer_load_dword v116, off, s[24:27], 0 offset:364 ; 4-byte Folded Reload
	s_waitcnt lgkmcnt(0)
	v_cmp_neq_f64_e32 vcc, 0, v[117:118]
	v_cmp_neq_f64_e64 s[0:1], 0, v[119:120]
	v_mov_b32_e32 v95, 1
	v_mov_b32_e32 v102, 1
	s_or_b64 s[18:19], vcc, s[0:1]
	s_and_saveexec_b64 s[0:1], s[18:19]
	s_cbranch_execz .LBB90_12
; %bb.7:
	v_cmp_ngt_f64_e64 s[18:19], |v[117:118]|, |v[119:120]|
	s_and_saveexec_b64 s[20:21], s[18:19]
	s_xor_b64 s[18:19], exec, s[20:21]
	s_cbranch_execz .LBB90_9
; %bb.8:
	v_div_scale_f64 v[95:96], s[20:21], v[119:120], v[119:120], v[117:118]
	v_rcp_f64_e32 v[98:99], v[95:96]
	v_fma_f64 v[102:103], -v[95:96], v[98:99], 1.0
	v_fma_f64 v[98:99], v[98:99], v[102:103], v[98:99]
	v_div_scale_f64 v[102:103], vcc, v[117:118], v[119:120], v[117:118]
	v_fma_f64 v[104:105], -v[95:96], v[98:99], 1.0
	v_fma_f64 v[98:99], v[98:99], v[104:105], v[98:99]
	v_mul_f64 v[104:105], v[102:103], v[98:99]
	v_fma_f64 v[95:96], -v[95:96], v[104:105], v[102:103]
	v_div_fmas_f64 v[95:96], v[95:96], v[98:99], v[104:105]
	v_div_fixup_f64 v[95:96], v[95:96], v[119:120], v[117:118]
	v_fma_f64 v[98:99], v[117:118], v[95:96], v[119:120]
	v_div_scale_f64 v[102:103], s[20:21], v[98:99], v[98:99], 1.0
	v_div_scale_f64 v[108:109], vcc, 1.0, v[98:99], 1.0
	v_rcp_f64_e32 v[104:105], v[102:103]
	v_fma_f64 v[106:107], -v[102:103], v[104:105], 1.0
	v_fma_f64 v[104:105], v[104:105], v[106:107], v[104:105]
	v_fma_f64 v[106:107], -v[102:103], v[104:105], 1.0
	v_fma_f64 v[104:105], v[104:105], v[106:107], v[104:105]
	v_mul_f64 v[106:107], v[108:109], v[104:105]
	v_fma_f64 v[102:103], -v[102:103], v[106:107], v[108:109]
	v_div_fmas_f64 v[102:103], v[102:103], v[104:105], v[106:107]
	v_div_fixup_f64 v[119:120], v[102:103], v[98:99], 1.0
	v_mul_f64 v[117:118], v[95:96], v[119:120]
	v_xor_b32_e32 v120, 0x80000000, v120
.LBB90_9:
	s_andn2_saveexec_b64 s[18:19], s[18:19]
	s_cbranch_execz .LBB90_11
; %bb.10:
	v_div_scale_f64 v[95:96], s[20:21], v[117:118], v[117:118], v[119:120]
	v_rcp_f64_e32 v[98:99], v[95:96]
	v_fma_f64 v[102:103], -v[95:96], v[98:99], 1.0
	v_fma_f64 v[98:99], v[98:99], v[102:103], v[98:99]
	v_div_scale_f64 v[102:103], vcc, v[119:120], v[117:118], v[119:120]
	v_fma_f64 v[104:105], -v[95:96], v[98:99], 1.0
	v_fma_f64 v[98:99], v[98:99], v[104:105], v[98:99]
	v_mul_f64 v[104:105], v[102:103], v[98:99]
	v_fma_f64 v[95:96], -v[95:96], v[104:105], v[102:103]
	v_div_fmas_f64 v[95:96], v[95:96], v[98:99], v[104:105]
	v_div_fixup_f64 v[95:96], v[95:96], v[117:118], v[119:120]
	v_fma_f64 v[98:99], v[119:120], v[95:96], v[117:118]
	v_div_scale_f64 v[102:103], s[20:21], v[98:99], v[98:99], 1.0
	v_div_scale_f64 v[108:109], vcc, 1.0, v[98:99], 1.0
	v_rcp_f64_e32 v[104:105], v[102:103]
	v_fma_f64 v[106:107], -v[102:103], v[104:105], 1.0
	v_fma_f64 v[104:105], v[104:105], v[106:107], v[104:105]
	v_fma_f64 v[106:107], -v[102:103], v[104:105], 1.0
	v_fma_f64 v[104:105], v[104:105], v[106:107], v[104:105]
	v_mul_f64 v[106:107], v[108:109], v[104:105]
	v_fma_f64 v[102:103], -v[102:103], v[106:107], v[108:109]
	v_div_fmas_f64 v[102:103], v[102:103], v[104:105], v[106:107]
	v_div_fixup_f64 v[117:118], v[102:103], v[98:99], 1.0
	v_mul_f64 v[119:120], v[95:96], -v[117:118]
.LBB90_11:
	s_or_b64 exec, exec, s[18:19]
	v_mov_b32_e32 v102, 0
	v_mov_b32_e32 v95, 2
.LBB90_12:
	s_or_b64 exec, exec, s[0:1]
	v_cmp_ne_u32_e32 vcc, v0, v97
	s_and_saveexec_b64 s[0:1], vcc
	s_xor_b64 s[0:1], exec, s[0:1]
	s_cbranch_execz .LBB90_18
; %bb.13:
	v_cmp_eq_u32_e32 vcc, 0, v0
	s_and_saveexec_b64 s[18:19], vcc
	s_cbranch_execz .LBB90_17
; %bb.14:
	v_cmp_ne_u32_e32 vcc, 0, v97
	s_xor_b64 s[20:21], s[6:7], -1
	s_and_b64 s[22:23], s[20:21], vcc
	s_and_saveexec_b64 s[20:21], s[22:23]
	s_cbranch_execz .LBB90_16
; %bb.15:
	buffer_load_dword v85, off, s[24:27], 0 offset:304 ; 4-byte Folded Reload
	buffer_load_dword v86, off, s[24:27], 0 offset:308 ; 4-byte Folded Reload
	v_ashrrev_i32_e32 v98, 31, v97
	v_lshlrev_b64 v[98:99], 2, v[97:98]
	s_waitcnt vmcnt(1)
	v_add_co_u32_e32 v98, vcc, v85, v98
	s_waitcnt vmcnt(0)
	v_addc_co_u32_e32 v99, vcc, v86, v99, vcc
	global_load_dword v0, v[98:99], off
	global_load_dword v96, v[85:86], off
	s_waitcnt vmcnt(1)
	global_store_dword v[85:86], v0, off
	s_waitcnt vmcnt(1)
	global_store_dword v[98:99], v96, off
.LBB90_16:
	s_or_b64 exec, exec, s[20:21]
	v_mov_b32_e32 v0, v97
.LBB90_17:
	s_or_b64 exec, exec, s[18:19]
.LBB90_18:
	s_or_saveexec_b64 s[0:1], s[0:1]
	v_mov_b32_e32 v96, v0
	s_xor_b64 exec, exec, s[0:1]
	s_cbranch_execz .LBB90_20
; %bb.19:
	buffer_load_dword v85, off, s[24:27], 0 offset:328 ; 4-byte Folded Reload
	buffer_load_dword v86, off, s[24:27], 0 offset:332 ; 4-byte Folded Reload
	;; [unrolled: 1-line block ×4, first 2 shown]
	v_mov_b32_e32 v96, 0
	s_waitcnt vmcnt(0)
	ds_write2_b64 v94, v[85:86], v[87:88] offset0:2 offset1:3
	buffer_load_dword v85, off, s[24:27], 0 offset:312 ; 4-byte Folded Reload
	buffer_load_dword v86, off, s[24:27], 0 offset:316 ; 4-byte Folded Reload
	buffer_load_dword v87, off, s[24:27], 0 offset:320 ; 4-byte Folded Reload
	buffer_load_dword v88, off, s[24:27], 0 offset:324 ; 4-byte Folded Reload
	s_waitcnt vmcnt(0)
	ds_write2_b64 v94, v[85:86], v[87:88] offset0:4 offset1:5
	buffer_load_dword v85, off, s[24:27], 0 offset:288 ; 4-byte Folded Reload
	buffer_load_dword v86, off, s[24:27], 0 offset:292 ; 4-byte Folded Reload
	buffer_load_dword v87, off, s[24:27], 0 offset:296 ; 4-byte Folded Reload
	buffer_load_dword v88, off, s[24:27], 0 offset:300 ; 4-byte Folded Reload
	;; [unrolled: 6-line block ×19, first 2 shown]
	s_waitcnt vmcnt(0)
	ds_write2_b64 v94, v[85:86], v[87:88] offset0:40 offset1:41
	buffer_load_dword v85, off, s[24:27], 0 ; 4-byte Folded Reload
	buffer_load_dword v86, off, s[24:27], 0 offset:4 ; 4-byte Folded Reload
	buffer_load_dword v87, off, s[24:27], 0 offset:8 ; 4-byte Folded Reload
	;; [unrolled: 1-line block ×3, first 2 shown]
	s_waitcnt vmcnt(0)
	ds_write2_b64 v94, v[85:86], v[87:88] offset0:42 offset1:43
	ds_write2_b64 v94, v[111:112], v[113:114] offset0:44 offset1:45
	;; [unrolled: 1-line block ×25, first 2 shown]
.LBB90_20:
	s_or_b64 exec, exec, s[0:1]
	v_cmp_lt_i32_e32 vcc, 0, v96
	s_waitcnt vmcnt(0) lgkmcnt(0)
	s_barrier
	s_and_saveexec_b64 s[0:1], vcc
	s_cbranch_execz .LBB90_22
; %bb.21:
	buffer_load_dword v105, off, s[24:27], 0 offset:344 ; 4-byte Folded Reload
	buffer_load_dword v106, off, s[24:27], 0 offset:348 ; 4-byte Folded Reload
	;; [unrolled: 1-line block ×4, first 2 shown]
	s_waitcnt vmcnt(0)
	v_mul_f64 v[97:98], v[119:120], v[107:108]
	v_fma_f64 v[125:126], v[117:118], v[105:106], -v[97:98]
	v_mul_f64 v[97:98], v[117:118], v[107:108]
	v_fma_f64 v[107:108], v[119:120], v[105:106], v[97:98]
	ds_read2_b64 v[97:100], v94 offset0:2 offset1:3
	buffer_load_dword v85, off, s[24:27], 0 offset:328 ; 4-byte Folded Reload
	buffer_load_dword v86, off, s[24:27], 0 offset:332 ; 4-byte Folded Reload
	buffer_load_dword v87, off, s[24:27], 0 offset:336 ; 4-byte Folded Reload
	buffer_load_dword v88, off, s[24:27], 0 offset:340 ; 4-byte Folded Reload
	s_waitcnt lgkmcnt(0)
	v_mul_f64 v[103:104], v[99:100], v[107:108]
	v_fma_f64 v[103:104], v[97:98], v[125:126], -v[103:104]
	v_mul_f64 v[97:98], v[97:98], v[107:108]
	v_fma_f64 v[97:98], v[99:100], v[125:126], v[97:98]
	s_waitcnt vmcnt(2)
	v_add_f64 v[85:86], v[85:86], -v[103:104]
	s_waitcnt vmcnt(0)
	v_add_f64 v[87:88], v[87:88], -v[97:98]
	buffer_store_dword v85, off, s[24:27], 0 offset:328 ; 4-byte Folded Spill
	s_nop 0
	buffer_store_dword v86, off, s[24:27], 0 offset:332 ; 4-byte Folded Spill
	buffer_store_dword v87, off, s[24:27], 0 offset:336 ; 4-byte Folded Spill
	buffer_store_dword v88, off, s[24:27], 0 offset:340 ; 4-byte Folded Spill
	ds_read2_b64 v[97:100], v94 offset0:4 offset1:5
	buffer_load_dword v85, off, s[24:27], 0 offset:312 ; 4-byte Folded Reload
	buffer_load_dword v86, off, s[24:27], 0 offset:316 ; 4-byte Folded Reload
	buffer_load_dword v87, off, s[24:27], 0 offset:320 ; 4-byte Folded Reload
	buffer_load_dword v88, off, s[24:27], 0 offset:324 ; 4-byte Folded Reload
	s_waitcnt lgkmcnt(0)
	v_mul_f64 v[103:104], v[99:100], v[107:108]
	v_fma_f64 v[103:104], v[97:98], v[125:126], -v[103:104]
	v_mul_f64 v[97:98], v[97:98], v[107:108]
	v_fma_f64 v[97:98], v[99:100], v[125:126], v[97:98]
	s_waitcnt vmcnt(2)
	v_add_f64 v[85:86], v[85:86], -v[103:104]
	s_waitcnt vmcnt(0)
	v_add_f64 v[87:88], v[87:88], -v[97:98]
	buffer_store_dword v85, off, s[24:27], 0 offset:312 ; 4-byte Folded Spill
	s_nop 0
	buffer_store_dword v86, off, s[24:27], 0 offset:316 ; 4-byte Folded Spill
	buffer_store_dword v87, off, s[24:27], 0 offset:320 ; 4-byte Folded Spill
	buffer_store_dword v88, off, s[24:27], 0 offset:324 ; 4-byte Folded Spill
	;; [unrolled: 19-line block ×20, first 2 shown]
	ds_read2_b64 v[97:100], v94 offset0:42 offset1:43
	buffer_load_dword v85, off, s[24:27], 0 ; 4-byte Folded Reload
	buffer_load_dword v86, off, s[24:27], 0 offset:4 ; 4-byte Folded Reload
	buffer_load_dword v87, off, s[24:27], 0 offset:8 ; 4-byte Folded Reload
	;; [unrolled: 1-line block ×3, first 2 shown]
	s_waitcnt lgkmcnt(0)
	v_mul_f64 v[103:104], v[99:100], v[107:108]
	v_fma_f64 v[103:104], v[97:98], v[125:126], -v[103:104]
	v_mul_f64 v[97:98], v[97:98], v[107:108]
	v_fma_f64 v[97:98], v[99:100], v[125:126], v[97:98]
	s_waitcnt vmcnt(2)
	v_add_f64 v[85:86], v[85:86], -v[103:104]
	s_waitcnt vmcnt(0)
	v_add_f64 v[87:88], v[87:88], -v[97:98]
	buffer_store_dword v85, off, s[24:27], 0 ; 4-byte Folded Spill
	s_nop 0
	buffer_store_dword v86, off, s[24:27], 0 offset:4 ; 4-byte Folded Spill
	buffer_store_dword v87, off, s[24:27], 0 offset:8 ; 4-byte Folded Spill
	;; [unrolled: 1-line block ×3, first 2 shown]
	ds_read2_b64 v[97:100], v94 offset0:44 offset1:45
	s_waitcnt lgkmcnt(0)
	v_mul_f64 v[103:104], v[99:100], v[107:108]
	v_fma_f64 v[103:104], v[97:98], v[125:126], -v[103:104]
	v_mul_f64 v[97:98], v[97:98], v[107:108]
	v_add_f64 v[111:112], v[111:112], -v[103:104]
	v_fma_f64 v[97:98], v[99:100], v[125:126], v[97:98]
	v_add_f64 v[113:114], v[113:114], -v[97:98]
	ds_read2_b64 v[97:100], v94 offset0:46 offset1:47
	s_waitcnt lgkmcnt(0)
	v_mul_f64 v[103:104], v[99:100], v[107:108]
	v_fma_f64 v[103:104], v[97:98], v[125:126], -v[103:104]
	v_mul_f64 v[97:98], v[97:98], v[107:108]
	v_add_f64 v[89:90], v[89:90], -v[103:104]
	v_fma_f64 v[97:98], v[99:100], v[125:126], v[97:98]
	v_add_f64 v[91:92], v[91:92], -v[97:98]
	;; [unrolled: 8-line block ×22, first 2 shown]
	ds_read2_b64 v[97:100], v94 offset0:88 offset1:89
	s_waitcnt lgkmcnt(0)
	v_mul_f64 v[103:104], v[99:100], v[107:108]
	v_fma_f64 v[103:104], v[97:98], v[125:126], -v[103:104]
	v_mul_f64 v[97:98], v[97:98], v[107:108]
	v_add_f64 v[1:2], v[1:2], -v[103:104]
	v_fma_f64 v[97:98], v[99:100], v[125:126], v[97:98]
	ds_read2_b64 v[103:106], v94 offset0:90 offset1:91
	s_waitcnt lgkmcnt(0)
	v_mul_f64 v[99:100], v[103:104], v[107:108]
	v_add_f64 v[3:4], v[3:4], -v[97:98]
	v_mul_f64 v[97:98], v[105:106], v[107:108]
	v_fma_f64 v[99:100], v[105:106], v[125:126], v[99:100]
	v_mov_b32_e32 v105, v125
	v_mov_b32_e32 v106, v126
	v_fma_f64 v[97:98], v[103:104], v[125:126], -v[97:98]
	buffer_store_dword v105, off, s[24:27], 0 offset:344 ; 4-byte Folded Spill
	s_nop 0
	buffer_store_dword v106, off, s[24:27], 0 offset:348 ; 4-byte Folded Spill
	buffer_store_dword v107, off, s[24:27], 0 offset:352 ; 4-byte Folded Spill
	;; [unrolled: 1-line block ×3, first 2 shown]
	v_add_f64 v[123:124], v[123:124], -v[99:100]
	v_add_f64 v[121:122], v[121:122], -v[97:98]
.LBB90_22:
	s_or_b64 exec, exec, s[0:1]
	s_waitcnt vmcnt(0)
	s_barrier
	buffer_load_dword v85, off, s[24:27], 0 offset:328 ; 4-byte Folded Reload
	buffer_load_dword v86, off, s[24:27], 0 offset:332 ; 4-byte Folded Reload
	;; [unrolled: 1-line block ×4, first 2 shown]
	v_lshl_add_u32 v97, v96, 4, v94
	s_cmp_lt_i32 s3, 3
	s_waitcnt vmcnt(0)
	ds_write2_b64 v97, v[85:86], v[87:88] offset1:1
	s_waitcnt lgkmcnt(0)
	s_barrier
	ds_read2_b64 v[117:120], v94 offset0:2 offset1:3
	v_mov_b32_e32 v97, 1
	s_cbranch_scc1 .LBB90_25
; %bb.23:
	v_add3_u32 v98, v101, 0, 32
	s_mov_b32 s0, 2
	v_mov_b32_e32 v97, 1
.LBB90_24:                              ; =>This Inner Loop Header: Depth=1
	s_waitcnt lgkmcnt(0)
	v_cmp_gt_f64_e32 vcc, 0, v[117:118]
	v_xor_b32_e32 v99, 0x80000000, v118
	ds_read2_b64 v[103:106], v98 offset1:1
	v_xor_b32_e32 v107, 0x80000000, v120
	v_add_u32_e32 v98, 16, v98
	s_waitcnt lgkmcnt(0)
	v_xor_b32_e32 v109, 0x80000000, v106
	v_cndmask_b32_e32 v100, v118, v99, vcc
	v_cmp_gt_f64_e32 vcc, 0, v[119:120]
	v_mov_b32_e32 v99, v117
	v_cndmask_b32_e32 v108, v120, v107, vcc
	v_cmp_gt_f64_e32 vcc, 0, v[103:104]
	v_mov_b32_e32 v107, v119
	v_add_f64 v[99:100], v[99:100], v[107:108]
	v_xor_b32_e32 v107, 0x80000000, v104
	v_cndmask_b32_e32 v108, v104, v107, vcc
	v_cmp_gt_f64_e32 vcc, 0, v[105:106]
	v_mov_b32_e32 v107, v103
	v_cndmask_b32_e32 v110, v106, v109, vcc
	v_mov_b32_e32 v109, v105
	v_add_f64 v[107:108], v[107:108], v[109:110]
	v_cmp_lt_f64_e32 vcc, v[99:100], v[107:108]
	v_mov_b32_e32 v99, s0
	s_add_i32 s0, s0, 1
	s_cmp_lg_u32 s3, s0
	v_cndmask_b32_e32 v118, v118, v104, vcc
	v_cndmask_b32_e32 v117, v117, v103, vcc
	;; [unrolled: 1-line block ×5, first 2 shown]
	s_cbranch_scc1 .LBB90_24
.LBB90_25:
	s_waitcnt lgkmcnt(0)
	v_cmp_neq_f64_e32 vcc, 0, v[117:118]
	v_cmp_neq_f64_e64 s[0:1], 0, v[119:120]
	s_or_b64 s[18:19], vcc, s[0:1]
	s_and_saveexec_b64 s[0:1], s[18:19]
	s_cbranch_execz .LBB90_31
; %bb.26:
	v_cmp_ngt_f64_e64 s[18:19], |v[117:118]|, |v[119:120]|
	s_and_saveexec_b64 s[20:21], s[18:19]
	s_xor_b64 s[18:19], exec, s[20:21]
	s_cbranch_execz .LBB90_28
; %bb.27:
	v_div_scale_f64 v[98:99], s[20:21], v[119:120], v[119:120], v[117:118]
	v_rcp_f64_e32 v[103:104], v[98:99]
	v_fma_f64 v[105:106], -v[98:99], v[103:104], 1.0
	v_fma_f64 v[103:104], v[103:104], v[105:106], v[103:104]
	v_div_scale_f64 v[105:106], vcc, v[117:118], v[119:120], v[117:118]
	v_fma_f64 v[107:108], -v[98:99], v[103:104], 1.0
	v_fma_f64 v[103:104], v[103:104], v[107:108], v[103:104]
	v_mul_f64 v[107:108], v[105:106], v[103:104]
	v_fma_f64 v[98:99], -v[98:99], v[107:108], v[105:106]
	v_div_fmas_f64 v[98:99], v[98:99], v[103:104], v[107:108]
	v_div_fixup_f64 v[98:99], v[98:99], v[119:120], v[117:118]
	v_fma_f64 v[103:104], v[117:118], v[98:99], v[119:120]
	v_mov_b32_e32 v120, v114
	v_mov_b32_e32 v119, v113
	;; [unrolled: 1-line block ×4, first 2 shown]
	v_div_scale_f64 v[105:106], s[20:21], v[103:104], v[103:104], 1.0
	v_div_scale_f64 v[111:112], vcc, 1.0, v[103:104], 1.0
	v_rcp_f64_e32 v[107:108], v[105:106]
	v_fma_f64 v[109:110], -v[105:106], v[107:108], 1.0
	v_fma_f64 v[107:108], v[107:108], v[109:110], v[107:108]
	v_fma_f64 v[109:110], -v[105:106], v[107:108], 1.0
	v_fma_f64 v[107:108], v[107:108], v[109:110], v[107:108]
	v_mul_f64 v[109:110], v[111:112], v[107:108]
	v_fma_f64 v[105:106], -v[105:106], v[109:110], v[111:112]
	v_mov_b32_e32 v111, v117
	v_mov_b32_e32 v112, v118
	;; [unrolled: 1-line block ×4, first 2 shown]
	v_div_fmas_f64 v[105:106], v[105:106], v[107:108], v[109:110]
	v_div_fixup_f64 v[119:120], v[105:106], v[103:104], 1.0
	v_mul_f64 v[117:118], v[98:99], v[119:120]
	v_xor_b32_e32 v120, 0x80000000, v120
.LBB90_28:
	s_andn2_saveexec_b64 s[18:19], s[18:19]
	s_cbranch_execz .LBB90_30
; %bb.29:
	v_div_scale_f64 v[98:99], s[20:21], v[117:118], v[117:118], v[119:120]
	v_rcp_f64_e32 v[103:104], v[98:99]
	v_fma_f64 v[105:106], -v[98:99], v[103:104], 1.0
	v_fma_f64 v[103:104], v[103:104], v[105:106], v[103:104]
	v_div_scale_f64 v[105:106], vcc, v[119:120], v[117:118], v[119:120]
	v_fma_f64 v[107:108], -v[98:99], v[103:104], 1.0
	v_fma_f64 v[103:104], v[103:104], v[107:108], v[103:104]
	v_mul_f64 v[107:108], v[105:106], v[103:104]
	v_fma_f64 v[98:99], -v[98:99], v[107:108], v[105:106]
	v_div_fmas_f64 v[98:99], v[98:99], v[103:104], v[107:108]
	v_div_fixup_f64 v[98:99], v[98:99], v[117:118], v[119:120]
	v_fma_f64 v[103:104], v[119:120], v[98:99], v[117:118]
	v_mov_b32_e32 v120, v114
	v_mov_b32_e32 v119, v113
	;; [unrolled: 1-line block ×4, first 2 shown]
	v_div_scale_f64 v[105:106], s[20:21], v[103:104], v[103:104], 1.0
	v_div_scale_f64 v[111:112], vcc, 1.0, v[103:104], 1.0
	v_rcp_f64_e32 v[107:108], v[105:106]
	v_fma_f64 v[109:110], -v[105:106], v[107:108], 1.0
	v_fma_f64 v[107:108], v[107:108], v[109:110], v[107:108]
	v_fma_f64 v[109:110], -v[105:106], v[107:108], 1.0
	v_fma_f64 v[107:108], v[107:108], v[109:110], v[107:108]
	v_mul_f64 v[109:110], v[111:112], v[107:108]
	v_fma_f64 v[105:106], -v[105:106], v[109:110], v[111:112]
	v_mov_b32_e32 v111, v117
	v_mov_b32_e32 v112, v118
	;; [unrolled: 1-line block ×4, first 2 shown]
	v_div_fmas_f64 v[105:106], v[105:106], v[107:108], v[109:110]
	v_div_fixup_f64 v[117:118], v[105:106], v[103:104], 1.0
	v_mul_f64 v[119:120], v[98:99], -v[117:118]
.LBB90_30:
	s_or_b64 exec, exec, s[18:19]
	v_mov_b32_e32 v95, v102
.LBB90_31:
	s_or_b64 exec, exec, s[0:1]
	v_cmp_ne_u32_e32 vcc, v96, v97
	s_and_saveexec_b64 s[0:1], vcc
	s_xor_b64 s[0:1], exec, s[0:1]
	s_cbranch_execz .LBB90_37
; %bb.32:
	v_cmp_eq_u32_e32 vcc, 1, v96
	s_and_saveexec_b64 s[18:19], vcc
	s_cbranch_execz .LBB90_36
; %bb.33:
	v_cmp_ne_u32_e32 vcc, 1, v97
	s_xor_b64 s[20:21], s[6:7], -1
	s_and_b64 s[22:23], s[20:21], vcc
	s_and_saveexec_b64 s[20:21], s[22:23]
	s_cbranch_execz .LBB90_35
; %bb.34:
	buffer_load_dword v85, off, s[24:27], 0 offset:304 ; 4-byte Folded Reload
	buffer_load_dword v86, off, s[24:27], 0 offset:308 ; 4-byte Folded Reload
	v_ashrrev_i32_e32 v98, 31, v97
	v_lshlrev_b64 v[98:99], 2, v[97:98]
	s_waitcnt vmcnt(1)
	v_add_co_u32_e32 v98, vcc, v85, v98
	s_waitcnt vmcnt(0)
	v_addc_co_u32_e32 v99, vcc, v86, v99, vcc
	global_load_dword v0, v[98:99], off
	global_load_dword v96, v[85:86], off offset:4
	s_waitcnt vmcnt(1)
	global_store_dword v[85:86], v0, off offset:4
	s_waitcnt vmcnt(1)
	global_store_dword v[98:99], v96, off
.LBB90_35:
	s_or_b64 exec, exec, s[20:21]
	v_mov_b32_e32 v96, v97
	v_mov_b32_e32 v0, v97
.LBB90_36:
	s_or_b64 exec, exec, s[18:19]
.LBB90_37:
	s_andn2_saveexec_b64 s[0:1], s[0:1]
	s_cbranch_execz .LBB90_39
; %bb.38:
	buffer_load_dword v85, off, s[24:27], 0 offset:312 ; 4-byte Folded Reload
	buffer_load_dword v86, off, s[24:27], 0 offset:316 ; 4-byte Folded Reload
	;; [unrolled: 1-line block ×4, first 2 shown]
	v_mov_b32_e32 v96, 1
	s_waitcnt vmcnt(0)
	ds_write2_b64 v94, v[85:86], v[87:88] offset0:4 offset1:5
	buffer_load_dword v85, off, s[24:27], 0 offset:288 ; 4-byte Folded Reload
	buffer_load_dword v86, off, s[24:27], 0 offset:292 ; 4-byte Folded Reload
	buffer_load_dword v87, off, s[24:27], 0 offset:296 ; 4-byte Folded Reload
	buffer_load_dword v88, off, s[24:27], 0 offset:300 ; 4-byte Folded Reload
	s_waitcnt vmcnt(0)
	ds_write2_b64 v94, v[85:86], v[87:88] offset0:6 offset1:7
	buffer_load_dword v85, off, s[24:27], 0 offset:272 ; 4-byte Folded Reload
	buffer_load_dword v86, off, s[24:27], 0 offset:276 ; 4-byte Folded Reload
	buffer_load_dword v87, off, s[24:27], 0 offset:280 ; 4-byte Folded Reload
	buffer_load_dword v88, off, s[24:27], 0 offset:284 ; 4-byte Folded Reload
	;; [unrolled: 6-line block ×18, first 2 shown]
	s_waitcnt vmcnt(0)
	ds_write2_b64 v94, v[85:86], v[87:88] offset0:40 offset1:41
	buffer_load_dword v85, off, s[24:27], 0 ; 4-byte Folded Reload
	buffer_load_dword v86, off, s[24:27], 0 offset:4 ; 4-byte Folded Reload
	buffer_load_dword v87, off, s[24:27], 0 offset:8 ; 4-byte Folded Reload
	;; [unrolled: 1-line block ×3, first 2 shown]
	s_waitcnt vmcnt(0)
	ds_write2_b64 v94, v[85:86], v[87:88] offset0:42 offset1:43
	ds_write2_b64 v94, v[111:112], v[113:114] offset0:44 offset1:45
	;; [unrolled: 1-line block ×25, first 2 shown]
.LBB90_39:
	s_or_b64 exec, exec, s[0:1]
	v_cmp_lt_i32_e32 vcc, 1, v96
	s_waitcnt vmcnt(0) lgkmcnt(0)
	s_barrier
	s_and_saveexec_b64 s[0:1], vcc
	s_cbranch_execz .LBB90_41
; %bb.40:
	buffer_load_dword v104, off, s[24:27], 0 offset:328 ; 4-byte Folded Reload
	buffer_load_dword v105, off, s[24:27], 0 offset:332 ; 4-byte Folded Reload
	;; [unrolled: 1-line block ×4, first 2 shown]
	s_waitcnt vmcnt(0)
	v_mul_f64 v[97:98], v[119:120], v[106:107]
	v_fma_f64 v[125:126], v[117:118], v[104:105], -v[97:98]
	v_mul_f64 v[97:98], v[117:118], v[106:107]
	v_fma_f64 v[106:107], v[119:120], v[104:105], v[97:98]
	ds_read2_b64 v[97:100], v94 offset0:4 offset1:5
	buffer_load_dword v85, off, s[24:27], 0 offset:312 ; 4-byte Folded Reload
	buffer_load_dword v86, off, s[24:27], 0 offset:316 ; 4-byte Folded Reload
	buffer_load_dword v87, off, s[24:27], 0 offset:320 ; 4-byte Folded Reload
	buffer_load_dword v88, off, s[24:27], 0 offset:324 ; 4-byte Folded Reload
	s_waitcnt lgkmcnt(0)
	v_mul_f64 v[102:103], v[99:100], v[106:107]
	v_fma_f64 v[102:103], v[97:98], v[125:126], -v[102:103]
	v_mul_f64 v[97:98], v[97:98], v[106:107]
	v_fma_f64 v[97:98], v[99:100], v[125:126], v[97:98]
	s_waitcnt vmcnt(2)
	v_add_f64 v[85:86], v[85:86], -v[102:103]
	s_waitcnt vmcnt(0)
	v_add_f64 v[87:88], v[87:88], -v[97:98]
	buffer_store_dword v85, off, s[24:27], 0 offset:312 ; 4-byte Folded Spill
	s_nop 0
	buffer_store_dword v86, off, s[24:27], 0 offset:316 ; 4-byte Folded Spill
	buffer_store_dword v87, off, s[24:27], 0 offset:320 ; 4-byte Folded Spill
	buffer_store_dword v88, off, s[24:27], 0 offset:324 ; 4-byte Folded Spill
	ds_read2_b64 v[97:100], v94 offset0:6 offset1:7
	buffer_load_dword v85, off, s[24:27], 0 offset:288 ; 4-byte Folded Reload
	buffer_load_dword v86, off, s[24:27], 0 offset:292 ; 4-byte Folded Reload
	buffer_load_dword v87, off, s[24:27], 0 offset:296 ; 4-byte Folded Reload
	buffer_load_dword v88, off, s[24:27], 0 offset:300 ; 4-byte Folded Reload
	s_waitcnt lgkmcnt(0)
	v_mul_f64 v[102:103], v[99:100], v[106:107]
	v_fma_f64 v[102:103], v[97:98], v[125:126], -v[102:103]
	v_mul_f64 v[97:98], v[97:98], v[106:107]
	v_fma_f64 v[97:98], v[99:100], v[125:126], v[97:98]
	s_waitcnt vmcnt(2)
	v_add_f64 v[85:86], v[85:86], -v[102:103]
	s_waitcnt vmcnt(0)
	v_add_f64 v[87:88], v[87:88], -v[97:98]
	buffer_store_dword v85, off, s[24:27], 0 offset:288 ; 4-byte Folded Spill
	s_nop 0
	buffer_store_dword v86, off, s[24:27], 0 offset:292 ; 4-byte Folded Spill
	buffer_store_dword v87, off, s[24:27], 0 offset:296 ; 4-byte Folded Spill
	buffer_store_dword v88, off, s[24:27], 0 offset:300 ; 4-byte Folded Spill
	;; [unrolled: 19-line block ×19, first 2 shown]
	ds_read2_b64 v[97:100], v94 offset0:42 offset1:43
	buffer_load_dword v85, off, s[24:27], 0 ; 4-byte Folded Reload
	buffer_load_dword v86, off, s[24:27], 0 offset:4 ; 4-byte Folded Reload
	buffer_load_dword v87, off, s[24:27], 0 offset:8 ; 4-byte Folded Reload
	;; [unrolled: 1-line block ×3, first 2 shown]
	s_waitcnt lgkmcnt(0)
	v_mul_f64 v[102:103], v[99:100], v[106:107]
	v_fma_f64 v[102:103], v[97:98], v[125:126], -v[102:103]
	v_mul_f64 v[97:98], v[97:98], v[106:107]
	v_fma_f64 v[97:98], v[99:100], v[125:126], v[97:98]
	s_waitcnt vmcnt(2)
	v_add_f64 v[85:86], v[85:86], -v[102:103]
	s_waitcnt vmcnt(0)
	v_add_f64 v[87:88], v[87:88], -v[97:98]
	buffer_store_dword v85, off, s[24:27], 0 ; 4-byte Folded Spill
	s_nop 0
	buffer_store_dword v86, off, s[24:27], 0 offset:4 ; 4-byte Folded Spill
	buffer_store_dword v87, off, s[24:27], 0 offset:8 ; 4-byte Folded Spill
	buffer_store_dword v88, off, s[24:27], 0 offset:12 ; 4-byte Folded Spill
	ds_read2_b64 v[97:100], v94 offset0:44 offset1:45
	s_waitcnt lgkmcnt(0)
	v_mul_f64 v[102:103], v[99:100], v[106:107]
	v_fma_f64 v[102:103], v[97:98], v[125:126], -v[102:103]
	v_mul_f64 v[97:98], v[97:98], v[106:107]
	v_add_f64 v[111:112], v[111:112], -v[102:103]
	v_fma_f64 v[97:98], v[99:100], v[125:126], v[97:98]
	v_add_f64 v[113:114], v[113:114], -v[97:98]
	ds_read2_b64 v[97:100], v94 offset0:46 offset1:47
	s_waitcnt lgkmcnt(0)
	v_mul_f64 v[102:103], v[99:100], v[106:107]
	v_fma_f64 v[102:103], v[97:98], v[125:126], -v[102:103]
	v_mul_f64 v[97:98], v[97:98], v[106:107]
	v_add_f64 v[89:90], v[89:90], -v[102:103]
	v_fma_f64 v[97:98], v[99:100], v[125:126], v[97:98]
	v_add_f64 v[91:92], v[91:92], -v[97:98]
	;; [unrolled: 8-line block ×22, first 2 shown]
	ds_read2_b64 v[97:100], v94 offset0:88 offset1:89
	s_waitcnt lgkmcnt(0)
	v_mul_f64 v[102:103], v[99:100], v[106:107]
	v_fma_f64 v[102:103], v[97:98], v[125:126], -v[102:103]
	v_mul_f64 v[97:98], v[97:98], v[106:107]
	v_add_f64 v[1:2], v[1:2], -v[102:103]
	v_fma_f64 v[97:98], v[99:100], v[125:126], v[97:98]
	ds_read2_b64 v[102:105], v94 offset0:90 offset1:91
	s_waitcnt lgkmcnt(0)
	v_mul_f64 v[99:100], v[102:103], v[106:107]
	v_add_f64 v[3:4], v[3:4], -v[97:98]
	v_mul_f64 v[97:98], v[104:105], v[106:107]
	v_fma_f64 v[99:100], v[104:105], v[125:126], v[99:100]
	v_mov_b32_e32 v104, v125
	v_mov_b32_e32 v105, v126
	v_fma_f64 v[97:98], v[102:103], v[125:126], -v[97:98]
	buffer_store_dword v104, off, s[24:27], 0 offset:328 ; 4-byte Folded Spill
	s_nop 0
	buffer_store_dword v105, off, s[24:27], 0 offset:332 ; 4-byte Folded Spill
	buffer_store_dword v106, off, s[24:27], 0 offset:336 ; 4-byte Folded Spill
	;; [unrolled: 1-line block ×3, first 2 shown]
	v_add_f64 v[123:124], v[123:124], -v[99:100]
	v_add_f64 v[121:122], v[121:122], -v[97:98]
.LBB90_41:
	s_or_b64 exec, exec, s[0:1]
	s_waitcnt vmcnt(0)
	s_barrier
	buffer_load_dword v85, off, s[24:27], 0 offset:312 ; 4-byte Folded Reload
	buffer_load_dword v86, off, s[24:27], 0 offset:316 ; 4-byte Folded Reload
	;; [unrolled: 1-line block ×4, first 2 shown]
	v_lshl_add_u32 v97, v96, 4, v94
	s_cmp_lt_i32 s3, 4
	s_waitcnt vmcnt(0)
	ds_write2_b64 v97, v[85:86], v[87:88] offset1:1
	s_waitcnt lgkmcnt(0)
	s_barrier
	ds_read2_b64 v[117:120], v94 offset0:4 offset1:5
	v_mov_b32_e32 v97, 2
	s_cbranch_scc1 .LBB90_44
; %bb.42:
	v_add3_u32 v98, v101, 0, 48
	s_mov_b32 s0, 3
	v_mov_b32_e32 v97, 2
.LBB90_43:                              ; =>This Inner Loop Header: Depth=1
	s_waitcnt lgkmcnt(0)
	v_cmp_gt_f64_e32 vcc, 0, v[117:118]
	v_xor_b32_e32 v99, 0x80000000, v118
	ds_read2_b64 v[102:105], v98 offset1:1
	v_xor_b32_e32 v106, 0x80000000, v120
	v_add_u32_e32 v98, 16, v98
	s_waitcnt lgkmcnt(0)
	v_xor_b32_e32 v108, 0x80000000, v105
	v_cndmask_b32_e32 v100, v118, v99, vcc
	v_cmp_gt_f64_e32 vcc, 0, v[119:120]
	v_mov_b32_e32 v99, v117
	v_cndmask_b32_e32 v107, v120, v106, vcc
	v_cmp_gt_f64_e32 vcc, 0, v[102:103]
	v_mov_b32_e32 v106, v119
	v_add_f64 v[99:100], v[99:100], v[106:107]
	v_xor_b32_e32 v106, 0x80000000, v103
	v_cndmask_b32_e32 v107, v103, v106, vcc
	v_cmp_gt_f64_e32 vcc, 0, v[104:105]
	v_mov_b32_e32 v106, v102
	v_cndmask_b32_e32 v109, v105, v108, vcc
	v_mov_b32_e32 v108, v104
	v_add_f64 v[106:107], v[106:107], v[108:109]
	v_cmp_lt_f64_e32 vcc, v[99:100], v[106:107]
	v_mov_b32_e32 v99, s0
	s_add_i32 s0, s0, 1
	s_cmp_lg_u32 s3, s0
	v_cndmask_b32_e32 v118, v118, v103, vcc
	v_cndmask_b32_e32 v117, v117, v102, vcc
	;; [unrolled: 1-line block ×5, first 2 shown]
	s_cbranch_scc1 .LBB90_43
.LBB90_44:
	s_waitcnt lgkmcnt(0)
	v_cmp_eq_f64_e32 vcc, 0, v[117:118]
	v_cmp_eq_f64_e64 s[0:1], 0, v[119:120]
	s_and_b64 s[0:1], vcc, s[0:1]
	s_and_saveexec_b64 s[18:19], s[0:1]
	s_xor_b64 s[0:1], exec, s[18:19]
; %bb.45:
	v_cmp_ne_u32_e32 vcc, 0, v95
	v_cndmask_b32_e32 v95, 3, v95, vcc
; %bb.46:
	s_andn2_saveexec_b64 s[0:1], s[0:1]
	s_cbranch_execz .LBB90_52
; %bb.47:
	v_cmp_ngt_f64_e64 s[18:19], |v[117:118]|, |v[119:120]|
	s_and_saveexec_b64 s[20:21], s[18:19]
	s_xor_b64 s[18:19], exec, s[20:21]
	s_cbranch_execz .LBB90_49
; %bb.48:
	v_div_scale_f64 v[98:99], s[20:21], v[119:120], v[119:120], v[117:118]
	v_rcp_f64_e32 v[102:103], v[98:99]
	v_fma_f64 v[104:105], -v[98:99], v[102:103], 1.0
	v_fma_f64 v[102:103], v[102:103], v[104:105], v[102:103]
	v_div_scale_f64 v[104:105], vcc, v[117:118], v[119:120], v[117:118]
	v_fma_f64 v[106:107], -v[98:99], v[102:103], 1.0
	v_fma_f64 v[102:103], v[102:103], v[106:107], v[102:103]
	v_mul_f64 v[106:107], v[104:105], v[102:103]
	v_fma_f64 v[98:99], -v[98:99], v[106:107], v[104:105]
	v_div_fmas_f64 v[98:99], v[98:99], v[102:103], v[106:107]
	v_div_fixup_f64 v[98:99], v[98:99], v[119:120], v[117:118]
	v_fma_f64 v[102:103], v[117:118], v[98:99], v[119:120]
	v_mov_b32_e32 v120, v114
	v_mov_b32_e32 v119, v113
	;; [unrolled: 1-line block ×4, first 2 shown]
	v_div_scale_f64 v[104:105], s[20:21], v[102:103], v[102:103], 1.0
	v_div_scale_f64 v[110:111], vcc, 1.0, v[102:103], 1.0
	v_rcp_f64_e32 v[106:107], v[104:105]
	v_fma_f64 v[108:109], -v[104:105], v[106:107], 1.0
	v_fma_f64 v[106:107], v[106:107], v[108:109], v[106:107]
	v_fma_f64 v[108:109], -v[104:105], v[106:107], 1.0
	v_fma_f64 v[106:107], v[106:107], v[108:109], v[106:107]
	v_mul_f64 v[108:109], v[110:111], v[106:107]
	v_fma_f64 v[104:105], -v[104:105], v[108:109], v[110:111]
	v_mov_b32_e32 v111, v117
	v_mov_b32_e32 v112, v118
	;; [unrolled: 1-line block ×4, first 2 shown]
	v_div_fmas_f64 v[104:105], v[104:105], v[106:107], v[108:109]
	v_div_fixup_f64 v[119:120], v[104:105], v[102:103], 1.0
	v_mul_f64 v[117:118], v[98:99], v[119:120]
	v_xor_b32_e32 v120, 0x80000000, v120
.LBB90_49:
	s_andn2_saveexec_b64 s[18:19], s[18:19]
	s_cbranch_execz .LBB90_51
; %bb.50:
	v_div_scale_f64 v[98:99], s[20:21], v[117:118], v[117:118], v[119:120]
	v_rcp_f64_e32 v[102:103], v[98:99]
	v_fma_f64 v[104:105], -v[98:99], v[102:103], 1.0
	v_fma_f64 v[102:103], v[102:103], v[104:105], v[102:103]
	v_div_scale_f64 v[104:105], vcc, v[119:120], v[117:118], v[119:120]
	v_fma_f64 v[106:107], -v[98:99], v[102:103], 1.0
	v_fma_f64 v[102:103], v[102:103], v[106:107], v[102:103]
	v_mul_f64 v[106:107], v[104:105], v[102:103]
	v_fma_f64 v[98:99], -v[98:99], v[106:107], v[104:105]
	v_div_fmas_f64 v[98:99], v[98:99], v[102:103], v[106:107]
	v_div_fixup_f64 v[98:99], v[98:99], v[117:118], v[119:120]
	v_fma_f64 v[102:103], v[119:120], v[98:99], v[117:118]
	v_mov_b32_e32 v120, v114
	v_mov_b32_e32 v119, v113
	;; [unrolled: 1-line block ×4, first 2 shown]
	v_div_scale_f64 v[104:105], s[20:21], v[102:103], v[102:103], 1.0
	v_div_scale_f64 v[110:111], vcc, 1.0, v[102:103], 1.0
	v_rcp_f64_e32 v[106:107], v[104:105]
	v_fma_f64 v[108:109], -v[104:105], v[106:107], 1.0
	v_fma_f64 v[106:107], v[106:107], v[108:109], v[106:107]
	v_fma_f64 v[108:109], -v[104:105], v[106:107], 1.0
	v_fma_f64 v[106:107], v[106:107], v[108:109], v[106:107]
	v_mul_f64 v[108:109], v[110:111], v[106:107]
	v_fma_f64 v[104:105], -v[104:105], v[108:109], v[110:111]
	v_mov_b32_e32 v111, v117
	v_mov_b32_e32 v112, v118
	;; [unrolled: 1-line block ×4, first 2 shown]
	v_div_fmas_f64 v[104:105], v[104:105], v[106:107], v[108:109]
	v_div_fixup_f64 v[117:118], v[104:105], v[102:103], 1.0
	v_mul_f64 v[119:120], v[98:99], -v[117:118]
.LBB90_51:
	s_or_b64 exec, exec, s[18:19]
.LBB90_52:
	s_or_b64 exec, exec, s[0:1]
	v_cmp_ne_u32_e32 vcc, v96, v97
	s_and_saveexec_b64 s[0:1], vcc
	s_xor_b64 s[0:1], exec, s[0:1]
	s_cbranch_execz .LBB90_58
; %bb.53:
	v_cmp_eq_u32_e32 vcc, 2, v96
	s_and_saveexec_b64 s[18:19], vcc
	s_cbranch_execz .LBB90_57
; %bb.54:
	v_cmp_ne_u32_e32 vcc, 2, v97
	s_xor_b64 s[20:21], s[6:7], -1
	s_and_b64 s[22:23], s[20:21], vcc
	s_and_saveexec_b64 s[20:21], s[22:23]
	s_cbranch_execz .LBB90_56
; %bb.55:
	buffer_load_dword v85, off, s[24:27], 0 offset:304 ; 4-byte Folded Reload
	buffer_load_dword v86, off, s[24:27], 0 offset:308 ; 4-byte Folded Reload
	v_ashrrev_i32_e32 v98, 31, v97
	v_lshlrev_b64 v[98:99], 2, v[97:98]
	s_waitcnt vmcnt(1)
	v_add_co_u32_e32 v98, vcc, v85, v98
	s_waitcnt vmcnt(0)
	v_addc_co_u32_e32 v99, vcc, v86, v99, vcc
	global_load_dword v0, v[98:99], off
	global_load_dword v96, v[85:86], off offset:8
	s_waitcnt vmcnt(1)
	global_store_dword v[85:86], v0, off offset:8
	s_waitcnt vmcnt(1)
	global_store_dword v[98:99], v96, off
.LBB90_56:
	s_or_b64 exec, exec, s[20:21]
	v_mov_b32_e32 v96, v97
	v_mov_b32_e32 v0, v97
.LBB90_57:
	s_or_b64 exec, exec, s[18:19]
.LBB90_58:
	s_andn2_saveexec_b64 s[0:1], s[0:1]
	s_cbranch_execz .LBB90_60
; %bb.59:
	buffer_load_dword v85, off, s[24:27], 0 offset:288 ; 4-byte Folded Reload
	buffer_load_dword v86, off, s[24:27], 0 offset:292 ; 4-byte Folded Reload
	;; [unrolled: 1-line block ×4, first 2 shown]
	v_mov_b32_e32 v96, 2
	s_waitcnt vmcnt(0)
	ds_write2_b64 v94, v[85:86], v[87:88] offset0:6 offset1:7
	buffer_load_dword v85, off, s[24:27], 0 offset:272 ; 4-byte Folded Reload
	buffer_load_dword v86, off, s[24:27], 0 offset:276 ; 4-byte Folded Reload
	buffer_load_dword v87, off, s[24:27], 0 offset:280 ; 4-byte Folded Reload
	buffer_load_dword v88, off, s[24:27], 0 offset:284 ; 4-byte Folded Reload
	s_waitcnt vmcnt(0)
	ds_write2_b64 v94, v[85:86], v[87:88] offset0:8 offset1:9
	buffer_load_dword v85, off, s[24:27], 0 offset:256 ; 4-byte Folded Reload
	buffer_load_dword v86, off, s[24:27], 0 offset:260 ; 4-byte Folded Reload
	buffer_load_dword v87, off, s[24:27], 0 offset:264 ; 4-byte Folded Reload
	buffer_load_dword v88, off, s[24:27], 0 offset:268 ; 4-byte Folded Reload
	;; [unrolled: 6-line block ×17, first 2 shown]
	s_waitcnt vmcnt(0)
	ds_write2_b64 v94, v[85:86], v[87:88] offset0:40 offset1:41
	buffer_load_dword v85, off, s[24:27], 0 ; 4-byte Folded Reload
	buffer_load_dword v86, off, s[24:27], 0 offset:4 ; 4-byte Folded Reload
	buffer_load_dword v87, off, s[24:27], 0 offset:8 ; 4-byte Folded Reload
	;; [unrolled: 1-line block ×3, first 2 shown]
	s_waitcnt vmcnt(0)
	ds_write2_b64 v94, v[85:86], v[87:88] offset0:42 offset1:43
	ds_write2_b64 v94, v[111:112], v[113:114] offset0:44 offset1:45
	;; [unrolled: 1-line block ×25, first 2 shown]
.LBB90_60:
	s_or_b64 exec, exec, s[0:1]
	v_cmp_lt_i32_e32 vcc, 2, v96
	s_waitcnt vmcnt(0) lgkmcnt(0)
	s_barrier
	s_and_saveexec_b64 s[0:1], vcc
	s_cbranch_execz .LBB90_62
; %bb.61:
	buffer_load_dword v104, off, s[24:27], 0 offset:312 ; 4-byte Folded Reload
	buffer_load_dword v105, off, s[24:27], 0 offset:316 ; 4-byte Folded Reload
	;; [unrolled: 1-line block ×4, first 2 shown]
	s_waitcnt vmcnt(0)
	v_mul_f64 v[97:98], v[119:120], v[106:107]
	v_fma_f64 v[125:126], v[117:118], v[104:105], -v[97:98]
	v_mul_f64 v[97:98], v[117:118], v[106:107]
	v_fma_f64 v[106:107], v[119:120], v[104:105], v[97:98]
	ds_read2_b64 v[97:100], v94 offset0:6 offset1:7
	buffer_load_dword v85, off, s[24:27], 0 offset:288 ; 4-byte Folded Reload
	buffer_load_dword v86, off, s[24:27], 0 offset:292 ; 4-byte Folded Reload
	buffer_load_dword v87, off, s[24:27], 0 offset:296 ; 4-byte Folded Reload
	buffer_load_dword v88, off, s[24:27], 0 offset:300 ; 4-byte Folded Reload
	s_waitcnt lgkmcnt(0)
	v_mul_f64 v[102:103], v[99:100], v[106:107]
	v_fma_f64 v[102:103], v[97:98], v[125:126], -v[102:103]
	v_mul_f64 v[97:98], v[97:98], v[106:107]
	v_fma_f64 v[97:98], v[99:100], v[125:126], v[97:98]
	s_waitcnt vmcnt(2)
	v_add_f64 v[85:86], v[85:86], -v[102:103]
	s_waitcnt vmcnt(0)
	v_add_f64 v[87:88], v[87:88], -v[97:98]
	buffer_store_dword v85, off, s[24:27], 0 offset:288 ; 4-byte Folded Spill
	s_nop 0
	buffer_store_dword v86, off, s[24:27], 0 offset:292 ; 4-byte Folded Spill
	buffer_store_dword v87, off, s[24:27], 0 offset:296 ; 4-byte Folded Spill
	buffer_store_dword v88, off, s[24:27], 0 offset:300 ; 4-byte Folded Spill
	ds_read2_b64 v[97:100], v94 offset0:8 offset1:9
	buffer_load_dword v85, off, s[24:27], 0 offset:272 ; 4-byte Folded Reload
	buffer_load_dword v86, off, s[24:27], 0 offset:276 ; 4-byte Folded Reload
	buffer_load_dword v87, off, s[24:27], 0 offset:280 ; 4-byte Folded Reload
	buffer_load_dword v88, off, s[24:27], 0 offset:284 ; 4-byte Folded Reload
	s_waitcnt lgkmcnt(0)
	v_mul_f64 v[102:103], v[99:100], v[106:107]
	v_fma_f64 v[102:103], v[97:98], v[125:126], -v[102:103]
	v_mul_f64 v[97:98], v[97:98], v[106:107]
	v_fma_f64 v[97:98], v[99:100], v[125:126], v[97:98]
	s_waitcnt vmcnt(2)
	v_add_f64 v[85:86], v[85:86], -v[102:103]
	s_waitcnt vmcnt(0)
	v_add_f64 v[87:88], v[87:88], -v[97:98]
	buffer_store_dword v85, off, s[24:27], 0 offset:272 ; 4-byte Folded Spill
	s_nop 0
	buffer_store_dword v86, off, s[24:27], 0 offset:276 ; 4-byte Folded Spill
	buffer_store_dword v87, off, s[24:27], 0 offset:280 ; 4-byte Folded Spill
	buffer_store_dword v88, off, s[24:27], 0 offset:284 ; 4-byte Folded Spill
	ds_read2_b64 v[97:100], v94 offset0:10 offset1:11
	buffer_load_dword v85, off, s[24:27], 0 offset:256 ; 4-byte Folded Reload
	buffer_load_dword v86, off, s[24:27], 0 offset:260 ; 4-byte Folded Reload
	buffer_load_dword v87, off, s[24:27], 0 offset:264 ; 4-byte Folded Reload
	buffer_load_dword v88, off, s[24:27], 0 offset:268 ; 4-byte Folded Reload
	s_waitcnt lgkmcnt(0)
	v_mul_f64 v[102:103], v[99:100], v[106:107]
	v_fma_f64 v[102:103], v[97:98], v[125:126], -v[102:103]
	v_mul_f64 v[97:98], v[97:98], v[106:107]
	v_fma_f64 v[97:98], v[99:100], v[125:126], v[97:98]
	s_waitcnt vmcnt(2)
	v_add_f64 v[85:86], v[85:86], -v[102:103]
	s_waitcnt vmcnt(0)
	v_add_f64 v[87:88], v[87:88], -v[97:98]
	buffer_store_dword v85, off, s[24:27], 0 offset:256 ; 4-byte Folded Spill
	s_nop 0
	buffer_store_dword v86, off, s[24:27], 0 offset:260 ; 4-byte Folded Spill
	buffer_store_dword v87, off, s[24:27], 0 offset:264 ; 4-byte Folded Spill
	buffer_store_dword v88, off, s[24:27], 0 offset:268 ; 4-byte Folded Spill
	ds_read2_b64 v[97:100], v94 offset0:12 offset1:13
	buffer_load_dword v85, off, s[24:27], 0 offset:240 ; 4-byte Folded Reload
	buffer_load_dword v86, off, s[24:27], 0 offset:244 ; 4-byte Folded Reload
	buffer_load_dword v87, off, s[24:27], 0 offset:248 ; 4-byte Folded Reload
	buffer_load_dword v88, off, s[24:27], 0 offset:252 ; 4-byte Folded Reload
	s_waitcnt lgkmcnt(0)
	v_mul_f64 v[102:103], v[99:100], v[106:107]
	v_fma_f64 v[102:103], v[97:98], v[125:126], -v[102:103]
	v_mul_f64 v[97:98], v[97:98], v[106:107]
	v_fma_f64 v[97:98], v[99:100], v[125:126], v[97:98]
	s_waitcnt vmcnt(2)
	v_add_f64 v[85:86], v[85:86], -v[102:103]
	s_waitcnt vmcnt(0)
	v_add_f64 v[87:88], v[87:88], -v[97:98]
	buffer_store_dword v85, off, s[24:27], 0 offset:240 ; 4-byte Folded Spill
	s_nop 0
	buffer_store_dword v86, off, s[24:27], 0 offset:244 ; 4-byte Folded Spill
	buffer_store_dword v87, off, s[24:27], 0 offset:248 ; 4-byte Folded Spill
	buffer_store_dword v88, off, s[24:27], 0 offset:252 ; 4-byte Folded Spill
	ds_read2_b64 v[97:100], v94 offset0:14 offset1:15
	buffer_load_dword v85, off, s[24:27], 0 offset:224 ; 4-byte Folded Reload
	buffer_load_dword v86, off, s[24:27], 0 offset:228 ; 4-byte Folded Reload
	buffer_load_dword v87, off, s[24:27], 0 offset:232 ; 4-byte Folded Reload
	buffer_load_dword v88, off, s[24:27], 0 offset:236 ; 4-byte Folded Reload
	s_waitcnt lgkmcnt(0)
	v_mul_f64 v[102:103], v[99:100], v[106:107]
	v_fma_f64 v[102:103], v[97:98], v[125:126], -v[102:103]
	v_mul_f64 v[97:98], v[97:98], v[106:107]
	v_fma_f64 v[97:98], v[99:100], v[125:126], v[97:98]
	s_waitcnt vmcnt(2)
	v_add_f64 v[85:86], v[85:86], -v[102:103]
	s_waitcnt vmcnt(0)
	v_add_f64 v[87:88], v[87:88], -v[97:98]
	buffer_store_dword v85, off, s[24:27], 0 offset:224 ; 4-byte Folded Spill
	s_nop 0
	buffer_store_dword v86, off, s[24:27], 0 offset:228 ; 4-byte Folded Spill
	buffer_store_dword v87, off, s[24:27], 0 offset:232 ; 4-byte Folded Spill
	buffer_store_dword v88, off, s[24:27], 0 offset:236 ; 4-byte Folded Spill
	ds_read2_b64 v[97:100], v94 offset0:16 offset1:17
	buffer_load_dword v85, off, s[24:27], 0 offset:208 ; 4-byte Folded Reload
	buffer_load_dword v86, off, s[24:27], 0 offset:212 ; 4-byte Folded Reload
	buffer_load_dword v87, off, s[24:27], 0 offset:216 ; 4-byte Folded Reload
	buffer_load_dword v88, off, s[24:27], 0 offset:220 ; 4-byte Folded Reload
	s_waitcnt lgkmcnt(0)
	v_mul_f64 v[102:103], v[99:100], v[106:107]
	v_fma_f64 v[102:103], v[97:98], v[125:126], -v[102:103]
	v_mul_f64 v[97:98], v[97:98], v[106:107]
	v_fma_f64 v[97:98], v[99:100], v[125:126], v[97:98]
	s_waitcnt vmcnt(2)
	v_add_f64 v[85:86], v[85:86], -v[102:103]
	s_waitcnt vmcnt(0)
	v_add_f64 v[87:88], v[87:88], -v[97:98]
	buffer_store_dword v85, off, s[24:27], 0 offset:208 ; 4-byte Folded Spill
	s_nop 0
	buffer_store_dword v86, off, s[24:27], 0 offset:212 ; 4-byte Folded Spill
	buffer_store_dword v87, off, s[24:27], 0 offset:216 ; 4-byte Folded Spill
	buffer_store_dword v88, off, s[24:27], 0 offset:220 ; 4-byte Folded Spill
	ds_read2_b64 v[97:100], v94 offset0:18 offset1:19
	buffer_load_dword v85, off, s[24:27], 0 offset:192 ; 4-byte Folded Reload
	buffer_load_dword v86, off, s[24:27], 0 offset:196 ; 4-byte Folded Reload
	buffer_load_dword v87, off, s[24:27], 0 offset:200 ; 4-byte Folded Reload
	buffer_load_dword v88, off, s[24:27], 0 offset:204 ; 4-byte Folded Reload
	s_waitcnt lgkmcnt(0)
	v_mul_f64 v[102:103], v[99:100], v[106:107]
	v_fma_f64 v[102:103], v[97:98], v[125:126], -v[102:103]
	v_mul_f64 v[97:98], v[97:98], v[106:107]
	v_fma_f64 v[97:98], v[99:100], v[125:126], v[97:98]
	s_waitcnt vmcnt(2)
	v_add_f64 v[85:86], v[85:86], -v[102:103]
	s_waitcnt vmcnt(0)
	v_add_f64 v[87:88], v[87:88], -v[97:98]
	buffer_store_dword v85, off, s[24:27], 0 offset:192 ; 4-byte Folded Spill
	s_nop 0
	buffer_store_dword v86, off, s[24:27], 0 offset:196 ; 4-byte Folded Spill
	buffer_store_dword v87, off, s[24:27], 0 offset:200 ; 4-byte Folded Spill
	buffer_store_dword v88, off, s[24:27], 0 offset:204 ; 4-byte Folded Spill
	ds_read2_b64 v[97:100], v94 offset0:20 offset1:21
	buffer_load_dword v85, off, s[24:27], 0 offset:176 ; 4-byte Folded Reload
	buffer_load_dword v86, off, s[24:27], 0 offset:180 ; 4-byte Folded Reload
	buffer_load_dword v87, off, s[24:27], 0 offset:184 ; 4-byte Folded Reload
	buffer_load_dword v88, off, s[24:27], 0 offset:188 ; 4-byte Folded Reload
	s_waitcnt lgkmcnt(0)
	v_mul_f64 v[102:103], v[99:100], v[106:107]
	v_fma_f64 v[102:103], v[97:98], v[125:126], -v[102:103]
	v_mul_f64 v[97:98], v[97:98], v[106:107]
	v_fma_f64 v[97:98], v[99:100], v[125:126], v[97:98]
	s_waitcnt vmcnt(2)
	v_add_f64 v[85:86], v[85:86], -v[102:103]
	s_waitcnt vmcnt(0)
	v_add_f64 v[87:88], v[87:88], -v[97:98]
	buffer_store_dword v85, off, s[24:27], 0 offset:176 ; 4-byte Folded Spill
	s_nop 0
	buffer_store_dword v86, off, s[24:27], 0 offset:180 ; 4-byte Folded Spill
	buffer_store_dword v87, off, s[24:27], 0 offset:184 ; 4-byte Folded Spill
	buffer_store_dword v88, off, s[24:27], 0 offset:188 ; 4-byte Folded Spill
	ds_read2_b64 v[97:100], v94 offset0:22 offset1:23
	buffer_load_dword v85, off, s[24:27], 0 offset:160 ; 4-byte Folded Reload
	buffer_load_dword v86, off, s[24:27], 0 offset:164 ; 4-byte Folded Reload
	buffer_load_dword v87, off, s[24:27], 0 offset:168 ; 4-byte Folded Reload
	buffer_load_dword v88, off, s[24:27], 0 offset:172 ; 4-byte Folded Reload
	s_waitcnt lgkmcnt(0)
	v_mul_f64 v[102:103], v[99:100], v[106:107]
	v_fma_f64 v[102:103], v[97:98], v[125:126], -v[102:103]
	v_mul_f64 v[97:98], v[97:98], v[106:107]
	v_fma_f64 v[97:98], v[99:100], v[125:126], v[97:98]
	s_waitcnt vmcnt(2)
	v_add_f64 v[85:86], v[85:86], -v[102:103]
	s_waitcnt vmcnt(0)
	v_add_f64 v[87:88], v[87:88], -v[97:98]
	buffer_store_dword v85, off, s[24:27], 0 offset:160 ; 4-byte Folded Spill
	s_nop 0
	buffer_store_dword v86, off, s[24:27], 0 offset:164 ; 4-byte Folded Spill
	buffer_store_dword v87, off, s[24:27], 0 offset:168 ; 4-byte Folded Spill
	buffer_store_dword v88, off, s[24:27], 0 offset:172 ; 4-byte Folded Spill
	ds_read2_b64 v[97:100], v94 offset0:24 offset1:25
	buffer_load_dword v85, off, s[24:27], 0 offset:144 ; 4-byte Folded Reload
	buffer_load_dword v86, off, s[24:27], 0 offset:148 ; 4-byte Folded Reload
	buffer_load_dword v87, off, s[24:27], 0 offset:152 ; 4-byte Folded Reload
	buffer_load_dword v88, off, s[24:27], 0 offset:156 ; 4-byte Folded Reload
	s_waitcnt lgkmcnt(0)
	v_mul_f64 v[102:103], v[99:100], v[106:107]
	v_fma_f64 v[102:103], v[97:98], v[125:126], -v[102:103]
	v_mul_f64 v[97:98], v[97:98], v[106:107]
	v_fma_f64 v[97:98], v[99:100], v[125:126], v[97:98]
	s_waitcnt vmcnt(2)
	v_add_f64 v[85:86], v[85:86], -v[102:103]
	s_waitcnt vmcnt(0)
	v_add_f64 v[87:88], v[87:88], -v[97:98]
	buffer_store_dword v85, off, s[24:27], 0 offset:144 ; 4-byte Folded Spill
	s_nop 0
	buffer_store_dword v86, off, s[24:27], 0 offset:148 ; 4-byte Folded Spill
	buffer_store_dword v87, off, s[24:27], 0 offset:152 ; 4-byte Folded Spill
	buffer_store_dword v88, off, s[24:27], 0 offset:156 ; 4-byte Folded Spill
	ds_read2_b64 v[97:100], v94 offset0:26 offset1:27
	buffer_load_dword v85, off, s[24:27], 0 offset:128 ; 4-byte Folded Reload
	buffer_load_dword v86, off, s[24:27], 0 offset:132 ; 4-byte Folded Reload
	buffer_load_dword v87, off, s[24:27], 0 offset:136 ; 4-byte Folded Reload
	buffer_load_dword v88, off, s[24:27], 0 offset:140 ; 4-byte Folded Reload
	s_waitcnt lgkmcnt(0)
	v_mul_f64 v[102:103], v[99:100], v[106:107]
	v_fma_f64 v[102:103], v[97:98], v[125:126], -v[102:103]
	v_mul_f64 v[97:98], v[97:98], v[106:107]
	v_fma_f64 v[97:98], v[99:100], v[125:126], v[97:98]
	s_waitcnt vmcnt(2)
	v_add_f64 v[85:86], v[85:86], -v[102:103]
	s_waitcnt vmcnt(0)
	v_add_f64 v[87:88], v[87:88], -v[97:98]
	buffer_store_dword v85, off, s[24:27], 0 offset:128 ; 4-byte Folded Spill
	s_nop 0
	buffer_store_dword v86, off, s[24:27], 0 offset:132 ; 4-byte Folded Spill
	buffer_store_dword v87, off, s[24:27], 0 offset:136 ; 4-byte Folded Spill
	buffer_store_dword v88, off, s[24:27], 0 offset:140 ; 4-byte Folded Spill
	ds_read2_b64 v[97:100], v94 offset0:28 offset1:29
	buffer_load_dword v85, off, s[24:27], 0 offset:112 ; 4-byte Folded Reload
	buffer_load_dword v86, off, s[24:27], 0 offset:116 ; 4-byte Folded Reload
	buffer_load_dword v87, off, s[24:27], 0 offset:120 ; 4-byte Folded Reload
	buffer_load_dword v88, off, s[24:27], 0 offset:124 ; 4-byte Folded Reload
	s_waitcnt lgkmcnt(0)
	v_mul_f64 v[102:103], v[99:100], v[106:107]
	v_fma_f64 v[102:103], v[97:98], v[125:126], -v[102:103]
	v_mul_f64 v[97:98], v[97:98], v[106:107]
	v_fma_f64 v[97:98], v[99:100], v[125:126], v[97:98]
	s_waitcnt vmcnt(2)
	v_add_f64 v[85:86], v[85:86], -v[102:103]
	s_waitcnt vmcnt(0)
	v_add_f64 v[87:88], v[87:88], -v[97:98]
	buffer_store_dword v85, off, s[24:27], 0 offset:112 ; 4-byte Folded Spill
	s_nop 0
	buffer_store_dword v86, off, s[24:27], 0 offset:116 ; 4-byte Folded Spill
	buffer_store_dword v87, off, s[24:27], 0 offset:120 ; 4-byte Folded Spill
	buffer_store_dword v88, off, s[24:27], 0 offset:124 ; 4-byte Folded Spill
	ds_read2_b64 v[97:100], v94 offset0:30 offset1:31
	buffer_load_dword v85, off, s[24:27], 0 offset:96 ; 4-byte Folded Reload
	buffer_load_dword v86, off, s[24:27], 0 offset:100 ; 4-byte Folded Reload
	buffer_load_dword v87, off, s[24:27], 0 offset:104 ; 4-byte Folded Reload
	buffer_load_dword v88, off, s[24:27], 0 offset:108 ; 4-byte Folded Reload
	s_waitcnt lgkmcnt(0)
	v_mul_f64 v[102:103], v[99:100], v[106:107]
	v_fma_f64 v[102:103], v[97:98], v[125:126], -v[102:103]
	v_mul_f64 v[97:98], v[97:98], v[106:107]
	v_fma_f64 v[97:98], v[99:100], v[125:126], v[97:98]
	s_waitcnt vmcnt(2)
	v_add_f64 v[85:86], v[85:86], -v[102:103]
	s_waitcnt vmcnt(0)
	v_add_f64 v[87:88], v[87:88], -v[97:98]
	buffer_store_dword v85, off, s[24:27], 0 offset:96 ; 4-byte Folded Spill
	s_nop 0
	buffer_store_dword v86, off, s[24:27], 0 offset:100 ; 4-byte Folded Spill
	buffer_store_dword v87, off, s[24:27], 0 offset:104 ; 4-byte Folded Spill
	buffer_store_dword v88, off, s[24:27], 0 offset:108 ; 4-byte Folded Spill
	ds_read2_b64 v[97:100], v94 offset0:32 offset1:33
	buffer_load_dword v85, off, s[24:27], 0 offset:80 ; 4-byte Folded Reload
	buffer_load_dword v86, off, s[24:27], 0 offset:84 ; 4-byte Folded Reload
	buffer_load_dword v87, off, s[24:27], 0 offset:88 ; 4-byte Folded Reload
	buffer_load_dword v88, off, s[24:27], 0 offset:92 ; 4-byte Folded Reload
	s_waitcnt lgkmcnt(0)
	v_mul_f64 v[102:103], v[99:100], v[106:107]
	v_fma_f64 v[102:103], v[97:98], v[125:126], -v[102:103]
	v_mul_f64 v[97:98], v[97:98], v[106:107]
	v_fma_f64 v[97:98], v[99:100], v[125:126], v[97:98]
	s_waitcnt vmcnt(2)
	v_add_f64 v[85:86], v[85:86], -v[102:103]
	s_waitcnt vmcnt(0)
	v_add_f64 v[87:88], v[87:88], -v[97:98]
	buffer_store_dword v85, off, s[24:27], 0 offset:80 ; 4-byte Folded Spill
	s_nop 0
	buffer_store_dword v86, off, s[24:27], 0 offset:84 ; 4-byte Folded Spill
	buffer_store_dword v87, off, s[24:27], 0 offset:88 ; 4-byte Folded Spill
	buffer_store_dword v88, off, s[24:27], 0 offset:92 ; 4-byte Folded Spill
	ds_read2_b64 v[97:100], v94 offset0:34 offset1:35
	buffer_load_dword v85, off, s[24:27], 0 offset:64 ; 4-byte Folded Reload
	buffer_load_dword v86, off, s[24:27], 0 offset:68 ; 4-byte Folded Reload
	buffer_load_dword v87, off, s[24:27], 0 offset:72 ; 4-byte Folded Reload
	buffer_load_dword v88, off, s[24:27], 0 offset:76 ; 4-byte Folded Reload
	s_waitcnt lgkmcnt(0)
	v_mul_f64 v[102:103], v[99:100], v[106:107]
	v_fma_f64 v[102:103], v[97:98], v[125:126], -v[102:103]
	v_mul_f64 v[97:98], v[97:98], v[106:107]
	v_fma_f64 v[97:98], v[99:100], v[125:126], v[97:98]
	s_waitcnt vmcnt(2)
	v_add_f64 v[85:86], v[85:86], -v[102:103]
	s_waitcnt vmcnt(0)
	v_add_f64 v[87:88], v[87:88], -v[97:98]
	buffer_store_dword v85, off, s[24:27], 0 offset:64 ; 4-byte Folded Spill
	s_nop 0
	buffer_store_dword v86, off, s[24:27], 0 offset:68 ; 4-byte Folded Spill
	buffer_store_dword v87, off, s[24:27], 0 offset:72 ; 4-byte Folded Spill
	buffer_store_dword v88, off, s[24:27], 0 offset:76 ; 4-byte Folded Spill
	ds_read2_b64 v[97:100], v94 offset0:36 offset1:37
	buffer_load_dword v85, off, s[24:27], 0 offset:48 ; 4-byte Folded Reload
	buffer_load_dword v86, off, s[24:27], 0 offset:52 ; 4-byte Folded Reload
	buffer_load_dword v87, off, s[24:27], 0 offset:56 ; 4-byte Folded Reload
	buffer_load_dword v88, off, s[24:27], 0 offset:60 ; 4-byte Folded Reload
	s_waitcnt lgkmcnt(0)
	v_mul_f64 v[102:103], v[99:100], v[106:107]
	v_fma_f64 v[102:103], v[97:98], v[125:126], -v[102:103]
	v_mul_f64 v[97:98], v[97:98], v[106:107]
	v_fma_f64 v[97:98], v[99:100], v[125:126], v[97:98]
	s_waitcnt vmcnt(2)
	v_add_f64 v[85:86], v[85:86], -v[102:103]
	s_waitcnt vmcnt(0)
	v_add_f64 v[87:88], v[87:88], -v[97:98]
	buffer_store_dword v85, off, s[24:27], 0 offset:48 ; 4-byte Folded Spill
	s_nop 0
	buffer_store_dword v86, off, s[24:27], 0 offset:52 ; 4-byte Folded Spill
	buffer_store_dword v87, off, s[24:27], 0 offset:56 ; 4-byte Folded Spill
	buffer_store_dword v88, off, s[24:27], 0 offset:60 ; 4-byte Folded Spill
	ds_read2_b64 v[97:100], v94 offset0:38 offset1:39
	buffer_load_dword v85, off, s[24:27], 0 offset:32 ; 4-byte Folded Reload
	buffer_load_dword v86, off, s[24:27], 0 offset:36 ; 4-byte Folded Reload
	buffer_load_dword v87, off, s[24:27], 0 offset:40 ; 4-byte Folded Reload
	buffer_load_dword v88, off, s[24:27], 0 offset:44 ; 4-byte Folded Reload
	s_waitcnt lgkmcnt(0)
	v_mul_f64 v[102:103], v[99:100], v[106:107]
	v_fma_f64 v[102:103], v[97:98], v[125:126], -v[102:103]
	v_mul_f64 v[97:98], v[97:98], v[106:107]
	v_fma_f64 v[97:98], v[99:100], v[125:126], v[97:98]
	s_waitcnt vmcnt(2)
	v_add_f64 v[85:86], v[85:86], -v[102:103]
	s_waitcnt vmcnt(0)
	v_add_f64 v[87:88], v[87:88], -v[97:98]
	buffer_store_dword v85, off, s[24:27], 0 offset:32 ; 4-byte Folded Spill
	s_nop 0
	buffer_store_dword v86, off, s[24:27], 0 offset:36 ; 4-byte Folded Spill
	buffer_store_dword v87, off, s[24:27], 0 offset:40 ; 4-byte Folded Spill
	buffer_store_dword v88, off, s[24:27], 0 offset:44 ; 4-byte Folded Spill
	ds_read2_b64 v[97:100], v94 offset0:40 offset1:41
	buffer_load_dword v85, off, s[24:27], 0 offset:16 ; 4-byte Folded Reload
	buffer_load_dword v86, off, s[24:27], 0 offset:20 ; 4-byte Folded Reload
	buffer_load_dword v87, off, s[24:27], 0 offset:24 ; 4-byte Folded Reload
	buffer_load_dword v88, off, s[24:27], 0 offset:28 ; 4-byte Folded Reload
	s_waitcnt lgkmcnt(0)
	v_mul_f64 v[102:103], v[99:100], v[106:107]
	v_fma_f64 v[102:103], v[97:98], v[125:126], -v[102:103]
	v_mul_f64 v[97:98], v[97:98], v[106:107]
	v_fma_f64 v[97:98], v[99:100], v[125:126], v[97:98]
	s_waitcnt vmcnt(2)
	v_add_f64 v[85:86], v[85:86], -v[102:103]
	s_waitcnt vmcnt(0)
	v_add_f64 v[87:88], v[87:88], -v[97:98]
	buffer_store_dword v85, off, s[24:27], 0 offset:16 ; 4-byte Folded Spill
	s_nop 0
	buffer_store_dword v86, off, s[24:27], 0 offset:20 ; 4-byte Folded Spill
	buffer_store_dword v87, off, s[24:27], 0 offset:24 ; 4-byte Folded Spill
	buffer_store_dword v88, off, s[24:27], 0 offset:28 ; 4-byte Folded Spill
	ds_read2_b64 v[97:100], v94 offset0:42 offset1:43
	buffer_load_dword v85, off, s[24:27], 0 ; 4-byte Folded Reload
	buffer_load_dword v86, off, s[24:27], 0 offset:4 ; 4-byte Folded Reload
	buffer_load_dword v87, off, s[24:27], 0 offset:8 ; 4-byte Folded Reload
	buffer_load_dword v88, off, s[24:27], 0 offset:12 ; 4-byte Folded Reload
	s_waitcnt lgkmcnt(0)
	v_mul_f64 v[102:103], v[99:100], v[106:107]
	v_fma_f64 v[102:103], v[97:98], v[125:126], -v[102:103]
	v_mul_f64 v[97:98], v[97:98], v[106:107]
	v_fma_f64 v[97:98], v[99:100], v[125:126], v[97:98]
	s_waitcnt vmcnt(2)
	v_add_f64 v[85:86], v[85:86], -v[102:103]
	s_waitcnt vmcnt(0)
	v_add_f64 v[87:88], v[87:88], -v[97:98]
	buffer_store_dword v85, off, s[24:27], 0 ; 4-byte Folded Spill
	s_nop 0
	buffer_store_dword v86, off, s[24:27], 0 offset:4 ; 4-byte Folded Spill
	buffer_store_dword v87, off, s[24:27], 0 offset:8 ; 4-byte Folded Spill
	;; [unrolled: 1-line block ×3, first 2 shown]
	ds_read2_b64 v[97:100], v94 offset0:44 offset1:45
	s_waitcnt lgkmcnt(0)
	v_mul_f64 v[102:103], v[99:100], v[106:107]
	v_fma_f64 v[102:103], v[97:98], v[125:126], -v[102:103]
	v_mul_f64 v[97:98], v[97:98], v[106:107]
	v_add_f64 v[111:112], v[111:112], -v[102:103]
	v_fma_f64 v[97:98], v[99:100], v[125:126], v[97:98]
	v_add_f64 v[113:114], v[113:114], -v[97:98]
	ds_read2_b64 v[97:100], v94 offset0:46 offset1:47
	s_waitcnt lgkmcnt(0)
	v_mul_f64 v[102:103], v[99:100], v[106:107]
	v_fma_f64 v[102:103], v[97:98], v[125:126], -v[102:103]
	v_mul_f64 v[97:98], v[97:98], v[106:107]
	v_add_f64 v[89:90], v[89:90], -v[102:103]
	v_fma_f64 v[97:98], v[99:100], v[125:126], v[97:98]
	v_add_f64 v[91:92], v[91:92], -v[97:98]
	;; [unrolled: 8-line block ×22, first 2 shown]
	ds_read2_b64 v[97:100], v94 offset0:88 offset1:89
	s_waitcnt lgkmcnt(0)
	v_mul_f64 v[102:103], v[99:100], v[106:107]
	v_fma_f64 v[102:103], v[97:98], v[125:126], -v[102:103]
	v_mul_f64 v[97:98], v[97:98], v[106:107]
	v_add_f64 v[1:2], v[1:2], -v[102:103]
	v_fma_f64 v[97:98], v[99:100], v[125:126], v[97:98]
	ds_read2_b64 v[102:105], v94 offset0:90 offset1:91
	s_waitcnt lgkmcnt(0)
	v_mul_f64 v[99:100], v[102:103], v[106:107]
	v_add_f64 v[3:4], v[3:4], -v[97:98]
	v_mul_f64 v[97:98], v[104:105], v[106:107]
	v_fma_f64 v[99:100], v[104:105], v[125:126], v[99:100]
	v_mov_b32_e32 v104, v125
	v_mov_b32_e32 v105, v126
	v_fma_f64 v[97:98], v[102:103], v[125:126], -v[97:98]
	buffer_store_dword v104, off, s[24:27], 0 offset:312 ; 4-byte Folded Spill
	s_nop 0
	buffer_store_dword v105, off, s[24:27], 0 offset:316 ; 4-byte Folded Spill
	buffer_store_dword v106, off, s[24:27], 0 offset:320 ; 4-byte Folded Spill
	;; [unrolled: 1-line block ×3, first 2 shown]
	v_add_f64 v[123:124], v[123:124], -v[99:100]
	v_add_f64 v[121:122], v[121:122], -v[97:98]
.LBB90_62:
	s_or_b64 exec, exec, s[0:1]
	s_waitcnt vmcnt(0)
	s_barrier
	buffer_load_dword v85, off, s[24:27], 0 offset:288 ; 4-byte Folded Reload
	buffer_load_dword v86, off, s[24:27], 0 offset:292 ; 4-byte Folded Reload
	;; [unrolled: 1-line block ×4, first 2 shown]
	v_lshl_add_u32 v97, v96, 4, v94
	s_mov_b32 s0, 4
	s_cmp_lt_i32 s3, 5
	s_waitcnt vmcnt(0)
	ds_write2_b64 v97, v[85:86], v[87:88] offset1:1
	s_waitcnt lgkmcnt(0)
	s_barrier
	ds_read2_b64 v[117:120], v94 offset0:6 offset1:7
	v_mov_b32_e32 v97, 3
	s_cbranch_scc1 .LBB90_65
; %bb.63:
	v_add3_u32 v98, v101, 0, 64
	v_mov_b32_e32 v97, 3
.LBB90_64:                              ; =>This Inner Loop Header: Depth=1
	s_waitcnt lgkmcnt(0)
	v_cmp_gt_f64_e32 vcc, 0, v[117:118]
	v_xor_b32_e32 v103, 0x80000000, v118
	ds_read2_b64 v[99:102], v98 offset1:1
	v_xor_b32_e32 v105, 0x80000000, v120
	v_add_u32_e32 v98, 16, v98
	s_waitcnt lgkmcnt(0)
	v_xor_b32_e32 v107, 0x80000000, v102
	v_cndmask_b32_e32 v104, v118, v103, vcc
	v_cmp_gt_f64_e32 vcc, 0, v[119:120]
	v_mov_b32_e32 v103, v117
	v_cndmask_b32_e32 v106, v120, v105, vcc
	v_cmp_gt_f64_e32 vcc, 0, v[99:100]
	v_mov_b32_e32 v105, v119
	v_add_f64 v[103:104], v[103:104], v[105:106]
	v_xor_b32_e32 v105, 0x80000000, v100
	v_cndmask_b32_e32 v106, v100, v105, vcc
	v_cmp_gt_f64_e32 vcc, 0, v[101:102]
	v_mov_b32_e32 v105, v99
	v_cndmask_b32_e32 v108, v102, v107, vcc
	v_mov_b32_e32 v107, v101
	v_add_f64 v[105:106], v[105:106], v[107:108]
	v_cmp_lt_f64_e32 vcc, v[103:104], v[105:106]
	v_cndmask_b32_e32 v117, v117, v99, vcc
	v_mov_b32_e32 v99, s0
	s_add_i32 s0, s0, 1
	v_cndmask_b32_e32 v118, v118, v100, vcc
	v_cndmask_b32_e32 v120, v120, v102, vcc
	;; [unrolled: 1-line block ×4, first 2 shown]
	s_cmp_lg_u32 s3, s0
	s_cbranch_scc1 .LBB90_64
.LBB90_65:
	s_waitcnt lgkmcnt(0)
	v_cmp_eq_f64_e32 vcc, 0, v[117:118]
	v_cmp_eq_f64_e64 s[0:1], 0, v[119:120]
	s_and_b64 s[0:1], vcc, s[0:1]
	s_and_saveexec_b64 s[18:19], s[0:1]
	s_xor_b64 s[0:1], exec, s[18:19]
; %bb.66:
	v_cmp_ne_u32_e32 vcc, 0, v95
	v_cndmask_b32_e32 v95, 4, v95, vcc
; %bb.67:
	s_andn2_saveexec_b64 s[0:1], s[0:1]
	s_cbranch_execz .LBB90_73
; %bb.68:
	v_cmp_ngt_f64_e64 s[18:19], |v[117:118]|, |v[119:120]|
	s_and_saveexec_b64 s[20:21], s[18:19]
	s_xor_b64 s[18:19], exec, s[20:21]
	s_cbranch_execz .LBB90_70
; %bb.69:
	v_div_scale_f64 v[98:99], s[20:21], v[119:120], v[119:120], v[117:118]
	v_rcp_f64_e32 v[100:101], v[98:99]
	v_fma_f64 v[102:103], -v[98:99], v[100:101], 1.0
	v_fma_f64 v[100:101], v[100:101], v[102:103], v[100:101]
	v_div_scale_f64 v[102:103], vcc, v[117:118], v[119:120], v[117:118]
	v_fma_f64 v[104:105], -v[98:99], v[100:101], 1.0
	v_fma_f64 v[100:101], v[100:101], v[104:105], v[100:101]
	v_mul_f64 v[104:105], v[102:103], v[100:101]
	v_fma_f64 v[98:99], -v[98:99], v[104:105], v[102:103]
	v_div_fmas_f64 v[98:99], v[98:99], v[100:101], v[104:105]
	v_div_fixup_f64 v[98:99], v[98:99], v[119:120], v[117:118]
	v_fma_f64 v[100:101], v[117:118], v[98:99], v[119:120]
	v_div_scale_f64 v[102:103], s[20:21], v[100:101], v[100:101], 1.0
	v_div_scale_f64 v[108:109], vcc, 1.0, v[100:101], 1.0
	v_rcp_f64_e32 v[104:105], v[102:103]
	v_fma_f64 v[106:107], -v[102:103], v[104:105], 1.0
	v_fma_f64 v[104:105], v[104:105], v[106:107], v[104:105]
	v_fma_f64 v[106:107], -v[102:103], v[104:105], 1.0
	v_fma_f64 v[104:105], v[104:105], v[106:107], v[104:105]
	v_mul_f64 v[106:107], v[108:109], v[104:105]
	v_fma_f64 v[102:103], -v[102:103], v[106:107], v[108:109]
	v_div_fmas_f64 v[102:103], v[102:103], v[104:105], v[106:107]
	v_div_fixup_f64 v[119:120], v[102:103], v[100:101], 1.0
	v_mul_f64 v[117:118], v[98:99], v[119:120]
	v_xor_b32_e32 v120, 0x80000000, v120
.LBB90_70:
	s_andn2_saveexec_b64 s[18:19], s[18:19]
	s_cbranch_execz .LBB90_72
; %bb.71:
	v_div_scale_f64 v[98:99], s[20:21], v[117:118], v[117:118], v[119:120]
	v_rcp_f64_e32 v[100:101], v[98:99]
	v_fma_f64 v[102:103], -v[98:99], v[100:101], 1.0
	v_fma_f64 v[100:101], v[100:101], v[102:103], v[100:101]
	v_div_scale_f64 v[102:103], vcc, v[119:120], v[117:118], v[119:120]
	v_fma_f64 v[104:105], -v[98:99], v[100:101], 1.0
	v_fma_f64 v[100:101], v[100:101], v[104:105], v[100:101]
	v_mul_f64 v[104:105], v[102:103], v[100:101]
	v_fma_f64 v[98:99], -v[98:99], v[104:105], v[102:103]
	v_div_fmas_f64 v[98:99], v[98:99], v[100:101], v[104:105]
	v_div_fixup_f64 v[98:99], v[98:99], v[117:118], v[119:120]
	v_fma_f64 v[100:101], v[119:120], v[98:99], v[117:118]
	v_div_scale_f64 v[102:103], s[20:21], v[100:101], v[100:101], 1.0
	v_div_scale_f64 v[108:109], vcc, 1.0, v[100:101], 1.0
	v_rcp_f64_e32 v[104:105], v[102:103]
	v_fma_f64 v[106:107], -v[102:103], v[104:105], 1.0
	v_fma_f64 v[104:105], v[104:105], v[106:107], v[104:105]
	v_fma_f64 v[106:107], -v[102:103], v[104:105], 1.0
	v_fma_f64 v[104:105], v[104:105], v[106:107], v[104:105]
	v_mul_f64 v[106:107], v[108:109], v[104:105]
	v_fma_f64 v[102:103], -v[102:103], v[106:107], v[108:109]
	v_div_fmas_f64 v[102:103], v[102:103], v[104:105], v[106:107]
	v_div_fixup_f64 v[117:118], v[102:103], v[100:101], 1.0
	v_mul_f64 v[119:120], v[98:99], -v[117:118]
.LBB90_72:
	s_or_b64 exec, exec, s[18:19]
.LBB90_73:
	s_or_b64 exec, exec, s[0:1]
	v_cmp_ne_u32_e32 vcc, v96, v97
	s_and_saveexec_b64 s[0:1], vcc
	s_xor_b64 s[0:1], exec, s[0:1]
	s_cbranch_execz .LBB90_79
; %bb.74:
	v_cmp_eq_u32_e32 vcc, 3, v96
	s_and_saveexec_b64 s[18:19], vcc
	s_cbranch_execz .LBB90_78
; %bb.75:
	v_cmp_ne_u32_e32 vcc, 3, v97
	s_xor_b64 s[20:21], s[6:7], -1
	s_and_b64 s[22:23], s[20:21], vcc
	s_and_saveexec_b64 s[20:21], s[22:23]
	s_cbranch_execz .LBB90_77
; %bb.76:
	buffer_load_dword v85, off, s[24:27], 0 offset:304 ; 4-byte Folded Reload
	buffer_load_dword v86, off, s[24:27], 0 offset:308 ; 4-byte Folded Reload
	v_ashrrev_i32_e32 v98, 31, v97
	v_lshlrev_b64 v[98:99], 2, v[97:98]
	s_waitcnt vmcnt(1)
	v_add_co_u32_e32 v98, vcc, v85, v98
	s_waitcnt vmcnt(0)
	v_addc_co_u32_e32 v99, vcc, v86, v99, vcc
	global_load_dword v0, v[98:99], off
	global_load_dword v96, v[85:86], off offset:12
	s_waitcnt vmcnt(1)
	global_store_dword v[85:86], v0, off offset:12
	s_waitcnt vmcnt(1)
	global_store_dword v[98:99], v96, off
.LBB90_77:
	s_or_b64 exec, exec, s[20:21]
	v_mov_b32_e32 v96, v97
	v_mov_b32_e32 v0, v97
.LBB90_78:
	s_or_b64 exec, exec, s[18:19]
.LBB90_79:
	s_andn2_saveexec_b64 s[0:1], s[0:1]
	s_cbranch_execz .LBB90_81
; %bb.80:
	buffer_load_dword v85, off, s[24:27], 0 offset:272 ; 4-byte Folded Reload
	buffer_load_dword v86, off, s[24:27], 0 offset:276 ; 4-byte Folded Reload
	;; [unrolled: 1-line block ×4, first 2 shown]
	v_mov_b32_e32 v96, 3
	s_waitcnt vmcnt(0)
	ds_write2_b64 v94, v[85:86], v[87:88] offset0:8 offset1:9
	buffer_load_dword v85, off, s[24:27], 0 offset:256 ; 4-byte Folded Reload
	buffer_load_dword v86, off, s[24:27], 0 offset:260 ; 4-byte Folded Reload
	buffer_load_dword v87, off, s[24:27], 0 offset:264 ; 4-byte Folded Reload
	buffer_load_dword v88, off, s[24:27], 0 offset:268 ; 4-byte Folded Reload
	s_waitcnt vmcnt(0)
	ds_write2_b64 v94, v[85:86], v[87:88] offset0:10 offset1:11
	buffer_load_dword v85, off, s[24:27], 0 offset:240 ; 4-byte Folded Reload
	buffer_load_dword v86, off, s[24:27], 0 offset:244 ; 4-byte Folded Reload
	buffer_load_dword v87, off, s[24:27], 0 offset:248 ; 4-byte Folded Reload
	buffer_load_dword v88, off, s[24:27], 0 offset:252 ; 4-byte Folded Reload
	;; [unrolled: 6-line block ×16, first 2 shown]
	s_waitcnt vmcnt(0)
	ds_write2_b64 v94, v[85:86], v[87:88] offset0:40 offset1:41
	buffer_load_dword v85, off, s[24:27], 0 ; 4-byte Folded Reload
	buffer_load_dword v86, off, s[24:27], 0 offset:4 ; 4-byte Folded Reload
	buffer_load_dword v87, off, s[24:27], 0 offset:8 ; 4-byte Folded Reload
	;; [unrolled: 1-line block ×3, first 2 shown]
	s_waitcnt vmcnt(0)
	ds_write2_b64 v94, v[85:86], v[87:88] offset0:42 offset1:43
	ds_write2_b64 v94, v[111:112], v[113:114] offset0:44 offset1:45
	;; [unrolled: 1-line block ×25, first 2 shown]
.LBB90_81:
	s_or_b64 exec, exec, s[0:1]
	v_cmp_lt_i32_e32 vcc, 3, v96
	s_waitcnt vmcnt(0) lgkmcnt(0)
	s_barrier
	s_and_saveexec_b64 s[0:1], vcc
	s_cbranch_execz .LBB90_83
; %bb.82:
	buffer_load_dword v101, off, s[24:27], 0 offset:288 ; 4-byte Folded Reload
	buffer_load_dword v102, off, s[24:27], 0 offset:292 ; 4-byte Folded Reload
	;; [unrolled: 1-line block ×4, first 2 shown]
	s_waitcnt vmcnt(0)
	v_mul_f64 v[97:98], v[119:120], v[103:104]
	v_fma_f64 v[125:126], v[117:118], v[101:102], -v[97:98]
	v_mul_f64 v[97:98], v[117:118], v[103:104]
	v_fma_f64 v[103:104], v[119:120], v[101:102], v[97:98]
	ds_read2_b64 v[97:100], v94 offset0:8 offset1:9
	buffer_load_dword v85, off, s[24:27], 0 offset:272 ; 4-byte Folded Reload
	buffer_load_dword v86, off, s[24:27], 0 offset:276 ; 4-byte Folded Reload
	buffer_load_dword v87, off, s[24:27], 0 offset:280 ; 4-byte Folded Reload
	buffer_load_dword v88, off, s[24:27], 0 offset:284 ; 4-byte Folded Reload
	s_waitcnt lgkmcnt(0)
	v_mul_f64 v[101:102], v[99:100], v[103:104]
	v_fma_f64 v[101:102], v[97:98], v[125:126], -v[101:102]
	v_mul_f64 v[97:98], v[97:98], v[103:104]
	v_fma_f64 v[97:98], v[99:100], v[125:126], v[97:98]
	s_waitcnt vmcnt(2)
	v_add_f64 v[85:86], v[85:86], -v[101:102]
	s_waitcnt vmcnt(0)
	v_add_f64 v[87:88], v[87:88], -v[97:98]
	buffer_store_dword v85, off, s[24:27], 0 offset:272 ; 4-byte Folded Spill
	s_nop 0
	buffer_store_dword v86, off, s[24:27], 0 offset:276 ; 4-byte Folded Spill
	buffer_store_dword v87, off, s[24:27], 0 offset:280 ; 4-byte Folded Spill
	buffer_store_dword v88, off, s[24:27], 0 offset:284 ; 4-byte Folded Spill
	ds_read2_b64 v[97:100], v94 offset0:10 offset1:11
	buffer_load_dword v85, off, s[24:27], 0 offset:256 ; 4-byte Folded Reload
	buffer_load_dword v86, off, s[24:27], 0 offset:260 ; 4-byte Folded Reload
	buffer_load_dword v87, off, s[24:27], 0 offset:264 ; 4-byte Folded Reload
	buffer_load_dword v88, off, s[24:27], 0 offset:268 ; 4-byte Folded Reload
	s_waitcnt lgkmcnt(0)
	v_mul_f64 v[101:102], v[99:100], v[103:104]
	v_fma_f64 v[101:102], v[97:98], v[125:126], -v[101:102]
	v_mul_f64 v[97:98], v[97:98], v[103:104]
	v_fma_f64 v[97:98], v[99:100], v[125:126], v[97:98]
	s_waitcnt vmcnt(2)
	v_add_f64 v[85:86], v[85:86], -v[101:102]
	s_waitcnt vmcnt(0)
	v_add_f64 v[87:88], v[87:88], -v[97:98]
	buffer_store_dword v85, off, s[24:27], 0 offset:256 ; 4-byte Folded Spill
	s_nop 0
	buffer_store_dword v86, off, s[24:27], 0 offset:260 ; 4-byte Folded Spill
	buffer_store_dword v87, off, s[24:27], 0 offset:264 ; 4-byte Folded Spill
	buffer_store_dword v88, off, s[24:27], 0 offset:268 ; 4-byte Folded Spill
	;; [unrolled: 19-line block ×17, first 2 shown]
	ds_read2_b64 v[97:100], v94 offset0:42 offset1:43
	buffer_load_dword v85, off, s[24:27], 0 ; 4-byte Folded Reload
	buffer_load_dword v86, off, s[24:27], 0 offset:4 ; 4-byte Folded Reload
	buffer_load_dword v87, off, s[24:27], 0 offset:8 ; 4-byte Folded Reload
	;; [unrolled: 1-line block ×3, first 2 shown]
	s_waitcnt lgkmcnt(0)
	v_mul_f64 v[101:102], v[99:100], v[103:104]
	v_fma_f64 v[101:102], v[97:98], v[125:126], -v[101:102]
	v_mul_f64 v[97:98], v[97:98], v[103:104]
	v_fma_f64 v[97:98], v[99:100], v[125:126], v[97:98]
	s_waitcnt vmcnt(2)
	v_add_f64 v[85:86], v[85:86], -v[101:102]
	s_waitcnt vmcnt(0)
	v_add_f64 v[87:88], v[87:88], -v[97:98]
	buffer_store_dword v85, off, s[24:27], 0 ; 4-byte Folded Spill
	s_nop 0
	buffer_store_dword v86, off, s[24:27], 0 offset:4 ; 4-byte Folded Spill
	buffer_store_dword v87, off, s[24:27], 0 offset:8 ; 4-byte Folded Spill
	;; [unrolled: 1-line block ×3, first 2 shown]
	ds_read2_b64 v[97:100], v94 offset0:44 offset1:45
	s_waitcnt lgkmcnt(0)
	v_mul_f64 v[101:102], v[99:100], v[103:104]
	v_fma_f64 v[101:102], v[97:98], v[125:126], -v[101:102]
	v_mul_f64 v[97:98], v[97:98], v[103:104]
	v_add_f64 v[111:112], v[111:112], -v[101:102]
	v_fma_f64 v[97:98], v[99:100], v[125:126], v[97:98]
	v_add_f64 v[113:114], v[113:114], -v[97:98]
	ds_read2_b64 v[97:100], v94 offset0:46 offset1:47
	s_waitcnt lgkmcnt(0)
	v_mul_f64 v[101:102], v[99:100], v[103:104]
	v_fma_f64 v[101:102], v[97:98], v[125:126], -v[101:102]
	v_mul_f64 v[97:98], v[97:98], v[103:104]
	v_add_f64 v[89:90], v[89:90], -v[101:102]
	v_fma_f64 v[97:98], v[99:100], v[125:126], v[97:98]
	v_add_f64 v[91:92], v[91:92], -v[97:98]
	;; [unrolled: 8-line block ×23, first 2 shown]
	ds_read2_b64 v[97:100], v94 offset0:90 offset1:91
	s_waitcnt lgkmcnt(0)
	v_mul_f64 v[101:102], v[99:100], v[103:104]
	v_fma_f64 v[101:102], v[97:98], v[125:126], -v[101:102]
	v_mul_f64 v[97:98], v[97:98], v[103:104]
	v_add_f64 v[121:122], v[121:122], -v[101:102]
	v_fma_f64 v[97:98], v[99:100], v[125:126], v[97:98]
	v_mov_b32_e32 v101, v125
	v_mov_b32_e32 v102, v126
	buffer_store_dword v101, off, s[24:27], 0 offset:288 ; 4-byte Folded Spill
	s_nop 0
	buffer_store_dword v102, off, s[24:27], 0 offset:292 ; 4-byte Folded Spill
	buffer_store_dword v103, off, s[24:27], 0 offset:296 ; 4-byte Folded Spill
	;; [unrolled: 1-line block ×3, first 2 shown]
	v_add_f64 v[123:124], v[123:124], -v[97:98]
.LBB90_83:
	s_or_b64 exec, exec, s[0:1]
	s_waitcnt vmcnt(0)
	s_barrier
	buffer_load_dword v85, off, s[24:27], 0 offset:272 ; 4-byte Folded Reload
	buffer_load_dword v86, off, s[24:27], 0 offset:276 ; 4-byte Folded Reload
	;; [unrolled: 1-line block ×4, first 2 shown]
	v_lshl_add_u32 v97, v96, 4, v94
	s_cmp_lt_i32 s3, 6
	s_waitcnt vmcnt(0)
	ds_write2_b64 v97, v[85:86], v[87:88] offset1:1
	s_waitcnt lgkmcnt(0)
	s_barrier
	ds_read2_b64 v[117:120], v94 offset0:8 offset1:9
	v_mov_b32_e32 v97, 4
	s_cbranch_scc1 .LBB90_86
; %bb.84:
	v_mov_b32_e32 v97, 4
	v_add_u32_e32 v98, 0x50, v94
	s_mov_b32 s0, 5
.LBB90_85:                              ; =>This Inner Loop Header: Depth=1
	s_waitcnt lgkmcnt(0)
	v_cmp_gt_f64_e32 vcc, 0, v[117:118]
	v_xor_b32_e32 v103, 0x80000000, v118
	ds_read2_b64 v[99:102], v98 offset1:1
	v_xor_b32_e32 v105, 0x80000000, v120
	v_add_u32_e32 v98, 16, v98
	s_waitcnt lgkmcnt(0)
	v_xor_b32_e32 v107, 0x80000000, v102
	v_cndmask_b32_e32 v104, v118, v103, vcc
	v_cmp_gt_f64_e32 vcc, 0, v[119:120]
	v_mov_b32_e32 v103, v117
	v_cndmask_b32_e32 v106, v120, v105, vcc
	v_cmp_gt_f64_e32 vcc, 0, v[99:100]
	v_mov_b32_e32 v105, v119
	v_add_f64 v[103:104], v[103:104], v[105:106]
	v_xor_b32_e32 v105, 0x80000000, v100
	v_cndmask_b32_e32 v106, v100, v105, vcc
	v_cmp_gt_f64_e32 vcc, 0, v[101:102]
	v_mov_b32_e32 v105, v99
	v_cndmask_b32_e32 v108, v102, v107, vcc
	v_mov_b32_e32 v107, v101
	v_add_f64 v[105:106], v[105:106], v[107:108]
	v_cmp_lt_f64_e32 vcc, v[103:104], v[105:106]
	v_cndmask_b32_e32 v117, v117, v99, vcc
	v_mov_b32_e32 v99, s0
	s_add_i32 s0, s0, 1
	v_cndmask_b32_e32 v118, v118, v100, vcc
	v_cndmask_b32_e32 v120, v120, v102, vcc
	;; [unrolled: 1-line block ×4, first 2 shown]
	s_cmp_lg_u32 s3, s0
	s_cbranch_scc1 .LBB90_85
.LBB90_86:
	s_waitcnt lgkmcnt(0)
	v_cmp_eq_f64_e32 vcc, 0, v[117:118]
	v_cmp_eq_f64_e64 s[0:1], 0, v[119:120]
	s_and_b64 s[0:1], vcc, s[0:1]
	s_and_saveexec_b64 s[18:19], s[0:1]
	s_xor_b64 s[0:1], exec, s[18:19]
; %bb.87:
	v_cmp_ne_u32_e32 vcc, 0, v95
	v_cndmask_b32_e32 v95, 5, v95, vcc
; %bb.88:
	s_andn2_saveexec_b64 s[0:1], s[0:1]
	s_cbranch_execz .LBB90_94
; %bb.89:
	v_cmp_ngt_f64_e64 s[18:19], |v[117:118]|, |v[119:120]|
	s_and_saveexec_b64 s[20:21], s[18:19]
	s_xor_b64 s[18:19], exec, s[20:21]
	s_cbranch_execz .LBB90_91
; %bb.90:
	v_div_scale_f64 v[98:99], s[20:21], v[119:120], v[119:120], v[117:118]
	v_rcp_f64_e32 v[100:101], v[98:99]
	v_fma_f64 v[102:103], -v[98:99], v[100:101], 1.0
	v_fma_f64 v[100:101], v[100:101], v[102:103], v[100:101]
	v_div_scale_f64 v[102:103], vcc, v[117:118], v[119:120], v[117:118]
	v_fma_f64 v[104:105], -v[98:99], v[100:101], 1.0
	v_fma_f64 v[100:101], v[100:101], v[104:105], v[100:101]
	v_mul_f64 v[104:105], v[102:103], v[100:101]
	v_fma_f64 v[98:99], -v[98:99], v[104:105], v[102:103]
	v_div_fmas_f64 v[98:99], v[98:99], v[100:101], v[104:105]
	v_div_fixup_f64 v[98:99], v[98:99], v[119:120], v[117:118]
	v_fma_f64 v[100:101], v[117:118], v[98:99], v[119:120]
	v_div_scale_f64 v[102:103], s[20:21], v[100:101], v[100:101], 1.0
	v_div_scale_f64 v[108:109], vcc, 1.0, v[100:101], 1.0
	v_rcp_f64_e32 v[104:105], v[102:103]
	v_fma_f64 v[106:107], -v[102:103], v[104:105], 1.0
	v_fma_f64 v[104:105], v[104:105], v[106:107], v[104:105]
	v_fma_f64 v[106:107], -v[102:103], v[104:105], 1.0
	v_fma_f64 v[104:105], v[104:105], v[106:107], v[104:105]
	v_mul_f64 v[106:107], v[108:109], v[104:105]
	v_fma_f64 v[102:103], -v[102:103], v[106:107], v[108:109]
	v_div_fmas_f64 v[102:103], v[102:103], v[104:105], v[106:107]
	v_div_fixup_f64 v[119:120], v[102:103], v[100:101], 1.0
	v_mul_f64 v[117:118], v[98:99], v[119:120]
	v_xor_b32_e32 v120, 0x80000000, v120
.LBB90_91:
	s_andn2_saveexec_b64 s[18:19], s[18:19]
	s_cbranch_execz .LBB90_93
; %bb.92:
	v_div_scale_f64 v[98:99], s[20:21], v[117:118], v[117:118], v[119:120]
	v_rcp_f64_e32 v[100:101], v[98:99]
	v_fma_f64 v[102:103], -v[98:99], v[100:101], 1.0
	v_fma_f64 v[100:101], v[100:101], v[102:103], v[100:101]
	v_div_scale_f64 v[102:103], vcc, v[119:120], v[117:118], v[119:120]
	v_fma_f64 v[104:105], -v[98:99], v[100:101], 1.0
	v_fma_f64 v[100:101], v[100:101], v[104:105], v[100:101]
	v_mul_f64 v[104:105], v[102:103], v[100:101]
	v_fma_f64 v[98:99], -v[98:99], v[104:105], v[102:103]
	v_div_fmas_f64 v[98:99], v[98:99], v[100:101], v[104:105]
	v_div_fixup_f64 v[98:99], v[98:99], v[117:118], v[119:120]
	v_fma_f64 v[100:101], v[119:120], v[98:99], v[117:118]
	v_div_scale_f64 v[102:103], s[20:21], v[100:101], v[100:101], 1.0
	v_div_scale_f64 v[108:109], vcc, 1.0, v[100:101], 1.0
	v_rcp_f64_e32 v[104:105], v[102:103]
	v_fma_f64 v[106:107], -v[102:103], v[104:105], 1.0
	v_fma_f64 v[104:105], v[104:105], v[106:107], v[104:105]
	v_fma_f64 v[106:107], -v[102:103], v[104:105], 1.0
	v_fma_f64 v[104:105], v[104:105], v[106:107], v[104:105]
	v_mul_f64 v[106:107], v[108:109], v[104:105]
	v_fma_f64 v[102:103], -v[102:103], v[106:107], v[108:109]
	v_div_fmas_f64 v[102:103], v[102:103], v[104:105], v[106:107]
	v_div_fixup_f64 v[117:118], v[102:103], v[100:101], 1.0
	v_mul_f64 v[119:120], v[98:99], -v[117:118]
.LBB90_93:
	s_or_b64 exec, exec, s[18:19]
.LBB90_94:
	s_or_b64 exec, exec, s[0:1]
	v_cmp_ne_u32_e32 vcc, v96, v97
	s_and_saveexec_b64 s[0:1], vcc
	s_xor_b64 s[0:1], exec, s[0:1]
	s_cbranch_execz .LBB90_100
; %bb.95:
	v_cmp_eq_u32_e32 vcc, 4, v96
	s_and_saveexec_b64 s[18:19], vcc
	s_cbranch_execz .LBB90_99
; %bb.96:
	v_cmp_ne_u32_e32 vcc, 4, v97
	s_xor_b64 s[20:21], s[6:7], -1
	s_and_b64 s[22:23], s[20:21], vcc
	s_and_saveexec_b64 s[20:21], s[22:23]
	s_cbranch_execz .LBB90_98
; %bb.97:
	buffer_load_dword v85, off, s[24:27], 0 offset:304 ; 4-byte Folded Reload
	buffer_load_dword v86, off, s[24:27], 0 offset:308 ; 4-byte Folded Reload
	v_ashrrev_i32_e32 v98, 31, v97
	v_lshlrev_b64 v[98:99], 2, v[97:98]
	s_waitcnt vmcnt(1)
	v_add_co_u32_e32 v98, vcc, v85, v98
	s_waitcnt vmcnt(0)
	v_addc_co_u32_e32 v99, vcc, v86, v99, vcc
	global_load_dword v0, v[98:99], off
	global_load_dword v96, v[85:86], off offset:16
	s_waitcnt vmcnt(1)
	global_store_dword v[85:86], v0, off offset:16
	s_waitcnt vmcnt(1)
	global_store_dword v[98:99], v96, off
.LBB90_98:
	s_or_b64 exec, exec, s[20:21]
	v_mov_b32_e32 v96, v97
	v_mov_b32_e32 v0, v97
.LBB90_99:
	s_or_b64 exec, exec, s[18:19]
.LBB90_100:
	s_andn2_saveexec_b64 s[0:1], s[0:1]
	s_cbranch_execz .LBB90_102
; %bb.101:
	buffer_load_dword v85, off, s[24:27], 0 offset:256 ; 4-byte Folded Reload
	buffer_load_dword v86, off, s[24:27], 0 offset:260 ; 4-byte Folded Reload
	;; [unrolled: 1-line block ×4, first 2 shown]
	v_mov_b32_e32 v96, 4
	s_waitcnt vmcnt(0)
	ds_write2_b64 v94, v[85:86], v[87:88] offset0:10 offset1:11
	buffer_load_dword v85, off, s[24:27], 0 offset:240 ; 4-byte Folded Reload
	buffer_load_dword v86, off, s[24:27], 0 offset:244 ; 4-byte Folded Reload
	buffer_load_dword v87, off, s[24:27], 0 offset:248 ; 4-byte Folded Reload
	buffer_load_dword v88, off, s[24:27], 0 offset:252 ; 4-byte Folded Reload
	s_waitcnt vmcnt(0)
	ds_write2_b64 v94, v[85:86], v[87:88] offset0:12 offset1:13
	buffer_load_dword v85, off, s[24:27], 0 offset:224 ; 4-byte Folded Reload
	buffer_load_dword v86, off, s[24:27], 0 offset:228 ; 4-byte Folded Reload
	buffer_load_dword v87, off, s[24:27], 0 offset:232 ; 4-byte Folded Reload
	buffer_load_dword v88, off, s[24:27], 0 offset:236 ; 4-byte Folded Reload
	;; [unrolled: 6-line block ×15, first 2 shown]
	s_waitcnt vmcnt(0)
	ds_write2_b64 v94, v[85:86], v[87:88] offset0:40 offset1:41
	buffer_load_dword v85, off, s[24:27], 0 ; 4-byte Folded Reload
	buffer_load_dword v86, off, s[24:27], 0 offset:4 ; 4-byte Folded Reload
	buffer_load_dword v87, off, s[24:27], 0 offset:8 ; 4-byte Folded Reload
	;; [unrolled: 1-line block ×3, first 2 shown]
	s_waitcnt vmcnt(0)
	ds_write2_b64 v94, v[85:86], v[87:88] offset0:42 offset1:43
	ds_write2_b64 v94, v[111:112], v[113:114] offset0:44 offset1:45
	;; [unrolled: 1-line block ×25, first 2 shown]
.LBB90_102:
	s_or_b64 exec, exec, s[0:1]
	v_cmp_lt_i32_e32 vcc, 4, v96
	s_waitcnt vmcnt(0) lgkmcnt(0)
	s_barrier
	s_and_saveexec_b64 s[0:1], vcc
	s_cbranch_execz .LBB90_104
; %bb.103:
	buffer_load_dword v101, off, s[24:27], 0 offset:272 ; 4-byte Folded Reload
	buffer_load_dword v102, off, s[24:27], 0 offset:276 ; 4-byte Folded Reload
	buffer_load_dword v103, off, s[24:27], 0 offset:280 ; 4-byte Folded Reload
	buffer_load_dword v104, off, s[24:27], 0 offset:284 ; 4-byte Folded Reload
	s_waitcnt vmcnt(0)
	v_mul_f64 v[97:98], v[119:120], v[103:104]
	v_fma_f64 v[125:126], v[117:118], v[101:102], -v[97:98]
	v_mul_f64 v[97:98], v[117:118], v[103:104]
	v_fma_f64 v[103:104], v[119:120], v[101:102], v[97:98]
	ds_read2_b64 v[97:100], v94 offset0:10 offset1:11
	buffer_load_dword v85, off, s[24:27], 0 offset:256 ; 4-byte Folded Reload
	buffer_load_dword v86, off, s[24:27], 0 offset:260 ; 4-byte Folded Reload
	buffer_load_dword v87, off, s[24:27], 0 offset:264 ; 4-byte Folded Reload
	buffer_load_dword v88, off, s[24:27], 0 offset:268 ; 4-byte Folded Reload
	s_waitcnt lgkmcnt(0)
	v_mul_f64 v[101:102], v[99:100], v[103:104]
	v_fma_f64 v[101:102], v[97:98], v[125:126], -v[101:102]
	v_mul_f64 v[97:98], v[97:98], v[103:104]
	v_fma_f64 v[97:98], v[99:100], v[125:126], v[97:98]
	s_waitcnt vmcnt(2)
	v_add_f64 v[85:86], v[85:86], -v[101:102]
	s_waitcnt vmcnt(0)
	v_add_f64 v[87:88], v[87:88], -v[97:98]
	buffer_store_dword v85, off, s[24:27], 0 offset:256 ; 4-byte Folded Spill
	s_nop 0
	buffer_store_dword v86, off, s[24:27], 0 offset:260 ; 4-byte Folded Spill
	buffer_store_dword v87, off, s[24:27], 0 offset:264 ; 4-byte Folded Spill
	buffer_store_dword v88, off, s[24:27], 0 offset:268 ; 4-byte Folded Spill
	ds_read2_b64 v[97:100], v94 offset0:12 offset1:13
	buffer_load_dword v85, off, s[24:27], 0 offset:240 ; 4-byte Folded Reload
	buffer_load_dword v86, off, s[24:27], 0 offset:244 ; 4-byte Folded Reload
	buffer_load_dword v87, off, s[24:27], 0 offset:248 ; 4-byte Folded Reload
	buffer_load_dword v88, off, s[24:27], 0 offset:252 ; 4-byte Folded Reload
	s_waitcnt lgkmcnt(0)
	v_mul_f64 v[101:102], v[99:100], v[103:104]
	v_fma_f64 v[101:102], v[97:98], v[125:126], -v[101:102]
	v_mul_f64 v[97:98], v[97:98], v[103:104]
	v_fma_f64 v[97:98], v[99:100], v[125:126], v[97:98]
	s_waitcnt vmcnt(2)
	v_add_f64 v[85:86], v[85:86], -v[101:102]
	s_waitcnt vmcnt(0)
	v_add_f64 v[87:88], v[87:88], -v[97:98]
	buffer_store_dword v85, off, s[24:27], 0 offset:240 ; 4-byte Folded Spill
	s_nop 0
	buffer_store_dword v86, off, s[24:27], 0 offset:244 ; 4-byte Folded Spill
	buffer_store_dword v87, off, s[24:27], 0 offset:248 ; 4-byte Folded Spill
	buffer_store_dword v88, off, s[24:27], 0 offset:252 ; 4-byte Folded Spill
	;; [unrolled: 19-line block ×16, first 2 shown]
	ds_read2_b64 v[97:100], v94 offset0:42 offset1:43
	buffer_load_dword v85, off, s[24:27], 0 ; 4-byte Folded Reload
	buffer_load_dword v86, off, s[24:27], 0 offset:4 ; 4-byte Folded Reload
	buffer_load_dword v87, off, s[24:27], 0 offset:8 ; 4-byte Folded Reload
	buffer_load_dword v88, off, s[24:27], 0 offset:12 ; 4-byte Folded Reload
	s_waitcnt lgkmcnt(0)
	v_mul_f64 v[101:102], v[99:100], v[103:104]
	v_fma_f64 v[101:102], v[97:98], v[125:126], -v[101:102]
	v_mul_f64 v[97:98], v[97:98], v[103:104]
	v_fma_f64 v[97:98], v[99:100], v[125:126], v[97:98]
	s_waitcnt vmcnt(2)
	v_add_f64 v[85:86], v[85:86], -v[101:102]
	s_waitcnt vmcnt(0)
	v_add_f64 v[87:88], v[87:88], -v[97:98]
	buffer_store_dword v85, off, s[24:27], 0 ; 4-byte Folded Spill
	s_nop 0
	buffer_store_dword v86, off, s[24:27], 0 offset:4 ; 4-byte Folded Spill
	buffer_store_dword v87, off, s[24:27], 0 offset:8 ; 4-byte Folded Spill
	;; [unrolled: 1-line block ×3, first 2 shown]
	ds_read2_b64 v[97:100], v94 offset0:44 offset1:45
	s_waitcnt lgkmcnt(0)
	v_mul_f64 v[101:102], v[99:100], v[103:104]
	v_fma_f64 v[101:102], v[97:98], v[125:126], -v[101:102]
	v_mul_f64 v[97:98], v[97:98], v[103:104]
	v_add_f64 v[111:112], v[111:112], -v[101:102]
	v_fma_f64 v[97:98], v[99:100], v[125:126], v[97:98]
	v_add_f64 v[113:114], v[113:114], -v[97:98]
	ds_read2_b64 v[97:100], v94 offset0:46 offset1:47
	s_waitcnt lgkmcnt(0)
	v_mul_f64 v[101:102], v[99:100], v[103:104]
	v_fma_f64 v[101:102], v[97:98], v[125:126], -v[101:102]
	v_mul_f64 v[97:98], v[97:98], v[103:104]
	v_add_f64 v[89:90], v[89:90], -v[101:102]
	v_fma_f64 v[97:98], v[99:100], v[125:126], v[97:98]
	v_add_f64 v[91:92], v[91:92], -v[97:98]
	;; [unrolled: 8-line block ×23, first 2 shown]
	ds_read2_b64 v[97:100], v94 offset0:90 offset1:91
	s_waitcnt lgkmcnt(0)
	v_mul_f64 v[101:102], v[99:100], v[103:104]
	v_fma_f64 v[101:102], v[97:98], v[125:126], -v[101:102]
	v_mul_f64 v[97:98], v[97:98], v[103:104]
	v_add_f64 v[121:122], v[121:122], -v[101:102]
	v_fma_f64 v[97:98], v[99:100], v[125:126], v[97:98]
	v_mov_b32_e32 v101, v125
	v_mov_b32_e32 v102, v126
	buffer_store_dword v101, off, s[24:27], 0 offset:272 ; 4-byte Folded Spill
	s_nop 0
	buffer_store_dword v102, off, s[24:27], 0 offset:276 ; 4-byte Folded Spill
	buffer_store_dword v103, off, s[24:27], 0 offset:280 ; 4-byte Folded Spill
	;; [unrolled: 1-line block ×3, first 2 shown]
	v_add_f64 v[123:124], v[123:124], -v[97:98]
.LBB90_104:
	s_or_b64 exec, exec, s[0:1]
	s_waitcnt vmcnt(0)
	s_barrier
	buffer_load_dword v85, off, s[24:27], 0 offset:256 ; 4-byte Folded Reload
	buffer_load_dword v86, off, s[24:27], 0 offset:260 ; 4-byte Folded Reload
	;; [unrolled: 1-line block ×4, first 2 shown]
	v_lshl_add_u32 v97, v96, 4, v94
	s_cmp_lt_i32 s3, 7
	s_waitcnt vmcnt(0)
	ds_write2_b64 v97, v[85:86], v[87:88] offset1:1
	s_waitcnt lgkmcnt(0)
	s_barrier
	ds_read2_b64 v[117:120], v94 offset0:10 offset1:11
	v_mov_b32_e32 v97, 5
	s_cbranch_scc1 .LBB90_107
; %bb.105:
	v_add_u32_e32 v98, 0x60, v94
	s_mov_b32 s0, 6
	v_mov_b32_e32 v97, 5
.LBB90_106:                             ; =>This Inner Loop Header: Depth=1
	s_waitcnt lgkmcnt(0)
	v_cmp_gt_f64_e32 vcc, 0, v[117:118]
	v_xor_b32_e32 v103, 0x80000000, v118
	ds_read2_b64 v[99:102], v98 offset1:1
	v_xor_b32_e32 v105, 0x80000000, v120
	v_add_u32_e32 v98, 16, v98
	s_waitcnt lgkmcnt(0)
	v_xor_b32_e32 v107, 0x80000000, v102
	v_cndmask_b32_e32 v104, v118, v103, vcc
	v_cmp_gt_f64_e32 vcc, 0, v[119:120]
	v_mov_b32_e32 v103, v117
	v_cndmask_b32_e32 v106, v120, v105, vcc
	v_cmp_gt_f64_e32 vcc, 0, v[99:100]
	v_mov_b32_e32 v105, v119
	v_add_f64 v[103:104], v[103:104], v[105:106]
	v_xor_b32_e32 v105, 0x80000000, v100
	v_cndmask_b32_e32 v106, v100, v105, vcc
	v_cmp_gt_f64_e32 vcc, 0, v[101:102]
	v_mov_b32_e32 v105, v99
	v_cndmask_b32_e32 v108, v102, v107, vcc
	v_mov_b32_e32 v107, v101
	v_add_f64 v[105:106], v[105:106], v[107:108]
	v_cmp_lt_f64_e32 vcc, v[103:104], v[105:106]
	v_cndmask_b32_e32 v117, v117, v99, vcc
	v_mov_b32_e32 v99, s0
	s_add_i32 s0, s0, 1
	v_cndmask_b32_e32 v118, v118, v100, vcc
	v_cndmask_b32_e32 v120, v120, v102, vcc
	;; [unrolled: 1-line block ×4, first 2 shown]
	s_cmp_lg_u32 s3, s0
	s_cbranch_scc1 .LBB90_106
.LBB90_107:
	s_waitcnt lgkmcnt(0)
	v_cmp_eq_f64_e32 vcc, 0, v[117:118]
	v_cmp_eq_f64_e64 s[0:1], 0, v[119:120]
	s_and_b64 s[0:1], vcc, s[0:1]
	s_and_saveexec_b64 s[18:19], s[0:1]
	s_xor_b64 s[0:1], exec, s[18:19]
; %bb.108:
	v_cmp_ne_u32_e32 vcc, 0, v95
	v_cndmask_b32_e32 v95, 6, v95, vcc
; %bb.109:
	s_andn2_saveexec_b64 s[0:1], s[0:1]
	s_cbranch_execz .LBB90_115
; %bb.110:
	v_cmp_ngt_f64_e64 s[18:19], |v[117:118]|, |v[119:120]|
	s_and_saveexec_b64 s[20:21], s[18:19]
	s_xor_b64 s[18:19], exec, s[20:21]
	s_cbranch_execz .LBB90_112
; %bb.111:
	v_div_scale_f64 v[98:99], s[20:21], v[119:120], v[119:120], v[117:118]
	v_rcp_f64_e32 v[100:101], v[98:99]
	v_fma_f64 v[102:103], -v[98:99], v[100:101], 1.0
	v_fma_f64 v[100:101], v[100:101], v[102:103], v[100:101]
	v_div_scale_f64 v[102:103], vcc, v[117:118], v[119:120], v[117:118]
	v_fma_f64 v[104:105], -v[98:99], v[100:101], 1.0
	v_fma_f64 v[100:101], v[100:101], v[104:105], v[100:101]
	v_mul_f64 v[104:105], v[102:103], v[100:101]
	v_fma_f64 v[98:99], -v[98:99], v[104:105], v[102:103]
	v_div_fmas_f64 v[98:99], v[98:99], v[100:101], v[104:105]
	v_div_fixup_f64 v[98:99], v[98:99], v[119:120], v[117:118]
	v_fma_f64 v[100:101], v[117:118], v[98:99], v[119:120]
	v_div_scale_f64 v[102:103], s[20:21], v[100:101], v[100:101], 1.0
	v_div_scale_f64 v[108:109], vcc, 1.0, v[100:101], 1.0
	v_rcp_f64_e32 v[104:105], v[102:103]
	v_fma_f64 v[106:107], -v[102:103], v[104:105], 1.0
	v_fma_f64 v[104:105], v[104:105], v[106:107], v[104:105]
	v_fma_f64 v[106:107], -v[102:103], v[104:105], 1.0
	v_fma_f64 v[104:105], v[104:105], v[106:107], v[104:105]
	v_mul_f64 v[106:107], v[108:109], v[104:105]
	v_fma_f64 v[102:103], -v[102:103], v[106:107], v[108:109]
	v_div_fmas_f64 v[102:103], v[102:103], v[104:105], v[106:107]
	v_div_fixup_f64 v[119:120], v[102:103], v[100:101], 1.0
	v_mul_f64 v[117:118], v[98:99], v[119:120]
	v_xor_b32_e32 v120, 0x80000000, v120
.LBB90_112:
	s_andn2_saveexec_b64 s[18:19], s[18:19]
	s_cbranch_execz .LBB90_114
; %bb.113:
	v_div_scale_f64 v[98:99], s[20:21], v[117:118], v[117:118], v[119:120]
	v_rcp_f64_e32 v[100:101], v[98:99]
	v_fma_f64 v[102:103], -v[98:99], v[100:101], 1.0
	v_fma_f64 v[100:101], v[100:101], v[102:103], v[100:101]
	v_div_scale_f64 v[102:103], vcc, v[119:120], v[117:118], v[119:120]
	v_fma_f64 v[104:105], -v[98:99], v[100:101], 1.0
	v_fma_f64 v[100:101], v[100:101], v[104:105], v[100:101]
	v_mul_f64 v[104:105], v[102:103], v[100:101]
	v_fma_f64 v[98:99], -v[98:99], v[104:105], v[102:103]
	v_div_fmas_f64 v[98:99], v[98:99], v[100:101], v[104:105]
	v_div_fixup_f64 v[98:99], v[98:99], v[117:118], v[119:120]
	v_fma_f64 v[100:101], v[119:120], v[98:99], v[117:118]
	v_div_scale_f64 v[102:103], s[20:21], v[100:101], v[100:101], 1.0
	v_div_scale_f64 v[108:109], vcc, 1.0, v[100:101], 1.0
	v_rcp_f64_e32 v[104:105], v[102:103]
	v_fma_f64 v[106:107], -v[102:103], v[104:105], 1.0
	v_fma_f64 v[104:105], v[104:105], v[106:107], v[104:105]
	v_fma_f64 v[106:107], -v[102:103], v[104:105], 1.0
	v_fma_f64 v[104:105], v[104:105], v[106:107], v[104:105]
	v_mul_f64 v[106:107], v[108:109], v[104:105]
	v_fma_f64 v[102:103], -v[102:103], v[106:107], v[108:109]
	v_div_fmas_f64 v[102:103], v[102:103], v[104:105], v[106:107]
	v_div_fixup_f64 v[117:118], v[102:103], v[100:101], 1.0
	v_mul_f64 v[119:120], v[98:99], -v[117:118]
.LBB90_114:
	s_or_b64 exec, exec, s[18:19]
.LBB90_115:
	s_or_b64 exec, exec, s[0:1]
	v_cmp_ne_u32_e32 vcc, v96, v97
	s_and_saveexec_b64 s[0:1], vcc
	s_xor_b64 s[0:1], exec, s[0:1]
	s_cbranch_execz .LBB90_121
; %bb.116:
	v_cmp_eq_u32_e32 vcc, 5, v96
	s_and_saveexec_b64 s[18:19], vcc
	s_cbranch_execz .LBB90_120
; %bb.117:
	v_cmp_ne_u32_e32 vcc, 5, v97
	s_xor_b64 s[20:21], s[6:7], -1
	s_and_b64 s[22:23], s[20:21], vcc
	s_and_saveexec_b64 s[20:21], s[22:23]
	s_cbranch_execz .LBB90_119
; %bb.118:
	buffer_load_dword v85, off, s[24:27], 0 offset:304 ; 4-byte Folded Reload
	buffer_load_dword v86, off, s[24:27], 0 offset:308 ; 4-byte Folded Reload
	v_ashrrev_i32_e32 v98, 31, v97
	v_lshlrev_b64 v[98:99], 2, v[97:98]
	s_waitcnt vmcnt(1)
	v_add_co_u32_e32 v98, vcc, v85, v98
	s_waitcnt vmcnt(0)
	v_addc_co_u32_e32 v99, vcc, v86, v99, vcc
	global_load_dword v0, v[98:99], off
	global_load_dword v96, v[85:86], off offset:20
	s_waitcnt vmcnt(1)
	global_store_dword v[85:86], v0, off offset:20
	s_waitcnt vmcnt(1)
	global_store_dword v[98:99], v96, off
.LBB90_119:
	s_or_b64 exec, exec, s[20:21]
	v_mov_b32_e32 v96, v97
	v_mov_b32_e32 v0, v97
.LBB90_120:
	s_or_b64 exec, exec, s[18:19]
.LBB90_121:
	s_andn2_saveexec_b64 s[0:1], s[0:1]
	s_cbranch_execz .LBB90_123
; %bb.122:
	buffer_load_dword v85, off, s[24:27], 0 offset:240 ; 4-byte Folded Reload
	buffer_load_dword v86, off, s[24:27], 0 offset:244 ; 4-byte Folded Reload
	;; [unrolled: 1-line block ×4, first 2 shown]
	v_mov_b32_e32 v96, 5
	s_waitcnt vmcnt(0)
	ds_write2_b64 v94, v[85:86], v[87:88] offset0:12 offset1:13
	buffer_load_dword v85, off, s[24:27], 0 offset:224 ; 4-byte Folded Reload
	buffer_load_dword v86, off, s[24:27], 0 offset:228 ; 4-byte Folded Reload
	buffer_load_dword v87, off, s[24:27], 0 offset:232 ; 4-byte Folded Reload
	buffer_load_dword v88, off, s[24:27], 0 offset:236 ; 4-byte Folded Reload
	s_waitcnt vmcnt(0)
	ds_write2_b64 v94, v[85:86], v[87:88] offset0:14 offset1:15
	buffer_load_dword v85, off, s[24:27], 0 offset:208 ; 4-byte Folded Reload
	buffer_load_dword v86, off, s[24:27], 0 offset:212 ; 4-byte Folded Reload
	buffer_load_dword v87, off, s[24:27], 0 offset:216 ; 4-byte Folded Reload
	buffer_load_dword v88, off, s[24:27], 0 offset:220 ; 4-byte Folded Reload
	;; [unrolled: 6-line block ×14, first 2 shown]
	s_waitcnt vmcnt(0)
	ds_write2_b64 v94, v[85:86], v[87:88] offset0:40 offset1:41
	buffer_load_dword v85, off, s[24:27], 0 ; 4-byte Folded Reload
	buffer_load_dword v86, off, s[24:27], 0 offset:4 ; 4-byte Folded Reload
	buffer_load_dword v87, off, s[24:27], 0 offset:8 ; 4-byte Folded Reload
	;; [unrolled: 1-line block ×3, first 2 shown]
	s_waitcnt vmcnt(0)
	ds_write2_b64 v94, v[85:86], v[87:88] offset0:42 offset1:43
	ds_write2_b64 v94, v[111:112], v[113:114] offset0:44 offset1:45
	;; [unrolled: 1-line block ×25, first 2 shown]
.LBB90_123:
	s_or_b64 exec, exec, s[0:1]
	v_cmp_lt_i32_e32 vcc, 5, v96
	s_waitcnt vmcnt(0) lgkmcnt(0)
	s_barrier
	s_and_saveexec_b64 s[0:1], vcc
	s_cbranch_execz .LBB90_125
; %bb.124:
	buffer_load_dword v101, off, s[24:27], 0 offset:256 ; 4-byte Folded Reload
	buffer_load_dword v102, off, s[24:27], 0 offset:260 ; 4-byte Folded Reload
	buffer_load_dword v103, off, s[24:27], 0 offset:264 ; 4-byte Folded Reload
	buffer_load_dword v104, off, s[24:27], 0 offset:268 ; 4-byte Folded Reload
	s_waitcnt vmcnt(0)
	v_mul_f64 v[97:98], v[119:120], v[103:104]
	v_fma_f64 v[125:126], v[117:118], v[101:102], -v[97:98]
	v_mul_f64 v[97:98], v[117:118], v[103:104]
	v_fma_f64 v[103:104], v[119:120], v[101:102], v[97:98]
	ds_read2_b64 v[97:100], v94 offset0:12 offset1:13
	buffer_load_dword v85, off, s[24:27], 0 offset:240 ; 4-byte Folded Reload
	buffer_load_dword v86, off, s[24:27], 0 offset:244 ; 4-byte Folded Reload
	buffer_load_dword v87, off, s[24:27], 0 offset:248 ; 4-byte Folded Reload
	buffer_load_dword v88, off, s[24:27], 0 offset:252 ; 4-byte Folded Reload
	s_waitcnt lgkmcnt(0)
	v_mul_f64 v[101:102], v[99:100], v[103:104]
	v_fma_f64 v[101:102], v[97:98], v[125:126], -v[101:102]
	v_mul_f64 v[97:98], v[97:98], v[103:104]
	v_fma_f64 v[97:98], v[99:100], v[125:126], v[97:98]
	s_waitcnt vmcnt(2)
	v_add_f64 v[85:86], v[85:86], -v[101:102]
	s_waitcnt vmcnt(0)
	v_add_f64 v[87:88], v[87:88], -v[97:98]
	buffer_store_dword v85, off, s[24:27], 0 offset:240 ; 4-byte Folded Spill
	s_nop 0
	buffer_store_dword v86, off, s[24:27], 0 offset:244 ; 4-byte Folded Spill
	buffer_store_dword v87, off, s[24:27], 0 offset:248 ; 4-byte Folded Spill
	buffer_store_dword v88, off, s[24:27], 0 offset:252 ; 4-byte Folded Spill
	ds_read2_b64 v[97:100], v94 offset0:14 offset1:15
	buffer_load_dword v85, off, s[24:27], 0 offset:224 ; 4-byte Folded Reload
	buffer_load_dword v86, off, s[24:27], 0 offset:228 ; 4-byte Folded Reload
	buffer_load_dword v87, off, s[24:27], 0 offset:232 ; 4-byte Folded Reload
	buffer_load_dword v88, off, s[24:27], 0 offset:236 ; 4-byte Folded Reload
	s_waitcnt lgkmcnt(0)
	v_mul_f64 v[101:102], v[99:100], v[103:104]
	v_fma_f64 v[101:102], v[97:98], v[125:126], -v[101:102]
	v_mul_f64 v[97:98], v[97:98], v[103:104]
	v_fma_f64 v[97:98], v[99:100], v[125:126], v[97:98]
	s_waitcnt vmcnt(2)
	v_add_f64 v[85:86], v[85:86], -v[101:102]
	s_waitcnt vmcnt(0)
	v_add_f64 v[87:88], v[87:88], -v[97:98]
	buffer_store_dword v85, off, s[24:27], 0 offset:224 ; 4-byte Folded Spill
	s_nop 0
	buffer_store_dword v86, off, s[24:27], 0 offset:228 ; 4-byte Folded Spill
	buffer_store_dword v87, off, s[24:27], 0 offset:232 ; 4-byte Folded Spill
	buffer_store_dword v88, off, s[24:27], 0 offset:236 ; 4-byte Folded Spill
	ds_read2_b64 v[97:100], v94 offset0:16 offset1:17
	buffer_load_dword v85, off, s[24:27], 0 offset:208 ; 4-byte Folded Reload
	buffer_load_dword v86, off, s[24:27], 0 offset:212 ; 4-byte Folded Reload
	buffer_load_dword v87, off, s[24:27], 0 offset:216 ; 4-byte Folded Reload
	buffer_load_dword v88, off, s[24:27], 0 offset:220 ; 4-byte Folded Reload
	s_waitcnt lgkmcnt(0)
	v_mul_f64 v[101:102], v[99:100], v[103:104]
	v_fma_f64 v[101:102], v[97:98], v[125:126], -v[101:102]
	v_mul_f64 v[97:98], v[97:98], v[103:104]
	v_fma_f64 v[97:98], v[99:100], v[125:126], v[97:98]
	s_waitcnt vmcnt(2)
	v_add_f64 v[85:86], v[85:86], -v[101:102]
	s_waitcnt vmcnt(0)
	v_add_f64 v[87:88], v[87:88], -v[97:98]
	buffer_store_dword v85, off, s[24:27], 0 offset:208 ; 4-byte Folded Spill
	s_nop 0
	buffer_store_dword v86, off, s[24:27], 0 offset:212 ; 4-byte Folded Spill
	buffer_store_dword v87, off, s[24:27], 0 offset:216 ; 4-byte Folded Spill
	buffer_store_dword v88, off, s[24:27], 0 offset:220 ; 4-byte Folded Spill
	ds_read2_b64 v[97:100], v94 offset0:18 offset1:19
	buffer_load_dword v85, off, s[24:27], 0 offset:192 ; 4-byte Folded Reload
	buffer_load_dword v86, off, s[24:27], 0 offset:196 ; 4-byte Folded Reload
	buffer_load_dword v87, off, s[24:27], 0 offset:200 ; 4-byte Folded Reload
	buffer_load_dword v88, off, s[24:27], 0 offset:204 ; 4-byte Folded Reload
	s_waitcnt lgkmcnt(0)
	v_mul_f64 v[101:102], v[99:100], v[103:104]
	v_fma_f64 v[101:102], v[97:98], v[125:126], -v[101:102]
	v_mul_f64 v[97:98], v[97:98], v[103:104]
	v_fma_f64 v[97:98], v[99:100], v[125:126], v[97:98]
	s_waitcnt vmcnt(2)
	v_add_f64 v[85:86], v[85:86], -v[101:102]
	s_waitcnt vmcnt(0)
	v_add_f64 v[87:88], v[87:88], -v[97:98]
	buffer_store_dword v85, off, s[24:27], 0 offset:192 ; 4-byte Folded Spill
	s_nop 0
	buffer_store_dword v86, off, s[24:27], 0 offset:196 ; 4-byte Folded Spill
	buffer_store_dword v87, off, s[24:27], 0 offset:200 ; 4-byte Folded Spill
	buffer_store_dword v88, off, s[24:27], 0 offset:204 ; 4-byte Folded Spill
	ds_read2_b64 v[97:100], v94 offset0:20 offset1:21
	buffer_load_dword v85, off, s[24:27], 0 offset:176 ; 4-byte Folded Reload
	buffer_load_dword v86, off, s[24:27], 0 offset:180 ; 4-byte Folded Reload
	buffer_load_dword v87, off, s[24:27], 0 offset:184 ; 4-byte Folded Reload
	buffer_load_dword v88, off, s[24:27], 0 offset:188 ; 4-byte Folded Reload
	s_waitcnt lgkmcnt(0)
	v_mul_f64 v[101:102], v[99:100], v[103:104]
	v_fma_f64 v[101:102], v[97:98], v[125:126], -v[101:102]
	v_mul_f64 v[97:98], v[97:98], v[103:104]
	v_fma_f64 v[97:98], v[99:100], v[125:126], v[97:98]
	s_waitcnt vmcnt(2)
	v_add_f64 v[85:86], v[85:86], -v[101:102]
	s_waitcnt vmcnt(0)
	v_add_f64 v[87:88], v[87:88], -v[97:98]
	buffer_store_dword v85, off, s[24:27], 0 offset:176 ; 4-byte Folded Spill
	s_nop 0
	buffer_store_dword v86, off, s[24:27], 0 offset:180 ; 4-byte Folded Spill
	buffer_store_dword v87, off, s[24:27], 0 offset:184 ; 4-byte Folded Spill
	buffer_store_dword v88, off, s[24:27], 0 offset:188 ; 4-byte Folded Spill
	ds_read2_b64 v[97:100], v94 offset0:22 offset1:23
	buffer_load_dword v85, off, s[24:27], 0 offset:160 ; 4-byte Folded Reload
	buffer_load_dword v86, off, s[24:27], 0 offset:164 ; 4-byte Folded Reload
	buffer_load_dword v87, off, s[24:27], 0 offset:168 ; 4-byte Folded Reload
	buffer_load_dword v88, off, s[24:27], 0 offset:172 ; 4-byte Folded Reload
	s_waitcnt lgkmcnt(0)
	v_mul_f64 v[101:102], v[99:100], v[103:104]
	v_fma_f64 v[101:102], v[97:98], v[125:126], -v[101:102]
	v_mul_f64 v[97:98], v[97:98], v[103:104]
	v_fma_f64 v[97:98], v[99:100], v[125:126], v[97:98]
	s_waitcnt vmcnt(2)
	v_add_f64 v[85:86], v[85:86], -v[101:102]
	s_waitcnt vmcnt(0)
	v_add_f64 v[87:88], v[87:88], -v[97:98]
	buffer_store_dword v85, off, s[24:27], 0 offset:160 ; 4-byte Folded Spill
	s_nop 0
	buffer_store_dword v86, off, s[24:27], 0 offset:164 ; 4-byte Folded Spill
	buffer_store_dword v87, off, s[24:27], 0 offset:168 ; 4-byte Folded Spill
	buffer_store_dword v88, off, s[24:27], 0 offset:172 ; 4-byte Folded Spill
	ds_read2_b64 v[97:100], v94 offset0:24 offset1:25
	buffer_load_dword v85, off, s[24:27], 0 offset:144 ; 4-byte Folded Reload
	buffer_load_dword v86, off, s[24:27], 0 offset:148 ; 4-byte Folded Reload
	buffer_load_dword v87, off, s[24:27], 0 offset:152 ; 4-byte Folded Reload
	buffer_load_dword v88, off, s[24:27], 0 offset:156 ; 4-byte Folded Reload
	s_waitcnt lgkmcnt(0)
	v_mul_f64 v[101:102], v[99:100], v[103:104]
	v_fma_f64 v[101:102], v[97:98], v[125:126], -v[101:102]
	v_mul_f64 v[97:98], v[97:98], v[103:104]
	v_fma_f64 v[97:98], v[99:100], v[125:126], v[97:98]
	s_waitcnt vmcnt(2)
	v_add_f64 v[85:86], v[85:86], -v[101:102]
	s_waitcnt vmcnt(0)
	v_add_f64 v[87:88], v[87:88], -v[97:98]
	buffer_store_dword v85, off, s[24:27], 0 offset:144 ; 4-byte Folded Spill
	s_nop 0
	buffer_store_dword v86, off, s[24:27], 0 offset:148 ; 4-byte Folded Spill
	buffer_store_dword v87, off, s[24:27], 0 offset:152 ; 4-byte Folded Spill
	buffer_store_dword v88, off, s[24:27], 0 offset:156 ; 4-byte Folded Spill
	ds_read2_b64 v[97:100], v94 offset0:26 offset1:27
	buffer_load_dword v85, off, s[24:27], 0 offset:128 ; 4-byte Folded Reload
	buffer_load_dword v86, off, s[24:27], 0 offset:132 ; 4-byte Folded Reload
	buffer_load_dword v87, off, s[24:27], 0 offset:136 ; 4-byte Folded Reload
	buffer_load_dword v88, off, s[24:27], 0 offset:140 ; 4-byte Folded Reload
	s_waitcnt lgkmcnt(0)
	v_mul_f64 v[101:102], v[99:100], v[103:104]
	v_fma_f64 v[101:102], v[97:98], v[125:126], -v[101:102]
	v_mul_f64 v[97:98], v[97:98], v[103:104]
	v_fma_f64 v[97:98], v[99:100], v[125:126], v[97:98]
	s_waitcnt vmcnt(2)
	v_add_f64 v[85:86], v[85:86], -v[101:102]
	s_waitcnt vmcnt(0)
	v_add_f64 v[87:88], v[87:88], -v[97:98]
	buffer_store_dword v85, off, s[24:27], 0 offset:128 ; 4-byte Folded Spill
	s_nop 0
	buffer_store_dword v86, off, s[24:27], 0 offset:132 ; 4-byte Folded Spill
	buffer_store_dword v87, off, s[24:27], 0 offset:136 ; 4-byte Folded Spill
	buffer_store_dword v88, off, s[24:27], 0 offset:140 ; 4-byte Folded Spill
	ds_read2_b64 v[97:100], v94 offset0:28 offset1:29
	buffer_load_dword v85, off, s[24:27], 0 offset:112 ; 4-byte Folded Reload
	buffer_load_dword v86, off, s[24:27], 0 offset:116 ; 4-byte Folded Reload
	buffer_load_dword v87, off, s[24:27], 0 offset:120 ; 4-byte Folded Reload
	buffer_load_dword v88, off, s[24:27], 0 offset:124 ; 4-byte Folded Reload
	s_waitcnt lgkmcnt(0)
	v_mul_f64 v[101:102], v[99:100], v[103:104]
	v_fma_f64 v[101:102], v[97:98], v[125:126], -v[101:102]
	v_mul_f64 v[97:98], v[97:98], v[103:104]
	v_fma_f64 v[97:98], v[99:100], v[125:126], v[97:98]
	s_waitcnt vmcnt(2)
	v_add_f64 v[85:86], v[85:86], -v[101:102]
	s_waitcnt vmcnt(0)
	v_add_f64 v[87:88], v[87:88], -v[97:98]
	buffer_store_dword v85, off, s[24:27], 0 offset:112 ; 4-byte Folded Spill
	s_nop 0
	buffer_store_dword v86, off, s[24:27], 0 offset:116 ; 4-byte Folded Spill
	buffer_store_dword v87, off, s[24:27], 0 offset:120 ; 4-byte Folded Spill
	buffer_store_dword v88, off, s[24:27], 0 offset:124 ; 4-byte Folded Spill
	ds_read2_b64 v[97:100], v94 offset0:30 offset1:31
	buffer_load_dword v85, off, s[24:27], 0 offset:96 ; 4-byte Folded Reload
	buffer_load_dword v86, off, s[24:27], 0 offset:100 ; 4-byte Folded Reload
	buffer_load_dword v87, off, s[24:27], 0 offset:104 ; 4-byte Folded Reload
	buffer_load_dword v88, off, s[24:27], 0 offset:108 ; 4-byte Folded Reload
	s_waitcnt lgkmcnt(0)
	v_mul_f64 v[101:102], v[99:100], v[103:104]
	v_fma_f64 v[101:102], v[97:98], v[125:126], -v[101:102]
	v_mul_f64 v[97:98], v[97:98], v[103:104]
	v_fma_f64 v[97:98], v[99:100], v[125:126], v[97:98]
	s_waitcnt vmcnt(2)
	v_add_f64 v[85:86], v[85:86], -v[101:102]
	s_waitcnt vmcnt(0)
	v_add_f64 v[87:88], v[87:88], -v[97:98]
	buffer_store_dword v85, off, s[24:27], 0 offset:96 ; 4-byte Folded Spill
	s_nop 0
	buffer_store_dword v86, off, s[24:27], 0 offset:100 ; 4-byte Folded Spill
	buffer_store_dword v87, off, s[24:27], 0 offset:104 ; 4-byte Folded Spill
	buffer_store_dword v88, off, s[24:27], 0 offset:108 ; 4-byte Folded Spill
	ds_read2_b64 v[97:100], v94 offset0:32 offset1:33
	buffer_load_dword v85, off, s[24:27], 0 offset:80 ; 4-byte Folded Reload
	buffer_load_dword v86, off, s[24:27], 0 offset:84 ; 4-byte Folded Reload
	buffer_load_dword v87, off, s[24:27], 0 offset:88 ; 4-byte Folded Reload
	buffer_load_dword v88, off, s[24:27], 0 offset:92 ; 4-byte Folded Reload
	s_waitcnt lgkmcnt(0)
	v_mul_f64 v[101:102], v[99:100], v[103:104]
	v_fma_f64 v[101:102], v[97:98], v[125:126], -v[101:102]
	v_mul_f64 v[97:98], v[97:98], v[103:104]
	v_fma_f64 v[97:98], v[99:100], v[125:126], v[97:98]
	s_waitcnt vmcnt(2)
	v_add_f64 v[85:86], v[85:86], -v[101:102]
	s_waitcnt vmcnt(0)
	v_add_f64 v[87:88], v[87:88], -v[97:98]
	buffer_store_dword v85, off, s[24:27], 0 offset:80 ; 4-byte Folded Spill
	s_nop 0
	buffer_store_dword v86, off, s[24:27], 0 offset:84 ; 4-byte Folded Spill
	buffer_store_dword v87, off, s[24:27], 0 offset:88 ; 4-byte Folded Spill
	buffer_store_dword v88, off, s[24:27], 0 offset:92 ; 4-byte Folded Spill
	ds_read2_b64 v[97:100], v94 offset0:34 offset1:35
	buffer_load_dword v85, off, s[24:27], 0 offset:64 ; 4-byte Folded Reload
	buffer_load_dword v86, off, s[24:27], 0 offset:68 ; 4-byte Folded Reload
	buffer_load_dword v87, off, s[24:27], 0 offset:72 ; 4-byte Folded Reload
	buffer_load_dword v88, off, s[24:27], 0 offset:76 ; 4-byte Folded Reload
	s_waitcnt lgkmcnt(0)
	v_mul_f64 v[101:102], v[99:100], v[103:104]
	v_fma_f64 v[101:102], v[97:98], v[125:126], -v[101:102]
	v_mul_f64 v[97:98], v[97:98], v[103:104]
	v_fma_f64 v[97:98], v[99:100], v[125:126], v[97:98]
	s_waitcnt vmcnt(2)
	v_add_f64 v[85:86], v[85:86], -v[101:102]
	s_waitcnt vmcnt(0)
	v_add_f64 v[87:88], v[87:88], -v[97:98]
	buffer_store_dword v85, off, s[24:27], 0 offset:64 ; 4-byte Folded Spill
	s_nop 0
	buffer_store_dword v86, off, s[24:27], 0 offset:68 ; 4-byte Folded Spill
	buffer_store_dword v87, off, s[24:27], 0 offset:72 ; 4-byte Folded Spill
	buffer_store_dword v88, off, s[24:27], 0 offset:76 ; 4-byte Folded Spill
	ds_read2_b64 v[97:100], v94 offset0:36 offset1:37
	buffer_load_dword v85, off, s[24:27], 0 offset:48 ; 4-byte Folded Reload
	buffer_load_dword v86, off, s[24:27], 0 offset:52 ; 4-byte Folded Reload
	buffer_load_dword v87, off, s[24:27], 0 offset:56 ; 4-byte Folded Reload
	buffer_load_dword v88, off, s[24:27], 0 offset:60 ; 4-byte Folded Reload
	s_waitcnt lgkmcnt(0)
	v_mul_f64 v[101:102], v[99:100], v[103:104]
	v_fma_f64 v[101:102], v[97:98], v[125:126], -v[101:102]
	v_mul_f64 v[97:98], v[97:98], v[103:104]
	v_fma_f64 v[97:98], v[99:100], v[125:126], v[97:98]
	s_waitcnt vmcnt(2)
	v_add_f64 v[85:86], v[85:86], -v[101:102]
	s_waitcnt vmcnt(0)
	v_add_f64 v[87:88], v[87:88], -v[97:98]
	buffer_store_dword v85, off, s[24:27], 0 offset:48 ; 4-byte Folded Spill
	s_nop 0
	buffer_store_dword v86, off, s[24:27], 0 offset:52 ; 4-byte Folded Spill
	buffer_store_dword v87, off, s[24:27], 0 offset:56 ; 4-byte Folded Spill
	buffer_store_dword v88, off, s[24:27], 0 offset:60 ; 4-byte Folded Spill
	ds_read2_b64 v[97:100], v94 offset0:38 offset1:39
	buffer_load_dword v85, off, s[24:27], 0 offset:32 ; 4-byte Folded Reload
	buffer_load_dword v86, off, s[24:27], 0 offset:36 ; 4-byte Folded Reload
	buffer_load_dword v87, off, s[24:27], 0 offset:40 ; 4-byte Folded Reload
	buffer_load_dword v88, off, s[24:27], 0 offset:44 ; 4-byte Folded Reload
	s_waitcnt lgkmcnt(0)
	v_mul_f64 v[101:102], v[99:100], v[103:104]
	v_fma_f64 v[101:102], v[97:98], v[125:126], -v[101:102]
	v_mul_f64 v[97:98], v[97:98], v[103:104]
	v_fma_f64 v[97:98], v[99:100], v[125:126], v[97:98]
	s_waitcnt vmcnt(2)
	v_add_f64 v[85:86], v[85:86], -v[101:102]
	s_waitcnt vmcnt(0)
	v_add_f64 v[87:88], v[87:88], -v[97:98]
	buffer_store_dword v85, off, s[24:27], 0 offset:32 ; 4-byte Folded Spill
	s_nop 0
	buffer_store_dword v86, off, s[24:27], 0 offset:36 ; 4-byte Folded Spill
	buffer_store_dword v87, off, s[24:27], 0 offset:40 ; 4-byte Folded Spill
	buffer_store_dword v88, off, s[24:27], 0 offset:44 ; 4-byte Folded Spill
	ds_read2_b64 v[97:100], v94 offset0:40 offset1:41
	buffer_load_dword v85, off, s[24:27], 0 offset:16 ; 4-byte Folded Reload
	buffer_load_dword v86, off, s[24:27], 0 offset:20 ; 4-byte Folded Reload
	buffer_load_dword v87, off, s[24:27], 0 offset:24 ; 4-byte Folded Reload
	buffer_load_dword v88, off, s[24:27], 0 offset:28 ; 4-byte Folded Reload
	s_waitcnt lgkmcnt(0)
	v_mul_f64 v[101:102], v[99:100], v[103:104]
	v_fma_f64 v[101:102], v[97:98], v[125:126], -v[101:102]
	v_mul_f64 v[97:98], v[97:98], v[103:104]
	v_fma_f64 v[97:98], v[99:100], v[125:126], v[97:98]
	s_waitcnt vmcnt(2)
	v_add_f64 v[85:86], v[85:86], -v[101:102]
	s_waitcnt vmcnt(0)
	v_add_f64 v[87:88], v[87:88], -v[97:98]
	buffer_store_dword v85, off, s[24:27], 0 offset:16 ; 4-byte Folded Spill
	s_nop 0
	buffer_store_dword v86, off, s[24:27], 0 offset:20 ; 4-byte Folded Spill
	buffer_store_dword v87, off, s[24:27], 0 offset:24 ; 4-byte Folded Spill
	buffer_store_dword v88, off, s[24:27], 0 offset:28 ; 4-byte Folded Spill
	ds_read2_b64 v[97:100], v94 offset0:42 offset1:43
	buffer_load_dword v85, off, s[24:27], 0 ; 4-byte Folded Reload
	buffer_load_dword v86, off, s[24:27], 0 offset:4 ; 4-byte Folded Reload
	buffer_load_dword v87, off, s[24:27], 0 offset:8 ; 4-byte Folded Reload
	;; [unrolled: 1-line block ×3, first 2 shown]
	s_waitcnt lgkmcnt(0)
	v_mul_f64 v[101:102], v[99:100], v[103:104]
	v_fma_f64 v[101:102], v[97:98], v[125:126], -v[101:102]
	v_mul_f64 v[97:98], v[97:98], v[103:104]
	v_fma_f64 v[97:98], v[99:100], v[125:126], v[97:98]
	s_waitcnt vmcnt(2)
	v_add_f64 v[85:86], v[85:86], -v[101:102]
	s_waitcnt vmcnt(0)
	v_add_f64 v[87:88], v[87:88], -v[97:98]
	buffer_store_dword v85, off, s[24:27], 0 ; 4-byte Folded Spill
	s_nop 0
	buffer_store_dword v86, off, s[24:27], 0 offset:4 ; 4-byte Folded Spill
	buffer_store_dword v87, off, s[24:27], 0 offset:8 ; 4-byte Folded Spill
	;; [unrolled: 1-line block ×3, first 2 shown]
	ds_read2_b64 v[97:100], v94 offset0:44 offset1:45
	s_waitcnt lgkmcnt(0)
	v_mul_f64 v[101:102], v[99:100], v[103:104]
	v_fma_f64 v[101:102], v[97:98], v[125:126], -v[101:102]
	v_mul_f64 v[97:98], v[97:98], v[103:104]
	v_add_f64 v[111:112], v[111:112], -v[101:102]
	v_fma_f64 v[97:98], v[99:100], v[125:126], v[97:98]
	v_add_f64 v[113:114], v[113:114], -v[97:98]
	ds_read2_b64 v[97:100], v94 offset0:46 offset1:47
	s_waitcnt lgkmcnt(0)
	v_mul_f64 v[101:102], v[99:100], v[103:104]
	v_fma_f64 v[101:102], v[97:98], v[125:126], -v[101:102]
	v_mul_f64 v[97:98], v[97:98], v[103:104]
	v_add_f64 v[89:90], v[89:90], -v[101:102]
	v_fma_f64 v[97:98], v[99:100], v[125:126], v[97:98]
	v_add_f64 v[91:92], v[91:92], -v[97:98]
	;; [unrolled: 8-line block ×23, first 2 shown]
	ds_read2_b64 v[97:100], v94 offset0:90 offset1:91
	s_waitcnt lgkmcnt(0)
	v_mul_f64 v[101:102], v[99:100], v[103:104]
	v_fma_f64 v[101:102], v[97:98], v[125:126], -v[101:102]
	v_mul_f64 v[97:98], v[97:98], v[103:104]
	v_add_f64 v[121:122], v[121:122], -v[101:102]
	v_fma_f64 v[97:98], v[99:100], v[125:126], v[97:98]
	v_mov_b32_e32 v101, v125
	v_mov_b32_e32 v102, v126
	buffer_store_dword v101, off, s[24:27], 0 offset:256 ; 4-byte Folded Spill
	s_nop 0
	buffer_store_dword v102, off, s[24:27], 0 offset:260 ; 4-byte Folded Spill
	buffer_store_dword v103, off, s[24:27], 0 offset:264 ; 4-byte Folded Spill
	;; [unrolled: 1-line block ×3, first 2 shown]
	v_add_f64 v[123:124], v[123:124], -v[97:98]
.LBB90_125:
	s_or_b64 exec, exec, s[0:1]
	s_waitcnt vmcnt(0)
	s_barrier
	buffer_load_dword v85, off, s[24:27], 0 offset:240 ; 4-byte Folded Reload
	buffer_load_dword v86, off, s[24:27], 0 offset:244 ; 4-byte Folded Reload
	;; [unrolled: 1-line block ×4, first 2 shown]
	v_lshl_add_u32 v97, v96, 4, v94
	s_cmp_lt_i32 s3, 8
	s_waitcnt vmcnt(0)
	ds_write2_b64 v97, v[85:86], v[87:88] offset1:1
	s_waitcnt lgkmcnt(0)
	s_barrier
	ds_read2_b64 v[117:120], v94 offset0:12 offset1:13
	v_mov_b32_e32 v97, 6
	s_cbranch_scc1 .LBB90_128
; %bb.126:
	v_add_u32_e32 v98, 0x70, v94
	s_mov_b32 s0, 7
	v_mov_b32_e32 v97, 6
.LBB90_127:                             ; =>This Inner Loop Header: Depth=1
	s_waitcnt lgkmcnt(0)
	v_cmp_gt_f64_e32 vcc, 0, v[117:118]
	v_xor_b32_e32 v103, 0x80000000, v118
	ds_read2_b64 v[99:102], v98 offset1:1
	v_xor_b32_e32 v105, 0x80000000, v120
	v_add_u32_e32 v98, 16, v98
	s_waitcnt lgkmcnt(0)
	v_xor_b32_e32 v107, 0x80000000, v102
	v_cndmask_b32_e32 v104, v118, v103, vcc
	v_cmp_gt_f64_e32 vcc, 0, v[119:120]
	v_mov_b32_e32 v103, v117
	v_cndmask_b32_e32 v106, v120, v105, vcc
	v_cmp_gt_f64_e32 vcc, 0, v[99:100]
	v_mov_b32_e32 v105, v119
	v_add_f64 v[103:104], v[103:104], v[105:106]
	v_xor_b32_e32 v105, 0x80000000, v100
	v_cndmask_b32_e32 v106, v100, v105, vcc
	v_cmp_gt_f64_e32 vcc, 0, v[101:102]
	v_mov_b32_e32 v105, v99
	v_cndmask_b32_e32 v108, v102, v107, vcc
	v_mov_b32_e32 v107, v101
	v_add_f64 v[105:106], v[105:106], v[107:108]
	v_cmp_lt_f64_e32 vcc, v[103:104], v[105:106]
	v_cndmask_b32_e32 v117, v117, v99, vcc
	v_mov_b32_e32 v99, s0
	s_add_i32 s0, s0, 1
	v_cndmask_b32_e32 v118, v118, v100, vcc
	v_cndmask_b32_e32 v120, v120, v102, vcc
	;; [unrolled: 1-line block ×4, first 2 shown]
	s_cmp_lg_u32 s3, s0
	s_cbranch_scc1 .LBB90_127
.LBB90_128:
	s_waitcnt lgkmcnt(0)
	v_cmp_eq_f64_e32 vcc, 0, v[117:118]
	v_cmp_eq_f64_e64 s[0:1], 0, v[119:120]
	s_and_b64 s[0:1], vcc, s[0:1]
	s_and_saveexec_b64 s[18:19], s[0:1]
	s_xor_b64 s[0:1], exec, s[18:19]
; %bb.129:
	v_cmp_ne_u32_e32 vcc, 0, v95
	v_cndmask_b32_e32 v95, 7, v95, vcc
; %bb.130:
	s_andn2_saveexec_b64 s[0:1], s[0:1]
	s_cbranch_execz .LBB90_136
; %bb.131:
	v_cmp_ngt_f64_e64 s[18:19], |v[117:118]|, |v[119:120]|
	s_and_saveexec_b64 s[20:21], s[18:19]
	s_xor_b64 s[18:19], exec, s[20:21]
	s_cbranch_execz .LBB90_133
; %bb.132:
	v_div_scale_f64 v[98:99], s[20:21], v[119:120], v[119:120], v[117:118]
	v_rcp_f64_e32 v[100:101], v[98:99]
	v_fma_f64 v[102:103], -v[98:99], v[100:101], 1.0
	v_fma_f64 v[100:101], v[100:101], v[102:103], v[100:101]
	v_div_scale_f64 v[102:103], vcc, v[117:118], v[119:120], v[117:118]
	v_fma_f64 v[104:105], -v[98:99], v[100:101], 1.0
	v_fma_f64 v[100:101], v[100:101], v[104:105], v[100:101]
	v_mul_f64 v[104:105], v[102:103], v[100:101]
	v_fma_f64 v[98:99], -v[98:99], v[104:105], v[102:103]
	v_div_fmas_f64 v[98:99], v[98:99], v[100:101], v[104:105]
	v_div_fixup_f64 v[98:99], v[98:99], v[119:120], v[117:118]
	v_fma_f64 v[100:101], v[117:118], v[98:99], v[119:120]
	v_div_scale_f64 v[102:103], s[20:21], v[100:101], v[100:101], 1.0
	v_div_scale_f64 v[108:109], vcc, 1.0, v[100:101], 1.0
	v_rcp_f64_e32 v[104:105], v[102:103]
	v_fma_f64 v[106:107], -v[102:103], v[104:105], 1.0
	v_fma_f64 v[104:105], v[104:105], v[106:107], v[104:105]
	v_fma_f64 v[106:107], -v[102:103], v[104:105], 1.0
	v_fma_f64 v[104:105], v[104:105], v[106:107], v[104:105]
	v_mul_f64 v[106:107], v[108:109], v[104:105]
	v_fma_f64 v[102:103], -v[102:103], v[106:107], v[108:109]
	v_div_fmas_f64 v[102:103], v[102:103], v[104:105], v[106:107]
	v_div_fixup_f64 v[119:120], v[102:103], v[100:101], 1.0
	v_mul_f64 v[117:118], v[98:99], v[119:120]
	v_xor_b32_e32 v120, 0x80000000, v120
.LBB90_133:
	s_andn2_saveexec_b64 s[18:19], s[18:19]
	s_cbranch_execz .LBB90_135
; %bb.134:
	v_div_scale_f64 v[98:99], s[20:21], v[117:118], v[117:118], v[119:120]
	v_rcp_f64_e32 v[100:101], v[98:99]
	v_fma_f64 v[102:103], -v[98:99], v[100:101], 1.0
	v_fma_f64 v[100:101], v[100:101], v[102:103], v[100:101]
	v_div_scale_f64 v[102:103], vcc, v[119:120], v[117:118], v[119:120]
	v_fma_f64 v[104:105], -v[98:99], v[100:101], 1.0
	v_fma_f64 v[100:101], v[100:101], v[104:105], v[100:101]
	v_mul_f64 v[104:105], v[102:103], v[100:101]
	v_fma_f64 v[98:99], -v[98:99], v[104:105], v[102:103]
	v_div_fmas_f64 v[98:99], v[98:99], v[100:101], v[104:105]
	v_div_fixup_f64 v[98:99], v[98:99], v[117:118], v[119:120]
	v_fma_f64 v[100:101], v[119:120], v[98:99], v[117:118]
	v_div_scale_f64 v[102:103], s[20:21], v[100:101], v[100:101], 1.0
	v_div_scale_f64 v[108:109], vcc, 1.0, v[100:101], 1.0
	v_rcp_f64_e32 v[104:105], v[102:103]
	v_fma_f64 v[106:107], -v[102:103], v[104:105], 1.0
	v_fma_f64 v[104:105], v[104:105], v[106:107], v[104:105]
	v_fma_f64 v[106:107], -v[102:103], v[104:105], 1.0
	v_fma_f64 v[104:105], v[104:105], v[106:107], v[104:105]
	v_mul_f64 v[106:107], v[108:109], v[104:105]
	v_fma_f64 v[102:103], -v[102:103], v[106:107], v[108:109]
	v_div_fmas_f64 v[102:103], v[102:103], v[104:105], v[106:107]
	v_div_fixup_f64 v[117:118], v[102:103], v[100:101], 1.0
	v_mul_f64 v[119:120], v[98:99], -v[117:118]
.LBB90_135:
	s_or_b64 exec, exec, s[18:19]
.LBB90_136:
	s_or_b64 exec, exec, s[0:1]
	v_cmp_ne_u32_e32 vcc, v96, v97
	s_and_saveexec_b64 s[0:1], vcc
	s_xor_b64 s[0:1], exec, s[0:1]
	s_cbranch_execz .LBB90_142
; %bb.137:
	v_cmp_eq_u32_e32 vcc, 6, v96
	s_and_saveexec_b64 s[18:19], vcc
	s_cbranch_execz .LBB90_141
; %bb.138:
	v_cmp_ne_u32_e32 vcc, 6, v97
	s_xor_b64 s[20:21], s[6:7], -1
	s_and_b64 s[22:23], s[20:21], vcc
	s_and_saveexec_b64 s[20:21], s[22:23]
	s_cbranch_execz .LBB90_140
; %bb.139:
	buffer_load_dword v85, off, s[24:27], 0 offset:304 ; 4-byte Folded Reload
	buffer_load_dword v86, off, s[24:27], 0 offset:308 ; 4-byte Folded Reload
	v_ashrrev_i32_e32 v98, 31, v97
	v_lshlrev_b64 v[98:99], 2, v[97:98]
	s_waitcnt vmcnt(1)
	v_add_co_u32_e32 v98, vcc, v85, v98
	s_waitcnt vmcnt(0)
	v_addc_co_u32_e32 v99, vcc, v86, v99, vcc
	global_load_dword v0, v[98:99], off
	global_load_dword v96, v[85:86], off offset:24
	s_waitcnt vmcnt(1)
	global_store_dword v[85:86], v0, off offset:24
	s_waitcnt vmcnt(1)
	global_store_dword v[98:99], v96, off
.LBB90_140:
	s_or_b64 exec, exec, s[20:21]
	v_mov_b32_e32 v96, v97
	v_mov_b32_e32 v0, v97
.LBB90_141:
	s_or_b64 exec, exec, s[18:19]
.LBB90_142:
	s_andn2_saveexec_b64 s[0:1], s[0:1]
	s_cbranch_execz .LBB90_144
; %bb.143:
	buffer_load_dword v85, off, s[24:27], 0 offset:224 ; 4-byte Folded Reload
	buffer_load_dword v86, off, s[24:27], 0 offset:228 ; 4-byte Folded Reload
	;; [unrolled: 1-line block ×4, first 2 shown]
	v_mov_b32_e32 v96, 6
	s_waitcnt vmcnt(0)
	ds_write2_b64 v94, v[85:86], v[87:88] offset0:14 offset1:15
	buffer_load_dword v85, off, s[24:27], 0 offset:208 ; 4-byte Folded Reload
	buffer_load_dword v86, off, s[24:27], 0 offset:212 ; 4-byte Folded Reload
	buffer_load_dword v87, off, s[24:27], 0 offset:216 ; 4-byte Folded Reload
	buffer_load_dword v88, off, s[24:27], 0 offset:220 ; 4-byte Folded Reload
	s_waitcnt vmcnt(0)
	ds_write2_b64 v94, v[85:86], v[87:88] offset0:16 offset1:17
	buffer_load_dword v85, off, s[24:27], 0 offset:192 ; 4-byte Folded Reload
	buffer_load_dword v86, off, s[24:27], 0 offset:196 ; 4-byte Folded Reload
	buffer_load_dword v87, off, s[24:27], 0 offset:200 ; 4-byte Folded Reload
	buffer_load_dword v88, off, s[24:27], 0 offset:204 ; 4-byte Folded Reload
	s_waitcnt vmcnt(0)
	ds_write2_b64 v94, v[85:86], v[87:88] offset0:18 offset1:19
	buffer_load_dword v85, off, s[24:27], 0 offset:176 ; 4-byte Folded Reload
	buffer_load_dword v86, off, s[24:27], 0 offset:180 ; 4-byte Folded Reload
	buffer_load_dword v87, off, s[24:27], 0 offset:184 ; 4-byte Folded Reload
	buffer_load_dword v88, off, s[24:27], 0 offset:188 ; 4-byte Folded Reload
	s_waitcnt vmcnt(0)
	ds_write2_b64 v94, v[85:86], v[87:88] offset0:20 offset1:21
	buffer_load_dword v85, off, s[24:27], 0 offset:160 ; 4-byte Folded Reload
	buffer_load_dword v86, off, s[24:27], 0 offset:164 ; 4-byte Folded Reload
	buffer_load_dword v87, off, s[24:27], 0 offset:168 ; 4-byte Folded Reload
	buffer_load_dword v88, off, s[24:27], 0 offset:172 ; 4-byte Folded Reload
	s_waitcnt vmcnt(0)
	ds_write2_b64 v94, v[85:86], v[87:88] offset0:22 offset1:23
	buffer_load_dword v85, off, s[24:27], 0 offset:144 ; 4-byte Folded Reload
	buffer_load_dword v86, off, s[24:27], 0 offset:148 ; 4-byte Folded Reload
	buffer_load_dword v87, off, s[24:27], 0 offset:152 ; 4-byte Folded Reload
	buffer_load_dword v88, off, s[24:27], 0 offset:156 ; 4-byte Folded Reload
	s_waitcnt vmcnt(0)
	ds_write2_b64 v94, v[85:86], v[87:88] offset0:24 offset1:25
	buffer_load_dword v85, off, s[24:27], 0 offset:128 ; 4-byte Folded Reload
	buffer_load_dword v86, off, s[24:27], 0 offset:132 ; 4-byte Folded Reload
	buffer_load_dword v87, off, s[24:27], 0 offset:136 ; 4-byte Folded Reload
	buffer_load_dword v88, off, s[24:27], 0 offset:140 ; 4-byte Folded Reload
	s_waitcnt vmcnt(0)
	ds_write2_b64 v94, v[85:86], v[87:88] offset0:26 offset1:27
	buffer_load_dword v85, off, s[24:27], 0 offset:112 ; 4-byte Folded Reload
	buffer_load_dword v86, off, s[24:27], 0 offset:116 ; 4-byte Folded Reload
	buffer_load_dword v87, off, s[24:27], 0 offset:120 ; 4-byte Folded Reload
	buffer_load_dword v88, off, s[24:27], 0 offset:124 ; 4-byte Folded Reload
	s_waitcnt vmcnt(0)
	ds_write2_b64 v94, v[85:86], v[87:88] offset0:28 offset1:29
	buffer_load_dword v85, off, s[24:27], 0 offset:96 ; 4-byte Folded Reload
	buffer_load_dword v86, off, s[24:27], 0 offset:100 ; 4-byte Folded Reload
	buffer_load_dword v87, off, s[24:27], 0 offset:104 ; 4-byte Folded Reload
	buffer_load_dword v88, off, s[24:27], 0 offset:108 ; 4-byte Folded Reload
	s_waitcnt vmcnt(0)
	ds_write2_b64 v94, v[85:86], v[87:88] offset0:30 offset1:31
	buffer_load_dword v85, off, s[24:27], 0 offset:80 ; 4-byte Folded Reload
	buffer_load_dword v86, off, s[24:27], 0 offset:84 ; 4-byte Folded Reload
	buffer_load_dword v87, off, s[24:27], 0 offset:88 ; 4-byte Folded Reload
	buffer_load_dword v88, off, s[24:27], 0 offset:92 ; 4-byte Folded Reload
	s_waitcnt vmcnt(0)
	ds_write2_b64 v94, v[85:86], v[87:88] offset0:32 offset1:33
	buffer_load_dword v85, off, s[24:27], 0 offset:64 ; 4-byte Folded Reload
	buffer_load_dword v86, off, s[24:27], 0 offset:68 ; 4-byte Folded Reload
	buffer_load_dword v87, off, s[24:27], 0 offset:72 ; 4-byte Folded Reload
	buffer_load_dword v88, off, s[24:27], 0 offset:76 ; 4-byte Folded Reload
	s_waitcnt vmcnt(0)
	ds_write2_b64 v94, v[85:86], v[87:88] offset0:34 offset1:35
	buffer_load_dword v85, off, s[24:27], 0 offset:48 ; 4-byte Folded Reload
	buffer_load_dword v86, off, s[24:27], 0 offset:52 ; 4-byte Folded Reload
	buffer_load_dword v87, off, s[24:27], 0 offset:56 ; 4-byte Folded Reload
	buffer_load_dword v88, off, s[24:27], 0 offset:60 ; 4-byte Folded Reload
	s_waitcnt vmcnt(0)
	ds_write2_b64 v94, v[85:86], v[87:88] offset0:36 offset1:37
	buffer_load_dword v85, off, s[24:27], 0 offset:32 ; 4-byte Folded Reload
	buffer_load_dword v86, off, s[24:27], 0 offset:36 ; 4-byte Folded Reload
	buffer_load_dword v87, off, s[24:27], 0 offset:40 ; 4-byte Folded Reload
	buffer_load_dword v88, off, s[24:27], 0 offset:44 ; 4-byte Folded Reload
	s_waitcnt vmcnt(0)
	ds_write2_b64 v94, v[85:86], v[87:88] offset0:38 offset1:39
	buffer_load_dword v85, off, s[24:27], 0 offset:16 ; 4-byte Folded Reload
	buffer_load_dword v86, off, s[24:27], 0 offset:20 ; 4-byte Folded Reload
	buffer_load_dword v87, off, s[24:27], 0 offset:24 ; 4-byte Folded Reload
	buffer_load_dword v88, off, s[24:27], 0 offset:28 ; 4-byte Folded Reload
	s_waitcnt vmcnt(0)
	ds_write2_b64 v94, v[85:86], v[87:88] offset0:40 offset1:41
	buffer_load_dword v85, off, s[24:27], 0 ; 4-byte Folded Reload
	buffer_load_dword v86, off, s[24:27], 0 offset:4 ; 4-byte Folded Reload
	buffer_load_dword v87, off, s[24:27], 0 offset:8 ; 4-byte Folded Reload
	buffer_load_dword v88, off, s[24:27], 0 offset:12 ; 4-byte Folded Reload
	s_waitcnt vmcnt(0)
	ds_write2_b64 v94, v[85:86], v[87:88] offset0:42 offset1:43
	ds_write2_b64 v94, v[111:112], v[113:114] offset0:44 offset1:45
	ds_write2_b64 v94, v[89:90], v[91:92] offset0:46 offset1:47
	ds_write2_b64 v94, v[81:82], v[83:84] offset0:48 offset1:49
	ds_write2_b64 v94, v[77:78], v[79:80] offset0:50 offset1:51
	ds_write2_b64 v94, v[73:74], v[75:76] offset0:52 offset1:53
	ds_write2_b64 v94, v[69:70], v[71:72] offset0:54 offset1:55
	ds_write2_b64 v94, v[65:66], v[67:68] offset0:56 offset1:57
	ds_write2_b64 v94, v[61:62], v[63:64] offset0:58 offset1:59
	ds_write2_b64 v94, v[57:58], v[59:60] offset0:60 offset1:61
	ds_write2_b64 v94, v[53:54], v[55:56] offset0:62 offset1:63
	ds_write2_b64 v94, v[49:50], v[51:52] offset0:64 offset1:65
	ds_write2_b64 v94, v[45:46], v[47:48] offset0:66 offset1:67
	ds_write2_b64 v94, v[41:42], v[43:44] offset0:68 offset1:69
	ds_write2_b64 v94, v[37:38], v[39:40] offset0:70 offset1:71
	ds_write2_b64 v94, v[33:34], v[35:36] offset0:72 offset1:73
	ds_write2_b64 v94, v[29:30], v[31:32] offset0:74 offset1:75
	ds_write2_b64 v94, v[25:26], v[27:28] offset0:76 offset1:77
	ds_write2_b64 v94, v[21:22], v[23:24] offset0:78 offset1:79
	ds_write2_b64 v94, v[17:18], v[19:20] offset0:80 offset1:81
	ds_write2_b64 v94, v[13:14], v[15:16] offset0:82 offset1:83
	ds_write2_b64 v94, v[9:10], v[11:12] offset0:84 offset1:85
	ds_write2_b64 v94, v[5:6], v[7:8] offset0:86 offset1:87
	ds_write2_b64 v94, v[1:2], v[3:4] offset0:88 offset1:89
	ds_write2_b64 v94, v[121:122], v[123:124] offset0:90 offset1:91
.LBB90_144:
	s_or_b64 exec, exec, s[0:1]
	v_cmp_lt_i32_e32 vcc, 6, v96
	s_waitcnt vmcnt(0) lgkmcnt(0)
	s_barrier
	s_and_saveexec_b64 s[0:1], vcc
	s_cbranch_execz .LBB90_146
; %bb.145:
	buffer_load_dword v101, off, s[24:27], 0 offset:240 ; 4-byte Folded Reload
	buffer_load_dword v102, off, s[24:27], 0 offset:244 ; 4-byte Folded Reload
	;; [unrolled: 1-line block ×4, first 2 shown]
	s_waitcnt vmcnt(0)
	v_mul_f64 v[97:98], v[119:120], v[103:104]
	v_fma_f64 v[125:126], v[117:118], v[101:102], -v[97:98]
	v_mul_f64 v[97:98], v[117:118], v[103:104]
	v_fma_f64 v[103:104], v[119:120], v[101:102], v[97:98]
	ds_read2_b64 v[97:100], v94 offset0:14 offset1:15
	buffer_load_dword v85, off, s[24:27], 0 offset:224 ; 4-byte Folded Reload
	buffer_load_dword v86, off, s[24:27], 0 offset:228 ; 4-byte Folded Reload
	buffer_load_dword v87, off, s[24:27], 0 offset:232 ; 4-byte Folded Reload
	buffer_load_dword v88, off, s[24:27], 0 offset:236 ; 4-byte Folded Reload
	s_waitcnt lgkmcnt(0)
	v_mul_f64 v[101:102], v[99:100], v[103:104]
	v_fma_f64 v[101:102], v[97:98], v[125:126], -v[101:102]
	v_mul_f64 v[97:98], v[97:98], v[103:104]
	v_fma_f64 v[97:98], v[99:100], v[125:126], v[97:98]
	s_waitcnt vmcnt(2)
	v_add_f64 v[85:86], v[85:86], -v[101:102]
	s_waitcnt vmcnt(0)
	v_add_f64 v[87:88], v[87:88], -v[97:98]
	buffer_store_dword v85, off, s[24:27], 0 offset:224 ; 4-byte Folded Spill
	s_nop 0
	buffer_store_dword v86, off, s[24:27], 0 offset:228 ; 4-byte Folded Spill
	buffer_store_dword v87, off, s[24:27], 0 offset:232 ; 4-byte Folded Spill
	buffer_store_dword v88, off, s[24:27], 0 offset:236 ; 4-byte Folded Spill
	ds_read2_b64 v[97:100], v94 offset0:16 offset1:17
	buffer_load_dword v85, off, s[24:27], 0 offset:208 ; 4-byte Folded Reload
	buffer_load_dword v86, off, s[24:27], 0 offset:212 ; 4-byte Folded Reload
	buffer_load_dword v87, off, s[24:27], 0 offset:216 ; 4-byte Folded Reload
	buffer_load_dword v88, off, s[24:27], 0 offset:220 ; 4-byte Folded Reload
	s_waitcnt lgkmcnt(0)
	v_mul_f64 v[101:102], v[99:100], v[103:104]
	v_fma_f64 v[101:102], v[97:98], v[125:126], -v[101:102]
	v_mul_f64 v[97:98], v[97:98], v[103:104]
	v_fma_f64 v[97:98], v[99:100], v[125:126], v[97:98]
	s_waitcnt vmcnt(2)
	v_add_f64 v[85:86], v[85:86], -v[101:102]
	s_waitcnt vmcnt(0)
	v_add_f64 v[87:88], v[87:88], -v[97:98]
	buffer_store_dword v85, off, s[24:27], 0 offset:208 ; 4-byte Folded Spill
	s_nop 0
	buffer_store_dword v86, off, s[24:27], 0 offset:212 ; 4-byte Folded Spill
	buffer_store_dword v87, off, s[24:27], 0 offset:216 ; 4-byte Folded Spill
	buffer_store_dword v88, off, s[24:27], 0 offset:220 ; 4-byte Folded Spill
	;; [unrolled: 19-line block ×14, first 2 shown]
	ds_read2_b64 v[97:100], v94 offset0:42 offset1:43
	buffer_load_dword v85, off, s[24:27], 0 ; 4-byte Folded Reload
	buffer_load_dword v86, off, s[24:27], 0 offset:4 ; 4-byte Folded Reload
	buffer_load_dword v87, off, s[24:27], 0 offset:8 ; 4-byte Folded Reload
	;; [unrolled: 1-line block ×3, first 2 shown]
	s_waitcnt lgkmcnt(0)
	v_mul_f64 v[101:102], v[99:100], v[103:104]
	v_fma_f64 v[101:102], v[97:98], v[125:126], -v[101:102]
	v_mul_f64 v[97:98], v[97:98], v[103:104]
	v_fma_f64 v[97:98], v[99:100], v[125:126], v[97:98]
	s_waitcnt vmcnt(2)
	v_add_f64 v[85:86], v[85:86], -v[101:102]
	s_waitcnt vmcnt(0)
	v_add_f64 v[87:88], v[87:88], -v[97:98]
	buffer_store_dword v85, off, s[24:27], 0 ; 4-byte Folded Spill
	s_nop 0
	buffer_store_dword v86, off, s[24:27], 0 offset:4 ; 4-byte Folded Spill
	buffer_store_dword v87, off, s[24:27], 0 offset:8 ; 4-byte Folded Spill
	;; [unrolled: 1-line block ×3, first 2 shown]
	ds_read2_b64 v[97:100], v94 offset0:44 offset1:45
	s_waitcnt lgkmcnt(0)
	v_mul_f64 v[101:102], v[99:100], v[103:104]
	v_fma_f64 v[101:102], v[97:98], v[125:126], -v[101:102]
	v_mul_f64 v[97:98], v[97:98], v[103:104]
	v_add_f64 v[111:112], v[111:112], -v[101:102]
	v_fma_f64 v[97:98], v[99:100], v[125:126], v[97:98]
	v_add_f64 v[113:114], v[113:114], -v[97:98]
	ds_read2_b64 v[97:100], v94 offset0:46 offset1:47
	s_waitcnt lgkmcnt(0)
	v_mul_f64 v[101:102], v[99:100], v[103:104]
	v_fma_f64 v[101:102], v[97:98], v[125:126], -v[101:102]
	v_mul_f64 v[97:98], v[97:98], v[103:104]
	v_add_f64 v[89:90], v[89:90], -v[101:102]
	v_fma_f64 v[97:98], v[99:100], v[125:126], v[97:98]
	v_add_f64 v[91:92], v[91:92], -v[97:98]
	;; [unrolled: 8-line block ×23, first 2 shown]
	ds_read2_b64 v[97:100], v94 offset0:90 offset1:91
	s_waitcnt lgkmcnt(0)
	v_mul_f64 v[101:102], v[99:100], v[103:104]
	v_fma_f64 v[101:102], v[97:98], v[125:126], -v[101:102]
	v_mul_f64 v[97:98], v[97:98], v[103:104]
	v_add_f64 v[121:122], v[121:122], -v[101:102]
	v_fma_f64 v[97:98], v[99:100], v[125:126], v[97:98]
	v_mov_b32_e32 v101, v125
	v_mov_b32_e32 v102, v126
	buffer_store_dword v101, off, s[24:27], 0 offset:240 ; 4-byte Folded Spill
	s_nop 0
	buffer_store_dword v102, off, s[24:27], 0 offset:244 ; 4-byte Folded Spill
	buffer_store_dword v103, off, s[24:27], 0 offset:248 ; 4-byte Folded Spill
	;; [unrolled: 1-line block ×3, first 2 shown]
	v_add_f64 v[123:124], v[123:124], -v[97:98]
.LBB90_146:
	s_or_b64 exec, exec, s[0:1]
	s_waitcnt vmcnt(0)
	s_barrier
	buffer_load_dword v85, off, s[24:27], 0 offset:224 ; 4-byte Folded Reload
	buffer_load_dword v86, off, s[24:27], 0 offset:228 ; 4-byte Folded Reload
	;; [unrolled: 1-line block ×4, first 2 shown]
	v_lshl_add_u32 v97, v96, 4, v94
	s_cmp_lt_i32 s3, 9
	s_waitcnt vmcnt(0)
	ds_write2_b64 v97, v[85:86], v[87:88] offset1:1
	s_waitcnt lgkmcnt(0)
	s_barrier
	ds_read2_b64 v[117:120], v94 offset0:14 offset1:15
	v_mov_b32_e32 v97, 7
	s_cbranch_scc1 .LBB90_149
; %bb.147:
	v_add_u32_e32 v98, 0x80, v94
	s_mov_b32 s0, 8
	v_mov_b32_e32 v97, 7
.LBB90_148:                             ; =>This Inner Loop Header: Depth=1
	s_waitcnt lgkmcnt(0)
	v_cmp_gt_f64_e32 vcc, 0, v[117:118]
	v_xor_b32_e32 v103, 0x80000000, v118
	ds_read2_b64 v[99:102], v98 offset1:1
	v_xor_b32_e32 v105, 0x80000000, v120
	v_add_u32_e32 v98, 16, v98
	s_waitcnt lgkmcnt(0)
	v_xor_b32_e32 v107, 0x80000000, v102
	v_cndmask_b32_e32 v104, v118, v103, vcc
	v_cmp_gt_f64_e32 vcc, 0, v[119:120]
	v_mov_b32_e32 v103, v117
	v_cndmask_b32_e32 v106, v120, v105, vcc
	v_cmp_gt_f64_e32 vcc, 0, v[99:100]
	v_mov_b32_e32 v105, v119
	v_add_f64 v[103:104], v[103:104], v[105:106]
	v_xor_b32_e32 v105, 0x80000000, v100
	v_cndmask_b32_e32 v106, v100, v105, vcc
	v_cmp_gt_f64_e32 vcc, 0, v[101:102]
	v_mov_b32_e32 v105, v99
	v_cndmask_b32_e32 v108, v102, v107, vcc
	v_mov_b32_e32 v107, v101
	v_add_f64 v[105:106], v[105:106], v[107:108]
	v_cmp_lt_f64_e32 vcc, v[103:104], v[105:106]
	v_cndmask_b32_e32 v117, v117, v99, vcc
	v_mov_b32_e32 v99, s0
	s_add_i32 s0, s0, 1
	v_cndmask_b32_e32 v118, v118, v100, vcc
	v_cndmask_b32_e32 v120, v120, v102, vcc
	v_cndmask_b32_e32 v119, v119, v101, vcc
	v_cndmask_b32_e32 v97, v97, v99, vcc
	s_cmp_lg_u32 s3, s0
	s_cbranch_scc1 .LBB90_148
.LBB90_149:
	s_waitcnt lgkmcnt(0)
	v_cmp_eq_f64_e32 vcc, 0, v[117:118]
	v_cmp_eq_f64_e64 s[0:1], 0, v[119:120]
	s_and_b64 s[0:1], vcc, s[0:1]
	s_and_saveexec_b64 s[18:19], s[0:1]
	s_xor_b64 s[0:1], exec, s[18:19]
; %bb.150:
	v_cmp_ne_u32_e32 vcc, 0, v95
	v_cndmask_b32_e32 v95, 8, v95, vcc
; %bb.151:
	s_andn2_saveexec_b64 s[0:1], s[0:1]
	s_cbranch_execz .LBB90_157
; %bb.152:
	v_cmp_ngt_f64_e64 s[18:19], |v[117:118]|, |v[119:120]|
	s_and_saveexec_b64 s[20:21], s[18:19]
	s_xor_b64 s[18:19], exec, s[20:21]
	s_cbranch_execz .LBB90_154
; %bb.153:
	v_div_scale_f64 v[98:99], s[20:21], v[119:120], v[119:120], v[117:118]
	v_rcp_f64_e32 v[100:101], v[98:99]
	v_fma_f64 v[102:103], -v[98:99], v[100:101], 1.0
	v_fma_f64 v[100:101], v[100:101], v[102:103], v[100:101]
	v_div_scale_f64 v[102:103], vcc, v[117:118], v[119:120], v[117:118]
	v_fma_f64 v[104:105], -v[98:99], v[100:101], 1.0
	v_fma_f64 v[100:101], v[100:101], v[104:105], v[100:101]
	v_mul_f64 v[104:105], v[102:103], v[100:101]
	v_fma_f64 v[98:99], -v[98:99], v[104:105], v[102:103]
	v_div_fmas_f64 v[98:99], v[98:99], v[100:101], v[104:105]
	v_div_fixup_f64 v[98:99], v[98:99], v[119:120], v[117:118]
	v_fma_f64 v[100:101], v[117:118], v[98:99], v[119:120]
	v_div_scale_f64 v[102:103], s[20:21], v[100:101], v[100:101], 1.0
	v_div_scale_f64 v[108:109], vcc, 1.0, v[100:101], 1.0
	v_rcp_f64_e32 v[104:105], v[102:103]
	v_fma_f64 v[106:107], -v[102:103], v[104:105], 1.0
	v_fma_f64 v[104:105], v[104:105], v[106:107], v[104:105]
	v_fma_f64 v[106:107], -v[102:103], v[104:105], 1.0
	v_fma_f64 v[104:105], v[104:105], v[106:107], v[104:105]
	v_mul_f64 v[106:107], v[108:109], v[104:105]
	v_fma_f64 v[102:103], -v[102:103], v[106:107], v[108:109]
	v_div_fmas_f64 v[102:103], v[102:103], v[104:105], v[106:107]
	v_div_fixup_f64 v[119:120], v[102:103], v[100:101], 1.0
	v_mul_f64 v[117:118], v[98:99], v[119:120]
	v_xor_b32_e32 v120, 0x80000000, v120
.LBB90_154:
	s_andn2_saveexec_b64 s[18:19], s[18:19]
	s_cbranch_execz .LBB90_156
; %bb.155:
	v_div_scale_f64 v[98:99], s[20:21], v[117:118], v[117:118], v[119:120]
	v_rcp_f64_e32 v[100:101], v[98:99]
	v_fma_f64 v[102:103], -v[98:99], v[100:101], 1.0
	v_fma_f64 v[100:101], v[100:101], v[102:103], v[100:101]
	v_div_scale_f64 v[102:103], vcc, v[119:120], v[117:118], v[119:120]
	v_fma_f64 v[104:105], -v[98:99], v[100:101], 1.0
	v_fma_f64 v[100:101], v[100:101], v[104:105], v[100:101]
	v_mul_f64 v[104:105], v[102:103], v[100:101]
	v_fma_f64 v[98:99], -v[98:99], v[104:105], v[102:103]
	v_div_fmas_f64 v[98:99], v[98:99], v[100:101], v[104:105]
	v_div_fixup_f64 v[98:99], v[98:99], v[117:118], v[119:120]
	v_fma_f64 v[100:101], v[119:120], v[98:99], v[117:118]
	v_div_scale_f64 v[102:103], s[20:21], v[100:101], v[100:101], 1.0
	v_div_scale_f64 v[108:109], vcc, 1.0, v[100:101], 1.0
	v_rcp_f64_e32 v[104:105], v[102:103]
	v_fma_f64 v[106:107], -v[102:103], v[104:105], 1.0
	v_fma_f64 v[104:105], v[104:105], v[106:107], v[104:105]
	v_fma_f64 v[106:107], -v[102:103], v[104:105], 1.0
	v_fma_f64 v[104:105], v[104:105], v[106:107], v[104:105]
	v_mul_f64 v[106:107], v[108:109], v[104:105]
	v_fma_f64 v[102:103], -v[102:103], v[106:107], v[108:109]
	v_div_fmas_f64 v[102:103], v[102:103], v[104:105], v[106:107]
	v_div_fixup_f64 v[117:118], v[102:103], v[100:101], 1.0
	v_mul_f64 v[119:120], v[98:99], -v[117:118]
.LBB90_156:
	s_or_b64 exec, exec, s[18:19]
.LBB90_157:
	s_or_b64 exec, exec, s[0:1]
	v_cmp_ne_u32_e32 vcc, v96, v97
	s_and_saveexec_b64 s[0:1], vcc
	s_xor_b64 s[0:1], exec, s[0:1]
	s_cbranch_execz .LBB90_163
; %bb.158:
	v_cmp_eq_u32_e32 vcc, 7, v96
	s_and_saveexec_b64 s[18:19], vcc
	s_cbranch_execz .LBB90_162
; %bb.159:
	v_cmp_ne_u32_e32 vcc, 7, v97
	s_xor_b64 s[20:21], s[6:7], -1
	s_and_b64 s[22:23], s[20:21], vcc
	s_and_saveexec_b64 s[20:21], s[22:23]
	s_cbranch_execz .LBB90_161
; %bb.160:
	buffer_load_dword v85, off, s[24:27], 0 offset:304 ; 4-byte Folded Reload
	buffer_load_dword v86, off, s[24:27], 0 offset:308 ; 4-byte Folded Reload
	v_ashrrev_i32_e32 v98, 31, v97
	v_lshlrev_b64 v[98:99], 2, v[97:98]
	s_waitcnt vmcnt(1)
	v_add_co_u32_e32 v98, vcc, v85, v98
	s_waitcnt vmcnt(0)
	v_addc_co_u32_e32 v99, vcc, v86, v99, vcc
	global_load_dword v0, v[98:99], off
	global_load_dword v96, v[85:86], off offset:28
	s_waitcnt vmcnt(1)
	global_store_dword v[85:86], v0, off offset:28
	s_waitcnt vmcnt(1)
	global_store_dword v[98:99], v96, off
.LBB90_161:
	s_or_b64 exec, exec, s[20:21]
	v_mov_b32_e32 v96, v97
	v_mov_b32_e32 v0, v97
.LBB90_162:
	s_or_b64 exec, exec, s[18:19]
.LBB90_163:
	s_andn2_saveexec_b64 s[0:1], s[0:1]
	s_cbranch_execz .LBB90_165
; %bb.164:
	buffer_load_dword v85, off, s[24:27], 0 offset:208 ; 4-byte Folded Reload
	buffer_load_dword v86, off, s[24:27], 0 offset:212 ; 4-byte Folded Reload
	buffer_load_dword v87, off, s[24:27], 0 offset:216 ; 4-byte Folded Reload
	buffer_load_dword v88, off, s[24:27], 0 offset:220 ; 4-byte Folded Reload
	v_mov_b32_e32 v96, 7
	s_waitcnt vmcnt(0)
	ds_write2_b64 v94, v[85:86], v[87:88] offset0:16 offset1:17
	buffer_load_dword v85, off, s[24:27], 0 offset:192 ; 4-byte Folded Reload
	buffer_load_dword v86, off, s[24:27], 0 offset:196 ; 4-byte Folded Reload
	buffer_load_dword v87, off, s[24:27], 0 offset:200 ; 4-byte Folded Reload
	buffer_load_dword v88, off, s[24:27], 0 offset:204 ; 4-byte Folded Reload
	s_waitcnt vmcnt(0)
	ds_write2_b64 v94, v[85:86], v[87:88] offset0:18 offset1:19
	buffer_load_dword v85, off, s[24:27], 0 offset:176 ; 4-byte Folded Reload
	buffer_load_dword v86, off, s[24:27], 0 offset:180 ; 4-byte Folded Reload
	buffer_load_dword v87, off, s[24:27], 0 offset:184 ; 4-byte Folded Reload
	buffer_load_dword v88, off, s[24:27], 0 offset:188 ; 4-byte Folded Reload
	;; [unrolled: 6-line block ×12, first 2 shown]
	s_waitcnt vmcnt(0)
	ds_write2_b64 v94, v[85:86], v[87:88] offset0:40 offset1:41
	buffer_load_dword v85, off, s[24:27], 0 ; 4-byte Folded Reload
	buffer_load_dword v86, off, s[24:27], 0 offset:4 ; 4-byte Folded Reload
	buffer_load_dword v87, off, s[24:27], 0 offset:8 ; 4-byte Folded Reload
	;; [unrolled: 1-line block ×3, first 2 shown]
	s_waitcnt vmcnt(0)
	ds_write2_b64 v94, v[85:86], v[87:88] offset0:42 offset1:43
	ds_write2_b64 v94, v[111:112], v[113:114] offset0:44 offset1:45
	;; [unrolled: 1-line block ×25, first 2 shown]
.LBB90_165:
	s_or_b64 exec, exec, s[0:1]
	v_cmp_lt_i32_e32 vcc, 7, v96
	s_waitcnt vmcnt(0) lgkmcnt(0)
	s_barrier
	s_and_saveexec_b64 s[0:1], vcc
	s_cbranch_execz .LBB90_167
; %bb.166:
	buffer_load_dword v101, off, s[24:27], 0 offset:224 ; 4-byte Folded Reload
	buffer_load_dword v102, off, s[24:27], 0 offset:228 ; 4-byte Folded Reload
	;; [unrolled: 1-line block ×4, first 2 shown]
	s_waitcnt vmcnt(0)
	v_mul_f64 v[97:98], v[119:120], v[103:104]
	v_fma_f64 v[125:126], v[117:118], v[101:102], -v[97:98]
	v_mul_f64 v[97:98], v[117:118], v[103:104]
	v_fma_f64 v[103:104], v[119:120], v[101:102], v[97:98]
	ds_read2_b64 v[97:100], v94 offset0:16 offset1:17
	buffer_load_dword v85, off, s[24:27], 0 offset:208 ; 4-byte Folded Reload
	buffer_load_dword v86, off, s[24:27], 0 offset:212 ; 4-byte Folded Reload
	buffer_load_dword v87, off, s[24:27], 0 offset:216 ; 4-byte Folded Reload
	buffer_load_dword v88, off, s[24:27], 0 offset:220 ; 4-byte Folded Reload
	s_waitcnt lgkmcnt(0)
	v_mul_f64 v[101:102], v[99:100], v[103:104]
	v_fma_f64 v[101:102], v[97:98], v[125:126], -v[101:102]
	v_mul_f64 v[97:98], v[97:98], v[103:104]
	v_fma_f64 v[97:98], v[99:100], v[125:126], v[97:98]
	s_waitcnt vmcnt(2)
	v_add_f64 v[85:86], v[85:86], -v[101:102]
	s_waitcnt vmcnt(0)
	v_add_f64 v[87:88], v[87:88], -v[97:98]
	buffer_store_dword v85, off, s[24:27], 0 offset:208 ; 4-byte Folded Spill
	s_nop 0
	buffer_store_dword v86, off, s[24:27], 0 offset:212 ; 4-byte Folded Spill
	buffer_store_dword v87, off, s[24:27], 0 offset:216 ; 4-byte Folded Spill
	buffer_store_dword v88, off, s[24:27], 0 offset:220 ; 4-byte Folded Spill
	ds_read2_b64 v[97:100], v94 offset0:18 offset1:19
	buffer_load_dword v85, off, s[24:27], 0 offset:192 ; 4-byte Folded Reload
	buffer_load_dword v86, off, s[24:27], 0 offset:196 ; 4-byte Folded Reload
	buffer_load_dword v87, off, s[24:27], 0 offset:200 ; 4-byte Folded Reload
	buffer_load_dword v88, off, s[24:27], 0 offset:204 ; 4-byte Folded Reload
	s_waitcnt lgkmcnt(0)
	v_mul_f64 v[101:102], v[99:100], v[103:104]
	v_fma_f64 v[101:102], v[97:98], v[125:126], -v[101:102]
	v_mul_f64 v[97:98], v[97:98], v[103:104]
	v_fma_f64 v[97:98], v[99:100], v[125:126], v[97:98]
	s_waitcnt vmcnt(2)
	v_add_f64 v[85:86], v[85:86], -v[101:102]
	s_waitcnt vmcnt(0)
	v_add_f64 v[87:88], v[87:88], -v[97:98]
	buffer_store_dword v85, off, s[24:27], 0 offset:192 ; 4-byte Folded Spill
	s_nop 0
	buffer_store_dword v86, off, s[24:27], 0 offset:196 ; 4-byte Folded Spill
	buffer_store_dword v87, off, s[24:27], 0 offset:200 ; 4-byte Folded Spill
	buffer_store_dword v88, off, s[24:27], 0 offset:204 ; 4-byte Folded Spill
	;; [unrolled: 19-line block ×13, first 2 shown]
	ds_read2_b64 v[97:100], v94 offset0:42 offset1:43
	buffer_load_dword v85, off, s[24:27], 0 ; 4-byte Folded Reload
	buffer_load_dword v86, off, s[24:27], 0 offset:4 ; 4-byte Folded Reload
	buffer_load_dword v87, off, s[24:27], 0 offset:8 ; 4-byte Folded Reload
	;; [unrolled: 1-line block ×3, first 2 shown]
	s_waitcnt lgkmcnt(0)
	v_mul_f64 v[101:102], v[99:100], v[103:104]
	v_fma_f64 v[101:102], v[97:98], v[125:126], -v[101:102]
	v_mul_f64 v[97:98], v[97:98], v[103:104]
	v_fma_f64 v[97:98], v[99:100], v[125:126], v[97:98]
	s_waitcnt vmcnt(2)
	v_add_f64 v[85:86], v[85:86], -v[101:102]
	s_waitcnt vmcnt(0)
	v_add_f64 v[87:88], v[87:88], -v[97:98]
	buffer_store_dword v85, off, s[24:27], 0 ; 4-byte Folded Spill
	s_nop 0
	buffer_store_dword v86, off, s[24:27], 0 offset:4 ; 4-byte Folded Spill
	buffer_store_dword v87, off, s[24:27], 0 offset:8 ; 4-byte Folded Spill
	;; [unrolled: 1-line block ×3, first 2 shown]
	ds_read2_b64 v[97:100], v94 offset0:44 offset1:45
	s_waitcnt lgkmcnt(0)
	v_mul_f64 v[101:102], v[99:100], v[103:104]
	v_fma_f64 v[101:102], v[97:98], v[125:126], -v[101:102]
	v_mul_f64 v[97:98], v[97:98], v[103:104]
	v_add_f64 v[111:112], v[111:112], -v[101:102]
	v_fma_f64 v[97:98], v[99:100], v[125:126], v[97:98]
	v_add_f64 v[113:114], v[113:114], -v[97:98]
	ds_read2_b64 v[97:100], v94 offset0:46 offset1:47
	s_waitcnt lgkmcnt(0)
	v_mul_f64 v[101:102], v[99:100], v[103:104]
	v_fma_f64 v[101:102], v[97:98], v[125:126], -v[101:102]
	v_mul_f64 v[97:98], v[97:98], v[103:104]
	v_add_f64 v[89:90], v[89:90], -v[101:102]
	v_fma_f64 v[97:98], v[99:100], v[125:126], v[97:98]
	v_add_f64 v[91:92], v[91:92], -v[97:98]
	;; [unrolled: 8-line block ×23, first 2 shown]
	ds_read2_b64 v[97:100], v94 offset0:90 offset1:91
	s_waitcnt lgkmcnt(0)
	v_mul_f64 v[101:102], v[99:100], v[103:104]
	v_fma_f64 v[101:102], v[97:98], v[125:126], -v[101:102]
	v_mul_f64 v[97:98], v[97:98], v[103:104]
	v_add_f64 v[121:122], v[121:122], -v[101:102]
	v_fma_f64 v[97:98], v[99:100], v[125:126], v[97:98]
	v_mov_b32_e32 v101, v125
	v_mov_b32_e32 v102, v126
	buffer_store_dword v101, off, s[24:27], 0 offset:224 ; 4-byte Folded Spill
	s_nop 0
	buffer_store_dword v102, off, s[24:27], 0 offset:228 ; 4-byte Folded Spill
	buffer_store_dword v103, off, s[24:27], 0 offset:232 ; 4-byte Folded Spill
	;; [unrolled: 1-line block ×3, first 2 shown]
	v_add_f64 v[123:124], v[123:124], -v[97:98]
.LBB90_167:
	s_or_b64 exec, exec, s[0:1]
	s_waitcnt vmcnt(0)
	s_barrier
	buffer_load_dword v85, off, s[24:27], 0 offset:208 ; 4-byte Folded Reload
	buffer_load_dword v86, off, s[24:27], 0 offset:212 ; 4-byte Folded Reload
	;; [unrolled: 1-line block ×4, first 2 shown]
	v_lshl_add_u32 v97, v96, 4, v94
	s_cmp_lt_i32 s3, 10
	s_waitcnt vmcnt(0)
	ds_write2_b64 v97, v[85:86], v[87:88] offset1:1
	s_waitcnt lgkmcnt(0)
	s_barrier
	ds_read2_b64 v[117:120], v94 offset0:16 offset1:17
	v_mov_b32_e32 v97, 8
	s_cbranch_scc1 .LBB90_170
; %bb.168:
	v_add_u32_e32 v98, 0x90, v94
	s_mov_b32 s0, 9
	v_mov_b32_e32 v97, 8
.LBB90_169:                             ; =>This Inner Loop Header: Depth=1
	s_waitcnt lgkmcnt(0)
	v_cmp_gt_f64_e32 vcc, 0, v[117:118]
	v_xor_b32_e32 v103, 0x80000000, v118
	ds_read2_b64 v[99:102], v98 offset1:1
	v_xor_b32_e32 v105, 0x80000000, v120
	v_add_u32_e32 v98, 16, v98
	s_waitcnt lgkmcnt(0)
	v_xor_b32_e32 v107, 0x80000000, v102
	v_cndmask_b32_e32 v104, v118, v103, vcc
	v_cmp_gt_f64_e32 vcc, 0, v[119:120]
	v_mov_b32_e32 v103, v117
	v_cndmask_b32_e32 v106, v120, v105, vcc
	v_cmp_gt_f64_e32 vcc, 0, v[99:100]
	v_mov_b32_e32 v105, v119
	v_add_f64 v[103:104], v[103:104], v[105:106]
	v_xor_b32_e32 v105, 0x80000000, v100
	v_cndmask_b32_e32 v106, v100, v105, vcc
	v_cmp_gt_f64_e32 vcc, 0, v[101:102]
	v_mov_b32_e32 v105, v99
	v_cndmask_b32_e32 v108, v102, v107, vcc
	v_mov_b32_e32 v107, v101
	v_add_f64 v[105:106], v[105:106], v[107:108]
	v_cmp_lt_f64_e32 vcc, v[103:104], v[105:106]
	v_cndmask_b32_e32 v117, v117, v99, vcc
	v_mov_b32_e32 v99, s0
	s_add_i32 s0, s0, 1
	v_cndmask_b32_e32 v118, v118, v100, vcc
	v_cndmask_b32_e32 v120, v120, v102, vcc
	;; [unrolled: 1-line block ×4, first 2 shown]
	s_cmp_lg_u32 s3, s0
	s_cbranch_scc1 .LBB90_169
.LBB90_170:
	s_waitcnt lgkmcnt(0)
	v_cmp_eq_f64_e32 vcc, 0, v[117:118]
	v_cmp_eq_f64_e64 s[0:1], 0, v[119:120]
	s_and_b64 s[0:1], vcc, s[0:1]
	s_and_saveexec_b64 s[18:19], s[0:1]
	s_xor_b64 s[0:1], exec, s[18:19]
; %bb.171:
	v_cmp_ne_u32_e32 vcc, 0, v95
	v_cndmask_b32_e32 v95, 9, v95, vcc
; %bb.172:
	s_andn2_saveexec_b64 s[0:1], s[0:1]
	s_cbranch_execz .LBB90_178
; %bb.173:
	v_cmp_ngt_f64_e64 s[18:19], |v[117:118]|, |v[119:120]|
	s_and_saveexec_b64 s[20:21], s[18:19]
	s_xor_b64 s[18:19], exec, s[20:21]
	s_cbranch_execz .LBB90_175
; %bb.174:
	v_div_scale_f64 v[98:99], s[20:21], v[119:120], v[119:120], v[117:118]
	v_rcp_f64_e32 v[100:101], v[98:99]
	v_fma_f64 v[102:103], -v[98:99], v[100:101], 1.0
	v_fma_f64 v[100:101], v[100:101], v[102:103], v[100:101]
	v_div_scale_f64 v[102:103], vcc, v[117:118], v[119:120], v[117:118]
	v_fma_f64 v[104:105], -v[98:99], v[100:101], 1.0
	v_fma_f64 v[100:101], v[100:101], v[104:105], v[100:101]
	v_mul_f64 v[104:105], v[102:103], v[100:101]
	v_fma_f64 v[98:99], -v[98:99], v[104:105], v[102:103]
	v_div_fmas_f64 v[98:99], v[98:99], v[100:101], v[104:105]
	v_div_fixup_f64 v[98:99], v[98:99], v[119:120], v[117:118]
	v_fma_f64 v[100:101], v[117:118], v[98:99], v[119:120]
	v_div_scale_f64 v[102:103], s[20:21], v[100:101], v[100:101], 1.0
	v_div_scale_f64 v[108:109], vcc, 1.0, v[100:101], 1.0
	v_rcp_f64_e32 v[104:105], v[102:103]
	v_fma_f64 v[106:107], -v[102:103], v[104:105], 1.0
	v_fma_f64 v[104:105], v[104:105], v[106:107], v[104:105]
	v_fma_f64 v[106:107], -v[102:103], v[104:105], 1.0
	v_fma_f64 v[104:105], v[104:105], v[106:107], v[104:105]
	v_mul_f64 v[106:107], v[108:109], v[104:105]
	v_fma_f64 v[102:103], -v[102:103], v[106:107], v[108:109]
	v_div_fmas_f64 v[102:103], v[102:103], v[104:105], v[106:107]
	v_div_fixup_f64 v[119:120], v[102:103], v[100:101], 1.0
	v_mul_f64 v[117:118], v[98:99], v[119:120]
	v_xor_b32_e32 v120, 0x80000000, v120
.LBB90_175:
	s_andn2_saveexec_b64 s[18:19], s[18:19]
	s_cbranch_execz .LBB90_177
; %bb.176:
	v_div_scale_f64 v[98:99], s[20:21], v[117:118], v[117:118], v[119:120]
	v_rcp_f64_e32 v[100:101], v[98:99]
	v_fma_f64 v[102:103], -v[98:99], v[100:101], 1.0
	v_fma_f64 v[100:101], v[100:101], v[102:103], v[100:101]
	v_div_scale_f64 v[102:103], vcc, v[119:120], v[117:118], v[119:120]
	v_fma_f64 v[104:105], -v[98:99], v[100:101], 1.0
	v_fma_f64 v[100:101], v[100:101], v[104:105], v[100:101]
	v_mul_f64 v[104:105], v[102:103], v[100:101]
	v_fma_f64 v[98:99], -v[98:99], v[104:105], v[102:103]
	v_div_fmas_f64 v[98:99], v[98:99], v[100:101], v[104:105]
	v_div_fixup_f64 v[98:99], v[98:99], v[117:118], v[119:120]
	v_fma_f64 v[100:101], v[119:120], v[98:99], v[117:118]
	v_div_scale_f64 v[102:103], s[20:21], v[100:101], v[100:101], 1.0
	v_div_scale_f64 v[108:109], vcc, 1.0, v[100:101], 1.0
	v_rcp_f64_e32 v[104:105], v[102:103]
	v_fma_f64 v[106:107], -v[102:103], v[104:105], 1.0
	v_fma_f64 v[104:105], v[104:105], v[106:107], v[104:105]
	v_fma_f64 v[106:107], -v[102:103], v[104:105], 1.0
	v_fma_f64 v[104:105], v[104:105], v[106:107], v[104:105]
	v_mul_f64 v[106:107], v[108:109], v[104:105]
	v_fma_f64 v[102:103], -v[102:103], v[106:107], v[108:109]
	v_div_fmas_f64 v[102:103], v[102:103], v[104:105], v[106:107]
	v_div_fixup_f64 v[117:118], v[102:103], v[100:101], 1.0
	v_mul_f64 v[119:120], v[98:99], -v[117:118]
.LBB90_177:
	s_or_b64 exec, exec, s[18:19]
.LBB90_178:
	s_or_b64 exec, exec, s[0:1]
	v_cmp_ne_u32_e32 vcc, v96, v97
	s_and_saveexec_b64 s[0:1], vcc
	s_xor_b64 s[0:1], exec, s[0:1]
	s_cbranch_execz .LBB90_184
; %bb.179:
	v_cmp_eq_u32_e32 vcc, 8, v96
	s_and_saveexec_b64 s[18:19], vcc
	s_cbranch_execz .LBB90_183
; %bb.180:
	v_cmp_ne_u32_e32 vcc, 8, v97
	s_xor_b64 s[20:21], s[6:7], -1
	s_and_b64 s[22:23], s[20:21], vcc
	s_and_saveexec_b64 s[20:21], s[22:23]
	s_cbranch_execz .LBB90_182
; %bb.181:
	buffer_load_dword v85, off, s[24:27], 0 offset:304 ; 4-byte Folded Reload
	buffer_load_dword v86, off, s[24:27], 0 offset:308 ; 4-byte Folded Reload
	v_ashrrev_i32_e32 v98, 31, v97
	v_lshlrev_b64 v[98:99], 2, v[97:98]
	s_waitcnt vmcnt(1)
	v_add_co_u32_e32 v98, vcc, v85, v98
	s_waitcnt vmcnt(0)
	v_addc_co_u32_e32 v99, vcc, v86, v99, vcc
	global_load_dword v0, v[98:99], off
	global_load_dword v96, v[85:86], off offset:32
	s_waitcnt vmcnt(1)
	global_store_dword v[85:86], v0, off offset:32
	s_waitcnt vmcnt(1)
	global_store_dword v[98:99], v96, off
.LBB90_182:
	s_or_b64 exec, exec, s[20:21]
	v_mov_b32_e32 v96, v97
	v_mov_b32_e32 v0, v97
.LBB90_183:
	s_or_b64 exec, exec, s[18:19]
.LBB90_184:
	s_andn2_saveexec_b64 s[0:1], s[0:1]
	s_cbranch_execz .LBB90_186
; %bb.185:
	buffer_load_dword v85, off, s[24:27], 0 offset:192 ; 4-byte Folded Reload
	buffer_load_dword v86, off, s[24:27], 0 offset:196 ; 4-byte Folded Reload
	buffer_load_dword v87, off, s[24:27], 0 offset:200 ; 4-byte Folded Reload
	buffer_load_dword v88, off, s[24:27], 0 offset:204 ; 4-byte Folded Reload
	v_mov_b32_e32 v96, 8
	s_waitcnt vmcnt(0)
	ds_write2_b64 v94, v[85:86], v[87:88] offset0:18 offset1:19
	buffer_load_dword v85, off, s[24:27], 0 offset:176 ; 4-byte Folded Reload
	buffer_load_dword v86, off, s[24:27], 0 offset:180 ; 4-byte Folded Reload
	buffer_load_dword v87, off, s[24:27], 0 offset:184 ; 4-byte Folded Reload
	buffer_load_dword v88, off, s[24:27], 0 offset:188 ; 4-byte Folded Reload
	s_waitcnt vmcnt(0)
	ds_write2_b64 v94, v[85:86], v[87:88] offset0:20 offset1:21
	buffer_load_dword v85, off, s[24:27], 0 offset:160 ; 4-byte Folded Reload
	buffer_load_dword v86, off, s[24:27], 0 offset:164 ; 4-byte Folded Reload
	buffer_load_dword v87, off, s[24:27], 0 offset:168 ; 4-byte Folded Reload
	buffer_load_dword v88, off, s[24:27], 0 offset:172 ; 4-byte Folded Reload
	;; [unrolled: 6-line block ×11, first 2 shown]
	s_waitcnt vmcnt(0)
	ds_write2_b64 v94, v[85:86], v[87:88] offset0:40 offset1:41
	buffer_load_dword v85, off, s[24:27], 0 ; 4-byte Folded Reload
	buffer_load_dword v86, off, s[24:27], 0 offset:4 ; 4-byte Folded Reload
	buffer_load_dword v87, off, s[24:27], 0 offset:8 ; 4-byte Folded Reload
	;; [unrolled: 1-line block ×3, first 2 shown]
	s_waitcnt vmcnt(0)
	ds_write2_b64 v94, v[85:86], v[87:88] offset0:42 offset1:43
	ds_write2_b64 v94, v[111:112], v[113:114] offset0:44 offset1:45
	;; [unrolled: 1-line block ×25, first 2 shown]
.LBB90_186:
	s_or_b64 exec, exec, s[0:1]
	v_cmp_lt_i32_e32 vcc, 8, v96
	s_waitcnt vmcnt(0) lgkmcnt(0)
	s_barrier
	s_and_saveexec_b64 s[0:1], vcc
	s_cbranch_execz .LBB90_188
; %bb.187:
	buffer_load_dword v101, off, s[24:27], 0 offset:208 ; 4-byte Folded Reload
	buffer_load_dword v102, off, s[24:27], 0 offset:212 ; 4-byte Folded Reload
	;; [unrolled: 1-line block ×4, first 2 shown]
	s_waitcnt vmcnt(0)
	v_mul_f64 v[97:98], v[119:120], v[103:104]
	v_fma_f64 v[125:126], v[117:118], v[101:102], -v[97:98]
	v_mul_f64 v[97:98], v[117:118], v[103:104]
	v_fma_f64 v[103:104], v[119:120], v[101:102], v[97:98]
	ds_read2_b64 v[97:100], v94 offset0:18 offset1:19
	buffer_load_dword v85, off, s[24:27], 0 offset:192 ; 4-byte Folded Reload
	buffer_load_dword v86, off, s[24:27], 0 offset:196 ; 4-byte Folded Reload
	buffer_load_dword v87, off, s[24:27], 0 offset:200 ; 4-byte Folded Reload
	buffer_load_dword v88, off, s[24:27], 0 offset:204 ; 4-byte Folded Reload
	s_waitcnt lgkmcnt(0)
	v_mul_f64 v[101:102], v[99:100], v[103:104]
	v_fma_f64 v[101:102], v[97:98], v[125:126], -v[101:102]
	v_mul_f64 v[97:98], v[97:98], v[103:104]
	v_fma_f64 v[97:98], v[99:100], v[125:126], v[97:98]
	s_waitcnt vmcnt(2)
	v_add_f64 v[85:86], v[85:86], -v[101:102]
	s_waitcnt vmcnt(0)
	v_add_f64 v[87:88], v[87:88], -v[97:98]
	buffer_store_dword v85, off, s[24:27], 0 offset:192 ; 4-byte Folded Spill
	s_nop 0
	buffer_store_dword v86, off, s[24:27], 0 offset:196 ; 4-byte Folded Spill
	buffer_store_dword v87, off, s[24:27], 0 offset:200 ; 4-byte Folded Spill
	buffer_store_dword v88, off, s[24:27], 0 offset:204 ; 4-byte Folded Spill
	ds_read2_b64 v[97:100], v94 offset0:20 offset1:21
	buffer_load_dword v85, off, s[24:27], 0 offset:176 ; 4-byte Folded Reload
	buffer_load_dword v86, off, s[24:27], 0 offset:180 ; 4-byte Folded Reload
	buffer_load_dword v87, off, s[24:27], 0 offset:184 ; 4-byte Folded Reload
	buffer_load_dword v88, off, s[24:27], 0 offset:188 ; 4-byte Folded Reload
	s_waitcnt lgkmcnt(0)
	v_mul_f64 v[101:102], v[99:100], v[103:104]
	v_fma_f64 v[101:102], v[97:98], v[125:126], -v[101:102]
	v_mul_f64 v[97:98], v[97:98], v[103:104]
	v_fma_f64 v[97:98], v[99:100], v[125:126], v[97:98]
	s_waitcnt vmcnt(2)
	v_add_f64 v[85:86], v[85:86], -v[101:102]
	s_waitcnt vmcnt(0)
	v_add_f64 v[87:88], v[87:88], -v[97:98]
	buffer_store_dword v85, off, s[24:27], 0 offset:176 ; 4-byte Folded Spill
	s_nop 0
	buffer_store_dword v86, off, s[24:27], 0 offset:180 ; 4-byte Folded Spill
	buffer_store_dword v87, off, s[24:27], 0 offset:184 ; 4-byte Folded Spill
	buffer_store_dword v88, off, s[24:27], 0 offset:188 ; 4-byte Folded Spill
	;; [unrolled: 19-line block ×12, first 2 shown]
	ds_read2_b64 v[97:100], v94 offset0:42 offset1:43
	buffer_load_dword v85, off, s[24:27], 0 ; 4-byte Folded Reload
	buffer_load_dword v86, off, s[24:27], 0 offset:4 ; 4-byte Folded Reload
	buffer_load_dword v87, off, s[24:27], 0 offset:8 ; 4-byte Folded Reload
	;; [unrolled: 1-line block ×3, first 2 shown]
	s_waitcnt lgkmcnt(0)
	v_mul_f64 v[101:102], v[99:100], v[103:104]
	v_fma_f64 v[101:102], v[97:98], v[125:126], -v[101:102]
	v_mul_f64 v[97:98], v[97:98], v[103:104]
	v_fma_f64 v[97:98], v[99:100], v[125:126], v[97:98]
	s_waitcnt vmcnt(2)
	v_add_f64 v[85:86], v[85:86], -v[101:102]
	s_waitcnt vmcnt(0)
	v_add_f64 v[87:88], v[87:88], -v[97:98]
	buffer_store_dword v85, off, s[24:27], 0 ; 4-byte Folded Spill
	s_nop 0
	buffer_store_dword v86, off, s[24:27], 0 offset:4 ; 4-byte Folded Spill
	buffer_store_dword v87, off, s[24:27], 0 offset:8 ; 4-byte Folded Spill
	;; [unrolled: 1-line block ×3, first 2 shown]
	ds_read2_b64 v[97:100], v94 offset0:44 offset1:45
	s_waitcnt lgkmcnt(0)
	v_mul_f64 v[101:102], v[99:100], v[103:104]
	v_fma_f64 v[101:102], v[97:98], v[125:126], -v[101:102]
	v_mul_f64 v[97:98], v[97:98], v[103:104]
	v_add_f64 v[111:112], v[111:112], -v[101:102]
	v_fma_f64 v[97:98], v[99:100], v[125:126], v[97:98]
	v_add_f64 v[113:114], v[113:114], -v[97:98]
	ds_read2_b64 v[97:100], v94 offset0:46 offset1:47
	s_waitcnt lgkmcnt(0)
	v_mul_f64 v[101:102], v[99:100], v[103:104]
	v_fma_f64 v[101:102], v[97:98], v[125:126], -v[101:102]
	v_mul_f64 v[97:98], v[97:98], v[103:104]
	v_add_f64 v[89:90], v[89:90], -v[101:102]
	v_fma_f64 v[97:98], v[99:100], v[125:126], v[97:98]
	v_add_f64 v[91:92], v[91:92], -v[97:98]
	;; [unrolled: 8-line block ×23, first 2 shown]
	ds_read2_b64 v[97:100], v94 offset0:90 offset1:91
	s_waitcnt lgkmcnt(0)
	v_mul_f64 v[101:102], v[99:100], v[103:104]
	v_fma_f64 v[101:102], v[97:98], v[125:126], -v[101:102]
	v_mul_f64 v[97:98], v[97:98], v[103:104]
	v_add_f64 v[121:122], v[121:122], -v[101:102]
	v_fma_f64 v[97:98], v[99:100], v[125:126], v[97:98]
	v_mov_b32_e32 v101, v125
	v_mov_b32_e32 v102, v126
	buffer_store_dword v101, off, s[24:27], 0 offset:208 ; 4-byte Folded Spill
	s_nop 0
	buffer_store_dword v102, off, s[24:27], 0 offset:212 ; 4-byte Folded Spill
	buffer_store_dword v103, off, s[24:27], 0 offset:216 ; 4-byte Folded Spill
	;; [unrolled: 1-line block ×3, first 2 shown]
	v_add_f64 v[123:124], v[123:124], -v[97:98]
.LBB90_188:
	s_or_b64 exec, exec, s[0:1]
	s_waitcnt vmcnt(0)
	s_barrier
	buffer_load_dword v85, off, s[24:27], 0 offset:192 ; 4-byte Folded Reload
	buffer_load_dword v86, off, s[24:27], 0 offset:196 ; 4-byte Folded Reload
	;; [unrolled: 1-line block ×4, first 2 shown]
	v_lshl_add_u32 v97, v96, 4, v94
	s_cmp_lt_i32 s3, 11
	s_waitcnt vmcnt(0)
	ds_write2_b64 v97, v[85:86], v[87:88] offset1:1
	s_waitcnt lgkmcnt(0)
	s_barrier
	ds_read2_b64 v[117:120], v94 offset0:18 offset1:19
	v_mov_b32_e32 v97, 9
	s_cbranch_scc1 .LBB90_191
; %bb.189:
	v_add_u32_e32 v98, 0xa0, v94
	s_mov_b32 s0, 10
	v_mov_b32_e32 v97, 9
.LBB90_190:                             ; =>This Inner Loop Header: Depth=1
	s_waitcnt lgkmcnt(0)
	v_cmp_gt_f64_e32 vcc, 0, v[117:118]
	v_xor_b32_e32 v103, 0x80000000, v118
	ds_read2_b64 v[99:102], v98 offset1:1
	v_xor_b32_e32 v105, 0x80000000, v120
	v_add_u32_e32 v98, 16, v98
	s_waitcnt lgkmcnt(0)
	v_xor_b32_e32 v107, 0x80000000, v102
	v_cndmask_b32_e32 v104, v118, v103, vcc
	v_cmp_gt_f64_e32 vcc, 0, v[119:120]
	v_mov_b32_e32 v103, v117
	v_cndmask_b32_e32 v106, v120, v105, vcc
	v_cmp_gt_f64_e32 vcc, 0, v[99:100]
	v_mov_b32_e32 v105, v119
	v_add_f64 v[103:104], v[103:104], v[105:106]
	v_xor_b32_e32 v105, 0x80000000, v100
	v_cndmask_b32_e32 v106, v100, v105, vcc
	v_cmp_gt_f64_e32 vcc, 0, v[101:102]
	v_mov_b32_e32 v105, v99
	v_cndmask_b32_e32 v108, v102, v107, vcc
	v_mov_b32_e32 v107, v101
	v_add_f64 v[105:106], v[105:106], v[107:108]
	v_cmp_lt_f64_e32 vcc, v[103:104], v[105:106]
	v_cndmask_b32_e32 v117, v117, v99, vcc
	v_mov_b32_e32 v99, s0
	s_add_i32 s0, s0, 1
	v_cndmask_b32_e32 v118, v118, v100, vcc
	v_cndmask_b32_e32 v120, v120, v102, vcc
	;; [unrolled: 1-line block ×4, first 2 shown]
	s_cmp_lg_u32 s3, s0
	s_cbranch_scc1 .LBB90_190
.LBB90_191:
	s_waitcnt lgkmcnt(0)
	v_cmp_eq_f64_e32 vcc, 0, v[117:118]
	v_cmp_eq_f64_e64 s[0:1], 0, v[119:120]
	s_and_b64 s[0:1], vcc, s[0:1]
	s_and_saveexec_b64 s[18:19], s[0:1]
	s_xor_b64 s[0:1], exec, s[18:19]
; %bb.192:
	v_cmp_ne_u32_e32 vcc, 0, v95
	v_cndmask_b32_e32 v95, 10, v95, vcc
; %bb.193:
	s_andn2_saveexec_b64 s[0:1], s[0:1]
	s_cbranch_execz .LBB90_199
; %bb.194:
	v_cmp_ngt_f64_e64 s[18:19], |v[117:118]|, |v[119:120]|
	s_and_saveexec_b64 s[20:21], s[18:19]
	s_xor_b64 s[18:19], exec, s[20:21]
	s_cbranch_execz .LBB90_196
; %bb.195:
	v_div_scale_f64 v[98:99], s[20:21], v[119:120], v[119:120], v[117:118]
	v_rcp_f64_e32 v[100:101], v[98:99]
	v_fma_f64 v[102:103], -v[98:99], v[100:101], 1.0
	v_fma_f64 v[100:101], v[100:101], v[102:103], v[100:101]
	v_div_scale_f64 v[102:103], vcc, v[117:118], v[119:120], v[117:118]
	v_fma_f64 v[104:105], -v[98:99], v[100:101], 1.0
	v_fma_f64 v[100:101], v[100:101], v[104:105], v[100:101]
	v_mul_f64 v[104:105], v[102:103], v[100:101]
	v_fma_f64 v[98:99], -v[98:99], v[104:105], v[102:103]
	v_div_fmas_f64 v[98:99], v[98:99], v[100:101], v[104:105]
	v_div_fixup_f64 v[98:99], v[98:99], v[119:120], v[117:118]
	v_fma_f64 v[100:101], v[117:118], v[98:99], v[119:120]
	v_div_scale_f64 v[102:103], s[20:21], v[100:101], v[100:101], 1.0
	v_div_scale_f64 v[108:109], vcc, 1.0, v[100:101], 1.0
	v_rcp_f64_e32 v[104:105], v[102:103]
	v_fma_f64 v[106:107], -v[102:103], v[104:105], 1.0
	v_fma_f64 v[104:105], v[104:105], v[106:107], v[104:105]
	v_fma_f64 v[106:107], -v[102:103], v[104:105], 1.0
	v_fma_f64 v[104:105], v[104:105], v[106:107], v[104:105]
	v_mul_f64 v[106:107], v[108:109], v[104:105]
	v_fma_f64 v[102:103], -v[102:103], v[106:107], v[108:109]
	v_div_fmas_f64 v[102:103], v[102:103], v[104:105], v[106:107]
	v_div_fixup_f64 v[119:120], v[102:103], v[100:101], 1.0
	v_mul_f64 v[117:118], v[98:99], v[119:120]
	v_xor_b32_e32 v120, 0x80000000, v120
.LBB90_196:
	s_andn2_saveexec_b64 s[18:19], s[18:19]
	s_cbranch_execz .LBB90_198
; %bb.197:
	v_div_scale_f64 v[98:99], s[20:21], v[117:118], v[117:118], v[119:120]
	v_rcp_f64_e32 v[100:101], v[98:99]
	v_fma_f64 v[102:103], -v[98:99], v[100:101], 1.0
	v_fma_f64 v[100:101], v[100:101], v[102:103], v[100:101]
	v_div_scale_f64 v[102:103], vcc, v[119:120], v[117:118], v[119:120]
	v_fma_f64 v[104:105], -v[98:99], v[100:101], 1.0
	v_fma_f64 v[100:101], v[100:101], v[104:105], v[100:101]
	v_mul_f64 v[104:105], v[102:103], v[100:101]
	v_fma_f64 v[98:99], -v[98:99], v[104:105], v[102:103]
	v_div_fmas_f64 v[98:99], v[98:99], v[100:101], v[104:105]
	v_div_fixup_f64 v[98:99], v[98:99], v[117:118], v[119:120]
	v_fma_f64 v[100:101], v[119:120], v[98:99], v[117:118]
	v_div_scale_f64 v[102:103], s[20:21], v[100:101], v[100:101], 1.0
	v_div_scale_f64 v[108:109], vcc, 1.0, v[100:101], 1.0
	v_rcp_f64_e32 v[104:105], v[102:103]
	v_fma_f64 v[106:107], -v[102:103], v[104:105], 1.0
	v_fma_f64 v[104:105], v[104:105], v[106:107], v[104:105]
	v_fma_f64 v[106:107], -v[102:103], v[104:105], 1.0
	v_fma_f64 v[104:105], v[104:105], v[106:107], v[104:105]
	v_mul_f64 v[106:107], v[108:109], v[104:105]
	v_fma_f64 v[102:103], -v[102:103], v[106:107], v[108:109]
	v_div_fmas_f64 v[102:103], v[102:103], v[104:105], v[106:107]
	v_div_fixup_f64 v[117:118], v[102:103], v[100:101], 1.0
	v_mul_f64 v[119:120], v[98:99], -v[117:118]
.LBB90_198:
	s_or_b64 exec, exec, s[18:19]
.LBB90_199:
	s_or_b64 exec, exec, s[0:1]
	v_cmp_ne_u32_e32 vcc, v96, v97
	s_and_saveexec_b64 s[0:1], vcc
	s_xor_b64 s[0:1], exec, s[0:1]
	s_cbranch_execz .LBB90_205
; %bb.200:
	v_cmp_eq_u32_e32 vcc, 9, v96
	s_and_saveexec_b64 s[18:19], vcc
	s_cbranch_execz .LBB90_204
; %bb.201:
	v_cmp_ne_u32_e32 vcc, 9, v97
	s_xor_b64 s[20:21], s[6:7], -1
	s_and_b64 s[22:23], s[20:21], vcc
	s_and_saveexec_b64 s[20:21], s[22:23]
	s_cbranch_execz .LBB90_203
; %bb.202:
	buffer_load_dword v85, off, s[24:27], 0 offset:304 ; 4-byte Folded Reload
	buffer_load_dword v86, off, s[24:27], 0 offset:308 ; 4-byte Folded Reload
	v_ashrrev_i32_e32 v98, 31, v97
	v_lshlrev_b64 v[98:99], 2, v[97:98]
	s_waitcnt vmcnt(1)
	v_add_co_u32_e32 v98, vcc, v85, v98
	s_waitcnt vmcnt(0)
	v_addc_co_u32_e32 v99, vcc, v86, v99, vcc
	global_load_dword v0, v[98:99], off
	global_load_dword v96, v[85:86], off offset:36
	s_waitcnt vmcnt(1)
	global_store_dword v[85:86], v0, off offset:36
	s_waitcnt vmcnt(1)
	global_store_dword v[98:99], v96, off
.LBB90_203:
	s_or_b64 exec, exec, s[20:21]
	v_mov_b32_e32 v96, v97
	v_mov_b32_e32 v0, v97
.LBB90_204:
	s_or_b64 exec, exec, s[18:19]
.LBB90_205:
	s_andn2_saveexec_b64 s[0:1], s[0:1]
	s_cbranch_execz .LBB90_207
; %bb.206:
	buffer_load_dword v85, off, s[24:27], 0 offset:176 ; 4-byte Folded Reload
	buffer_load_dword v86, off, s[24:27], 0 offset:180 ; 4-byte Folded Reload
	;; [unrolled: 1-line block ×4, first 2 shown]
	v_mov_b32_e32 v96, 9
	s_waitcnt vmcnt(0)
	ds_write2_b64 v94, v[85:86], v[87:88] offset0:20 offset1:21
	buffer_load_dword v85, off, s[24:27], 0 offset:160 ; 4-byte Folded Reload
	buffer_load_dword v86, off, s[24:27], 0 offset:164 ; 4-byte Folded Reload
	buffer_load_dword v87, off, s[24:27], 0 offset:168 ; 4-byte Folded Reload
	buffer_load_dword v88, off, s[24:27], 0 offset:172 ; 4-byte Folded Reload
	s_waitcnt vmcnt(0)
	ds_write2_b64 v94, v[85:86], v[87:88] offset0:22 offset1:23
	buffer_load_dword v85, off, s[24:27], 0 offset:144 ; 4-byte Folded Reload
	buffer_load_dword v86, off, s[24:27], 0 offset:148 ; 4-byte Folded Reload
	buffer_load_dword v87, off, s[24:27], 0 offset:152 ; 4-byte Folded Reload
	buffer_load_dword v88, off, s[24:27], 0 offset:156 ; 4-byte Folded Reload
	;; [unrolled: 6-line block ×10, first 2 shown]
	s_waitcnt vmcnt(0)
	ds_write2_b64 v94, v[85:86], v[87:88] offset0:40 offset1:41
	buffer_load_dword v85, off, s[24:27], 0 ; 4-byte Folded Reload
	buffer_load_dword v86, off, s[24:27], 0 offset:4 ; 4-byte Folded Reload
	buffer_load_dword v87, off, s[24:27], 0 offset:8 ; 4-byte Folded Reload
	;; [unrolled: 1-line block ×3, first 2 shown]
	s_waitcnt vmcnt(0)
	ds_write2_b64 v94, v[85:86], v[87:88] offset0:42 offset1:43
	ds_write2_b64 v94, v[111:112], v[113:114] offset0:44 offset1:45
	;; [unrolled: 1-line block ×25, first 2 shown]
.LBB90_207:
	s_or_b64 exec, exec, s[0:1]
	v_cmp_lt_i32_e32 vcc, 9, v96
	s_waitcnt vmcnt(0) lgkmcnt(0)
	s_barrier
	s_and_saveexec_b64 s[0:1], vcc
	s_cbranch_execz .LBB90_209
; %bb.208:
	buffer_load_dword v101, off, s[24:27], 0 offset:192 ; 4-byte Folded Reload
	buffer_load_dword v102, off, s[24:27], 0 offset:196 ; 4-byte Folded Reload
	;; [unrolled: 1-line block ×4, first 2 shown]
	s_waitcnt vmcnt(0)
	v_mul_f64 v[97:98], v[119:120], v[103:104]
	v_fma_f64 v[125:126], v[117:118], v[101:102], -v[97:98]
	v_mul_f64 v[97:98], v[117:118], v[103:104]
	v_fma_f64 v[103:104], v[119:120], v[101:102], v[97:98]
	ds_read2_b64 v[97:100], v94 offset0:20 offset1:21
	buffer_load_dword v85, off, s[24:27], 0 offset:176 ; 4-byte Folded Reload
	buffer_load_dword v86, off, s[24:27], 0 offset:180 ; 4-byte Folded Reload
	buffer_load_dword v87, off, s[24:27], 0 offset:184 ; 4-byte Folded Reload
	buffer_load_dword v88, off, s[24:27], 0 offset:188 ; 4-byte Folded Reload
	s_waitcnt lgkmcnt(0)
	v_mul_f64 v[101:102], v[99:100], v[103:104]
	v_fma_f64 v[101:102], v[97:98], v[125:126], -v[101:102]
	v_mul_f64 v[97:98], v[97:98], v[103:104]
	v_fma_f64 v[97:98], v[99:100], v[125:126], v[97:98]
	s_waitcnt vmcnt(2)
	v_add_f64 v[85:86], v[85:86], -v[101:102]
	s_waitcnt vmcnt(0)
	v_add_f64 v[87:88], v[87:88], -v[97:98]
	buffer_store_dword v85, off, s[24:27], 0 offset:176 ; 4-byte Folded Spill
	s_nop 0
	buffer_store_dword v86, off, s[24:27], 0 offset:180 ; 4-byte Folded Spill
	buffer_store_dword v87, off, s[24:27], 0 offset:184 ; 4-byte Folded Spill
	buffer_store_dword v88, off, s[24:27], 0 offset:188 ; 4-byte Folded Spill
	ds_read2_b64 v[97:100], v94 offset0:22 offset1:23
	buffer_load_dword v85, off, s[24:27], 0 offset:160 ; 4-byte Folded Reload
	buffer_load_dword v86, off, s[24:27], 0 offset:164 ; 4-byte Folded Reload
	buffer_load_dword v87, off, s[24:27], 0 offset:168 ; 4-byte Folded Reload
	buffer_load_dword v88, off, s[24:27], 0 offset:172 ; 4-byte Folded Reload
	s_waitcnt lgkmcnt(0)
	v_mul_f64 v[101:102], v[99:100], v[103:104]
	v_fma_f64 v[101:102], v[97:98], v[125:126], -v[101:102]
	v_mul_f64 v[97:98], v[97:98], v[103:104]
	v_fma_f64 v[97:98], v[99:100], v[125:126], v[97:98]
	s_waitcnt vmcnt(2)
	v_add_f64 v[85:86], v[85:86], -v[101:102]
	s_waitcnt vmcnt(0)
	v_add_f64 v[87:88], v[87:88], -v[97:98]
	buffer_store_dword v85, off, s[24:27], 0 offset:160 ; 4-byte Folded Spill
	s_nop 0
	buffer_store_dword v86, off, s[24:27], 0 offset:164 ; 4-byte Folded Spill
	buffer_store_dword v87, off, s[24:27], 0 offset:168 ; 4-byte Folded Spill
	buffer_store_dword v88, off, s[24:27], 0 offset:172 ; 4-byte Folded Spill
	;; [unrolled: 19-line block ×11, first 2 shown]
	ds_read2_b64 v[97:100], v94 offset0:42 offset1:43
	buffer_load_dword v85, off, s[24:27], 0 ; 4-byte Folded Reload
	buffer_load_dword v86, off, s[24:27], 0 offset:4 ; 4-byte Folded Reload
	buffer_load_dword v87, off, s[24:27], 0 offset:8 ; 4-byte Folded Reload
	;; [unrolled: 1-line block ×3, first 2 shown]
	s_waitcnt lgkmcnt(0)
	v_mul_f64 v[101:102], v[99:100], v[103:104]
	v_fma_f64 v[101:102], v[97:98], v[125:126], -v[101:102]
	v_mul_f64 v[97:98], v[97:98], v[103:104]
	v_fma_f64 v[97:98], v[99:100], v[125:126], v[97:98]
	s_waitcnt vmcnt(2)
	v_add_f64 v[85:86], v[85:86], -v[101:102]
	s_waitcnt vmcnt(0)
	v_add_f64 v[87:88], v[87:88], -v[97:98]
	buffer_store_dword v85, off, s[24:27], 0 ; 4-byte Folded Spill
	s_nop 0
	buffer_store_dword v86, off, s[24:27], 0 offset:4 ; 4-byte Folded Spill
	buffer_store_dword v87, off, s[24:27], 0 offset:8 ; 4-byte Folded Spill
	;; [unrolled: 1-line block ×3, first 2 shown]
	ds_read2_b64 v[97:100], v94 offset0:44 offset1:45
	s_waitcnt lgkmcnt(0)
	v_mul_f64 v[101:102], v[99:100], v[103:104]
	v_fma_f64 v[101:102], v[97:98], v[125:126], -v[101:102]
	v_mul_f64 v[97:98], v[97:98], v[103:104]
	v_add_f64 v[111:112], v[111:112], -v[101:102]
	v_fma_f64 v[97:98], v[99:100], v[125:126], v[97:98]
	v_add_f64 v[113:114], v[113:114], -v[97:98]
	ds_read2_b64 v[97:100], v94 offset0:46 offset1:47
	s_waitcnt lgkmcnt(0)
	v_mul_f64 v[101:102], v[99:100], v[103:104]
	v_fma_f64 v[101:102], v[97:98], v[125:126], -v[101:102]
	v_mul_f64 v[97:98], v[97:98], v[103:104]
	v_add_f64 v[89:90], v[89:90], -v[101:102]
	v_fma_f64 v[97:98], v[99:100], v[125:126], v[97:98]
	v_add_f64 v[91:92], v[91:92], -v[97:98]
	;; [unrolled: 8-line block ×23, first 2 shown]
	ds_read2_b64 v[97:100], v94 offset0:90 offset1:91
	s_waitcnt lgkmcnt(0)
	v_mul_f64 v[101:102], v[99:100], v[103:104]
	v_fma_f64 v[101:102], v[97:98], v[125:126], -v[101:102]
	v_mul_f64 v[97:98], v[97:98], v[103:104]
	v_add_f64 v[121:122], v[121:122], -v[101:102]
	v_fma_f64 v[97:98], v[99:100], v[125:126], v[97:98]
	v_mov_b32_e32 v101, v125
	v_mov_b32_e32 v102, v126
	buffer_store_dword v101, off, s[24:27], 0 offset:192 ; 4-byte Folded Spill
	s_nop 0
	buffer_store_dword v102, off, s[24:27], 0 offset:196 ; 4-byte Folded Spill
	buffer_store_dword v103, off, s[24:27], 0 offset:200 ; 4-byte Folded Spill
	;; [unrolled: 1-line block ×3, first 2 shown]
	v_add_f64 v[123:124], v[123:124], -v[97:98]
.LBB90_209:
	s_or_b64 exec, exec, s[0:1]
	s_waitcnt vmcnt(0)
	s_barrier
	buffer_load_dword v85, off, s[24:27], 0 offset:176 ; 4-byte Folded Reload
	buffer_load_dword v86, off, s[24:27], 0 offset:180 ; 4-byte Folded Reload
	;; [unrolled: 1-line block ×4, first 2 shown]
	v_lshl_add_u32 v97, v96, 4, v94
	s_cmp_lt_i32 s3, 12
	s_waitcnt vmcnt(0)
	ds_write2_b64 v97, v[85:86], v[87:88] offset1:1
	s_waitcnt lgkmcnt(0)
	s_barrier
	ds_read2_b64 v[117:120], v94 offset0:20 offset1:21
	v_mov_b32_e32 v97, 10
	s_cbranch_scc1 .LBB90_212
; %bb.210:
	v_add_u32_e32 v98, 0xb0, v94
	s_mov_b32 s0, 11
	v_mov_b32_e32 v97, 10
.LBB90_211:                             ; =>This Inner Loop Header: Depth=1
	s_waitcnt lgkmcnt(0)
	v_cmp_gt_f64_e32 vcc, 0, v[117:118]
	v_xor_b32_e32 v103, 0x80000000, v118
	ds_read2_b64 v[99:102], v98 offset1:1
	v_xor_b32_e32 v105, 0x80000000, v120
	v_add_u32_e32 v98, 16, v98
	s_waitcnt lgkmcnt(0)
	v_xor_b32_e32 v107, 0x80000000, v102
	v_cndmask_b32_e32 v104, v118, v103, vcc
	v_cmp_gt_f64_e32 vcc, 0, v[119:120]
	v_mov_b32_e32 v103, v117
	v_cndmask_b32_e32 v106, v120, v105, vcc
	v_cmp_gt_f64_e32 vcc, 0, v[99:100]
	v_mov_b32_e32 v105, v119
	v_add_f64 v[103:104], v[103:104], v[105:106]
	v_xor_b32_e32 v105, 0x80000000, v100
	v_cndmask_b32_e32 v106, v100, v105, vcc
	v_cmp_gt_f64_e32 vcc, 0, v[101:102]
	v_mov_b32_e32 v105, v99
	v_cndmask_b32_e32 v108, v102, v107, vcc
	v_mov_b32_e32 v107, v101
	v_add_f64 v[105:106], v[105:106], v[107:108]
	v_cmp_lt_f64_e32 vcc, v[103:104], v[105:106]
	v_cndmask_b32_e32 v117, v117, v99, vcc
	v_mov_b32_e32 v99, s0
	s_add_i32 s0, s0, 1
	v_cndmask_b32_e32 v118, v118, v100, vcc
	v_cndmask_b32_e32 v120, v120, v102, vcc
	;; [unrolled: 1-line block ×4, first 2 shown]
	s_cmp_lg_u32 s3, s0
	s_cbranch_scc1 .LBB90_211
.LBB90_212:
	s_waitcnt lgkmcnt(0)
	v_cmp_eq_f64_e32 vcc, 0, v[117:118]
	v_cmp_eq_f64_e64 s[0:1], 0, v[119:120]
	s_and_b64 s[0:1], vcc, s[0:1]
	s_and_saveexec_b64 s[18:19], s[0:1]
	s_xor_b64 s[0:1], exec, s[18:19]
; %bb.213:
	v_cmp_ne_u32_e32 vcc, 0, v95
	v_cndmask_b32_e32 v95, 11, v95, vcc
; %bb.214:
	s_andn2_saveexec_b64 s[0:1], s[0:1]
	s_cbranch_execz .LBB90_220
; %bb.215:
	v_cmp_ngt_f64_e64 s[18:19], |v[117:118]|, |v[119:120]|
	s_and_saveexec_b64 s[20:21], s[18:19]
	s_xor_b64 s[18:19], exec, s[20:21]
	s_cbranch_execz .LBB90_217
; %bb.216:
	v_div_scale_f64 v[98:99], s[20:21], v[119:120], v[119:120], v[117:118]
	v_rcp_f64_e32 v[100:101], v[98:99]
	v_fma_f64 v[102:103], -v[98:99], v[100:101], 1.0
	v_fma_f64 v[100:101], v[100:101], v[102:103], v[100:101]
	v_div_scale_f64 v[102:103], vcc, v[117:118], v[119:120], v[117:118]
	v_fma_f64 v[104:105], -v[98:99], v[100:101], 1.0
	v_fma_f64 v[100:101], v[100:101], v[104:105], v[100:101]
	v_mul_f64 v[104:105], v[102:103], v[100:101]
	v_fma_f64 v[98:99], -v[98:99], v[104:105], v[102:103]
	v_div_fmas_f64 v[98:99], v[98:99], v[100:101], v[104:105]
	v_div_fixup_f64 v[98:99], v[98:99], v[119:120], v[117:118]
	v_fma_f64 v[100:101], v[117:118], v[98:99], v[119:120]
	v_div_scale_f64 v[102:103], s[20:21], v[100:101], v[100:101], 1.0
	v_div_scale_f64 v[108:109], vcc, 1.0, v[100:101], 1.0
	v_rcp_f64_e32 v[104:105], v[102:103]
	v_fma_f64 v[106:107], -v[102:103], v[104:105], 1.0
	v_fma_f64 v[104:105], v[104:105], v[106:107], v[104:105]
	v_fma_f64 v[106:107], -v[102:103], v[104:105], 1.0
	v_fma_f64 v[104:105], v[104:105], v[106:107], v[104:105]
	v_mul_f64 v[106:107], v[108:109], v[104:105]
	v_fma_f64 v[102:103], -v[102:103], v[106:107], v[108:109]
	v_div_fmas_f64 v[102:103], v[102:103], v[104:105], v[106:107]
	v_div_fixup_f64 v[119:120], v[102:103], v[100:101], 1.0
	v_mul_f64 v[117:118], v[98:99], v[119:120]
	v_xor_b32_e32 v120, 0x80000000, v120
.LBB90_217:
	s_andn2_saveexec_b64 s[18:19], s[18:19]
	s_cbranch_execz .LBB90_219
; %bb.218:
	v_div_scale_f64 v[98:99], s[20:21], v[117:118], v[117:118], v[119:120]
	v_rcp_f64_e32 v[100:101], v[98:99]
	v_fma_f64 v[102:103], -v[98:99], v[100:101], 1.0
	v_fma_f64 v[100:101], v[100:101], v[102:103], v[100:101]
	v_div_scale_f64 v[102:103], vcc, v[119:120], v[117:118], v[119:120]
	v_fma_f64 v[104:105], -v[98:99], v[100:101], 1.0
	v_fma_f64 v[100:101], v[100:101], v[104:105], v[100:101]
	v_mul_f64 v[104:105], v[102:103], v[100:101]
	v_fma_f64 v[98:99], -v[98:99], v[104:105], v[102:103]
	v_div_fmas_f64 v[98:99], v[98:99], v[100:101], v[104:105]
	v_div_fixup_f64 v[98:99], v[98:99], v[117:118], v[119:120]
	v_fma_f64 v[100:101], v[119:120], v[98:99], v[117:118]
	v_div_scale_f64 v[102:103], s[20:21], v[100:101], v[100:101], 1.0
	v_div_scale_f64 v[108:109], vcc, 1.0, v[100:101], 1.0
	v_rcp_f64_e32 v[104:105], v[102:103]
	v_fma_f64 v[106:107], -v[102:103], v[104:105], 1.0
	v_fma_f64 v[104:105], v[104:105], v[106:107], v[104:105]
	v_fma_f64 v[106:107], -v[102:103], v[104:105], 1.0
	v_fma_f64 v[104:105], v[104:105], v[106:107], v[104:105]
	v_mul_f64 v[106:107], v[108:109], v[104:105]
	v_fma_f64 v[102:103], -v[102:103], v[106:107], v[108:109]
	v_div_fmas_f64 v[102:103], v[102:103], v[104:105], v[106:107]
	v_div_fixup_f64 v[117:118], v[102:103], v[100:101], 1.0
	v_mul_f64 v[119:120], v[98:99], -v[117:118]
.LBB90_219:
	s_or_b64 exec, exec, s[18:19]
.LBB90_220:
	s_or_b64 exec, exec, s[0:1]
	v_cmp_ne_u32_e32 vcc, v96, v97
	s_and_saveexec_b64 s[0:1], vcc
	s_xor_b64 s[0:1], exec, s[0:1]
	s_cbranch_execz .LBB90_226
; %bb.221:
	v_cmp_eq_u32_e32 vcc, 10, v96
	s_and_saveexec_b64 s[18:19], vcc
	s_cbranch_execz .LBB90_225
; %bb.222:
	v_cmp_ne_u32_e32 vcc, 10, v97
	s_xor_b64 s[20:21], s[6:7], -1
	s_and_b64 s[22:23], s[20:21], vcc
	s_and_saveexec_b64 s[20:21], s[22:23]
	s_cbranch_execz .LBB90_224
; %bb.223:
	buffer_load_dword v85, off, s[24:27], 0 offset:304 ; 4-byte Folded Reload
	buffer_load_dword v86, off, s[24:27], 0 offset:308 ; 4-byte Folded Reload
	v_ashrrev_i32_e32 v98, 31, v97
	v_lshlrev_b64 v[98:99], 2, v[97:98]
	s_waitcnt vmcnt(1)
	v_add_co_u32_e32 v98, vcc, v85, v98
	s_waitcnt vmcnt(0)
	v_addc_co_u32_e32 v99, vcc, v86, v99, vcc
	global_load_dword v0, v[98:99], off
	global_load_dword v96, v[85:86], off offset:40
	s_waitcnt vmcnt(1)
	global_store_dword v[85:86], v0, off offset:40
	s_waitcnt vmcnt(1)
	global_store_dword v[98:99], v96, off
.LBB90_224:
	s_or_b64 exec, exec, s[20:21]
	v_mov_b32_e32 v96, v97
	v_mov_b32_e32 v0, v97
.LBB90_225:
	s_or_b64 exec, exec, s[18:19]
.LBB90_226:
	s_andn2_saveexec_b64 s[0:1], s[0:1]
	s_cbranch_execz .LBB90_228
; %bb.227:
	buffer_load_dword v85, off, s[24:27], 0 offset:160 ; 4-byte Folded Reload
	buffer_load_dword v86, off, s[24:27], 0 offset:164 ; 4-byte Folded Reload
	;; [unrolled: 1-line block ×4, first 2 shown]
	v_mov_b32_e32 v96, 10
	s_waitcnt vmcnt(0)
	ds_write2_b64 v94, v[85:86], v[87:88] offset0:22 offset1:23
	buffer_load_dword v85, off, s[24:27], 0 offset:144 ; 4-byte Folded Reload
	buffer_load_dword v86, off, s[24:27], 0 offset:148 ; 4-byte Folded Reload
	buffer_load_dword v87, off, s[24:27], 0 offset:152 ; 4-byte Folded Reload
	buffer_load_dword v88, off, s[24:27], 0 offset:156 ; 4-byte Folded Reload
	s_waitcnt vmcnt(0)
	ds_write2_b64 v94, v[85:86], v[87:88] offset0:24 offset1:25
	buffer_load_dword v85, off, s[24:27], 0 offset:128 ; 4-byte Folded Reload
	buffer_load_dword v86, off, s[24:27], 0 offset:132 ; 4-byte Folded Reload
	buffer_load_dword v87, off, s[24:27], 0 offset:136 ; 4-byte Folded Reload
	buffer_load_dword v88, off, s[24:27], 0 offset:140 ; 4-byte Folded Reload
	s_waitcnt vmcnt(0)
	ds_write2_b64 v94, v[85:86], v[87:88] offset0:26 offset1:27
	buffer_load_dword v85, off, s[24:27], 0 offset:112 ; 4-byte Folded Reload
	buffer_load_dword v86, off, s[24:27], 0 offset:116 ; 4-byte Folded Reload
	buffer_load_dword v87, off, s[24:27], 0 offset:120 ; 4-byte Folded Reload
	buffer_load_dword v88, off, s[24:27], 0 offset:124 ; 4-byte Folded Reload
	s_waitcnt vmcnt(0)
	ds_write2_b64 v94, v[85:86], v[87:88] offset0:28 offset1:29
	buffer_load_dword v85, off, s[24:27], 0 offset:96 ; 4-byte Folded Reload
	buffer_load_dword v86, off, s[24:27], 0 offset:100 ; 4-byte Folded Reload
	buffer_load_dword v87, off, s[24:27], 0 offset:104 ; 4-byte Folded Reload
	buffer_load_dword v88, off, s[24:27], 0 offset:108 ; 4-byte Folded Reload
	s_waitcnt vmcnt(0)
	ds_write2_b64 v94, v[85:86], v[87:88] offset0:30 offset1:31
	buffer_load_dword v85, off, s[24:27], 0 offset:80 ; 4-byte Folded Reload
	buffer_load_dword v86, off, s[24:27], 0 offset:84 ; 4-byte Folded Reload
	buffer_load_dword v87, off, s[24:27], 0 offset:88 ; 4-byte Folded Reload
	buffer_load_dword v88, off, s[24:27], 0 offset:92 ; 4-byte Folded Reload
	s_waitcnt vmcnt(0)
	ds_write2_b64 v94, v[85:86], v[87:88] offset0:32 offset1:33
	buffer_load_dword v85, off, s[24:27], 0 offset:64 ; 4-byte Folded Reload
	buffer_load_dword v86, off, s[24:27], 0 offset:68 ; 4-byte Folded Reload
	buffer_load_dword v87, off, s[24:27], 0 offset:72 ; 4-byte Folded Reload
	buffer_load_dword v88, off, s[24:27], 0 offset:76 ; 4-byte Folded Reload
	s_waitcnt vmcnt(0)
	ds_write2_b64 v94, v[85:86], v[87:88] offset0:34 offset1:35
	buffer_load_dword v85, off, s[24:27], 0 offset:48 ; 4-byte Folded Reload
	buffer_load_dword v86, off, s[24:27], 0 offset:52 ; 4-byte Folded Reload
	buffer_load_dword v87, off, s[24:27], 0 offset:56 ; 4-byte Folded Reload
	buffer_load_dword v88, off, s[24:27], 0 offset:60 ; 4-byte Folded Reload
	s_waitcnt vmcnt(0)
	ds_write2_b64 v94, v[85:86], v[87:88] offset0:36 offset1:37
	buffer_load_dword v85, off, s[24:27], 0 offset:32 ; 4-byte Folded Reload
	buffer_load_dword v86, off, s[24:27], 0 offset:36 ; 4-byte Folded Reload
	buffer_load_dword v87, off, s[24:27], 0 offset:40 ; 4-byte Folded Reload
	buffer_load_dword v88, off, s[24:27], 0 offset:44 ; 4-byte Folded Reload
	s_waitcnt vmcnt(0)
	ds_write2_b64 v94, v[85:86], v[87:88] offset0:38 offset1:39
	buffer_load_dword v85, off, s[24:27], 0 offset:16 ; 4-byte Folded Reload
	buffer_load_dword v86, off, s[24:27], 0 offset:20 ; 4-byte Folded Reload
	buffer_load_dword v87, off, s[24:27], 0 offset:24 ; 4-byte Folded Reload
	buffer_load_dword v88, off, s[24:27], 0 offset:28 ; 4-byte Folded Reload
	s_waitcnt vmcnt(0)
	ds_write2_b64 v94, v[85:86], v[87:88] offset0:40 offset1:41
	buffer_load_dword v85, off, s[24:27], 0 ; 4-byte Folded Reload
	buffer_load_dword v86, off, s[24:27], 0 offset:4 ; 4-byte Folded Reload
	buffer_load_dword v87, off, s[24:27], 0 offset:8 ; 4-byte Folded Reload
	;; [unrolled: 1-line block ×3, first 2 shown]
	s_waitcnt vmcnt(0)
	ds_write2_b64 v94, v[85:86], v[87:88] offset0:42 offset1:43
	ds_write2_b64 v94, v[111:112], v[113:114] offset0:44 offset1:45
	;; [unrolled: 1-line block ×25, first 2 shown]
.LBB90_228:
	s_or_b64 exec, exec, s[0:1]
	v_cmp_lt_i32_e32 vcc, 10, v96
	s_waitcnt vmcnt(0) lgkmcnt(0)
	s_barrier
	s_and_saveexec_b64 s[0:1], vcc
	s_cbranch_execz .LBB90_230
; %bb.229:
	buffer_load_dword v101, off, s[24:27], 0 offset:176 ; 4-byte Folded Reload
	buffer_load_dword v102, off, s[24:27], 0 offset:180 ; 4-byte Folded Reload
	;; [unrolled: 1-line block ×4, first 2 shown]
	s_waitcnt vmcnt(0)
	v_mul_f64 v[97:98], v[119:120], v[103:104]
	v_fma_f64 v[125:126], v[117:118], v[101:102], -v[97:98]
	v_mul_f64 v[97:98], v[117:118], v[103:104]
	v_fma_f64 v[103:104], v[119:120], v[101:102], v[97:98]
	ds_read2_b64 v[97:100], v94 offset0:22 offset1:23
	buffer_load_dword v85, off, s[24:27], 0 offset:160 ; 4-byte Folded Reload
	buffer_load_dword v86, off, s[24:27], 0 offset:164 ; 4-byte Folded Reload
	buffer_load_dword v87, off, s[24:27], 0 offset:168 ; 4-byte Folded Reload
	buffer_load_dword v88, off, s[24:27], 0 offset:172 ; 4-byte Folded Reload
	s_waitcnt lgkmcnt(0)
	v_mul_f64 v[101:102], v[99:100], v[103:104]
	v_fma_f64 v[101:102], v[97:98], v[125:126], -v[101:102]
	v_mul_f64 v[97:98], v[97:98], v[103:104]
	v_fma_f64 v[97:98], v[99:100], v[125:126], v[97:98]
	s_waitcnt vmcnt(2)
	v_add_f64 v[85:86], v[85:86], -v[101:102]
	s_waitcnt vmcnt(0)
	v_add_f64 v[87:88], v[87:88], -v[97:98]
	buffer_store_dword v85, off, s[24:27], 0 offset:160 ; 4-byte Folded Spill
	s_nop 0
	buffer_store_dword v86, off, s[24:27], 0 offset:164 ; 4-byte Folded Spill
	buffer_store_dword v87, off, s[24:27], 0 offset:168 ; 4-byte Folded Spill
	buffer_store_dword v88, off, s[24:27], 0 offset:172 ; 4-byte Folded Spill
	ds_read2_b64 v[97:100], v94 offset0:24 offset1:25
	buffer_load_dword v85, off, s[24:27], 0 offset:144 ; 4-byte Folded Reload
	buffer_load_dword v86, off, s[24:27], 0 offset:148 ; 4-byte Folded Reload
	buffer_load_dword v87, off, s[24:27], 0 offset:152 ; 4-byte Folded Reload
	buffer_load_dword v88, off, s[24:27], 0 offset:156 ; 4-byte Folded Reload
	s_waitcnt lgkmcnt(0)
	v_mul_f64 v[101:102], v[99:100], v[103:104]
	v_fma_f64 v[101:102], v[97:98], v[125:126], -v[101:102]
	v_mul_f64 v[97:98], v[97:98], v[103:104]
	v_fma_f64 v[97:98], v[99:100], v[125:126], v[97:98]
	s_waitcnt vmcnt(2)
	v_add_f64 v[85:86], v[85:86], -v[101:102]
	s_waitcnt vmcnt(0)
	v_add_f64 v[87:88], v[87:88], -v[97:98]
	buffer_store_dword v85, off, s[24:27], 0 offset:144 ; 4-byte Folded Spill
	s_nop 0
	buffer_store_dword v86, off, s[24:27], 0 offset:148 ; 4-byte Folded Spill
	buffer_store_dword v87, off, s[24:27], 0 offset:152 ; 4-byte Folded Spill
	buffer_store_dword v88, off, s[24:27], 0 offset:156 ; 4-byte Folded Spill
	;; [unrolled: 19-line block ×10, first 2 shown]
	ds_read2_b64 v[97:100], v94 offset0:42 offset1:43
	buffer_load_dword v85, off, s[24:27], 0 ; 4-byte Folded Reload
	buffer_load_dword v86, off, s[24:27], 0 offset:4 ; 4-byte Folded Reload
	buffer_load_dword v87, off, s[24:27], 0 offset:8 ; 4-byte Folded Reload
	;; [unrolled: 1-line block ×3, first 2 shown]
	s_waitcnt lgkmcnt(0)
	v_mul_f64 v[101:102], v[99:100], v[103:104]
	v_fma_f64 v[101:102], v[97:98], v[125:126], -v[101:102]
	v_mul_f64 v[97:98], v[97:98], v[103:104]
	v_fma_f64 v[97:98], v[99:100], v[125:126], v[97:98]
	s_waitcnt vmcnt(2)
	v_add_f64 v[85:86], v[85:86], -v[101:102]
	s_waitcnt vmcnt(0)
	v_add_f64 v[87:88], v[87:88], -v[97:98]
	buffer_store_dword v85, off, s[24:27], 0 ; 4-byte Folded Spill
	s_nop 0
	buffer_store_dword v86, off, s[24:27], 0 offset:4 ; 4-byte Folded Spill
	buffer_store_dword v87, off, s[24:27], 0 offset:8 ; 4-byte Folded Spill
	;; [unrolled: 1-line block ×3, first 2 shown]
	ds_read2_b64 v[97:100], v94 offset0:44 offset1:45
	s_waitcnt lgkmcnt(0)
	v_mul_f64 v[101:102], v[99:100], v[103:104]
	v_fma_f64 v[101:102], v[97:98], v[125:126], -v[101:102]
	v_mul_f64 v[97:98], v[97:98], v[103:104]
	v_add_f64 v[111:112], v[111:112], -v[101:102]
	v_fma_f64 v[97:98], v[99:100], v[125:126], v[97:98]
	v_add_f64 v[113:114], v[113:114], -v[97:98]
	ds_read2_b64 v[97:100], v94 offset0:46 offset1:47
	s_waitcnt lgkmcnt(0)
	v_mul_f64 v[101:102], v[99:100], v[103:104]
	v_fma_f64 v[101:102], v[97:98], v[125:126], -v[101:102]
	v_mul_f64 v[97:98], v[97:98], v[103:104]
	v_add_f64 v[89:90], v[89:90], -v[101:102]
	v_fma_f64 v[97:98], v[99:100], v[125:126], v[97:98]
	v_add_f64 v[91:92], v[91:92], -v[97:98]
	;; [unrolled: 8-line block ×23, first 2 shown]
	ds_read2_b64 v[97:100], v94 offset0:90 offset1:91
	s_waitcnt lgkmcnt(0)
	v_mul_f64 v[101:102], v[99:100], v[103:104]
	v_fma_f64 v[101:102], v[97:98], v[125:126], -v[101:102]
	v_mul_f64 v[97:98], v[97:98], v[103:104]
	v_add_f64 v[121:122], v[121:122], -v[101:102]
	v_fma_f64 v[97:98], v[99:100], v[125:126], v[97:98]
	v_mov_b32_e32 v101, v125
	v_mov_b32_e32 v102, v126
	buffer_store_dword v101, off, s[24:27], 0 offset:176 ; 4-byte Folded Spill
	s_nop 0
	buffer_store_dword v102, off, s[24:27], 0 offset:180 ; 4-byte Folded Spill
	buffer_store_dword v103, off, s[24:27], 0 offset:184 ; 4-byte Folded Spill
	;; [unrolled: 1-line block ×3, first 2 shown]
	v_add_f64 v[123:124], v[123:124], -v[97:98]
.LBB90_230:
	s_or_b64 exec, exec, s[0:1]
	s_waitcnt vmcnt(0)
	s_barrier
	buffer_load_dword v85, off, s[24:27], 0 offset:160 ; 4-byte Folded Reload
	buffer_load_dword v86, off, s[24:27], 0 offset:164 ; 4-byte Folded Reload
	;; [unrolled: 1-line block ×4, first 2 shown]
	v_lshl_add_u32 v97, v96, 4, v94
	s_cmp_lt_i32 s3, 13
	s_waitcnt vmcnt(0)
	ds_write2_b64 v97, v[85:86], v[87:88] offset1:1
	s_waitcnt lgkmcnt(0)
	s_barrier
	ds_read2_b64 v[117:120], v94 offset0:22 offset1:23
	v_mov_b32_e32 v97, 11
	s_cbranch_scc1 .LBB90_233
; %bb.231:
	v_add_u32_e32 v98, 0xc0, v94
	s_mov_b32 s0, 12
	v_mov_b32_e32 v97, 11
.LBB90_232:                             ; =>This Inner Loop Header: Depth=1
	s_waitcnt lgkmcnt(0)
	v_cmp_gt_f64_e32 vcc, 0, v[117:118]
	v_xor_b32_e32 v103, 0x80000000, v118
	ds_read2_b64 v[99:102], v98 offset1:1
	v_xor_b32_e32 v105, 0x80000000, v120
	v_add_u32_e32 v98, 16, v98
	s_waitcnt lgkmcnt(0)
	v_xor_b32_e32 v107, 0x80000000, v102
	v_cndmask_b32_e32 v104, v118, v103, vcc
	v_cmp_gt_f64_e32 vcc, 0, v[119:120]
	v_mov_b32_e32 v103, v117
	v_cndmask_b32_e32 v106, v120, v105, vcc
	v_cmp_gt_f64_e32 vcc, 0, v[99:100]
	v_mov_b32_e32 v105, v119
	v_add_f64 v[103:104], v[103:104], v[105:106]
	v_xor_b32_e32 v105, 0x80000000, v100
	v_cndmask_b32_e32 v106, v100, v105, vcc
	v_cmp_gt_f64_e32 vcc, 0, v[101:102]
	v_mov_b32_e32 v105, v99
	v_cndmask_b32_e32 v108, v102, v107, vcc
	v_mov_b32_e32 v107, v101
	v_add_f64 v[105:106], v[105:106], v[107:108]
	v_cmp_lt_f64_e32 vcc, v[103:104], v[105:106]
	v_cndmask_b32_e32 v117, v117, v99, vcc
	v_mov_b32_e32 v99, s0
	s_add_i32 s0, s0, 1
	v_cndmask_b32_e32 v118, v118, v100, vcc
	v_cndmask_b32_e32 v120, v120, v102, vcc
	v_cndmask_b32_e32 v119, v119, v101, vcc
	v_cndmask_b32_e32 v97, v97, v99, vcc
	s_cmp_lg_u32 s3, s0
	s_cbranch_scc1 .LBB90_232
.LBB90_233:
	s_waitcnt lgkmcnt(0)
	v_cmp_eq_f64_e32 vcc, 0, v[117:118]
	v_cmp_eq_f64_e64 s[0:1], 0, v[119:120]
	s_and_b64 s[0:1], vcc, s[0:1]
	s_and_saveexec_b64 s[18:19], s[0:1]
	s_xor_b64 s[0:1], exec, s[18:19]
; %bb.234:
	v_cmp_ne_u32_e32 vcc, 0, v95
	v_cndmask_b32_e32 v95, 12, v95, vcc
; %bb.235:
	s_andn2_saveexec_b64 s[0:1], s[0:1]
	s_cbranch_execz .LBB90_241
; %bb.236:
	v_cmp_ngt_f64_e64 s[18:19], |v[117:118]|, |v[119:120]|
	s_and_saveexec_b64 s[20:21], s[18:19]
	s_xor_b64 s[18:19], exec, s[20:21]
	s_cbranch_execz .LBB90_238
; %bb.237:
	v_div_scale_f64 v[98:99], s[20:21], v[119:120], v[119:120], v[117:118]
	v_rcp_f64_e32 v[100:101], v[98:99]
	v_fma_f64 v[102:103], -v[98:99], v[100:101], 1.0
	v_fma_f64 v[100:101], v[100:101], v[102:103], v[100:101]
	v_div_scale_f64 v[102:103], vcc, v[117:118], v[119:120], v[117:118]
	v_fma_f64 v[104:105], -v[98:99], v[100:101], 1.0
	v_fma_f64 v[100:101], v[100:101], v[104:105], v[100:101]
	v_mul_f64 v[104:105], v[102:103], v[100:101]
	v_fma_f64 v[98:99], -v[98:99], v[104:105], v[102:103]
	v_div_fmas_f64 v[98:99], v[98:99], v[100:101], v[104:105]
	v_div_fixup_f64 v[98:99], v[98:99], v[119:120], v[117:118]
	v_fma_f64 v[100:101], v[117:118], v[98:99], v[119:120]
	v_div_scale_f64 v[102:103], s[20:21], v[100:101], v[100:101], 1.0
	v_div_scale_f64 v[108:109], vcc, 1.0, v[100:101], 1.0
	v_rcp_f64_e32 v[104:105], v[102:103]
	v_fma_f64 v[106:107], -v[102:103], v[104:105], 1.0
	v_fma_f64 v[104:105], v[104:105], v[106:107], v[104:105]
	v_fma_f64 v[106:107], -v[102:103], v[104:105], 1.0
	v_fma_f64 v[104:105], v[104:105], v[106:107], v[104:105]
	v_mul_f64 v[106:107], v[108:109], v[104:105]
	v_fma_f64 v[102:103], -v[102:103], v[106:107], v[108:109]
	v_div_fmas_f64 v[102:103], v[102:103], v[104:105], v[106:107]
	v_div_fixup_f64 v[119:120], v[102:103], v[100:101], 1.0
	v_mul_f64 v[117:118], v[98:99], v[119:120]
	v_xor_b32_e32 v120, 0x80000000, v120
.LBB90_238:
	s_andn2_saveexec_b64 s[18:19], s[18:19]
	s_cbranch_execz .LBB90_240
; %bb.239:
	v_div_scale_f64 v[98:99], s[20:21], v[117:118], v[117:118], v[119:120]
	v_rcp_f64_e32 v[100:101], v[98:99]
	v_fma_f64 v[102:103], -v[98:99], v[100:101], 1.0
	v_fma_f64 v[100:101], v[100:101], v[102:103], v[100:101]
	v_div_scale_f64 v[102:103], vcc, v[119:120], v[117:118], v[119:120]
	v_fma_f64 v[104:105], -v[98:99], v[100:101], 1.0
	v_fma_f64 v[100:101], v[100:101], v[104:105], v[100:101]
	v_mul_f64 v[104:105], v[102:103], v[100:101]
	v_fma_f64 v[98:99], -v[98:99], v[104:105], v[102:103]
	v_div_fmas_f64 v[98:99], v[98:99], v[100:101], v[104:105]
	v_div_fixup_f64 v[98:99], v[98:99], v[117:118], v[119:120]
	v_fma_f64 v[100:101], v[119:120], v[98:99], v[117:118]
	v_div_scale_f64 v[102:103], s[20:21], v[100:101], v[100:101], 1.0
	v_div_scale_f64 v[108:109], vcc, 1.0, v[100:101], 1.0
	v_rcp_f64_e32 v[104:105], v[102:103]
	v_fma_f64 v[106:107], -v[102:103], v[104:105], 1.0
	v_fma_f64 v[104:105], v[104:105], v[106:107], v[104:105]
	v_fma_f64 v[106:107], -v[102:103], v[104:105], 1.0
	v_fma_f64 v[104:105], v[104:105], v[106:107], v[104:105]
	v_mul_f64 v[106:107], v[108:109], v[104:105]
	v_fma_f64 v[102:103], -v[102:103], v[106:107], v[108:109]
	v_div_fmas_f64 v[102:103], v[102:103], v[104:105], v[106:107]
	v_div_fixup_f64 v[117:118], v[102:103], v[100:101], 1.0
	v_mul_f64 v[119:120], v[98:99], -v[117:118]
.LBB90_240:
	s_or_b64 exec, exec, s[18:19]
.LBB90_241:
	s_or_b64 exec, exec, s[0:1]
	v_cmp_ne_u32_e32 vcc, v96, v97
	s_and_saveexec_b64 s[0:1], vcc
	s_xor_b64 s[0:1], exec, s[0:1]
	s_cbranch_execz .LBB90_247
; %bb.242:
	v_cmp_eq_u32_e32 vcc, 11, v96
	s_and_saveexec_b64 s[18:19], vcc
	s_cbranch_execz .LBB90_246
; %bb.243:
	v_cmp_ne_u32_e32 vcc, 11, v97
	s_xor_b64 s[20:21], s[6:7], -1
	s_and_b64 s[22:23], s[20:21], vcc
	s_and_saveexec_b64 s[20:21], s[22:23]
	s_cbranch_execz .LBB90_245
; %bb.244:
	buffer_load_dword v85, off, s[24:27], 0 offset:304 ; 4-byte Folded Reload
	buffer_load_dword v86, off, s[24:27], 0 offset:308 ; 4-byte Folded Reload
	v_ashrrev_i32_e32 v98, 31, v97
	v_lshlrev_b64 v[98:99], 2, v[97:98]
	s_waitcnt vmcnt(1)
	v_add_co_u32_e32 v98, vcc, v85, v98
	s_waitcnt vmcnt(0)
	v_addc_co_u32_e32 v99, vcc, v86, v99, vcc
	global_load_dword v0, v[98:99], off
	global_load_dword v96, v[85:86], off offset:44
	s_waitcnt vmcnt(1)
	global_store_dword v[85:86], v0, off offset:44
	s_waitcnt vmcnt(1)
	global_store_dword v[98:99], v96, off
.LBB90_245:
	s_or_b64 exec, exec, s[20:21]
	v_mov_b32_e32 v96, v97
	v_mov_b32_e32 v0, v97
.LBB90_246:
	s_or_b64 exec, exec, s[18:19]
.LBB90_247:
	s_andn2_saveexec_b64 s[0:1], s[0:1]
	s_cbranch_execz .LBB90_249
; %bb.248:
	buffer_load_dword v85, off, s[24:27], 0 offset:144 ; 4-byte Folded Reload
	buffer_load_dword v86, off, s[24:27], 0 offset:148 ; 4-byte Folded Reload
	;; [unrolled: 1-line block ×4, first 2 shown]
	v_mov_b32_e32 v96, 11
	s_waitcnt vmcnt(0)
	ds_write2_b64 v94, v[85:86], v[87:88] offset0:24 offset1:25
	buffer_load_dword v85, off, s[24:27], 0 offset:128 ; 4-byte Folded Reload
	buffer_load_dword v86, off, s[24:27], 0 offset:132 ; 4-byte Folded Reload
	buffer_load_dword v87, off, s[24:27], 0 offset:136 ; 4-byte Folded Reload
	buffer_load_dword v88, off, s[24:27], 0 offset:140 ; 4-byte Folded Reload
	s_waitcnt vmcnt(0)
	ds_write2_b64 v94, v[85:86], v[87:88] offset0:26 offset1:27
	buffer_load_dword v85, off, s[24:27], 0 offset:112 ; 4-byte Folded Reload
	buffer_load_dword v86, off, s[24:27], 0 offset:116 ; 4-byte Folded Reload
	buffer_load_dword v87, off, s[24:27], 0 offset:120 ; 4-byte Folded Reload
	buffer_load_dword v88, off, s[24:27], 0 offset:124 ; 4-byte Folded Reload
	;; [unrolled: 6-line block ×8, first 2 shown]
	s_waitcnt vmcnt(0)
	ds_write2_b64 v94, v[85:86], v[87:88] offset0:40 offset1:41
	buffer_load_dword v85, off, s[24:27], 0 ; 4-byte Folded Reload
	buffer_load_dword v86, off, s[24:27], 0 offset:4 ; 4-byte Folded Reload
	buffer_load_dword v87, off, s[24:27], 0 offset:8 ; 4-byte Folded Reload
	;; [unrolled: 1-line block ×3, first 2 shown]
	s_waitcnt vmcnt(0)
	ds_write2_b64 v94, v[85:86], v[87:88] offset0:42 offset1:43
	ds_write2_b64 v94, v[111:112], v[113:114] offset0:44 offset1:45
	;; [unrolled: 1-line block ×25, first 2 shown]
.LBB90_249:
	s_or_b64 exec, exec, s[0:1]
	v_cmp_lt_i32_e32 vcc, 11, v96
	s_waitcnt vmcnt(0) lgkmcnt(0)
	s_barrier
	s_and_saveexec_b64 s[0:1], vcc
	s_cbranch_execz .LBB90_251
; %bb.250:
	buffer_load_dword v101, off, s[24:27], 0 offset:160 ; 4-byte Folded Reload
	buffer_load_dword v102, off, s[24:27], 0 offset:164 ; 4-byte Folded Reload
	;; [unrolled: 1-line block ×4, first 2 shown]
	s_waitcnt vmcnt(0)
	v_mul_f64 v[97:98], v[119:120], v[103:104]
	v_fma_f64 v[125:126], v[117:118], v[101:102], -v[97:98]
	v_mul_f64 v[97:98], v[117:118], v[103:104]
	v_fma_f64 v[103:104], v[119:120], v[101:102], v[97:98]
	ds_read2_b64 v[97:100], v94 offset0:24 offset1:25
	buffer_load_dword v85, off, s[24:27], 0 offset:144 ; 4-byte Folded Reload
	buffer_load_dword v86, off, s[24:27], 0 offset:148 ; 4-byte Folded Reload
	buffer_load_dword v87, off, s[24:27], 0 offset:152 ; 4-byte Folded Reload
	buffer_load_dword v88, off, s[24:27], 0 offset:156 ; 4-byte Folded Reload
	s_waitcnt lgkmcnt(0)
	v_mul_f64 v[101:102], v[99:100], v[103:104]
	v_fma_f64 v[101:102], v[97:98], v[125:126], -v[101:102]
	v_mul_f64 v[97:98], v[97:98], v[103:104]
	v_fma_f64 v[97:98], v[99:100], v[125:126], v[97:98]
	s_waitcnt vmcnt(2)
	v_add_f64 v[85:86], v[85:86], -v[101:102]
	s_waitcnt vmcnt(0)
	v_add_f64 v[87:88], v[87:88], -v[97:98]
	buffer_store_dword v85, off, s[24:27], 0 offset:144 ; 4-byte Folded Spill
	s_nop 0
	buffer_store_dword v86, off, s[24:27], 0 offset:148 ; 4-byte Folded Spill
	buffer_store_dword v87, off, s[24:27], 0 offset:152 ; 4-byte Folded Spill
	buffer_store_dword v88, off, s[24:27], 0 offset:156 ; 4-byte Folded Spill
	ds_read2_b64 v[97:100], v94 offset0:26 offset1:27
	buffer_load_dword v85, off, s[24:27], 0 offset:128 ; 4-byte Folded Reload
	buffer_load_dword v86, off, s[24:27], 0 offset:132 ; 4-byte Folded Reload
	buffer_load_dword v87, off, s[24:27], 0 offset:136 ; 4-byte Folded Reload
	buffer_load_dword v88, off, s[24:27], 0 offset:140 ; 4-byte Folded Reload
	s_waitcnt lgkmcnt(0)
	v_mul_f64 v[101:102], v[99:100], v[103:104]
	v_fma_f64 v[101:102], v[97:98], v[125:126], -v[101:102]
	v_mul_f64 v[97:98], v[97:98], v[103:104]
	v_fma_f64 v[97:98], v[99:100], v[125:126], v[97:98]
	s_waitcnt vmcnt(2)
	v_add_f64 v[85:86], v[85:86], -v[101:102]
	s_waitcnt vmcnt(0)
	v_add_f64 v[87:88], v[87:88], -v[97:98]
	buffer_store_dword v85, off, s[24:27], 0 offset:128 ; 4-byte Folded Spill
	s_nop 0
	buffer_store_dword v86, off, s[24:27], 0 offset:132 ; 4-byte Folded Spill
	buffer_store_dword v87, off, s[24:27], 0 offset:136 ; 4-byte Folded Spill
	buffer_store_dword v88, off, s[24:27], 0 offset:140 ; 4-byte Folded Spill
	;; [unrolled: 19-line block ×9, first 2 shown]
	ds_read2_b64 v[97:100], v94 offset0:42 offset1:43
	buffer_load_dword v85, off, s[24:27], 0 ; 4-byte Folded Reload
	buffer_load_dword v86, off, s[24:27], 0 offset:4 ; 4-byte Folded Reload
	buffer_load_dword v87, off, s[24:27], 0 offset:8 ; 4-byte Folded Reload
	;; [unrolled: 1-line block ×3, first 2 shown]
	s_waitcnt lgkmcnt(0)
	v_mul_f64 v[101:102], v[99:100], v[103:104]
	v_fma_f64 v[101:102], v[97:98], v[125:126], -v[101:102]
	v_mul_f64 v[97:98], v[97:98], v[103:104]
	v_fma_f64 v[97:98], v[99:100], v[125:126], v[97:98]
	s_waitcnt vmcnt(2)
	v_add_f64 v[85:86], v[85:86], -v[101:102]
	s_waitcnt vmcnt(0)
	v_add_f64 v[87:88], v[87:88], -v[97:98]
	buffer_store_dword v85, off, s[24:27], 0 ; 4-byte Folded Spill
	s_nop 0
	buffer_store_dword v86, off, s[24:27], 0 offset:4 ; 4-byte Folded Spill
	buffer_store_dword v87, off, s[24:27], 0 offset:8 ; 4-byte Folded Spill
	buffer_store_dword v88, off, s[24:27], 0 offset:12 ; 4-byte Folded Spill
	ds_read2_b64 v[97:100], v94 offset0:44 offset1:45
	s_waitcnt lgkmcnt(0)
	v_mul_f64 v[101:102], v[99:100], v[103:104]
	v_fma_f64 v[101:102], v[97:98], v[125:126], -v[101:102]
	v_mul_f64 v[97:98], v[97:98], v[103:104]
	v_add_f64 v[111:112], v[111:112], -v[101:102]
	v_fma_f64 v[97:98], v[99:100], v[125:126], v[97:98]
	v_add_f64 v[113:114], v[113:114], -v[97:98]
	ds_read2_b64 v[97:100], v94 offset0:46 offset1:47
	s_waitcnt lgkmcnt(0)
	v_mul_f64 v[101:102], v[99:100], v[103:104]
	v_fma_f64 v[101:102], v[97:98], v[125:126], -v[101:102]
	v_mul_f64 v[97:98], v[97:98], v[103:104]
	v_add_f64 v[89:90], v[89:90], -v[101:102]
	v_fma_f64 v[97:98], v[99:100], v[125:126], v[97:98]
	v_add_f64 v[91:92], v[91:92], -v[97:98]
	;; [unrolled: 8-line block ×23, first 2 shown]
	ds_read2_b64 v[97:100], v94 offset0:90 offset1:91
	s_waitcnt lgkmcnt(0)
	v_mul_f64 v[101:102], v[99:100], v[103:104]
	v_fma_f64 v[101:102], v[97:98], v[125:126], -v[101:102]
	v_mul_f64 v[97:98], v[97:98], v[103:104]
	v_add_f64 v[121:122], v[121:122], -v[101:102]
	v_fma_f64 v[97:98], v[99:100], v[125:126], v[97:98]
	v_mov_b32_e32 v101, v125
	v_mov_b32_e32 v102, v126
	buffer_store_dword v101, off, s[24:27], 0 offset:160 ; 4-byte Folded Spill
	s_nop 0
	buffer_store_dword v102, off, s[24:27], 0 offset:164 ; 4-byte Folded Spill
	buffer_store_dword v103, off, s[24:27], 0 offset:168 ; 4-byte Folded Spill
	;; [unrolled: 1-line block ×3, first 2 shown]
	v_add_f64 v[123:124], v[123:124], -v[97:98]
.LBB90_251:
	s_or_b64 exec, exec, s[0:1]
	s_waitcnt vmcnt(0)
	s_barrier
	buffer_load_dword v85, off, s[24:27], 0 offset:144 ; 4-byte Folded Reload
	buffer_load_dword v86, off, s[24:27], 0 offset:148 ; 4-byte Folded Reload
	;; [unrolled: 1-line block ×4, first 2 shown]
	v_lshl_add_u32 v97, v96, 4, v94
	s_cmp_lt_i32 s3, 14
	s_waitcnt vmcnt(0)
	ds_write2_b64 v97, v[85:86], v[87:88] offset1:1
	s_waitcnt lgkmcnt(0)
	s_barrier
	ds_read2_b64 v[117:120], v94 offset0:24 offset1:25
	v_mov_b32_e32 v97, 12
	s_cbranch_scc1 .LBB90_254
; %bb.252:
	v_add_u32_e32 v98, 0xd0, v94
	s_mov_b32 s0, 13
	v_mov_b32_e32 v97, 12
.LBB90_253:                             ; =>This Inner Loop Header: Depth=1
	s_waitcnt lgkmcnt(0)
	v_cmp_gt_f64_e32 vcc, 0, v[117:118]
	v_xor_b32_e32 v103, 0x80000000, v118
	ds_read2_b64 v[99:102], v98 offset1:1
	v_xor_b32_e32 v105, 0x80000000, v120
	v_add_u32_e32 v98, 16, v98
	s_waitcnt lgkmcnt(0)
	v_xor_b32_e32 v107, 0x80000000, v102
	v_cndmask_b32_e32 v104, v118, v103, vcc
	v_cmp_gt_f64_e32 vcc, 0, v[119:120]
	v_mov_b32_e32 v103, v117
	v_cndmask_b32_e32 v106, v120, v105, vcc
	v_cmp_gt_f64_e32 vcc, 0, v[99:100]
	v_mov_b32_e32 v105, v119
	v_add_f64 v[103:104], v[103:104], v[105:106]
	v_xor_b32_e32 v105, 0x80000000, v100
	v_cndmask_b32_e32 v106, v100, v105, vcc
	v_cmp_gt_f64_e32 vcc, 0, v[101:102]
	v_mov_b32_e32 v105, v99
	v_cndmask_b32_e32 v108, v102, v107, vcc
	v_mov_b32_e32 v107, v101
	v_add_f64 v[105:106], v[105:106], v[107:108]
	v_cmp_lt_f64_e32 vcc, v[103:104], v[105:106]
	v_cndmask_b32_e32 v117, v117, v99, vcc
	v_mov_b32_e32 v99, s0
	s_add_i32 s0, s0, 1
	v_cndmask_b32_e32 v118, v118, v100, vcc
	v_cndmask_b32_e32 v120, v120, v102, vcc
	;; [unrolled: 1-line block ×4, first 2 shown]
	s_cmp_lg_u32 s3, s0
	s_cbranch_scc1 .LBB90_253
.LBB90_254:
	s_waitcnt lgkmcnt(0)
	v_cmp_eq_f64_e32 vcc, 0, v[117:118]
	v_cmp_eq_f64_e64 s[0:1], 0, v[119:120]
	s_and_b64 s[0:1], vcc, s[0:1]
	s_and_saveexec_b64 s[18:19], s[0:1]
	s_xor_b64 s[0:1], exec, s[18:19]
; %bb.255:
	v_cmp_ne_u32_e32 vcc, 0, v95
	v_cndmask_b32_e32 v95, 13, v95, vcc
; %bb.256:
	s_andn2_saveexec_b64 s[0:1], s[0:1]
	s_cbranch_execz .LBB90_262
; %bb.257:
	v_cmp_ngt_f64_e64 s[18:19], |v[117:118]|, |v[119:120]|
	s_and_saveexec_b64 s[20:21], s[18:19]
	s_xor_b64 s[18:19], exec, s[20:21]
	s_cbranch_execz .LBB90_259
; %bb.258:
	v_div_scale_f64 v[98:99], s[20:21], v[119:120], v[119:120], v[117:118]
	v_rcp_f64_e32 v[100:101], v[98:99]
	v_fma_f64 v[102:103], -v[98:99], v[100:101], 1.0
	v_fma_f64 v[100:101], v[100:101], v[102:103], v[100:101]
	v_div_scale_f64 v[102:103], vcc, v[117:118], v[119:120], v[117:118]
	v_fma_f64 v[104:105], -v[98:99], v[100:101], 1.0
	v_fma_f64 v[100:101], v[100:101], v[104:105], v[100:101]
	v_mul_f64 v[104:105], v[102:103], v[100:101]
	v_fma_f64 v[98:99], -v[98:99], v[104:105], v[102:103]
	v_div_fmas_f64 v[98:99], v[98:99], v[100:101], v[104:105]
	v_div_fixup_f64 v[98:99], v[98:99], v[119:120], v[117:118]
	v_fma_f64 v[100:101], v[117:118], v[98:99], v[119:120]
	v_div_scale_f64 v[102:103], s[20:21], v[100:101], v[100:101], 1.0
	v_div_scale_f64 v[108:109], vcc, 1.0, v[100:101], 1.0
	v_rcp_f64_e32 v[104:105], v[102:103]
	v_fma_f64 v[106:107], -v[102:103], v[104:105], 1.0
	v_fma_f64 v[104:105], v[104:105], v[106:107], v[104:105]
	v_fma_f64 v[106:107], -v[102:103], v[104:105], 1.0
	v_fma_f64 v[104:105], v[104:105], v[106:107], v[104:105]
	v_mul_f64 v[106:107], v[108:109], v[104:105]
	v_fma_f64 v[102:103], -v[102:103], v[106:107], v[108:109]
	v_div_fmas_f64 v[102:103], v[102:103], v[104:105], v[106:107]
	v_div_fixup_f64 v[119:120], v[102:103], v[100:101], 1.0
	v_mul_f64 v[117:118], v[98:99], v[119:120]
	v_xor_b32_e32 v120, 0x80000000, v120
.LBB90_259:
	s_andn2_saveexec_b64 s[18:19], s[18:19]
	s_cbranch_execz .LBB90_261
; %bb.260:
	v_div_scale_f64 v[98:99], s[20:21], v[117:118], v[117:118], v[119:120]
	v_rcp_f64_e32 v[100:101], v[98:99]
	v_fma_f64 v[102:103], -v[98:99], v[100:101], 1.0
	v_fma_f64 v[100:101], v[100:101], v[102:103], v[100:101]
	v_div_scale_f64 v[102:103], vcc, v[119:120], v[117:118], v[119:120]
	v_fma_f64 v[104:105], -v[98:99], v[100:101], 1.0
	v_fma_f64 v[100:101], v[100:101], v[104:105], v[100:101]
	v_mul_f64 v[104:105], v[102:103], v[100:101]
	v_fma_f64 v[98:99], -v[98:99], v[104:105], v[102:103]
	v_div_fmas_f64 v[98:99], v[98:99], v[100:101], v[104:105]
	v_div_fixup_f64 v[98:99], v[98:99], v[117:118], v[119:120]
	v_fma_f64 v[100:101], v[119:120], v[98:99], v[117:118]
	v_div_scale_f64 v[102:103], s[20:21], v[100:101], v[100:101], 1.0
	v_div_scale_f64 v[108:109], vcc, 1.0, v[100:101], 1.0
	v_rcp_f64_e32 v[104:105], v[102:103]
	v_fma_f64 v[106:107], -v[102:103], v[104:105], 1.0
	v_fma_f64 v[104:105], v[104:105], v[106:107], v[104:105]
	v_fma_f64 v[106:107], -v[102:103], v[104:105], 1.0
	v_fma_f64 v[104:105], v[104:105], v[106:107], v[104:105]
	v_mul_f64 v[106:107], v[108:109], v[104:105]
	v_fma_f64 v[102:103], -v[102:103], v[106:107], v[108:109]
	v_div_fmas_f64 v[102:103], v[102:103], v[104:105], v[106:107]
	v_div_fixup_f64 v[117:118], v[102:103], v[100:101], 1.0
	v_mul_f64 v[119:120], v[98:99], -v[117:118]
.LBB90_261:
	s_or_b64 exec, exec, s[18:19]
.LBB90_262:
	s_or_b64 exec, exec, s[0:1]
	v_cmp_ne_u32_e32 vcc, v96, v97
	s_and_saveexec_b64 s[0:1], vcc
	s_xor_b64 s[0:1], exec, s[0:1]
	s_cbranch_execz .LBB90_268
; %bb.263:
	v_cmp_eq_u32_e32 vcc, 12, v96
	s_and_saveexec_b64 s[18:19], vcc
	s_cbranch_execz .LBB90_267
; %bb.264:
	v_cmp_ne_u32_e32 vcc, 12, v97
	s_xor_b64 s[20:21], s[6:7], -1
	s_and_b64 s[22:23], s[20:21], vcc
	s_and_saveexec_b64 s[20:21], s[22:23]
	s_cbranch_execz .LBB90_266
; %bb.265:
	buffer_load_dword v85, off, s[24:27], 0 offset:304 ; 4-byte Folded Reload
	buffer_load_dword v86, off, s[24:27], 0 offset:308 ; 4-byte Folded Reload
	v_ashrrev_i32_e32 v98, 31, v97
	v_lshlrev_b64 v[98:99], 2, v[97:98]
	s_waitcnt vmcnt(1)
	v_add_co_u32_e32 v98, vcc, v85, v98
	s_waitcnt vmcnt(0)
	v_addc_co_u32_e32 v99, vcc, v86, v99, vcc
	global_load_dword v0, v[98:99], off
	global_load_dword v96, v[85:86], off offset:48
	s_waitcnt vmcnt(1)
	global_store_dword v[85:86], v0, off offset:48
	s_waitcnt vmcnt(1)
	global_store_dword v[98:99], v96, off
.LBB90_266:
	s_or_b64 exec, exec, s[20:21]
	v_mov_b32_e32 v96, v97
	v_mov_b32_e32 v0, v97
.LBB90_267:
	s_or_b64 exec, exec, s[18:19]
.LBB90_268:
	s_andn2_saveexec_b64 s[0:1], s[0:1]
	s_cbranch_execz .LBB90_270
; %bb.269:
	buffer_load_dword v85, off, s[24:27], 0 offset:128 ; 4-byte Folded Reload
	buffer_load_dword v86, off, s[24:27], 0 offset:132 ; 4-byte Folded Reload
	;; [unrolled: 1-line block ×4, first 2 shown]
	v_mov_b32_e32 v96, 12
	s_waitcnt vmcnt(0)
	ds_write2_b64 v94, v[85:86], v[87:88] offset0:26 offset1:27
	buffer_load_dword v85, off, s[24:27], 0 offset:112 ; 4-byte Folded Reload
	buffer_load_dword v86, off, s[24:27], 0 offset:116 ; 4-byte Folded Reload
	buffer_load_dword v87, off, s[24:27], 0 offset:120 ; 4-byte Folded Reload
	buffer_load_dword v88, off, s[24:27], 0 offset:124 ; 4-byte Folded Reload
	s_waitcnt vmcnt(0)
	ds_write2_b64 v94, v[85:86], v[87:88] offset0:28 offset1:29
	buffer_load_dword v85, off, s[24:27], 0 offset:96 ; 4-byte Folded Reload
	buffer_load_dword v86, off, s[24:27], 0 offset:100 ; 4-byte Folded Reload
	buffer_load_dword v87, off, s[24:27], 0 offset:104 ; 4-byte Folded Reload
	buffer_load_dword v88, off, s[24:27], 0 offset:108 ; 4-byte Folded Reload
	s_waitcnt vmcnt(0)
	ds_write2_b64 v94, v[85:86], v[87:88] offset0:30 offset1:31
	buffer_load_dword v85, off, s[24:27], 0 offset:80 ; 4-byte Folded Reload
	buffer_load_dword v86, off, s[24:27], 0 offset:84 ; 4-byte Folded Reload
	buffer_load_dword v87, off, s[24:27], 0 offset:88 ; 4-byte Folded Reload
	buffer_load_dword v88, off, s[24:27], 0 offset:92 ; 4-byte Folded Reload
	s_waitcnt vmcnt(0)
	ds_write2_b64 v94, v[85:86], v[87:88] offset0:32 offset1:33
	buffer_load_dword v85, off, s[24:27], 0 offset:64 ; 4-byte Folded Reload
	buffer_load_dword v86, off, s[24:27], 0 offset:68 ; 4-byte Folded Reload
	buffer_load_dword v87, off, s[24:27], 0 offset:72 ; 4-byte Folded Reload
	buffer_load_dword v88, off, s[24:27], 0 offset:76 ; 4-byte Folded Reload
	s_waitcnt vmcnt(0)
	ds_write2_b64 v94, v[85:86], v[87:88] offset0:34 offset1:35
	buffer_load_dword v85, off, s[24:27], 0 offset:48 ; 4-byte Folded Reload
	buffer_load_dword v86, off, s[24:27], 0 offset:52 ; 4-byte Folded Reload
	buffer_load_dword v87, off, s[24:27], 0 offset:56 ; 4-byte Folded Reload
	buffer_load_dword v88, off, s[24:27], 0 offset:60 ; 4-byte Folded Reload
	s_waitcnt vmcnt(0)
	ds_write2_b64 v94, v[85:86], v[87:88] offset0:36 offset1:37
	buffer_load_dword v85, off, s[24:27], 0 offset:32 ; 4-byte Folded Reload
	buffer_load_dword v86, off, s[24:27], 0 offset:36 ; 4-byte Folded Reload
	buffer_load_dword v87, off, s[24:27], 0 offset:40 ; 4-byte Folded Reload
	buffer_load_dword v88, off, s[24:27], 0 offset:44 ; 4-byte Folded Reload
	s_waitcnt vmcnt(0)
	ds_write2_b64 v94, v[85:86], v[87:88] offset0:38 offset1:39
	buffer_load_dword v85, off, s[24:27], 0 offset:16 ; 4-byte Folded Reload
	buffer_load_dword v86, off, s[24:27], 0 offset:20 ; 4-byte Folded Reload
	buffer_load_dword v87, off, s[24:27], 0 offset:24 ; 4-byte Folded Reload
	buffer_load_dword v88, off, s[24:27], 0 offset:28 ; 4-byte Folded Reload
	s_waitcnt vmcnt(0)
	ds_write2_b64 v94, v[85:86], v[87:88] offset0:40 offset1:41
	buffer_load_dword v85, off, s[24:27], 0 ; 4-byte Folded Reload
	buffer_load_dword v86, off, s[24:27], 0 offset:4 ; 4-byte Folded Reload
	buffer_load_dword v87, off, s[24:27], 0 offset:8 ; 4-byte Folded Reload
	;; [unrolled: 1-line block ×3, first 2 shown]
	s_waitcnt vmcnt(0)
	ds_write2_b64 v94, v[85:86], v[87:88] offset0:42 offset1:43
	ds_write2_b64 v94, v[111:112], v[113:114] offset0:44 offset1:45
	;; [unrolled: 1-line block ×25, first 2 shown]
.LBB90_270:
	s_or_b64 exec, exec, s[0:1]
	v_cmp_lt_i32_e32 vcc, 12, v96
	s_waitcnt vmcnt(0) lgkmcnt(0)
	s_barrier
	s_and_saveexec_b64 s[0:1], vcc
	s_cbranch_execz .LBB90_272
; %bb.271:
	buffer_load_dword v101, off, s[24:27], 0 offset:144 ; 4-byte Folded Reload
	buffer_load_dword v102, off, s[24:27], 0 offset:148 ; 4-byte Folded Reload
	buffer_load_dword v103, off, s[24:27], 0 offset:152 ; 4-byte Folded Reload
	buffer_load_dword v104, off, s[24:27], 0 offset:156 ; 4-byte Folded Reload
	s_waitcnt vmcnt(0)
	v_mul_f64 v[97:98], v[119:120], v[103:104]
	v_fma_f64 v[125:126], v[117:118], v[101:102], -v[97:98]
	v_mul_f64 v[97:98], v[117:118], v[103:104]
	v_fma_f64 v[103:104], v[119:120], v[101:102], v[97:98]
	ds_read2_b64 v[97:100], v94 offset0:26 offset1:27
	buffer_load_dword v85, off, s[24:27], 0 offset:128 ; 4-byte Folded Reload
	buffer_load_dword v86, off, s[24:27], 0 offset:132 ; 4-byte Folded Reload
	buffer_load_dword v87, off, s[24:27], 0 offset:136 ; 4-byte Folded Reload
	buffer_load_dword v88, off, s[24:27], 0 offset:140 ; 4-byte Folded Reload
	s_waitcnt lgkmcnt(0)
	v_mul_f64 v[101:102], v[99:100], v[103:104]
	v_fma_f64 v[101:102], v[97:98], v[125:126], -v[101:102]
	v_mul_f64 v[97:98], v[97:98], v[103:104]
	v_fma_f64 v[97:98], v[99:100], v[125:126], v[97:98]
	s_waitcnt vmcnt(2)
	v_add_f64 v[85:86], v[85:86], -v[101:102]
	s_waitcnt vmcnt(0)
	v_add_f64 v[87:88], v[87:88], -v[97:98]
	buffer_store_dword v85, off, s[24:27], 0 offset:128 ; 4-byte Folded Spill
	s_nop 0
	buffer_store_dword v86, off, s[24:27], 0 offset:132 ; 4-byte Folded Spill
	buffer_store_dword v87, off, s[24:27], 0 offset:136 ; 4-byte Folded Spill
	buffer_store_dword v88, off, s[24:27], 0 offset:140 ; 4-byte Folded Spill
	ds_read2_b64 v[97:100], v94 offset0:28 offset1:29
	buffer_load_dword v85, off, s[24:27], 0 offset:112 ; 4-byte Folded Reload
	buffer_load_dword v86, off, s[24:27], 0 offset:116 ; 4-byte Folded Reload
	buffer_load_dword v87, off, s[24:27], 0 offset:120 ; 4-byte Folded Reload
	buffer_load_dword v88, off, s[24:27], 0 offset:124 ; 4-byte Folded Reload
	s_waitcnt lgkmcnt(0)
	v_mul_f64 v[101:102], v[99:100], v[103:104]
	v_fma_f64 v[101:102], v[97:98], v[125:126], -v[101:102]
	v_mul_f64 v[97:98], v[97:98], v[103:104]
	v_fma_f64 v[97:98], v[99:100], v[125:126], v[97:98]
	s_waitcnt vmcnt(2)
	v_add_f64 v[85:86], v[85:86], -v[101:102]
	s_waitcnt vmcnt(0)
	v_add_f64 v[87:88], v[87:88], -v[97:98]
	buffer_store_dword v85, off, s[24:27], 0 offset:112 ; 4-byte Folded Spill
	s_nop 0
	buffer_store_dword v86, off, s[24:27], 0 offset:116 ; 4-byte Folded Spill
	buffer_store_dword v87, off, s[24:27], 0 offset:120 ; 4-byte Folded Spill
	buffer_store_dword v88, off, s[24:27], 0 offset:124 ; 4-byte Folded Spill
	;; [unrolled: 19-line block ×8, first 2 shown]
	ds_read2_b64 v[97:100], v94 offset0:42 offset1:43
	buffer_load_dword v85, off, s[24:27], 0 ; 4-byte Folded Reload
	buffer_load_dword v86, off, s[24:27], 0 offset:4 ; 4-byte Folded Reload
	buffer_load_dword v87, off, s[24:27], 0 offset:8 ; 4-byte Folded Reload
	;; [unrolled: 1-line block ×3, first 2 shown]
	s_waitcnt lgkmcnt(0)
	v_mul_f64 v[101:102], v[99:100], v[103:104]
	v_fma_f64 v[101:102], v[97:98], v[125:126], -v[101:102]
	v_mul_f64 v[97:98], v[97:98], v[103:104]
	v_fma_f64 v[97:98], v[99:100], v[125:126], v[97:98]
	s_waitcnt vmcnt(2)
	v_add_f64 v[85:86], v[85:86], -v[101:102]
	s_waitcnt vmcnt(0)
	v_add_f64 v[87:88], v[87:88], -v[97:98]
	buffer_store_dword v85, off, s[24:27], 0 ; 4-byte Folded Spill
	s_nop 0
	buffer_store_dword v86, off, s[24:27], 0 offset:4 ; 4-byte Folded Spill
	buffer_store_dword v87, off, s[24:27], 0 offset:8 ; 4-byte Folded Spill
	;; [unrolled: 1-line block ×3, first 2 shown]
	ds_read2_b64 v[97:100], v94 offset0:44 offset1:45
	s_waitcnt lgkmcnt(0)
	v_mul_f64 v[101:102], v[99:100], v[103:104]
	v_fma_f64 v[101:102], v[97:98], v[125:126], -v[101:102]
	v_mul_f64 v[97:98], v[97:98], v[103:104]
	v_add_f64 v[111:112], v[111:112], -v[101:102]
	v_fma_f64 v[97:98], v[99:100], v[125:126], v[97:98]
	v_add_f64 v[113:114], v[113:114], -v[97:98]
	ds_read2_b64 v[97:100], v94 offset0:46 offset1:47
	s_waitcnt lgkmcnt(0)
	v_mul_f64 v[101:102], v[99:100], v[103:104]
	v_fma_f64 v[101:102], v[97:98], v[125:126], -v[101:102]
	v_mul_f64 v[97:98], v[97:98], v[103:104]
	v_add_f64 v[89:90], v[89:90], -v[101:102]
	v_fma_f64 v[97:98], v[99:100], v[125:126], v[97:98]
	v_add_f64 v[91:92], v[91:92], -v[97:98]
	;; [unrolled: 8-line block ×23, first 2 shown]
	ds_read2_b64 v[97:100], v94 offset0:90 offset1:91
	s_waitcnt lgkmcnt(0)
	v_mul_f64 v[101:102], v[99:100], v[103:104]
	v_fma_f64 v[101:102], v[97:98], v[125:126], -v[101:102]
	v_mul_f64 v[97:98], v[97:98], v[103:104]
	v_add_f64 v[121:122], v[121:122], -v[101:102]
	v_fma_f64 v[97:98], v[99:100], v[125:126], v[97:98]
	v_mov_b32_e32 v101, v125
	v_mov_b32_e32 v102, v126
	buffer_store_dword v101, off, s[24:27], 0 offset:144 ; 4-byte Folded Spill
	s_nop 0
	buffer_store_dword v102, off, s[24:27], 0 offset:148 ; 4-byte Folded Spill
	buffer_store_dword v103, off, s[24:27], 0 offset:152 ; 4-byte Folded Spill
	;; [unrolled: 1-line block ×3, first 2 shown]
	v_add_f64 v[123:124], v[123:124], -v[97:98]
.LBB90_272:
	s_or_b64 exec, exec, s[0:1]
	s_waitcnt vmcnt(0)
	s_barrier
	buffer_load_dword v85, off, s[24:27], 0 offset:128 ; 4-byte Folded Reload
	buffer_load_dword v86, off, s[24:27], 0 offset:132 ; 4-byte Folded Reload
	;; [unrolled: 1-line block ×4, first 2 shown]
	v_lshl_add_u32 v97, v96, 4, v94
	s_cmp_lt_i32 s3, 15
	s_waitcnt vmcnt(0)
	ds_write2_b64 v97, v[85:86], v[87:88] offset1:1
	s_waitcnt lgkmcnt(0)
	s_barrier
	ds_read2_b64 v[117:120], v94 offset0:26 offset1:27
	v_mov_b32_e32 v97, 13
	s_cbranch_scc1 .LBB90_275
; %bb.273:
	v_add_u32_e32 v98, 0xe0, v94
	s_mov_b32 s0, 14
	v_mov_b32_e32 v97, 13
.LBB90_274:                             ; =>This Inner Loop Header: Depth=1
	s_waitcnt lgkmcnt(0)
	v_cmp_gt_f64_e32 vcc, 0, v[117:118]
	v_xor_b32_e32 v103, 0x80000000, v118
	ds_read2_b64 v[99:102], v98 offset1:1
	v_xor_b32_e32 v105, 0x80000000, v120
	v_add_u32_e32 v98, 16, v98
	s_waitcnt lgkmcnt(0)
	v_xor_b32_e32 v107, 0x80000000, v102
	v_cndmask_b32_e32 v104, v118, v103, vcc
	v_cmp_gt_f64_e32 vcc, 0, v[119:120]
	v_mov_b32_e32 v103, v117
	v_cndmask_b32_e32 v106, v120, v105, vcc
	v_cmp_gt_f64_e32 vcc, 0, v[99:100]
	v_mov_b32_e32 v105, v119
	v_add_f64 v[103:104], v[103:104], v[105:106]
	v_xor_b32_e32 v105, 0x80000000, v100
	v_cndmask_b32_e32 v106, v100, v105, vcc
	v_cmp_gt_f64_e32 vcc, 0, v[101:102]
	v_mov_b32_e32 v105, v99
	v_cndmask_b32_e32 v108, v102, v107, vcc
	v_mov_b32_e32 v107, v101
	v_add_f64 v[105:106], v[105:106], v[107:108]
	v_cmp_lt_f64_e32 vcc, v[103:104], v[105:106]
	v_cndmask_b32_e32 v117, v117, v99, vcc
	v_mov_b32_e32 v99, s0
	s_add_i32 s0, s0, 1
	v_cndmask_b32_e32 v118, v118, v100, vcc
	v_cndmask_b32_e32 v120, v120, v102, vcc
	;; [unrolled: 1-line block ×4, first 2 shown]
	s_cmp_lg_u32 s3, s0
	s_cbranch_scc1 .LBB90_274
.LBB90_275:
	s_waitcnt lgkmcnt(0)
	v_cmp_eq_f64_e32 vcc, 0, v[117:118]
	v_cmp_eq_f64_e64 s[0:1], 0, v[119:120]
	s_and_b64 s[0:1], vcc, s[0:1]
	s_and_saveexec_b64 s[18:19], s[0:1]
	s_xor_b64 s[0:1], exec, s[18:19]
; %bb.276:
	v_cmp_ne_u32_e32 vcc, 0, v95
	v_cndmask_b32_e32 v95, 14, v95, vcc
; %bb.277:
	s_andn2_saveexec_b64 s[0:1], s[0:1]
	s_cbranch_execz .LBB90_283
; %bb.278:
	v_cmp_ngt_f64_e64 s[18:19], |v[117:118]|, |v[119:120]|
	s_and_saveexec_b64 s[20:21], s[18:19]
	s_xor_b64 s[18:19], exec, s[20:21]
	s_cbranch_execz .LBB90_280
; %bb.279:
	v_div_scale_f64 v[98:99], s[20:21], v[119:120], v[119:120], v[117:118]
	v_rcp_f64_e32 v[100:101], v[98:99]
	v_fma_f64 v[102:103], -v[98:99], v[100:101], 1.0
	v_fma_f64 v[100:101], v[100:101], v[102:103], v[100:101]
	v_div_scale_f64 v[102:103], vcc, v[117:118], v[119:120], v[117:118]
	v_fma_f64 v[104:105], -v[98:99], v[100:101], 1.0
	v_fma_f64 v[100:101], v[100:101], v[104:105], v[100:101]
	v_mul_f64 v[104:105], v[102:103], v[100:101]
	v_fma_f64 v[98:99], -v[98:99], v[104:105], v[102:103]
	v_div_fmas_f64 v[98:99], v[98:99], v[100:101], v[104:105]
	v_div_fixup_f64 v[98:99], v[98:99], v[119:120], v[117:118]
	v_fma_f64 v[100:101], v[117:118], v[98:99], v[119:120]
	v_div_scale_f64 v[102:103], s[20:21], v[100:101], v[100:101], 1.0
	v_div_scale_f64 v[108:109], vcc, 1.0, v[100:101], 1.0
	v_rcp_f64_e32 v[104:105], v[102:103]
	v_fma_f64 v[106:107], -v[102:103], v[104:105], 1.0
	v_fma_f64 v[104:105], v[104:105], v[106:107], v[104:105]
	v_fma_f64 v[106:107], -v[102:103], v[104:105], 1.0
	v_fma_f64 v[104:105], v[104:105], v[106:107], v[104:105]
	v_mul_f64 v[106:107], v[108:109], v[104:105]
	v_fma_f64 v[102:103], -v[102:103], v[106:107], v[108:109]
	v_div_fmas_f64 v[102:103], v[102:103], v[104:105], v[106:107]
	v_div_fixup_f64 v[119:120], v[102:103], v[100:101], 1.0
	v_mul_f64 v[117:118], v[98:99], v[119:120]
	v_xor_b32_e32 v120, 0x80000000, v120
.LBB90_280:
	s_andn2_saveexec_b64 s[18:19], s[18:19]
	s_cbranch_execz .LBB90_282
; %bb.281:
	v_div_scale_f64 v[98:99], s[20:21], v[117:118], v[117:118], v[119:120]
	v_rcp_f64_e32 v[100:101], v[98:99]
	v_fma_f64 v[102:103], -v[98:99], v[100:101], 1.0
	v_fma_f64 v[100:101], v[100:101], v[102:103], v[100:101]
	v_div_scale_f64 v[102:103], vcc, v[119:120], v[117:118], v[119:120]
	v_fma_f64 v[104:105], -v[98:99], v[100:101], 1.0
	v_fma_f64 v[100:101], v[100:101], v[104:105], v[100:101]
	v_mul_f64 v[104:105], v[102:103], v[100:101]
	v_fma_f64 v[98:99], -v[98:99], v[104:105], v[102:103]
	v_div_fmas_f64 v[98:99], v[98:99], v[100:101], v[104:105]
	v_div_fixup_f64 v[98:99], v[98:99], v[117:118], v[119:120]
	v_fma_f64 v[100:101], v[119:120], v[98:99], v[117:118]
	v_div_scale_f64 v[102:103], s[20:21], v[100:101], v[100:101], 1.0
	v_div_scale_f64 v[108:109], vcc, 1.0, v[100:101], 1.0
	v_rcp_f64_e32 v[104:105], v[102:103]
	v_fma_f64 v[106:107], -v[102:103], v[104:105], 1.0
	v_fma_f64 v[104:105], v[104:105], v[106:107], v[104:105]
	v_fma_f64 v[106:107], -v[102:103], v[104:105], 1.0
	v_fma_f64 v[104:105], v[104:105], v[106:107], v[104:105]
	v_mul_f64 v[106:107], v[108:109], v[104:105]
	v_fma_f64 v[102:103], -v[102:103], v[106:107], v[108:109]
	v_div_fmas_f64 v[102:103], v[102:103], v[104:105], v[106:107]
	v_div_fixup_f64 v[117:118], v[102:103], v[100:101], 1.0
	v_mul_f64 v[119:120], v[98:99], -v[117:118]
.LBB90_282:
	s_or_b64 exec, exec, s[18:19]
.LBB90_283:
	s_or_b64 exec, exec, s[0:1]
	v_cmp_ne_u32_e32 vcc, v96, v97
	s_and_saveexec_b64 s[0:1], vcc
	s_xor_b64 s[0:1], exec, s[0:1]
	s_cbranch_execz .LBB90_289
; %bb.284:
	v_cmp_eq_u32_e32 vcc, 13, v96
	s_and_saveexec_b64 s[18:19], vcc
	s_cbranch_execz .LBB90_288
; %bb.285:
	v_cmp_ne_u32_e32 vcc, 13, v97
	s_xor_b64 s[20:21], s[6:7], -1
	s_and_b64 s[22:23], s[20:21], vcc
	s_and_saveexec_b64 s[20:21], s[22:23]
	s_cbranch_execz .LBB90_287
; %bb.286:
	buffer_load_dword v85, off, s[24:27], 0 offset:304 ; 4-byte Folded Reload
	buffer_load_dword v86, off, s[24:27], 0 offset:308 ; 4-byte Folded Reload
	v_ashrrev_i32_e32 v98, 31, v97
	v_lshlrev_b64 v[98:99], 2, v[97:98]
	s_waitcnt vmcnt(1)
	v_add_co_u32_e32 v98, vcc, v85, v98
	s_waitcnt vmcnt(0)
	v_addc_co_u32_e32 v99, vcc, v86, v99, vcc
	global_load_dword v0, v[98:99], off
	global_load_dword v96, v[85:86], off offset:52
	s_waitcnt vmcnt(1)
	global_store_dword v[85:86], v0, off offset:52
	s_waitcnt vmcnt(1)
	global_store_dword v[98:99], v96, off
.LBB90_287:
	s_or_b64 exec, exec, s[20:21]
	v_mov_b32_e32 v96, v97
	v_mov_b32_e32 v0, v97
.LBB90_288:
	s_or_b64 exec, exec, s[18:19]
.LBB90_289:
	s_andn2_saveexec_b64 s[0:1], s[0:1]
	s_cbranch_execz .LBB90_291
; %bb.290:
	buffer_load_dword v85, off, s[24:27], 0 offset:112 ; 4-byte Folded Reload
	buffer_load_dword v86, off, s[24:27], 0 offset:116 ; 4-byte Folded Reload
	;; [unrolled: 1-line block ×4, first 2 shown]
	v_mov_b32_e32 v96, 13
	s_waitcnt vmcnt(0)
	ds_write2_b64 v94, v[85:86], v[87:88] offset0:28 offset1:29
	buffer_load_dword v85, off, s[24:27], 0 offset:96 ; 4-byte Folded Reload
	buffer_load_dword v86, off, s[24:27], 0 offset:100 ; 4-byte Folded Reload
	buffer_load_dword v87, off, s[24:27], 0 offset:104 ; 4-byte Folded Reload
	buffer_load_dword v88, off, s[24:27], 0 offset:108 ; 4-byte Folded Reload
	s_waitcnt vmcnt(0)
	ds_write2_b64 v94, v[85:86], v[87:88] offset0:30 offset1:31
	buffer_load_dword v85, off, s[24:27], 0 offset:80 ; 4-byte Folded Reload
	buffer_load_dword v86, off, s[24:27], 0 offset:84 ; 4-byte Folded Reload
	buffer_load_dword v87, off, s[24:27], 0 offset:88 ; 4-byte Folded Reload
	buffer_load_dword v88, off, s[24:27], 0 offset:92 ; 4-byte Folded Reload
	;; [unrolled: 6-line block ×6, first 2 shown]
	s_waitcnt vmcnt(0)
	ds_write2_b64 v94, v[85:86], v[87:88] offset0:40 offset1:41
	buffer_load_dword v85, off, s[24:27], 0 ; 4-byte Folded Reload
	buffer_load_dword v86, off, s[24:27], 0 offset:4 ; 4-byte Folded Reload
	buffer_load_dword v87, off, s[24:27], 0 offset:8 ; 4-byte Folded Reload
	;; [unrolled: 1-line block ×3, first 2 shown]
	s_waitcnt vmcnt(0)
	ds_write2_b64 v94, v[85:86], v[87:88] offset0:42 offset1:43
	ds_write2_b64 v94, v[111:112], v[113:114] offset0:44 offset1:45
	;; [unrolled: 1-line block ×25, first 2 shown]
.LBB90_291:
	s_or_b64 exec, exec, s[0:1]
	v_cmp_lt_i32_e32 vcc, 13, v96
	s_waitcnt vmcnt(0) lgkmcnt(0)
	s_barrier
	s_and_saveexec_b64 s[0:1], vcc
	s_cbranch_execz .LBB90_293
; %bb.292:
	buffer_load_dword v101, off, s[24:27], 0 offset:128 ; 4-byte Folded Reload
	buffer_load_dword v102, off, s[24:27], 0 offset:132 ; 4-byte Folded Reload
	;; [unrolled: 1-line block ×4, first 2 shown]
	s_waitcnt vmcnt(0)
	v_mul_f64 v[97:98], v[119:120], v[103:104]
	v_fma_f64 v[125:126], v[117:118], v[101:102], -v[97:98]
	v_mul_f64 v[97:98], v[117:118], v[103:104]
	v_fma_f64 v[103:104], v[119:120], v[101:102], v[97:98]
	ds_read2_b64 v[97:100], v94 offset0:28 offset1:29
	buffer_load_dword v85, off, s[24:27], 0 offset:112 ; 4-byte Folded Reload
	buffer_load_dword v86, off, s[24:27], 0 offset:116 ; 4-byte Folded Reload
	buffer_load_dword v87, off, s[24:27], 0 offset:120 ; 4-byte Folded Reload
	buffer_load_dword v88, off, s[24:27], 0 offset:124 ; 4-byte Folded Reload
	s_waitcnt lgkmcnt(0)
	v_mul_f64 v[101:102], v[99:100], v[103:104]
	v_fma_f64 v[101:102], v[97:98], v[125:126], -v[101:102]
	v_mul_f64 v[97:98], v[97:98], v[103:104]
	v_fma_f64 v[97:98], v[99:100], v[125:126], v[97:98]
	s_waitcnt vmcnt(2)
	v_add_f64 v[85:86], v[85:86], -v[101:102]
	s_waitcnt vmcnt(0)
	v_add_f64 v[87:88], v[87:88], -v[97:98]
	buffer_store_dword v85, off, s[24:27], 0 offset:112 ; 4-byte Folded Spill
	s_nop 0
	buffer_store_dword v86, off, s[24:27], 0 offset:116 ; 4-byte Folded Spill
	buffer_store_dword v87, off, s[24:27], 0 offset:120 ; 4-byte Folded Spill
	buffer_store_dword v88, off, s[24:27], 0 offset:124 ; 4-byte Folded Spill
	ds_read2_b64 v[97:100], v94 offset0:30 offset1:31
	buffer_load_dword v85, off, s[24:27], 0 offset:96 ; 4-byte Folded Reload
	buffer_load_dword v86, off, s[24:27], 0 offset:100 ; 4-byte Folded Reload
	buffer_load_dword v87, off, s[24:27], 0 offset:104 ; 4-byte Folded Reload
	buffer_load_dword v88, off, s[24:27], 0 offset:108 ; 4-byte Folded Reload
	s_waitcnt lgkmcnt(0)
	v_mul_f64 v[101:102], v[99:100], v[103:104]
	v_fma_f64 v[101:102], v[97:98], v[125:126], -v[101:102]
	v_mul_f64 v[97:98], v[97:98], v[103:104]
	v_fma_f64 v[97:98], v[99:100], v[125:126], v[97:98]
	s_waitcnt vmcnt(2)
	v_add_f64 v[85:86], v[85:86], -v[101:102]
	s_waitcnt vmcnt(0)
	v_add_f64 v[87:88], v[87:88], -v[97:98]
	buffer_store_dword v85, off, s[24:27], 0 offset:96 ; 4-byte Folded Spill
	s_nop 0
	buffer_store_dword v86, off, s[24:27], 0 offset:100 ; 4-byte Folded Spill
	buffer_store_dword v87, off, s[24:27], 0 offset:104 ; 4-byte Folded Spill
	buffer_store_dword v88, off, s[24:27], 0 offset:108 ; 4-byte Folded Spill
	;; [unrolled: 19-line block ×7, first 2 shown]
	ds_read2_b64 v[97:100], v94 offset0:42 offset1:43
	buffer_load_dword v85, off, s[24:27], 0 ; 4-byte Folded Reload
	buffer_load_dword v86, off, s[24:27], 0 offset:4 ; 4-byte Folded Reload
	buffer_load_dword v87, off, s[24:27], 0 offset:8 ; 4-byte Folded Reload
	;; [unrolled: 1-line block ×3, first 2 shown]
	s_waitcnt lgkmcnt(0)
	v_mul_f64 v[101:102], v[99:100], v[103:104]
	v_fma_f64 v[101:102], v[97:98], v[125:126], -v[101:102]
	v_mul_f64 v[97:98], v[97:98], v[103:104]
	v_fma_f64 v[97:98], v[99:100], v[125:126], v[97:98]
	s_waitcnt vmcnt(2)
	v_add_f64 v[85:86], v[85:86], -v[101:102]
	s_waitcnt vmcnt(0)
	v_add_f64 v[87:88], v[87:88], -v[97:98]
	buffer_store_dword v85, off, s[24:27], 0 ; 4-byte Folded Spill
	s_nop 0
	buffer_store_dword v86, off, s[24:27], 0 offset:4 ; 4-byte Folded Spill
	buffer_store_dword v87, off, s[24:27], 0 offset:8 ; 4-byte Folded Spill
	;; [unrolled: 1-line block ×3, first 2 shown]
	ds_read2_b64 v[97:100], v94 offset0:44 offset1:45
	s_waitcnt lgkmcnt(0)
	v_mul_f64 v[101:102], v[99:100], v[103:104]
	v_fma_f64 v[101:102], v[97:98], v[125:126], -v[101:102]
	v_mul_f64 v[97:98], v[97:98], v[103:104]
	v_add_f64 v[111:112], v[111:112], -v[101:102]
	v_fma_f64 v[97:98], v[99:100], v[125:126], v[97:98]
	v_add_f64 v[113:114], v[113:114], -v[97:98]
	ds_read2_b64 v[97:100], v94 offset0:46 offset1:47
	s_waitcnt lgkmcnt(0)
	v_mul_f64 v[101:102], v[99:100], v[103:104]
	v_fma_f64 v[101:102], v[97:98], v[125:126], -v[101:102]
	v_mul_f64 v[97:98], v[97:98], v[103:104]
	v_add_f64 v[89:90], v[89:90], -v[101:102]
	v_fma_f64 v[97:98], v[99:100], v[125:126], v[97:98]
	v_add_f64 v[91:92], v[91:92], -v[97:98]
	;; [unrolled: 8-line block ×23, first 2 shown]
	ds_read2_b64 v[97:100], v94 offset0:90 offset1:91
	s_waitcnt lgkmcnt(0)
	v_mul_f64 v[101:102], v[99:100], v[103:104]
	v_fma_f64 v[101:102], v[97:98], v[125:126], -v[101:102]
	v_mul_f64 v[97:98], v[97:98], v[103:104]
	v_add_f64 v[121:122], v[121:122], -v[101:102]
	v_fma_f64 v[97:98], v[99:100], v[125:126], v[97:98]
	v_mov_b32_e32 v101, v125
	v_mov_b32_e32 v102, v126
	buffer_store_dword v101, off, s[24:27], 0 offset:128 ; 4-byte Folded Spill
	s_nop 0
	buffer_store_dword v102, off, s[24:27], 0 offset:132 ; 4-byte Folded Spill
	buffer_store_dword v103, off, s[24:27], 0 offset:136 ; 4-byte Folded Spill
	;; [unrolled: 1-line block ×3, first 2 shown]
	v_add_f64 v[123:124], v[123:124], -v[97:98]
.LBB90_293:
	s_or_b64 exec, exec, s[0:1]
	s_waitcnt vmcnt(0)
	s_barrier
	buffer_load_dword v85, off, s[24:27], 0 offset:112 ; 4-byte Folded Reload
	buffer_load_dword v86, off, s[24:27], 0 offset:116 ; 4-byte Folded Reload
	buffer_load_dword v87, off, s[24:27], 0 offset:120 ; 4-byte Folded Reload
	buffer_load_dword v88, off, s[24:27], 0 offset:124 ; 4-byte Folded Reload
	v_lshl_add_u32 v97, v96, 4, v94
	s_cmp_lt_i32 s3, 16
	s_waitcnt vmcnt(0)
	ds_write2_b64 v97, v[85:86], v[87:88] offset1:1
	s_waitcnt lgkmcnt(0)
	s_barrier
	ds_read2_b64 v[117:120], v94 offset0:28 offset1:29
	v_mov_b32_e32 v97, 14
	s_cbranch_scc1 .LBB90_296
; %bb.294:
	v_add_u32_e32 v98, 0xf0, v94
	s_mov_b32 s0, 15
	v_mov_b32_e32 v97, 14
.LBB90_295:                             ; =>This Inner Loop Header: Depth=1
	s_waitcnt lgkmcnt(0)
	v_cmp_gt_f64_e32 vcc, 0, v[117:118]
	v_xor_b32_e32 v103, 0x80000000, v118
	ds_read2_b64 v[99:102], v98 offset1:1
	v_xor_b32_e32 v105, 0x80000000, v120
	v_add_u32_e32 v98, 16, v98
	s_waitcnt lgkmcnt(0)
	v_xor_b32_e32 v107, 0x80000000, v102
	v_cndmask_b32_e32 v104, v118, v103, vcc
	v_cmp_gt_f64_e32 vcc, 0, v[119:120]
	v_mov_b32_e32 v103, v117
	v_cndmask_b32_e32 v106, v120, v105, vcc
	v_cmp_gt_f64_e32 vcc, 0, v[99:100]
	v_mov_b32_e32 v105, v119
	v_add_f64 v[103:104], v[103:104], v[105:106]
	v_xor_b32_e32 v105, 0x80000000, v100
	v_cndmask_b32_e32 v106, v100, v105, vcc
	v_cmp_gt_f64_e32 vcc, 0, v[101:102]
	v_mov_b32_e32 v105, v99
	v_cndmask_b32_e32 v108, v102, v107, vcc
	v_mov_b32_e32 v107, v101
	v_add_f64 v[105:106], v[105:106], v[107:108]
	v_cmp_lt_f64_e32 vcc, v[103:104], v[105:106]
	v_cndmask_b32_e32 v117, v117, v99, vcc
	v_mov_b32_e32 v99, s0
	s_add_i32 s0, s0, 1
	v_cndmask_b32_e32 v118, v118, v100, vcc
	v_cndmask_b32_e32 v120, v120, v102, vcc
	;; [unrolled: 1-line block ×4, first 2 shown]
	s_cmp_lg_u32 s3, s0
	s_cbranch_scc1 .LBB90_295
.LBB90_296:
	s_waitcnt lgkmcnt(0)
	v_cmp_eq_f64_e32 vcc, 0, v[117:118]
	v_cmp_eq_f64_e64 s[0:1], 0, v[119:120]
	s_and_b64 s[0:1], vcc, s[0:1]
	s_and_saveexec_b64 s[18:19], s[0:1]
	s_xor_b64 s[0:1], exec, s[18:19]
; %bb.297:
	v_cmp_ne_u32_e32 vcc, 0, v95
	v_cndmask_b32_e32 v95, 15, v95, vcc
; %bb.298:
	s_andn2_saveexec_b64 s[0:1], s[0:1]
	s_cbranch_execz .LBB90_304
; %bb.299:
	v_cmp_ngt_f64_e64 s[18:19], |v[117:118]|, |v[119:120]|
	s_and_saveexec_b64 s[20:21], s[18:19]
	s_xor_b64 s[18:19], exec, s[20:21]
	s_cbranch_execz .LBB90_301
; %bb.300:
	v_div_scale_f64 v[98:99], s[20:21], v[119:120], v[119:120], v[117:118]
	v_rcp_f64_e32 v[100:101], v[98:99]
	v_fma_f64 v[102:103], -v[98:99], v[100:101], 1.0
	v_fma_f64 v[100:101], v[100:101], v[102:103], v[100:101]
	v_div_scale_f64 v[102:103], vcc, v[117:118], v[119:120], v[117:118]
	v_fma_f64 v[104:105], -v[98:99], v[100:101], 1.0
	v_fma_f64 v[100:101], v[100:101], v[104:105], v[100:101]
	v_mul_f64 v[104:105], v[102:103], v[100:101]
	v_fma_f64 v[98:99], -v[98:99], v[104:105], v[102:103]
	v_div_fmas_f64 v[98:99], v[98:99], v[100:101], v[104:105]
	v_div_fixup_f64 v[98:99], v[98:99], v[119:120], v[117:118]
	v_fma_f64 v[100:101], v[117:118], v[98:99], v[119:120]
	v_div_scale_f64 v[102:103], s[20:21], v[100:101], v[100:101], 1.0
	v_div_scale_f64 v[108:109], vcc, 1.0, v[100:101], 1.0
	v_rcp_f64_e32 v[104:105], v[102:103]
	v_fma_f64 v[106:107], -v[102:103], v[104:105], 1.0
	v_fma_f64 v[104:105], v[104:105], v[106:107], v[104:105]
	v_fma_f64 v[106:107], -v[102:103], v[104:105], 1.0
	v_fma_f64 v[104:105], v[104:105], v[106:107], v[104:105]
	v_mul_f64 v[106:107], v[108:109], v[104:105]
	v_fma_f64 v[102:103], -v[102:103], v[106:107], v[108:109]
	v_div_fmas_f64 v[102:103], v[102:103], v[104:105], v[106:107]
	v_div_fixup_f64 v[119:120], v[102:103], v[100:101], 1.0
	v_mul_f64 v[117:118], v[98:99], v[119:120]
	v_xor_b32_e32 v120, 0x80000000, v120
.LBB90_301:
	s_andn2_saveexec_b64 s[18:19], s[18:19]
	s_cbranch_execz .LBB90_303
; %bb.302:
	v_div_scale_f64 v[98:99], s[20:21], v[117:118], v[117:118], v[119:120]
	v_rcp_f64_e32 v[100:101], v[98:99]
	v_fma_f64 v[102:103], -v[98:99], v[100:101], 1.0
	v_fma_f64 v[100:101], v[100:101], v[102:103], v[100:101]
	v_div_scale_f64 v[102:103], vcc, v[119:120], v[117:118], v[119:120]
	v_fma_f64 v[104:105], -v[98:99], v[100:101], 1.0
	v_fma_f64 v[100:101], v[100:101], v[104:105], v[100:101]
	v_mul_f64 v[104:105], v[102:103], v[100:101]
	v_fma_f64 v[98:99], -v[98:99], v[104:105], v[102:103]
	v_div_fmas_f64 v[98:99], v[98:99], v[100:101], v[104:105]
	v_div_fixup_f64 v[98:99], v[98:99], v[117:118], v[119:120]
	v_fma_f64 v[100:101], v[119:120], v[98:99], v[117:118]
	v_div_scale_f64 v[102:103], s[20:21], v[100:101], v[100:101], 1.0
	v_div_scale_f64 v[108:109], vcc, 1.0, v[100:101], 1.0
	v_rcp_f64_e32 v[104:105], v[102:103]
	v_fma_f64 v[106:107], -v[102:103], v[104:105], 1.0
	v_fma_f64 v[104:105], v[104:105], v[106:107], v[104:105]
	v_fma_f64 v[106:107], -v[102:103], v[104:105], 1.0
	v_fma_f64 v[104:105], v[104:105], v[106:107], v[104:105]
	v_mul_f64 v[106:107], v[108:109], v[104:105]
	v_fma_f64 v[102:103], -v[102:103], v[106:107], v[108:109]
	v_div_fmas_f64 v[102:103], v[102:103], v[104:105], v[106:107]
	v_div_fixup_f64 v[117:118], v[102:103], v[100:101], 1.0
	v_mul_f64 v[119:120], v[98:99], -v[117:118]
.LBB90_303:
	s_or_b64 exec, exec, s[18:19]
.LBB90_304:
	s_or_b64 exec, exec, s[0:1]
	v_cmp_ne_u32_e32 vcc, v96, v97
	s_and_saveexec_b64 s[0:1], vcc
	s_xor_b64 s[0:1], exec, s[0:1]
	s_cbranch_execz .LBB90_310
; %bb.305:
	v_cmp_eq_u32_e32 vcc, 14, v96
	s_and_saveexec_b64 s[18:19], vcc
	s_cbranch_execz .LBB90_309
; %bb.306:
	v_cmp_ne_u32_e32 vcc, 14, v97
	s_xor_b64 s[20:21], s[6:7], -1
	s_and_b64 s[22:23], s[20:21], vcc
	s_and_saveexec_b64 s[20:21], s[22:23]
	s_cbranch_execz .LBB90_308
; %bb.307:
	buffer_load_dword v85, off, s[24:27], 0 offset:304 ; 4-byte Folded Reload
	buffer_load_dword v86, off, s[24:27], 0 offset:308 ; 4-byte Folded Reload
	v_ashrrev_i32_e32 v98, 31, v97
	v_lshlrev_b64 v[98:99], 2, v[97:98]
	s_waitcnt vmcnt(1)
	v_add_co_u32_e32 v98, vcc, v85, v98
	s_waitcnt vmcnt(0)
	v_addc_co_u32_e32 v99, vcc, v86, v99, vcc
	global_load_dword v0, v[98:99], off
	global_load_dword v96, v[85:86], off offset:56
	s_waitcnt vmcnt(1)
	global_store_dword v[85:86], v0, off offset:56
	s_waitcnt vmcnt(1)
	global_store_dword v[98:99], v96, off
.LBB90_308:
	s_or_b64 exec, exec, s[20:21]
	v_mov_b32_e32 v96, v97
	v_mov_b32_e32 v0, v97
.LBB90_309:
	s_or_b64 exec, exec, s[18:19]
.LBB90_310:
	s_andn2_saveexec_b64 s[0:1], s[0:1]
	s_cbranch_execz .LBB90_312
; %bb.311:
	buffer_load_dword v85, off, s[24:27], 0 offset:96 ; 4-byte Folded Reload
	buffer_load_dword v86, off, s[24:27], 0 offset:100 ; 4-byte Folded Reload
	;; [unrolled: 1-line block ×4, first 2 shown]
	v_mov_b32_e32 v96, 14
	s_waitcnt vmcnt(0)
	ds_write2_b64 v94, v[85:86], v[87:88] offset0:30 offset1:31
	buffer_load_dword v85, off, s[24:27], 0 offset:80 ; 4-byte Folded Reload
	buffer_load_dword v86, off, s[24:27], 0 offset:84 ; 4-byte Folded Reload
	buffer_load_dword v87, off, s[24:27], 0 offset:88 ; 4-byte Folded Reload
	buffer_load_dword v88, off, s[24:27], 0 offset:92 ; 4-byte Folded Reload
	s_waitcnt vmcnt(0)
	ds_write2_b64 v94, v[85:86], v[87:88] offset0:32 offset1:33
	buffer_load_dword v85, off, s[24:27], 0 offset:64 ; 4-byte Folded Reload
	buffer_load_dword v86, off, s[24:27], 0 offset:68 ; 4-byte Folded Reload
	buffer_load_dword v87, off, s[24:27], 0 offset:72 ; 4-byte Folded Reload
	buffer_load_dword v88, off, s[24:27], 0 offset:76 ; 4-byte Folded Reload
	;; [unrolled: 6-line block ×5, first 2 shown]
	s_waitcnt vmcnt(0)
	ds_write2_b64 v94, v[85:86], v[87:88] offset0:40 offset1:41
	buffer_load_dword v85, off, s[24:27], 0 ; 4-byte Folded Reload
	buffer_load_dword v86, off, s[24:27], 0 offset:4 ; 4-byte Folded Reload
	buffer_load_dword v87, off, s[24:27], 0 offset:8 ; 4-byte Folded Reload
	;; [unrolled: 1-line block ×3, first 2 shown]
	s_waitcnt vmcnt(0)
	ds_write2_b64 v94, v[85:86], v[87:88] offset0:42 offset1:43
	ds_write2_b64 v94, v[111:112], v[113:114] offset0:44 offset1:45
	;; [unrolled: 1-line block ×25, first 2 shown]
.LBB90_312:
	s_or_b64 exec, exec, s[0:1]
	v_cmp_lt_i32_e32 vcc, 14, v96
	s_waitcnt vmcnt(0) lgkmcnt(0)
	s_barrier
	s_and_saveexec_b64 s[0:1], vcc
	s_cbranch_execz .LBB90_314
; %bb.313:
	buffer_load_dword v101, off, s[24:27], 0 offset:112 ; 4-byte Folded Reload
	buffer_load_dword v102, off, s[24:27], 0 offset:116 ; 4-byte Folded Reload
	;; [unrolled: 1-line block ×4, first 2 shown]
	s_waitcnt vmcnt(0)
	v_mul_f64 v[97:98], v[119:120], v[103:104]
	v_fma_f64 v[125:126], v[117:118], v[101:102], -v[97:98]
	v_mul_f64 v[97:98], v[117:118], v[103:104]
	v_fma_f64 v[103:104], v[119:120], v[101:102], v[97:98]
	ds_read2_b64 v[97:100], v94 offset0:30 offset1:31
	buffer_load_dword v85, off, s[24:27], 0 offset:96 ; 4-byte Folded Reload
	buffer_load_dword v86, off, s[24:27], 0 offset:100 ; 4-byte Folded Reload
	buffer_load_dword v87, off, s[24:27], 0 offset:104 ; 4-byte Folded Reload
	buffer_load_dword v88, off, s[24:27], 0 offset:108 ; 4-byte Folded Reload
	s_waitcnt lgkmcnt(0)
	v_mul_f64 v[101:102], v[99:100], v[103:104]
	v_fma_f64 v[101:102], v[97:98], v[125:126], -v[101:102]
	v_mul_f64 v[97:98], v[97:98], v[103:104]
	v_fma_f64 v[97:98], v[99:100], v[125:126], v[97:98]
	s_waitcnt vmcnt(2)
	v_add_f64 v[85:86], v[85:86], -v[101:102]
	s_waitcnt vmcnt(0)
	v_add_f64 v[87:88], v[87:88], -v[97:98]
	buffer_store_dword v85, off, s[24:27], 0 offset:96 ; 4-byte Folded Spill
	s_nop 0
	buffer_store_dword v86, off, s[24:27], 0 offset:100 ; 4-byte Folded Spill
	buffer_store_dword v87, off, s[24:27], 0 offset:104 ; 4-byte Folded Spill
	buffer_store_dword v88, off, s[24:27], 0 offset:108 ; 4-byte Folded Spill
	ds_read2_b64 v[97:100], v94 offset0:32 offset1:33
	buffer_load_dword v85, off, s[24:27], 0 offset:80 ; 4-byte Folded Reload
	buffer_load_dword v86, off, s[24:27], 0 offset:84 ; 4-byte Folded Reload
	buffer_load_dword v87, off, s[24:27], 0 offset:88 ; 4-byte Folded Reload
	buffer_load_dword v88, off, s[24:27], 0 offset:92 ; 4-byte Folded Reload
	s_waitcnt lgkmcnt(0)
	v_mul_f64 v[101:102], v[99:100], v[103:104]
	v_fma_f64 v[101:102], v[97:98], v[125:126], -v[101:102]
	v_mul_f64 v[97:98], v[97:98], v[103:104]
	v_fma_f64 v[97:98], v[99:100], v[125:126], v[97:98]
	s_waitcnt vmcnt(2)
	v_add_f64 v[85:86], v[85:86], -v[101:102]
	s_waitcnt vmcnt(0)
	v_add_f64 v[87:88], v[87:88], -v[97:98]
	buffer_store_dword v85, off, s[24:27], 0 offset:80 ; 4-byte Folded Spill
	s_nop 0
	buffer_store_dword v86, off, s[24:27], 0 offset:84 ; 4-byte Folded Spill
	buffer_store_dword v87, off, s[24:27], 0 offset:88 ; 4-byte Folded Spill
	buffer_store_dword v88, off, s[24:27], 0 offset:92 ; 4-byte Folded Spill
	ds_read2_b64 v[97:100], v94 offset0:34 offset1:35
	buffer_load_dword v85, off, s[24:27], 0 offset:64 ; 4-byte Folded Reload
	buffer_load_dword v86, off, s[24:27], 0 offset:68 ; 4-byte Folded Reload
	buffer_load_dword v87, off, s[24:27], 0 offset:72 ; 4-byte Folded Reload
	buffer_load_dword v88, off, s[24:27], 0 offset:76 ; 4-byte Folded Reload
	s_waitcnt lgkmcnt(0)
	v_mul_f64 v[101:102], v[99:100], v[103:104]
	v_fma_f64 v[101:102], v[97:98], v[125:126], -v[101:102]
	v_mul_f64 v[97:98], v[97:98], v[103:104]
	v_fma_f64 v[97:98], v[99:100], v[125:126], v[97:98]
	s_waitcnt vmcnt(2)
	v_add_f64 v[85:86], v[85:86], -v[101:102]
	s_waitcnt vmcnt(0)
	v_add_f64 v[87:88], v[87:88], -v[97:98]
	buffer_store_dword v85, off, s[24:27], 0 offset:64 ; 4-byte Folded Spill
	s_nop 0
	buffer_store_dword v86, off, s[24:27], 0 offset:68 ; 4-byte Folded Spill
	buffer_store_dword v87, off, s[24:27], 0 offset:72 ; 4-byte Folded Spill
	buffer_store_dword v88, off, s[24:27], 0 offset:76 ; 4-byte Folded Spill
	ds_read2_b64 v[97:100], v94 offset0:36 offset1:37
	buffer_load_dword v85, off, s[24:27], 0 offset:48 ; 4-byte Folded Reload
	buffer_load_dword v86, off, s[24:27], 0 offset:52 ; 4-byte Folded Reload
	buffer_load_dword v87, off, s[24:27], 0 offset:56 ; 4-byte Folded Reload
	buffer_load_dword v88, off, s[24:27], 0 offset:60 ; 4-byte Folded Reload
	s_waitcnt lgkmcnt(0)
	v_mul_f64 v[101:102], v[99:100], v[103:104]
	v_fma_f64 v[101:102], v[97:98], v[125:126], -v[101:102]
	v_mul_f64 v[97:98], v[97:98], v[103:104]
	v_fma_f64 v[97:98], v[99:100], v[125:126], v[97:98]
	s_waitcnt vmcnt(2)
	v_add_f64 v[85:86], v[85:86], -v[101:102]
	s_waitcnt vmcnt(0)
	v_add_f64 v[87:88], v[87:88], -v[97:98]
	buffer_store_dword v85, off, s[24:27], 0 offset:48 ; 4-byte Folded Spill
	s_nop 0
	buffer_store_dword v86, off, s[24:27], 0 offset:52 ; 4-byte Folded Spill
	buffer_store_dword v87, off, s[24:27], 0 offset:56 ; 4-byte Folded Spill
	buffer_store_dword v88, off, s[24:27], 0 offset:60 ; 4-byte Folded Spill
	ds_read2_b64 v[97:100], v94 offset0:38 offset1:39
	buffer_load_dword v85, off, s[24:27], 0 offset:32 ; 4-byte Folded Reload
	buffer_load_dword v86, off, s[24:27], 0 offset:36 ; 4-byte Folded Reload
	buffer_load_dword v87, off, s[24:27], 0 offset:40 ; 4-byte Folded Reload
	buffer_load_dword v88, off, s[24:27], 0 offset:44 ; 4-byte Folded Reload
	s_waitcnt lgkmcnt(0)
	v_mul_f64 v[101:102], v[99:100], v[103:104]
	v_fma_f64 v[101:102], v[97:98], v[125:126], -v[101:102]
	v_mul_f64 v[97:98], v[97:98], v[103:104]
	v_fma_f64 v[97:98], v[99:100], v[125:126], v[97:98]
	s_waitcnt vmcnt(2)
	v_add_f64 v[85:86], v[85:86], -v[101:102]
	s_waitcnt vmcnt(0)
	v_add_f64 v[87:88], v[87:88], -v[97:98]
	buffer_store_dword v85, off, s[24:27], 0 offset:32 ; 4-byte Folded Spill
	s_nop 0
	buffer_store_dword v86, off, s[24:27], 0 offset:36 ; 4-byte Folded Spill
	buffer_store_dword v87, off, s[24:27], 0 offset:40 ; 4-byte Folded Spill
	buffer_store_dword v88, off, s[24:27], 0 offset:44 ; 4-byte Folded Spill
	ds_read2_b64 v[97:100], v94 offset0:40 offset1:41
	buffer_load_dword v85, off, s[24:27], 0 offset:16 ; 4-byte Folded Reload
	buffer_load_dword v86, off, s[24:27], 0 offset:20 ; 4-byte Folded Reload
	buffer_load_dword v87, off, s[24:27], 0 offset:24 ; 4-byte Folded Reload
	buffer_load_dword v88, off, s[24:27], 0 offset:28 ; 4-byte Folded Reload
	s_waitcnt lgkmcnt(0)
	v_mul_f64 v[101:102], v[99:100], v[103:104]
	v_fma_f64 v[101:102], v[97:98], v[125:126], -v[101:102]
	v_mul_f64 v[97:98], v[97:98], v[103:104]
	v_fma_f64 v[97:98], v[99:100], v[125:126], v[97:98]
	s_waitcnt vmcnt(2)
	v_add_f64 v[85:86], v[85:86], -v[101:102]
	s_waitcnt vmcnt(0)
	v_add_f64 v[87:88], v[87:88], -v[97:98]
	buffer_store_dword v85, off, s[24:27], 0 offset:16 ; 4-byte Folded Spill
	s_nop 0
	buffer_store_dword v86, off, s[24:27], 0 offset:20 ; 4-byte Folded Spill
	buffer_store_dword v87, off, s[24:27], 0 offset:24 ; 4-byte Folded Spill
	buffer_store_dword v88, off, s[24:27], 0 offset:28 ; 4-byte Folded Spill
	ds_read2_b64 v[97:100], v94 offset0:42 offset1:43
	buffer_load_dword v85, off, s[24:27], 0 ; 4-byte Folded Reload
	buffer_load_dword v86, off, s[24:27], 0 offset:4 ; 4-byte Folded Reload
	buffer_load_dword v87, off, s[24:27], 0 offset:8 ; 4-byte Folded Reload
	buffer_load_dword v88, off, s[24:27], 0 offset:12 ; 4-byte Folded Reload
	s_waitcnt lgkmcnt(0)
	v_mul_f64 v[101:102], v[99:100], v[103:104]
	v_fma_f64 v[101:102], v[97:98], v[125:126], -v[101:102]
	v_mul_f64 v[97:98], v[97:98], v[103:104]
	v_fma_f64 v[97:98], v[99:100], v[125:126], v[97:98]
	s_waitcnt vmcnt(2)
	v_add_f64 v[85:86], v[85:86], -v[101:102]
	s_waitcnt vmcnt(0)
	v_add_f64 v[87:88], v[87:88], -v[97:98]
	buffer_store_dword v85, off, s[24:27], 0 ; 4-byte Folded Spill
	s_nop 0
	buffer_store_dword v86, off, s[24:27], 0 offset:4 ; 4-byte Folded Spill
	buffer_store_dword v87, off, s[24:27], 0 offset:8 ; 4-byte Folded Spill
	;; [unrolled: 1-line block ×3, first 2 shown]
	ds_read2_b64 v[97:100], v94 offset0:44 offset1:45
	s_waitcnt lgkmcnt(0)
	v_mul_f64 v[101:102], v[99:100], v[103:104]
	v_fma_f64 v[101:102], v[97:98], v[125:126], -v[101:102]
	v_mul_f64 v[97:98], v[97:98], v[103:104]
	v_add_f64 v[111:112], v[111:112], -v[101:102]
	v_fma_f64 v[97:98], v[99:100], v[125:126], v[97:98]
	v_add_f64 v[113:114], v[113:114], -v[97:98]
	ds_read2_b64 v[97:100], v94 offset0:46 offset1:47
	s_waitcnt lgkmcnt(0)
	v_mul_f64 v[101:102], v[99:100], v[103:104]
	v_fma_f64 v[101:102], v[97:98], v[125:126], -v[101:102]
	v_mul_f64 v[97:98], v[97:98], v[103:104]
	v_add_f64 v[89:90], v[89:90], -v[101:102]
	v_fma_f64 v[97:98], v[99:100], v[125:126], v[97:98]
	v_add_f64 v[91:92], v[91:92], -v[97:98]
	;; [unrolled: 8-line block ×23, first 2 shown]
	ds_read2_b64 v[97:100], v94 offset0:90 offset1:91
	s_waitcnt lgkmcnt(0)
	v_mul_f64 v[101:102], v[99:100], v[103:104]
	v_fma_f64 v[101:102], v[97:98], v[125:126], -v[101:102]
	v_mul_f64 v[97:98], v[97:98], v[103:104]
	v_add_f64 v[121:122], v[121:122], -v[101:102]
	v_fma_f64 v[97:98], v[99:100], v[125:126], v[97:98]
	v_mov_b32_e32 v101, v125
	v_mov_b32_e32 v102, v126
	buffer_store_dword v101, off, s[24:27], 0 offset:112 ; 4-byte Folded Spill
	s_nop 0
	buffer_store_dword v102, off, s[24:27], 0 offset:116 ; 4-byte Folded Spill
	buffer_store_dword v103, off, s[24:27], 0 offset:120 ; 4-byte Folded Spill
	;; [unrolled: 1-line block ×3, first 2 shown]
	v_add_f64 v[123:124], v[123:124], -v[97:98]
.LBB90_314:
	s_or_b64 exec, exec, s[0:1]
	s_waitcnt vmcnt(0)
	s_barrier
	buffer_load_dword v85, off, s[24:27], 0 offset:96 ; 4-byte Folded Reload
	buffer_load_dword v86, off, s[24:27], 0 offset:100 ; 4-byte Folded Reload
	;; [unrolled: 1-line block ×4, first 2 shown]
	v_lshl_add_u32 v97, v96, 4, v94
	s_cmp_lt_i32 s3, 17
	s_waitcnt vmcnt(0)
	ds_write2_b64 v97, v[85:86], v[87:88] offset1:1
	s_waitcnt lgkmcnt(0)
	s_barrier
	ds_read2_b64 v[117:120], v94 offset0:30 offset1:31
	v_mov_b32_e32 v97, 15
	s_cbranch_scc1 .LBB90_317
; %bb.315:
	v_add_u32_e32 v98, 0x100, v94
	s_mov_b32 s0, 16
	v_mov_b32_e32 v97, 15
.LBB90_316:                             ; =>This Inner Loop Header: Depth=1
	s_waitcnt lgkmcnt(0)
	v_cmp_gt_f64_e32 vcc, 0, v[117:118]
	v_xor_b32_e32 v103, 0x80000000, v118
	ds_read2_b64 v[99:102], v98 offset1:1
	v_xor_b32_e32 v105, 0x80000000, v120
	v_add_u32_e32 v98, 16, v98
	s_waitcnt lgkmcnt(0)
	v_xor_b32_e32 v107, 0x80000000, v102
	v_cndmask_b32_e32 v104, v118, v103, vcc
	v_cmp_gt_f64_e32 vcc, 0, v[119:120]
	v_mov_b32_e32 v103, v117
	v_cndmask_b32_e32 v106, v120, v105, vcc
	v_cmp_gt_f64_e32 vcc, 0, v[99:100]
	v_mov_b32_e32 v105, v119
	v_add_f64 v[103:104], v[103:104], v[105:106]
	v_xor_b32_e32 v105, 0x80000000, v100
	v_cndmask_b32_e32 v106, v100, v105, vcc
	v_cmp_gt_f64_e32 vcc, 0, v[101:102]
	v_mov_b32_e32 v105, v99
	v_cndmask_b32_e32 v108, v102, v107, vcc
	v_mov_b32_e32 v107, v101
	v_add_f64 v[105:106], v[105:106], v[107:108]
	v_cmp_lt_f64_e32 vcc, v[103:104], v[105:106]
	v_cndmask_b32_e32 v117, v117, v99, vcc
	v_mov_b32_e32 v99, s0
	s_add_i32 s0, s0, 1
	v_cndmask_b32_e32 v118, v118, v100, vcc
	v_cndmask_b32_e32 v120, v120, v102, vcc
	;; [unrolled: 1-line block ×4, first 2 shown]
	s_cmp_lg_u32 s3, s0
	s_cbranch_scc1 .LBB90_316
.LBB90_317:
	s_waitcnt lgkmcnt(0)
	v_cmp_eq_f64_e32 vcc, 0, v[117:118]
	v_cmp_eq_f64_e64 s[0:1], 0, v[119:120]
	s_and_b64 s[0:1], vcc, s[0:1]
	s_and_saveexec_b64 s[18:19], s[0:1]
	s_xor_b64 s[0:1], exec, s[18:19]
; %bb.318:
	v_cmp_ne_u32_e32 vcc, 0, v95
	v_cndmask_b32_e32 v95, 16, v95, vcc
; %bb.319:
	s_andn2_saveexec_b64 s[0:1], s[0:1]
	s_cbranch_execz .LBB90_325
; %bb.320:
	v_cmp_ngt_f64_e64 s[18:19], |v[117:118]|, |v[119:120]|
	s_and_saveexec_b64 s[20:21], s[18:19]
	s_xor_b64 s[18:19], exec, s[20:21]
	s_cbranch_execz .LBB90_322
; %bb.321:
	v_div_scale_f64 v[98:99], s[20:21], v[119:120], v[119:120], v[117:118]
	v_rcp_f64_e32 v[100:101], v[98:99]
	v_fma_f64 v[102:103], -v[98:99], v[100:101], 1.0
	v_fma_f64 v[100:101], v[100:101], v[102:103], v[100:101]
	v_div_scale_f64 v[102:103], vcc, v[117:118], v[119:120], v[117:118]
	v_fma_f64 v[104:105], -v[98:99], v[100:101], 1.0
	v_fma_f64 v[100:101], v[100:101], v[104:105], v[100:101]
	v_mul_f64 v[104:105], v[102:103], v[100:101]
	v_fma_f64 v[98:99], -v[98:99], v[104:105], v[102:103]
	v_div_fmas_f64 v[98:99], v[98:99], v[100:101], v[104:105]
	v_div_fixup_f64 v[98:99], v[98:99], v[119:120], v[117:118]
	v_fma_f64 v[100:101], v[117:118], v[98:99], v[119:120]
	v_div_scale_f64 v[102:103], s[20:21], v[100:101], v[100:101], 1.0
	v_div_scale_f64 v[108:109], vcc, 1.0, v[100:101], 1.0
	v_rcp_f64_e32 v[104:105], v[102:103]
	v_fma_f64 v[106:107], -v[102:103], v[104:105], 1.0
	v_fma_f64 v[104:105], v[104:105], v[106:107], v[104:105]
	v_fma_f64 v[106:107], -v[102:103], v[104:105], 1.0
	v_fma_f64 v[104:105], v[104:105], v[106:107], v[104:105]
	v_mul_f64 v[106:107], v[108:109], v[104:105]
	v_fma_f64 v[102:103], -v[102:103], v[106:107], v[108:109]
	v_div_fmas_f64 v[102:103], v[102:103], v[104:105], v[106:107]
	v_div_fixup_f64 v[119:120], v[102:103], v[100:101], 1.0
	v_mul_f64 v[117:118], v[98:99], v[119:120]
	v_xor_b32_e32 v120, 0x80000000, v120
.LBB90_322:
	s_andn2_saveexec_b64 s[18:19], s[18:19]
	s_cbranch_execz .LBB90_324
; %bb.323:
	v_div_scale_f64 v[98:99], s[20:21], v[117:118], v[117:118], v[119:120]
	v_rcp_f64_e32 v[100:101], v[98:99]
	v_fma_f64 v[102:103], -v[98:99], v[100:101], 1.0
	v_fma_f64 v[100:101], v[100:101], v[102:103], v[100:101]
	v_div_scale_f64 v[102:103], vcc, v[119:120], v[117:118], v[119:120]
	v_fma_f64 v[104:105], -v[98:99], v[100:101], 1.0
	v_fma_f64 v[100:101], v[100:101], v[104:105], v[100:101]
	v_mul_f64 v[104:105], v[102:103], v[100:101]
	v_fma_f64 v[98:99], -v[98:99], v[104:105], v[102:103]
	v_div_fmas_f64 v[98:99], v[98:99], v[100:101], v[104:105]
	v_div_fixup_f64 v[98:99], v[98:99], v[117:118], v[119:120]
	v_fma_f64 v[100:101], v[119:120], v[98:99], v[117:118]
	v_div_scale_f64 v[102:103], s[20:21], v[100:101], v[100:101], 1.0
	v_div_scale_f64 v[108:109], vcc, 1.0, v[100:101], 1.0
	v_rcp_f64_e32 v[104:105], v[102:103]
	v_fma_f64 v[106:107], -v[102:103], v[104:105], 1.0
	v_fma_f64 v[104:105], v[104:105], v[106:107], v[104:105]
	v_fma_f64 v[106:107], -v[102:103], v[104:105], 1.0
	v_fma_f64 v[104:105], v[104:105], v[106:107], v[104:105]
	v_mul_f64 v[106:107], v[108:109], v[104:105]
	v_fma_f64 v[102:103], -v[102:103], v[106:107], v[108:109]
	v_div_fmas_f64 v[102:103], v[102:103], v[104:105], v[106:107]
	v_div_fixup_f64 v[117:118], v[102:103], v[100:101], 1.0
	v_mul_f64 v[119:120], v[98:99], -v[117:118]
.LBB90_324:
	s_or_b64 exec, exec, s[18:19]
.LBB90_325:
	s_or_b64 exec, exec, s[0:1]
	v_cmp_ne_u32_e32 vcc, v96, v97
	s_and_saveexec_b64 s[0:1], vcc
	s_xor_b64 s[0:1], exec, s[0:1]
	s_cbranch_execz .LBB90_331
; %bb.326:
	v_cmp_eq_u32_e32 vcc, 15, v96
	s_and_saveexec_b64 s[18:19], vcc
	s_cbranch_execz .LBB90_330
; %bb.327:
	v_cmp_ne_u32_e32 vcc, 15, v97
	s_xor_b64 s[20:21], s[6:7], -1
	s_and_b64 s[22:23], s[20:21], vcc
	s_and_saveexec_b64 s[20:21], s[22:23]
	s_cbranch_execz .LBB90_329
; %bb.328:
	buffer_load_dword v85, off, s[24:27], 0 offset:304 ; 4-byte Folded Reload
	buffer_load_dword v86, off, s[24:27], 0 offset:308 ; 4-byte Folded Reload
	v_ashrrev_i32_e32 v98, 31, v97
	v_lshlrev_b64 v[98:99], 2, v[97:98]
	s_waitcnt vmcnt(1)
	v_add_co_u32_e32 v98, vcc, v85, v98
	s_waitcnt vmcnt(0)
	v_addc_co_u32_e32 v99, vcc, v86, v99, vcc
	global_load_dword v0, v[98:99], off
	global_load_dword v96, v[85:86], off offset:60
	s_waitcnt vmcnt(1)
	global_store_dword v[85:86], v0, off offset:60
	s_waitcnt vmcnt(1)
	global_store_dword v[98:99], v96, off
.LBB90_329:
	s_or_b64 exec, exec, s[20:21]
	v_mov_b32_e32 v96, v97
	v_mov_b32_e32 v0, v97
.LBB90_330:
	s_or_b64 exec, exec, s[18:19]
.LBB90_331:
	s_andn2_saveexec_b64 s[0:1], s[0:1]
	s_cbranch_execz .LBB90_333
; %bb.332:
	buffer_load_dword v85, off, s[24:27], 0 offset:80 ; 4-byte Folded Reload
	buffer_load_dword v86, off, s[24:27], 0 offset:84 ; 4-byte Folded Reload
	;; [unrolled: 1-line block ×4, first 2 shown]
	v_mov_b32_e32 v96, 15
	s_waitcnt vmcnt(0)
	ds_write2_b64 v94, v[85:86], v[87:88] offset0:32 offset1:33
	buffer_load_dword v85, off, s[24:27], 0 offset:64 ; 4-byte Folded Reload
	buffer_load_dword v86, off, s[24:27], 0 offset:68 ; 4-byte Folded Reload
	buffer_load_dword v87, off, s[24:27], 0 offset:72 ; 4-byte Folded Reload
	buffer_load_dword v88, off, s[24:27], 0 offset:76 ; 4-byte Folded Reload
	s_waitcnt vmcnt(0)
	ds_write2_b64 v94, v[85:86], v[87:88] offset0:34 offset1:35
	buffer_load_dword v85, off, s[24:27], 0 offset:48 ; 4-byte Folded Reload
	buffer_load_dword v86, off, s[24:27], 0 offset:52 ; 4-byte Folded Reload
	buffer_load_dword v87, off, s[24:27], 0 offset:56 ; 4-byte Folded Reload
	buffer_load_dword v88, off, s[24:27], 0 offset:60 ; 4-byte Folded Reload
	s_waitcnt vmcnt(0)
	ds_write2_b64 v94, v[85:86], v[87:88] offset0:36 offset1:37
	buffer_load_dword v85, off, s[24:27], 0 offset:32 ; 4-byte Folded Reload
	buffer_load_dword v86, off, s[24:27], 0 offset:36 ; 4-byte Folded Reload
	buffer_load_dword v87, off, s[24:27], 0 offset:40 ; 4-byte Folded Reload
	buffer_load_dword v88, off, s[24:27], 0 offset:44 ; 4-byte Folded Reload
	s_waitcnt vmcnt(0)
	ds_write2_b64 v94, v[85:86], v[87:88] offset0:38 offset1:39
	buffer_load_dword v85, off, s[24:27], 0 offset:16 ; 4-byte Folded Reload
	buffer_load_dword v86, off, s[24:27], 0 offset:20 ; 4-byte Folded Reload
	buffer_load_dword v87, off, s[24:27], 0 offset:24 ; 4-byte Folded Reload
	buffer_load_dword v88, off, s[24:27], 0 offset:28 ; 4-byte Folded Reload
	s_waitcnt vmcnt(0)
	ds_write2_b64 v94, v[85:86], v[87:88] offset0:40 offset1:41
	buffer_load_dword v85, off, s[24:27], 0 ; 4-byte Folded Reload
	buffer_load_dword v86, off, s[24:27], 0 offset:4 ; 4-byte Folded Reload
	buffer_load_dword v87, off, s[24:27], 0 offset:8 ; 4-byte Folded Reload
	;; [unrolled: 1-line block ×3, first 2 shown]
	s_waitcnt vmcnt(0)
	ds_write2_b64 v94, v[85:86], v[87:88] offset0:42 offset1:43
	ds_write2_b64 v94, v[111:112], v[113:114] offset0:44 offset1:45
	;; [unrolled: 1-line block ×25, first 2 shown]
.LBB90_333:
	s_or_b64 exec, exec, s[0:1]
	v_cmp_lt_i32_e32 vcc, 15, v96
	s_waitcnt vmcnt(0) lgkmcnt(0)
	s_barrier
	s_and_saveexec_b64 s[0:1], vcc
	s_cbranch_execz .LBB90_335
; %bb.334:
	buffer_load_dword v101, off, s[24:27], 0 offset:96 ; 4-byte Folded Reload
	buffer_load_dword v102, off, s[24:27], 0 offset:100 ; 4-byte Folded Reload
	;; [unrolled: 1-line block ×4, first 2 shown]
	s_waitcnt vmcnt(0)
	v_mul_f64 v[97:98], v[119:120], v[103:104]
	v_fma_f64 v[125:126], v[117:118], v[101:102], -v[97:98]
	v_mul_f64 v[97:98], v[117:118], v[103:104]
	v_fma_f64 v[103:104], v[119:120], v[101:102], v[97:98]
	ds_read2_b64 v[97:100], v94 offset0:32 offset1:33
	buffer_load_dword v85, off, s[24:27], 0 offset:80 ; 4-byte Folded Reload
	buffer_load_dword v86, off, s[24:27], 0 offset:84 ; 4-byte Folded Reload
	buffer_load_dword v87, off, s[24:27], 0 offset:88 ; 4-byte Folded Reload
	buffer_load_dword v88, off, s[24:27], 0 offset:92 ; 4-byte Folded Reload
	s_waitcnt lgkmcnt(0)
	v_mul_f64 v[101:102], v[99:100], v[103:104]
	v_fma_f64 v[101:102], v[97:98], v[125:126], -v[101:102]
	v_mul_f64 v[97:98], v[97:98], v[103:104]
	v_fma_f64 v[97:98], v[99:100], v[125:126], v[97:98]
	s_waitcnt vmcnt(2)
	v_add_f64 v[85:86], v[85:86], -v[101:102]
	s_waitcnt vmcnt(0)
	v_add_f64 v[87:88], v[87:88], -v[97:98]
	buffer_store_dword v85, off, s[24:27], 0 offset:80 ; 4-byte Folded Spill
	s_nop 0
	buffer_store_dword v86, off, s[24:27], 0 offset:84 ; 4-byte Folded Spill
	buffer_store_dword v87, off, s[24:27], 0 offset:88 ; 4-byte Folded Spill
	buffer_store_dword v88, off, s[24:27], 0 offset:92 ; 4-byte Folded Spill
	ds_read2_b64 v[97:100], v94 offset0:34 offset1:35
	buffer_load_dword v85, off, s[24:27], 0 offset:64 ; 4-byte Folded Reload
	buffer_load_dword v86, off, s[24:27], 0 offset:68 ; 4-byte Folded Reload
	buffer_load_dword v87, off, s[24:27], 0 offset:72 ; 4-byte Folded Reload
	buffer_load_dword v88, off, s[24:27], 0 offset:76 ; 4-byte Folded Reload
	s_waitcnt lgkmcnt(0)
	v_mul_f64 v[101:102], v[99:100], v[103:104]
	v_fma_f64 v[101:102], v[97:98], v[125:126], -v[101:102]
	v_mul_f64 v[97:98], v[97:98], v[103:104]
	v_fma_f64 v[97:98], v[99:100], v[125:126], v[97:98]
	s_waitcnt vmcnt(2)
	v_add_f64 v[85:86], v[85:86], -v[101:102]
	s_waitcnt vmcnt(0)
	v_add_f64 v[87:88], v[87:88], -v[97:98]
	buffer_store_dword v85, off, s[24:27], 0 offset:64 ; 4-byte Folded Spill
	s_nop 0
	buffer_store_dword v86, off, s[24:27], 0 offset:68 ; 4-byte Folded Spill
	buffer_store_dword v87, off, s[24:27], 0 offset:72 ; 4-byte Folded Spill
	buffer_store_dword v88, off, s[24:27], 0 offset:76 ; 4-byte Folded Spill
	;; [unrolled: 19-line block ×5, first 2 shown]
	ds_read2_b64 v[97:100], v94 offset0:42 offset1:43
	buffer_load_dword v85, off, s[24:27], 0 ; 4-byte Folded Reload
	buffer_load_dword v86, off, s[24:27], 0 offset:4 ; 4-byte Folded Reload
	buffer_load_dword v87, off, s[24:27], 0 offset:8 ; 4-byte Folded Reload
	;; [unrolled: 1-line block ×3, first 2 shown]
	s_waitcnt lgkmcnt(0)
	v_mul_f64 v[101:102], v[99:100], v[103:104]
	v_fma_f64 v[101:102], v[97:98], v[125:126], -v[101:102]
	v_mul_f64 v[97:98], v[97:98], v[103:104]
	v_fma_f64 v[97:98], v[99:100], v[125:126], v[97:98]
	s_waitcnt vmcnt(2)
	v_add_f64 v[85:86], v[85:86], -v[101:102]
	s_waitcnt vmcnt(0)
	v_add_f64 v[87:88], v[87:88], -v[97:98]
	buffer_store_dword v85, off, s[24:27], 0 ; 4-byte Folded Spill
	s_nop 0
	buffer_store_dword v86, off, s[24:27], 0 offset:4 ; 4-byte Folded Spill
	buffer_store_dword v87, off, s[24:27], 0 offset:8 ; 4-byte Folded Spill
	;; [unrolled: 1-line block ×3, first 2 shown]
	ds_read2_b64 v[97:100], v94 offset0:44 offset1:45
	s_waitcnt lgkmcnt(0)
	v_mul_f64 v[101:102], v[99:100], v[103:104]
	v_fma_f64 v[101:102], v[97:98], v[125:126], -v[101:102]
	v_mul_f64 v[97:98], v[97:98], v[103:104]
	v_add_f64 v[111:112], v[111:112], -v[101:102]
	v_fma_f64 v[97:98], v[99:100], v[125:126], v[97:98]
	v_add_f64 v[113:114], v[113:114], -v[97:98]
	ds_read2_b64 v[97:100], v94 offset0:46 offset1:47
	s_waitcnt lgkmcnt(0)
	v_mul_f64 v[101:102], v[99:100], v[103:104]
	v_fma_f64 v[101:102], v[97:98], v[125:126], -v[101:102]
	v_mul_f64 v[97:98], v[97:98], v[103:104]
	v_add_f64 v[89:90], v[89:90], -v[101:102]
	v_fma_f64 v[97:98], v[99:100], v[125:126], v[97:98]
	v_add_f64 v[91:92], v[91:92], -v[97:98]
	;; [unrolled: 8-line block ×23, first 2 shown]
	ds_read2_b64 v[97:100], v94 offset0:90 offset1:91
	s_waitcnt lgkmcnt(0)
	v_mul_f64 v[101:102], v[99:100], v[103:104]
	v_fma_f64 v[101:102], v[97:98], v[125:126], -v[101:102]
	v_mul_f64 v[97:98], v[97:98], v[103:104]
	v_add_f64 v[121:122], v[121:122], -v[101:102]
	v_fma_f64 v[97:98], v[99:100], v[125:126], v[97:98]
	v_mov_b32_e32 v101, v125
	v_mov_b32_e32 v102, v126
	buffer_store_dword v101, off, s[24:27], 0 offset:96 ; 4-byte Folded Spill
	s_nop 0
	buffer_store_dword v102, off, s[24:27], 0 offset:100 ; 4-byte Folded Spill
	buffer_store_dword v103, off, s[24:27], 0 offset:104 ; 4-byte Folded Spill
	;; [unrolled: 1-line block ×3, first 2 shown]
	v_add_f64 v[123:124], v[123:124], -v[97:98]
.LBB90_335:
	s_or_b64 exec, exec, s[0:1]
	s_waitcnt vmcnt(0)
	s_barrier
	buffer_load_dword v85, off, s[24:27], 0 offset:80 ; 4-byte Folded Reload
	buffer_load_dword v86, off, s[24:27], 0 offset:84 ; 4-byte Folded Reload
	;; [unrolled: 1-line block ×4, first 2 shown]
	v_lshl_add_u32 v97, v96, 4, v94
	s_cmp_lt_i32 s3, 18
	s_waitcnt vmcnt(0)
	ds_write2_b64 v97, v[85:86], v[87:88] offset1:1
	s_waitcnt lgkmcnt(0)
	s_barrier
	ds_read2_b64 v[117:120], v94 offset0:32 offset1:33
	v_mov_b32_e32 v97, 16
	s_cbranch_scc1 .LBB90_338
; %bb.336:
	v_add_u32_e32 v98, 0x110, v94
	s_mov_b32 s0, 17
	v_mov_b32_e32 v97, 16
.LBB90_337:                             ; =>This Inner Loop Header: Depth=1
	s_waitcnt lgkmcnt(0)
	v_cmp_gt_f64_e32 vcc, 0, v[117:118]
	v_xor_b32_e32 v103, 0x80000000, v118
	ds_read2_b64 v[99:102], v98 offset1:1
	v_xor_b32_e32 v105, 0x80000000, v120
	v_add_u32_e32 v98, 16, v98
	s_waitcnt lgkmcnt(0)
	v_xor_b32_e32 v107, 0x80000000, v102
	v_cndmask_b32_e32 v104, v118, v103, vcc
	v_cmp_gt_f64_e32 vcc, 0, v[119:120]
	v_mov_b32_e32 v103, v117
	v_cndmask_b32_e32 v106, v120, v105, vcc
	v_cmp_gt_f64_e32 vcc, 0, v[99:100]
	v_mov_b32_e32 v105, v119
	v_add_f64 v[103:104], v[103:104], v[105:106]
	v_xor_b32_e32 v105, 0x80000000, v100
	v_cndmask_b32_e32 v106, v100, v105, vcc
	v_cmp_gt_f64_e32 vcc, 0, v[101:102]
	v_mov_b32_e32 v105, v99
	v_cndmask_b32_e32 v108, v102, v107, vcc
	v_mov_b32_e32 v107, v101
	v_add_f64 v[105:106], v[105:106], v[107:108]
	v_cmp_lt_f64_e32 vcc, v[103:104], v[105:106]
	v_cndmask_b32_e32 v117, v117, v99, vcc
	v_mov_b32_e32 v99, s0
	s_add_i32 s0, s0, 1
	v_cndmask_b32_e32 v118, v118, v100, vcc
	v_cndmask_b32_e32 v120, v120, v102, vcc
	;; [unrolled: 1-line block ×4, first 2 shown]
	s_cmp_lg_u32 s3, s0
	s_cbranch_scc1 .LBB90_337
.LBB90_338:
	s_waitcnt lgkmcnt(0)
	v_cmp_eq_f64_e32 vcc, 0, v[117:118]
	v_cmp_eq_f64_e64 s[0:1], 0, v[119:120]
	s_and_b64 s[0:1], vcc, s[0:1]
	s_and_saveexec_b64 s[18:19], s[0:1]
	s_xor_b64 s[0:1], exec, s[18:19]
; %bb.339:
	v_cmp_ne_u32_e32 vcc, 0, v95
	v_cndmask_b32_e32 v95, 17, v95, vcc
; %bb.340:
	s_andn2_saveexec_b64 s[0:1], s[0:1]
	s_cbranch_execz .LBB90_346
; %bb.341:
	v_cmp_ngt_f64_e64 s[18:19], |v[117:118]|, |v[119:120]|
	s_and_saveexec_b64 s[20:21], s[18:19]
	s_xor_b64 s[18:19], exec, s[20:21]
	s_cbranch_execz .LBB90_343
; %bb.342:
	v_div_scale_f64 v[98:99], s[20:21], v[119:120], v[119:120], v[117:118]
	v_rcp_f64_e32 v[100:101], v[98:99]
	v_fma_f64 v[102:103], -v[98:99], v[100:101], 1.0
	v_fma_f64 v[100:101], v[100:101], v[102:103], v[100:101]
	v_div_scale_f64 v[102:103], vcc, v[117:118], v[119:120], v[117:118]
	v_fma_f64 v[104:105], -v[98:99], v[100:101], 1.0
	v_fma_f64 v[100:101], v[100:101], v[104:105], v[100:101]
	v_mul_f64 v[104:105], v[102:103], v[100:101]
	v_fma_f64 v[98:99], -v[98:99], v[104:105], v[102:103]
	v_div_fmas_f64 v[98:99], v[98:99], v[100:101], v[104:105]
	v_div_fixup_f64 v[98:99], v[98:99], v[119:120], v[117:118]
	v_fma_f64 v[100:101], v[117:118], v[98:99], v[119:120]
	v_div_scale_f64 v[102:103], s[20:21], v[100:101], v[100:101], 1.0
	v_div_scale_f64 v[108:109], vcc, 1.0, v[100:101], 1.0
	v_rcp_f64_e32 v[104:105], v[102:103]
	v_fma_f64 v[106:107], -v[102:103], v[104:105], 1.0
	v_fma_f64 v[104:105], v[104:105], v[106:107], v[104:105]
	v_fma_f64 v[106:107], -v[102:103], v[104:105], 1.0
	v_fma_f64 v[104:105], v[104:105], v[106:107], v[104:105]
	v_mul_f64 v[106:107], v[108:109], v[104:105]
	v_fma_f64 v[102:103], -v[102:103], v[106:107], v[108:109]
	v_div_fmas_f64 v[102:103], v[102:103], v[104:105], v[106:107]
	v_div_fixup_f64 v[119:120], v[102:103], v[100:101], 1.0
	v_mul_f64 v[117:118], v[98:99], v[119:120]
	v_xor_b32_e32 v120, 0x80000000, v120
.LBB90_343:
	s_andn2_saveexec_b64 s[18:19], s[18:19]
	s_cbranch_execz .LBB90_345
; %bb.344:
	v_div_scale_f64 v[98:99], s[20:21], v[117:118], v[117:118], v[119:120]
	v_rcp_f64_e32 v[100:101], v[98:99]
	v_fma_f64 v[102:103], -v[98:99], v[100:101], 1.0
	v_fma_f64 v[100:101], v[100:101], v[102:103], v[100:101]
	v_div_scale_f64 v[102:103], vcc, v[119:120], v[117:118], v[119:120]
	v_fma_f64 v[104:105], -v[98:99], v[100:101], 1.0
	v_fma_f64 v[100:101], v[100:101], v[104:105], v[100:101]
	v_mul_f64 v[104:105], v[102:103], v[100:101]
	v_fma_f64 v[98:99], -v[98:99], v[104:105], v[102:103]
	v_div_fmas_f64 v[98:99], v[98:99], v[100:101], v[104:105]
	v_div_fixup_f64 v[98:99], v[98:99], v[117:118], v[119:120]
	v_fma_f64 v[100:101], v[119:120], v[98:99], v[117:118]
	v_div_scale_f64 v[102:103], s[20:21], v[100:101], v[100:101], 1.0
	v_div_scale_f64 v[108:109], vcc, 1.0, v[100:101], 1.0
	v_rcp_f64_e32 v[104:105], v[102:103]
	v_fma_f64 v[106:107], -v[102:103], v[104:105], 1.0
	v_fma_f64 v[104:105], v[104:105], v[106:107], v[104:105]
	v_fma_f64 v[106:107], -v[102:103], v[104:105], 1.0
	v_fma_f64 v[104:105], v[104:105], v[106:107], v[104:105]
	v_mul_f64 v[106:107], v[108:109], v[104:105]
	v_fma_f64 v[102:103], -v[102:103], v[106:107], v[108:109]
	v_div_fmas_f64 v[102:103], v[102:103], v[104:105], v[106:107]
	v_div_fixup_f64 v[117:118], v[102:103], v[100:101], 1.0
	v_mul_f64 v[119:120], v[98:99], -v[117:118]
.LBB90_345:
	s_or_b64 exec, exec, s[18:19]
.LBB90_346:
	s_or_b64 exec, exec, s[0:1]
	v_cmp_ne_u32_e32 vcc, v96, v97
	s_and_saveexec_b64 s[0:1], vcc
	s_xor_b64 s[0:1], exec, s[0:1]
	s_cbranch_execz .LBB90_352
; %bb.347:
	v_cmp_eq_u32_e32 vcc, 16, v96
	s_and_saveexec_b64 s[18:19], vcc
	s_cbranch_execz .LBB90_351
; %bb.348:
	v_cmp_ne_u32_e32 vcc, 16, v97
	s_xor_b64 s[20:21], s[6:7], -1
	s_and_b64 s[22:23], s[20:21], vcc
	s_and_saveexec_b64 s[20:21], s[22:23]
	s_cbranch_execz .LBB90_350
; %bb.349:
	buffer_load_dword v85, off, s[24:27], 0 offset:304 ; 4-byte Folded Reload
	buffer_load_dword v86, off, s[24:27], 0 offset:308 ; 4-byte Folded Reload
	v_ashrrev_i32_e32 v98, 31, v97
	v_lshlrev_b64 v[98:99], 2, v[97:98]
	s_waitcnt vmcnt(1)
	v_add_co_u32_e32 v98, vcc, v85, v98
	s_waitcnt vmcnt(0)
	v_addc_co_u32_e32 v99, vcc, v86, v99, vcc
	global_load_dword v0, v[98:99], off
	global_load_dword v96, v[85:86], off offset:64
	s_waitcnt vmcnt(1)
	global_store_dword v[85:86], v0, off offset:64
	s_waitcnt vmcnt(1)
	global_store_dword v[98:99], v96, off
.LBB90_350:
	s_or_b64 exec, exec, s[20:21]
	v_mov_b32_e32 v96, v97
	v_mov_b32_e32 v0, v97
.LBB90_351:
	s_or_b64 exec, exec, s[18:19]
.LBB90_352:
	s_andn2_saveexec_b64 s[0:1], s[0:1]
	s_cbranch_execz .LBB90_354
; %bb.353:
	buffer_load_dword v85, off, s[24:27], 0 offset:64 ; 4-byte Folded Reload
	buffer_load_dword v86, off, s[24:27], 0 offset:68 ; 4-byte Folded Reload
	;; [unrolled: 1-line block ×4, first 2 shown]
	v_mov_b32_e32 v96, 16
	s_waitcnt vmcnt(0)
	ds_write2_b64 v94, v[85:86], v[87:88] offset0:34 offset1:35
	buffer_load_dword v85, off, s[24:27], 0 offset:48 ; 4-byte Folded Reload
	buffer_load_dword v86, off, s[24:27], 0 offset:52 ; 4-byte Folded Reload
	buffer_load_dword v87, off, s[24:27], 0 offset:56 ; 4-byte Folded Reload
	buffer_load_dword v88, off, s[24:27], 0 offset:60 ; 4-byte Folded Reload
	s_waitcnt vmcnt(0)
	ds_write2_b64 v94, v[85:86], v[87:88] offset0:36 offset1:37
	buffer_load_dword v85, off, s[24:27], 0 offset:32 ; 4-byte Folded Reload
	buffer_load_dword v86, off, s[24:27], 0 offset:36 ; 4-byte Folded Reload
	buffer_load_dword v87, off, s[24:27], 0 offset:40 ; 4-byte Folded Reload
	buffer_load_dword v88, off, s[24:27], 0 offset:44 ; 4-byte Folded Reload
	s_waitcnt vmcnt(0)
	ds_write2_b64 v94, v[85:86], v[87:88] offset0:38 offset1:39
	buffer_load_dword v85, off, s[24:27], 0 offset:16 ; 4-byte Folded Reload
	buffer_load_dword v86, off, s[24:27], 0 offset:20 ; 4-byte Folded Reload
	buffer_load_dword v87, off, s[24:27], 0 offset:24 ; 4-byte Folded Reload
	buffer_load_dword v88, off, s[24:27], 0 offset:28 ; 4-byte Folded Reload
	s_waitcnt vmcnt(0)
	ds_write2_b64 v94, v[85:86], v[87:88] offset0:40 offset1:41
	buffer_load_dword v85, off, s[24:27], 0 ; 4-byte Folded Reload
	buffer_load_dword v86, off, s[24:27], 0 offset:4 ; 4-byte Folded Reload
	buffer_load_dword v87, off, s[24:27], 0 offset:8 ; 4-byte Folded Reload
	;; [unrolled: 1-line block ×3, first 2 shown]
	s_waitcnt vmcnt(0)
	ds_write2_b64 v94, v[85:86], v[87:88] offset0:42 offset1:43
	ds_write2_b64 v94, v[111:112], v[113:114] offset0:44 offset1:45
	;; [unrolled: 1-line block ×25, first 2 shown]
.LBB90_354:
	s_or_b64 exec, exec, s[0:1]
	v_cmp_lt_i32_e32 vcc, 16, v96
	s_waitcnt vmcnt(0) lgkmcnt(0)
	s_barrier
	s_and_saveexec_b64 s[0:1], vcc
	s_cbranch_execz .LBB90_356
; %bb.355:
	buffer_load_dword v107, off, s[24:27], 0 offset:80 ; 4-byte Folded Reload
	buffer_load_dword v108, off, s[24:27], 0 offset:84 ; 4-byte Folded Reload
	;; [unrolled: 1-line block ×4, first 2 shown]
	v_mov_b32_e32 v103, v111
	v_mov_b32_e32 v104, v112
	;; [unrolled: 1-line block ×4, first 2 shown]
	s_waitcnt vmcnt(0)
	v_mul_f64 v[97:98], v[119:120], v[109:110]
	v_fma_f64 v[113:114], v[117:118], v[107:108], -v[97:98]
	v_mul_f64 v[97:98], v[117:118], v[109:110]
	v_fma_f64 v[109:110], v[119:120], v[107:108], v[97:98]
	ds_read2_b64 v[97:100], v94 offset0:34 offset1:35
	buffer_load_dword v85, off, s[24:27], 0 offset:64 ; 4-byte Folded Reload
	buffer_load_dword v86, off, s[24:27], 0 offset:68 ; 4-byte Folded Reload
	;; [unrolled: 1-line block ×4, first 2 shown]
	v_mov_b32_e32 v107, v113
	v_mov_b32_e32 v108, v114
	s_waitcnt lgkmcnt(0)
	v_mul_f64 v[101:102], v[99:100], v[109:110]
	v_fma_f64 v[101:102], v[97:98], v[113:114], -v[101:102]
	v_mul_f64 v[97:98], v[97:98], v[109:110]
	v_fma_f64 v[97:98], v[99:100], v[113:114], v[97:98]
	s_waitcnt vmcnt(2)
	v_add_f64 v[85:86], v[85:86], -v[101:102]
	s_waitcnt vmcnt(0)
	v_add_f64 v[87:88], v[87:88], -v[97:98]
	buffer_store_dword v85, off, s[24:27], 0 offset:64 ; 4-byte Folded Spill
	s_nop 0
	buffer_store_dword v86, off, s[24:27], 0 offset:68 ; 4-byte Folded Spill
	buffer_store_dword v87, off, s[24:27], 0 offset:72 ; 4-byte Folded Spill
	buffer_store_dword v88, off, s[24:27], 0 offset:76 ; 4-byte Folded Spill
	ds_read2_b64 v[97:100], v94 offset0:36 offset1:37
	buffer_load_dword v85, off, s[24:27], 0 offset:48 ; 4-byte Folded Reload
	buffer_load_dword v86, off, s[24:27], 0 offset:52 ; 4-byte Folded Reload
	buffer_load_dword v87, off, s[24:27], 0 offset:56 ; 4-byte Folded Reload
	buffer_load_dword v88, off, s[24:27], 0 offset:60 ; 4-byte Folded Reload
	s_waitcnt lgkmcnt(0)
	v_mul_f64 v[101:102], v[99:100], v[109:110]
	v_fma_f64 v[101:102], v[97:98], v[113:114], -v[101:102]
	v_mul_f64 v[97:98], v[97:98], v[109:110]
	v_fma_f64 v[97:98], v[99:100], v[113:114], v[97:98]
	s_waitcnt vmcnt(2)
	v_add_f64 v[85:86], v[85:86], -v[101:102]
	s_waitcnt vmcnt(0)
	v_add_f64 v[87:88], v[87:88], -v[97:98]
	buffer_store_dword v85, off, s[24:27], 0 offset:48 ; 4-byte Folded Spill
	s_nop 0
	buffer_store_dword v86, off, s[24:27], 0 offset:52 ; 4-byte Folded Spill
	buffer_store_dword v87, off, s[24:27], 0 offset:56 ; 4-byte Folded Spill
	buffer_store_dword v88, off, s[24:27], 0 offset:60 ; 4-byte Folded Spill
	ds_read2_b64 v[97:100], v94 offset0:38 offset1:39
	buffer_load_dword v85, off, s[24:27], 0 offset:32 ; 4-byte Folded Reload
	buffer_load_dword v86, off, s[24:27], 0 offset:36 ; 4-byte Folded Reload
	buffer_load_dword v87, off, s[24:27], 0 offset:40 ; 4-byte Folded Reload
	buffer_load_dword v88, off, s[24:27], 0 offset:44 ; 4-byte Folded Reload
	;; [unrolled: 19-line block ×3, first 2 shown]
	s_waitcnt lgkmcnt(0)
	v_mul_f64 v[101:102], v[99:100], v[109:110]
	v_fma_f64 v[101:102], v[97:98], v[113:114], -v[101:102]
	v_mul_f64 v[97:98], v[97:98], v[109:110]
	v_fma_f64 v[97:98], v[99:100], v[113:114], v[97:98]
	s_waitcnt vmcnt(2)
	v_add_f64 v[85:86], v[85:86], -v[101:102]
	s_waitcnt vmcnt(0)
	v_add_f64 v[87:88], v[87:88], -v[97:98]
	buffer_store_dword v85, off, s[24:27], 0 offset:16 ; 4-byte Folded Spill
	s_nop 0
	buffer_store_dword v86, off, s[24:27], 0 offset:20 ; 4-byte Folded Spill
	buffer_store_dword v87, off, s[24:27], 0 offset:24 ; 4-byte Folded Spill
	;; [unrolled: 1-line block ×3, first 2 shown]
	ds_read2_b64 v[97:100], v94 offset0:42 offset1:43
	buffer_load_dword v85, off, s[24:27], 0 ; 4-byte Folded Reload
	buffer_load_dword v86, off, s[24:27], 0 offset:4 ; 4-byte Folded Reload
	buffer_load_dword v87, off, s[24:27], 0 offset:8 ; 4-byte Folded Reload
	;; [unrolled: 1-line block ×3, first 2 shown]
	s_waitcnt lgkmcnt(0)
	v_mul_f64 v[101:102], v[99:100], v[109:110]
	v_fma_f64 v[101:102], v[97:98], v[113:114], -v[101:102]
	v_mul_f64 v[97:98], v[97:98], v[109:110]
	v_fma_f64 v[97:98], v[99:100], v[113:114], v[97:98]
	s_waitcnt vmcnt(2)
	v_add_f64 v[85:86], v[85:86], -v[101:102]
	s_waitcnt vmcnt(0)
	v_add_f64 v[87:88], v[87:88], -v[97:98]
	buffer_store_dword v85, off, s[24:27], 0 ; 4-byte Folded Spill
	s_nop 0
	buffer_store_dword v86, off, s[24:27], 0 offset:4 ; 4-byte Folded Spill
	buffer_store_dword v87, off, s[24:27], 0 offset:8 ; 4-byte Folded Spill
	;; [unrolled: 1-line block ×3, first 2 shown]
	ds_read2_b64 v[97:100], v94 offset0:44 offset1:45
	s_waitcnt lgkmcnt(0)
	v_mul_f64 v[101:102], v[99:100], v[109:110]
	v_fma_f64 v[101:102], v[97:98], v[113:114], -v[101:102]
	v_mul_f64 v[97:98], v[97:98], v[109:110]
	v_add_f64 v[103:104], v[103:104], -v[101:102]
	v_fma_f64 v[97:98], v[99:100], v[113:114], v[97:98]
	v_add_f64 v[105:106], v[105:106], -v[97:98]
	ds_read2_b64 v[97:100], v94 offset0:46 offset1:47
	s_waitcnt lgkmcnt(0)
	v_mul_f64 v[101:102], v[99:100], v[109:110]
	v_fma_f64 v[101:102], v[97:98], v[113:114], -v[101:102]
	v_mul_f64 v[97:98], v[97:98], v[109:110]
	v_add_f64 v[89:90], v[89:90], -v[101:102]
	v_fma_f64 v[97:98], v[99:100], v[113:114], v[97:98]
	v_add_f64 v[91:92], v[91:92], -v[97:98]
	;; [unrolled: 8-line block ×23, first 2 shown]
	ds_read2_b64 v[97:100], v94 offset0:90 offset1:91
	s_waitcnt lgkmcnt(0)
	v_mul_f64 v[101:102], v[99:100], v[109:110]
	v_fma_f64 v[101:102], v[97:98], v[113:114], -v[101:102]
	v_mul_f64 v[97:98], v[97:98], v[109:110]
	buffer_store_dword v107, off, s[24:27], 0 offset:80 ; 4-byte Folded Spill
	s_nop 0
	buffer_store_dword v108, off, s[24:27], 0 offset:84 ; 4-byte Folded Spill
	buffer_store_dword v109, off, s[24:27], 0 offset:88 ; 4-byte Folded Spill
	;; [unrolled: 1-line block ×3, first 2 shown]
	v_add_f64 v[121:122], v[121:122], -v[101:102]
	v_fma_f64 v[97:98], v[99:100], v[113:114], v[97:98]
	v_mov_b32_e32 v114, v106
	v_mov_b32_e32 v113, v105
	;; [unrolled: 1-line block ×4, first 2 shown]
	v_add_f64 v[123:124], v[123:124], -v[97:98]
.LBB90_356:
	s_or_b64 exec, exec, s[0:1]
	s_waitcnt vmcnt(0)
	s_barrier
	buffer_load_dword v85, off, s[24:27], 0 offset:64 ; 4-byte Folded Reload
	buffer_load_dword v86, off, s[24:27], 0 offset:68 ; 4-byte Folded Reload
	;; [unrolled: 1-line block ×4, first 2 shown]
	v_lshl_add_u32 v97, v96, 4, v94
	s_cmp_lt_i32 s3, 19
	s_waitcnt vmcnt(0)
	ds_write2_b64 v97, v[85:86], v[87:88] offset1:1
	s_waitcnt lgkmcnt(0)
	s_barrier
	ds_read2_b64 v[117:120], v94 offset0:34 offset1:35
	v_mov_b32_e32 v97, 17
	s_cbranch_scc1 .LBB90_359
; %bb.357:
	v_add_u32_e32 v98, 0x120, v94
	s_mov_b32 s0, 18
	v_mov_b32_e32 v97, 17
.LBB90_358:                             ; =>This Inner Loop Header: Depth=1
	s_waitcnt lgkmcnt(0)
	v_cmp_gt_f64_e32 vcc, 0, v[117:118]
	v_xor_b32_e32 v103, 0x80000000, v118
	ds_read2_b64 v[99:102], v98 offset1:1
	v_xor_b32_e32 v105, 0x80000000, v120
	v_add_u32_e32 v98, 16, v98
	s_waitcnt lgkmcnt(0)
	v_xor_b32_e32 v107, 0x80000000, v102
	v_cndmask_b32_e32 v104, v118, v103, vcc
	v_cmp_gt_f64_e32 vcc, 0, v[119:120]
	v_mov_b32_e32 v103, v117
	v_cndmask_b32_e32 v106, v120, v105, vcc
	v_cmp_gt_f64_e32 vcc, 0, v[99:100]
	v_mov_b32_e32 v105, v119
	v_add_f64 v[103:104], v[103:104], v[105:106]
	v_xor_b32_e32 v105, 0x80000000, v100
	v_cndmask_b32_e32 v106, v100, v105, vcc
	v_cmp_gt_f64_e32 vcc, 0, v[101:102]
	v_mov_b32_e32 v105, v99
	v_cndmask_b32_e32 v108, v102, v107, vcc
	v_mov_b32_e32 v107, v101
	v_add_f64 v[105:106], v[105:106], v[107:108]
	v_cmp_lt_f64_e32 vcc, v[103:104], v[105:106]
	v_cndmask_b32_e32 v117, v117, v99, vcc
	v_mov_b32_e32 v99, s0
	s_add_i32 s0, s0, 1
	v_cndmask_b32_e32 v118, v118, v100, vcc
	v_cndmask_b32_e32 v120, v120, v102, vcc
	;; [unrolled: 1-line block ×4, first 2 shown]
	s_cmp_lg_u32 s3, s0
	s_cbranch_scc1 .LBB90_358
.LBB90_359:
	s_waitcnt lgkmcnt(0)
	v_cmp_eq_f64_e32 vcc, 0, v[117:118]
	v_cmp_eq_f64_e64 s[0:1], 0, v[119:120]
	s_and_b64 s[0:1], vcc, s[0:1]
	s_and_saveexec_b64 s[18:19], s[0:1]
	s_xor_b64 s[0:1], exec, s[18:19]
; %bb.360:
	v_cmp_ne_u32_e32 vcc, 0, v95
	v_cndmask_b32_e32 v95, 18, v95, vcc
; %bb.361:
	s_andn2_saveexec_b64 s[0:1], s[0:1]
	s_cbranch_execz .LBB90_367
; %bb.362:
	v_cmp_ngt_f64_e64 s[18:19], |v[117:118]|, |v[119:120]|
	s_and_saveexec_b64 s[20:21], s[18:19]
	s_xor_b64 s[18:19], exec, s[20:21]
	s_cbranch_execz .LBB90_364
; %bb.363:
	v_div_scale_f64 v[98:99], s[20:21], v[119:120], v[119:120], v[117:118]
	v_rcp_f64_e32 v[100:101], v[98:99]
	v_fma_f64 v[102:103], -v[98:99], v[100:101], 1.0
	v_fma_f64 v[100:101], v[100:101], v[102:103], v[100:101]
	v_div_scale_f64 v[102:103], vcc, v[117:118], v[119:120], v[117:118]
	v_fma_f64 v[104:105], -v[98:99], v[100:101], 1.0
	v_fma_f64 v[100:101], v[100:101], v[104:105], v[100:101]
	v_mul_f64 v[104:105], v[102:103], v[100:101]
	v_fma_f64 v[98:99], -v[98:99], v[104:105], v[102:103]
	v_div_fmas_f64 v[98:99], v[98:99], v[100:101], v[104:105]
	v_div_fixup_f64 v[98:99], v[98:99], v[119:120], v[117:118]
	v_fma_f64 v[100:101], v[117:118], v[98:99], v[119:120]
	v_div_scale_f64 v[102:103], s[20:21], v[100:101], v[100:101], 1.0
	v_div_scale_f64 v[108:109], vcc, 1.0, v[100:101], 1.0
	v_rcp_f64_e32 v[104:105], v[102:103]
	v_fma_f64 v[106:107], -v[102:103], v[104:105], 1.0
	v_fma_f64 v[104:105], v[104:105], v[106:107], v[104:105]
	v_fma_f64 v[106:107], -v[102:103], v[104:105], 1.0
	v_fma_f64 v[104:105], v[104:105], v[106:107], v[104:105]
	v_mul_f64 v[106:107], v[108:109], v[104:105]
	v_fma_f64 v[102:103], -v[102:103], v[106:107], v[108:109]
	v_div_fmas_f64 v[102:103], v[102:103], v[104:105], v[106:107]
	v_div_fixup_f64 v[119:120], v[102:103], v[100:101], 1.0
	v_mul_f64 v[117:118], v[98:99], v[119:120]
	v_xor_b32_e32 v120, 0x80000000, v120
.LBB90_364:
	s_andn2_saveexec_b64 s[18:19], s[18:19]
	s_cbranch_execz .LBB90_366
; %bb.365:
	v_div_scale_f64 v[98:99], s[20:21], v[117:118], v[117:118], v[119:120]
	v_rcp_f64_e32 v[100:101], v[98:99]
	v_fma_f64 v[102:103], -v[98:99], v[100:101], 1.0
	v_fma_f64 v[100:101], v[100:101], v[102:103], v[100:101]
	v_div_scale_f64 v[102:103], vcc, v[119:120], v[117:118], v[119:120]
	v_fma_f64 v[104:105], -v[98:99], v[100:101], 1.0
	v_fma_f64 v[100:101], v[100:101], v[104:105], v[100:101]
	v_mul_f64 v[104:105], v[102:103], v[100:101]
	v_fma_f64 v[98:99], -v[98:99], v[104:105], v[102:103]
	v_div_fmas_f64 v[98:99], v[98:99], v[100:101], v[104:105]
	v_div_fixup_f64 v[98:99], v[98:99], v[117:118], v[119:120]
	v_fma_f64 v[100:101], v[119:120], v[98:99], v[117:118]
	v_div_scale_f64 v[102:103], s[20:21], v[100:101], v[100:101], 1.0
	v_div_scale_f64 v[108:109], vcc, 1.0, v[100:101], 1.0
	v_rcp_f64_e32 v[104:105], v[102:103]
	v_fma_f64 v[106:107], -v[102:103], v[104:105], 1.0
	v_fma_f64 v[104:105], v[104:105], v[106:107], v[104:105]
	v_fma_f64 v[106:107], -v[102:103], v[104:105], 1.0
	v_fma_f64 v[104:105], v[104:105], v[106:107], v[104:105]
	v_mul_f64 v[106:107], v[108:109], v[104:105]
	v_fma_f64 v[102:103], -v[102:103], v[106:107], v[108:109]
	v_div_fmas_f64 v[102:103], v[102:103], v[104:105], v[106:107]
	v_div_fixup_f64 v[117:118], v[102:103], v[100:101], 1.0
	v_mul_f64 v[119:120], v[98:99], -v[117:118]
.LBB90_366:
	s_or_b64 exec, exec, s[18:19]
.LBB90_367:
	s_or_b64 exec, exec, s[0:1]
	v_cmp_ne_u32_e32 vcc, v96, v97
	s_and_saveexec_b64 s[0:1], vcc
	s_xor_b64 s[0:1], exec, s[0:1]
	s_cbranch_execz .LBB90_373
; %bb.368:
	v_cmp_eq_u32_e32 vcc, 17, v96
	s_and_saveexec_b64 s[18:19], vcc
	s_cbranch_execz .LBB90_372
; %bb.369:
	v_cmp_ne_u32_e32 vcc, 17, v97
	s_xor_b64 s[20:21], s[6:7], -1
	s_and_b64 s[22:23], s[20:21], vcc
	s_and_saveexec_b64 s[20:21], s[22:23]
	s_cbranch_execz .LBB90_371
; %bb.370:
	buffer_load_dword v85, off, s[24:27], 0 offset:304 ; 4-byte Folded Reload
	buffer_load_dword v86, off, s[24:27], 0 offset:308 ; 4-byte Folded Reload
	v_ashrrev_i32_e32 v98, 31, v97
	v_lshlrev_b64 v[98:99], 2, v[97:98]
	s_waitcnt vmcnt(1)
	v_add_co_u32_e32 v98, vcc, v85, v98
	s_waitcnt vmcnt(0)
	v_addc_co_u32_e32 v99, vcc, v86, v99, vcc
	global_load_dword v0, v[98:99], off
	global_load_dword v96, v[85:86], off offset:68
	s_waitcnt vmcnt(1)
	global_store_dword v[85:86], v0, off offset:68
	s_waitcnt vmcnt(1)
	global_store_dword v[98:99], v96, off
.LBB90_371:
	s_or_b64 exec, exec, s[20:21]
	v_mov_b32_e32 v96, v97
	v_mov_b32_e32 v0, v97
.LBB90_372:
	s_or_b64 exec, exec, s[18:19]
.LBB90_373:
	s_andn2_saveexec_b64 s[0:1], s[0:1]
	s_cbranch_execz .LBB90_375
; %bb.374:
	buffer_load_dword v85, off, s[24:27], 0 offset:48 ; 4-byte Folded Reload
	buffer_load_dword v86, off, s[24:27], 0 offset:52 ; 4-byte Folded Reload
	;; [unrolled: 1-line block ×4, first 2 shown]
	v_mov_b32_e32 v96, 17
	s_waitcnt vmcnt(0)
	ds_write2_b64 v94, v[85:86], v[87:88] offset0:36 offset1:37
	buffer_load_dword v85, off, s[24:27], 0 offset:32 ; 4-byte Folded Reload
	buffer_load_dword v86, off, s[24:27], 0 offset:36 ; 4-byte Folded Reload
	;; [unrolled: 1-line block ×4, first 2 shown]
	s_waitcnt vmcnt(0)
	ds_write2_b64 v94, v[85:86], v[87:88] offset0:38 offset1:39
	buffer_load_dword v85, off, s[24:27], 0 offset:16 ; 4-byte Folded Reload
	buffer_load_dword v86, off, s[24:27], 0 offset:20 ; 4-byte Folded Reload
	;; [unrolled: 1-line block ×4, first 2 shown]
	s_waitcnt vmcnt(0)
	ds_write2_b64 v94, v[85:86], v[87:88] offset0:40 offset1:41
	buffer_load_dword v85, off, s[24:27], 0 ; 4-byte Folded Reload
	buffer_load_dword v86, off, s[24:27], 0 offset:4 ; 4-byte Folded Reload
	buffer_load_dword v87, off, s[24:27], 0 offset:8 ; 4-byte Folded Reload
	;; [unrolled: 1-line block ×3, first 2 shown]
	s_waitcnt vmcnt(0)
	ds_write2_b64 v94, v[85:86], v[87:88] offset0:42 offset1:43
	ds_write2_b64 v94, v[111:112], v[113:114] offset0:44 offset1:45
	;; [unrolled: 1-line block ×25, first 2 shown]
.LBB90_375:
	s_or_b64 exec, exec, s[0:1]
	v_cmp_lt_i32_e32 vcc, 17, v96
	s_waitcnt vmcnt(0) lgkmcnt(0)
	s_barrier
	s_and_saveexec_b64 s[0:1], vcc
	s_cbranch_execz .LBB90_377
; %bb.376:
	buffer_load_dword v101, off, s[24:27], 0 offset:64 ; 4-byte Folded Reload
	buffer_load_dword v102, off, s[24:27], 0 offset:68 ; 4-byte Folded Reload
	;; [unrolled: 1-line block ×4, first 2 shown]
	s_waitcnt vmcnt(0)
	v_mul_f64 v[97:98], v[119:120], v[103:104]
	v_fma_f64 v[105:106], v[117:118], v[101:102], -v[97:98]
	v_mul_f64 v[97:98], v[117:118], v[103:104]
	v_fma_f64 v[103:104], v[119:120], v[101:102], v[97:98]
	ds_read2_b64 v[97:100], v94 offset0:36 offset1:37
	buffer_load_dword v85, off, s[24:27], 0 offset:48 ; 4-byte Folded Reload
	buffer_load_dword v86, off, s[24:27], 0 offset:52 ; 4-byte Folded Reload
	buffer_load_dword v87, off, s[24:27], 0 offset:56 ; 4-byte Folded Reload
	buffer_load_dword v88, off, s[24:27], 0 offset:60 ; 4-byte Folded Reload
	s_waitcnt lgkmcnt(0)
	v_mul_f64 v[101:102], v[99:100], v[103:104]
	v_fma_f64 v[101:102], v[97:98], v[105:106], -v[101:102]
	v_mul_f64 v[97:98], v[97:98], v[103:104]
	v_fma_f64 v[97:98], v[99:100], v[105:106], v[97:98]
	s_waitcnt vmcnt(2)
	v_add_f64 v[85:86], v[85:86], -v[101:102]
	s_waitcnt vmcnt(0)
	v_add_f64 v[87:88], v[87:88], -v[97:98]
	buffer_store_dword v85, off, s[24:27], 0 offset:48 ; 4-byte Folded Spill
	s_nop 0
	buffer_store_dword v86, off, s[24:27], 0 offset:52 ; 4-byte Folded Spill
	buffer_store_dword v87, off, s[24:27], 0 offset:56 ; 4-byte Folded Spill
	buffer_store_dword v88, off, s[24:27], 0 offset:60 ; 4-byte Folded Spill
	ds_read2_b64 v[97:100], v94 offset0:38 offset1:39
	buffer_load_dword v85, off, s[24:27], 0 offset:32 ; 4-byte Folded Reload
	buffer_load_dword v86, off, s[24:27], 0 offset:36 ; 4-byte Folded Reload
	buffer_load_dword v87, off, s[24:27], 0 offset:40 ; 4-byte Folded Reload
	buffer_load_dword v88, off, s[24:27], 0 offset:44 ; 4-byte Folded Reload
	s_waitcnt lgkmcnt(0)
	v_mul_f64 v[101:102], v[99:100], v[103:104]
	v_fma_f64 v[101:102], v[97:98], v[105:106], -v[101:102]
	v_mul_f64 v[97:98], v[97:98], v[103:104]
	v_fma_f64 v[97:98], v[99:100], v[105:106], v[97:98]
	s_waitcnt vmcnt(2)
	v_add_f64 v[85:86], v[85:86], -v[101:102]
	s_waitcnt vmcnt(0)
	v_add_f64 v[87:88], v[87:88], -v[97:98]
	buffer_store_dword v85, off, s[24:27], 0 offset:32 ; 4-byte Folded Spill
	s_nop 0
	buffer_store_dword v86, off, s[24:27], 0 offset:36 ; 4-byte Folded Spill
	buffer_store_dword v87, off, s[24:27], 0 offset:40 ; 4-byte Folded Spill
	buffer_store_dword v88, off, s[24:27], 0 offset:44 ; 4-byte Folded Spill
	;; [unrolled: 19-line block ×3, first 2 shown]
	ds_read2_b64 v[97:100], v94 offset0:42 offset1:43
	buffer_load_dword v85, off, s[24:27], 0 ; 4-byte Folded Reload
	buffer_load_dword v86, off, s[24:27], 0 offset:4 ; 4-byte Folded Reload
	buffer_load_dword v87, off, s[24:27], 0 offset:8 ; 4-byte Folded Reload
	;; [unrolled: 1-line block ×3, first 2 shown]
	s_waitcnt lgkmcnt(0)
	v_mul_f64 v[101:102], v[99:100], v[103:104]
	v_fma_f64 v[101:102], v[97:98], v[105:106], -v[101:102]
	v_mul_f64 v[97:98], v[97:98], v[103:104]
	v_fma_f64 v[97:98], v[99:100], v[105:106], v[97:98]
	s_waitcnt vmcnt(2)
	v_add_f64 v[85:86], v[85:86], -v[101:102]
	s_waitcnt vmcnt(0)
	v_add_f64 v[87:88], v[87:88], -v[97:98]
	buffer_store_dword v85, off, s[24:27], 0 ; 4-byte Folded Spill
	s_nop 0
	buffer_store_dword v86, off, s[24:27], 0 offset:4 ; 4-byte Folded Spill
	buffer_store_dword v87, off, s[24:27], 0 offset:8 ; 4-byte Folded Spill
	;; [unrolled: 1-line block ×3, first 2 shown]
	ds_read2_b64 v[97:100], v94 offset0:44 offset1:45
	s_waitcnt lgkmcnt(0)
	v_mul_f64 v[101:102], v[99:100], v[103:104]
	v_fma_f64 v[101:102], v[97:98], v[105:106], -v[101:102]
	v_mul_f64 v[97:98], v[97:98], v[103:104]
	v_add_f64 v[111:112], v[111:112], -v[101:102]
	v_fma_f64 v[97:98], v[99:100], v[105:106], v[97:98]
	v_add_f64 v[113:114], v[113:114], -v[97:98]
	ds_read2_b64 v[97:100], v94 offset0:46 offset1:47
	s_waitcnt lgkmcnt(0)
	v_mul_f64 v[101:102], v[99:100], v[103:104]
	v_fma_f64 v[101:102], v[97:98], v[105:106], -v[101:102]
	v_mul_f64 v[97:98], v[97:98], v[103:104]
	v_add_f64 v[89:90], v[89:90], -v[101:102]
	v_fma_f64 v[97:98], v[99:100], v[105:106], v[97:98]
	v_add_f64 v[91:92], v[91:92], -v[97:98]
	;; [unrolled: 8-line block ×23, first 2 shown]
	ds_read2_b64 v[97:100], v94 offset0:90 offset1:91
	s_waitcnt lgkmcnt(0)
	v_mul_f64 v[101:102], v[99:100], v[103:104]
	v_fma_f64 v[101:102], v[97:98], v[105:106], -v[101:102]
	v_mul_f64 v[97:98], v[97:98], v[103:104]
	v_add_f64 v[121:122], v[121:122], -v[101:102]
	v_fma_f64 v[97:98], v[99:100], v[105:106], v[97:98]
	v_mov_b32_e32 v101, v105
	v_mov_b32_e32 v102, v106
	buffer_store_dword v101, off, s[24:27], 0 offset:64 ; 4-byte Folded Spill
	s_nop 0
	buffer_store_dword v102, off, s[24:27], 0 offset:68 ; 4-byte Folded Spill
	buffer_store_dword v103, off, s[24:27], 0 offset:72 ; 4-byte Folded Spill
	buffer_store_dword v104, off, s[24:27], 0 offset:76 ; 4-byte Folded Spill
	v_add_f64 v[123:124], v[123:124], -v[97:98]
.LBB90_377:
	s_or_b64 exec, exec, s[0:1]
	s_waitcnt vmcnt(0)
	s_barrier
	buffer_load_dword v85, off, s[24:27], 0 offset:48 ; 4-byte Folded Reload
	buffer_load_dword v86, off, s[24:27], 0 offset:52 ; 4-byte Folded Reload
	;; [unrolled: 1-line block ×4, first 2 shown]
	v_lshl_add_u32 v97, v96, 4, v94
	s_cmp_lt_i32 s3, 20
	s_waitcnt vmcnt(0)
	ds_write2_b64 v97, v[85:86], v[87:88] offset1:1
	s_waitcnt lgkmcnt(0)
	s_barrier
	ds_read2_b64 v[117:120], v94 offset0:36 offset1:37
	v_mov_b32_e32 v97, 18
	s_cbranch_scc1 .LBB90_380
; %bb.378:
	v_add_u32_e32 v98, 0x130, v94
	s_mov_b32 s0, 19
	v_mov_b32_e32 v97, 18
.LBB90_379:                             ; =>This Inner Loop Header: Depth=1
	s_waitcnt lgkmcnt(0)
	v_cmp_gt_f64_e32 vcc, 0, v[117:118]
	v_xor_b32_e32 v103, 0x80000000, v118
	ds_read2_b64 v[99:102], v98 offset1:1
	v_xor_b32_e32 v105, 0x80000000, v120
	v_add_u32_e32 v98, 16, v98
	s_waitcnt lgkmcnt(0)
	v_xor_b32_e32 v107, 0x80000000, v102
	v_cndmask_b32_e32 v104, v118, v103, vcc
	v_cmp_gt_f64_e32 vcc, 0, v[119:120]
	v_mov_b32_e32 v103, v117
	v_cndmask_b32_e32 v106, v120, v105, vcc
	v_cmp_gt_f64_e32 vcc, 0, v[99:100]
	v_mov_b32_e32 v105, v119
	v_add_f64 v[103:104], v[103:104], v[105:106]
	v_xor_b32_e32 v105, 0x80000000, v100
	v_cndmask_b32_e32 v106, v100, v105, vcc
	v_cmp_gt_f64_e32 vcc, 0, v[101:102]
	v_mov_b32_e32 v105, v99
	v_cndmask_b32_e32 v108, v102, v107, vcc
	v_mov_b32_e32 v107, v101
	v_add_f64 v[105:106], v[105:106], v[107:108]
	v_cmp_lt_f64_e32 vcc, v[103:104], v[105:106]
	v_cndmask_b32_e32 v117, v117, v99, vcc
	v_mov_b32_e32 v99, s0
	s_add_i32 s0, s0, 1
	v_cndmask_b32_e32 v118, v118, v100, vcc
	v_cndmask_b32_e32 v120, v120, v102, vcc
	;; [unrolled: 1-line block ×4, first 2 shown]
	s_cmp_lg_u32 s3, s0
	s_cbranch_scc1 .LBB90_379
.LBB90_380:
	s_waitcnt lgkmcnt(0)
	v_cmp_eq_f64_e32 vcc, 0, v[117:118]
	v_cmp_eq_f64_e64 s[0:1], 0, v[119:120]
	s_and_b64 s[0:1], vcc, s[0:1]
	s_and_saveexec_b64 s[18:19], s[0:1]
	s_xor_b64 s[0:1], exec, s[18:19]
; %bb.381:
	v_cmp_ne_u32_e32 vcc, 0, v95
	v_cndmask_b32_e32 v95, 19, v95, vcc
; %bb.382:
	s_andn2_saveexec_b64 s[0:1], s[0:1]
	s_cbranch_execz .LBB90_388
; %bb.383:
	v_cmp_ngt_f64_e64 s[18:19], |v[117:118]|, |v[119:120]|
	s_and_saveexec_b64 s[20:21], s[18:19]
	s_xor_b64 s[18:19], exec, s[20:21]
	s_cbranch_execz .LBB90_385
; %bb.384:
	v_div_scale_f64 v[98:99], s[20:21], v[119:120], v[119:120], v[117:118]
	v_rcp_f64_e32 v[100:101], v[98:99]
	v_fma_f64 v[102:103], -v[98:99], v[100:101], 1.0
	v_fma_f64 v[100:101], v[100:101], v[102:103], v[100:101]
	v_div_scale_f64 v[102:103], vcc, v[117:118], v[119:120], v[117:118]
	v_fma_f64 v[104:105], -v[98:99], v[100:101], 1.0
	v_fma_f64 v[100:101], v[100:101], v[104:105], v[100:101]
	v_mul_f64 v[104:105], v[102:103], v[100:101]
	v_fma_f64 v[98:99], -v[98:99], v[104:105], v[102:103]
	v_div_fmas_f64 v[98:99], v[98:99], v[100:101], v[104:105]
	v_div_fixup_f64 v[98:99], v[98:99], v[119:120], v[117:118]
	v_fma_f64 v[100:101], v[117:118], v[98:99], v[119:120]
	v_div_scale_f64 v[102:103], s[20:21], v[100:101], v[100:101], 1.0
	v_div_scale_f64 v[108:109], vcc, 1.0, v[100:101], 1.0
	v_rcp_f64_e32 v[104:105], v[102:103]
	v_fma_f64 v[106:107], -v[102:103], v[104:105], 1.0
	v_fma_f64 v[104:105], v[104:105], v[106:107], v[104:105]
	v_fma_f64 v[106:107], -v[102:103], v[104:105], 1.0
	v_fma_f64 v[104:105], v[104:105], v[106:107], v[104:105]
	v_mul_f64 v[106:107], v[108:109], v[104:105]
	v_fma_f64 v[102:103], -v[102:103], v[106:107], v[108:109]
	v_div_fmas_f64 v[102:103], v[102:103], v[104:105], v[106:107]
	v_div_fixup_f64 v[119:120], v[102:103], v[100:101], 1.0
	v_mul_f64 v[117:118], v[98:99], v[119:120]
	v_xor_b32_e32 v120, 0x80000000, v120
.LBB90_385:
	s_andn2_saveexec_b64 s[18:19], s[18:19]
	s_cbranch_execz .LBB90_387
; %bb.386:
	v_div_scale_f64 v[98:99], s[20:21], v[117:118], v[117:118], v[119:120]
	v_rcp_f64_e32 v[100:101], v[98:99]
	v_fma_f64 v[102:103], -v[98:99], v[100:101], 1.0
	v_fma_f64 v[100:101], v[100:101], v[102:103], v[100:101]
	v_div_scale_f64 v[102:103], vcc, v[119:120], v[117:118], v[119:120]
	v_fma_f64 v[104:105], -v[98:99], v[100:101], 1.0
	v_fma_f64 v[100:101], v[100:101], v[104:105], v[100:101]
	v_mul_f64 v[104:105], v[102:103], v[100:101]
	v_fma_f64 v[98:99], -v[98:99], v[104:105], v[102:103]
	v_div_fmas_f64 v[98:99], v[98:99], v[100:101], v[104:105]
	v_div_fixup_f64 v[98:99], v[98:99], v[117:118], v[119:120]
	v_fma_f64 v[100:101], v[119:120], v[98:99], v[117:118]
	v_div_scale_f64 v[102:103], s[20:21], v[100:101], v[100:101], 1.0
	v_div_scale_f64 v[108:109], vcc, 1.0, v[100:101], 1.0
	v_rcp_f64_e32 v[104:105], v[102:103]
	v_fma_f64 v[106:107], -v[102:103], v[104:105], 1.0
	v_fma_f64 v[104:105], v[104:105], v[106:107], v[104:105]
	v_fma_f64 v[106:107], -v[102:103], v[104:105], 1.0
	v_fma_f64 v[104:105], v[104:105], v[106:107], v[104:105]
	v_mul_f64 v[106:107], v[108:109], v[104:105]
	v_fma_f64 v[102:103], -v[102:103], v[106:107], v[108:109]
	v_div_fmas_f64 v[102:103], v[102:103], v[104:105], v[106:107]
	v_div_fixup_f64 v[117:118], v[102:103], v[100:101], 1.0
	v_mul_f64 v[119:120], v[98:99], -v[117:118]
.LBB90_387:
	s_or_b64 exec, exec, s[18:19]
.LBB90_388:
	s_or_b64 exec, exec, s[0:1]
	v_cmp_ne_u32_e32 vcc, v96, v97
	s_and_saveexec_b64 s[0:1], vcc
	s_xor_b64 s[0:1], exec, s[0:1]
	s_cbranch_execz .LBB90_394
; %bb.389:
	v_cmp_eq_u32_e32 vcc, 18, v96
	s_and_saveexec_b64 s[18:19], vcc
	s_cbranch_execz .LBB90_393
; %bb.390:
	v_cmp_ne_u32_e32 vcc, 18, v97
	s_xor_b64 s[20:21], s[6:7], -1
	s_and_b64 s[22:23], s[20:21], vcc
	s_and_saveexec_b64 s[20:21], s[22:23]
	s_cbranch_execz .LBB90_392
; %bb.391:
	buffer_load_dword v85, off, s[24:27], 0 offset:304 ; 4-byte Folded Reload
	buffer_load_dword v86, off, s[24:27], 0 offset:308 ; 4-byte Folded Reload
	v_ashrrev_i32_e32 v98, 31, v97
	v_lshlrev_b64 v[98:99], 2, v[97:98]
	s_waitcnt vmcnt(1)
	v_add_co_u32_e32 v98, vcc, v85, v98
	s_waitcnt vmcnt(0)
	v_addc_co_u32_e32 v99, vcc, v86, v99, vcc
	global_load_dword v0, v[98:99], off
	global_load_dword v96, v[85:86], off offset:72
	s_waitcnt vmcnt(1)
	global_store_dword v[85:86], v0, off offset:72
	s_waitcnt vmcnt(1)
	global_store_dword v[98:99], v96, off
.LBB90_392:
	s_or_b64 exec, exec, s[20:21]
	v_mov_b32_e32 v96, v97
	v_mov_b32_e32 v0, v97
.LBB90_393:
	s_or_b64 exec, exec, s[18:19]
.LBB90_394:
	s_andn2_saveexec_b64 s[0:1], s[0:1]
	s_cbranch_execz .LBB90_396
; %bb.395:
	buffer_load_dword v85, off, s[24:27], 0 offset:32 ; 4-byte Folded Reload
	buffer_load_dword v86, off, s[24:27], 0 offset:36 ; 4-byte Folded Reload
	;; [unrolled: 1-line block ×4, first 2 shown]
	v_mov_b32_e32 v96, 18
	s_waitcnt vmcnt(0)
	ds_write2_b64 v94, v[85:86], v[87:88] offset0:38 offset1:39
	buffer_load_dword v85, off, s[24:27], 0 offset:16 ; 4-byte Folded Reload
	buffer_load_dword v86, off, s[24:27], 0 offset:20 ; 4-byte Folded Reload
	;; [unrolled: 1-line block ×4, first 2 shown]
	s_waitcnt vmcnt(0)
	ds_write2_b64 v94, v[85:86], v[87:88] offset0:40 offset1:41
	buffer_load_dword v85, off, s[24:27], 0 ; 4-byte Folded Reload
	buffer_load_dword v86, off, s[24:27], 0 offset:4 ; 4-byte Folded Reload
	buffer_load_dword v87, off, s[24:27], 0 offset:8 ; 4-byte Folded Reload
	;; [unrolled: 1-line block ×3, first 2 shown]
	s_waitcnt vmcnt(0)
	ds_write2_b64 v94, v[85:86], v[87:88] offset0:42 offset1:43
	ds_write2_b64 v94, v[111:112], v[113:114] offset0:44 offset1:45
	;; [unrolled: 1-line block ×25, first 2 shown]
.LBB90_396:
	s_or_b64 exec, exec, s[0:1]
	v_cmp_lt_i32_e32 vcc, 18, v96
	s_waitcnt vmcnt(0) lgkmcnt(0)
	s_barrier
	s_and_saveexec_b64 s[0:1], vcc
	s_cbranch_execz .LBB90_398
; %bb.397:
	buffer_load_dword v103, off, s[24:27], 0 offset:48 ; 4-byte Folded Reload
	buffer_load_dword v104, off, s[24:27], 0 offset:52 ; 4-byte Folded Reload
	;; [unrolled: 1-line block ×4, first 2 shown]
	s_waitcnt vmcnt(0)
	v_mul_f64 v[99:100], v[117:118], v[105:106]
	v_mul_f64 v[97:98], v[119:120], v[105:106]
	v_fma_f64 v[105:106], v[119:120], v[103:104], v[99:100]
	ds_read2_b64 v[99:102], v94 offset0:38 offset1:39
	buffer_load_dword v85, off, s[24:27], 0 offset:32 ; 4-byte Folded Reload
	buffer_load_dword v86, off, s[24:27], 0 offset:36 ; 4-byte Folded Reload
	;; [unrolled: 1-line block ×4, first 2 shown]
	v_fma_f64 v[97:98], v[117:118], v[103:104], -v[97:98]
	s_waitcnt lgkmcnt(0)
	v_mul_f64 v[103:104], v[101:102], v[105:106]
	v_fma_f64 v[103:104], v[99:100], v[97:98], -v[103:104]
	v_mul_f64 v[99:100], v[99:100], v[105:106]
	v_fma_f64 v[99:100], v[101:102], v[97:98], v[99:100]
	s_waitcnt vmcnt(2)
	v_add_f64 v[85:86], v[85:86], -v[103:104]
	s_waitcnt vmcnt(0)
	v_add_f64 v[87:88], v[87:88], -v[99:100]
	buffer_store_dword v85, off, s[24:27], 0 offset:32 ; 4-byte Folded Spill
	s_nop 0
	buffer_store_dword v86, off, s[24:27], 0 offset:36 ; 4-byte Folded Spill
	buffer_store_dword v87, off, s[24:27], 0 offset:40 ; 4-byte Folded Spill
	;; [unrolled: 1-line block ×3, first 2 shown]
	ds_read2_b64 v[99:102], v94 offset0:40 offset1:41
	buffer_load_dword v85, off, s[24:27], 0 offset:16 ; 4-byte Folded Reload
	buffer_load_dword v86, off, s[24:27], 0 offset:20 ; 4-byte Folded Reload
	;; [unrolled: 1-line block ×4, first 2 shown]
	s_waitcnt lgkmcnt(0)
	v_mul_f64 v[103:104], v[101:102], v[105:106]
	v_fma_f64 v[103:104], v[99:100], v[97:98], -v[103:104]
	v_mul_f64 v[99:100], v[99:100], v[105:106]
	v_fma_f64 v[99:100], v[101:102], v[97:98], v[99:100]
	s_waitcnt vmcnt(2)
	v_add_f64 v[85:86], v[85:86], -v[103:104]
	s_waitcnt vmcnt(0)
	v_add_f64 v[87:88], v[87:88], -v[99:100]
	buffer_store_dword v85, off, s[24:27], 0 offset:16 ; 4-byte Folded Spill
	s_nop 0
	buffer_store_dword v86, off, s[24:27], 0 offset:20 ; 4-byte Folded Spill
	buffer_store_dword v87, off, s[24:27], 0 offset:24 ; 4-byte Folded Spill
	;; [unrolled: 1-line block ×3, first 2 shown]
	ds_read2_b64 v[99:102], v94 offset0:42 offset1:43
	buffer_load_dword v85, off, s[24:27], 0 ; 4-byte Folded Reload
	buffer_load_dword v86, off, s[24:27], 0 offset:4 ; 4-byte Folded Reload
	buffer_load_dword v87, off, s[24:27], 0 offset:8 ; 4-byte Folded Reload
	;; [unrolled: 1-line block ×3, first 2 shown]
	s_waitcnt lgkmcnt(0)
	v_mul_f64 v[103:104], v[101:102], v[105:106]
	v_fma_f64 v[103:104], v[99:100], v[97:98], -v[103:104]
	v_mul_f64 v[99:100], v[99:100], v[105:106]
	v_fma_f64 v[99:100], v[101:102], v[97:98], v[99:100]
	s_waitcnt vmcnt(2)
	v_add_f64 v[85:86], v[85:86], -v[103:104]
	s_waitcnt vmcnt(0)
	v_add_f64 v[87:88], v[87:88], -v[99:100]
	buffer_store_dword v85, off, s[24:27], 0 ; 4-byte Folded Spill
	s_nop 0
	buffer_store_dword v86, off, s[24:27], 0 offset:4 ; 4-byte Folded Spill
	buffer_store_dword v87, off, s[24:27], 0 offset:8 ; 4-byte Folded Spill
	;; [unrolled: 1-line block ×3, first 2 shown]
	ds_read2_b64 v[99:102], v94 offset0:44 offset1:45
	s_waitcnt lgkmcnt(0)
	v_mul_f64 v[103:104], v[101:102], v[105:106]
	v_fma_f64 v[103:104], v[99:100], v[97:98], -v[103:104]
	v_mul_f64 v[99:100], v[99:100], v[105:106]
	v_add_f64 v[111:112], v[111:112], -v[103:104]
	v_fma_f64 v[99:100], v[101:102], v[97:98], v[99:100]
	v_add_f64 v[113:114], v[113:114], -v[99:100]
	ds_read2_b64 v[99:102], v94 offset0:46 offset1:47
	s_waitcnt lgkmcnt(0)
	v_mul_f64 v[103:104], v[101:102], v[105:106]
	v_fma_f64 v[103:104], v[99:100], v[97:98], -v[103:104]
	v_mul_f64 v[99:100], v[99:100], v[105:106]
	v_add_f64 v[89:90], v[89:90], -v[103:104]
	v_fma_f64 v[99:100], v[101:102], v[97:98], v[99:100]
	v_add_f64 v[91:92], v[91:92], -v[99:100]
	;; [unrolled: 8-line block ×23, first 2 shown]
	ds_read2_b64 v[99:102], v94 offset0:90 offset1:91
	s_waitcnt lgkmcnt(0)
	v_mul_f64 v[103:104], v[101:102], v[105:106]
	v_fma_f64 v[103:104], v[99:100], v[97:98], -v[103:104]
	v_mul_f64 v[99:100], v[99:100], v[105:106]
	v_add_f64 v[121:122], v[121:122], -v[103:104]
	v_fma_f64 v[99:100], v[101:102], v[97:98], v[99:100]
	v_mov_b32_e32 v104, v98
	v_mov_b32_e32 v103, v97
	buffer_store_dword v103, off, s[24:27], 0 offset:48 ; 4-byte Folded Spill
	s_nop 0
	buffer_store_dword v104, off, s[24:27], 0 offset:52 ; 4-byte Folded Spill
	buffer_store_dword v105, off, s[24:27], 0 offset:56 ; 4-byte Folded Spill
	;; [unrolled: 1-line block ×3, first 2 shown]
	v_add_f64 v[123:124], v[123:124], -v[99:100]
.LBB90_398:
	s_or_b64 exec, exec, s[0:1]
	s_waitcnt vmcnt(0)
	s_barrier
	buffer_load_dword v85, off, s[24:27], 0 offset:32 ; 4-byte Folded Reload
	buffer_load_dword v86, off, s[24:27], 0 offset:36 ; 4-byte Folded Reload
	;; [unrolled: 1-line block ×4, first 2 shown]
	v_lshl_add_u32 v97, v96, 4, v94
	s_cmp_lt_i32 s3, 21
	s_waitcnt vmcnt(0)
	ds_write2_b64 v97, v[85:86], v[87:88] offset1:1
	s_waitcnt lgkmcnt(0)
	s_barrier
	ds_read2_b64 v[117:120], v94 offset0:38 offset1:39
	v_mov_b32_e32 v97, 19
	s_cbranch_scc1 .LBB90_401
; %bb.399:
	v_add_u32_e32 v98, 0x140, v94
	s_mov_b32 s0, 20
	v_mov_b32_e32 v97, 19
.LBB90_400:                             ; =>This Inner Loop Header: Depth=1
	s_waitcnt lgkmcnt(0)
	v_cmp_gt_f64_e32 vcc, 0, v[117:118]
	v_xor_b32_e32 v103, 0x80000000, v118
	ds_read2_b64 v[99:102], v98 offset1:1
	v_xor_b32_e32 v105, 0x80000000, v120
	v_add_u32_e32 v98, 16, v98
	s_waitcnt lgkmcnt(0)
	v_xor_b32_e32 v107, 0x80000000, v102
	v_cndmask_b32_e32 v104, v118, v103, vcc
	v_cmp_gt_f64_e32 vcc, 0, v[119:120]
	v_mov_b32_e32 v103, v117
	v_cndmask_b32_e32 v106, v120, v105, vcc
	v_cmp_gt_f64_e32 vcc, 0, v[99:100]
	v_mov_b32_e32 v105, v119
	v_add_f64 v[103:104], v[103:104], v[105:106]
	v_xor_b32_e32 v105, 0x80000000, v100
	v_cndmask_b32_e32 v106, v100, v105, vcc
	v_cmp_gt_f64_e32 vcc, 0, v[101:102]
	v_mov_b32_e32 v105, v99
	v_cndmask_b32_e32 v108, v102, v107, vcc
	v_mov_b32_e32 v107, v101
	v_add_f64 v[105:106], v[105:106], v[107:108]
	v_cmp_lt_f64_e32 vcc, v[103:104], v[105:106]
	v_cndmask_b32_e32 v117, v117, v99, vcc
	v_mov_b32_e32 v99, s0
	s_add_i32 s0, s0, 1
	v_cndmask_b32_e32 v118, v118, v100, vcc
	v_cndmask_b32_e32 v120, v120, v102, vcc
	;; [unrolled: 1-line block ×4, first 2 shown]
	s_cmp_lg_u32 s3, s0
	s_cbranch_scc1 .LBB90_400
.LBB90_401:
	s_waitcnt lgkmcnt(0)
	v_cmp_eq_f64_e32 vcc, 0, v[117:118]
	v_cmp_eq_f64_e64 s[0:1], 0, v[119:120]
	s_and_b64 s[0:1], vcc, s[0:1]
	s_and_saveexec_b64 s[18:19], s[0:1]
	s_xor_b64 s[0:1], exec, s[18:19]
; %bb.402:
	v_cmp_ne_u32_e32 vcc, 0, v95
	v_cndmask_b32_e32 v95, 20, v95, vcc
; %bb.403:
	s_andn2_saveexec_b64 s[0:1], s[0:1]
	s_cbranch_execz .LBB90_409
; %bb.404:
	v_cmp_ngt_f64_e64 s[18:19], |v[117:118]|, |v[119:120]|
	s_and_saveexec_b64 s[20:21], s[18:19]
	s_xor_b64 s[18:19], exec, s[20:21]
	s_cbranch_execz .LBB90_406
; %bb.405:
	v_div_scale_f64 v[98:99], s[20:21], v[119:120], v[119:120], v[117:118]
	v_rcp_f64_e32 v[100:101], v[98:99]
	v_fma_f64 v[102:103], -v[98:99], v[100:101], 1.0
	v_fma_f64 v[100:101], v[100:101], v[102:103], v[100:101]
	v_div_scale_f64 v[102:103], vcc, v[117:118], v[119:120], v[117:118]
	v_fma_f64 v[104:105], -v[98:99], v[100:101], 1.0
	v_fma_f64 v[100:101], v[100:101], v[104:105], v[100:101]
	v_mul_f64 v[104:105], v[102:103], v[100:101]
	v_fma_f64 v[98:99], -v[98:99], v[104:105], v[102:103]
	v_div_fmas_f64 v[98:99], v[98:99], v[100:101], v[104:105]
	v_div_fixup_f64 v[98:99], v[98:99], v[119:120], v[117:118]
	v_fma_f64 v[100:101], v[117:118], v[98:99], v[119:120]
	v_div_scale_f64 v[102:103], s[20:21], v[100:101], v[100:101], 1.0
	v_div_scale_f64 v[108:109], vcc, 1.0, v[100:101], 1.0
	v_rcp_f64_e32 v[104:105], v[102:103]
	v_fma_f64 v[106:107], -v[102:103], v[104:105], 1.0
	v_fma_f64 v[104:105], v[104:105], v[106:107], v[104:105]
	v_fma_f64 v[106:107], -v[102:103], v[104:105], 1.0
	v_fma_f64 v[104:105], v[104:105], v[106:107], v[104:105]
	v_mul_f64 v[106:107], v[108:109], v[104:105]
	v_fma_f64 v[102:103], -v[102:103], v[106:107], v[108:109]
	v_div_fmas_f64 v[102:103], v[102:103], v[104:105], v[106:107]
	v_div_fixup_f64 v[119:120], v[102:103], v[100:101], 1.0
	v_mul_f64 v[117:118], v[98:99], v[119:120]
	v_xor_b32_e32 v120, 0x80000000, v120
.LBB90_406:
	s_andn2_saveexec_b64 s[18:19], s[18:19]
	s_cbranch_execz .LBB90_408
; %bb.407:
	v_div_scale_f64 v[98:99], s[20:21], v[117:118], v[117:118], v[119:120]
	v_rcp_f64_e32 v[100:101], v[98:99]
	v_fma_f64 v[102:103], -v[98:99], v[100:101], 1.0
	v_fma_f64 v[100:101], v[100:101], v[102:103], v[100:101]
	v_div_scale_f64 v[102:103], vcc, v[119:120], v[117:118], v[119:120]
	v_fma_f64 v[104:105], -v[98:99], v[100:101], 1.0
	v_fma_f64 v[100:101], v[100:101], v[104:105], v[100:101]
	v_mul_f64 v[104:105], v[102:103], v[100:101]
	v_fma_f64 v[98:99], -v[98:99], v[104:105], v[102:103]
	v_div_fmas_f64 v[98:99], v[98:99], v[100:101], v[104:105]
	v_div_fixup_f64 v[98:99], v[98:99], v[117:118], v[119:120]
	v_fma_f64 v[100:101], v[119:120], v[98:99], v[117:118]
	v_div_scale_f64 v[102:103], s[20:21], v[100:101], v[100:101], 1.0
	v_div_scale_f64 v[108:109], vcc, 1.0, v[100:101], 1.0
	v_rcp_f64_e32 v[104:105], v[102:103]
	v_fma_f64 v[106:107], -v[102:103], v[104:105], 1.0
	v_fma_f64 v[104:105], v[104:105], v[106:107], v[104:105]
	v_fma_f64 v[106:107], -v[102:103], v[104:105], 1.0
	v_fma_f64 v[104:105], v[104:105], v[106:107], v[104:105]
	v_mul_f64 v[106:107], v[108:109], v[104:105]
	v_fma_f64 v[102:103], -v[102:103], v[106:107], v[108:109]
	v_div_fmas_f64 v[102:103], v[102:103], v[104:105], v[106:107]
	v_div_fixup_f64 v[117:118], v[102:103], v[100:101], 1.0
	v_mul_f64 v[119:120], v[98:99], -v[117:118]
.LBB90_408:
	s_or_b64 exec, exec, s[18:19]
.LBB90_409:
	s_or_b64 exec, exec, s[0:1]
	v_cmp_ne_u32_e32 vcc, v96, v97
	s_and_saveexec_b64 s[0:1], vcc
	s_xor_b64 s[0:1], exec, s[0:1]
	s_cbranch_execz .LBB90_415
; %bb.410:
	v_cmp_eq_u32_e32 vcc, 19, v96
	s_and_saveexec_b64 s[18:19], vcc
	s_cbranch_execz .LBB90_414
; %bb.411:
	v_cmp_ne_u32_e32 vcc, 19, v97
	s_xor_b64 s[20:21], s[6:7], -1
	s_and_b64 s[22:23], s[20:21], vcc
	s_and_saveexec_b64 s[20:21], s[22:23]
	s_cbranch_execz .LBB90_413
; %bb.412:
	buffer_load_dword v85, off, s[24:27], 0 offset:304 ; 4-byte Folded Reload
	buffer_load_dword v86, off, s[24:27], 0 offset:308 ; 4-byte Folded Reload
	v_ashrrev_i32_e32 v98, 31, v97
	v_lshlrev_b64 v[98:99], 2, v[97:98]
	s_waitcnt vmcnt(1)
	v_add_co_u32_e32 v98, vcc, v85, v98
	s_waitcnt vmcnt(0)
	v_addc_co_u32_e32 v99, vcc, v86, v99, vcc
	global_load_dword v0, v[98:99], off
	global_load_dword v96, v[85:86], off offset:76
	s_waitcnt vmcnt(1)
	global_store_dword v[85:86], v0, off offset:76
	s_waitcnt vmcnt(1)
	global_store_dword v[98:99], v96, off
.LBB90_413:
	s_or_b64 exec, exec, s[20:21]
	v_mov_b32_e32 v96, v97
	v_mov_b32_e32 v0, v97
.LBB90_414:
	s_or_b64 exec, exec, s[18:19]
.LBB90_415:
	s_andn2_saveexec_b64 s[0:1], s[0:1]
	s_cbranch_execz .LBB90_417
; %bb.416:
	buffer_load_dword v85, off, s[24:27], 0 offset:16 ; 4-byte Folded Reload
	buffer_load_dword v86, off, s[24:27], 0 offset:20 ; 4-byte Folded Reload
	;; [unrolled: 1-line block ×4, first 2 shown]
	v_mov_b32_e32 v96, 19
	s_waitcnt vmcnt(0)
	ds_write2_b64 v94, v[85:86], v[87:88] offset0:40 offset1:41
	buffer_load_dword v85, off, s[24:27], 0 ; 4-byte Folded Reload
	buffer_load_dword v86, off, s[24:27], 0 offset:4 ; 4-byte Folded Reload
	buffer_load_dword v87, off, s[24:27], 0 offset:8 ; 4-byte Folded Reload
	buffer_load_dword v88, off, s[24:27], 0 offset:12 ; 4-byte Folded Reload
	s_waitcnt vmcnt(0)
	ds_write2_b64 v94, v[85:86], v[87:88] offset0:42 offset1:43
	ds_write2_b64 v94, v[111:112], v[113:114] offset0:44 offset1:45
	;; [unrolled: 1-line block ×25, first 2 shown]
.LBB90_417:
	s_or_b64 exec, exec, s[0:1]
	v_cmp_lt_i32_e32 vcc, 19, v96
	s_waitcnt vmcnt(0) lgkmcnt(0)
	s_barrier
	s_and_saveexec_b64 s[0:1], vcc
	s_cbranch_execz .LBB90_419
; %bb.418:
	buffer_load_dword v103, off, s[24:27], 0 offset:32 ; 4-byte Folded Reload
	buffer_load_dword v104, off, s[24:27], 0 offset:36 ; 4-byte Folded Reload
	;; [unrolled: 1-line block ×4, first 2 shown]
	s_waitcnt vmcnt(0)
	v_mul_f64 v[99:100], v[117:118], v[105:106]
	v_mul_f64 v[97:98], v[119:120], v[105:106]
	v_fma_f64 v[105:106], v[119:120], v[103:104], v[99:100]
	ds_read2_b64 v[99:102], v94 offset0:40 offset1:41
	buffer_load_dword v85, off, s[24:27], 0 offset:16 ; 4-byte Folded Reload
	buffer_load_dword v86, off, s[24:27], 0 offset:20 ; 4-byte Folded Reload
	;; [unrolled: 1-line block ×4, first 2 shown]
	v_fma_f64 v[97:98], v[117:118], v[103:104], -v[97:98]
	s_waitcnt lgkmcnt(0)
	v_mul_f64 v[103:104], v[101:102], v[105:106]
	v_fma_f64 v[103:104], v[99:100], v[97:98], -v[103:104]
	v_mul_f64 v[99:100], v[99:100], v[105:106]
	v_fma_f64 v[99:100], v[101:102], v[97:98], v[99:100]
	s_waitcnt vmcnt(2)
	v_add_f64 v[85:86], v[85:86], -v[103:104]
	s_waitcnt vmcnt(0)
	v_add_f64 v[87:88], v[87:88], -v[99:100]
	buffer_store_dword v85, off, s[24:27], 0 offset:16 ; 4-byte Folded Spill
	s_nop 0
	buffer_store_dword v86, off, s[24:27], 0 offset:20 ; 4-byte Folded Spill
	buffer_store_dword v87, off, s[24:27], 0 offset:24 ; 4-byte Folded Spill
	;; [unrolled: 1-line block ×3, first 2 shown]
	ds_read2_b64 v[99:102], v94 offset0:42 offset1:43
	buffer_load_dword v85, off, s[24:27], 0 ; 4-byte Folded Reload
	buffer_load_dword v86, off, s[24:27], 0 offset:4 ; 4-byte Folded Reload
	buffer_load_dword v87, off, s[24:27], 0 offset:8 ; 4-byte Folded Reload
	;; [unrolled: 1-line block ×3, first 2 shown]
	s_waitcnt lgkmcnt(0)
	v_mul_f64 v[103:104], v[101:102], v[105:106]
	v_fma_f64 v[103:104], v[99:100], v[97:98], -v[103:104]
	v_mul_f64 v[99:100], v[99:100], v[105:106]
	v_fma_f64 v[99:100], v[101:102], v[97:98], v[99:100]
	s_waitcnt vmcnt(2)
	v_add_f64 v[85:86], v[85:86], -v[103:104]
	s_waitcnt vmcnt(0)
	v_add_f64 v[87:88], v[87:88], -v[99:100]
	buffer_store_dword v85, off, s[24:27], 0 ; 4-byte Folded Spill
	s_nop 0
	buffer_store_dword v86, off, s[24:27], 0 offset:4 ; 4-byte Folded Spill
	buffer_store_dword v87, off, s[24:27], 0 offset:8 ; 4-byte Folded Spill
	;; [unrolled: 1-line block ×3, first 2 shown]
	ds_read2_b64 v[99:102], v94 offset0:44 offset1:45
	s_waitcnt lgkmcnt(0)
	v_mul_f64 v[103:104], v[101:102], v[105:106]
	v_fma_f64 v[103:104], v[99:100], v[97:98], -v[103:104]
	v_mul_f64 v[99:100], v[99:100], v[105:106]
	v_add_f64 v[111:112], v[111:112], -v[103:104]
	v_fma_f64 v[99:100], v[101:102], v[97:98], v[99:100]
	v_add_f64 v[113:114], v[113:114], -v[99:100]
	ds_read2_b64 v[99:102], v94 offset0:46 offset1:47
	s_waitcnt lgkmcnt(0)
	v_mul_f64 v[103:104], v[101:102], v[105:106]
	v_fma_f64 v[103:104], v[99:100], v[97:98], -v[103:104]
	v_mul_f64 v[99:100], v[99:100], v[105:106]
	v_add_f64 v[89:90], v[89:90], -v[103:104]
	v_fma_f64 v[99:100], v[101:102], v[97:98], v[99:100]
	v_add_f64 v[91:92], v[91:92], -v[99:100]
	;; [unrolled: 8-line block ×23, first 2 shown]
	ds_read2_b64 v[99:102], v94 offset0:90 offset1:91
	s_waitcnt lgkmcnt(0)
	v_mul_f64 v[103:104], v[101:102], v[105:106]
	v_fma_f64 v[103:104], v[99:100], v[97:98], -v[103:104]
	v_mul_f64 v[99:100], v[99:100], v[105:106]
	v_add_f64 v[121:122], v[121:122], -v[103:104]
	v_fma_f64 v[99:100], v[101:102], v[97:98], v[99:100]
	v_mov_b32_e32 v104, v98
	v_mov_b32_e32 v103, v97
	buffer_store_dword v103, off, s[24:27], 0 offset:32 ; 4-byte Folded Spill
	s_nop 0
	buffer_store_dword v104, off, s[24:27], 0 offset:36 ; 4-byte Folded Spill
	buffer_store_dword v105, off, s[24:27], 0 offset:40 ; 4-byte Folded Spill
	;; [unrolled: 1-line block ×3, first 2 shown]
	v_add_f64 v[123:124], v[123:124], -v[99:100]
.LBB90_419:
	s_or_b64 exec, exec, s[0:1]
	s_waitcnt vmcnt(0)
	s_barrier
	buffer_load_dword v85, off, s[24:27], 0 offset:16 ; 4-byte Folded Reload
	buffer_load_dword v86, off, s[24:27], 0 offset:20 ; 4-byte Folded Reload
	;; [unrolled: 1-line block ×4, first 2 shown]
	v_lshl_add_u32 v97, v96, 4, v94
	s_cmp_lt_i32 s3, 22
	s_waitcnt vmcnt(0)
	ds_write2_b64 v97, v[85:86], v[87:88] offset1:1
	s_waitcnt lgkmcnt(0)
	s_barrier
	ds_read2_b64 v[117:120], v94 offset0:40 offset1:41
	v_mov_b32_e32 v97, 20
	s_cbranch_scc1 .LBB90_422
; %bb.420:
	v_add_u32_e32 v98, 0x150, v94
	s_mov_b32 s0, 21
	v_mov_b32_e32 v97, 20
.LBB90_421:                             ; =>This Inner Loop Header: Depth=1
	s_waitcnt lgkmcnt(0)
	v_cmp_gt_f64_e32 vcc, 0, v[117:118]
	v_xor_b32_e32 v103, 0x80000000, v118
	ds_read2_b64 v[99:102], v98 offset1:1
	v_xor_b32_e32 v105, 0x80000000, v120
	v_add_u32_e32 v98, 16, v98
	s_waitcnt lgkmcnt(0)
	v_xor_b32_e32 v107, 0x80000000, v102
	v_cndmask_b32_e32 v104, v118, v103, vcc
	v_cmp_gt_f64_e32 vcc, 0, v[119:120]
	v_mov_b32_e32 v103, v117
	v_cndmask_b32_e32 v106, v120, v105, vcc
	v_cmp_gt_f64_e32 vcc, 0, v[99:100]
	v_mov_b32_e32 v105, v119
	v_add_f64 v[103:104], v[103:104], v[105:106]
	v_xor_b32_e32 v105, 0x80000000, v100
	v_cndmask_b32_e32 v106, v100, v105, vcc
	v_cmp_gt_f64_e32 vcc, 0, v[101:102]
	v_mov_b32_e32 v105, v99
	v_cndmask_b32_e32 v108, v102, v107, vcc
	v_mov_b32_e32 v107, v101
	v_add_f64 v[105:106], v[105:106], v[107:108]
	v_cmp_lt_f64_e32 vcc, v[103:104], v[105:106]
	v_cndmask_b32_e32 v117, v117, v99, vcc
	v_mov_b32_e32 v99, s0
	s_add_i32 s0, s0, 1
	v_cndmask_b32_e32 v118, v118, v100, vcc
	v_cndmask_b32_e32 v120, v120, v102, vcc
	;; [unrolled: 1-line block ×4, first 2 shown]
	s_cmp_lg_u32 s3, s0
	s_cbranch_scc1 .LBB90_421
.LBB90_422:
	s_waitcnt lgkmcnt(0)
	v_cmp_eq_f64_e32 vcc, 0, v[117:118]
	v_cmp_eq_f64_e64 s[0:1], 0, v[119:120]
	s_and_b64 s[0:1], vcc, s[0:1]
	s_and_saveexec_b64 s[18:19], s[0:1]
	s_xor_b64 s[0:1], exec, s[18:19]
; %bb.423:
	v_cmp_ne_u32_e32 vcc, 0, v95
	v_cndmask_b32_e32 v95, 21, v95, vcc
; %bb.424:
	s_andn2_saveexec_b64 s[0:1], s[0:1]
	s_cbranch_execz .LBB90_430
; %bb.425:
	v_cmp_ngt_f64_e64 s[18:19], |v[117:118]|, |v[119:120]|
	s_and_saveexec_b64 s[20:21], s[18:19]
	s_xor_b64 s[18:19], exec, s[20:21]
	s_cbranch_execz .LBB90_427
; %bb.426:
	v_div_scale_f64 v[98:99], s[20:21], v[119:120], v[119:120], v[117:118]
	v_rcp_f64_e32 v[100:101], v[98:99]
	v_fma_f64 v[102:103], -v[98:99], v[100:101], 1.0
	v_fma_f64 v[100:101], v[100:101], v[102:103], v[100:101]
	v_div_scale_f64 v[102:103], vcc, v[117:118], v[119:120], v[117:118]
	v_fma_f64 v[104:105], -v[98:99], v[100:101], 1.0
	v_fma_f64 v[100:101], v[100:101], v[104:105], v[100:101]
	v_mul_f64 v[104:105], v[102:103], v[100:101]
	v_fma_f64 v[98:99], -v[98:99], v[104:105], v[102:103]
	v_div_fmas_f64 v[98:99], v[98:99], v[100:101], v[104:105]
	v_div_fixup_f64 v[98:99], v[98:99], v[119:120], v[117:118]
	v_fma_f64 v[100:101], v[117:118], v[98:99], v[119:120]
	v_div_scale_f64 v[102:103], s[20:21], v[100:101], v[100:101], 1.0
	v_div_scale_f64 v[108:109], vcc, 1.0, v[100:101], 1.0
	v_rcp_f64_e32 v[104:105], v[102:103]
	v_fma_f64 v[106:107], -v[102:103], v[104:105], 1.0
	v_fma_f64 v[104:105], v[104:105], v[106:107], v[104:105]
	v_fma_f64 v[106:107], -v[102:103], v[104:105], 1.0
	v_fma_f64 v[104:105], v[104:105], v[106:107], v[104:105]
	v_mul_f64 v[106:107], v[108:109], v[104:105]
	v_fma_f64 v[102:103], -v[102:103], v[106:107], v[108:109]
	v_div_fmas_f64 v[102:103], v[102:103], v[104:105], v[106:107]
	v_div_fixup_f64 v[119:120], v[102:103], v[100:101], 1.0
	v_mul_f64 v[117:118], v[98:99], v[119:120]
	v_xor_b32_e32 v120, 0x80000000, v120
.LBB90_427:
	s_andn2_saveexec_b64 s[18:19], s[18:19]
	s_cbranch_execz .LBB90_429
; %bb.428:
	v_div_scale_f64 v[98:99], s[20:21], v[117:118], v[117:118], v[119:120]
	v_rcp_f64_e32 v[100:101], v[98:99]
	v_fma_f64 v[102:103], -v[98:99], v[100:101], 1.0
	v_fma_f64 v[100:101], v[100:101], v[102:103], v[100:101]
	v_div_scale_f64 v[102:103], vcc, v[119:120], v[117:118], v[119:120]
	v_fma_f64 v[104:105], -v[98:99], v[100:101], 1.0
	v_fma_f64 v[100:101], v[100:101], v[104:105], v[100:101]
	v_mul_f64 v[104:105], v[102:103], v[100:101]
	v_fma_f64 v[98:99], -v[98:99], v[104:105], v[102:103]
	v_div_fmas_f64 v[98:99], v[98:99], v[100:101], v[104:105]
	v_div_fixup_f64 v[98:99], v[98:99], v[117:118], v[119:120]
	v_fma_f64 v[100:101], v[119:120], v[98:99], v[117:118]
	v_div_scale_f64 v[102:103], s[20:21], v[100:101], v[100:101], 1.0
	v_div_scale_f64 v[108:109], vcc, 1.0, v[100:101], 1.0
	v_rcp_f64_e32 v[104:105], v[102:103]
	v_fma_f64 v[106:107], -v[102:103], v[104:105], 1.0
	v_fma_f64 v[104:105], v[104:105], v[106:107], v[104:105]
	v_fma_f64 v[106:107], -v[102:103], v[104:105], 1.0
	v_fma_f64 v[104:105], v[104:105], v[106:107], v[104:105]
	v_mul_f64 v[106:107], v[108:109], v[104:105]
	v_fma_f64 v[102:103], -v[102:103], v[106:107], v[108:109]
	v_div_fmas_f64 v[102:103], v[102:103], v[104:105], v[106:107]
	v_div_fixup_f64 v[117:118], v[102:103], v[100:101], 1.0
	v_mul_f64 v[119:120], v[98:99], -v[117:118]
.LBB90_429:
	s_or_b64 exec, exec, s[18:19]
.LBB90_430:
	s_or_b64 exec, exec, s[0:1]
	v_cmp_ne_u32_e32 vcc, v96, v97
	s_and_saveexec_b64 s[0:1], vcc
	s_xor_b64 s[0:1], exec, s[0:1]
	s_cbranch_execz .LBB90_436
; %bb.431:
	v_cmp_eq_u32_e32 vcc, 20, v96
	s_and_saveexec_b64 s[18:19], vcc
	s_cbranch_execz .LBB90_435
; %bb.432:
	v_cmp_ne_u32_e32 vcc, 20, v97
	s_xor_b64 s[20:21], s[6:7], -1
	s_and_b64 s[22:23], s[20:21], vcc
	s_and_saveexec_b64 s[20:21], s[22:23]
	s_cbranch_execz .LBB90_434
; %bb.433:
	buffer_load_dword v85, off, s[24:27], 0 offset:304 ; 4-byte Folded Reload
	buffer_load_dword v86, off, s[24:27], 0 offset:308 ; 4-byte Folded Reload
	v_ashrrev_i32_e32 v98, 31, v97
	v_lshlrev_b64 v[98:99], 2, v[97:98]
	s_waitcnt vmcnt(1)
	v_add_co_u32_e32 v98, vcc, v85, v98
	s_waitcnt vmcnt(0)
	v_addc_co_u32_e32 v99, vcc, v86, v99, vcc
	global_load_dword v0, v[98:99], off
	global_load_dword v96, v[85:86], off offset:80
	s_waitcnt vmcnt(1)
	global_store_dword v[85:86], v0, off offset:80
	s_waitcnt vmcnt(1)
	global_store_dword v[98:99], v96, off
.LBB90_434:
	s_or_b64 exec, exec, s[20:21]
	v_mov_b32_e32 v96, v97
	v_mov_b32_e32 v0, v97
.LBB90_435:
	s_or_b64 exec, exec, s[18:19]
.LBB90_436:
	s_andn2_saveexec_b64 s[0:1], s[0:1]
	s_cbranch_execz .LBB90_438
; %bb.437:
	buffer_load_dword v85, off, s[24:27], 0 ; 4-byte Folded Reload
	buffer_load_dword v86, off, s[24:27], 0 offset:4 ; 4-byte Folded Reload
	buffer_load_dword v87, off, s[24:27], 0 offset:8 ; 4-byte Folded Reload
	;; [unrolled: 1-line block ×3, first 2 shown]
	v_mov_b32_e32 v96, 20
	s_waitcnt vmcnt(0)
	ds_write2_b64 v94, v[85:86], v[87:88] offset0:42 offset1:43
	ds_write2_b64 v94, v[111:112], v[113:114] offset0:44 offset1:45
	;; [unrolled: 1-line block ×25, first 2 shown]
.LBB90_438:
	s_or_b64 exec, exec, s[0:1]
	v_cmp_lt_i32_e32 vcc, 20, v96
	s_waitcnt vmcnt(0) lgkmcnt(0)
	s_barrier
	s_and_saveexec_b64 s[0:1], vcc
	s_cbranch_execz .LBB90_440
; %bb.439:
	buffer_load_dword v103, off, s[24:27], 0 offset:16 ; 4-byte Folded Reload
	buffer_load_dword v104, off, s[24:27], 0 offset:20 ; 4-byte Folded Reload
	;; [unrolled: 1-line block ×4, first 2 shown]
	s_waitcnt vmcnt(0)
	v_mul_f64 v[99:100], v[117:118], v[105:106]
	v_mul_f64 v[97:98], v[119:120], v[105:106]
	v_fma_f64 v[105:106], v[119:120], v[103:104], v[99:100]
	ds_read2_b64 v[99:102], v94 offset0:42 offset1:43
	buffer_load_dword v85, off, s[24:27], 0 ; 4-byte Folded Reload
	buffer_load_dword v86, off, s[24:27], 0 offset:4 ; 4-byte Folded Reload
	buffer_load_dword v87, off, s[24:27], 0 offset:8 ; 4-byte Folded Reload
	;; [unrolled: 1-line block ×3, first 2 shown]
	v_fma_f64 v[97:98], v[117:118], v[103:104], -v[97:98]
	s_waitcnt lgkmcnt(0)
	v_mul_f64 v[103:104], v[101:102], v[105:106]
	v_fma_f64 v[103:104], v[99:100], v[97:98], -v[103:104]
	v_mul_f64 v[99:100], v[99:100], v[105:106]
	v_fma_f64 v[99:100], v[101:102], v[97:98], v[99:100]
	s_waitcnt vmcnt(2)
	v_add_f64 v[85:86], v[85:86], -v[103:104]
	s_waitcnt vmcnt(0)
	v_add_f64 v[87:88], v[87:88], -v[99:100]
	buffer_store_dword v85, off, s[24:27], 0 ; 4-byte Folded Spill
	s_nop 0
	buffer_store_dword v86, off, s[24:27], 0 offset:4 ; 4-byte Folded Spill
	buffer_store_dword v87, off, s[24:27], 0 offset:8 ; 4-byte Folded Spill
	;; [unrolled: 1-line block ×3, first 2 shown]
	ds_read2_b64 v[99:102], v94 offset0:44 offset1:45
	s_waitcnt lgkmcnt(0)
	v_mul_f64 v[103:104], v[101:102], v[105:106]
	v_fma_f64 v[103:104], v[99:100], v[97:98], -v[103:104]
	v_mul_f64 v[99:100], v[99:100], v[105:106]
	v_add_f64 v[111:112], v[111:112], -v[103:104]
	v_fma_f64 v[99:100], v[101:102], v[97:98], v[99:100]
	v_add_f64 v[113:114], v[113:114], -v[99:100]
	ds_read2_b64 v[99:102], v94 offset0:46 offset1:47
	s_waitcnt lgkmcnt(0)
	v_mul_f64 v[103:104], v[101:102], v[105:106]
	v_fma_f64 v[103:104], v[99:100], v[97:98], -v[103:104]
	v_mul_f64 v[99:100], v[99:100], v[105:106]
	v_add_f64 v[89:90], v[89:90], -v[103:104]
	v_fma_f64 v[99:100], v[101:102], v[97:98], v[99:100]
	v_add_f64 v[91:92], v[91:92], -v[99:100]
	;; [unrolled: 8-line block ×23, first 2 shown]
	ds_read2_b64 v[99:102], v94 offset0:90 offset1:91
	s_waitcnt lgkmcnt(0)
	v_mul_f64 v[103:104], v[101:102], v[105:106]
	v_fma_f64 v[103:104], v[99:100], v[97:98], -v[103:104]
	v_mul_f64 v[99:100], v[99:100], v[105:106]
	v_add_f64 v[121:122], v[121:122], -v[103:104]
	v_fma_f64 v[99:100], v[101:102], v[97:98], v[99:100]
	v_mov_b32_e32 v104, v98
	v_mov_b32_e32 v103, v97
	buffer_store_dword v103, off, s[24:27], 0 offset:16 ; 4-byte Folded Spill
	s_nop 0
	buffer_store_dword v104, off, s[24:27], 0 offset:20 ; 4-byte Folded Spill
	buffer_store_dword v105, off, s[24:27], 0 offset:24 ; 4-byte Folded Spill
	;; [unrolled: 1-line block ×3, first 2 shown]
	v_add_f64 v[123:124], v[123:124], -v[99:100]
.LBB90_440:
	s_or_b64 exec, exec, s[0:1]
	s_waitcnt vmcnt(0)
	s_barrier
	buffer_load_dword v85, off, s[24:27], 0 ; 4-byte Folded Reload
	buffer_load_dword v86, off, s[24:27], 0 offset:4 ; 4-byte Folded Reload
	buffer_load_dword v87, off, s[24:27], 0 offset:8 ; 4-byte Folded Reload
	;; [unrolled: 1-line block ×3, first 2 shown]
	v_lshl_add_u32 v97, v96, 4, v94
	s_cmp_lt_i32 s3, 23
	s_waitcnt vmcnt(0)
	ds_write2_b64 v97, v[85:86], v[87:88] offset1:1
	s_waitcnt lgkmcnt(0)
	s_barrier
	ds_read2_b64 v[117:120], v94 offset0:42 offset1:43
	v_mov_b32_e32 v97, 21
	s_cbranch_scc1 .LBB90_443
; %bb.441:
	v_add_u32_e32 v98, 0x160, v94
	s_mov_b32 s0, 22
	v_mov_b32_e32 v97, 21
.LBB90_442:                             ; =>This Inner Loop Header: Depth=1
	s_waitcnt lgkmcnt(0)
	v_cmp_gt_f64_e32 vcc, 0, v[117:118]
	v_xor_b32_e32 v103, 0x80000000, v118
	ds_read2_b64 v[99:102], v98 offset1:1
	v_xor_b32_e32 v105, 0x80000000, v120
	v_add_u32_e32 v98, 16, v98
	s_waitcnt lgkmcnt(0)
	v_xor_b32_e32 v107, 0x80000000, v102
	v_cndmask_b32_e32 v104, v118, v103, vcc
	v_cmp_gt_f64_e32 vcc, 0, v[119:120]
	v_mov_b32_e32 v103, v117
	v_cndmask_b32_e32 v106, v120, v105, vcc
	v_cmp_gt_f64_e32 vcc, 0, v[99:100]
	v_mov_b32_e32 v105, v119
	v_add_f64 v[103:104], v[103:104], v[105:106]
	v_xor_b32_e32 v105, 0x80000000, v100
	v_cndmask_b32_e32 v106, v100, v105, vcc
	v_cmp_gt_f64_e32 vcc, 0, v[101:102]
	v_mov_b32_e32 v105, v99
	v_cndmask_b32_e32 v108, v102, v107, vcc
	v_mov_b32_e32 v107, v101
	v_add_f64 v[105:106], v[105:106], v[107:108]
	v_cmp_lt_f64_e32 vcc, v[103:104], v[105:106]
	v_cndmask_b32_e32 v117, v117, v99, vcc
	v_mov_b32_e32 v99, s0
	s_add_i32 s0, s0, 1
	v_cndmask_b32_e32 v118, v118, v100, vcc
	v_cndmask_b32_e32 v120, v120, v102, vcc
	;; [unrolled: 1-line block ×4, first 2 shown]
	s_cmp_lg_u32 s3, s0
	s_cbranch_scc1 .LBB90_442
.LBB90_443:
	s_waitcnt lgkmcnt(0)
	v_cmp_eq_f64_e32 vcc, 0, v[117:118]
	v_cmp_eq_f64_e64 s[0:1], 0, v[119:120]
	s_and_b64 s[0:1], vcc, s[0:1]
	s_and_saveexec_b64 s[18:19], s[0:1]
	s_xor_b64 s[0:1], exec, s[18:19]
; %bb.444:
	v_cmp_ne_u32_e32 vcc, 0, v95
	v_cndmask_b32_e32 v95, 22, v95, vcc
; %bb.445:
	s_andn2_saveexec_b64 s[0:1], s[0:1]
	s_cbranch_execz .LBB90_451
; %bb.446:
	v_cmp_ngt_f64_e64 s[18:19], |v[117:118]|, |v[119:120]|
	s_and_saveexec_b64 s[20:21], s[18:19]
	s_xor_b64 s[18:19], exec, s[20:21]
	s_cbranch_execz .LBB90_448
; %bb.447:
	v_div_scale_f64 v[98:99], s[20:21], v[119:120], v[119:120], v[117:118]
	v_rcp_f64_e32 v[100:101], v[98:99]
	v_fma_f64 v[102:103], -v[98:99], v[100:101], 1.0
	v_fma_f64 v[100:101], v[100:101], v[102:103], v[100:101]
	v_div_scale_f64 v[102:103], vcc, v[117:118], v[119:120], v[117:118]
	v_fma_f64 v[104:105], -v[98:99], v[100:101], 1.0
	v_fma_f64 v[100:101], v[100:101], v[104:105], v[100:101]
	v_mul_f64 v[104:105], v[102:103], v[100:101]
	v_fma_f64 v[98:99], -v[98:99], v[104:105], v[102:103]
	v_div_fmas_f64 v[98:99], v[98:99], v[100:101], v[104:105]
	v_div_fixup_f64 v[98:99], v[98:99], v[119:120], v[117:118]
	v_fma_f64 v[100:101], v[117:118], v[98:99], v[119:120]
	v_div_scale_f64 v[102:103], s[20:21], v[100:101], v[100:101], 1.0
	v_div_scale_f64 v[108:109], vcc, 1.0, v[100:101], 1.0
	v_rcp_f64_e32 v[104:105], v[102:103]
	v_fma_f64 v[106:107], -v[102:103], v[104:105], 1.0
	v_fma_f64 v[104:105], v[104:105], v[106:107], v[104:105]
	v_fma_f64 v[106:107], -v[102:103], v[104:105], 1.0
	v_fma_f64 v[104:105], v[104:105], v[106:107], v[104:105]
	v_mul_f64 v[106:107], v[108:109], v[104:105]
	v_fma_f64 v[102:103], -v[102:103], v[106:107], v[108:109]
	v_div_fmas_f64 v[102:103], v[102:103], v[104:105], v[106:107]
	v_div_fixup_f64 v[119:120], v[102:103], v[100:101], 1.0
	v_mul_f64 v[117:118], v[98:99], v[119:120]
	v_xor_b32_e32 v120, 0x80000000, v120
.LBB90_448:
	s_andn2_saveexec_b64 s[18:19], s[18:19]
	s_cbranch_execz .LBB90_450
; %bb.449:
	v_div_scale_f64 v[98:99], s[20:21], v[117:118], v[117:118], v[119:120]
	v_rcp_f64_e32 v[100:101], v[98:99]
	v_fma_f64 v[102:103], -v[98:99], v[100:101], 1.0
	v_fma_f64 v[100:101], v[100:101], v[102:103], v[100:101]
	v_div_scale_f64 v[102:103], vcc, v[119:120], v[117:118], v[119:120]
	v_fma_f64 v[104:105], -v[98:99], v[100:101], 1.0
	v_fma_f64 v[100:101], v[100:101], v[104:105], v[100:101]
	v_mul_f64 v[104:105], v[102:103], v[100:101]
	v_fma_f64 v[98:99], -v[98:99], v[104:105], v[102:103]
	v_div_fmas_f64 v[98:99], v[98:99], v[100:101], v[104:105]
	v_div_fixup_f64 v[98:99], v[98:99], v[117:118], v[119:120]
	v_fma_f64 v[100:101], v[119:120], v[98:99], v[117:118]
	v_div_scale_f64 v[102:103], s[20:21], v[100:101], v[100:101], 1.0
	v_div_scale_f64 v[108:109], vcc, 1.0, v[100:101], 1.0
	v_rcp_f64_e32 v[104:105], v[102:103]
	v_fma_f64 v[106:107], -v[102:103], v[104:105], 1.0
	v_fma_f64 v[104:105], v[104:105], v[106:107], v[104:105]
	v_fma_f64 v[106:107], -v[102:103], v[104:105], 1.0
	v_fma_f64 v[104:105], v[104:105], v[106:107], v[104:105]
	v_mul_f64 v[106:107], v[108:109], v[104:105]
	v_fma_f64 v[102:103], -v[102:103], v[106:107], v[108:109]
	v_div_fmas_f64 v[102:103], v[102:103], v[104:105], v[106:107]
	v_div_fixup_f64 v[117:118], v[102:103], v[100:101], 1.0
	v_mul_f64 v[119:120], v[98:99], -v[117:118]
.LBB90_450:
	s_or_b64 exec, exec, s[18:19]
.LBB90_451:
	s_or_b64 exec, exec, s[0:1]
	v_cmp_ne_u32_e32 vcc, v96, v97
	s_and_saveexec_b64 s[0:1], vcc
	s_xor_b64 s[0:1], exec, s[0:1]
	s_cbranch_execz .LBB90_457
; %bb.452:
	v_cmp_eq_u32_e32 vcc, 21, v96
	s_and_saveexec_b64 s[18:19], vcc
	s_cbranch_execz .LBB90_456
; %bb.453:
	v_cmp_ne_u32_e32 vcc, 21, v97
	s_xor_b64 s[20:21], s[6:7], -1
	s_and_b64 s[22:23], s[20:21], vcc
	s_and_saveexec_b64 s[20:21], s[22:23]
	s_cbranch_execz .LBB90_455
; %bb.454:
	buffer_load_dword v85, off, s[24:27], 0 offset:304 ; 4-byte Folded Reload
	buffer_load_dword v86, off, s[24:27], 0 offset:308 ; 4-byte Folded Reload
	v_ashrrev_i32_e32 v98, 31, v97
	v_lshlrev_b64 v[98:99], 2, v[97:98]
	s_waitcnt vmcnt(1)
	v_add_co_u32_e32 v98, vcc, v85, v98
	s_waitcnt vmcnt(0)
	v_addc_co_u32_e32 v99, vcc, v86, v99, vcc
	global_load_dword v0, v[98:99], off
	global_load_dword v96, v[85:86], off offset:84
	s_waitcnt vmcnt(1)
	global_store_dword v[85:86], v0, off offset:84
	s_waitcnt vmcnt(1)
	global_store_dword v[98:99], v96, off
.LBB90_455:
	s_or_b64 exec, exec, s[20:21]
	v_mov_b32_e32 v96, v97
	v_mov_b32_e32 v0, v97
.LBB90_456:
	s_or_b64 exec, exec, s[18:19]
.LBB90_457:
	s_andn2_saveexec_b64 s[0:1], s[0:1]
	s_cbranch_execz .LBB90_459
; %bb.458:
	v_mov_b32_e32 v96, 21
	ds_write2_b64 v94, v[111:112], v[113:114] offset0:44 offset1:45
	ds_write2_b64 v94, v[89:90], v[91:92] offset0:46 offset1:47
	;; [unrolled: 1-line block ×24, first 2 shown]
.LBB90_459:
	s_or_b64 exec, exec, s[0:1]
	v_cmp_lt_i32_e32 vcc, 21, v96
	s_waitcnt vmcnt(0) lgkmcnt(0)
	s_barrier
	s_and_saveexec_b64 s[0:1], vcc
	s_cbranch_execz .LBB90_461
; %bb.460:
	buffer_load_dword v85, off, s[24:27], 0 ; 4-byte Folded Reload
	buffer_load_dword v86, off, s[24:27], 0 offset:4 ; 4-byte Folded Reload
	buffer_load_dword v87, off, s[24:27], 0 offset:8 ; 4-byte Folded Reload
	;; [unrolled: 1-line block ×3, first 2 shown]
	s_waitcnt vmcnt(0)
	v_mul_f64 v[99:100], v[117:118], v[87:88]
	v_mul_f64 v[97:98], v[119:120], v[87:88]
	v_fma_f64 v[87:88], v[119:120], v[85:86], v[99:100]
	ds_read2_b64 v[99:102], v94 offset0:44 offset1:45
	v_fma_f64 v[97:98], v[117:118], v[85:86], -v[97:98]
	s_waitcnt lgkmcnt(0)
	v_mul_f64 v[103:104], v[101:102], v[87:88]
	v_mov_b32_e32 v85, v97
	v_mov_b32_e32 v86, v98
	v_fma_f64 v[103:104], v[99:100], v[97:98], -v[103:104]
	v_mul_f64 v[99:100], v[99:100], v[87:88]
	v_add_f64 v[111:112], v[111:112], -v[103:104]
	v_fma_f64 v[99:100], v[101:102], v[97:98], v[99:100]
	v_add_f64 v[113:114], v[113:114], -v[99:100]
	ds_read2_b64 v[99:102], v94 offset0:46 offset1:47
	s_waitcnt lgkmcnt(0)
	v_mul_f64 v[103:104], v[101:102], v[87:88]
	v_fma_f64 v[103:104], v[99:100], v[97:98], -v[103:104]
	v_mul_f64 v[99:100], v[99:100], v[87:88]
	v_add_f64 v[89:90], v[89:90], -v[103:104]
	v_fma_f64 v[99:100], v[101:102], v[97:98], v[99:100]
	v_add_f64 v[91:92], v[91:92], -v[99:100]
	ds_read2_b64 v[99:102], v94 offset0:48 offset1:49
	s_waitcnt lgkmcnt(0)
	v_mul_f64 v[103:104], v[101:102], v[87:88]
	;; [unrolled: 8-line block ×23, first 2 shown]
	v_fma_f64 v[103:104], v[99:100], v[97:98], -v[103:104]
	v_mul_f64 v[99:100], v[99:100], v[87:88]
	buffer_store_dword v85, off, s[24:27], 0 ; 4-byte Folded Spill
	s_nop 0
	buffer_store_dword v86, off, s[24:27], 0 offset:4 ; 4-byte Folded Spill
	buffer_store_dword v87, off, s[24:27], 0 offset:8 ; 4-byte Folded Spill
	;; [unrolled: 1-line block ×3, first 2 shown]
	v_add_f64 v[121:122], v[121:122], -v[103:104]
	v_fma_f64 v[99:100], v[101:102], v[97:98], v[99:100]
	v_add_f64 v[123:124], v[123:124], -v[99:100]
.LBB90_461:
	s_or_b64 exec, exec, s[0:1]
	v_lshl_add_u32 v97, v96, 4, v94
	s_waitcnt vmcnt(0)
	s_barrier
	ds_write2_b64 v97, v[111:112], v[113:114] offset1:1
	s_waitcnt lgkmcnt(0)
	s_barrier
	ds_read2_b64 v[117:120], v94 offset0:44 offset1:45
	s_cmp_lt_i32 s3, 24
	v_mov_b32_e32 v97, 22
	s_cbranch_scc1 .LBB90_464
; %bb.462:
	v_add_u32_e32 v98, 0x170, v94
	s_mov_b32 s0, 23
	v_mov_b32_e32 v97, 22
.LBB90_463:                             ; =>This Inner Loop Header: Depth=1
	s_waitcnt lgkmcnt(0)
	v_cmp_gt_f64_e32 vcc, 0, v[117:118]
	v_xor_b32_e32 v103, 0x80000000, v118
	ds_read2_b64 v[99:102], v98 offset1:1
	v_xor_b32_e32 v105, 0x80000000, v120
	v_add_u32_e32 v98, 16, v98
	s_waitcnt lgkmcnt(0)
	v_xor_b32_e32 v107, 0x80000000, v102
	v_cndmask_b32_e32 v104, v118, v103, vcc
	v_cmp_gt_f64_e32 vcc, 0, v[119:120]
	v_mov_b32_e32 v103, v117
	v_cndmask_b32_e32 v106, v120, v105, vcc
	v_cmp_gt_f64_e32 vcc, 0, v[99:100]
	v_mov_b32_e32 v105, v119
	v_add_f64 v[103:104], v[103:104], v[105:106]
	v_xor_b32_e32 v105, 0x80000000, v100
	v_cndmask_b32_e32 v106, v100, v105, vcc
	v_cmp_gt_f64_e32 vcc, 0, v[101:102]
	v_mov_b32_e32 v105, v99
	v_cndmask_b32_e32 v108, v102, v107, vcc
	v_mov_b32_e32 v107, v101
	v_add_f64 v[105:106], v[105:106], v[107:108]
	v_cmp_lt_f64_e32 vcc, v[103:104], v[105:106]
	v_cndmask_b32_e32 v117, v117, v99, vcc
	v_mov_b32_e32 v99, s0
	s_add_i32 s0, s0, 1
	v_cndmask_b32_e32 v118, v118, v100, vcc
	v_cndmask_b32_e32 v120, v120, v102, vcc
	;; [unrolled: 1-line block ×4, first 2 shown]
	s_cmp_lg_u32 s3, s0
	s_cbranch_scc1 .LBB90_463
.LBB90_464:
	s_waitcnt lgkmcnt(0)
	v_cmp_eq_f64_e32 vcc, 0, v[117:118]
	v_cmp_eq_f64_e64 s[0:1], 0, v[119:120]
	s_and_b64 s[0:1], vcc, s[0:1]
	s_and_saveexec_b64 s[18:19], s[0:1]
	s_xor_b64 s[0:1], exec, s[18:19]
; %bb.465:
	v_cmp_ne_u32_e32 vcc, 0, v95
	v_cndmask_b32_e32 v95, 23, v95, vcc
; %bb.466:
	s_andn2_saveexec_b64 s[0:1], s[0:1]
	s_cbranch_execz .LBB90_472
; %bb.467:
	v_cmp_ngt_f64_e64 s[18:19], |v[117:118]|, |v[119:120]|
	s_and_saveexec_b64 s[20:21], s[18:19]
	s_xor_b64 s[18:19], exec, s[20:21]
	s_cbranch_execz .LBB90_469
; %bb.468:
	v_div_scale_f64 v[98:99], s[20:21], v[119:120], v[119:120], v[117:118]
	v_rcp_f64_e32 v[100:101], v[98:99]
	v_fma_f64 v[102:103], -v[98:99], v[100:101], 1.0
	v_fma_f64 v[100:101], v[100:101], v[102:103], v[100:101]
	v_div_scale_f64 v[102:103], vcc, v[117:118], v[119:120], v[117:118]
	v_fma_f64 v[104:105], -v[98:99], v[100:101], 1.0
	v_fma_f64 v[100:101], v[100:101], v[104:105], v[100:101]
	v_mul_f64 v[104:105], v[102:103], v[100:101]
	v_fma_f64 v[98:99], -v[98:99], v[104:105], v[102:103]
	v_div_fmas_f64 v[98:99], v[98:99], v[100:101], v[104:105]
	v_div_fixup_f64 v[98:99], v[98:99], v[119:120], v[117:118]
	v_fma_f64 v[100:101], v[117:118], v[98:99], v[119:120]
	v_div_scale_f64 v[102:103], s[20:21], v[100:101], v[100:101], 1.0
	v_div_scale_f64 v[108:109], vcc, 1.0, v[100:101], 1.0
	v_rcp_f64_e32 v[104:105], v[102:103]
	v_fma_f64 v[106:107], -v[102:103], v[104:105], 1.0
	v_fma_f64 v[104:105], v[104:105], v[106:107], v[104:105]
	v_fma_f64 v[106:107], -v[102:103], v[104:105], 1.0
	v_fma_f64 v[104:105], v[104:105], v[106:107], v[104:105]
	v_mul_f64 v[106:107], v[108:109], v[104:105]
	v_fma_f64 v[102:103], -v[102:103], v[106:107], v[108:109]
	v_div_fmas_f64 v[102:103], v[102:103], v[104:105], v[106:107]
	v_div_fixup_f64 v[119:120], v[102:103], v[100:101], 1.0
	v_mul_f64 v[117:118], v[98:99], v[119:120]
	v_xor_b32_e32 v120, 0x80000000, v120
.LBB90_469:
	s_andn2_saveexec_b64 s[18:19], s[18:19]
	s_cbranch_execz .LBB90_471
; %bb.470:
	v_div_scale_f64 v[98:99], s[20:21], v[117:118], v[117:118], v[119:120]
	v_rcp_f64_e32 v[100:101], v[98:99]
	v_fma_f64 v[102:103], -v[98:99], v[100:101], 1.0
	v_fma_f64 v[100:101], v[100:101], v[102:103], v[100:101]
	v_div_scale_f64 v[102:103], vcc, v[119:120], v[117:118], v[119:120]
	v_fma_f64 v[104:105], -v[98:99], v[100:101], 1.0
	v_fma_f64 v[100:101], v[100:101], v[104:105], v[100:101]
	v_mul_f64 v[104:105], v[102:103], v[100:101]
	v_fma_f64 v[98:99], -v[98:99], v[104:105], v[102:103]
	v_div_fmas_f64 v[98:99], v[98:99], v[100:101], v[104:105]
	v_div_fixup_f64 v[98:99], v[98:99], v[117:118], v[119:120]
	v_fma_f64 v[100:101], v[119:120], v[98:99], v[117:118]
	v_div_scale_f64 v[102:103], s[20:21], v[100:101], v[100:101], 1.0
	v_div_scale_f64 v[108:109], vcc, 1.0, v[100:101], 1.0
	v_rcp_f64_e32 v[104:105], v[102:103]
	v_fma_f64 v[106:107], -v[102:103], v[104:105], 1.0
	v_fma_f64 v[104:105], v[104:105], v[106:107], v[104:105]
	v_fma_f64 v[106:107], -v[102:103], v[104:105], 1.0
	v_fma_f64 v[104:105], v[104:105], v[106:107], v[104:105]
	v_mul_f64 v[106:107], v[108:109], v[104:105]
	v_fma_f64 v[102:103], -v[102:103], v[106:107], v[108:109]
	v_div_fmas_f64 v[102:103], v[102:103], v[104:105], v[106:107]
	v_div_fixup_f64 v[117:118], v[102:103], v[100:101], 1.0
	v_mul_f64 v[119:120], v[98:99], -v[117:118]
.LBB90_471:
	s_or_b64 exec, exec, s[18:19]
.LBB90_472:
	s_or_b64 exec, exec, s[0:1]
	v_cmp_ne_u32_e32 vcc, v96, v97
	s_and_saveexec_b64 s[0:1], vcc
	s_xor_b64 s[0:1], exec, s[0:1]
	s_cbranch_execz .LBB90_478
; %bb.473:
	v_cmp_eq_u32_e32 vcc, 22, v96
	s_and_saveexec_b64 s[18:19], vcc
	s_cbranch_execz .LBB90_477
; %bb.474:
	v_cmp_ne_u32_e32 vcc, 22, v97
	s_xor_b64 s[20:21], s[6:7], -1
	s_and_b64 s[22:23], s[20:21], vcc
	s_and_saveexec_b64 s[20:21], s[22:23]
	s_cbranch_execz .LBB90_476
; %bb.475:
	buffer_load_dword v85, off, s[24:27], 0 offset:304 ; 4-byte Folded Reload
	buffer_load_dword v86, off, s[24:27], 0 offset:308 ; 4-byte Folded Reload
	v_ashrrev_i32_e32 v98, 31, v97
	v_lshlrev_b64 v[98:99], 2, v[97:98]
	s_waitcnt vmcnt(1)
	v_add_co_u32_e32 v98, vcc, v85, v98
	s_waitcnt vmcnt(0)
	v_addc_co_u32_e32 v99, vcc, v86, v99, vcc
	global_load_dword v0, v[98:99], off
	global_load_dword v96, v[85:86], off offset:88
	s_waitcnt vmcnt(1)
	global_store_dword v[85:86], v0, off offset:88
	s_waitcnt vmcnt(1)
	global_store_dword v[98:99], v96, off
.LBB90_476:
	s_or_b64 exec, exec, s[20:21]
	v_mov_b32_e32 v96, v97
	v_mov_b32_e32 v0, v97
.LBB90_477:
	s_or_b64 exec, exec, s[18:19]
.LBB90_478:
	s_andn2_saveexec_b64 s[0:1], s[0:1]
	s_cbranch_execz .LBB90_480
; %bb.479:
	v_mov_b32_e32 v96, 22
	ds_write2_b64 v94, v[89:90], v[91:92] offset0:46 offset1:47
	ds_write2_b64 v94, v[81:82], v[83:84] offset0:48 offset1:49
	;; [unrolled: 1-line block ×23, first 2 shown]
.LBB90_480:
	s_or_b64 exec, exec, s[0:1]
	v_cmp_lt_i32_e32 vcc, 22, v96
	s_waitcnt vmcnt(0) lgkmcnt(0)
	s_barrier
	s_and_saveexec_b64 s[0:1], vcc
	s_cbranch_execz .LBB90_482
; %bb.481:
	v_mov_b32_e32 v85, v89
	v_mov_b32_e32 v86, v90
	;; [unrolled: 1-line block ×4, first 2 shown]
	v_mul_f64 v[91:92], v[117:118], v[113:114]
	v_mul_f64 v[97:98], v[119:120], v[113:114]
	ds_read2_b64 v[99:102], v94 offset0:46 offset1:47
	v_fma_f64 v[113:114], v[119:120], v[111:112], v[91:92]
	v_fma_f64 v[97:98], v[117:118], v[111:112], -v[97:98]
	s_waitcnt lgkmcnt(0)
	v_mul_f64 v[89:90], v[101:102], v[113:114]
	v_mov_b32_e32 v112, v98
	v_mov_b32_e32 v111, v97
	v_fma_f64 v[89:90], v[99:100], v[97:98], -v[89:90]
	v_mul_f64 v[99:100], v[99:100], v[113:114]
	v_add_f64 v[85:86], v[85:86], -v[89:90]
	v_fma_f64 v[99:100], v[101:102], v[97:98], v[99:100]
	v_add_f64 v[87:88], v[87:88], -v[99:100]
	ds_read2_b64 v[99:102], v94 offset0:48 offset1:49
	s_waitcnt lgkmcnt(0)
	v_mul_f64 v[89:90], v[101:102], v[113:114]
	v_fma_f64 v[89:90], v[99:100], v[97:98], -v[89:90]
	v_mul_f64 v[99:100], v[99:100], v[113:114]
	v_add_f64 v[81:82], v[81:82], -v[89:90]
	v_fma_f64 v[99:100], v[101:102], v[97:98], v[99:100]
	v_add_f64 v[83:84], v[83:84], -v[99:100]
	ds_read2_b64 v[99:102], v94 offset0:50 offset1:51
	s_waitcnt lgkmcnt(0)
	v_mul_f64 v[89:90], v[101:102], v[113:114]
	;; [unrolled: 8-line block ×22, first 2 shown]
	v_fma_f64 v[89:90], v[99:100], v[97:98], -v[89:90]
	v_mul_f64 v[99:100], v[99:100], v[113:114]
	v_add_f64 v[121:122], v[121:122], -v[89:90]
	v_fma_f64 v[99:100], v[101:102], v[97:98], v[99:100]
	v_mov_b32_e32 v92, v88
	v_mov_b32_e32 v91, v87
	;; [unrolled: 1-line block ×4, first 2 shown]
	v_add_f64 v[123:124], v[123:124], -v[99:100]
.LBB90_482:
	s_or_b64 exec, exec, s[0:1]
	v_lshl_add_u32 v97, v96, 4, v94
	s_barrier
	ds_write2_b64 v97, v[89:90], v[91:92] offset1:1
	s_waitcnt lgkmcnt(0)
	s_barrier
	ds_read2_b64 v[117:120], v94 offset0:46 offset1:47
	s_cmp_lt_i32 s3, 25
	v_mov_b32_e32 v97, 23
	s_cbranch_scc1 .LBB90_485
; %bb.483:
	v_add_u32_e32 v98, 0x180, v94
	s_mov_b32 s0, 24
	v_mov_b32_e32 v97, 23
.LBB90_484:                             ; =>This Inner Loop Header: Depth=1
	s_waitcnt lgkmcnt(0)
	v_cmp_gt_f64_e32 vcc, 0, v[117:118]
	v_xor_b32_e32 v103, 0x80000000, v118
	ds_read2_b64 v[99:102], v98 offset1:1
	v_xor_b32_e32 v105, 0x80000000, v120
	v_add_u32_e32 v98, 16, v98
	s_waitcnt lgkmcnt(0)
	v_xor_b32_e32 v107, 0x80000000, v102
	v_cndmask_b32_e32 v104, v118, v103, vcc
	v_cmp_gt_f64_e32 vcc, 0, v[119:120]
	v_mov_b32_e32 v103, v117
	v_cndmask_b32_e32 v106, v120, v105, vcc
	v_cmp_gt_f64_e32 vcc, 0, v[99:100]
	v_mov_b32_e32 v105, v119
	v_add_f64 v[103:104], v[103:104], v[105:106]
	v_xor_b32_e32 v105, 0x80000000, v100
	v_cndmask_b32_e32 v106, v100, v105, vcc
	v_cmp_gt_f64_e32 vcc, 0, v[101:102]
	v_mov_b32_e32 v105, v99
	v_cndmask_b32_e32 v108, v102, v107, vcc
	v_mov_b32_e32 v107, v101
	v_add_f64 v[105:106], v[105:106], v[107:108]
	v_cmp_lt_f64_e32 vcc, v[103:104], v[105:106]
	v_cndmask_b32_e32 v117, v117, v99, vcc
	v_mov_b32_e32 v99, s0
	s_add_i32 s0, s0, 1
	v_cndmask_b32_e32 v118, v118, v100, vcc
	v_cndmask_b32_e32 v120, v120, v102, vcc
	;; [unrolled: 1-line block ×4, first 2 shown]
	s_cmp_lg_u32 s3, s0
	s_cbranch_scc1 .LBB90_484
.LBB90_485:
	s_waitcnt lgkmcnt(0)
	v_cmp_eq_f64_e32 vcc, 0, v[117:118]
	v_cmp_eq_f64_e64 s[0:1], 0, v[119:120]
	s_and_b64 s[0:1], vcc, s[0:1]
	s_and_saveexec_b64 s[18:19], s[0:1]
	s_xor_b64 s[0:1], exec, s[18:19]
; %bb.486:
	v_cmp_ne_u32_e32 vcc, 0, v95
	v_cndmask_b32_e32 v95, 24, v95, vcc
; %bb.487:
	s_andn2_saveexec_b64 s[0:1], s[0:1]
	s_cbranch_execz .LBB90_493
; %bb.488:
	v_cmp_ngt_f64_e64 s[18:19], |v[117:118]|, |v[119:120]|
	s_and_saveexec_b64 s[20:21], s[18:19]
	s_xor_b64 s[18:19], exec, s[20:21]
	s_cbranch_execz .LBB90_490
; %bb.489:
	v_div_scale_f64 v[98:99], s[20:21], v[119:120], v[119:120], v[117:118]
	v_rcp_f64_e32 v[100:101], v[98:99]
	v_fma_f64 v[102:103], -v[98:99], v[100:101], 1.0
	v_fma_f64 v[100:101], v[100:101], v[102:103], v[100:101]
	v_div_scale_f64 v[102:103], vcc, v[117:118], v[119:120], v[117:118]
	v_fma_f64 v[104:105], -v[98:99], v[100:101], 1.0
	v_fma_f64 v[100:101], v[100:101], v[104:105], v[100:101]
	v_mul_f64 v[104:105], v[102:103], v[100:101]
	v_fma_f64 v[98:99], -v[98:99], v[104:105], v[102:103]
	v_div_fmas_f64 v[98:99], v[98:99], v[100:101], v[104:105]
	v_div_fixup_f64 v[98:99], v[98:99], v[119:120], v[117:118]
	v_fma_f64 v[100:101], v[117:118], v[98:99], v[119:120]
	v_div_scale_f64 v[102:103], s[20:21], v[100:101], v[100:101], 1.0
	v_div_scale_f64 v[108:109], vcc, 1.0, v[100:101], 1.0
	v_rcp_f64_e32 v[104:105], v[102:103]
	v_fma_f64 v[106:107], -v[102:103], v[104:105], 1.0
	v_fma_f64 v[104:105], v[104:105], v[106:107], v[104:105]
	v_fma_f64 v[106:107], -v[102:103], v[104:105], 1.0
	v_fma_f64 v[104:105], v[104:105], v[106:107], v[104:105]
	v_mul_f64 v[106:107], v[108:109], v[104:105]
	v_fma_f64 v[102:103], -v[102:103], v[106:107], v[108:109]
	v_div_fmas_f64 v[102:103], v[102:103], v[104:105], v[106:107]
	v_div_fixup_f64 v[119:120], v[102:103], v[100:101], 1.0
	v_mul_f64 v[117:118], v[98:99], v[119:120]
	v_xor_b32_e32 v120, 0x80000000, v120
.LBB90_490:
	s_andn2_saveexec_b64 s[18:19], s[18:19]
	s_cbranch_execz .LBB90_492
; %bb.491:
	v_div_scale_f64 v[98:99], s[20:21], v[117:118], v[117:118], v[119:120]
	v_rcp_f64_e32 v[100:101], v[98:99]
	v_fma_f64 v[102:103], -v[98:99], v[100:101], 1.0
	v_fma_f64 v[100:101], v[100:101], v[102:103], v[100:101]
	v_div_scale_f64 v[102:103], vcc, v[119:120], v[117:118], v[119:120]
	v_fma_f64 v[104:105], -v[98:99], v[100:101], 1.0
	v_fma_f64 v[100:101], v[100:101], v[104:105], v[100:101]
	v_mul_f64 v[104:105], v[102:103], v[100:101]
	v_fma_f64 v[98:99], -v[98:99], v[104:105], v[102:103]
	v_div_fmas_f64 v[98:99], v[98:99], v[100:101], v[104:105]
	v_div_fixup_f64 v[98:99], v[98:99], v[117:118], v[119:120]
	v_fma_f64 v[100:101], v[119:120], v[98:99], v[117:118]
	v_div_scale_f64 v[102:103], s[20:21], v[100:101], v[100:101], 1.0
	v_div_scale_f64 v[108:109], vcc, 1.0, v[100:101], 1.0
	v_rcp_f64_e32 v[104:105], v[102:103]
	v_fma_f64 v[106:107], -v[102:103], v[104:105], 1.0
	v_fma_f64 v[104:105], v[104:105], v[106:107], v[104:105]
	v_fma_f64 v[106:107], -v[102:103], v[104:105], 1.0
	v_fma_f64 v[104:105], v[104:105], v[106:107], v[104:105]
	v_mul_f64 v[106:107], v[108:109], v[104:105]
	v_fma_f64 v[102:103], -v[102:103], v[106:107], v[108:109]
	v_div_fmas_f64 v[102:103], v[102:103], v[104:105], v[106:107]
	v_div_fixup_f64 v[117:118], v[102:103], v[100:101], 1.0
	v_mul_f64 v[119:120], v[98:99], -v[117:118]
.LBB90_492:
	s_or_b64 exec, exec, s[18:19]
.LBB90_493:
	s_or_b64 exec, exec, s[0:1]
	v_cmp_ne_u32_e32 vcc, v96, v97
	s_and_saveexec_b64 s[0:1], vcc
	s_xor_b64 s[0:1], exec, s[0:1]
	s_cbranch_execz .LBB90_499
; %bb.494:
	v_cmp_eq_u32_e32 vcc, 23, v96
	s_and_saveexec_b64 s[18:19], vcc
	s_cbranch_execz .LBB90_498
; %bb.495:
	v_cmp_ne_u32_e32 vcc, 23, v97
	s_xor_b64 s[20:21], s[6:7], -1
	s_and_b64 s[22:23], s[20:21], vcc
	s_and_saveexec_b64 s[20:21], s[22:23]
	s_cbranch_execz .LBB90_497
; %bb.496:
	buffer_load_dword v85, off, s[24:27], 0 offset:304 ; 4-byte Folded Reload
	buffer_load_dword v86, off, s[24:27], 0 offset:308 ; 4-byte Folded Reload
	v_ashrrev_i32_e32 v98, 31, v97
	v_lshlrev_b64 v[98:99], 2, v[97:98]
	s_waitcnt vmcnt(1)
	v_add_co_u32_e32 v98, vcc, v85, v98
	s_waitcnt vmcnt(0)
	v_addc_co_u32_e32 v99, vcc, v86, v99, vcc
	global_load_dword v0, v[98:99], off
	global_load_dword v96, v[85:86], off offset:92
	s_waitcnt vmcnt(1)
	global_store_dword v[85:86], v0, off offset:92
	s_waitcnt vmcnt(1)
	global_store_dword v[98:99], v96, off
.LBB90_497:
	s_or_b64 exec, exec, s[20:21]
	v_mov_b32_e32 v96, v97
	v_mov_b32_e32 v0, v97
.LBB90_498:
	s_or_b64 exec, exec, s[18:19]
.LBB90_499:
	s_andn2_saveexec_b64 s[0:1], s[0:1]
	s_cbranch_execz .LBB90_501
; %bb.500:
	v_mov_b32_e32 v96, 23
	ds_write2_b64 v94, v[81:82], v[83:84] offset0:48 offset1:49
	ds_write2_b64 v94, v[77:78], v[79:80] offset0:50 offset1:51
	;; [unrolled: 1-line block ×22, first 2 shown]
.LBB90_501:
	s_or_b64 exec, exec, s[0:1]
	v_cmp_lt_i32_e32 vcc, 23, v96
	s_waitcnt vmcnt(0) lgkmcnt(0)
	s_barrier
	s_and_saveexec_b64 s[0:1], vcc
	s_cbranch_execz .LBB90_503
; %bb.502:
	v_mul_f64 v[87:88], v[117:118], v[91:92]
	v_mul_f64 v[97:98], v[119:120], v[91:92]
	v_fma_f64 v[91:92], v[119:120], v[89:90], v[87:88]
	v_fma_f64 v[125:126], v[117:118], v[89:90], -v[97:98]
	ds_read2_b64 v[97:100], v94 offset0:48 offset1:49
	s_waitcnt lgkmcnt(0)
	v_mul_f64 v[85:86], v[99:100], v[91:92]
	v_mov_b32_e32 v89, v125
	v_mov_b32_e32 v90, v126
	v_fma_f64 v[85:86], v[97:98], v[125:126], -v[85:86]
	v_mul_f64 v[97:98], v[97:98], v[91:92]
	v_add_f64 v[81:82], v[81:82], -v[85:86]
	v_fma_f64 v[97:98], v[99:100], v[125:126], v[97:98]
	v_add_f64 v[83:84], v[83:84], -v[97:98]
	ds_read2_b64 v[97:100], v94 offset0:50 offset1:51
	s_waitcnt lgkmcnt(0)
	v_mul_f64 v[85:86], v[99:100], v[91:92]
	v_fma_f64 v[85:86], v[97:98], v[125:126], -v[85:86]
	v_mul_f64 v[97:98], v[97:98], v[91:92]
	v_add_f64 v[77:78], v[77:78], -v[85:86]
	v_fma_f64 v[97:98], v[99:100], v[125:126], v[97:98]
	v_add_f64 v[79:80], v[79:80], -v[97:98]
	ds_read2_b64 v[97:100], v94 offset0:52 offset1:53
	s_waitcnt lgkmcnt(0)
	v_mul_f64 v[85:86], v[99:100], v[91:92]
	;; [unrolled: 8-line block ×21, first 2 shown]
	v_fma_f64 v[85:86], v[97:98], v[125:126], -v[85:86]
	v_mul_f64 v[97:98], v[97:98], v[91:92]
	v_add_f64 v[121:122], v[121:122], -v[85:86]
	v_fma_f64 v[97:98], v[99:100], v[125:126], v[97:98]
	v_add_f64 v[123:124], v[123:124], -v[97:98]
.LBB90_503:
	s_or_b64 exec, exec, s[0:1]
	v_lshl_add_u32 v97, v96, 4, v94
	s_barrier
	ds_write2_b64 v97, v[81:82], v[83:84] offset1:1
	s_waitcnt lgkmcnt(0)
	s_barrier
	ds_read2_b64 v[117:120], v94 offset0:48 offset1:49
	s_cmp_lt_i32 s3, 26
	v_mov_b32_e32 v97, 24
	s_cbranch_scc1 .LBB90_506
; %bb.504:
	v_add_u32_e32 v98, 0x190, v94
	s_mov_b32 s0, 25
	v_mov_b32_e32 v97, 24
.LBB90_505:                             ; =>This Inner Loop Header: Depth=1
	s_waitcnt lgkmcnt(0)
	v_cmp_gt_f64_e32 vcc, 0, v[117:118]
	v_xor_b32_e32 v103, 0x80000000, v118
	ds_read2_b64 v[99:102], v98 offset1:1
	v_xor_b32_e32 v105, 0x80000000, v120
	v_add_u32_e32 v98, 16, v98
	s_waitcnt lgkmcnt(0)
	v_xor_b32_e32 v107, 0x80000000, v102
	v_cndmask_b32_e32 v104, v118, v103, vcc
	v_cmp_gt_f64_e32 vcc, 0, v[119:120]
	v_mov_b32_e32 v103, v117
	v_cndmask_b32_e32 v106, v120, v105, vcc
	v_cmp_gt_f64_e32 vcc, 0, v[99:100]
	v_mov_b32_e32 v105, v119
	v_add_f64 v[103:104], v[103:104], v[105:106]
	v_xor_b32_e32 v105, 0x80000000, v100
	v_cndmask_b32_e32 v106, v100, v105, vcc
	v_cmp_gt_f64_e32 vcc, 0, v[101:102]
	v_mov_b32_e32 v105, v99
	v_cndmask_b32_e32 v108, v102, v107, vcc
	v_mov_b32_e32 v107, v101
	v_add_f64 v[105:106], v[105:106], v[107:108]
	v_cmp_lt_f64_e32 vcc, v[103:104], v[105:106]
	v_cndmask_b32_e32 v117, v117, v99, vcc
	v_mov_b32_e32 v99, s0
	s_add_i32 s0, s0, 1
	v_cndmask_b32_e32 v118, v118, v100, vcc
	v_cndmask_b32_e32 v120, v120, v102, vcc
	;; [unrolled: 1-line block ×4, first 2 shown]
	s_cmp_lg_u32 s3, s0
	s_cbranch_scc1 .LBB90_505
.LBB90_506:
	s_waitcnt lgkmcnt(0)
	v_cmp_eq_f64_e32 vcc, 0, v[117:118]
	v_cmp_eq_f64_e64 s[0:1], 0, v[119:120]
	s_and_b64 s[0:1], vcc, s[0:1]
	s_and_saveexec_b64 s[18:19], s[0:1]
	s_xor_b64 s[0:1], exec, s[18:19]
; %bb.507:
	v_cmp_ne_u32_e32 vcc, 0, v95
	v_cndmask_b32_e32 v95, 25, v95, vcc
; %bb.508:
	s_andn2_saveexec_b64 s[0:1], s[0:1]
	s_cbranch_execz .LBB90_514
; %bb.509:
	v_cmp_ngt_f64_e64 s[18:19], |v[117:118]|, |v[119:120]|
	s_and_saveexec_b64 s[20:21], s[18:19]
	s_xor_b64 s[18:19], exec, s[20:21]
	s_cbranch_execz .LBB90_511
; %bb.510:
	v_div_scale_f64 v[98:99], s[20:21], v[119:120], v[119:120], v[117:118]
	v_rcp_f64_e32 v[100:101], v[98:99]
	v_fma_f64 v[102:103], -v[98:99], v[100:101], 1.0
	v_fma_f64 v[100:101], v[100:101], v[102:103], v[100:101]
	v_div_scale_f64 v[102:103], vcc, v[117:118], v[119:120], v[117:118]
	v_fma_f64 v[104:105], -v[98:99], v[100:101], 1.0
	v_fma_f64 v[100:101], v[100:101], v[104:105], v[100:101]
	v_mul_f64 v[104:105], v[102:103], v[100:101]
	v_fma_f64 v[98:99], -v[98:99], v[104:105], v[102:103]
	v_div_fmas_f64 v[98:99], v[98:99], v[100:101], v[104:105]
	v_div_fixup_f64 v[98:99], v[98:99], v[119:120], v[117:118]
	v_fma_f64 v[100:101], v[117:118], v[98:99], v[119:120]
	v_div_scale_f64 v[102:103], s[20:21], v[100:101], v[100:101], 1.0
	v_div_scale_f64 v[108:109], vcc, 1.0, v[100:101], 1.0
	v_rcp_f64_e32 v[104:105], v[102:103]
	v_fma_f64 v[106:107], -v[102:103], v[104:105], 1.0
	v_fma_f64 v[104:105], v[104:105], v[106:107], v[104:105]
	v_fma_f64 v[106:107], -v[102:103], v[104:105], 1.0
	v_fma_f64 v[104:105], v[104:105], v[106:107], v[104:105]
	v_mul_f64 v[106:107], v[108:109], v[104:105]
	v_fma_f64 v[102:103], -v[102:103], v[106:107], v[108:109]
	v_div_fmas_f64 v[102:103], v[102:103], v[104:105], v[106:107]
	v_div_fixup_f64 v[119:120], v[102:103], v[100:101], 1.0
	v_mul_f64 v[117:118], v[98:99], v[119:120]
	v_xor_b32_e32 v120, 0x80000000, v120
.LBB90_511:
	s_andn2_saveexec_b64 s[18:19], s[18:19]
	s_cbranch_execz .LBB90_513
; %bb.512:
	v_div_scale_f64 v[98:99], s[20:21], v[117:118], v[117:118], v[119:120]
	v_rcp_f64_e32 v[100:101], v[98:99]
	v_fma_f64 v[102:103], -v[98:99], v[100:101], 1.0
	v_fma_f64 v[100:101], v[100:101], v[102:103], v[100:101]
	v_div_scale_f64 v[102:103], vcc, v[119:120], v[117:118], v[119:120]
	v_fma_f64 v[104:105], -v[98:99], v[100:101], 1.0
	v_fma_f64 v[100:101], v[100:101], v[104:105], v[100:101]
	v_mul_f64 v[104:105], v[102:103], v[100:101]
	v_fma_f64 v[98:99], -v[98:99], v[104:105], v[102:103]
	v_div_fmas_f64 v[98:99], v[98:99], v[100:101], v[104:105]
	v_div_fixup_f64 v[98:99], v[98:99], v[117:118], v[119:120]
	v_fma_f64 v[100:101], v[119:120], v[98:99], v[117:118]
	v_div_scale_f64 v[102:103], s[20:21], v[100:101], v[100:101], 1.0
	v_div_scale_f64 v[108:109], vcc, 1.0, v[100:101], 1.0
	v_rcp_f64_e32 v[104:105], v[102:103]
	v_fma_f64 v[106:107], -v[102:103], v[104:105], 1.0
	v_fma_f64 v[104:105], v[104:105], v[106:107], v[104:105]
	v_fma_f64 v[106:107], -v[102:103], v[104:105], 1.0
	v_fma_f64 v[104:105], v[104:105], v[106:107], v[104:105]
	v_mul_f64 v[106:107], v[108:109], v[104:105]
	v_fma_f64 v[102:103], -v[102:103], v[106:107], v[108:109]
	v_div_fmas_f64 v[102:103], v[102:103], v[104:105], v[106:107]
	v_div_fixup_f64 v[117:118], v[102:103], v[100:101], 1.0
	v_mul_f64 v[119:120], v[98:99], -v[117:118]
.LBB90_513:
	s_or_b64 exec, exec, s[18:19]
.LBB90_514:
	s_or_b64 exec, exec, s[0:1]
	v_cmp_ne_u32_e32 vcc, v96, v97
	s_and_saveexec_b64 s[0:1], vcc
	s_xor_b64 s[0:1], exec, s[0:1]
	s_cbranch_execz .LBB90_520
; %bb.515:
	v_cmp_eq_u32_e32 vcc, 24, v96
	s_and_saveexec_b64 s[18:19], vcc
	s_cbranch_execz .LBB90_519
; %bb.516:
	v_cmp_ne_u32_e32 vcc, 24, v97
	s_xor_b64 s[20:21], s[6:7], -1
	s_and_b64 s[22:23], s[20:21], vcc
	s_and_saveexec_b64 s[20:21], s[22:23]
	s_cbranch_execz .LBB90_518
; %bb.517:
	buffer_load_dword v85, off, s[24:27], 0 offset:304 ; 4-byte Folded Reload
	buffer_load_dword v86, off, s[24:27], 0 offset:308 ; 4-byte Folded Reload
	v_ashrrev_i32_e32 v98, 31, v97
	v_lshlrev_b64 v[98:99], 2, v[97:98]
	s_waitcnt vmcnt(1)
	v_add_co_u32_e32 v98, vcc, v85, v98
	s_waitcnt vmcnt(0)
	v_addc_co_u32_e32 v99, vcc, v86, v99, vcc
	global_load_dword v0, v[98:99], off
	global_load_dword v96, v[85:86], off offset:96
	s_waitcnt vmcnt(1)
	global_store_dword v[85:86], v0, off offset:96
	s_waitcnt vmcnt(1)
	global_store_dword v[98:99], v96, off
.LBB90_518:
	s_or_b64 exec, exec, s[20:21]
	v_mov_b32_e32 v96, v97
	v_mov_b32_e32 v0, v97
.LBB90_519:
	s_or_b64 exec, exec, s[18:19]
.LBB90_520:
	s_andn2_saveexec_b64 s[0:1], s[0:1]
	s_cbranch_execz .LBB90_522
; %bb.521:
	v_mov_b32_e32 v96, 24
	ds_write2_b64 v94, v[77:78], v[79:80] offset0:50 offset1:51
	ds_write2_b64 v94, v[73:74], v[75:76] offset0:52 offset1:53
	;; [unrolled: 1-line block ×21, first 2 shown]
.LBB90_522:
	s_or_b64 exec, exec, s[0:1]
	v_cmp_lt_i32_e32 vcc, 24, v96
	s_waitcnt vmcnt(0) lgkmcnt(0)
	s_barrier
	s_and_saveexec_b64 s[0:1], vcc
	s_cbranch_execz .LBB90_524
; %bb.523:
	v_mul_f64 v[97:98], v[119:120], v[83:84]
	v_mul_f64 v[83:84], v[117:118], v[83:84]
	v_fma_f64 v[125:126], v[117:118], v[81:82], -v[97:98]
	v_fma_f64 v[83:84], v[119:120], v[81:82], v[83:84]
	ds_read2_b64 v[97:100], v94 offset0:50 offset1:51
	s_waitcnt lgkmcnt(0)
	v_mul_f64 v[81:82], v[99:100], v[83:84]
	v_fma_f64 v[81:82], v[97:98], v[125:126], -v[81:82]
	v_mul_f64 v[97:98], v[97:98], v[83:84]
	v_add_f64 v[77:78], v[77:78], -v[81:82]
	v_fma_f64 v[97:98], v[99:100], v[125:126], v[97:98]
	v_add_f64 v[79:80], v[79:80], -v[97:98]
	ds_read2_b64 v[97:100], v94 offset0:52 offset1:53
	s_waitcnt lgkmcnt(0)
	v_mul_f64 v[81:82], v[99:100], v[83:84]
	v_fma_f64 v[81:82], v[97:98], v[125:126], -v[81:82]
	v_mul_f64 v[97:98], v[97:98], v[83:84]
	v_add_f64 v[73:74], v[73:74], -v[81:82]
	v_fma_f64 v[97:98], v[99:100], v[125:126], v[97:98]
	v_add_f64 v[75:76], v[75:76], -v[97:98]
	;; [unrolled: 8-line block ×20, first 2 shown]
	ds_read2_b64 v[97:100], v94 offset0:90 offset1:91
	s_waitcnt lgkmcnt(0)
	v_mul_f64 v[81:82], v[99:100], v[83:84]
	v_fma_f64 v[81:82], v[97:98], v[125:126], -v[81:82]
	v_mul_f64 v[97:98], v[97:98], v[83:84]
	v_add_f64 v[121:122], v[121:122], -v[81:82]
	v_fma_f64 v[97:98], v[99:100], v[125:126], v[97:98]
	v_mov_b32_e32 v81, v125
	v_mov_b32_e32 v82, v126
	v_add_f64 v[123:124], v[123:124], -v[97:98]
.LBB90_524:
	s_or_b64 exec, exec, s[0:1]
	v_lshl_add_u32 v97, v96, 4, v94
	s_barrier
	ds_write2_b64 v97, v[77:78], v[79:80] offset1:1
	s_waitcnt lgkmcnt(0)
	s_barrier
	ds_read2_b64 v[117:120], v94 offset0:50 offset1:51
	s_cmp_lt_i32 s3, 27
	v_mov_b32_e32 v97, 25
	s_cbranch_scc1 .LBB90_527
; %bb.525:
	v_add_u32_e32 v98, 0x1a0, v94
	s_mov_b32 s0, 26
	v_mov_b32_e32 v97, 25
.LBB90_526:                             ; =>This Inner Loop Header: Depth=1
	s_waitcnt lgkmcnt(0)
	v_cmp_gt_f64_e32 vcc, 0, v[117:118]
	v_xor_b32_e32 v103, 0x80000000, v118
	ds_read2_b64 v[99:102], v98 offset1:1
	v_xor_b32_e32 v105, 0x80000000, v120
	v_add_u32_e32 v98, 16, v98
	s_waitcnt lgkmcnt(0)
	v_xor_b32_e32 v107, 0x80000000, v102
	v_cndmask_b32_e32 v104, v118, v103, vcc
	v_cmp_gt_f64_e32 vcc, 0, v[119:120]
	v_mov_b32_e32 v103, v117
	v_cndmask_b32_e32 v106, v120, v105, vcc
	v_cmp_gt_f64_e32 vcc, 0, v[99:100]
	v_mov_b32_e32 v105, v119
	v_add_f64 v[103:104], v[103:104], v[105:106]
	v_xor_b32_e32 v105, 0x80000000, v100
	v_cndmask_b32_e32 v106, v100, v105, vcc
	v_cmp_gt_f64_e32 vcc, 0, v[101:102]
	v_mov_b32_e32 v105, v99
	v_cndmask_b32_e32 v108, v102, v107, vcc
	v_mov_b32_e32 v107, v101
	v_add_f64 v[105:106], v[105:106], v[107:108]
	v_cmp_lt_f64_e32 vcc, v[103:104], v[105:106]
	v_cndmask_b32_e32 v117, v117, v99, vcc
	v_mov_b32_e32 v99, s0
	s_add_i32 s0, s0, 1
	v_cndmask_b32_e32 v118, v118, v100, vcc
	v_cndmask_b32_e32 v120, v120, v102, vcc
	;; [unrolled: 1-line block ×4, first 2 shown]
	s_cmp_lg_u32 s3, s0
	s_cbranch_scc1 .LBB90_526
.LBB90_527:
	s_waitcnt lgkmcnt(0)
	v_cmp_eq_f64_e32 vcc, 0, v[117:118]
	v_cmp_eq_f64_e64 s[0:1], 0, v[119:120]
	s_and_b64 s[0:1], vcc, s[0:1]
	s_and_saveexec_b64 s[18:19], s[0:1]
	s_xor_b64 s[0:1], exec, s[18:19]
; %bb.528:
	v_cmp_ne_u32_e32 vcc, 0, v95
	v_cndmask_b32_e32 v95, 26, v95, vcc
; %bb.529:
	s_andn2_saveexec_b64 s[0:1], s[0:1]
	s_cbranch_execz .LBB90_535
; %bb.530:
	v_cmp_ngt_f64_e64 s[18:19], |v[117:118]|, |v[119:120]|
	s_and_saveexec_b64 s[20:21], s[18:19]
	s_xor_b64 s[18:19], exec, s[20:21]
	s_cbranch_execz .LBB90_532
; %bb.531:
	v_div_scale_f64 v[98:99], s[20:21], v[119:120], v[119:120], v[117:118]
	v_rcp_f64_e32 v[100:101], v[98:99]
	v_fma_f64 v[102:103], -v[98:99], v[100:101], 1.0
	v_fma_f64 v[100:101], v[100:101], v[102:103], v[100:101]
	v_div_scale_f64 v[102:103], vcc, v[117:118], v[119:120], v[117:118]
	v_fma_f64 v[104:105], -v[98:99], v[100:101], 1.0
	v_fma_f64 v[100:101], v[100:101], v[104:105], v[100:101]
	v_mul_f64 v[104:105], v[102:103], v[100:101]
	v_fma_f64 v[98:99], -v[98:99], v[104:105], v[102:103]
	v_div_fmas_f64 v[98:99], v[98:99], v[100:101], v[104:105]
	v_div_fixup_f64 v[98:99], v[98:99], v[119:120], v[117:118]
	v_fma_f64 v[100:101], v[117:118], v[98:99], v[119:120]
	v_div_scale_f64 v[102:103], s[20:21], v[100:101], v[100:101], 1.0
	v_div_scale_f64 v[108:109], vcc, 1.0, v[100:101], 1.0
	v_rcp_f64_e32 v[104:105], v[102:103]
	v_fma_f64 v[106:107], -v[102:103], v[104:105], 1.0
	v_fma_f64 v[104:105], v[104:105], v[106:107], v[104:105]
	v_fma_f64 v[106:107], -v[102:103], v[104:105], 1.0
	v_fma_f64 v[104:105], v[104:105], v[106:107], v[104:105]
	v_mul_f64 v[106:107], v[108:109], v[104:105]
	v_fma_f64 v[102:103], -v[102:103], v[106:107], v[108:109]
	v_div_fmas_f64 v[102:103], v[102:103], v[104:105], v[106:107]
	v_div_fixup_f64 v[119:120], v[102:103], v[100:101], 1.0
	v_mul_f64 v[117:118], v[98:99], v[119:120]
	v_xor_b32_e32 v120, 0x80000000, v120
.LBB90_532:
	s_andn2_saveexec_b64 s[18:19], s[18:19]
	s_cbranch_execz .LBB90_534
; %bb.533:
	v_div_scale_f64 v[98:99], s[20:21], v[117:118], v[117:118], v[119:120]
	v_rcp_f64_e32 v[100:101], v[98:99]
	v_fma_f64 v[102:103], -v[98:99], v[100:101], 1.0
	v_fma_f64 v[100:101], v[100:101], v[102:103], v[100:101]
	v_div_scale_f64 v[102:103], vcc, v[119:120], v[117:118], v[119:120]
	v_fma_f64 v[104:105], -v[98:99], v[100:101], 1.0
	v_fma_f64 v[100:101], v[100:101], v[104:105], v[100:101]
	v_mul_f64 v[104:105], v[102:103], v[100:101]
	v_fma_f64 v[98:99], -v[98:99], v[104:105], v[102:103]
	v_div_fmas_f64 v[98:99], v[98:99], v[100:101], v[104:105]
	v_div_fixup_f64 v[98:99], v[98:99], v[117:118], v[119:120]
	v_fma_f64 v[100:101], v[119:120], v[98:99], v[117:118]
	v_div_scale_f64 v[102:103], s[20:21], v[100:101], v[100:101], 1.0
	v_div_scale_f64 v[108:109], vcc, 1.0, v[100:101], 1.0
	v_rcp_f64_e32 v[104:105], v[102:103]
	v_fma_f64 v[106:107], -v[102:103], v[104:105], 1.0
	v_fma_f64 v[104:105], v[104:105], v[106:107], v[104:105]
	v_fma_f64 v[106:107], -v[102:103], v[104:105], 1.0
	v_fma_f64 v[104:105], v[104:105], v[106:107], v[104:105]
	v_mul_f64 v[106:107], v[108:109], v[104:105]
	v_fma_f64 v[102:103], -v[102:103], v[106:107], v[108:109]
	v_div_fmas_f64 v[102:103], v[102:103], v[104:105], v[106:107]
	v_div_fixup_f64 v[117:118], v[102:103], v[100:101], 1.0
	v_mul_f64 v[119:120], v[98:99], -v[117:118]
.LBB90_534:
	s_or_b64 exec, exec, s[18:19]
.LBB90_535:
	s_or_b64 exec, exec, s[0:1]
	v_cmp_ne_u32_e32 vcc, v96, v97
	s_and_saveexec_b64 s[0:1], vcc
	s_xor_b64 s[0:1], exec, s[0:1]
	s_cbranch_execz .LBB90_541
; %bb.536:
	v_cmp_eq_u32_e32 vcc, 25, v96
	s_and_saveexec_b64 s[18:19], vcc
	s_cbranch_execz .LBB90_540
; %bb.537:
	v_cmp_ne_u32_e32 vcc, 25, v97
	s_xor_b64 s[20:21], s[6:7], -1
	s_and_b64 s[22:23], s[20:21], vcc
	s_and_saveexec_b64 s[20:21], s[22:23]
	s_cbranch_execz .LBB90_539
; %bb.538:
	buffer_load_dword v85, off, s[24:27], 0 offset:304 ; 4-byte Folded Reload
	buffer_load_dword v86, off, s[24:27], 0 offset:308 ; 4-byte Folded Reload
	v_ashrrev_i32_e32 v98, 31, v97
	v_lshlrev_b64 v[98:99], 2, v[97:98]
	s_waitcnt vmcnt(1)
	v_add_co_u32_e32 v98, vcc, v85, v98
	s_waitcnt vmcnt(0)
	v_addc_co_u32_e32 v99, vcc, v86, v99, vcc
	global_load_dword v0, v[98:99], off
	global_load_dword v96, v[85:86], off offset:100
	s_waitcnt vmcnt(1)
	global_store_dword v[85:86], v0, off offset:100
	s_waitcnt vmcnt(1)
	global_store_dword v[98:99], v96, off
.LBB90_539:
	s_or_b64 exec, exec, s[20:21]
	v_mov_b32_e32 v96, v97
	v_mov_b32_e32 v0, v97
.LBB90_540:
	s_or_b64 exec, exec, s[18:19]
.LBB90_541:
	s_andn2_saveexec_b64 s[0:1], s[0:1]
	s_cbranch_execz .LBB90_543
; %bb.542:
	v_mov_b32_e32 v96, 25
	ds_write2_b64 v94, v[73:74], v[75:76] offset0:52 offset1:53
	ds_write2_b64 v94, v[69:70], v[71:72] offset0:54 offset1:55
	ds_write2_b64 v94, v[65:66], v[67:68] offset0:56 offset1:57
	ds_write2_b64 v94, v[61:62], v[63:64] offset0:58 offset1:59
	ds_write2_b64 v94, v[57:58], v[59:60] offset0:60 offset1:61
	ds_write2_b64 v94, v[53:54], v[55:56] offset0:62 offset1:63
	ds_write2_b64 v94, v[49:50], v[51:52] offset0:64 offset1:65
	ds_write2_b64 v94, v[45:46], v[47:48] offset0:66 offset1:67
	ds_write2_b64 v94, v[41:42], v[43:44] offset0:68 offset1:69
	ds_write2_b64 v94, v[37:38], v[39:40] offset0:70 offset1:71
	ds_write2_b64 v94, v[33:34], v[35:36] offset0:72 offset1:73
	ds_write2_b64 v94, v[29:30], v[31:32] offset0:74 offset1:75
	ds_write2_b64 v94, v[25:26], v[27:28] offset0:76 offset1:77
	ds_write2_b64 v94, v[21:22], v[23:24] offset0:78 offset1:79
	ds_write2_b64 v94, v[17:18], v[19:20] offset0:80 offset1:81
	ds_write2_b64 v94, v[13:14], v[15:16] offset0:82 offset1:83
	ds_write2_b64 v94, v[9:10], v[11:12] offset0:84 offset1:85
	ds_write2_b64 v94, v[5:6], v[7:8] offset0:86 offset1:87
	ds_write2_b64 v94, v[1:2], v[3:4] offset0:88 offset1:89
	ds_write2_b64 v94, v[121:122], v[123:124] offset0:90 offset1:91
.LBB90_543:
	s_or_b64 exec, exec, s[0:1]
	v_cmp_lt_i32_e32 vcc, 25, v96
	s_waitcnt vmcnt(0) lgkmcnt(0)
	s_barrier
	s_and_saveexec_b64 s[0:1], vcc
	s_cbranch_execz .LBB90_545
; %bb.544:
	v_mul_f64 v[97:98], v[119:120], v[79:80]
	v_mul_f64 v[79:80], v[117:118], v[79:80]
	ds_read2_b64 v[99:102], v94 offset0:52 offset1:53
	v_fma_f64 v[97:98], v[117:118], v[77:78], -v[97:98]
	v_fma_f64 v[79:80], v[119:120], v[77:78], v[79:80]
	s_waitcnt lgkmcnt(0)
	v_mul_f64 v[77:78], v[101:102], v[79:80]
	v_fma_f64 v[77:78], v[99:100], v[97:98], -v[77:78]
	v_mul_f64 v[99:100], v[99:100], v[79:80]
	v_add_f64 v[73:74], v[73:74], -v[77:78]
	v_fma_f64 v[99:100], v[101:102], v[97:98], v[99:100]
	v_add_f64 v[75:76], v[75:76], -v[99:100]
	ds_read2_b64 v[99:102], v94 offset0:54 offset1:55
	s_waitcnt lgkmcnt(0)
	v_mul_f64 v[77:78], v[101:102], v[79:80]
	v_fma_f64 v[77:78], v[99:100], v[97:98], -v[77:78]
	v_mul_f64 v[99:100], v[99:100], v[79:80]
	v_add_f64 v[69:70], v[69:70], -v[77:78]
	v_fma_f64 v[99:100], v[101:102], v[97:98], v[99:100]
	v_add_f64 v[71:72], v[71:72], -v[99:100]
	ds_read2_b64 v[99:102], v94 offset0:56 offset1:57
	;; [unrolled: 8-line block ×19, first 2 shown]
	s_waitcnt lgkmcnt(0)
	v_mul_f64 v[77:78], v[101:102], v[79:80]
	v_fma_f64 v[77:78], v[99:100], v[97:98], -v[77:78]
	v_mul_f64 v[99:100], v[99:100], v[79:80]
	v_add_f64 v[121:122], v[121:122], -v[77:78]
	v_fma_f64 v[99:100], v[101:102], v[97:98], v[99:100]
	v_mov_b32_e32 v77, v97
	v_mov_b32_e32 v78, v98
	v_add_f64 v[123:124], v[123:124], -v[99:100]
.LBB90_545:
	s_or_b64 exec, exec, s[0:1]
	v_lshl_add_u32 v97, v96, 4, v94
	s_barrier
	ds_write2_b64 v97, v[73:74], v[75:76] offset1:1
	s_waitcnt lgkmcnt(0)
	s_barrier
	ds_read2_b64 v[117:120], v94 offset0:52 offset1:53
	s_cmp_lt_i32 s3, 28
	v_mov_b32_e32 v97, 26
	s_cbranch_scc1 .LBB90_548
; %bb.546:
	v_add_u32_e32 v98, 0x1b0, v94
	s_mov_b32 s0, 27
	v_mov_b32_e32 v97, 26
.LBB90_547:                             ; =>This Inner Loop Header: Depth=1
	s_waitcnt lgkmcnt(0)
	v_cmp_gt_f64_e32 vcc, 0, v[117:118]
	v_xor_b32_e32 v103, 0x80000000, v118
	ds_read2_b64 v[99:102], v98 offset1:1
	v_xor_b32_e32 v105, 0x80000000, v120
	v_add_u32_e32 v98, 16, v98
	s_waitcnt lgkmcnt(0)
	v_xor_b32_e32 v107, 0x80000000, v102
	v_cndmask_b32_e32 v104, v118, v103, vcc
	v_cmp_gt_f64_e32 vcc, 0, v[119:120]
	v_mov_b32_e32 v103, v117
	v_cndmask_b32_e32 v106, v120, v105, vcc
	v_cmp_gt_f64_e32 vcc, 0, v[99:100]
	v_mov_b32_e32 v105, v119
	v_add_f64 v[103:104], v[103:104], v[105:106]
	v_xor_b32_e32 v105, 0x80000000, v100
	v_cndmask_b32_e32 v106, v100, v105, vcc
	v_cmp_gt_f64_e32 vcc, 0, v[101:102]
	v_mov_b32_e32 v105, v99
	v_cndmask_b32_e32 v108, v102, v107, vcc
	v_mov_b32_e32 v107, v101
	v_add_f64 v[105:106], v[105:106], v[107:108]
	v_cmp_lt_f64_e32 vcc, v[103:104], v[105:106]
	v_cndmask_b32_e32 v117, v117, v99, vcc
	v_mov_b32_e32 v99, s0
	s_add_i32 s0, s0, 1
	v_cndmask_b32_e32 v118, v118, v100, vcc
	v_cndmask_b32_e32 v120, v120, v102, vcc
	;; [unrolled: 1-line block ×4, first 2 shown]
	s_cmp_lg_u32 s3, s0
	s_cbranch_scc1 .LBB90_547
.LBB90_548:
	s_waitcnt lgkmcnt(0)
	v_cmp_eq_f64_e32 vcc, 0, v[117:118]
	v_cmp_eq_f64_e64 s[0:1], 0, v[119:120]
	s_and_b64 s[0:1], vcc, s[0:1]
	s_and_saveexec_b64 s[18:19], s[0:1]
	s_xor_b64 s[0:1], exec, s[18:19]
; %bb.549:
	v_cmp_ne_u32_e32 vcc, 0, v95
	v_cndmask_b32_e32 v95, 27, v95, vcc
; %bb.550:
	s_andn2_saveexec_b64 s[0:1], s[0:1]
	s_cbranch_execz .LBB90_556
; %bb.551:
	v_cmp_ngt_f64_e64 s[18:19], |v[117:118]|, |v[119:120]|
	s_and_saveexec_b64 s[20:21], s[18:19]
	s_xor_b64 s[18:19], exec, s[20:21]
	s_cbranch_execz .LBB90_553
; %bb.552:
	v_div_scale_f64 v[98:99], s[20:21], v[119:120], v[119:120], v[117:118]
	v_rcp_f64_e32 v[100:101], v[98:99]
	v_fma_f64 v[102:103], -v[98:99], v[100:101], 1.0
	v_fma_f64 v[100:101], v[100:101], v[102:103], v[100:101]
	v_div_scale_f64 v[102:103], vcc, v[117:118], v[119:120], v[117:118]
	v_fma_f64 v[104:105], -v[98:99], v[100:101], 1.0
	v_fma_f64 v[100:101], v[100:101], v[104:105], v[100:101]
	v_mul_f64 v[104:105], v[102:103], v[100:101]
	v_fma_f64 v[98:99], -v[98:99], v[104:105], v[102:103]
	v_div_fmas_f64 v[98:99], v[98:99], v[100:101], v[104:105]
	v_div_fixup_f64 v[98:99], v[98:99], v[119:120], v[117:118]
	v_fma_f64 v[100:101], v[117:118], v[98:99], v[119:120]
	v_div_scale_f64 v[102:103], s[20:21], v[100:101], v[100:101], 1.0
	v_div_scale_f64 v[108:109], vcc, 1.0, v[100:101], 1.0
	v_rcp_f64_e32 v[104:105], v[102:103]
	v_fma_f64 v[106:107], -v[102:103], v[104:105], 1.0
	v_fma_f64 v[104:105], v[104:105], v[106:107], v[104:105]
	v_fma_f64 v[106:107], -v[102:103], v[104:105], 1.0
	v_fma_f64 v[104:105], v[104:105], v[106:107], v[104:105]
	v_mul_f64 v[106:107], v[108:109], v[104:105]
	v_fma_f64 v[102:103], -v[102:103], v[106:107], v[108:109]
	v_div_fmas_f64 v[102:103], v[102:103], v[104:105], v[106:107]
	v_div_fixup_f64 v[119:120], v[102:103], v[100:101], 1.0
	v_mul_f64 v[117:118], v[98:99], v[119:120]
	v_xor_b32_e32 v120, 0x80000000, v120
.LBB90_553:
	s_andn2_saveexec_b64 s[18:19], s[18:19]
	s_cbranch_execz .LBB90_555
; %bb.554:
	v_div_scale_f64 v[98:99], s[20:21], v[117:118], v[117:118], v[119:120]
	v_rcp_f64_e32 v[100:101], v[98:99]
	v_fma_f64 v[102:103], -v[98:99], v[100:101], 1.0
	v_fma_f64 v[100:101], v[100:101], v[102:103], v[100:101]
	v_div_scale_f64 v[102:103], vcc, v[119:120], v[117:118], v[119:120]
	v_fma_f64 v[104:105], -v[98:99], v[100:101], 1.0
	v_fma_f64 v[100:101], v[100:101], v[104:105], v[100:101]
	v_mul_f64 v[104:105], v[102:103], v[100:101]
	v_fma_f64 v[98:99], -v[98:99], v[104:105], v[102:103]
	v_div_fmas_f64 v[98:99], v[98:99], v[100:101], v[104:105]
	v_div_fixup_f64 v[98:99], v[98:99], v[117:118], v[119:120]
	v_fma_f64 v[100:101], v[119:120], v[98:99], v[117:118]
	v_div_scale_f64 v[102:103], s[20:21], v[100:101], v[100:101], 1.0
	v_div_scale_f64 v[108:109], vcc, 1.0, v[100:101], 1.0
	v_rcp_f64_e32 v[104:105], v[102:103]
	v_fma_f64 v[106:107], -v[102:103], v[104:105], 1.0
	v_fma_f64 v[104:105], v[104:105], v[106:107], v[104:105]
	v_fma_f64 v[106:107], -v[102:103], v[104:105], 1.0
	v_fma_f64 v[104:105], v[104:105], v[106:107], v[104:105]
	v_mul_f64 v[106:107], v[108:109], v[104:105]
	v_fma_f64 v[102:103], -v[102:103], v[106:107], v[108:109]
	v_div_fmas_f64 v[102:103], v[102:103], v[104:105], v[106:107]
	v_div_fixup_f64 v[117:118], v[102:103], v[100:101], 1.0
	v_mul_f64 v[119:120], v[98:99], -v[117:118]
.LBB90_555:
	s_or_b64 exec, exec, s[18:19]
.LBB90_556:
	s_or_b64 exec, exec, s[0:1]
	v_cmp_ne_u32_e32 vcc, v96, v97
	s_and_saveexec_b64 s[0:1], vcc
	s_xor_b64 s[0:1], exec, s[0:1]
	s_cbranch_execz .LBB90_562
; %bb.557:
	v_cmp_eq_u32_e32 vcc, 26, v96
	s_and_saveexec_b64 s[18:19], vcc
	s_cbranch_execz .LBB90_561
; %bb.558:
	v_cmp_ne_u32_e32 vcc, 26, v97
	s_xor_b64 s[20:21], s[6:7], -1
	s_and_b64 s[22:23], s[20:21], vcc
	s_and_saveexec_b64 s[20:21], s[22:23]
	s_cbranch_execz .LBB90_560
; %bb.559:
	buffer_load_dword v85, off, s[24:27], 0 offset:304 ; 4-byte Folded Reload
	buffer_load_dword v86, off, s[24:27], 0 offset:308 ; 4-byte Folded Reload
	v_ashrrev_i32_e32 v98, 31, v97
	v_lshlrev_b64 v[98:99], 2, v[97:98]
	s_waitcnt vmcnt(1)
	v_add_co_u32_e32 v98, vcc, v85, v98
	s_waitcnt vmcnt(0)
	v_addc_co_u32_e32 v99, vcc, v86, v99, vcc
	global_load_dword v0, v[98:99], off
	global_load_dword v96, v[85:86], off offset:104
	s_waitcnt vmcnt(1)
	global_store_dword v[85:86], v0, off offset:104
	s_waitcnt vmcnt(1)
	global_store_dword v[98:99], v96, off
.LBB90_560:
	s_or_b64 exec, exec, s[20:21]
	v_mov_b32_e32 v96, v97
	v_mov_b32_e32 v0, v97
.LBB90_561:
	s_or_b64 exec, exec, s[18:19]
.LBB90_562:
	s_andn2_saveexec_b64 s[0:1], s[0:1]
	s_cbranch_execz .LBB90_564
; %bb.563:
	v_mov_b32_e32 v96, 26
	ds_write2_b64 v94, v[69:70], v[71:72] offset0:54 offset1:55
	ds_write2_b64 v94, v[65:66], v[67:68] offset0:56 offset1:57
	;; [unrolled: 1-line block ×19, first 2 shown]
.LBB90_564:
	s_or_b64 exec, exec, s[0:1]
	v_cmp_lt_i32_e32 vcc, 26, v96
	s_waitcnt vmcnt(0) lgkmcnt(0)
	s_barrier
	s_and_saveexec_b64 s[0:1], vcc
	s_cbranch_execz .LBB90_566
; %bb.565:
	v_mul_f64 v[97:98], v[119:120], v[75:76]
	v_mul_f64 v[75:76], v[117:118], v[75:76]
	ds_read2_b64 v[99:102], v94 offset0:54 offset1:55
	v_fma_f64 v[97:98], v[117:118], v[73:74], -v[97:98]
	v_fma_f64 v[75:76], v[119:120], v[73:74], v[75:76]
	s_waitcnt lgkmcnt(0)
	v_mul_f64 v[73:74], v[101:102], v[75:76]
	v_fma_f64 v[73:74], v[99:100], v[97:98], -v[73:74]
	v_mul_f64 v[99:100], v[99:100], v[75:76]
	v_add_f64 v[69:70], v[69:70], -v[73:74]
	v_fma_f64 v[99:100], v[101:102], v[97:98], v[99:100]
	v_add_f64 v[71:72], v[71:72], -v[99:100]
	ds_read2_b64 v[99:102], v94 offset0:56 offset1:57
	s_waitcnt lgkmcnt(0)
	v_mul_f64 v[73:74], v[101:102], v[75:76]
	v_fma_f64 v[73:74], v[99:100], v[97:98], -v[73:74]
	v_mul_f64 v[99:100], v[99:100], v[75:76]
	v_add_f64 v[65:66], v[65:66], -v[73:74]
	v_fma_f64 v[99:100], v[101:102], v[97:98], v[99:100]
	v_add_f64 v[67:68], v[67:68], -v[99:100]
	ds_read2_b64 v[99:102], v94 offset0:58 offset1:59
	s_waitcnt lgkmcnt(0)
	v_mul_f64 v[73:74], v[101:102], v[75:76]
	v_fma_f64 v[73:74], v[99:100], v[97:98], -v[73:74]
	v_mul_f64 v[99:100], v[99:100], v[75:76]
	v_add_f64 v[61:62], v[61:62], -v[73:74]
	v_fma_f64 v[99:100], v[101:102], v[97:98], v[99:100]
	v_add_f64 v[63:64], v[63:64], -v[99:100]
	ds_read2_b64 v[99:102], v94 offset0:60 offset1:61
	s_waitcnt lgkmcnt(0)
	v_mul_f64 v[73:74], v[101:102], v[75:76]
	v_fma_f64 v[73:74], v[99:100], v[97:98], -v[73:74]
	v_mul_f64 v[99:100], v[99:100], v[75:76]
	v_add_f64 v[57:58], v[57:58], -v[73:74]
	v_fma_f64 v[99:100], v[101:102], v[97:98], v[99:100]
	v_add_f64 v[59:60], v[59:60], -v[99:100]
	ds_read2_b64 v[99:102], v94 offset0:62 offset1:63
	s_waitcnt lgkmcnt(0)
	v_mul_f64 v[73:74], v[101:102], v[75:76]
	v_fma_f64 v[73:74], v[99:100], v[97:98], -v[73:74]
	v_mul_f64 v[99:100], v[99:100], v[75:76]
	v_add_f64 v[53:54], v[53:54], -v[73:74]
	v_fma_f64 v[99:100], v[101:102], v[97:98], v[99:100]
	v_add_f64 v[55:56], v[55:56], -v[99:100]
	ds_read2_b64 v[99:102], v94 offset0:64 offset1:65
	s_waitcnt lgkmcnt(0)
	v_mul_f64 v[73:74], v[101:102], v[75:76]
	v_fma_f64 v[73:74], v[99:100], v[97:98], -v[73:74]
	v_mul_f64 v[99:100], v[99:100], v[75:76]
	v_add_f64 v[49:50], v[49:50], -v[73:74]
	v_fma_f64 v[99:100], v[101:102], v[97:98], v[99:100]
	v_add_f64 v[51:52], v[51:52], -v[99:100]
	ds_read2_b64 v[99:102], v94 offset0:66 offset1:67
	s_waitcnt lgkmcnt(0)
	v_mul_f64 v[73:74], v[101:102], v[75:76]
	v_fma_f64 v[73:74], v[99:100], v[97:98], -v[73:74]
	v_mul_f64 v[99:100], v[99:100], v[75:76]
	v_add_f64 v[45:46], v[45:46], -v[73:74]
	v_fma_f64 v[99:100], v[101:102], v[97:98], v[99:100]
	v_add_f64 v[47:48], v[47:48], -v[99:100]
	ds_read2_b64 v[99:102], v94 offset0:68 offset1:69
	s_waitcnt lgkmcnt(0)
	v_mul_f64 v[73:74], v[101:102], v[75:76]
	v_fma_f64 v[73:74], v[99:100], v[97:98], -v[73:74]
	v_mul_f64 v[99:100], v[99:100], v[75:76]
	v_add_f64 v[41:42], v[41:42], -v[73:74]
	v_fma_f64 v[99:100], v[101:102], v[97:98], v[99:100]
	v_add_f64 v[43:44], v[43:44], -v[99:100]
	ds_read2_b64 v[99:102], v94 offset0:70 offset1:71
	s_waitcnt lgkmcnt(0)
	v_mul_f64 v[73:74], v[101:102], v[75:76]
	v_fma_f64 v[73:74], v[99:100], v[97:98], -v[73:74]
	v_mul_f64 v[99:100], v[99:100], v[75:76]
	v_add_f64 v[37:38], v[37:38], -v[73:74]
	v_fma_f64 v[99:100], v[101:102], v[97:98], v[99:100]
	v_add_f64 v[39:40], v[39:40], -v[99:100]
	ds_read2_b64 v[99:102], v94 offset0:72 offset1:73
	s_waitcnt lgkmcnt(0)
	v_mul_f64 v[73:74], v[101:102], v[75:76]
	v_fma_f64 v[73:74], v[99:100], v[97:98], -v[73:74]
	v_mul_f64 v[99:100], v[99:100], v[75:76]
	v_add_f64 v[33:34], v[33:34], -v[73:74]
	v_fma_f64 v[99:100], v[101:102], v[97:98], v[99:100]
	v_add_f64 v[35:36], v[35:36], -v[99:100]
	ds_read2_b64 v[99:102], v94 offset0:74 offset1:75
	s_waitcnt lgkmcnt(0)
	v_mul_f64 v[73:74], v[101:102], v[75:76]
	v_fma_f64 v[73:74], v[99:100], v[97:98], -v[73:74]
	v_mul_f64 v[99:100], v[99:100], v[75:76]
	v_add_f64 v[29:30], v[29:30], -v[73:74]
	v_fma_f64 v[99:100], v[101:102], v[97:98], v[99:100]
	v_add_f64 v[31:32], v[31:32], -v[99:100]
	ds_read2_b64 v[99:102], v94 offset0:76 offset1:77
	s_waitcnt lgkmcnt(0)
	v_mul_f64 v[73:74], v[101:102], v[75:76]
	v_fma_f64 v[73:74], v[99:100], v[97:98], -v[73:74]
	v_mul_f64 v[99:100], v[99:100], v[75:76]
	v_add_f64 v[25:26], v[25:26], -v[73:74]
	v_fma_f64 v[99:100], v[101:102], v[97:98], v[99:100]
	v_add_f64 v[27:28], v[27:28], -v[99:100]
	ds_read2_b64 v[99:102], v94 offset0:78 offset1:79
	s_waitcnt lgkmcnt(0)
	v_mul_f64 v[73:74], v[101:102], v[75:76]
	v_fma_f64 v[73:74], v[99:100], v[97:98], -v[73:74]
	v_mul_f64 v[99:100], v[99:100], v[75:76]
	v_add_f64 v[21:22], v[21:22], -v[73:74]
	v_fma_f64 v[99:100], v[101:102], v[97:98], v[99:100]
	v_add_f64 v[23:24], v[23:24], -v[99:100]
	ds_read2_b64 v[99:102], v94 offset0:80 offset1:81
	s_waitcnt lgkmcnt(0)
	v_mul_f64 v[73:74], v[101:102], v[75:76]
	v_fma_f64 v[73:74], v[99:100], v[97:98], -v[73:74]
	v_mul_f64 v[99:100], v[99:100], v[75:76]
	v_add_f64 v[17:18], v[17:18], -v[73:74]
	v_fma_f64 v[99:100], v[101:102], v[97:98], v[99:100]
	v_add_f64 v[19:20], v[19:20], -v[99:100]
	ds_read2_b64 v[99:102], v94 offset0:82 offset1:83
	s_waitcnt lgkmcnt(0)
	v_mul_f64 v[73:74], v[101:102], v[75:76]
	v_fma_f64 v[73:74], v[99:100], v[97:98], -v[73:74]
	v_mul_f64 v[99:100], v[99:100], v[75:76]
	v_add_f64 v[13:14], v[13:14], -v[73:74]
	v_fma_f64 v[99:100], v[101:102], v[97:98], v[99:100]
	v_add_f64 v[15:16], v[15:16], -v[99:100]
	ds_read2_b64 v[99:102], v94 offset0:84 offset1:85
	s_waitcnt lgkmcnt(0)
	v_mul_f64 v[73:74], v[101:102], v[75:76]
	v_fma_f64 v[73:74], v[99:100], v[97:98], -v[73:74]
	v_mul_f64 v[99:100], v[99:100], v[75:76]
	v_add_f64 v[9:10], v[9:10], -v[73:74]
	v_fma_f64 v[99:100], v[101:102], v[97:98], v[99:100]
	v_add_f64 v[11:12], v[11:12], -v[99:100]
	ds_read2_b64 v[99:102], v94 offset0:86 offset1:87
	s_waitcnt lgkmcnt(0)
	v_mul_f64 v[73:74], v[101:102], v[75:76]
	v_fma_f64 v[73:74], v[99:100], v[97:98], -v[73:74]
	v_mul_f64 v[99:100], v[99:100], v[75:76]
	v_add_f64 v[5:6], v[5:6], -v[73:74]
	v_fma_f64 v[99:100], v[101:102], v[97:98], v[99:100]
	v_add_f64 v[7:8], v[7:8], -v[99:100]
	ds_read2_b64 v[99:102], v94 offset0:88 offset1:89
	s_waitcnt lgkmcnt(0)
	v_mul_f64 v[73:74], v[101:102], v[75:76]
	v_fma_f64 v[73:74], v[99:100], v[97:98], -v[73:74]
	v_mul_f64 v[99:100], v[99:100], v[75:76]
	v_add_f64 v[1:2], v[1:2], -v[73:74]
	v_fma_f64 v[99:100], v[101:102], v[97:98], v[99:100]
	v_add_f64 v[3:4], v[3:4], -v[99:100]
	ds_read2_b64 v[99:102], v94 offset0:90 offset1:91
	s_waitcnt lgkmcnt(0)
	v_mul_f64 v[73:74], v[101:102], v[75:76]
	v_fma_f64 v[73:74], v[99:100], v[97:98], -v[73:74]
	v_mul_f64 v[99:100], v[99:100], v[75:76]
	v_add_f64 v[121:122], v[121:122], -v[73:74]
	v_fma_f64 v[99:100], v[101:102], v[97:98], v[99:100]
	v_mov_b32_e32 v73, v97
	v_mov_b32_e32 v74, v98
	v_add_f64 v[123:124], v[123:124], -v[99:100]
.LBB90_566:
	s_or_b64 exec, exec, s[0:1]
	v_lshl_add_u32 v97, v96, 4, v94
	s_barrier
	ds_write2_b64 v97, v[69:70], v[71:72] offset1:1
	s_waitcnt lgkmcnt(0)
	s_barrier
	ds_read2_b64 v[117:120], v94 offset0:54 offset1:55
	s_cmp_lt_i32 s3, 29
	v_mov_b32_e32 v97, 27
	s_cbranch_scc1 .LBB90_569
; %bb.567:
	v_add_u32_e32 v98, 0x1c0, v94
	s_mov_b32 s0, 28
	v_mov_b32_e32 v97, 27
.LBB90_568:                             ; =>This Inner Loop Header: Depth=1
	s_waitcnt lgkmcnt(0)
	v_cmp_gt_f64_e32 vcc, 0, v[117:118]
	v_xor_b32_e32 v103, 0x80000000, v118
	ds_read2_b64 v[99:102], v98 offset1:1
	v_xor_b32_e32 v105, 0x80000000, v120
	v_add_u32_e32 v98, 16, v98
	s_waitcnt lgkmcnt(0)
	v_xor_b32_e32 v107, 0x80000000, v102
	v_cndmask_b32_e32 v104, v118, v103, vcc
	v_cmp_gt_f64_e32 vcc, 0, v[119:120]
	v_mov_b32_e32 v103, v117
	v_cndmask_b32_e32 v106, v120, v105, vcc
	v_cmp_gt_f64_e32 vcc, 0, v[99:100]
	v_mov_b32_e32 v105, v119
	v_add_f64 v[103:104], v[103:104], v[105:106]
	v_xor_b32_e32 v105, 0x80000000, v100
	v_cndmask_b32_e32 v106, v100, v105, vcc
	v_cmp_gt_f64_e32 vcc, 0, v[101:102]
	v_mov_b32_e32 v105, v99
	v_cndmask_b32_e32 v108, v102, v107, vcc
	v_mov_b32_e32 v107, v101
	v_add_f64 v[105:106], v[105:106], v[107:108]
	v_cmp_lt_f64_e32 vcc, v[103:104], v[105:106]
	v_cndmask_b32_e32 v117, v117, v99, vcc
	v_mov_b32_e32 v99, s0
	s_add_i32 s0, s0, 1
	v_cndmask_b32_e32 v118, v118, v100, vcc
	v_cndmask_b32_e32 v120, v120, v102, vcc
	;; [unrolled: 1-line block ×4, first 2 shown]
	s_cmp_lg_u32 s3, s0
	s_cbranch_scc1 .LBB90_568
.LBB90_569:
	s_waitcnt lgkmcnt(0)
	v_cmp_eq_f64_e32 vcc, 0, v[117:118]
	v_cmp_eq_f64_e64 s[0:1], 0, v[119:120]
	s_and_b64 s[0:1], vcc, s[0:1]
	s_and_saveexec_b64 s[18:19], s[0:1]
	s_xor_b64 s[0:1], exec, s[18:19]
; %bb.570:
	v_cmp_ne_u32_e32 vcc, 0, v95
	v_cndmask_b32_e32 v95, 28, v95, vcc
; %bb.571:
	s_andn2_saveexec_b64 s[0:1], s[0:1]
	s_cbranch_execz .LBB90_577
; %bb.572:
	v_cmp_ngt_f64_e64 s[18:19], |v[117:118]|, |v[119:120]|
	s_and_saveexec_b64 s[20:21], s[18:19]
	s_xor_b64 s[18:19], exec, s[20:21]
	s_cbranch_execz .LBB90_574
; %bb.573:
	v_div_scale_f64 v[98:99], s[20:21], v[119:120], v[119:120], v[117:118]
	v_rcp_f64_e32 v[100:101], v[98:99]
	v_fma_f64 v[102:103], -v[98:99], v[100:101], 1.0
	v_fma_f64 v[100:101], v[100:101], v[102:103], v[100:101]
	v_div_scale_f64 v[102:103], vcc, v[117:118], v[119:120], v[117:118]
	v_fma_f64 v[104:105], -v[98:99], v[100:101], 1.0
	v_fma_f64 v[100:101], v[100:101], v[104:105], v[100:101]
	v_mul_f64 v[104:105], v[102:103], v[100:101]
	v_fma_f64 v[98:99], -v[98:99], v[104:105], v[102:103]
	v_div_fmas_f64 v[98:99], v[98:99], v[100:101], v[104:105]
	v_div_fixup_f64 v[98:99], v[98:99], v[119:120], v[117:118]
	v_fma_f64 v[100:101], v[117:118], v[98:99], v[119:120]
	v_div_scale_f64 v[102:103], s[20:21], v[100:101], v[100:101], 1.0
	v_div_scale_f64 v[108:109], vcc, 1.0, v[100:101], 1.0
	v_rcp_f64_e32 v[104:105], v[102:103]
	v_fma_f64 v[106:107], -v[102:103], v[104:105], 1.0
	v_fma_f64 v[104:105], v[104:105], v[106:107], v[104:105]
	v_fma_f64 v[106:107], -v[102:103], v[104:105], 1.0
	v_fma_f64 v[104:105], v[104:105], v[106:107], v[104:105]
	v_mul_f64 v[106:107], v[108:109], v[104:105]
	v_fma_f64 v[102:103], -v[102:103], v[106:107], v[108:109]
	v_div_fmas_f64 v[102:103], v[102:103], v[104:105], v[106:107]
	v_div_fixup_f64 v[119:120], v[102:103], v[100:101], 1.0
	v_mul_f64 v[117:118], v[98:99], v[119:120]
	v_xor_b32_e32 v120, 0x80000000, v120
.LBB90_574:
	s_andn2_saveexec_b64 s[18:19], s[18:19]
	s_cbranch_execz .LBB90_576
; %bb.575:
	v_div_scale_f64 v[98:99], s[20:21], v[117:118], v[117:118], v[119:120]
	v_rcp_f64_e32 v[100:101], v[98:99]
	v_fma_f64 v[102:103], -v[98:99], v[100:101], 1.0
	v_fma_f64 v[100:101], v[100:101], v[102:103], v[100:101]
	v_div_scale_f64 v[102:103], vcc, v[119:120], v[117:118], v[119:120]
	v_fma_f64 v[104:105], -v[98:99], v[100:101], 1.0
	v_fma_f64 v[100:101], v[100:101], v[104:105], v[100:101]
	v_mul_f64 v[104:105], v[102:103], v[100:101]
	v_fma_f64 v[98:99], -v[98:99], v[104:105], v[102:103]
	v_div_fmas_f64 v[98:99], v[98:99], v[100:101], v[104:105]
	v_div_fixup_f64 v[98:99], v[98:99], v[117:118], v[119:120]
	v_fma_f64 v[100:101], v[119:120], v[98:99], v[117:118]
	v_div_scale_f64 v[102:103], s[20:21], v[100:101], v[100:101], 1.0
	v_div_scale_f64 v[108:109], vcc, 1.0, v[100:101], 1.0
	v_rcp_f64_e32 v[104:105], v[102:103]
	v_fma_f64 v[106:107], -v[102:103], v[104:105], 1.0
	v_fma_f64 v[104:105], v[104:105], v[106:107], v[104:105]
	v_fma_f64 v[106:107], -v[102:103], v[104:105], 1.0
	v_fma_f64 v[104:105], v[104:105], v[106:107], v[104:105]
	v_mul_f64 v[106:107], v[108:109], v[104:105]
	v_fma_f64 v[102:103], -v[102:103], v[106:107], v[108:109]
	v_div_fmas_f64 v[102:103], v[102:103], v[104:105], v[106:107]
	v_div_fixup_f64 v[117:118], v[102:103], v[100:101], 1.0
	v_mul_f64 v[119:120], v[98:99], -v[117:118]
.LBB90_576:
	s_or_b64 exec, exec, s[18:19]
.LBB90_577:
	s_or_b64 exec, exec, s[0:1]
	v_cmp_ne_u32_e32 vcc, v96, v97
	s_and_saveexec_b64 s[0:1], vcc
	s_xor_b64 s[0:1], exec, s[0:1]
	s_cbranch_execz .LBB90_583
; %bb.578:
	v_cmp_eq_u32_e32 vcc, 27, v96
	s_and_saveexec_b64 s[18:19], vcc
	s_cbranch_execz .LBB90_582
; %bb.579:
	v_cmp_ne_u32_e32 vcc, 27, v97
	s_xor_b64 s[20:21], s[6:7], -1
	s_and_b64 s[22:23], s[20:21], vcc
	s_and_saveexec_b64 s[20:21], s[22:23]
	s_cbranch_execz .LBB90_581
; %bb.580:
	buffer_load_dword v85, off, s[24:27], 0 offset:304 ; 4-byte Folded Reload
	buffer_load_dword v86, off, s[24:27], 0 offset:308 ; 4-byte Folded Reload
	v_ashrrev_i32_e32 v98, 31, v97
	v_lshlrev_b64 v[98:99], 2, v[97:98]
	s_waitcnt vmcnt(1)
	v_add_co_u32_e32 v98, vcc, v85, v98
	s_waitcnt vmcnt(0)
	v_addc_co_u32_e32 v99, vcc, v86, v99, vcc
	global_load_dword v0, v[98:99], off
	global_load_dword v96, v[85:86], off offset:108
	s_waitcnt vmcnt(1)
	global_store_dword v[85:86], v0, off offset:108
	s_waitcnt vmcnt(1)
	global_store_dword v[98:99], v96, off
.LBB90_581:
	s_or_b64 exec, exec, s[20:21]
	v_mov_b32_e32 v96, v97
	v_mov_b32_e32 v0, v97
.LBB90_582:
	s_or_b64 exec, exec, s[18:19]
.LBB90_583:
	s_andn2_saveexec_b64 s[0:1], s[0:1]
	s_cbranch_execz .LBB90_585
; %bb.584:
	v_mov_b32_e32 v96, 27
	ds_write2_b64 v94, v[65:66], v[67:68] offset0:56 offset1:57
	ds_write2_b64 v94, v[61:62], v[63:64] offset0:58 offset1:59
	;; [unrolled: 1-line block ×18, first 2 shown]
.LBB90_585:
	s_or_b64 exec, exec, s[0:1]
	v_cmp_lt_i32_e32 vcc, 27, v96
	s_waitcnt vmcnt(0) lgkmcnt(0)
	s_barrier
	s_and_saveexec_b64 s[0:1], vcc
	s_cbranch_execz .LBB90_587
; %bb.586:
	v_mul_f64 v[97:98], v[119:120], v[71:72]
	v_mul_f64 v[71:72], v[117:118], v[71:72]
	ds_read2_b64 v[99:102], v94 offset0:56 offset1:57
	v_fma_f64 v[97:98], v[117:118], v[69:70], -v[97:98]
	v_fma_f64 v[71:72], v[119:120], v[69:70], v[71:72]
	s_waitcnt lgkmcnt(0)
	v_mul_f64 v[69:70], v[101:102], v[71:72]
	v_fma_f64 v[69:70], v[99:100], v[97:98], -v[69:70]
	v_mul_f64 v[99:100], v[99:100], v[71:72]
	v_add_f64 v[65:66], v[65:66], -v[69:70]
	v_fma_f64 v[99:100], v[101:102], v[97:98], v[99:100]
	v_add_f64 v[67:68], v[67:68], -v[99:100]
	ds_read2_b64 v[99:102], v94 offset0:58 offset1:59
	s_waitcnt lgkmcnt(0)
	v_mul_f64 v[69:70], v[101:102], v[71:72]
	v_fma_f64 v[69:70], v[99:100], v[97:98], -v[69:70]
	v_mul_f64 v[99:100], v[99:100], v[71:72]
	v_add_f64 v[61:62], v[61:62], -v[69:70]
	v_fma_f64 v[99:100], v[101:102], v[97:98], v[99:100]
	v_add_f64 v[63:64], v[63:64], -v[99:100]
	ds_read2_b64 v[99:102], v94 offset0:60 offset1:61
	;; [unrolled: 8-line block ×17, first 2 shown]
	s_waitcnt lgkmcnt(0)
	v_mul_f64 v[69:70], v[101:102], v[71:72]
	v_fma_f64 v[69:70], v[99:100], v[97:98], -v[69:70]
	v_mul_f64 v[99:100], v[99:100], v[71:72]
	v_add_f64 v[121:122], v[121:122], -v[69:70]
	v_fma_f64 v[99:100], v[101:102], v[97:98], v[99:100]
	v_mov_b32_e32 v69, v97
	v_mov_b32_e32 v70, v98
	v_add_f64 v[123:124], v[123:124], -v[99:100]
.LBB90_587:
	s_or_b64 exec, exec, s[0:1]
	v_lshl_add_u32 v97, v96, 4, v94
	s_barrier
	ds_write2_b64 v97, v[65:66], v[67:68] offset1:1
	s_waitcnt lgkmcnt(0)
	s_barrier
	ds_read2_b64 v[117:120], v94 offset0:56 offset1:57
	s_cmp_lt_i32 s3, 30
	v_mov_b32_e32 v97, 28
	s_cbranch_scc1 .LBB90_590
; %bb.588:
	v_add_u32_e32 v98, 0x1d0, v94
	s_mov_b32 s0, 29
	v_mov_b32_e32 v97, 28
.LBB90_589:                             ; =>This Inner Loop Header: Depth=1
	s_waitcnt lgkmcnt(0)
	v_cmp_gt_f64_e32 vcc, 0, v[117:118]
	v_xor_b32_e32 v103, 0x80000000, v118
	ds_read2_b64 v[99:102], v98 offset1:1
	v_xor_b32_e32 v105, 0x80000000, v120
	v_add_u32_e32 v98, 16, v98
	s_waitcnt lgkmcnt(0)
	v_xor_b32_e32 v107, 0x80000000, v102
	v_cndmask_b32_e32 v104, v118, v103, vcc
	v_cmp_gt_f64_e32 vcc, 0, v[119:120]
	v_mov_b32_e32 v103, v117
	v_cndmask_b32_e32 v106, v120, v105, vcc
	v_cmp_gt_f64_e32 vcc, 0, v[99:100]
	v_mov_b32_e32 v105, v119
	v_add_f64 v[103:104], v[103:104], v[105:106]
	v_xor_b32_e32 v105, 0x80000000, v100
	v_cndmask_b32_e32 v106, v100, v105, vcc
	v_cmp_gt_f64_e32 vcc, 0, v[101:102]
	v_mov_b32_e32 v105, v99
	v_cndmask_b32_e32 v108, v102, v107, vcc
	v_mov_b32_e32 v107, v101
	v_add_f64 v[105:106], v[105:106], v[107:108]
	v_cmp_lt_f64_e32 vcc, v[103:104], v[105:106]
	v_cndmask_b32_e32 v117, v117, v99, vcc
	v_mov_b32_e32 v99, s0
	s_add_i32 s0, s0, 1
	v_cndmask_b32_e32 v118, v118, v100, vcc
	v_cndmask_b32_e32 v120, v120, v102, vcc
	v_cndmask_b32_e32 v119, v119, v101, vcc
	v_cndmask_b32_e32 v97, v97, v99, vcc
	s_cmp_lg_u32 s3, s0
	s_cbranch_scc1 .LBB90_589
.LBB90_590:
	s_waitcnt lgkmcnt(0)
	v_cmp_eq_f64_e32 vcc, 0, v[117:118]
	v_cmp_eq_f64_e64 s[0:1], 0, v[119:120]
	s_and_b64 s[0:1], vcc, s[0:1]
	s_and_saveexec_b64 s[18:19], s[0:1]
	s_xor_b64 s[0:1], exec, s[18:19]
; %bb.591:
	v_cmp_ne_u32_e32 vcc, 0, v95
	v_cndmask_b32_e32 v95, 29, v95, vcc
; %bb.592:
	s_andn2_saveexec_b64 s[0:1], s[0:1]
	s_cbranch_execz .LBB90_598
; %bb.593:
	v_cmp_ngt_f64_e64 s[18:19], |v[117:118]|, |v[119:120]|
	s_and_saveexec_b64 s[20:21], s[18:19]
	s_xor_b64 s[18:19], exec, s[20:21]
	s_cbranch_execz .LBB90_595
; %bb.594:
	v_div_scale_f64 v[98:99], s[20:21], v[119:120], v[119:120], v[117:118]
	v_rcp_f64_e32 v[100:101], v[98:99]
	v_fma_f64 v[102:103], -v[98:99], v[100:101], 1.0
	v_fma_f64 v[100:101], v[100:101], v[102:103], v[100:101]
	v_div_scale_f64 v[102:103], vcc, v[117:118], v[119:120], v[117:118]
	v_fma_f64 v[104:105], -v[98:99], v[100:101], 1.0
	v_fma_f64 v[100:101], v[100:101], v[104:105], v[100:101]
	v_mul_f64 v[104:105], v[102:103], v[100:101]
	v_fma_f64 v[98:99], -v[98:99], v[104:105], v[102:103]
	v_div_fmas_f64 v[98:99], v[98:99], v[100:101], v[104:105]
	v_div_fixup_f64 v[98:99], v[98:99], v[119:120], v[117:118]
	v_fma_f64 v[100:101], v[117:118], v[98:99], v[119:120]
	v_div_scale_f64 v[102:103], s[20:21], v[100:101], v[100:101], 1.0
	v_div_scale_f64 v[108:109], vcc, 1.0, v[100:101], 1.0
	v_rcp_f64_e32 v[104:105], v[102:103]
	v_fma_f64 v[106:107], -v[102:103], v[104:105], 1.0
	v_fma_f64 v[104:105], v[104:105], v[106:107], v[104:105]
	v_fma_f64 v[106:107], -v[102:103], v[104:105], 1.0
	v_fma_f64 v[104:105], v[104:105], v[106:107], v[104:105]
	v_mul_f64 v[106:107], v[108:109], v[104:105]
	v_fma_f64 v[102:103], -v[102:103], v[106:107], v[108:109]
	v_div_fmas_f64 v[102:103], v[102:103], v[104:105], v[106:107]
	v_div_fixup_f64 v[119:120], v[102:103], v[100:101], 1.0
	v_mul_f64 v[117:118], v[98:99], v[119:120]
	v_xor_b32_e32 v120, 0x80000000, v120
.LBB90_595:
	s_andn2_saveexec_b64 s[18:19], s[18:19]
	s_cbranch_execz .LBB90_597
; %bb.596:
	v_div_scale_f64 v[98:99], s[20:21], v[117:118], v[117:118], v[119:120]
	v_rcp_f64_e32 v[100:101], v[98:99]
	v_fma_f64 v[102:103], -v[98:99], v[100:101], 1.0
	v_fma_f64 v[100:101], v[100:101], v[102:103], v[100:101]
	v_div_scale_f64 v[102:103], vcc, v[119:120], v[117:118], v[119:120]
	v_fma_f64 v[104:105], -v[98:99], v[100:101], 1.0
	v_fma_f64 v[100:101], v[100:101], v[104:105], v[100:101]
	v_mul_f64 v[104:105], v[102:103], v[100:101]
	v_fma_f64 v[98:99], -v[98:99], v[104:105], v[102:103]
	v_div_fmas_f64 v[98:99], v[98:99], v[100:101], v[104:105]
	v_div_fixup_f64 v[98:99], v[98:99], v[117:118], v[119:120]
	v_fma_f64 v[100:101], v[119:120], v[98:99], v[117:118]
	v_div_scale_f64 v[102:103], s[20:21], v[100:101], v[100:101], 1.0
	v_div_scale_f64 v[108:109], vcc, 1.0, v[100:101], 1.0
	v_rcp_f64_e32 v[104:105], v[102:103]
	v_fma_f64 v[106:107], -v[102:103], v[104:105], 1.0
	v_fma_f64 v[104:105], v[104:105], v[106:107], v[104:105]
	v_fma_f64 v[106:107], -v[102:103], v[104:105], 1.0
	v_fma_f64 v[104:105], v[104:105], v[106:107], v[104:105]
	v_mul_f64 v[106:107], v[108:109], v[104:105]
	v_fma_f64 v[102:103], -v[102:103], v[106:107], v[108:109]
	v_div_fmas_f64 v[102:103], v[102:103], v[104:105], v[106:107]
	v_div_fixup_f64 v[117:118], v[102:103], v[100:101], 1.0
	v_mul_f64 v[119:120], v[98:99], -v[117:118]
.LBB90_597:
	s_or_b64 exec, exec, s[18:19]
.LBB90_598:
	s_or_b64 exec, exec, s[0:1]
	v_cmp_ne_u32_e32 vcc, v96, v97
	s_and_saveexec_b64 s[0:1], vcc
	s_xor_b64 s[0:1], exec, s[0:1]
	s_cbranch_execz .LBB90_604
; %bb.599:
	v_cmp_eq_u32_e32 vcc, 28, v96
	s_and_saveexec_b64 s[18:19], vcc
	s_cbranch_execz .LBB90_603
; %bb.600:
	v_cmp_ne_u32_e32 vcc, 28, v97
	s_xor_b64 s[20:21], s[6:7], -1
	s_and_b64 s[22:23], s[20:21], vcc
	s_and_saveexec_b64 s[20:21], s[22:23]
	s_cbranch_execz .LBB90_602
; %bb.601:
	buffer_load_dword v85, off, s[24:27], 0 offset:304 ; 4-byte Folded Reload
	buffer_load_dword v86, off, s[24:27], 0 offset:308 ; 4-byte Folded Reload
	v_ashrrev_i32_e32 v98, 31, v97
	v_lshlrev_b64 v[98:99], 2, v[97:98]
	s_waitcnt vmcnt(1)
	v_add_co_u32_e32 v98, vcc, v85, v98
	s_waitcnt vmcnt(0)
	v_addc_co_u32_e32 v99, vcc, v86, v99, vcc
	global_load_dword v0, v[98:99], off
	global_load_dword v96, v[85:86], off offset:112
	s_waitcnt vmcnt(1)
	global_store_dword v[85:86], v0, off offset:112
	s_waitcnt vmcnt(1)
	global_store_dword v[98:99], v96, off
.LBB90_602:
	s_or_b64 exec, exec, s[20:21]
	v_mov_b32_e32 v96, v97
	v_mov_b32_e32 v0, v97
.LBB90_603:
	s_or_b64 exec, exec, s[18:19]
.LBB90_604:
	s_andn2_saveexec_b64 s[0:1], s[0:1]
	s_cbranch_execz .LBB90_606
; %bb.605:
	v_mov_b32_e32 v96, 28
	ds_write2_b64 v94, v[61:62], v[63:64] offset0:58 offset1:59
	ds_write2_b64 v94, v[57:58], v[59:60] offset0:60 offset1:61
	;; [unrolled: 1-line block ×17, first 2 shown]
.LBB90_606:
	s_or_b64 exec, exec, s[0:1]
	v_cmp_lt_i32_e32 vcc, 28, v96
	s_waitcnt vmcnt(0) lgkmcnt(0)
	s_barrier
	s_and_saveexec_b64 s[0:1], vcc
	s_cbranch_execz .LBB90_608
; %bb.607:
	v_mul_f64 v[97:98], v[119:120], v[67:68]
	v_mul_f64 v[67:68], v[117:118], v[67:68]
	ds_read2_b64 v[99:102], v94 offset0:58 offset1:59
	v_fma_f64 v[97:98], v[117:118], v[65:66], -v[97:98]
	v_fma_f64 v[67:68], v[119:120], v[65:66], v[67:68]
	s_waitcnt lgkmcnt(0)
	v_mul_f64 v[65:66], v[101:102], v[67:68]
	v_fma_f64 v[65:66], v[99:100], v[97:98], -v[65:66]
	v_mul_f64 v[99:100], v[99:100], v[67:68]
	v_add_f64 v[61:62], v[61:62], -v[65:66]
	v_fma_f64 v[99:100], v[101:102], v[97:98], v[99:100]
	v_add_f64 v[63:64], v[63:64], -v[99:100]
	ds_read2_b64 v[99:102], v94 offset0:60 offset1:61
	s_waitcnt lgkmcnt(0)
	v_mul_f64 v[65:66], v[101:102], v[67:68]
	v_fma_f64 v[65:66], v[99:100], v[97:98], -v[65:66]
	v_mul_f64 v[99:100], v[99:100], v[67:68]
	v_add_f64 v[57:58], v[57:58], -v[65:66]
	v_fma_f64 v[99:100], v[101:102], v[97:98], v[99:100]
	v_add_f64 v[59:60], v[59:60], -v[99:100]
	ds_read2_b64 v[99:102], v94 offset0:62 offset1:63
	;; [unrolled: 8-line block ×16, first 2 shown]
	s_waitcnt lgkmcnt(0)
	v_mul_f64 v[65:66], v[101:102], v[67:68]
	v_fma_f64 v[65:66], v[99:100], v[97:98], -v[65:66]
	v_mul_f64 v[99:100], v[99:100], v[67:68]
	v_add_f64 v[121:122], v[121:122], -v[65:66]
	v_fma_f64 v[99:100], v[101:102], v[97:98], v[99:100]
	v_mov_b32_e32 v65, v97
	v_mov_b32_e32 v66, v98
	v_add_f64 v[123:124], v[123:124], -v[99:100]
.LBB90_608:
	s_or_b64 exec, exec, s[0:1]
	v_lshl_add_u32 v97, v96, 4, v94
	s_barrier
	ds_write2_b64 v97, v[61:62], v[63:64] offset1:1
	s_waitcnt lgkmcnt(0)
	s_barrier
	ds_read2_b64 v[117:120], v94 offset0:58 offset1:59
	s_cmp_lt_i32 s3, 31
	v_mov_b32_e32 v97, 29
	s_cbranch_scc1 .LBB90_611
; %bb.609:
	v_add_u32_e32 v98, 0x1e0, v94
	s_mov_b32 s0, 30
	v_mov_b32_e32 v97, 29
.LBB90_610:                             ; =>This Inner Loop Header: Depth=1
	s_waitcnt lgkmcnt(0)
	v_cmp_gt_f64_e32 vcc, 0, v[117:118]
	v_xor_b32_e32 v103, 0x80000000, v118
	ds_read2_b64 v[99:102], v98 offset1:1
	v_xor_b32_e32 v105, 0x80000000, v120
	v_add_u32_e32 v98, 16, v98
	s_waitcnt lgkmcnt(0)
	v_xor_b32_e32 v107, 0x80000000, v102
	v_cndmask_b32_e32 v104, v118, v103, vcc
	v_cmp_gt_f64_e32 vcc, 0, v[119:120]
	v_mov_b32_e32 v103, v117
	v_cndmask_b32_e32 v106, v120, v105, vcc
	v_cmp_gt_f64_e32 vcc, 0, v[99:100]
	v_mov_b32_e32 v105, v119
	v_add_f64 v[103:104], v[103:104], v[105:106]
	v_xor_b32_e32 v105, 0x80000000, v100
	v_cndmask_b32_e32 v106, v100, v105, vcc
	v_cmp_gt_f64_e32 vcc, 0, v[101:102]
	v_mov_b32_e32 v105, v99
	v_cndmask_b32_e32 v108, v102, v107, vcc
	v_mov_b32_e32 v107, v101
	v_add_f64 v[105:106], v[105:106], v[107:108]
	v_cmp_lt_f64_e32 vcc, v[103:104], v[105:106]
	v_cndmask_b32_e32 v117, v117, v99, vcc
	v_mov_b32_e32 v99, s0
	s_add_i32 s0, s0, 1
	v_cndmask_b32_e32 v118, v118, v100, vcc
	v_cndmask_b32_e32 v120, v120, v102, vcc
	;; [unrolled: 1-line block ×4, first 2 shown]
	s_cmp_lg_u32 s3, s0
	s_cbranch_scc1 .LBB90_610
.LBB90_611:
	s_waitcnt lgkmcnt(0)
	v_cmp_eq_f64_e32 vcc, 0, v[117:118]
	v_cmp_eq_f64_e64 s[0:1], 0, v[119:120]
	s_and_b64 s[0:1], vcc, s[0:1]
	s_and_saveexec_b64 s[18:19], s[0:1]
	s_xor_b64 s[0:1], exec, s[18:19]
; %bb.612:
	v_cmp_ne_u32_e32 vcc, 0, v95
	v_cndmask_b32_e32 v95, 30, v95, vcc
; %bb.613:
	s_andn2_saveexec_b64 s[0:1], s[0:1]
	s_cbranch_execz .LBB90_619
; %bb.614:
	v_cmp_ngt_f64_e64 s[18:19], |v[117:118]|, |v[119:120]|
	s_and_saveexec_b64 s[20:21], s[18:19]
	s_xor_b64 s[18:19], exec, s[20:21]
	s_cbranch_execz .LBB90_616
; %bb.615:
	v_div_scale_f64 v[98:99], s[20:21], v[119:120], v[119:120], v[117:118]
	v_rcp_f64_e32 v[100:101], v[98:99]
	v_fma_f64 v[102:103], -v[98:99], v[100:101], 1.0
	v_fma_f64 v[100:101], v[100:101], v[102:103], v[100:101]
	v_div_scale_f64 v[102:103], vcc, v[117:118], v[119:120], v[117:118]
	v_fma_f64 v[104:105], -v[98:99], v[100:101], 1.0
	v_fma_f64 v[100:101], v[100:101], v[104:105], v[100:101]
	v_mul_f64 v[104:105], v[102:103], v[100:101]
	v_fma_f64 v[98:99], -v[98:99], v[104:105], v[102:103]
	v_div_fmas_f64 v[98:99], v[98:99], v[100:101], v[104:105]
	v_div_fixup_f64 v[98:99], v[98:99], v[119:120], v[117:118]
	v_fma_f64 v[100:101], v[117:118], v[98:99], v[119:120]
	v_div_scale_f64 v[102:103], s[20:21], v[100:101], v[100:101], 1.0
	v_div_scale_f64 v[108:109], vcc, 1.0, v[100:101], 1.0
	v_rcp_f64_e32 v[104:105], v[102:103]
	v_fma_f64 v[106:107], -v[102:103], v[104:105], 1.0
	v_fma_f64 v[104:105], v[104:105], v[106:107], v[104:105]
	v_fma_f64 v[106:107], -v[102:103], v[104:105], 1.0
	v_fma_f64 v[104:105], v[104:105], v[106:107], v[104:105]
	v_mul_f64 v[106:107], v[108:109], v[104:105]
	v_fma_f64 v[102:103], -v[102:103], v[106:107], v[108:109]
	v_div_fmas_f64 v[102:103], v[102:103], v[104:105], v[106:107]
	v_div_fixup_f64 v[119:120], v[102:103], v[100:101], 1.0
	v_mul_f64 v[117:118], v[98:99], v[119:120]
	v_xor_b32_e32 v120, 0x80000000, v120
.LBB90_616:
	s_andn2_saveexec_b64 s[18:19], s[18:19]
	s_cbranch_execz .LBB90_618
; %bb.617:
	v_div_scale_f64 v[98:99], s[20:21], v[117:118], v[117:118], v[119:120]
	v_rcp_f64_e32 v[100:101], v[98:99]
	v_fma_f64 v[102:103], -v[98:99], v[100:101], 1.0
	v_fma_f64 v[100:101], v[100:101], v[102:103], v[100:101]
	v_div_scale_f64 v[102:103], vcc, v[119:120], v[117:118], v[119:120]
	v_fma_f64 v[104:105], -v[98:99], v[100:101], 1.0
	v_fma_f64 v[100:101], v[100:101], v[104:105], v[100:101]
	v_mul_f64 v[104:105], v[102:103], v[100:101]
	v_fma_f64 v[98:99], -v[98:99], v[104:105], v[102:103]
	v_div_fmas_f64 v[98:99], v[98:99], v[100:101], v[104:105]
	v_div_fixup_f64 v[98:99], v[98:99], v[117:118], v[119:120]
	v_fma_f64 v[100:101], v[119:120], v[98:99], v[117:118]
	v_div_scale_f64 v[102:103], s[20:21], v[100:101], v[100:101], 1.0
	v_div_scale_f64 v[108:109], vcc, 1.0, v[100:101], 1.0
	v_rcp_f64_e32 v[104:105], v[102:103]
	v_fma_f64 v[106:107], -v[102:103], v[104:105], 1.0
	v_fma_f64 v[104:105], v[104:105], v[106:107], v[104:105]
	v_fma_f64 v[106:107], -v[102:103], v[104:105], 1.0
	v_fma_f64 v[104:105], v[104:105], v[106:107], v[104:105]
	v_mul_f64 v[106:107], v[108:109], v[104:105]
	v_fma_f64 v[102:103], -v[102:103], v[106:107], v[108:109]
	v_div_fmas_f64 v[102:103], v[102:103], v[104:105], v[106:107]
	v_div_fixup_f64 v[117:118], v[102:103], v[100:101], 1.0
	v_mul_f64 v[119:120], v[98:99], -v[117:118]
.LBB90_618:
	s_or_b64 exec, exec, s[18:19]
.LBB90_619:
	s_or_b64 exec, exec, s[0:1]
	v_cmp_ne_u32_e32 vcc, v96, v97
	s_and_saveexec_b64 s[0:1], vcc
	s_xor_b64 s[0:1], exec, s[0:1]
	s_cbranch_execz .LBB90_625
; %bb.620:
	v_cmp_eq_u32_e32 vcc, 29, v96
	s_and_saveexec_b64 s[18:19], vcc
	s_cbranch_execz .LBB90_624
; %bb.621:
	v_cmp_ne_u32_e32 vcc, 29, v97
	s_xor_b64 s[20:21], s[6:7], -1
	s_and_b64 s[22:23], s[20:21], vcc
	s_and_saveexec_b64 s[20:21], s[22:23]
	s_cbranch_execz .LBB90_623
; %bb.622:
	buffer_load_dword v85, off, s[24:27], 0 offset:304 ; 4-byte Folded Reload
	buffer_load_dword v86, off, s[24:27], 0 offset:308 ; 4-byte Folded Reload
	v_ashrrev_i32_e32 v98, 31, v97
	v_lshlrev_b64 v[98:99], 2, v[97:98]
	s_waitcnt vmcnt(1)
	v_add_co_u32_e32 v98, vcc, v85, v98
	s_waitcnt vmcnt(0)
	v_addc_co_u32_e32 v99, vcc, v86, v99, vcc
	global_load_dword v0, v[98:99], off
	global_load_dword v96, v[85:86], off offset:116
	s_waitcnt vmcnt(1)
	global_store_dword v[85:86], v0, off offset:116
	s_waitcnt vmcnt(1)
	global_store_dword v[98:99], v96, off
.LBB90_623:
	s_or_b64 exec, exec, s[20:21]
	v_mov_b32_e32 v96, v97
	v_mov_b32_e32 v0, v97
.LBB90_624:
	s_or_b64 exec, exec, s[18:19]
.LBB90_625:
	s_andn2_saveexec_b64 s[0:1], s[0:1]
	s_cbranch_execz .LBB90_627
; %bb.626:
	v_mov_b32_e32 v96, 29
	ds_write2_b64 v94, v[57:58], v[59:60] offset0:60 offset1:61
	ds_write2_b64 v94, v[53:54], v[55:56] offset0:62 offset1:63
	;; [unrolled: 1-line block ×16, first 2 shown]
.LBB90_627:
	s_or_b64 exec, exec, s[0:1]
	v_cmp_lt_i32_e32 vcc, 29, v96
	s_waitcnt vmcnt(0) lgkmcnt(0)
	s_barrier
	s_and_saveexec_b64 s[0:1], vcc
	s_cbranch_execz .LBB90_629
; %bb.628:
	v_mul_f64 v[97:98], v[117:118], v[63:64]
	v_mul_f64 v[63:64], v[119:120], v[63:64]
	ds_read2_b64 v[99:102], v94 offset0:60 offset1:61
	v_fma_f64 v[97:98], v[119:120], v[61:62], v[97:98]
	v_fma_f64 v[61:62], v[117:118], v[61:62], -v[63:64]
	s_waitcnt lgkmcnt(0)
	v_mul_f64 v[63:64], v[101:102], v[97:98]
	v_fma_f64 v[63:64], v[99:100], v[61:62], -v[63:64]
	v_mul_f64 v[99:100], v[99:100], v[97:98]
	v_add_f64 v[57:58], v[57:58], -v[63:64]
	v_fma_f64 v[99:100], v[101:102], v[61:62], v[99:100]
	v_add_f64 v[59:60], v[59:60], -v[99:100]
	ds_read2_b64 v[99:102], v94 offset0:62 offset1:63
	s_waitcnt lgkmcnt(0)
	v_mul_f64 v[63:64], v[101:102], v[97:98]
	v_fma_f64 v[63:64], v[99:100], v[61:62], -v[63:64]
	v_mul_f64 v[99:100], v[99:100], v[97:98]
	v_add_f64 v[53:54], v[53:54], -v[63:64]
	v_fma_f64 v[99:100], v[101:102], v[61:62], v[99:100]
	v_add_f64 v[55:56], v[55:56], -v[99:100]
	ds_read2_b64 v[99:102], v94 offset0:64 offset1:65
	;; [unrolled: 8-line block ×15, first 2 shown]
	s_waitcnt lgkmcnt(0)
	v_mul_f64 v[63:64], v[101:102], v[97:98]
	v_fma_f64 v[63:64], v[99:100], v[61:62], -v[63:64]
	v_mul_f64 v[99:100], v[99:100], v[97:98]
	v_add_f64 v[121:122], v[121:122], -v[63:64]
	v_fma_f64 v[99:100], v[101:102], v[61:62], v[99:100]
	v_mov_b32_e32 v63, v97
	v_mov_b32_e32 v64, v98
	v_add_f64 v[123:124], v[123:124], -v[99:100]
.LBB90_629:
	s_or_b64 exec, exec, s[0:1]
	v_lshl_add_u32 v97, v96, 4, v94
	s_barrier
	ds_write2_b64 v97, v[57:58], v[59:60] offset1:1
	s_waitcnt lgkmcnt(0)
	s_barrier
	ds_read2_b64 v[117:120], v94 offset0:60 offset1:61
	s_cmp_lt_i32 s3, 32
	v_mov_b32_e32 v97, 30
	s_cbranch_scc1 .LBB90_632
; %bb.630:
	v_add_u32_e32 v98, 0x1f0, v94
	s_mov_b32 s0, 31
	v_mov_b32_e32 v97, 30
.LBB90_631:                             ; =>This Inner Loop Header: Depth=1
	s_waitcnt lgkmcnt(0)
	v_cmp_gt_f64_e32 vcc, 0, v[117:118]
	v_xor_b32_e32 v103, 0x80000000, v118
	ds_read2_b64 v[99:102], v98 offset1:1
	v_xor_b32_e32 v105, 0x80000000, v120
	v_add_u32_e32 v98, 16, v98
	s_waitcnt lgkmcnt(0)
	v_xor_b32_e32 v107, 0x80000000, v102
	v_cndmask_b32_e32 v104, v118, v103, vcc
	v_cmp_gt_f64_e32 vcc, 0, v[119:120]
	v_mov_b32_e32 v103, v117
	v_cndmask_b32_e32 v106, v120, v105, vcc
	v_cmp_gt_f64_e32 vcc, 0, v[99:100]
	v_mov_b32_e32 v105, v119
	v_add_f64 v[103:104], v[103:104], v[105:106]
	v_xor_b32_e32 v105, 0x80000000, v100
	v_cndmask_b32_e32 v106, v100, v105, vcc
	v_cmp_gt_f64_e32 vcc, 0, v[101:102]
	v_mov_b32_e32 v105, v99
	v_cndmask_b32_e32 v108, v102, v107, vcc
	v_mov_b32_e32 v107, v101
	v_add_f64 v[105:106], v[105:106], v[107:108]
	v_cmp_lt_f64_e32 vcc, v[103:104], v[105:106]
	v_cndmask_b32_e32 v117, v117, v99, vcc
	v_mov_b32_e32 v99, s0
	s_add_i32 s0, s0, 1
	v_cndmask_b32_e32 v118, v118, v100, vcc
	v_cndmask_b32_e32 v120, v120, v102, vcc
	;; [unrolled: 1-line block ×4, first 2 shown]
	s_cmp_lg_u32 s3, s0
	s_cbranch_scc1 .LBB90_631
.LBB90_632:
	s_waitcnt lgkmcnt(0)
	v_cmp_eq_f64_e32 vcc, 0, v[117:118]
	v_cmp_eq_f64_e64 s[0:1], 0, v[119:120]
	s_and_b64 s[0:1], vcc, s[0:1]
	s_and_saveexec_b64 s[18:19], s[0:1]
	s_xor_b64 s[0:1], exec, s[18:19]
; %bb.633:
	v_cmp_ne_u32_e32 vcc, 0, v95
	v_cndmask_b32_e32 v95, 31, v95, vcc
; %bb.634:
	s_andn2_saveexec_b64 s[0:1], s[0:1]
	s_cbranch_execz .LBB90_640
; %bb.635:
	v_cmp_ngt_f64_e64 s[18:19], |v[117:118]|, |v[119:120]|
	s_and_saveexec_b64 s[20:21], s[18:19]
	s_xor_b64 s[18:19], exec, s[20:21]
	s_cbranch_execz .LBB90_637
; %bb.636:
	v_div_scale_f64 v[98:99], s[20:21], v[119:120], v[119:120], v[117:118]
	v_rcp_f64_e32 v[100:101], v[98:99]
	v_fma_f64 v[102:103], -v[98:99], v[100:101], 1.0
	v_fma_f64 v[100:101], v[100:101], v[102:103], v[100:101]
	v_div_scale_f64 v[102:103], vcc, v[117:118], v[119:120], v[117:118]
	v_fma_f64 v[104:105], -v[98:99], v[100:101], 1.0
	v_fma_f64 v[100:101], v[100:101], v[104:105], v[100:101]
	v_mul_f64 v[104:105], v[102:103], v[100:101]
	v_fma_f64 v[98:99], -v[98:99], v[104:105], v[102:103]
	v_div_fmas_f64 v[98:99], v[98:99], v[100:101], v[104:105]
	v_div_fixup_f64 v[98:99], v[98:99], v[119:120], v[117:118]
	v_fma_f64 v[100:101], v[117:118], v[98:99], v[119:120]
	v_div_scale_f64 v[102:103], s[20:21], v[100:101], v[100:101], 1.0
	v_div_scale_f64 v[108:109], vcc, 1.0, v[100:101], 1.0
	v_rcp_f64_e32 v[104:105], v[102:103]
	v_fma_f64 v[106:107], -v[102:103], v[104:105], 1.0
	v_fma_f64 v[104:105], v[104:105], v[106:107], v[104:105]
	v_fma_f64 v[106:107], -v[102:103], v[104:105], 1.0
	v_fma_f64 v[104:105], v[104:105], v[106:107], v[104:105]
	v_mul_f64 v[106:107], v[108:109], v[104:105]
	v_fma_f64 v[102:103], -v[102:103], v[106:107], v[108:109]
	v_div_fmas_f64 v[102:103], v[102:103], v[104:105], v[106:107]
	v_div_fixup_f64 v[119:120], v[102:103], v[100:101], 1.0
	v_mul_f64 v[117:118], v[98:99], v[119:120]
	v_xor_b32_e32 v120, 0x80000000, v120
.LBB90_637:
	s_andn2_saveexec_b64 s[18:19], s[18:19]
	s_cbranch_execz .LBB90_639
; %bb.638:
	v_div_scale_f64 v[98:99], s[20:21], v[117:118], v[117:118], v[119:120]
	v_rcp_f64_e32 v[100:101], v[98:99]
	v_fma_f64 v[102:103], -v[98:99], v[100:101], 1.0
	v_fma_f64 v[100:101], v[100:101], v[102:103], v[100:101]
	v_div_scale_f64 v[102:103], vcc, v[119:120], v[117:118], v[119:120]
	v_fma_f64 v[104:105], -v[98:99], v[100:101], 1.0
	v_fma_f64 v[100:101], v[100:101], v[104:105], v[100:101]
	v_mul_f64 v[104:105], v[102:103], v[100:101]
	v_fma_f64 v[98:99], -v[98:99], v[104:105], v[102:103]
	v_div_fmas_f64 v[98:99], v[98:99], v[100:101], v[104:105]
	v_div_fixup_f64 v[98:99], v[98:99], v[117:118], v[119:120]
	v_fma_f64 v[100:101], v[119:120], v[98:99], v[117:118]
	v_div_scale_f64 v[102:103], s[20:21], v[100:101], v[100:101], 1.0
	v_div_scale_f64 v[108:109], vcc, 1.0, v[100:101], 1.0
	v_rcp_f64_e32 v[104:105], v[102:103]
	v_fma_f64 v[106:107], -v[102:103], v[104:105], 1.0
	v_fma_f64 v[104:105], v[104:105], v[106:107], v[104:105]
	v_fma_f64 v[106:107], -v[102:103], v[104:105], 1.0
	v_fma_f64 v[104:105], v[104:105], v[106:107], v[104:105]
	v_mul_f64 v[106:107], v[108:109], v[104:105]
	v_fma_f64 v[102:103], -v[102:103], v[106:107], v[108:109]
	v_div_fmas_f64 v[102:103], v[102:103], v[104:105], v[106:107]
	v_div_fixup_f64 v[117:118], v[102:103], v[100:101], 1.0
	v_mul_f64 v[119:120], v[98:99], -v[117:118]
.LBB90_639:
	s_or_b64 exec, exec, s[18:19]
.LBB90_640:
	s_or_b64 exec, exec, s[0:1]
	v_cmp_ne_u32_e32 vcc, v96, v97
	s_and_saveexec_b64 s[0:1], vcc
	s_xor_b64 s[0:1], exec, s[0:1]
	s_cbranch_execz .LBB90_646
; %bb.641:
	v_cmp_eq_u32_e32 vcc, 30, v96
	s_and_saveexec_b64 s[18:19], vcc
	s_cbranch_execz .LBB90_645
; %bb.642:
	v_cmp_ne_u32_e32 vcc, 30, v97
	s_xor_b64 s[20:21], s[6:7], -1
	s_and_b64 s[22:23], s[20:21], vcc
	s_and_saveexec_b64 s[20:21], s[22:23]
	s_cbranch_execz .LBB90_644
; %bb.643:
	buffer_load_dword v85, off, s[24:27], 0 offset:304 ; 4-byte Folded Reload
	buffer_load_dword v86, off, s[24:27], 0 offset:308 ; 4-byte Folded Reload
	v_ashrrev_i32_e32 v98, 31, v97
	v_lshlrev_b64 v[98:99], 2, v[97:98]
	s_waitcnt vmcnt(1)
	v_add_co_u32_e32 v98, vcc, v85, v98
	s_waitcnt vmcnt(0)
	v_addc_co_u32_e32 v99, vcc, v86, v99, vcc
	global_load_dword v0, v[98:99], off
	global_load_dword v96, v[85:86], off offset:120
	s_waitcnt vmcnt(1)
	global_store_dword v[85:86], v0, off offset:120
	s_waitcnt vmcnt(1)
	global_store_dword v[98:99], v96, off
.LBB90_644:
	s_or_b64 exec, exec, s[20:21]
	v_mov_b32_e32 v96, v97
	v_mov_b32_e32 v0, v97
.LBB90_645:
	s_or_b64 exec, exec, s[18:19]
.LBB90_646:
	s_andn2_saveexec_b64 s[0:1], s[0:1]
	s_cbranch_execz .LBB90_648
; %bb.647:
	v_mov_b32_e32 v96, 30
	ds_write2_b64 v94, v[53:54], v[55:56] offset0:62 offset1:63
	ds_write2_b64 v94, v[49:50], v[51:52] offset0:64 offset1:65
	;; [unrolled: 1-line block ×15, first 2 shown]
.LBB90_648:
	s_or_b64 exec, exec, s[0:1]
	v_cmp_lt_i32_e32 vcc, 30, v96
	s_waitcnt vmcnt(0) lgkmcnt(0)
	s_barrier
	s_and_saveexec_b64 s[0:1], vcc
	s_cbranch_execz .LBB90_650
; %bb.649:
	v_mul_f64 v[97:98], v[117:118], v[59:60]
	v_mul_f64 v[59:60], v[119:120], v[59:60]
	ds_read2_b64 v[99:102], v94 offset0:62 offset1:63
	v_fma_f64 v[97:98], v[119:120], v[57:58], v[97:98]
	v_fma_f64 v[57:58], v[117:118], v[57:58], -v[59:60]
	s_waitcnt lgkmcnt(0)
	v_mul_f64 v[59:60], v[101:102], v[97:98]
	v_fma_f64 v[59:60], v[99:100], v[57:58], -v[59:60]
	v_mul_f64 v[99:100], v[99:100], v[97:98]
	v_add_f64 v[53:54], v[53:54], -v[59:60]
	v_fma_f64 v[99:100], v[101:102], v[57:58], v[99:100]
	v_add_f64 v[55:56], v[55:56], -v[99:100]
	ds_read2_b64 v[99:102], v94 offset0:64 offset1:65
	s_waitcnt lgkmcnt(0)
	v_mul_f64 v[59:60], v[101:102], v[97:98]
	v_fma_f64 v[59:60], v[99:100], v[57:58], -v[59:60]
	v_mul_f64 v[99:100], v[99:100], v[97:98]
	v_add_f64 v[49:50], v[49:50], -v[59:60]
	v_fma_f64 v[99:100], v[101:102], v[57:58], v[99:100]
	v_add_f64 v[51:52], v[51:52], -v[99:100]
	ds_read2_b64 v[99:102], v94 offset0:66 offset1:67
	;; [unrolled: 8-line block ×14, first 2 shown]
	s_waitcnt lgkmcnt(0)
	v_mul_f64 v[59:60], v[101:102], v[97:98]
	v_fma_f64 v[59:60], v[99:100], v[57:58], -v[59:60]
	v_mul_f64 v[99:100], v[99:100], v[97:98]
	v_add_f64 v[121:122], v[121:122], -v[59:60]
	v_fma_f64 v[99:100], v[101:102], v[57:58], v[99:100]
	v_mov_b32_e32 v59, v97
	v_mov_b32_e32 v60, v98
	v_add_f64 v[123:124], v[123:124], -v[99:100]
.LBB90_650:
	s_or_b64 exec, exec, s[0:1]
	v_lshl_add_u32 v97, v96, 4, v94
	s_barrier
	ds_write2_b64 v97, v[53:54], v[55:56] offset1:1
	s_waitcnt lgkmcnt(0)
	s_barrier
	ds_read2_b64 v[117:120], v94 offset0:62 offset1:63
	s_cmp_lt_i32 s3, 33
	v_mov_b32_e32 v97, 31
	s_cbranch_scc1 .LBB90_653
; %bb.651:
	v_add_u32_e32 v98, 0x200, v94
	s_mov_b32 s0, 32
	v_mov_b32_e32 v97, 31
.LBB90_652:                             ; =>This Inner Loop Header: Depth=1
	s_waitcnt lgkmcnt(0)
	v_cmp_gt_f64_e32 vcc, 0, v[117:118]
	v_xor_b32_e32 v103, 0x80000000, v118
	ds_read2_b64 v[99:102], v98 offset1:1
	v_xor_b32_e32 v105, 0x80000000, v120
	v_add_u32_e32 v98, 16, v98
	s_waitcnt lgkmcnt(0)
	v_xor_b32_e32 v107, 0x80000000, v102
	v_cndmask_b32_e32 v104, v118, v103, vcc
	v_cmp_gt_f64_e32 vcc, 0, v[119:120]
	v_mov_b32_e32 v103, v117
	v_cndmask_b32_e32 v106, v120, v105, vcc
	v_cmp_gt_f64_e32 vcc, 0, v[99:100]
	v_mov_b32_e32 v105, v119
	v_add_f64 v[103:104], v[103:104], v[105:106]
	v_xor_b32_e32 v105, 0x80000000, v100
	v_cndmask_b32_e32 v106, v100, v105, vcc
	v_cmp_gt_f64_e32 vcc, 0, v[101:102]
	v_mov_b32_e32 v105, v99
	v_cndmask_b32_e32 v108, v102, v107, vcc
	v_mov_b32_e32 v107, v101
	v_add_f64 v[105:106], v[105:106], v[107:108]
	v_cmp_lt_f64_e32 vcc, v[103:104], v[105:106]
	v_cndmask_b32_e32 v117, v117, v99, vcc
	v_mov_b32_e32 v99, s0
	s_add_i32 s0, s0, 1
	v_cndmask_b32_e32 v118, v118, v100, vcc
	v_cndmask_b32_e32 v120, v120, v102, vcc
	v_cndmask_b32_e32 v119, v119, v101, vcc
	v_cndmask_b32_e32 v97, v97, v99, vcc
	s_cmp_lg_u32 s3, s0
	s_cbranch_scc1 .LBB90_652
.LBB90_653:
	s_waitcnt lgkmcnt(0)
	v_cmp_eq_f64_e32 vcc, 0, v[117:118]
	v_cmp_eq_f64_e64 s[0:1], 0, v[119:120]
	s_and_b64 s[0:1], vcc, s[0:1]
	s_and_saveexec_b64 s[18:19], s[0:1]
	s_xor_b64 s[0:1], exec, s[18:19]
; %bb.654:
	v_cmp_ne_u32_e32 vcc, 0, v95
	v_cndmask_b32_e32 v95, 32, v95, vcc
; %bb.655:
	s_andn2_saveexec_b64 s[0:1], s[0:1]
	s_cbranch_execz .LBB90_661
; %bb.656:
	v_cmp_ngt_f64_e64 s[18:19], |v[117:118]|, |v[119:120]|
	s_and_saveexec_b64 s[20:21], s[18:19]
	s_xor_b64 s[18:19], exec, s[20:21]
	s_cbranch_execz .LBB90_658
; %bb.657:
	v_div_scale_f64 v[98:99], s[20:21], v[119:120], v[119:120], v[117:118]
	v_rcp_f64_e32 v[100:101], v[98:99]
	v_fma_f64 v[102:103], -v[98:99], v[100:101], 1.0
	v_fma_f64 v[100:101], v[100:101], v[102:103], v[100:101]
	v_div_scale_f64 v[102:103], vcc, v[117:118], v[119:120], v[117:118]
	v_fma_f64 v[104:105], -v[98:99], v[100:101], 1.0
	v_fma_f64 v[100:101], v[100:101], v[104:105], v[100:101]
	v_mul_f64 v[104:105], v[102:103], v[100:101]
	v_fma_f64 v[98:99], -v[98:99], v[104:105], v[102:103]
	v_div_fmas_f64 v[98:99], v[98:99], v[100:101], v[104:105]
	v_div_fixup_f64 v[98:99], v[98:99], v[119:120], v[117:118]
	v_fma_f64 v[100:101], v[117:118], v[98:99], v[119:120]
	v_div_scale_f64 v[102:103], s[20:21], v[100:101], v[100:101], 1.0
	v_div_scale_f64 v[108:109], vcc, 1.0, v[100:101], 1.0
	v_rcp_f64_e32 v[104:105], v[102:103]
	v_fma_f64 v[106:107], -v[102:103], v[104:105], 1.0
	v_fma_f64 v[104:105], v[104:105], v[106:107], v[104:105]
	v_fma_f64 v[106:107], -v[102:103], v[104:105], 1.0
	v_fma_f64 v[104:105], v[104:105], v[106:107], v[104:105]
	v_mul_f64 v[106:107], v[108:109], v[104:105]
	v_fma_f64 v[102:103], -v[102:103], v[106:107], v[108:109]
	v_div_fmas_f64 v[102:103], v[102:103], v[104:105], v[106:107]
	v_div_fixup_f64 v[119:120], v[102:103], v[100:101], 1.0
	v_mul_f64 v[117:118], v[98:99], v[119:120]
	v_xor_b32_e32 v120, 0x80000000, v120
.LBB90_658:
	s_andn2_saveexec_b64 s[18:19], s[18:19]
	s_cbranch_execz .LBB90_660
; %bb.659:
	v_div_scale_f64 v[98:99], s[20:21], v[117:118], v[117:118], v[119:120]
	v_rcp_f64_e32 v[100:101], v[98:99]
	v_fma_f64 v[102:103], -v[98:99], v[100:101], 1.0
	v_fma_f64 v[100:101], v[100:101], v[102:103], v[100:101]
	v_div_scale_f64 v[102:103], vcc, v[119:120], v[117:118], v[119:120]
	v_fma_f64 v[104:105], -v[98:99], v[100:101], 1.0
	v_fma_f64 v[100:101], v[100:101], v[104:105], v[100:101]
	v_mul_f64 v[104:105], v[102:103], v[100:101]
	v_fma_f64 v[98:99], -v[98:99], v[104:105], v[102:103]
	v_div_fmas_f64 v[98:99], v[98:99], v[100:101], v[104:105]
	v_div_fixup_f64 v[98:99], v[98:99], v[117:118], v[119:120]
	v_fma_f64 v[100:101], v[119:120], v[98:99], v[117:118]
	v_div_scale_f64 v[102:103], s[20:21], v[100:101], v[100:101], 1.0
	v_div_scale_f64 v[108:109], vcc, 1.0, v[100:101], 1.0
	v_rcp_f64_e32 v[104:105], v[102:103]
	v_fma_f64 v[106:107], -v[102:103], v[104:105], 1.0
	v_fma_f64 v[104:105], v[104:105], v[106:107], v[104:105]
	v_fma_f64 v[106:107], -v[102:103], v[104:105], 1.0
	v_fma_f64 v[104:105], v[104:105], v[106:107], v[104:105]
	v_mul_f64 v[106:107], v[108:109], v[104:105]
	v_fma_f64 v[102:103], -v[102:103], v[106:107], v[108:109]
	v_div_fmas_f64 v[102:103], v[102:103], v[104:105], v[106:107]
	v_div_fixup_f64 v[117:118], v[102:103], v[100:101], 1.0
	v_mul_f64 v[119:120], v[98:99], -v[117:118]
.LBB90_660:
	s_or_b64 exec, exec, s[18:19]
.LBB90_661:
	s_or_b64 exec, exec, s[0:1]
	v_cmp_ne_u32_e32 vcc, v96, v97
	s_and_saveexec_b64 s[0:1], vcc
	s_xor_b64 s[0:1], exec, s[0:1]
	s_cbranch_execz .LBB90_667
; %bb.662:
	v_cmp_eq_u32_e32 vcc, 31, v96
	s_and_saveexec_b64 s[18:19], vcc
	s_cbranch_execz .LBB90_666
; %bb.663:
	v_cmp_ne_u32_e32 vcc, 31, v97
	s_xor_b64 s[20:21], s[6:7], -1
	s_and_b64 s[22:23], s[20:21], vcc
	s_and_saveexec_b64 s[20:21], s[22:23]
	s_cbranch_execz .LBB90_665
; %bb.664:
	buffer_load_dword v85, off, s[24:27], 0 offset:304 ; 4-byte Folded Reload
	buffer_load_dword v86, off, s[24:27], 0 offset:308 ; 4-byte Folded Reload
	v_ashrrev_i32_e32 v98, 31, v97
	v_lshlrev_b64 v[98:99], 2, v[97:98]
	s_waitcnt vmcnt(1)
	v_add_co_u32_e32 v98, vcc, v85, v98
	s_waitcnt vmcnt(0)
	v_addc_co_u32_e32 v99, vcc, v86, v99, vcc
	global_load_dword v0, v[98:99], off
	global_load_dword v96, v[85:86], off offset:124
	s_waitcnt vmcnt(1)
	global_store_dword v[85:86], v0, off offset:124
	s_waitcnt vmcnt(1)
	global_store_dword v[98:99], v96, off
.LBB90_665:
	s_or_b64 exec, exec, s[20:21]
	v_mov_b32_e32 v96, v97
	v_mov_b32_e32 v0, v97
.LBB90_666:
	s_or_b64 exec, exec, s[18:19]
.LBB90_667:
	s_andn2_saveexec_b64 s[0:1], s[0:1]
	s_cbranch_execz .LBB90_669
; %bb.668:
	v_mov_b32_e32 v96, 31
	ds_write2_b64 v94, v[49:50], v[51:52] offset0:64 offset1:65
	ds_write2_b64 v94, v[45:46], v[47:48] offset0:66 offset1:67
	;; [unrolled: 1-line block ×14, first 2 shown]
.LBB90_669:
	s_or_b64 exec, exec, s[0:1]
	v_cmp_lt_i32_e32 vcc, 31, v96
	s_waitcnt vmcnt(0) lgkmcnt(0)
	s_barrier
	s_and_saveexec_b64 s[0:1], vcc
	s_cbranch_execz .LBB90_671
; %bb.670:
	v_mul_f64 v[97:98], v[117:118], v[55:56]
	v_mul_f64 v[55:56], v[119:120], v[55:56]
	ds_read2_b64 v[99:102], v94 offset0:64 offset1:65
	v_fma_f64 v[97:98], v[119:120], v[53:54], v[97:98]
	v_fma_f64 v[53:54], v[117:118], v[53:54], -v[55:56]
	s_waitcnt lgkmcnt(0)
	v_mul_f64 v[55:56], v[101:102], v[97:98]
	v_fma_f64 v[55:56], v[99:100], v[53:54], -v[55:56]
	v_mul_f64 v[99:100], v[99:100], v[97:98]
	v_add_f64 v[49:50], v[49:50], -v[55:56]
	v_fma_f64 v[99:100], v[101:102], v[53:54], v[99:100]
	v_add_f64 v[51:52], v[51:52], -v[99:100]
	ds_read2_b64 v[99:102], v94 offset0:66 offset1:67
	s_waitcnt lgkmcnt(0)
	v_mul_f64 v[55:56], v[101:102], v[97:98]
	v_fma_f64 v[55:56], v[99:100], v[53:54], -v[55:56]
	v_mul_f64 v[99:100], v[99:100], v[97:98]
	v_add_f64 v[45:46], v[45:46], -v[55:56]
	v_fma_f64 v[99:100], v[101:102], v[53:54], v[99:100]
	v_add_f64 v[47:48], v[47:48], -v[99:100]
	ds_read2_b64 v[99:102], v94 offset0:68 offset1:69
	;; [unrolled: 8-line block ×13, first 2 shown]
	s_waitcnt lgkmcnt(0)
	v_mul_f64 v[55:56], v[101:102], v[97:98]
	v_fma_f64 v[55:56], v[99:100], v[53:54], -v[55:56]
	v_mul_f64 v[99:100], v[99:100], v[97:98]
	v_add_f64 v[121:122], v[121:122], -v[55:56]
	v_fma_f64 v[99:100], v[101:102], v[53:54], v[99:100]
	v_mov_b32_e32 v55, v97
	v_mov_b32_e32 v56, v98
	v_add_f64 v[123:124], v[123:124], -v[99:100]
.LBB90_671:
	s_or_b64 exec, exec, s[0:1]
	v_lshl_add_u32 v97, v96, 4, v94
	s_barrier
	ds_write2_b64 v97, v[49:50], v[51:52] offset1:1
	s_waitcnt lgkmcnt(0)
	s_barrier
	ds_read2_b64 v[117:120], v94 offset0:64 offset1:65
	s_cmp_lt_i32 s3, 34
	v_mov_b32_e32 v97, 32
	s_cbranch_scc1 .LBB90_674
; %bb.672:
	v_add_u32_e32 v98, 0x210, v94
	s_mov_b32 s0, 33
	v_mov_b32_e32 v97, 32
.LBB90_673:                             ; =>This Inner Loop Header: Depth=1
	s_waitcnt lgkmcnt(0)
	v_cmp_gt_f64_e32 vcc, 0, v[117:118]
	v_xor_b32_e32 v103, 0x80000000, v118
	ds_read2_b64 v[99:102], v98 offset1:1
	v_xor_b32_e32 v105, 0x80000000, v120
	v_add_u32_e32 v98, 16, v98
	s_waitcnt lgkmcnt(0)
	v_xor_b32_e32 v107, 0x80000000, v102
	v_cndmask_b32_e32 v104, v118, v103, vcc
	v_cmp_gt_f64_e32 vcc, 0, v[119:120]
	v_mov_b32_e32 v103, v117
	v_cndmask_b32_e32 v106, v120, v105, vcc
	v_cmp_gt_f64_e32 vcc, 0, v[99:100]
	v_mov_b32_e32 v105, v119
	v_add_f64 v[103:104], v[103:104], v[105:106]
	v_xor_b32_e32 v105, 0x80000000, v100
	v_cndmask_b32_e32 v106, v100, v105, vcc
	v_cmp_gt_f64_e32 vcc, 0, v[101:102]
	v_mov_b32_e32 v105, v99
	v_cndmask_b32_e32 v108, v102, v107, vcc
	v_mov_b32_e32 v107, v101
	v_add_f64 v[105:106], v[105:106], v[107:108]
	v_cmp_lt_f64_e32 vcc, v[103:104], v[105:106]
	v_cndmask_b32_e32 v117, v117, v99, vcc
	v_mov_b32_e32 v99, s0
	s_add_i32 s0, s0, 1
	v_cndmask_b32_e32 v118, v118, v100, vcc
	v_cndmask_b32_e32 v120, v120, v102, vcc
	;; [unrolled: 1-line block ×4, first 2 shown]
	s_cmp_lg_u32 s3, s0
	s_cbranch_scc1 .LBB90_673
.LBB90_674:
	s_waitcnt lgkmcnt(0)
	v_cmp_eq_f64_e32 vcc, 0, v[117:118]
	v_cmp_eq_f64_e64 s[0:1], 0, v[119:120]
	s_and_b64 s[0:1], vcc, s[0:1]
	s_and_saveexec_b64 s[18:19], s[0:1]
	s_xor_b64 s[0:1], exec, s[18:19]
; %bb.675:
	v_cmp_ne_u32_e32 vcc, 0, v95
	v_cndmask_b32_e32 v95, 33, v95, vcc
; %bb.676:
	s_andn2_saveexec_b64 s[0:1], s[0:1]
	s_cbranch_execz .LBB90_682
; %bb.677:
	v_cmp_ngt_f64_e64 s[18:19], |v[117:118]|, |v[119:120]|
	s_and_saveexec_b64 s[20:21], s[18:19]
	s_xor_b64 s[18:19], exec, s[20:21]
	s_cbranch_execz .LBB90_679
; %bb.678:
	v_div_scale_f64 v[98:99], s[20:21], v[119:120], v[119:120], v[117:118]
	v_rcp_f64_e32 v[100:101], v[98:99]
	v_fma_f64 v[102:103], -v[98:99], v[100:101], 1.0
	v_fma_f64 v[100:101], v[100:101], v[102:103], v[100:101]
	v_div_scale_f64 v[102:103], vcc, v[117:118], v[119:120], v[117:118]
	v_fma_f64 v[104:105], -v[98:99], v[100:101], 1.0
	v_fma_f64 v[100:101], v[100:101], v[104:105], v[100:101]
	v_mul_f64 v[104:105], v[102:103], v[100:101]
	v_fma_f64 v[98:99], -v[98:99], v[104:105], v[102:103]
	v_div_fmas_f64 v[98:99], v[98:99], v[100:101], v[104:105]
	v_div_fixup_f64 v[98:99], v[98:99], v[119:120], v[117:118]
	v_fma_f64 v[100:101], v[117:118], v[98:99], v[119:120]
	v_div_scale_f64 v[102:103], s[20:21], v[100:101], v[100:101], 1.0
	v_div_scale_f64 v[108:109], vcc, 1.0, v[100:101], 1.0
	v_rcp_f64_e32 v[104:105], v[102:103]
	v_fma_f64 v[106:107], -v[102:103], v[104:105], 1.0
	v_fma_f64 v[104:105], v[104:105], v[106:107], v[104:105]
	v_fma_f64 v[106:107], -v[102:103], v[104:105], 1.0
	v_fma_f64 v[104:105], v[104:105], v[106:107], v[104:105]
	v_mul_f64 v[106:107], v[108:109], v[104:105]
	v_fma_f64 v[102:103], -v[102:103], v[106:107], v[108:109]
	v_div_fmas_f64 v[102:103], v[102:103], v[104:105], v[106:107]
	v_div_fixup_f64 v[119:120], v[102:103], v[100:101], 1.0
	v_mul_f64 v[117:118], v[98:99], v[119:120]
	v_xor_b32_e32 v120, 0x80000000, v120
.LBB90_679:
	s_andn2_saveexec_b64 s[18:19], s[18:19]
	s_cbranch_execz .LBB90_681
; %bb.680:
	v_div_scale_f64 v[98:99], s[20:21], v[117:118], v[117:118], v[119:120]
	v_rcp_f64_e32 v[100:101], v[98:99]
	v_fma_f64 v[102:103], -v[98:99], v[100:101], 1.0
	v_fma_f64 v[100:101], v[100:101], v[102:103], v[100:101]
	v_div_scale_f64 v[102:103], vcc, v[119:120], v[117:118], v[119:120]
	v_fma_f64 v[104:105], -v[98:99], v[100:101], 1.0
	v_fma_f64 v[100:101], v[100:101], v[104:105], v[100:101]
	v_mul_f64 v[104:105], v[102:103], v[100:101]
	v_fma_f64 v[98:99], -v[98:99], v[104:105], v[102:103]
	v_div_fmas_f64 v[98:99], v[98:99], v[100:101], v[104:105]
	v_div_fixup_f64 v[98:99], v[98:99], v[117:118], v[119:120]
	v_fma_f64 v[100:101], v[119:120], v[98:99], v[117:118]
	v_div_scale_f64 v[102:103], s[20:21], v[100:101], v[100:101], 1.0
	v_div_scale_f64 v[108:109], vcc, 1.0, v[100:101], 1.0
	v_rcp_f64_e32 v[104:105], v[102:103]
	v_fma_f64 v[106:107], -v[102:103], v[104:105], 1.0
	v_fma_f64 v[104:105], v[104:105], v[106:107], v[104:105]
	v_fma_f64 v[106:107], -v[102:103], v[104:105], 1.0
	v_fma_f64 v[104:105], v[104:105], v[106:107], v[104:105]
	v_mul_f64 v[106:107], v[108:109], v[104:105]
	v_fma_f64 v[102:103], -v[102:103], v[106:107], v[108:109]
	v_div_fmas_f64 v[102:103], v[102:103], v[104:105], v[106:107]
	v_div_fixup_f64 v[117:118], v[102:103], v[100:101], 1.0
	v_mul_f64 v[119:120], v[98:99], -v[117:118]
.LBB90_681:
	s_or_b64 exec, exec, s[18:19]
.LBB90_682:
	s_or_b64 exec, exec, s[0:1]
	v_cmp_ne_u32_e32 vcc, v96, v97
	s_and_saveexec_b64 s[0:1], vcc
	s_xor_b64 s[0:1], exec, s[0:1]
	s_cbranch_execz .LBB90_688
; %bb.683:
	v_cmp_eq_u32_e32 vcc, 32, v96
	s_and_saveexec_b64 s[18:19], vcc
	s_cbranch_execz .LBB90_687
; %bb.684:
	v_cmp_ne_u32_e32 vcc, 32, v97
	s_xor_b64 s[20:21], s[6:7], -1
	s_and_b64 s[22:23], s[20:21], vcc
	s_and_saveexec_b64 s[20:21], s[22:23]
	s_cbranch_execz .LBB90_686
; %bb.685:
	buffer_load_dword v85, off, s[24:27], 0 offset:304 ; 4-byte Folded Reload
	buffer_load_dword v86, off, s[24:27], 0 offset:308 ; 4-byte Folded Reload
	v_ashrrev_i32_e32 v98, 31, v97
	v_lshlrev_b64 v[98:99], 2, v[97:98]
	s_waitcnt vmcnt(1)
	v_add_co_u32_e32 v98, vcc, v85, v98
	s_waitcnt vmcnt(0)
	v_addc_co_u32_e32 v99, vcc, v86, v99, vcc
	global_load_dword v0, v[98:99], off
	global_load_dword v96, v[85:86], off offset:128
	s_waitcnt vmcnt(1)
	global_store_dword v[85:86], v0, off offset:128
	s_waitcnt vmcnt(1)
	global_store_dword v[98:99], v96, off
.LBB90_686:
	s_or_b64 exec, exec, s[20:21]
	v_mov_b32_e32 v96, v97
	v_mov_b32_e32 v0, v97
.LBB90_687:
	s_or_b64 exec, exec, s[18:19]
.LBB90_688:
	s_andn2_saveexec_b64 s[0:1], s[0:1]
	s_cbranch_execz .LBB90_690
; %bb.689:
	v_mov_b32_e32 v96, 32
	ds_write2_b64 v94, v[45:46], v[47:48] offset0:66 offset1:67
	ds_write2_b64 v94, v[41:42], v[43:44] offset0:68 offset1:69
	ds_write2_b64 v94, v[37:38], v[39:40] offset0:70 offset1:71
	ds_write2_b64 v94, v[33:34], v[35:36] offset0:72 offset1:73
	ds_write2_b64 v94, v[29:30], v[31:32] offset0:74 offset1:75
	ds_write2_b64 v94, v[25:26], v[27:28] offset0:76 offset1:77
	ds_write2_b64 v94, v[21:22], v[23:24] offset0:78 offset1:79
	ds_write2_b64 v94, v[17:18], v[19:20] offset0:80 offset1:81
	ds_write2_b64 v94, v[13:14], v[15:16] offset0:82 offset1:83
	ds_write2_b64 v94, v[9:10], v[11:12] offset0:84 offset1:85
	ds_write2_b64 v94, v[5:6], v[7:8] offset0:86 offset1:87
	ds_write2_b64 v94, v[1:2], v[3:4] offset0:88 offset1:89
	ds_write2_b64 v94, v[121:122], v[123:124] offset0:90 offset1:91
.LBB90_690:
	s_or_b64 exec, exec, s[0:1]
	v_cmp_lt_i32_e32 vcc, 32, v96
	s_waitcnt vmcnt(0) lgkmcnt(0)
	s_barrier
	s_and_saveexec_b64 s[0:1], vcc
	s_cbranch_execz .LBB90_692
; %bb.691:
	v_mul_f64 v[97:98], v[117:118], v[51:52]
	v_mul_f64 v[51:52], v[119:120], v[51:52]
	ds_read2_b64 v[99:102], v94 offset0:66 offset1:67
	v_fma_f64 v[97:98], v[119:120], v[49:50], v[97:98]
	v_fma_f64 v[49:50], v[117:118], v[49:50], -v[51:52]
	s_waitcnt lgkmcnt(0)
	v_mul_f64 v[51:52], v[101:102], v[97:98]
	v_fma_f64 v[51:52], v[99:100], v[49:50], -v[51:52]
	v_mul_f64 v[99:100], v[99:100], v[97:98]
	v_add_f64 v[45:46], v[45:46], -v[51:52]
	v_fma_f64 v[99:100], v[101:102], v[49:50], v[99:100]
	v_add_f64 v[47:48], v[47:48], -v[99:100]
	ds_read2_b64 v[99:102], v94 offset0:68 offset1:69
	s_waitcnt lgkmcnt(0)
	v_mul_f64 v[51:52], v[101:102], v[97:98]
	v_fma_f64 v[51:52], v[99:100], v[49:50], -v[51:52]
	v_mul_f64 v[99:100], v[99:100], v[97:98]
	v_add_f64 v[41:42], v[41:42], -v[51:52]
	v_fma_f64 v[99:100], v[101:102], v[49:50], v[99:100]
	v_add_f64 v[43:44], v[43:44], -v[99:100]
	ds_read2_b64 v[99:102], v94 offset0:70 offset1:71
	;; [unrolled: 8-line block ×12, first 2 shown]
	s_waitcnt lgkmcnt(0)
	v_mul_f64 v[51:52], v[101:102], v[97:98]
	v_fma_f64 v[51:52], v[99:100], v[49:50], -v[51:52]
	v_mul_f64 v[99:100], v[99:100], v[97:98]
	v_add_f64 v[121:122], v[121:122], -v[51:52]
	v_fma_f64 v[99:100], v[101:102], v[49:50], v[99:100]
	v_mov_b32_e32 v51, v97
	v_mov_b32_e32 v52, v98
	v_add_f64 v[123:124], v[123:124], -v[99:100]
.LBB90_692:
	s_or_b64 exec, exec, s[0:1]
	v_lshl_add_u32 v97, v96, 4, v94
	s_barrier
	ds_write2_b64 v97, v[45:46], v[47:48] offset1:1
	s_waitcnt lgkmcnt(0)
	s_barrier
	ds_read2_b64 v[117:120], v94 offset0:66 offset1:67
	s_cmp_lt_i32 s3, 35
	v_mov_b32_e32 v97, 33
	s_cbranch_scc1 .LBB90_695
; %bb.693:
	v_add_u32_e32 v98, 0x220, v94
	s_mov_b32 s0, 34
	v_mov_b32_e32 v97, 33
.LBB90_694:                             ; =>This Inner Loop Header: Depth=1
	s_waitcnt lgkmcnt(0)
	v_cmp_gt_f64_e32 vcc, 0, v[117:118]
	v_xor_b32_e32 v103, 0x80000000, v118
	ds_read2_b64 v[99:102], v98 offset1:1
	v_xor_b32_e32 v105, 0x80000000, v120
	v_add_u32_e32 v98, 16, v98
	s_waitcnt lgkmcnt(0)
	v_xor_b32_e32 v107, 0x80000000, v102
	v_cndmask_b32_e32 v104, v118, v103, vcc
	v_cmp_gt_f64_e32 vcc, 0, v[119:120]
	v_mov_b32_e32 v103, v117
	v_cndmask_b32_e32 v106, v120, v105, vcc
	v_cmp_gt_f64_e32 vcc, 0, v[99:100]
	v_mov_b32_e32 v105, v119
	v_add_f64 v[103:104], v[103:104], v[105:106]
	v_xor_b32_e32 v105, 0x80000000, v100
	v_cndmask_b32_e32 v106, v100, v105, vcc
	v_cmp_gt_f64_e32 vcc, 0, v[101:102]
	v_mov_b32_e32 v105, v99
	v_cndmask_b32_e32 v108, v102, v107, vcc
	v_mov_b32_e32 v107, v101
	v_add_f64 v[105:106], v[105:106], v[107:108]
	v_cmp_lt_f64_e32 vcc, v[103:104], v[105:106]
	v_cndmask_b32_e32 v117, v117, v99, vcc
	v_mov_b32_e32 v99, s0
	s_add_i32 s0, s0, 1
	v_cndmask_b32_e32 v118, v118, v100, vcc
	v_cndmask_b32_e32 v120, v120, v102, vcc
	;; [unrolled: 1-line block ×4, first 2 shown]
	s_cmp_lg_u32 s3, s0
	s_cbranch_scc1 .LBB90_694
.LBB90_695:
	s_waitcnt lgkmcnt(0)
	v_cmp_eq_f64_e32 vcc, 0, v[117:118]
	v_cmp_eq_f64_e64 s[0:1], 0, v[119:120]
	s_and_b64 s[0:1], vcc, s[0:1]
	s_and_saveexec_b64 s[18:19], s[0:1]
	s_xor_b64 s[0:1], exec, s[18:19]
; %bb.696:
	v_cmp_ne_u32_e32 vcc, 0, v95
	v_cndmask_b32_e32 v95, 34, v95, vcc
; %bb.697:
	s_andn2_saveexec_b64 s[0:1], s[0:1]
	s_cbranch_execz .LBB90_703
; %bb.698:
	v_cmp_ngt_f64_e64 s[18:19], |v[117:118]|, |v[119:120]|
	s_and_saveexec_b64 s[20:21], s[18:19]
	s_xor_b64 s[18:19], exec, s[20:21]
	s_cbranch_execz .LBB90_700
; %bb.699:
	v_div_scale_f64 v[98:99], s[20:21], v[119:120], v[119:120], v[117:118]
	v_rcp_f64_e32 v[100:101], v[98:99]
	v_fma_f64 v[102:103], -v[98:99], v[100:101], 1.0
	v_fma_f64 v[100:101], v[100:101], v[102:103], v[100:101]
	v_div_scale_f64 v[102:103], vcc, v[117:118], v[119:120], v[117:118]
	v_fma_f64 v[104:105], -v[98:99], v[100:101], 1.0
	v_fma_f64 v[100:101], v[100:101], v[104:105], v[100:101]
	v_mul_f64 v[104:105], v[102:103], v[100:101]
	v_fma_f64 v[98:99], -v[98:99], v[104:105], v[102:103]
	v_div_fmas_f64 v[98:99], v[98:99], v[100:101], v[104:105]
	v_div_fixup_f64 v[98:99], v[98:99], v[119:120], v[117:118]
	v_fma_f64 v[100:101], v[117:118], v[98:99], v[119:120]
	v_div_scale_f64 v[102:103], s[20:21], v[100:101], v[100:101], 1.0
	v_div_scale_f64 v[108:109], vcc, 1.0, v[100:101], 1.0
	v_rcp_f64_e32 v[104:105], v[102:103]
	v_fma_f64 v[106:107], -v[102:103], v[104:105], 1.0
	v_fma_f64 v[104:105], v[104:105], v[106:107], v[104:105]
	v_fma_f64 v[106:107], -v[102:103], v[104:105], 1.0
	v_fma_f64 v[104:105], v[104:105], v[106:107], v[104:105]
	v_mul_f64 v[106:107], v[108:109], v[104:105]
	v_fma_f64 v[102:103], -v[102:103], v[106:107], v[108:109]
	v_div_fmas_f64 v[102:103], v[102:103], v[104:105], v[106:107]
	v_div_fixup_f64 v[119:120], v[102:103], v[100:101], 1.0
	v_mul_f64 v[117:118], v[98:99], v[119:120]
	v_xor_b32_e32 v120, 0x80000000, v120
.LBB90_700:
	s_andn2_saveexec_b64 s[18:19], s[18:19]
	s_cbranch_execz .LBB90_702
; %bb.701:
	v_div_scale_f64 v[98:99], s[20:21], v[117:118], v[117:118], v[119:120]
	v_rcp_f64_e32 v[100:101], v[98:99]
	v_fma_f64 v[102:103], -v[98:99], v[100:101], 1.0
	v_fma_f64 v[100:101], v[100:101], v[102:103], v[100:101]
	v_div_scale_f64 v[102:103], vcc, v[119:120], v[117:118], v[119:120]
	v_fma_f64 v[104:105], -v[98:99], v[100:101], 1.0
	v_fma_f64 v[100:101], v[100:101], v[104:105], v[100:101]
	v_mul_f64 v[104:105], v[102:103], v[100:101]
	v_fma_f64 v[98:99], -v[98:99], v[104:105], v[102:103]
	v_div_fmas_f64 v[98:99], v[98:99], v[100:101], v[104:105]
	v_div_fixup_f64 v[98:99], v[98:99], v[117:118], v[119:120]
	v_fma_f64 v[100:101], v[119:120], v[98:99], v[117:118]
	v_div_scale_f64 v[102:103], s[20:21], v[100:101], v[100:101], 1.0
	v_div_scale_f64 v[108:109], vcc, 1.0, v[100:101], 1.0
	v_rcp_f64_e32 v[104:105], v[102:103]
	v_fma_f64 v[106:107], -v[102:103], v[104:105], 1.0
	v_fma_f64 v[104:105], v[104:105], v[106:107], v[104:105]
	v_fma_f64 v[106:107], -v[102:103], v[104:105], 1.0
	v_fma_f64 v[104:105], v[104:105], v[106:107], v[104:105]
	v_mul_f64 v[106:107], v[108:109], v[104:105]
	v_fma_f64 v[102:103], -v[102:103], v[106:107], v[108:109]
	v_div_fmas_f64 v[102:103], v[102:103], v[104:105], v[106:107]
	v_div_fixup_f64 v[117:118], v[102:103], v[100:101], 1.0
	v_mul_f64 v[119:120], v[98:99], -v[117:118]
.LBB90_702:
	s_or_b64 exec, exec, s[18:19]
.LBB90_703:
	s_or_b64 exec, exec, s[0:1]
	v_cmp_ne_u32_e32 vcc, v96, v97
	s_and_saveexec_b64 s[0:1], vcc
	s_xor_b64 s[0:1], exec, s[0:1]
	s_cbranch_execz .LBB90_709
; %bb.704:
	v_cmp_eq_u32_e32 vcc, 33, v96
	s_and_saveexec_b64 s[18:19], vcc
	s_cbranch_execz .LBB90_708
; %bb.705:
	v_cmp_ne_u32_e32 vcc, 33, v97
	s_xor_b64 s[20:21], s[6:7], -1
	s_and_b64 s[22:23], s[20:21], vcc
	s_and_saveexec_b64 s[20:21], s[22:23]
	s_cbranch_execz .LBB90_707
; %bb.706:
	buffer_load_dword v85, off, s[24:27], 0 offset:304 ; 4-byte Folded Reload
	buffer_load_dword v86, off, s[24:27], 0 offset:308 ; 4-byte Folded Reload
	v_ashrrev_i32_e32 v98, 31, v97
	v_lshlrev_b64 v[98:99], 2, v[97:98]
	s_waitcnt vmcnt(1)
	v_add_co_u32_e32 v98, vcc, v85, v98
	s_waitcnt vmcnt(0)
	v_addc_co_u32_e32 v99, vcc, v86, v99, vcc
	global_load_dword v0, v[98:99], off
	global_load_dword v96, v[85:86], off offset:132
	s_waitcnt vmcnt(1)
	global_store_dword v[85:86], v0, off offset:132
	s_waitcnt vmcnt(1)
	global_store_dword v[98:99], v96, off
.LBB90_707:
	s_or_b64 exec, exec, s[20:21]
	v_mov_b32_e32 v96, v97
	v_mov_b32_e32 v0, v97
.LBB90_708:
	s_or_b64 exec, exec, s[18:19]
.LBB90_709:
	s_andn2_saveexec_b64 s[0:1], s[0:1]
	s_cbranch_execz .LBB90_711
; %bb.710:
	v_mov_b32_e32 v96, 33
	ds_write2_b64 v94, v[41:42], v[43:44] offset0:68 offset1:69
	ds_write2_b64 v94, v[37:38], v[39:40] offset0:70 offset1:71
	;; [unrolled: 1-line block ×12, first 2 shown]
.LBB90_711:
	s_or_b64 exec, exec, s[0:1]
	v_cmp_lt_i32_e32 vcc, 33, v96
	s_waitcnt vmcnt(0) lgkmcnt(0)
	s_barrier
	s_and_saveexec_b64 s[0:1], vcc
	s_cbranch_execz .LBB90_713
; %bb.712:
	v_mul_f64 v[97:98], v[117:118], v[47:48]
	v_mul_f64 v[47:48], v[119:120], v[47:48]
	ds_read2_b64 v[99:102], v94 offset0:68 offset1:69
	v_fma_f64 v[97:98], v[119:120], v[45:46], v[97:98]
	v_fma_f64 v[45:46], v[117:118], v[45:46], -v[47:48]
	s_waitcnt lgkmcnt(0)
	v_mul_f64 v[47:48], v[101:102], v[97:98]
	v_fma_f64 v[47:48], v[99:100], v[45:46], -v[47:48]
	v_mul_f64 v[99:100], v[99:100], v[97:98]
	v_add_f64 v[41:42], v[41:42], -v[47:48]
	v_fma_f64 v[99:100], v[101:102], v[45:46], v[99:100]
	v_add_f64 v[43:44], v[43:44], -v[99:100]
	ds_read2_b64 v[99:102], v94 offset0:70 offset1:71
	s_waitcnt lgkmcnt(0)
	v_mul_f64 v[47:48], v[101:102], v[97:98]
	v_fma_f64 v[47:48], v[99:100], v[45:46], -v[47:48]
	v_mul_f64 v[99:100], v[99:100], v[97:98]
	v_add_f64 v[37:38], v[37:38], -v[47:48]
	v_fma_f64 v[99:100], v[101:102], v[45:46], v[99:100]
	v_add_f64 v[39:40], v[39:40], -v[99:100]
	ds_read2_b64 v[99:102], v94 offset0:72 offset1:73
	;; [unrolled: 8-line block ×11, first 2 shown]
	s_waitcnt lgkmcnt(0)
	v_mul_f64 v[47:48], v[101:102], v[97:98]
	v_fma_f64 v[47:48], v[99:100], v[45:46], -v[47:48]
	v_mul_f64 v[99:100], v[99:100], v[97:98]
	v_add_f64 v[121:122], v[121:122], -v[47:48]
	v_fma_f64 v[99:100], v[101:102], v[45:46], v[99:100]
	v_mov_b32_e32 v47, v97
	v_mov_b32_e32 v48, v98
	v_add_f64 v[123:124], v[123:124], -v[99:100]
.LBB90_713:
	s_or_b64 exec, exec, s[0:1]
	v_lshl_add_u32 v97, v96, 4, v94
	s_barrier
	ds_write2_b64 v97, v[41:42], v[43:44] offset1:1
	s_waitcnt lgkmcnt(0)
	s_barrier
	ds_read2_b64 v[117:120], v94 offset0:68 offset1:69
	s_cmp_lt_i32 s3, 36
	v_mov_b32_e32 v97, 34
	s_cbranch_scc1 .LBB90_716
; %bb.714:
	v_add_u32_e32 v98, 0x230, v94
	s_mov_b32 s0, 35
	v_mov_b32_e32 v97, 34
.LBB90_715:                             ; =>This Inner Loop Header: Depth=1
	s_waitcnt lgkmcnt(0)
	v_cmp_gt_f64_e32 vcc, 0, v[117:118]
	v_xor_b32_e32 v103, 0x80000000, v118
	ds_read2_b64 v[99:102], v98 offset1:1
	v_xor_b32_e32 v105, 0x80000000, v120
	v_add_u32_e32 v98, 16, v98
	s_waitcnt lgkmcnt(0)
	v_xor_b32_e32 v107, 0x80000000, v102
	v_cndmask_b32_e32 v104, v118, v103, vcc
	v_cmp_gt_f64_e32 vcc, 0, v[119:120]
	v_mov_b32_e32 v103, v117
	v_cndmask_b32_e32 v106, v120, v105, vcc
	v_cmp_gt_f64_e32 vcc, 0, v[99:100]
	v_mov_b32_e32 v105, v119
	v_add_f64 v[103:104], v[103:104], v[105:106]
	v_xor_b32_e32 v105, 0x80000000, v100
	v_cndmask_b32_e32 v106, v100, v105, vcc
	v_cmp_gt_f64_e32 vcc, 0, v[101:102]
	v_mov_b32_e32 v105, v99
	v_cndmask_b32_e32 v108, v102, v107, vcc
	v_mov_b32_e32 v107, v101
	v_add_f64 v[105:106], v[105:106], v[107:108]
	v_cmp_lt_f64_e32 vcc, v[103:104], v[105:106]
	v_cndmask_b32_e32 v117, v117, v99, vcc
	v_mov_b32_e32 v99, s0
	s_add_i32 s0, s0, 1
	v_cndmask_b32_e32 v118, v118, v100, vcc
	v_cndmask_b32_e32 v120, v120, v102, vcc
	;; [unrolled: 1-line block ×4, first 2 shown]
	s_cmp_lg_u32 s3, s0
	s_cbranch_scc1 .LBB90_715
.LBB90_716:
	s_waitcnt lgkmcnt(0)
	v_cmp_eq_f64_e32 vcc, 0, v[117:118]
	v_cmp_eq_f64_e64 s[0:1], 0, v[119:120]
	s_and_b64 s[0:1], vcc, s[0:1]
	s_and_saveexec_b64 s[18:19], s[0:1]
	s_xor_b64 s[0:1], exec, s[18:19]
; %bb.717:
	v_cmp_ne_u32_e32 vcc, 0, v95
	v_cndmask_b32_e32 v95, 35, v95, vcc
; %bb.718:
	s_andn2_saveexec_b64 s[0:1], s[0:1]
	s_cbranch_execz .LBB90_724
; %bb.719:
	v_cmp_ngt_f64_e64 s[18:19], |v[117:118]|, |v[119:120]|
	s_and_saveexec_b64 s[20:21], s[18:19]
	s_xor_b64 s[18:19], exec, s[20:21]
	s_cbranch_execz .LBB90_721
; %bb.720:
	v_div_scale_f64 v[98:99], s[20:21], v[119:120], v[119:120], v[117:118]
	v_rcp_f64_e32 v[100:101], v[98:99]
	v_fma_f64 v[102:103], -v[98:99], v[100:101], 1.0
	v_fma_f64 v[100:101], v[100:101], v[102:103], v[100:101]
	v_div_scale_f64 v[102:103], vcc, v[117:118], v[119:120], v[117:118]
	v_fma_f64 v[104:105], -v[98:99], v[100:101], 1.0
	v_fma_f64 v[100:101], v[100:101], v[104:105], v[100:101]
	v_mul_f64 v[104:105], v[102:103], v[100:101]
	v_fma_f64 v[98:99], -v[98:99], v[104:105], v[102:103]
	v_div_fmas_f64 v[98:99], v[98:99], v[100:101], v[104:105]
	v_div_fixup_f64 v[98:99], v[98:99], v[119:120], v[117:118]
	v_fma_f64 v[100:101], v[117:118], v[98:99], v[119:120]
	v_div_scale_f64 v[102:103], s[20:21], v[100:101], v[100:101], 1.0
	v_div_scale_f64 v[108:109], vcc, 1.0, v[100:101], 1.0
	v_rcp_f64_e32 v[104:105], v[102:103]
	v_fma_f64 v[106:107], -v[102:103], v[104:105], 1.0
	v_fma_f64 v[104:105], v[104:105], v[106:107], v[104:105]
	v_fma_f64 v[106:107], -v[102:103], v[104:105], 1.0
	v_fma_f64 v[104:105], v[104:105], v[106:107], v[104:105]
	v_mul_f64 v[106:107], v[108:109], v[104:105]
	v_fma_f64 v[102:103], -v[102:103], v[106:107], v[108:109]
	v_div_fmas_f64 v[102:103], v[102:103], v[104:105], v[106:107]
	v_div_fixup_f64 v[119:120], v[102:103], v[100:101], 1.0
	v_mul_f64 v[117:118], v[98:99], v[119:120]
	v_xor_b32_e32 v120, 0x80000000, v120
.LBB90_721:
	s_andn2_saveexec_b64 s[18:19], s[18:19]
	s_cbranch_execz .LBB90_723
; %bb.722:
	v_div_scale_f64 v[98:99], s[20:21], v[117:118], v[117:118], v[119:120]
	v_rcp_f64_e32 v[100:101], v[98:99]
	v_fma_f64 v[102:103], -v[98:99], v[100:101], 1.0
	v_fma_f64 v[100:101], v[100:101], v[102:103], v[100:101]
	v_div_scale_f64 v[102:103], vcc, v[119:120], v[117:118], v[119:120]
	v_fma_f64 v[104:105], -v[98:99], v[100:101], 1.0
	v_fma_f64 v[100:101], v[100:101], v[104:105], v[100:101]
	v_mul_f64 v[104:105], v[102:103], v[100:101]
	v_fma_f64 v[98:99], -v[98:99], v[104:105], v[102:103]
	v_div_fmas_f64 v[98:99], v[98:99], v[100:101], v[104:105]
	v_div_fixup_f64 v[98:99], v[98:99], v[117:118], v[119:120]
	v_fma_f64 v[100:101], v[119:120], v[98:99], v[117:118]
	v_div_scale_f64 v[102:103], s[20:21], v[100:101], v[100:101], 1.0
	v_div_scale_f64 v[108:109], vcc, 1.0, v[100:101], 1.0
	v_rcp_f64_e32 v[104:105], v[102:103]
	v_fma_f64 v[106:107], -v[102:103], v[104:105], 1.0
	v_fma_f64 v[104:105], v[104:105], v[106:107], v[104:105]
	v_fma_f64 v[106:107], -v[102:103], v[104:105], 1.0
	v_fma_f64 v[104:105], v[104:105], v[106:107], v[104:105]
	v_mul_f64 v[106:107], v[108:109], v[104:105]
	v_fma_f64 v[102:103], -v[102:103], v[106:107], v[108:109]
	v_div_fmas_f64 v[102:103], v[102:103], v[104:105], v[106:107]
	v_div_fixup_f64 v[117:118], v[102:103], v[100:101], 1.0
	v_mul_f64 v[119:120], v[98:99], -v[117:118]
.LBB90_723:
	s_or_b64 exec, exec, s[18:19]
.LBB90_724:
	s_or_b64 exec, exec, s[0:1]
	v_cmp_ne_u32_e32 vcc, v96, v97
	s_and_saveexec_b64 s[0:1], vcc
	s_xor_b64 s[0:1], exec, s[0:1]
	s_cbranch_execz .LBB90_730
; %bb.725:
	v_cmp_eq_u32_e32 vcc, 34, v96
	s_and_saveexec_b64 s[18:19], vcc
	s_cbranch_execz .LBB90_729
; %bb.726:
	v_cmp_ne_u32_e32 vcc, 34, v97
	s_xor_b64 s[20:21], s[6:7], -1
	s_and_b64 s[22:23], s[20:21], vcc
	s_and_saveexec_b64 s[20:21], s[22:23]
	s_cbranch_execz .LBB90_728
; %bb.727:
	buffer_load_dword v85, off, s[24:27], 0 offset:304 ; 4-byte Folded Reload
	buffer_load_dword v86, off, s[24:27], 0 offset:308 ; 4-byte Folded Reload
	v_ashrrev_i32_e32 v98, 31, v97
	v_lshlrev_b64 v[98:99], 2, v[97:98]
	s_waitcnt vmcnt(1)
	v_add_co_u32_e32 v98, vcc, v85, v98
	s_waitcnt vmcnt(0)
	v_addc_co_u32_e32 v99, vcc, v86, v99, vcc
	global_load_dword v0, v[98:99], off
	global_load_dword v96, v[85:86], off offset:136
	s_waitcnt vmcnt(1)
	global_store_dword v[85:86], v0, off offset:136
	s_waitcnt vmcnt(1)
	global_store_dword v[98:99], v96, off
.LBB90_728:
	s_or_b64 exec, exec, s[20:21]
	v_mov_b32_e32 v96, v97
	v_mov_b32_e32 v0, v97
.LBB90_729:
	s_or_b64 exec, exec, s[18:19]
.LBB90_730:
	s_andn2_saveexec_b64 s[0:1], s[0:1]
	s_cbranch_execz .LBB90_732
; %bb.731:
	v_mov_b32_e32 v96, 34
	ds_write2_b64 v94, v[37:38], v[39:40] offset0:70 offset1:71
	ds_write2_b64 v94, v[33:34], v[35:36] offset0:72 offset1:73
	;; [unrolled: 1-line block ×11, first 2 shown]
.LBB90_732:
	s_or_b64 exec, exec, s[0:1]
	v_cmp_lt_i32_e32 vcc, 34, v96
	s_waitcnt vmcnt(0) lgkmcnt(0)
	s_barrier
	s_and_saveexec_b64 s[0:1], vcc
	s_cbranch_execz .LBB90_734
; %bb.733:
	v_mul_f64 v[97:98], v[117:118], v[43:44]
	v_mul_f64 v[43:44], v[119:120], v[43:44]
	ds_read2_b64 v[99:102], v94 offset0:70 offset1:71
	v_fma_f64 v[97:98], v[119:120], v[41:42], v[97:98]
	v_fma_f64 v[41:42], v[117:118], v[41:42], -v[43:44]
	s_waitcnt lgkmcnt(0)
	v_mul_f64 v[43:44], v[101:102], v[97:98]
	v_fma_f64 v[43:44], v[99:100], v[41:42], -v[43:44]
	v_mul_f64 v[99:100], v[99:100], v[97:98]
	v_add_f64 v[37:38], v[37:38], -v[43:44]
	v_fma_f64 v[99:100], v[101:102], v[41:42], v[99:100]
	v_add_f64 v[39:40], v[39:40], -v[99:100]
	ds_read2_b64 v[99:102], v94 offset0:72 offset1:73
	s_waitcnt lgkmcnt(0)
	v_mul_f64 v[43:44], v[101:102], v[97:98]
	v_fma_f64 v[43:44], v[99:100], v[41:42], -v[43:44]
	v_mul_f64 v[99:100], v[99:100], v[97:98]
	v_add_f64 v[33:34], v[33:34], -v[43:44]
	v_fma_f64 v[99:100], v[101:102], v[41:42], v[99:100]
	v_add_f64 v[35:36], v[35:36], -v[99:100]
	ds_read2_b64 v[99:102], v94 offset0:74 offset1:75
	;; [unrolled: 8-line block ×10, first 2 shown]
	s_waitcnt lgkmcnt(0)
	v_mul_f64 v[43:44], v[101:102], v[97:98]
	v_fma_f64 v[43:44], v[99:100], v[41:42], -v[43:44]
	v_mul_f64 v[99:100], v[99:100], v[97:98]
	v_add_f64 v[121:122], v[121:122], -v[43:44]
	v_fma_f64 v[99:100], v[101:102], v[41:42], v[99:100]
	v_mov_b32_e32 v43, v97
	v_mov_b32_e32 v44, v98
	v_add_f64 v[123:124], v[123:124], -v[99:100]
.LBB90_734:
	s_or_b64 exec, exec, s[0:1]
	v_lshl_add_u32 v97, v96, 4, v94
	s_barrier
	ds_write2_b64 v97, v[37:38], v[39:40] offset1:1
	s_waitcnt lgkmcnt(0)
	s_barrier
	ds_read2_b64 v[117:120], v94 offset0:70 offset1:71
	s_cmp_lt_i32 s3, 37
	v_mov_b32_e32 v97, 35
	s_cbranch_scc1 .LBB90_737
; %bb.735:
	v_add_u32_e32 v98, 0x240, v94
	s_mov_b32 s0, 36
	v_mov_b32_e32 v97, 35
.LBB90_736:                             ; =>This Inner Loop Header: Depth=1
	s_waitcnt lgkmcnt(0)
	v_cmp_gt_f64_e32 vcc, 0, v[117:118]
	v_xor_b32_e32 v103, 0x80000000, v118
	ds_read2_b64 v[99:102], v98 offset1:1
	v_xor_b32_e32 v105, 0x80000000, v120
	v_add_u32_e32 v98, 16, v98
	s_waitcnt lgkmcnt(0)
	v_xor_b32_e32 v107, 0x80000000, v102
	v_cndmask_b32_e32 v104, v118, v103, vcc
	v_cmp_gt_f64_e32 vcc, 0, v[119:120]
	v_mov_b32_e32 v103, v117
	v_cndmask_b32_e32 v106, v120, v105, vcc
	v_cmp_gt_f64_e32 vcc, 0, v[99:100]
	v_mov_b32_e32 v105, v119
	v_add_f64 v[103:104], v[103:104], v[105:106]
	v_xor_b32_e32 v105, 0x80000000, v100
	v_cndmask_b32_e32 v106, v100, v105, vcc
	v_cmp_gt_f64_e32 vcc, 0, v[101:102]
	v_mov_b32_e32 v105, v99
	v_cndmask_b32_e32 v108, v102, v107, vcc
	v_mov_b32_e32 v107, v101
	v_add_f64 v[105:106], v[105:106], v[107:108]
	v_cmp_lt_f64_e32 vcc, v[103:104], v[105:106]
	v_cndmask_b32_e32 v117, v117, v99, vcc
	v_mov_b32_e32 v99, s0
	s_add_i32 s0, s0, 1
	v_cndmask_b32_e32 v118, v118, v100, vcc
	v_cndmask_b32_e32 v120, v120, v102, vcc
	v_cndmask_b32_e32 v119, v119, v101, vcc
	v_cndmask_b32_e32 v97, v97, v99, vcc
	s_cmp_lg_u32 s3, s0
	s_cbranch_scc1 .LBB90_736
.LBB90_737:
	s_waitcnt lgkmcnt(0)
	v_cmp_eq_f64_e32 vcc, 0, v[117:118]
	v_cmp_eq_f64_e64 s[0:1], 0, v[119:120]
	s_and_b64 s[0:1], vcc, s[0:1]
	s_and_saveexec_b64 s[18:19], s[0:1]
	s_xor_b64 s[0:1], exec, s[18:19]
; %bb.738:
	v_cmp_ne_u32_e32 vcc, 0, v95
	v_cndmask_b32_e32 v95, 36, v95, vcc
; %bb.739:
	s_andn2_saveexec_b64 s[0:1], s[0:1]
	s_cbranch_execz .LBB90_745
; %bb.740:
	v_cmp_ngt_f64_e64 s[18:19], |v[117:118]|, |v[119:120]|
	s_and_saveexec_b64 s[20:21], s[18:19]
	s_xor_b64 s[18:19], exec, s[20:21]
	s_cbranch_execz .LBB90_742
; %bb.741:
	v_div_scale_f64 v[98:99], s[20:21], v[119:120], v[119:120], v[117:118]
	v_rcp_f64_e32 v[100:101], v[98:99]
	v_fma_f64 v[102:103], -v[98:99], v[100:101], 1.0
	v_fma_f64 v[100:101], v[100:101], v[102:103], v[100:101]
	v_div_scale_f64 v[102:103], vcc, v[117:118], v[119:120], v[117:118]
	v_fma_f64 v[104:105], -v[98:99], v[100:101], 1.0
	v_fma_f64 v[100:101], v[100:101], v[104:105], v[100:101]
	v_mul_f64 v[104:105], v[102:103], v[100:101]
	v_fma_f64 v[98:99], -v[98:99], v[104:105], v[102:103]
	v_div_fmas_f64 v[98:99], v[98:99], v[100:101], v[104:105]
	v_div_fixup_f64 v[98:99], v[98:99], v[119:120], v[117:118]
	v_fma_f64 v[100:101], v[117:118], v[98:99], v[119:120]
	v_div_scale_f64 v[102:103], s[20:21], v[100:101], v[100:101], 1.0
	v_div_scale_f64 v[108:109], vcc, 1.0, v[100:101], 1.0
	v_rcp_f64_e32 v[104:105], v[102:103]
	v_fma_f64 v[106:107], -v[102:103], v[104:105], 1.0
	v_fma_f64 v[104:105], v[104:105], v[106:107], v[104:105]
	v_fma_f64 v[106:107], -v[102:103], v[104:105], 1.0
	v_fma_f64 v[104:105], v[104:105], v[106:107], v[104:105]
	v_mul_f64 v[106:107], v[108:109], v[104:105]
	v_fma_f64 v[102:103], -v[102:103], v[106:107], v[108:109]
	v_div_fmas_f64 v[102:103], v[102:103], v[104:105], v[106:107]
	v_div_fixup_f64 v[119:120], v[102:103], v[100:101], 1.0
	v_mul_f64 v[117:118], v[98:99], v[119:120]
	v_xor_b32_e32 v120, 0x80000000, v120
.LBB90_742:
	s_andn2_saveexec_b64 s[18:19], s[18:19]
	s_cbranch_execz .LBB90_744
; %bb.743:
	v_div_scale_f64 v[98:99], s[20:21], v[117:118], v[117:118], v[119:120]
	v_rcp_f64_e32 v[100:101], v[98:99]
	v_fma_f64 v[102:103], -v[98:99], v[100:101], 1.0
	v_fma_f64 v[100:101], v[100:101], v[102:103], v[100:101]
	v_div_scale_f64 v[102:103], vcc, v[119:120], v[117:118], v[119:120]
	v_fma_f64 v[104:105], -v[98:99], v[100:101], 1.0
	v_fma_f64 v[100:101], v[100:101], v[104:105], v[100:101]
	v_mul_f64 v[104:105], v[102:103], v[100:101]
	v_fma_f64 v[98:99], -v[98:99], v[104:105], v[102:103]
	v_div_fmas_f64 v[98:99], v[98:99], v[100:101], v[104:105]
	v_div_fixup_f64 v[98:99], v[98:99], v[117:118], v[119:120]
	v_fma_f64 v[100:101], v[119:120], v[98:99], v[117:118]
	v_div_scale_f64 v[102:103], s[20:21], v[100:101], v[100:101], 1.0
	v_div_scale_f64 v[108:109], vcc, 1.0, v[100:101], 1.0
	v_rcp_f64_e32 v[104:105], v[102:103]
	v_fma_f64 v[106:107], -v[102:103], v[104:105], 1.0
	v_fma_f64 v[104:105], v[104:105], v[106:107], v[104:105]
	v_fma_f64 v[106:107], -v[102:103], v[104:105], 1.0
	v_fma_f64 v[104:105], v[104:105], v[106:107], v[104:105]
	v_mul_f64 v[106:107], v[108:109], v[104:105]
	v_fma_f64 v[102:103], -v[102:103], v[106:107], v[108:109]
	v_div_fmas_f64 v[102:103], v[102:103], v[104:105], v[106:107]
	v_div_fixup_f64 v[117:118], v[102:103], v[100:101], 1.0
	v_mul_f64 v[119:120], v[98:99], -v[117:118]
.LBB90_744:
	s_or_b64 exec, exec, s[18:19]
.LBB90_745:
	s_or_b64 exec, exec, s[0:1]
	v_cmp_ne_u32_e32 vcc, v96, v97
	s_and_saveexec_b64 s[0:1], vcc
	s_xor_b64 s[0:1], exec, s[0:1]
	s_cbranch_execz .LBB90_751
; %bb.746:
	v_cmp_eq_u32_e32 vcc, 35, v96
	s_and_saveexec_b64 s[18:19], vcc
	s_cbranch_execz .LBB90_750
; %bb.747:
	v_cmp_ne_u32_e32 vcc, 35, v97
	s_xor_b64 s[20:21], s[6:7], -1
	s_and_b64 s[22:23], s[20:21], vcc
	s_and_saveexec_b64 s[20:21], s[22:23]
	s_cbranch_execz .LBB90_749
; %bb.748:
	buffer_load_dword v85, off, s[24:27], 0 offset:304 ; 4-byte Folded Reload
	buffer_load_dword v86, off, s[24:27], 0 offset:308 ; 4-byte Folded Reload
	v_ashrrev_i32_e32 v98, 31, v97
	v_lshlrev_b64 v[98:99], 2, v[97:98]
	s_waitcnt vmcnt(1)
	v_add_co_u32_e32 v98, vcc, v85, v98
	s_waitcnt vmcnt(0)
	v_addc_co_u32_e32 v99, vcc, v86, v99, vcc
	global_load_dword v0, v[98:99], off
	global_load_dword v96, v[85:86], off offset:140
	s_waitcnt vmcnt(1)
	global_store_dword v[85:86], v0, off offset:140
	s_waitcnt vmcnt(1)
	global_store_dword v[98:99], v96, off
.LBB90_749:
	s_or_b64 exec, exec, s[20:21]
	v_mov_b32_e32 v96, v97
	v_mov_b32_e32 v0, v97
.LBB90_750:
	s_or_b64 exec, exec, s[18:19]
.LBB90_751:
	s_andn2_saveexec_b64 s[0:1], s[0:1]
	s_cbranch_execz .LBB90_753
; %bb.752:
	v_mov_b32_e32 v96, 35
	ds_write2_b64 v94, v[33:34], v[35:36] offset0:72 offset1:73
	ds_write2_b64 v94, v[29:30], v[31:32] offset0:74 offset1:75
	ds_write2_b64 v94, v[25:26], v[27:28] offset0:76 offset1:77
	ds_write2_b64 v94, v[21:22], v[23:24] offset0:78 offset1:79
	ds_write2_b64 v94, v[17:18], v[19:20] offset0:80 offset1:81
	ds_write2_b64 v94, v[13:14], v[15:16] offset0:82 offset1:83
	ds_write2_b64 v94, v[9:10], v[11:12] offset0:84 offset1:85
	ds_write2_b64 v94, v[5:6], v[7:8] offset0:86 offset1:87
	ds_write2_b64 v94, v[1:2], v[3:4] offset0:88 offset1:89
	ds_write2_b64 v94, v[121:122], v[123:124] offset0:90 offset1:91
.LBB90_753:
	s_or_b64 exec, exec, s[0:1]
	v_cmp_lt_i32_e32 vcc, 35, v96
	s_waitcnt vmcnt(0) lgkmcnt(0)
	s_barrier
	s_and_saveexec_b64 s[0:1], vcc
	s_cbranch_execz .LBB90_755
; %bb.754:
	v_mul_f64 v[97:98], v[117:118], v[39:40]
	v_mul_f64 v[39:40], v[119:120], v[39:40]
	ds_read2_b64 v[99:102], v94 offset0:72 offset1:73
	v_fma_f64 v[97:98], v[119:120], v[37:38], v[97:98]
	v_fma_f64 v[37:38], v[117:118], v[37:38], -v[39:40]
	s_waitcnt lgkmcnt(0)
	v_mul_f64 v[39:40], v[101:102], v[97:98]
	v_fma_f64 v[39:40], v[99:100], v[37:38], -v[39:40]
	v_mul_f64 v[99:100], v[99:100], v[97:98]
	v_add_f64 v[33:34], v[33:34], -v[39:40]
	v_fma_f64 v[99:100], v[101:102], v[37:38], v[99:100]
	v_add_f64 v[35:36], v[35:36], -v[99:100]
	ds_read2_b64 v[99:102], v94 offset0:74 offset1:75
	s_waitcnt lgkmcnt(0)
	v_mul_f64 v[39:40], v[101:102], v[97:98]
	v_fma_f64 v[39:40], v[99:100], v[37:38], -v[39:40]
	v_mul_f64 v[99:100], v[99:100], v[97:98]
	v_add_f64 v[29:30], v[29:30], -v[39:40]
	v_fma_f64 v[99:100], v[101:102], v[37:38], v[99:100]
	v_add_f64 v[31:32], v[31:32], -v[99:100]
	ds_read2_b64 v[99:102], v94 offset0:76 offset1:77
	;; [unrolled: 8-line block ×9, first 2 shown]
	s_waitcnt lgkmcnt(0)
	v_mul_f64 v[39:40], v[101:102], v[97:98]
	v_fma_f64 v[39:40], v[99:100], v[37:38], -v[39:40]
	v_mul_f64 v[99:100], v[99:100], v[97:98]
	v_add_f64 v[121:122], v[121:122], -v[39:40]
	v_fma_f64 v[99:100], v[101:102], v[37:38], v[99:100]
	v_mov_b32_e32 v39, v97
	v_mov_b32_e32 v40, v98
	v_add_f64 v[123:124], v[123:124], -v[99:100]
.LBB90_755:
	s_or_b64 exec, exec, s[0:1]
	v_lshl_add_u32 v97, v96, 4, v94
	s_barrier
	ds_write2_b64 v97, v[33:34], v[35:36] offset1:1
	s_waitcnt lgkmcnt(0)
	s_barrier
	ds_read2_b64 v[117:120], v94 offset0:72 offset1:73
	s_cmp_lt_i32 s3, 38
	v_mov_b32_e32 v97, 36
	s_cbranch_scc1 .LBB90_758
; %bb.756:
	v_add_u32_e32 v98, 0x250, v94
	s_mov_b32 s0, 37
	v_mov_b32_e32 v97, 36
.LBB90_757:                             ; =>This Inner Loop Header: Depth=1
	s_waitcnt lgkmcnt(0)
	v_cmp_gt_f64_e32 vcc, 0, v[117:118]
	v_xor_b32_e32 v103, 0x80000000, v118
	ds_read2_b64 v[99:102], v98 offset1:1
	v_xor_b32_e32 v105, 0x80000000, v120
	v_add_u32_e32 v98, 16, v98
	s_waitcnt lgkmcnt(0)
	v_xor_b32_e32 v107, 0x80000000, v102
	v_cndmask_b32_e32 v104, v118, v103, vcc
	v_cmp_gt_f64_e32 vcc, 0, v[119:120]
	v_mov_b32_e32 v103, v117
	v_cndmask_b32_e32 v106, v120, v105, vcc
	v_cmp_gt_f64_e32 vcc, 0, v[99:100]
	v_mov_b32_e32 v105, v119
	v_add_f64 v[103:104], v[103:104], v[105:106]
	v_xor_b32_e32 v105, 0x80000000, v100
	v_cndmask_b32_e32 v106, v100, v105, vcc
	v_cmp_gt_f64_e32 vcc, 0, v[101:102]
	v_mov_b32_e32 v105, v99
	v_cndmask_b32_e32 v108, v102, v107, vcc
	v_mov_b32_e32 v107, v101
	v_add_f64 v[105:106], v[105:106], v[107:108]
	v_cmp_lt_f64_e32 vcc, v[103:104], v[105:106]
	v_cndmask_b32_e32 v117, v117, v99, vcc
	v_mov_b32_e32 v99, s0
	s_add_i32 s0, s0, 1
	v_cndmask_b32_e32 v118, v118, v100, vcc
	v_cndmask_b32_e32 v120, v120, v102, vcc
	;; [unrolled: 1-line block ×4, first 2 shown]
	s_cmp_lg_u32 s3, s0
	s_cbranch_scc1 .LBB90_757
.LBB90_758:
	s_waitcnt lgkmcnt(0)
	v_cmp_eq_f64_e32 vcc, 0, v[117:118]
	v_cmp_eq_f64_e64 s[0:1], 0, v[119:120]
	s_and_b64 s[0:1], vcc, s[0:1]
	s_and_saveexec_b64 s[18:19], s[0:1]
	s_xor_b64 s[0:1], exec, s[18:19]
; %bb.759:
	v_cmp_ne_u32_e32 vcc, 0, v95
	v_cndmask_b32_e32 v95, 37, v95, vcc
; %bb.760:
	s_andn2_saveexec_b64 s[0:1], s[0:1]
	s_cbranch_execz .LBB90_766
; %bb.761:
	v_cmp_ngt_f64_e64 s[18:19], |v[117:118]|, |v[119:120]|
	s_and_saveexec_b64 s[20:21], s[18:19]
	s_xor_b64 s[18:19], exec, s[20:21]
	s_cbranch_execz .LBB90_763
; %bb.762:
	v_div_scale_f64 v[98:99], s[20:21], v[119:120], v[119:120], v[117:118]
	v_rcp_f64_e32 v[100:101], v[98:99]
	v_fma_f64 v[102:103], -v[98:99], v[100:101], 1.0
	v_fma_f64 v[100:101], v[100:101], v[102:103], v[100:101]
	v_div_scale_f64 v[102:103], vcc, v[117:118], v[119:120], v[117:118]
	v_fma_f64 v[104:105], -v[98:99], v[100:101], 1.0
	v_fma_f64 v[100:101], v[100:101], v[104:105], v[100:101]
	v_mul_f64 v[104:105], v[102:103], v[100:101]
	v_fma_f64 v[98:99], -v[98:99], v[104:105], v[102:103]
	v_div_fmas_f64 v[98:99], v[98:99], v[100:101], v[104:105]
	v_div_fixup_f64 v[98:99], v[98:99], v[119:120], v[117:118]
	v_fma_f64 v[100:101], v[117:118], v[98:99], v[119:120]
	v_div_scale_f64 v[102:103], s[20:21], v[100:101], v[100:101], 1.0
	v_div_scale_f64 v[108:109], vcc, 1.0, v[100:101], 1.0
	v_rcp_f64_e32 v[104:105], v[102:103]
	v_fma_f64 v[106:107], -v[102:103], v[104:105], 1.0
	v_fma_f64 v[104:105], v[104:105], v[106:107], v[104:105]
	v_fma_f64 v[106:107], -v[102:103], v[104:105], 1.0
	v_fma_f64 v[104:105], v[104:105], v[106:107], v[104:105]
	v_mul_f64 v[106:107], v[108:109], v[104:105]
	v_fma_f64 v[102:103], -v[102:103], v[106:107], v[108:109]
	v_div_fmas_f64 v[102:103], v[102:103], v[104:105], v[106:107]
	v_div_fixup_f64 v[119:120], v[102:103], v[100:101], 1.0
	v_mul_f64 v[117:118], v[98:99], v[119:120]
	v_xor_b32_e32 v120, 0x80000000, v120
.LBB90_763:
	s_andn2_saveexec_b64 s[18:19], s[18:19]
	s_cbranch_execz .LBB90_765
; %bb.764:
	v_div_scale_f64 v[98:99], s[20:21], v[117:118], v[117:118], v[119:120]
	v_rcp_f64_e32 v[100:101], v[98:99]
	v_fma_f64 v[102:103], -v[98:99], v[100:101], 1.0
	v_fma_f64 v[100:101], v[100:101], v[102:103], v[100:101]
	v_div_scale_f64 v[102:103], vcc, v[119:120], v[117:118], v[119:120]
	v_fma_f64 v[104:105], -v[98:99], v[100:101], 1.0
	v_fma_f64 v[100:101], v[100:101], v[104:105], v[100:101]
	v_mul_f64 v[104:105], v[102:103], v[100:101]
	v_fma_f64 v[98:99], -v[98:99], v[104:105], v[102:103]
	v_div_fmas_f64 v[98:99], v[98:99], v[100:101], v[104:105]
	v_div_fixup_f64 v[98:99], v[98:99], v[117:118], v[119:120]
	v_fma_f64 v[100:101], v[119:120], v[98:99], v[117:118]
	v_div_scale_f64 v[102:103], s[20:21], v[100:101], v[100:101], 1.0
	v_div_scale_f64 v[108:109], vcc, 1.0, v[100:101], 1.0
	v_rcp_f64_e32 v[104:105], v[102:103]
	v_fma_f64 v[106:107], -v[102:103], v[104:105], 1.0
	v_fma_f64 v[104:105], v[104:105], v[106:107], v[104:105]
	v_fma_f64 v[106:107], -v[102:103], v[104:105], 1.0
	v_fma_f64 v[104:105], v[104:105], v[106:107], v[104:105]
	v_mul_f64 v[106:107], v[108:109], v[104:105]
	v_fma_f64 v[102:103], -v[102:103], v[106:107], v[108:109]
	v_div_fmas_f64 v[102:103], v[102:103], v[104:105], v[106:107]
	v_div_fixup_f64 v[117:118], v[102:103], v[100:101], 1.0
	v_mul_f64 v[119:120], v[98:99], -v[117:118]
.LBB90_765:
	s_or_b64 exec, exec, s[18:19]
.LBB90_766:
	s_or_b64 exec, exec, s[0:1]
	v_cmp_ne_u32_e32 vcc, v96, v97
	s_and_saveexec_b64 s[0:1], vcc
	s_xor_b64 s[0:1], exec, s[0:1]
	s_cbranch_execz .LBB90_772
; %bb.767:
	v_cmp_eq_u32_e32 vcc, 36, v96
	s_and_saveexec_b64 s[18:19], vcc
	s_cbranch_execz .LBB90_771
; %bb.768:
	v_cmp_ne_u32_e32 vcc, 36, v97
	s_xor_b64 s[20:21], s[6:7], -1
	s_and_b64 s[22:23], s[20:21], vcc
	s_and_saveexec_b64 s[20:21], s[22:23]
	s_cbranch_execz .LBB90_770
; %bb.769:
	buffer_load_dword v85, off, s[24:27], 0 offset:304 ; 4-byte Folded Reload
	buffer_load_dword v86, off, s[24:27], 0 offset:308 ; 4-byte Folded Reload
	v_ashrrev_i32_e32 v98, 31, v97
	v_lshlrev_b64 v[98:99], 2, v[97:98]
	s_waitcnt vmcnt(1)
	v_add_co_u32_e32 v98, vcc, v85, v98
	s_waitcnt vmcnt(0)
	v_addc_co_u32_e32 v99, vcc, v86, v99, vcc
	global_load_dword v0, v[98:99], off
	global_load_dword v96, v[85:86], off offset:144
	s_waitcnt vmcnt(1)
	global_store_dword v[85:86], v0, off offset:144
	s_waitcnt vmcnt(1)
	global_store_dword v[98:99], v96, off
.LBB90_770:
	s_or_b64 exec, exec, s[20:21]
	v_mov_b32_e32 v96, v97
	v_mov_b32_e32 v0, v97
.LBB90_771:
	s_or_b64 exec, exec, s[18:19]
.LBB90_772:
	s_andn2_saveexec_b64 s[0:1], s[0:1]
	s_cbranch_execz .LBB90_774
; %bb.773:
	v_mov_b32_e32 v96, 36
	ds_write2_b64 v94, v[29:30], v[31:32] offset0:74 offset1:75
	ds_write2_b64 v94, v[25:26], v[27:28] offset0:76 offset1:77
	;; [unrolled: 1-line block ×9, first 2 shown]
.LBB90_774:
	s_or_b64 exec, exec, s[0:1]
	v_cmp_lt_i32_e32 vcc, 36, v96
	s_waitcnt vmcnt(0) lgkmcnt(0)
	s_barrier
	s_and_saveexec_b64 s[0:1], vcc
	s_cbranch_execz .LBB90_776
; %bb.775:
	v_mul_f64 v[97:98], v[117:118], v[35:36]
	v_mul_f64 v[35:36], v[119:120], v[35:36]
	ds_read2_b64 v[99:102], v94 offset0:74 offset1:75
	v_fma_f64 v[97:98], v[119:120], v[33:34], v[97:98]
	v_fma_f64 v[33:34], v[117:118], v[33:34], -v[35:36]
	s_waitcnt lgkmcnt(0)
	v_mul_f64 v[35:36], v[101:102], v[97:98]
	v_fma_f64 v[35:36], v[99:100], v[33:34], -v[35:36]
	v_mul_f64 v[99:100], v[99:100], v[97:98]
	v_add_f64 v[29:30], v[29:30], -v[35:36]
	v_fma_f64 v[99:100], v[101:102], v[33:34], v[99:100]
	v_add_f64 v[31:32], v[31:32], -v[99:100]
	ds_read2_b64 v[99:102], v94 offset0:76 offset1:77
	s_waitcnt lgkmcnt(0)
	v_mul_f64 v[35:36], v[101:102], v[97:98]
	v_fma_f64 v[35:36], v[99:100], v[33:34], -v[35:36]
	v_mul_f64 v[99:100], v[99:100], v[97:98]
	v_add_f64 v[25:26], v[25:26], -v[35:36]
	v_fma_f64 v[99:100], v[101:102], v[33:34], v[99:100]
	v_add_f64 v[27:28], v[27:28], -v[99:100]
	ds_read2_b64 v[99:102], v94 offset0:78 offset1:79
	;; [unrolled: 8-line block ×8, first 2 shown]
	s_waitcnt lgkmcnt(0)
	v_mul_f64 v[35:36], v[101:102], v[97:98]
	v_fma_f64 v[35:36], v[99:100], v[33:34], -v[35:36]
	v_mul_f64 v[99:100], v[99:100], v[97:98]
	v_add_f64 v[121:122], v[121:122], -v[35:36]
	v_fma_f64 v[99:100], v[101:102], v[33:34], v[99:100]
	v_mov_b32_e32 v35, v97
	v_mov_b32_e32 v36, v98
	v_add_f64 v[123:124], v[123:124], -v[99:100]
.LBB90_776:
	s_or_b64 exec, exec, s[0:1]
	v_lshl_add_u32 v97, v96, 4, v94
	s_barrier
	ds_write2_b64 v97, v[29:30], v[31:32] offset1:1
	s_waitcnt lgkmcnt(0)
	s_barrier
	ds_read2_b64 v[117:120], v94 offset0:74 offset1:75
	s_cmp_lt_i32 s3, 39
	v_mov_b32_e32 v97, 37
	s_cbranch_scc1 .LBB90_779
; %bb.777:
	v_add_u32_e32 v98, 0x260, v94
	s_mov_b32 s0, 38
	v_mov_b32_e32 v97, 37
.LBB90_778:                             ; =>This Inner Loop Header: Depth=1
	s_waitcnt lgkmcnt(0)
	v_cmp_gt_f64_e32 vcc, 0, v[117:118]
	v_xor_b32_e32 v103, 0x80000000, v118
	ds_read2_b64 v[99:102], v98 offset1:1
	v_xor_b32_e32 v105, 0x80000000, v120
	v_add_u32_e32 v98, 16, v98
	s_waitcnt lgkmcnt(0)
	v_xor_b32_e32 v107, 0x80000000, v102
	v_cndmask_b32_e32 v104, v118, v103, vcc
	v_cmp_gt_f64_e32 vcc, 0, v[119:120]
	v_mov_b32_e32 v103, v117
	v_cndmask_b32_e32 v106, v120, v105, vcc
	v_cmp_gt_f64_e32 vcc, 0, v[99:100]
	v_mov_b32_e32 v105, v119
	v_add_f64 v[103:104], v[103:104], v[105:106]
	v_xor_b32_e32 v105, 0x80000000, v100
	v_cndmask_b32_e32 v106, v100, v105, vcc
	v_cmp_gt_f64_e32 vcc, 0, v[101:102]
	v_mov_b32_e32 v105, v99
	v_cndmask_b32_e32 v108, v102, v107, vcc
	v_mov_b32_e32 v107, v101
	v_add_f64 v[105:106], v[105:106], v[107:108]
	v_cmp_lt_f64_e32 vcc, v[103:104], v[105:106]
	v_cndmask_b32_e32 v117, v117, v99, vcc
	v_mov_b32_e32 v99, s0
	s_add_i32 s0, s0, 1
	v_cndmask_b32_e32 v118, v118, v100, vcc
	v_cndmask_b32_e32 v120, v120, v102, vcc
	;; [unrolled: 1-line block ×4, first 2 shown]
	s_cmp_lg_u32 s3, s0
	s_cbranch_scc1 .LBB90_778
.LBB90_779:
	s_waitcnt lgkmcnt(0)
	v_cmp_eq_f64_e32 vcc, 0, v[117:118]
	v_cmp_eq_f64_e64 s[0:1], 0, v[119:120]
	s_and_b64 s[0:1], vcc, s[0:1]
	s_and_saveexec_b64 s[18:19], s[0:1]
	s_xor_b64 s[0:1], exec, s[18:19]
; %bb.780:
	v_cmp_ne_u32_e32 vcc, 0, v95
	v_cndmask_b32_e32 v95, 38, v95, vcc
; %bb.781:
	s_andn2_saveexec_b64 s[0:1], s[0:1]
	s_cbranch_execz .LBB90_787
; %bb.782:
	v_cmp_ngt_f64_e64 s[18:19], |v[117:118]|, |v[119:120]|
	s_and_saveexec_b64 s[20:21], s[18:19]
	s_xor_b64 s[18:19], exec, s[20:21]
	s_cbranch_execz .LBB90_784
; %bb.783:
	v_div_scale_f64 v[98:99], s[20:21], v[119:120], v[119:120], v[117:118]
	v_rcp_f64_e32 v[100:101], v[98:99]
	v_fma_f64 v[102:103], -v[98:99], v[100:101], 1.0
	v_fma_f64 v[100:101], v[100:101], v[102:103], v[100:101]
	v_div_scale_f64 v[102:103], vcc, v[117:118], v[119:120], v[117:118]
	v_fma_f64 v[104:105], -v[98:99], v[100:101], 1.0
	v_fma_f64 v[100:101], v[100:101], v[104:105], v[100:101]
	v_mul_f64 v[104:105], v[102:103], v[100:101]
	v_fma_f64 v[98:99], -v[98:99], v[104:105], v[102:103]
	v_div_fmas_f64 v[98:99], v[98:99], v[100:101], v[104:105]
	v_div_fixup_f64 v[98:99], v[98:99], v[119:120], v[117:118]
	v_fma_f64 v[100:101], v[117:118], v[98:99], v[119:120]
	v_div_scale_f64 v[102:103], s[20:21], v[100:101], v[100:101], 1.0
	v_div_scale_f64 v[108:109], vcc, 1.0, v[100:101], 1.0
	v_rcp_f64_e32 v[104:105], v[102:103]
	v_fma_f64 v[106:107], -v[102:103], v[104:105], 1.0
	v_fma_f64 v[104:105], v[104:105], v[106:107], v[104:105]
	v_fma_f64 v[106:107], -v[102:103], v[104:105], 1.0
	v_fma_f64 v[104:105], v[104:105], v[106:107], v[104:105]
	v_mul_f64 v[106:107], v[108:109], v[104:105]
	v_fma_f64 v[102:103], -v[102:103], v[106:107], v[108:109]
	v_div_fmas_f64 v[102:103], v[102:103], v[104:105], v[106:107]
	v_div_fixup_f64 v[119:120], v[102:103], v[100:101], 1.0
	v_mul_f64 v[117:118], v[98:99], v[119:120]
	v_xor_b32_e32 v120, 0x80000000, v120
.LBB90_784:
	s_andn2_saveexec_b64 s[18:19], s[18:19]
	s_cbranch_execz .LBB90_786
; %bb.785:
	v_div_scale_f64 v[98:99], s[20:21], v[117:118], v[117:118], v[119:120]
	v_rcp_f64_e32 v[100:101], v[98:99]
	v_fma_f64 v[102:103], -v[98:99], v[100:101], 1.0
	v_fma_f64 v[100:101], v[100:101], v[102:103], v[100:101]
	v_div_scale_f64 v[102:103], vcc, v[119:120], v[117:118], v[119:120]
	v_fma_f64 v[104:105], -v[98:99], v[100:101], 1.0
	v_fma_f64 v[100:101], v[100:101], v[104:105], v[100:101]
	v_mul_f64 v[104:105], v[102:103], v[100:101]
	v_fma_f64 v[98:99], -v[98:99], v[104:105], v[102:103]
	v_div_fmas_f64 v[98:99], v[98:99], v[100:101], v[104:105]
	v_div_fixup_f64 v[98:99], v[98:99], v[117:118], v[119:120]
	v_fma_f64 v[100:101], v[119:120], v[98:99], v[117:118]
	v_div_scale_f64 v[102:103], s[20:21], v[100:101], v[100:101], 1.0
	v_div_scale_f64 v[108:109], vcc, 1.0, v[100:101], 1.0
	v_rcp_f64_e32 v[104:105], v[102:103]
	v_fma_f64 v[106:107], -v[102:103], v[104:105], 1.0
	v_fma_f64 v[104:105], v[104:105], v[106:107], v[104:105]
	v_fma_f64 v[106:107], -v[102:103], v[104:105], 1.0
	v_fma_f64 v[104:105], v[104:105], v[106:107], v[104:105]
	v_mul_f64 v[106:107], v[108:109], v[104:105]
	v_fma_f64 v[102:103], -v[102:103], v[106:107], v[108:109]
	v_div_fmas_f64 v[102:103], v[102:103], v[104:105], v[106:107]
	v_div_fixup_f64 v[117:118], v[102:103], v[100:101], 1.0
	v_mul_f64 v[119:120], v[98:99], -v[117:118]
.LBB90_786:
	s_or_b64 exec, exec, s[18:19]
.LBB90_787:
	s_or_b64 exec, exec, s[0:1]
	v_cmp_ne_u32_e32 vcc, v96, v97
	s_and_saveexec_b64 s[0:1], vcc
	s_xor_b64 s[0:1], exec, s[0:1]
	s_cbranch_execz .LBB90_793
; %bb.788:
	v_cmp_eq_u32_e32 vcc, 37, v96
	s_and_saveexec_b64 s[18:19], vcc
	s_cbranch_execz .LBB90_792
; %bb.789:
	v_cmp_ne_u32_e32 vcc, 37, v97
	s_xor_b64 s[20:21], s[6:7], -1
	s_and_b64 s[22:23], s[20:21], vcc
	s_and_saveexec_b64 s[20:21], s[22:23]
	s_cbranch_execz .LBB90_791
; %bb.790:
	buffer_load_dword v85, off, s[24:27], 0 offset:304 ; 4-byte Folded Reload
	buffer_load_dword v86, off, s[24:27], 0 offset:308 ; 4-byte Folded Reload
	v_ashrrev_i32_e32 v98, 31, v97
	v_lshlrev_b64 v[98:99], 2, v[97:98]
	s_waitcnt vmcnt(1)
	v_add_co_u32_e32 v98, vcc, v85, v98
	s_waitcnt vmcnt(0)
	v_addc_co_u32_e32 v99, vcc, v86, v99, vcc
	global_load_dword v0, v[98:99], off
	global_load_dword v96, v[85:86], off offset:148
	s_waitcnt vmcnt(1)
	global_store_dword v[85:86], v0, off offset:148
	s_waitcnt vmcnt(1)
	global_store_dword v[98:99], v96, off
.LBB90_791:
	s_or_b64 exec, exec, s[20:21]
	v_mov_b32_e32 v96, v97
	v_mov_b32_e32 v0, v97
.LBB90_792:
	s_or_b64 exec, exec, s[18:19]
.LBB90_793:
	s_andn2_saveexec_b64 s[0:1], s[0:1]
	s_cbranch_execz .LBB90_795
; %bb.794:
	v_mov_b32_e32 v96, 37
	ds_write2_b64 v94, v[25:26], v[27:28] offset0:76 offset1:77
	ds_write2_b64 v94, v[21:22], v[23:24] offset0:78 offset1:79
	;; [unrolled: 1-line block ×8, first 2 shown]
.LBB90_795:
	s_or_b64 exec, exec, s[0:1]
	v_cmp_lt_i32_e32 vcc, 37, v96
	s_waitcnt vmcnt(0) lgkmcnt(0)
	s_barrier
	s_and_saveexec_b64 s[0:1], vcc
	s_cbranch_execz .LBB90_797
; %bb.796:
	v_mul_f64 v[97:98], v[117:118], v[31:32]
	v_mul_f64 v[31:32], v[119:120], v[31:32]
	ds_read2_b64 v[99:102], v94 offset0:76 offset1:77
	v_fma_f64 v[97:98], v[119:120], v[29:30], v[97:98]
	v_fma_f64 v[29:30], v[117:118], v[29:30], -v[31:32]
	s_waitcnt lgkmcnt(0)
	v_mul_f64 v[31:32], v[101:102], v[97:98]
	v_fma_f64 v[31:32], v[99:100], v[29:30], -v[31:32]
	v_mul_f64 v[99:100], v[99:100], v[97:98]
	v_add_f64 v[25:26], v[25:26], -v[31:32]
	v_fma_f64 v[99:100], v[101:102], v[29:30], v[99:100]
	v_add_f64 v[27:28], v[27:28], -v[99:100]
	ds_read2_b64 v[99:102], v94 offset0:78 offset1:79
	s_waitcnt lgkmcnt(0)
	v_mul_f64 v[31:32], v[101:102], v[97:98]
	v_fma_f64 v[31:32], v[99:100], v[29:30], -v[31:32]
	v_mul_f64 v[99:100], v[99:100], v[97:98]
	v_add_f64 v[21:22], v[21:22], -v[31:32]
	v_fma_f64 v[99:100], v[101:102], v[29:30], v[99:100]
	v_add_f64 v[23:24], v[23:24], -v[99:100]
	ds_read2_b64 v[99:102], v94 offset0:80 offset1:81
	;; [unrolled: 8-line block ×7, first 2 shown]
	s_waitcnt lgkmcnt(0)
	v_mul_f64 v[31:32], v[101:102], v[97:98]
	v_fma_f64 v[31:32], v[99:100], v[29:30], -v[31:32]
	v_mul_f64 v[99:100], v[99:100], v[97:98]
	v_add_f64 v[121:122], v[121:122], -v[31:32]
	v_fma_f64 v[99:100], v[101:102], v[29:30], v[99:100]
	v_mov_b32_e32 v31, v97
	v_mov_b32_e32 v32, v98
	v_add_f64 v[123:124], v[123:124], -v[99:100]
.LBB90_797:
	s_or_b64 exec, exec, s[0:1]
	v_lshl_add_u32 v97, v96, 4, v94
	s_barrier
	ds_write2_b64 v97, v[25:26], v[27:28] offset1:1
	s_waitcnt lgkmcnt(0)
	s_barrier
	ds_read2_b64 v[117:120], v94 offset0:76 offset1:77
	s_cmp_lt_i32 s3, 40
	v_mov_b32_e32 v97, 38
	s_cbranch_scc1 .LBB90_800
; %bb.798:
	v_add_u32_e32 v98, 0x270, v94
	s_mov_b32 s0, 39
	v_mov_b32_e32 v97, 38
.LBB90_799:                             ; =>This Inner Loop Header: Depth=1
	s_waitcnt lgkmcnt(0)
	v_cmp_gt_f64_e32 vcc, 0, v[117:118]
	v_xor_b32_e32 v103, 0x80000000, v118
	ds_read2_b64 v[99:102], v98 offset1:1
	v_xor_b32_e32 v105, 0x80000000, v120
	v_add_u32_e32 v98, 16, v98
	s_waitcnt lgkmcnt(0)
	v_xor_b32_e32 v107, 0x80000000, v102
	v_cndmask_b32_e32 v104, v118, v103, vcc
	v_cmp_gt_f64_e32 vcc, 0, v[119:120]
	v_mov_b32_e32 v103, v117
	v_cndmask_b32_e32 v106, v120, v105, vcc
	v_cmp_gt_f64_e32 vcc, 0, v[99:100]
	v_mov_b32_e32 v105, v119
	v_add_f64 v[103:104], v[103:104], v[105:106]
	v_xor_b32_e32 v105, 0x80000000, v100
	v_cndmask_b32_e32 v106, v100, v105, vcc
	v_cmp_gt_f64_e32 vcc, 0, v[101:102]
	v_mov_b32_e32 v105, v99
	v_cndmask_b32_e32 v108, v102, v107, vcc
	v_mov_b32_e32 v107, v101
	v_add_f64 v[105:106], v[105:106], v[107:108]
	v_cmp_lt_f64_e32 vcc, v[103:104], v[105:106]
	v_cndmask_b32_e32 v117, v117, v99, vcc
	v_mov_b32_e32 v99, s0
	s_add_i32 s0, s0, 1
	v_cndmask_b32_e32 v118, v118, v100, vcc
	v_cndmask_b32_e32 v120, v120, v102, vcc
	;; [unrolled: 1-line block ×4, first 2 shown]
	s_cmp_lg_u32 s3, s0
	s_cbranch_scc1 .LBB90_799
.LBB90_800:
	s_waitcnt lgkmcnt(0)
	v_cmp_eq_f64_e32 vcc, 0, v[117:118]
	v_cmp_eq_f64_e64 s[0:1], 0, v[119:120]
	s_and_b64 s[0:1], vcc, s[0:1]
	s_and_saveexec_b64 s[18:19], s[0:1]
	s_xor_b64 s[0:1], exec, s[18:19]
; %bb.801:
	v_cmp_ne_u32_e32 vcc, 0, v95
	v_cndmask_b32_e32 v95, 39, v95, vcc
; %bb.802:
	s_andn2_saveexec_b64 s[0:1], s[0:1]
	s_cbranch_execz .LBB90_808
; %bb.803:
	v_cmp_ngt_f64_e64 s[18:19], |v[117:118]|, |v[119:120]|
	s_and_saveexec_b64 s[20:21], s[18:19]
	s_xor_b64 s[18:19], exec, s[20:21]
	s_cbranch_execz .LBB90_805
; %bb.804:
	v_div_scale_f64 v[98:99], s[20:21], v[119:120], v[119:120], v[117:118]
	v_rcp_f64_e32 v[100:101], v[98:99]
	v_fma_f64 v[102:103], -v[98:99], v[100:101], 1.0
	v_fma_f64 v[100:101], v[100:101], v[102:103], v[100:101]
	v_div_scale_f64 v[102:103], vcc, v[117:118], v[119:120], v[117:118]
	v_fma_f64 v[104:105], -v[98:99], v[100:101], 1.0
	v_fma_f64 v[100:101], v[100:101], v[104:105], v[100:101]
	v_mul_f64 v[104:105], v[102:103], v[100:101]
	v_fma_f64 v[98:99], -v[98:99], v[104:105], v[102:103]
	v_div_fmas_f64 v[98:99], v[98:99], v[100:101], v[104:105]
	v_div_fixup_f64 v[98:99], v[98:99], v[119:120], v[117:118]
	v_fma_f64 v[100:101], v[117:118], v[98:99], v[119:120]
	v_div_scale_f64 v[102:103], s[20:21], v[100:101], v[100:101], 1.0
	v_div_scale_f64 v[108:109], vcc, 1.0, v[100:101], 1.0
	v_rcp_f64_e32 v[104:105], v[102:103]
	v_fma_f64 v[106:107], -v[102:103], v[104:105], 1.0
	v_fma_f64 v[104:105], v[104:105], v[106:107], v[104:105]
	v_fma_f64 v[106:107], -v[102:103], v[104:105], 1.0
	v_fma_f64 v[104:105], v[104:105], v[106:107], v[104:105]
	v_mul_f64 v[106:107], v[108:109], v[104:105]
	v_fma_f64 v[102:103], -v[102:103], v[106:107], v[108:109]
	v_div_fmas_f64 v[102:103], v[102:103], v[104:105], v[106:107]
	v_div_fixup_f64 v[119:120], v[102:103], v[100:101], 1.0
	v_mul_f64 v[117:118], v[98:99], v[119:120]
	v_xor_b32_e32 v120, 0x80000000, v120
.LBB90_805:
	s_andn2_saveexec_b64 s[18:19], s[18:19]
	s_cbranch_execz .LBB90_807
; %bb.806:
	v_div_scale_f64 v[98:99], s[20:21], v[117:118], v[117:118], v[119:120]
	v_rcp_f64_e32 v[100:101], v[98:99]
	v_fma_f64 v[102:103], -v[98:99], v[100:101], 1.0
	v_fma_f64 v[100:101], v[100:101], v[102:103], v[100:101]
	v_div_scale_f64 v[102:103], vcc, v[119:120], v[117:118], v[119:120]
	v_fma_f64 v[104:105], -v[98:99], v[100:101], 1.0
	v_fma_f64 v[100:101], v[100:101], v[104:105], v[100:101]
	v_mul_f64 v[104:105], v[102:103], v[100:101]
	v_fma_f64 v[98:99], -v[98:99], v[104:105], v[102:103]
	v_div_fmas_f64 v[98:99], v[98:99], v[100:101], v[104:105]
	v_div_fixup_f64 v[98:99], v[98:99], v[117:118], v[119:120]
	v_fma_f64 v[100:101], v[119:120], v[98:99], v[117:118]
	v_div_scale_f64 v[102:103], s[20:21], v[100:101], v[100:101], 1.0
	v_div_scale_f64 v[108:109], vcc, 1.0, v[100:101], 1.0
	v_rcp_f64_e32 v[104:105], v[102:103]
	v_fma_f64 v[106:107], -v[102:103], v[104:105], 1.0
	v_fma_f64 v[104:105], v[104:105], v[106:107], v[104:105]
	v_fma_f64 v[106:107], -v[102:103], v[104:105], 1.0
	v_fma_f64 v[104:105], v[104:105], v[106:107], v[104:105]
	v_mul_f64 v[106:107], v[108:109], v[104:105]
	v_fma_f64 v[102:103], -v[102:103], v[106:107], v[108:109]
	v_div_fmas_f64 v[102:103], v[102:103], v[104:105], v[106:107]
	v_div_fixup_f64 v[117:118], v[102:103], v[100:101], 1.0
	v_mul_f64 v[119:120], v[98:99], -v[117:118]
.LBB90_807:
	s_or_b64 exec, exec, s[18:19]
.LBB90_808:
	s_or_b64 exec, exec, s[0:1]
	v_cmp_ne_u32_e32 vcc, v96, v97
	s_and_saveexec_b64 s[0:1], vcc
	s_xor_b64 s[0:1], exec, s[0:1]
	s_cbranch_execz .LBB90_814
; %bb.809:
	v_cmp_eq_u32_e32 vcc, 38, v96
	s_and_saveexec_b64 s[18:19], vcc
	s_cbranch_execz .LBB90_813
; %bb.810:
	v_cmp_ne_u32_e32 vcc, 38, v97
	s_xor_b64 s[20:21], s[6:7], -1
	s_and_b64 s[22:23], s[20:21], vcc
	s_and_saveexec_b64 s[20:21], s[22:23]
	s_cbranch_execz .LBB90_812
; %bb.811:
	buffer_load_dword v85, off, s[24:27], 0 offset:304 ; 4-byte Folded Reload
	buffer_load_dword v86, off, s[24:27], 0 offset:308 ; 4-byte Folded Reload
	v_ashrrev_i32_e32 v98, 31, v97
	v_lshlrev_b64 v[98:99], 2, v[97:98]
	s_waitcnt vmcnt(1)
	v_add_co_u32_e32 v98, vcc, v85, v98
	s_waitcnt vmcnt(0)
	v_addc_co_u32_e32 v99, vcc, v86, v99, vcc
	global_load_dword v0, v[98:99], off
	global_load_dword v96, v[85:86], off offset:152
	s_waitcnt vmcnt(1)
	global_store_dword v[85:86], v0, off offset:152
	s_waitcnt vmcnt(1)
	global_store_dword v[98:99], v96, off
.LBB90_812:
	s_or_b64 exec, exec, s[20:21]
	v_mov_b32_e32 v96, v97
	v_mov_b32_e32 v0, v97
.LBB90_813:
	s_or_b64 exec, exec, s[18:19]
.LBB90_814:
	s_andn2_saveexec_b64 s[0:1], s[0:1]
	s_cbranch_execz .LBB90_816
; %bb.815:
	v_mov_b32_e32 v96, 38
	ds_write2_b64 v94, v[21:22], v[23:24] offset0:78 offset1:79
	ds_write2_b64 v94, v[17:18], v[19:20] offset0:80 offset1:81
	ds_write2_b64 v94, v[13:14], v[15:16] offset0:82 offset1:83
	ds_write2_b64 v94, v[9:10], v[11:12] offset0:84 offset1:85
	ds_write2_b64 v94, v[5:6], v[7:8] offset0:86 offset1:87
	ds_write2_b64 v94, v[1:2], v[3:4] offset0:88 offset1:89
	ds_write2_b64 v94, v[121:122], v[123:124] offset0:90 offset1:91
.LBB90_816:
	s_or_b64 exec, exec, s[0:1]
	v_cmp_lt_i32_e32 vcc, 38, v96
	s_waitcnt vmcnt(0) lgkmcnt(0)
	s_barrier
	s_and_saveexec_b64 s[0:1], vcc
	s_cbranch_execz .LBB90_818
; %bb.817:
	v_mul_f64 v[97:98], v[117:118], v[27:28]
	v_mul_f64 v[27:28], v[119:120], v[27:28]
	ds_read2_b64 v[99:102], v94 offset0:78 offset1:79
	v_fma_f64 v[97:98], v[119:120], v[25:26], v[97:98]
	v_fma_f64 v[25:26], v[117:118], v[25:26], -v[27:28]
	s_waitcnt lgkmcnt(0)
	v_mul_f64 v[27:28], v[101:102], v[97:98]
	v_fma_f64 v[27:28], v[99:100], v[25:26], -v[27:28]
	v_mul_f64 v[99:100], v[99:100], v[97:98]
	v_add_f64 v[21:22], v[21:22], -v[27:28]
	v_fma_f64 v[99:100], v[101:102], v[25:26], v[99:100]
	v_add_f64 v[23:24], v[23:24], -v[99:100]
	ds_read2_b64 v[99:102], v94 offset0:80 offset1:81
	s_waitcnt lgkmcnt(0)
	v_mul_f64 v[27:28], v[101:102], v[97:98]
	v_fma_f64 v[27:28], v[99:100], v[25:26], -v[27:28]
	v_mul_f64 v[99:100], v[99:100], v[97:98]
	v_add_f64 v[17:18], v[17:18], -v[27:28]
	v_fma_f64 v[99:100], v[101:102], v[25:26], v[99:100]
	v_add_f64 v[19:20], v[19:20], -v[99:100]
	ds_read2_b64 v[99:102], v94 offset0:82 offset1:83
	;; [unrolled: 8-line block ×6, first 2 shown]
	s_waitcnt lgkmcnt(0)
	v_mul_f64 v[27:28], v[101:102], v[97:98]
	v_fma_f64 v[27:28], v[99:100], v[25:26], -v[27:28]
	v_mul_f64 v[99:100], v[99:100], v[97:98]
	v_add_f64 v[121:122], v[121:122], -v[27:28]
	v_fma_f64 v[99:100], v[101:102], v[25:26], v[99:100]
	v_mov_b32_e32 v27, v97
	v_mov_b32_e32 v28, v98
	v_add_f64 v[123:124], v[123:124], -v[99:100]
.LBB90_818:
	s_or_b64 exec, exec, s[0:1]
	v_lshl_add_u32 v97, v96, 4, v94
	s_barrier
	ds_write2_b64 v97, v[21:22], v[23:24] offset1:1
	s_waitcnt lgkmcnt(0)
	s_barrier
	ds_read2_b64 v[117:120], v94 offset0:78 offset1:79
	s_cmp_lt_i32 s3, 41
	v_mov_b32_e32 v97, 39
	s_cbranch_scc1 .LBB90_821
; %bb.819:
	v_add_u32_e32 v98, 0x280, v94
	s_mov_b32 s0, 40
	v_mov_b32_e32 v97, 39
.LBB90_820:                             ; =>This Inner Loop Header: Depth=1
	s_waitcnt lgkmcnt(0)
	v_cmp_gt_f64_e32 vcc, 0, v[117:118]
	v_xor_b32_e32 v103, 0x80000000, v118
	ds_read2_b64 v[99:102], v98 offset1:1
	v_xor_b32_e32 v105, 0x80000000, v120
	v_add_u32_e32 v98, 16, v98
	s_waitcnt lgkmcnt(0)
	v_xor_b32_e32 v107, 0x80000000, v102
	v_cndmask_b32_e32 v104, v118, v103, vcc
	v_cmp_gt_f64_e32 vcc, 0, v[119:120]
	v_mov_b32_e32 v103, v117
	v_cndmask_b32_e32 v106, v120, v105, vcc
	v_cmp_gt_f64_e32 vcc, 0, v[99:100]
	v_mov_b32_e32 v105, v119
	v_add_f64 v[103:104], v[103:104], v[105:106]
	v_xor_b32_e32 v105, 0x80000000, v100
	v_cndmask_b32_e32 v106, v100, v105, vcc
	v_cmp_gt_f64_e32 vcc, 0, v[101:102]
	v_mov_b32_e32 v105, v99
	v_cndmask_b32_e32 v108, v102, v107, vcc
	v_mov_b32_e32 v107, v101
	v_add_f64 v[105:106], v[105:106], v[107:108]
	v_cmp_lt_f64_e32 vcc, v[103:104], v[105:106]
	v_cndmask_b32_e32 v117, v117, v99, vcc
	v_mov_b32_e32 v99, s0
	s_add_i32 s0, s0, 1
	v_cndmask_b32_e32 v118, v118, v100, vcc
	v_cndmask_b32_e32 v120, v120, v102, vcc
	v_cndmask_b32_e32 v119, v119, v101, vcc
	v_cndmask_b32_e32 v97, v97, v99, vcc
	s_cmp_lg_u32 s3, s0
	s_cbranch_scc1 .LBB90_820
.LBB90_821:
	s_waitcnt lgkmcnt(0)
	v_cmp_eq_f64_e32 vcc, 0, v[117:118]
	v_cmp_eq_f64_e64 s[0:1], 0, v[119:120]
	s_and_b64 s[0:1], vcc, s[0:1]
	s_and_saveexec_b64 s[18:19], s[0:1]
	s_xor_b64 s[0:1], exec, s[18:19]
; %bb.822:
	v_cmp_ne_u32_e32 vcc, 0, v95
	v_cndmask_b32_e32 v95, 40, v95, vcc
; %bb.823:
	s_andn2_saveexec_b64 s[0:1], s[0:1]
	s_cbranch_execz .LBB90_829
; %bb.824:
	v_cmp_ngt_f64_e64 s[18:19], |v[117:118]|, |v[119:120]|
	s_and_saveexec_b64 s[20:21], s[18:19]
	s_xor_b64 s[18:19], exec, s[20:21]
	s_cbranch_execz .LBB90_826
; %bb.825:
	v_div_scale_f64 v[98:99], s[20:21], v[119:120], v[119:120], v[117:118]
	v_rcp_f64_e32 v[100:101], v[98:99]
	v_fma_f64 v[102:103], -v[98:99], v[100:101], 1.0
	v_fma_f64 v[100:101], v[100:101], v[102:103], v[100:101]
	v_div_scale_f64 v[102:103], vcc, v[117:118], v[119:120], v[117:118]
	v_fma_f64 v[104:105], -v[98:99], v[100:101], 1.0
	v_fma_f64 v[100:101], v[100:101], v[104:105], v[100:101]
	v_mul_f64 v[104:105], v[102:103], v[100:101]
	v_fma_f64 v[98:99], -v[98:99], v[104:105], v[102:103]
	v_div_fmas_f64 v[98:99], v[98:99], v[100:101], v[104:105]
	v_div_fixup_f64 v[98:99], v[98:99], v[119:120], v[117:118]
	v_fma_f64 v[100:101], v[117:118], v[98:99], v[119:120]
	v_div_scale_f64 v[102:103], s[20:21], v[100:101], v[100:101], 1.0
	v_div_scale_f64 v[108:109], vcc, 1.0, v[100:101], 1.0
	v_rcp_f64_e32 v[104:105], v[102:103]
	v_fma_f64 v[106:107], -v[102:103], v[104:105], 1.0
	v_fma_f64 v[104:105], v[104:105], v[106:107], v[104:105]
	v_fma_f64 v[106:107], -v[102:103], v[104:105], 1.0
	v_fma_f64 v[104:105], v[104:105], v[106:107], v[104:105]
	v_mul_f64 v[106:107], v[108:109], v[104:105]
	v_fma_f64 v[102:103], -v[102:103], v[106:107], v[108:109]
	v_div_fmas_f64 v[102:103], v[102:103], v[104:105], v[106:107]
	v_div_fixup_f64 v[119:120], v[102:103], v[100:101], 1.0
	v_mul_f64 v[117:118], v[98:99], v[119:120]
	v_xor_b32_e32 v120, 0x80000000, v120
.LBB90_826:
	s_andn2_saveexec_b64 s[18:19], s[18:19]
	s_cbranch_execz .LBB90_828
; %bb.827:
	v_div_scale_f64 v[98:99], s[20:21], v[117:118], v[117:118], v[119:120]
	v_rcp_f64_e32 v[100:101], v[98:99]
	v_fma_f64 v[102:103], -v[98:99], v[100:101], 1.0
	v_fma_f64 v[100:101], v[100:101], v[102:103], v[100:101]
	v_div_scale_f64 v[102:103], vcc, v[119:120], v[117:118], v[119:120]
	v_fma_f64 v[104:105], -v[98:99], v[100:101], 1.0
	v_fma_f64 v[100:101], v[100:101], v[104:105], v[100:101]
	v_mul_f64 v[104:105], v[102:103], v[100:101]
	v_fma_f64 v[98:99], -v[98:99], v[104:105], v[102:103]
	v_div_fmas_f64 v[98:99], v[98:99], v[100:101], v[104:105]
	v_div_fixup_f64 v[98:99], v[98:99], v[117:118], v[119:120]
	v_fma_f64 v[100:101], v[119:120], v[98:99], v[117:118]
	v_div_scale_f64 v[102:103], s[20:21], v[100:101], v[100:101], 1.0
	v_div_scale_f64 v[108:109], vcc, 1.0, v[100:101], 1.0
	v_rcp_f64_e32 v[104:105], v[102:103]
	v_fma_f64 v[106:107], -v[102:103], v[104:105], 1.0
	v_fma_f64 v[104:105], v[104:105], v[106:107], v[104:105]
	v_fma_f64 v[106:107], -v[102:103], v[104:105], 1.0
	v_fma_f64 v[104:105], v[104:105], v[106:107], v[104:105]
	v_mul_f64 v[106:107], v[108:109], v[104:105]
	v_fma_f64 v[102:103], -v[102:103], v[106:107], v[108:109]
	v_div_fmas_f64 v[102:103], v[102:103], v[104:105], v[106:107]
	v_div_fixup_f64 v[117:118], v[102:103], v[100:101], 1.0
	v_mul_f64 v[119:120], v[98:99], -v[117:118]
.LBB90_828:
	s_or_b64 exec, exec, s[18:19]
.LBB90_829:
	s_or_b64 exec, exec, s[0:1]
	v_cmp_ne_u32_e32 vcc, v96, v97
	s_and_saveexec_b64 s[0:1], vcc
	s_xor_b64 s[0:1], exec, s[0:1]
	s_cbranch_execz .LBB90_835
; %bb.830:
	v_cmp_eq_u32_e32 vcc, 39, v96
	s_and_saveexec_b64 s[18:19], vcc
	s_cbranch_execz .LBB90_834
; %bb.831:
	v_cmp_ne_u32_e32 vcc, 39, v97
	s_xor_b64 s[20:21], s[6:7], -1
	s_and_b64 s[22:23], s[20:21], vcc
	s_and_saveexec_b64 s[20:21], s[22:23]
	s_cbranch_execz .LBB90_833
; %bb.832:
	buffer_load_dword v85, off, s[24:27], 0 offset:304 ; 4-byte Folded Reload
	buffer_load_dword v86, off, s[24:27], 0 offset:308 ; 4-byte Folded Reload
	v_ashrrev_i32_e32 v98, 31, v97
	v_lshlrev_b64 v[98:99], 2, v[97:98]
	s_waitcnt vmcnt(1)
	v_add_co_u32_e32 v98, vcc, v85, v98
	s_waitcnt vmcnt(0)
	v_addc_co_u32_e32 v99, vcc, v86, v99, vcc
	global_load_dword v0, v[98:99], off
	global_load_dword v96, v[85:86], off offset:156
	s_waitcnt vmcnt(1)
	global_store_dword v[85:86], v0, off offset:156
	s_waitcnt vmcnt(1)
	global_store_dword v[98:99], v96, off
.LBB90_833:
	s_or_b64 exec, exec, s[20:21]
	v_mov_b32_e32 v96, v97
	v_mov_b32_e32 v0, v97
.LBB90_834:
	s_or_b64 exec, exec, s[18:19]
.LBB90_835:
	s_andn2_saveexec_b64 s[0:1], s[0:1]
	s_cbranch_execz .LBB90_837
; %bb.836:
	v_mov_b32_e32 v96, 39
	ds_write2_b64 v94, v[17:18], v[19:20] offset0:80 offset1:81
	ds_write2_b64 v94, v[13:14], v[15:16] offset0:82 offset1:83
	;; [unrolled: 1-line block ×6, first 2 shown]
.LBB90_837:
	s_or_b64 exec, exec, s[0:1]
	v_cmp_lt_i32_e32 vcc, 39, v96
	s_waitcnt vmcnt(0) lgkmcnt(0)
	s_barrier
	s_and_saveexec_b64 s[0:1], vcc
	s_cbranch_execz .LBB90_839
; %bb.838:
	v_mul_f64 v[97:98], v[117:118], v[23:24]
	v_mul_f64 v[23:24], v[119:120], v[23:24]
	ds_read2_b64 v[99:102], v94 offset0:80 offset1:81
	v_fma_f64 v[97:98], v[119:120], v[21:22], v[97:98]
	v_fma_f64 v[21:22], v[117:118], v[21:22], -v[23:24]
	s_waitcnt lgkmcnt(0)
	v_mul_f64 v[23:24], v[101:102], v[97:98]
	v_fma_f64 v[23:24], v[99:100], v[21:22], -v[23:24]
	v_mul_f64 v[99:100], v[99:100], v[97:98]
	v_add_f64 v[17:18], v[17:18], -v[23:24]
	v_fma_f64 v[99:100], v[101:102], v[21:22], v[99:100]
	v_add_f64 v[19:20], v[19:20], -v[99:100]
	ds_read2_b64 v[99:102], v94 offset0:82 offset1:83
	s_waitcnt lgkmcnt(0)
	v_mul_f64 v[23:24], v[101:102], v[97:98]
	v_fma_f64 v[23:24], v[99:100], v[21:22], -v[23:24]
	v_mul_f64 v[99:100], v[99:100], v[97:98]
	v_add_f64 v[13:14], v[13:14], -v[23:24]
	v_fma_f64 v[99:100], v[101:102], v[21:22], v[99:100]
	v_add_f64 v[15:16], v[15:16], -v[99:100]
	ds_read2_b64 v[99:102], v94 offset0:84 offset1:85
	;; [unrolled: 8-line block ×5, first 2 shown]
	s_waitcnt lgkmcnt(0)
	v_mul_f64 v[23:24], v[101:102], v[97:98]
	v_fma_f64 v[23:24], v[99:100], v[21:22], -v[23:24]
	v_mul_f64 v[99:100], v[99:100], v[97:98]
	v_add_f64 v[121:122], v[121:122], -v[23:24]
	v_fma_f64 v[99:100], v[101:102], v[21:22], v[99:100]
	v_mov_b32_e32 v23, v97
	v_mov_b32_e32 v24, v98
	v_add_f64 v[123:124], v[123:124], -v[99:100]
.LBB90_839:
	s_or_b64 exec, exec, s[0:1]
	v_lshl_add_u32 v97, v96, 4, v94
	s_barrier
	ds_write2_b64 v97, v[17:18], v[19:20] offset1:1
	s_waitcnt lgkmcnt(0)
	s_barrier
	ds_read2_b64 v[117:120], v94 offset0:80 offset1:81
	s_cmp_lt_i32 s3, 42
	v_mov_b32_e32 v97, 40
	s_cbranch_scc1 .LBB90_842
; %bb.840:
	v_add_u32_e32 v98, 0x290, v94
	s_mov_b32 s0, 41
	v_mov_b32_e32 v97, 40
.LBB90_841:                             ; =>This Inner Loop Header: Depth=1
	s_waitcnt lgkmcnt(0)
	v_cmp_gt_f64_e32 vcc, 0, v[117:118]
	v_xor_b32_e32 v103, 0x80000000, v118
	ds_read2_b64 v[99:102], v98 offset1:1
	v_xor_b32_e32 v105, 0x80000000, v120
	v_add_u32_e32 v98, 16, v98
	s_waitcnt lgkmcnt(0)
	v_xor_b32_e32 v107, 0x80000000, v102
	v_cndmask_b32_e32 v104, v118, v103, vcc
	v_cmp_gt_f64_e32 vcc, 0, v[119:120]
	v_mov_b32_e32 v103, v117
	v_cndmask_b32_e32 v106, v120, v105, vcc
	v_cmp_gt_f64_e32 vcc, 0, v[99:100]
	v_mov_b32_e32 v105, v119
	v_add_f64 v[103:104], v[103:104], v[105:106]
	v_xor_b32_e32 v105, 0x80000000, v100
	v_cndmask_b32_e32 v106, v100, v105, vcc
	v_cmp_gt_f64_e32 vcc, 0, v[101:102]
	v_mov_b32_e32 v105, v99
	v_cndmask_b32_e32 v108, v102, v107, vcc
	v_mov_b32_e32 v107, v101
	v_add_f64 v[105:106], v[105:106], v[107:108]
	v_cmp_lt_f64_e32 vcc, v[103:104], v[105:106]
	v_cndmask_b32_e32 v117, v117, v99, vcc
	v_mov_b32_e32 v99, s0
	s_add_i32 s0, s0, 1
	v_cndmask_b32_e32 v118, v118, v100, vcc
	v_cndmask_b32_e32 v120, v120, v102, vcc
	;; [unrolled: 1-line block ×4, first 2 shown]
	s_cmp_lg_u32 s3, s0
	s_cbranch_scc1 .LBB90_841
.LBB90_842:
	s_waitcnt lgkmcnt(0)
	v_cmp_eq_f64_e32 vcc, 0, v[117:118]
	v_cmp_eq_f64_e64 s[0:1], 0, v[119:120]
	s_and_b64 s[0:1], vcc, s[0:1]
	s_and_saveexec_b64 s[18:19], s[0:1]
	s_xor_b64 s[0:1], exec, s[18:19]
; %bb.843:
	v_cmp_ne_u32_e32 vcc, 0, v95
	v_cndmask_b32_e32 v95, 41, v95, vcc
; %bb.844:
	s_andn2_saveexec_b64 s[0:1], s[0:1]
	s_cbranch_execz .LBB90_850
; %bb.845:
	v_cmp_ngt_f64_e64 s[18:19], |v[117:118]|, |v[119:120]|
	s_and_saveexec_b64 s[20:21], s[18:19]
	s_xor_b64 s[18:19], exec, s[20:21]
	s_cbranch_execz .LBB90_847
; %bb.846:
	v_div_scale_f64 v[98:99], s[20:21], v[119:120], v[119:120], v[117:118]
	v_rcp_f64_e32 v[100:101], v[98:99]
	v_fma_f64 v[102:103], -v[98:99], v[100:101], 1.0
	v_fma_f64 v[100:101], v[100:101], v[102:103], v[100:101]
	v_div_scale_f64 v[102:103], vcc, v[117:118], v[119:120], v[117:118]
	v_fma_f64 v[104:105], -v[98:99], v[100:101], 1.0
	v_fma_f64 v[100:101], v[100:101], v[104:105], v[100:101]
	v_mul_f64 v[104:105], v[102:103], v[100:101]
	v_fma_f64 v[98:99], -v[98:99], v[104:105], v[102:103]
	v_div_fmas_f64 v[98:99], v[98:99], v[100:101], v[104:105]
	v_div_fixup_f64 v[98:99], v[98:99], v[119:120], v[117:118]
	v_fma_f64 v[100:101], v[117:118], v[98:99], v[119:120]
	v_div_scale_f64 v[102:103], s[20:21], v[100:101], v[100:101], 1.0
	v_div_scale_f64 v[108:109], vcc, 1.0, v[100:101], 1.0
	v_rcp_f64_e32 v[104:105], v[102:103]
	v_fma_f64 v[106:107], -v[102:103], v[104:105], 1.0
	v_fma_f64 v[104:105], v[104:105], v[106:107], v[104:105]
	v_fma_f64 v[106:107], -v[102:103], v[104:105], 1.0
	v_fma_f64 v[104:105], v[104:105], v[106:107], v[104:105]
	v_mul_f64 v[106:107], v[108:109], v[104:105]
	v_fma_f64 v[102:103], -v[102:103], v[106:107], v[108:109]
	v_div_fmas_f64 v[102:103], v[102:103], v[104:105], v[106:107]
	v_div_fixup_f64 v[119:120], v[102:103], v[100:101], 1.0
	v_mul_f64 v[117:118], v[98:99], v[119:120]
	v_xor_b32_e32 v120, 0x80000000, v120
.LBB90_847:
	s_andn2_saveexec_b64 s[18:19], s[18:19]
	s_cbranch_execz .LBB90_849
; %bb.848:
	v_div_scale_f64 v[98:99], s[20:21], v[117:118], v[117:118], v[119:120]
	v_rcp_f64_e32 v[100:101], v[98:99]
	v_fma_f64 v[102:103], -v[98:99], v[100:101], 1.0
	v_fma_f64 v[100:101], v[100:101], v[102:103], v[100:101]
	v_div_scale_f64 v[102:103], vcc, v[119:120], v[117:118], v[119:120]
	v_fma_f64 v[104:105], -v[98:99], v[100:101], 1.0
	v_fma_f64 v[100:101], v[100:101], v[104:105], v[100:101]
	v_mul_f64 v[104:105], v[102:103], v[100:101]
	v_fma_f64 v[98:99], -v[98:99], v[104:105], v[102:103]
	v_div_fmas_f64 v[98:99], v[98:99], v[100:101], v[104:105]
	v_div_fixup_f64 v[98:99], v[98:99], v[117:118], v[119:120]
	v_fma_f64 v[100:101], v[119:120], v[98:99], v[117:118]
	v_div_scale_f64 v[102:103], s[20:21], v[100:101], v[100:101], 1.0
	v_div_scale_f64 v[108:109], vcc, 1.0, v[100:101], 1.0
	v_rcp_f64_e32 v[104:105], v[102:103]
	v_fma_f64 v[106:107], -v[102:103], v[104:105], 1.0
	v_fma_f64 v[104:105], v[104:105], v[106:107], v[104:105]
	v_fma_f64 v[106:107], -v[102:103], v[104:105], 1.0
	v_fma_f64 v[104:105], v[104:105], v[106:107], v[104:105]
	v_mul_f64 v[106:107], v[108:109], v[104:105]
	v_fma_f64 v[102:103], -v[102:103], v[106:107], v[108:109]
	v_div_fmas_f64 v[102:103], v[102:103], v[104:105], v[106:107]
	v_div_fixup_f64 v[117:118], v[102:103], v[100:101], 1.0
	v_mul_f64 v[119:120], v[98:99], -v[117:118]
.LBB90_849:
	s_or_b64 exec, exec, s[18:19]
.LBB90_850:
	s_or_b64 exec, exec, s[0:1]
	v_cmp_ne_u32_e32 vcc, v96, v97
	s_and_saveexec_b64 s[0:1], vcc
	s_xor_b64 s[0:1], exec, s[0:1]
	s_cbranch_execz .LBB90_856
; %bb.851:
	v_cmp_eq_u32_e32 vcc, 40, v96
	s_and_saveexec_b64 s[18:19], vcc
	s_cbranch_execz .LBB90_855
; %bb.852:
	v_cmp_ne_u32_e32 vcc, 40, v97
	s_xor_b64 s[20:21], s[6:7], -1
	s_and_b64 s[22:23], s[20:21], vcc
	s_and_saveexec_b64 s[20:21], s[22:23]
	s_cbranch_execz .LBB90_854
; %bb.853:
	buffer_load_dword v85, off, s[24:27], 0 offset:304 ; 4-byte Folded Reload
	buffer_load_dword v86, off, s[24:27], 0 offset:308 ; 4-byte Folded Reload
	v_ashrrev_i32_e32 v98, 31, v97
	v_lshlrev_b64 v[98:99], 2, v[97:98]
	s_waitcnt vmcnt(1)
	v_add_co_u32_e32 v98, vcc, v85, v98
	s_waitcnt vmcnt(0)
	v_addc_co_u32_e32 v99, vcc, v86, v99, vcc
	global_load_dword v0, v[98:99], off
	global_load_dword v96, v[85:86], off offset:160
	s_waitcnt vmcnt(1)
	global_store_dword v[85:86], v0, off offset:160
	s_waitcnt vmcnt(1)
	global_store_dword v[98:99], v96, off
.LBB90_854:
	s_or_b64 exec, exec, s[20:21]
	v_mov_b32_e32 v96, v97
	v_mov_b32_e32 v0, v97
.LBB90_855:
	s_or_b64 exec, exec, s[18:19]
.LBB90_856:
	s_andn2_saveexec_b64 s[0:1], s[0:1]
	s_cbranch_execz .LBB90_858
; %bb.857:
	v_mov_b32_e32 v96, 40
	ds_write2_b64 v94, v[13:14], v[15:16] offset0:82 offset1:83
	ds_write2_b64 v94, v[9:10], v[11:12] offset0:84 offset1:85
	ds_write2_b64 v94, v[5:6], v[7:8] offset0:86 offset1:87
	ds_write2_b64 v94, v[1:2], v[3:4] offset0:88 offset1:89
	ds_write2_b64 v94, v[121:122], v[123:124] offset0:90 offset1:91
.LBB90_858:
	s_or_b64 exec, exec, s[0:1]
	v_cmp_lt_i32_e32 vcc, 40, v96
	s_waitcnt vmcnt(0) lgkmcnt(0)
	s_barrier
	s_and_saveexec_b64 s[0:1], vcc
	s_cbranch_execz .LBB90_860
; %bb.859:
	v_mul_f64 v[97:98], v[117:118], v[19:20]
	v_mul_f64 v[19:20], v[119:120], v[19:20]
	v_fma_f64 v[101:102], v[119:120], v[17:18], v[97:98]
	ds_read2_b64 v[97:100], v94 offset0:82 offset1:83
	v_fma_f64 v[17:18], v[117:118], v[17:18], -v[19:20]
	s_waitcnt lgkmcnt(0)
	v_mul_f64 v[19:20], v[99:100], v[101:102]
	v_fma_f64 v[19:20], v[97:98], v[17:18], -v[19:20]
	v_mul_f64 v[97:98], v[97:98], v[101:102]
	v_add_f64 v[13:14], v[13:14], -v[19:20]
	v_fma_f64 v[97:98], v[99:100], v[17:18], v[97:98]
	v_add_f64 v[15:16], v[15:16], -v[97:98]
	ds_read2_b64 v[97:100], v94 offset0:84 offset1:85
	s_waitcnt lgkmcnt(0)
	v_mul_f64 v[19:20], v[99:100], v[101:102]
	v_fma_f64 v[19:20], v[97:98], v[17:18], -v[19:20]
	v_mul_f64 v[97:98], v[97:98], v[101:102]
	v_add_f64 v[9:10], v[9:10], -v[19:20]
	v_fma_f64 v[97:98], v[99:100], v[17:18], v[97:98]
	v_add_f64 v[11:12], v[11:12], -v[97:98]
	ds_read2_b64 v[97:100], v94 offset0:86 offset1:87
	;; [unrolled: 8-line block ×4, first 2 shown]
	s_waitcnt lgkmcnt(0)
	v_mul_f64 v[19:20], v[99:100], v[101:102]
	v_fma_f64 v[19:20], v[97:98], v[17:18], -v[19:20]
	v_mul_f64 v[97:98], v[97:98], v[101:102]
	v_add_f64 v[121:122], v[121:122], -v[19:20]
	v_fma_f64 v[97:98], v[99:100], v[17:18], v[97:98]
	v_mov_b32_e32 v19, v101
	v_mov_b32_e32 v20, v102
	v_add_f64 v[123:124], v[123:124], -v[97:98]
.LBB90_860:
	s_or_b64 exec, exec, s[0:1]
	v_lshl_add_u32 v97, v96, 4, v94
	s_barrier
	ds_write2_b64 v97, v[13:14], v[15:16] offset1:1
	s_waitcnt lgkmcnt(0)
	s_barrier
	ds_read2_b64 v[117:120], v94 offset0:82 offset1:83
	s_cmp_lt_i32 s3, 43
	v_mov_b32_e32 v97, 41
	s_cbranch_scc1 .LBB90_863
; %bb.861:
	v_add_u32_e32 v98, 0x2a0, v94
	s_mov_b32 s0, 42
	v_mov_b32_e32 v97, 41
.LBB90_862:                             ; =>This Inner Loop Header: Depth=1
	s_waitcnt lgkmcnt(0)
	v_cmp_gt_f64_e32 vcc, 0, v[117:118]
	v_xor_b32_e32 v103, 0x80000000, v118
	ds_read2_b64 v[99:102], v98 offset1:1
	v_xor_b32_e32 v105, 0x80000000, v120
	v_add_u32_e32 v98, 16, v98
	s_waitcnt lgkmcnt(0)
	v_xor_b32_e32 v107, 0x80000000, v102
	v_cndmask_b32_e32 v104, v118, v103, vcc
	v_cmp_gt_f64_e32 vcc, 0, v[119:120]
	v_mov_b32_e32 v103, v117
	v_cndmask_b32_e32 v106, v120, v105, vcc
	v_cmp_gt_f64_e32 vcc, 0, v[99:100]
	v_mov_b32_e32 v105, v119
	v_add_f64 v[103:104], v[103:104], v[105:106]
	v_xor_b32_e32 v105, 0x80000000, v100
	v_cndmask_b32_e32 v106, v100, v105, vcc
	v_cmp_gt_f64_e32 vcc, 0, v[101:102]
	v_mov_b32_e32 v105, v99
	v_cndmask_b32_e32 v108, v102, v107, vcc
	v_mov_b32_e32 v107, v101
	v_add_f64 v[105:106], v[105:106], v[107:108]
	v_cmp_lt_f64_e32 vcc, v[103:104], v[105:106]
	v_cndmask_b32_e32 v117, v117, v99, vcc
	v_mov_b32_e32 v99, s0
	s_add_i32 s0, s0, 1
	v_cndmask_b32_e32 v118, v118, v100, vcc
	v_cndmask_b32_e32 v120, v120, v102, vcc
	;; [unrolled: 1-line block ×4, first 2 shown]
	s_cmp_lg_u32 s3, s0
	s_cbranch_scc1 .LBB90_862
.LBB90_863:
	s_waitcnt lgkmcnt(0)
	v_cmp_eq_f64_e32 vcc, 0, v[117:118]
	v_cmp_eq_f64_e64 s[0:1], 0, v[119:120]
	s_and_b64 s[0:1], vcc, s[0:1]
	s_and_saveexec_b64 s[18:19], s[0:1]
	s_xor_b64 s[0:1], exec, s[18:19]
; %bb.864:
	v_cmp_ne_u32_e32 vcc, 0, v95
	v_cndmask_b32_e32 v95, 42, v95, vcc
; %bb.865:
	s_andn2_saveexec_b64 s[0:1], s[0:1]
	s_cbranch_execz .LBB90_871
; %bb.866:
	v_cmp_ngt_f64_e64 s[18:19], |v[117:118]|, |v[119:120]|
	s_and_saveexec_b64 s[20:21], s[18:19]
	s_xor_b64 s[18:19], exec, s[20:21]
	s_cbranch_execz .LBB90_868
; %bb.867:
	v_div_scale_f64 v[98:99], s[20:21], v[119:120], v[119:120], v[117:118]
	v_rcp_f64_e32 v[100:101], v[98:99]
	v_fma_f64 v[102:103], -v[98:99], v[100:101], 1.0
	v_fma_f64 v[100:101], v[100:101], v[102:103], v[100:101]
	v_div_scale_f64 v[102:103], vcc, v[117:118], v[119:120], v[117:118]
	v_fma_f64 v[104:105], -v[98:99], v[100:101], 1.0
	v_fma_f64 v[100:101], v[100:101], v[104:105], v[100:101]
	v_mul_f64 v[104:105], v[102:103], v[100:101]
	v_fma_f64 v[98:99], -v[98:99], v[104:105], v[102:103]
	v_div_fmas_f64 v[98:99], v[98:99], v[100:101], v[104:105]
	v_div_fixup_f64 v[98:99], v[98:99], v[119:120], v[117:118]
	v_fma_f64 v[100:101], v[117:118], v[98:99], v[119:120]
	v_div_scale_f64 v[102:103], s[20:21], v[100:101], v[100:101], 1.0
	v_div_scale_f64 v[108:109], vcc, 1.0, v[100:101], 1.0
	v_rcp_f64_e32 v[104:105], v[102:103]
	v_fma_f64 v[106:107], -v[102:103], v[104:105], 1.0
	v_fma_f64 v[104:105], v[104:105], v[106:107], v[104:105]
	v_fma_f64 v[106:107], -v[102:103], v[104:105], 1.0
	v_fma_f64 v[104:105], v[104:105], v[106:107], v[104:105]
	v_mul_f64 v[106:107], v[108:109], v[104:105]
	v_fma_f64 v[102:103], -v[102:103], v[106:107], v[108:109]
	v_div_fmas_f64 v[102:103], v[102:103], v[104:105], v[106:107]
	v_div_fixup_f64 v[119:120], v[102:103], v[100:101], 1.0
	v_mul_f64 v[117:118], v[98:99], v[119:120]
	v_xor_b32_e32 v120, 0x80000000, v120
.LBB90_868:
	s_andn2_saveexec_b64 s[18:19], s[18:19]
	s_cbranch_execz .LBB90_870
; %bb.869:
	v_div_scale_f64 v[98:99], s[20:21], v[117:118], v[117:118], v[119:120]
	v_rcp_f64_e32 v[100:101], v[98:99]
	v_fma_f64 v[102:103], -v[98:99], v[100:101], 1.0
	v_fma_f64 v[100:101], v[100:101], v[102:103], v[100:101]
	v_div_scale_f64 v[102:103], vcc, v[119:120], v[117:118], v[119:120]
	v_fma_f64 v[104:105], -v[98:99], v[100:101], 1.0
	v_fma_f64 v[100:101], v[100:101], v[104:105], v[100:101]
	v_mul_f64 v[104:105], v[102:103], v[100:101]
	v_fma_f64 v[98:99], -v[98:99], v[104:105], v[102:103]
	v_div_fmas_f64 v[98:99], v[98:99], v[100:101], v[104:105]
	v_div_fixup_f64 v[98:99], v[98:99], v[117:118], v[119:120]
	v_fma_f64 v[100:101], v[119:120], v[98:99], v[117:118]
	v_div_scale_f64 v[102:103], s[20:21], v[100:101], v[100:101], 1.0
	v_div_scale_f64 v[108:109], vcc, 1.0, v[100:101], 1.0
	v_rcp_f64_e32 v[104:105], v[102:103]
	v_fma_f64 v[106:107], -v[102:103], v[104:105], 1.0
	v_fma_f64 v[104:105], v[104:105], v[106:107], v[104:105]
	v_fma_f64 v[106:107], -v[102:103], v[104:105], 1.0
	v_fma_f64 v[104:105], v[104:105], v[106:107], v[104:105]
	v_mul_f64 v[106:107], v[108:109], v[104:105]
	v_fma_f64 v[102:103], -v[102:103], v[106:107], v[108:109]
	v_div_fmas_f64 v[102:103], v[102:103], v[104:105], v[106:107]
	v_div_fixup_f64 v[117:118], v[102:103], v[100:101], 1.0
	v_mul_f64 v[119:120], v[98:99], -v[117:118]
.LBB90_870:
	s_or_b64 exec, exec, s[18:19]
.LBB90_871:
	s_or_b64 exec, exec, s[0:1]
	v_cmp_ne_u32_e32 vcc, v96, v97
	s_and_saveexec_b64 s[0:1], vcc
	s_xor_b64 s[0:1], exec, s[0:1]
	s_cbranch_execz .LBB90_877
; %bb.872:
	v_cmp_eq_u32_e32 vcc, 41, v96
	s_and_saveexec_b64 s[18:19], vcc
	s_cbranch_execz .LBB90_876
; %bb.873:
	v_cmp_ne_u32_e32 vcc, 41, v97
	s_xor_b64 s[20:21], s[6:7], -1
	s_and_b64 s[22:23], s[20:21], vcc
	s_and_saveexec_b64 s[20:21], s[22:23]
	s_cbranch_execz .LBB90_875
; %bb.874:
	buffer_load_dword v85, off, s[24:27], 0 offset:304 ; 4-byte Folded Reload
	buffer_load_dword v86, off, s[24:27], 0 offset:308 ; 4-byte Folded Reload
	v_ashrrev_i32_e32 v98, 31, v97
	v_lshlrev_b64 v[98:99], 2, v[97:98]
	s_waitcnt vmcnt(1)
	v_add_co_u32_e32 v98, vcc, v85, v98
	s_waitcnt vmcnt(0)
	v_addc_co_u32_e32 v99, vcc, v86, v99, vcc
	global_load_dword v0, v[98:99], off
	global_load_dword v96, v[85:86], off offset:164
	s_waitcnt vmcnt(1)
	global_store_dword v[85:86], v0, off offset:164
	s_waitcnt vmcnt(1)
	global_store_dword v[98:99], v96, off
.LBB90_875:
	s_or_b64 exec, exec, s[20:21]
	v_mov_b32_e32 v96, v97
	v_mov_b32_e32 v0, v97
.LBB90_876:
	s_or_b64 exec, exec, s[18:19]
.LBB90_877:
	s_andn2_saveexec_b64 s[0:1], s[0:1]
	s_cbranch_execz .LBB90_879
; %bb.878:
	v_mov_b32_e32 v96, 41
	ds_write2_b64 v94, v[9:10], v[11:12] offset0:84 offset1:85
	ds_write2_b64 v94, v[5:6], v[7:8] offset0:86 offset1:87
	;; [unrolled: 1-line block ×4, first 2 shown]
.LBB90_879:
	s_or_b64 exec, exec, s[0:1]
	v_cmp_lt_i32_e32 vcc, 41, v96
	s_waitcnt vmcnt(0) lgkmcnt(0)
	s_barrier
	s_and_saveexec_b64 s[0:1], vcc
	s_cbranch_execz .LBB90_881
; %bb.880:
	v_mul_f64 v[97:98], v[117:118], v[15:16]
	v_mul_f64 v[15:16], v[119:120], v[15:16]
	v_fma_f64 v[101:102], v[119:120], v[13:14], v[97:98]
	ds_read2_b64 v[97:100], v94 offset0:84 offset1:85
	v_fma_f64 v[13:14], v[117:118], v[13:14], -v[15:16]
	s_waitcnt lgkmcnt(0)
	v_mul_f64 v[15:16], v[99:100], v[101:102]
	v_fma_f64 v[15:16], v[97:98], v[13:14], -v[15:16]
	v_mul_f64 v[97:98], v[97:98], v[101:102]
	v_add_f64 v[9:10], v[9:10], -v[15:16]
	v_fma_f64 v[97:98], v[99:100], v[13:14], v[97:98]
	v_add_f64 v[11:12], v[11:12], -v[97:98]
	ds_read2_b64 v[97:100], v94 offset0:86 offset1:87
	s_waitcnt lgkmcnt(0)
	v_mul_f64 v[15:16], v[99:100], v[101:102]
	v_fma_f64 v[15:16], v[97:98], v[13:14], -v[15:16]
	v_mul_f64 v[97:98], v[97:98], v[101:102]
	v_add_f64 v[5:6], v[5:6], -v[15:16]
	v_fma_f64 v[97:98], v[99:100], v[13:14], v[97:98]
	v_add_f64 v[7:8], v[7:8], -v[97:98]
	ds_read2_b64 v[97:100], v94 offset0:88 offset1:89
	;; [unrolled: 8-line block ×3, first 2 shown]
	s_waitcnt lgkmcnt(0)
	v_mul_f64 v[15:16], v[99:100], v[101:102]
	v_fma_f64 v[15:16], v[97:98], v[13:14], -v[15:16]
	v_mul_f64 v[97:98], v[97:98], v[101:102]
	v_add_f64 v[121:122], v[121:122], -v[15:16]
	v_fma_f64 v[97:98], v[99:100], v[13:14], v[97:98]
	v_mov_b32_e32 v15, v101
	v_mov_b32_e32 v16, v102
	v_add_f64 v[123:124], v[123:124], -v[97:98]
.LBB90_881:
	s_or_b64 exec, exec, s[0:1]
	v_lshl_add_u32 v97, v96, 4, v94
	s_barrier
	ds_write2_b64 v97, v[9:10], v[11:12] offset1:1
	s_waitcnt lgkmcnt(0)
	s_barrier
	ds_read2_b64 v[117:120], v94 offset0:84 offset1:85
	s_cmp_lt_i32 s3, 44
	v_mov_b32_e32 v97, 42
	s_cbranch_scc1 .LBB90_884
; %bb.882:
	v_add_u32_e32 v98, 0x2b0, v94
	s_mov_b32 s0, 43
	v_mov_b32_e32 v97, 42
.LBB90_883:                             ; =>This Inner Loop Header: Depth=1
	s_waitcnt lgkmcnt(0)
	v_cmp_gt_f64_e32 vcc, 0, v[117:118]
	v_xor_b32_e32 v103, 0x80000000, v118
	ds_read2_b64 v[99:102], v98 offset1:1
	v_xor_b32_e32 v105, 0x80000000, v120
	v_add_u32_e32 v98, 16, v98
	s_waitcnt lgkmcnt(0)
	v_xor_b32_e32 v107, 0x80000000, v102
	v_cndmask_b32_e32 v104, v118, v103, vcc
	v_cmp_gt_f64_e32 vcc, 0, v[119:120]
	v_mov_b32_e32 v103, v117
	v_cndmask_b32_e32 v106, v120, v105, vcc
	v_cmp_gt_f64_e32 vcc, 0, v[99:100]
	v_mov_b32_e32 v105, v119
	v_add_f64 v[103:104], v[103:104], v[105:106]
	v_xor_b32_e32 v105, 0x80000000, v100
	v_cndmask_b32_e32 v106, v100, v105, vcc
	v_cmp_gt_f64_e32 vcc, 0, v[101:102]
	v_mov_b32_e32 v105, v99
	v_cndmask_b32_e32 v108, v102, v107, vcc
	v_mov_b32_e32 v107, v101
	v_add_f64 v[105:106], v[105:106], v[107:108]
	v_cmp_lt_f64_e32 vcc, v[103:104], v[105:106]
	v_cndmask_b32_e32 v117, v117, v99, vcc
	v_mov_b32_e32 v99, s0
	s_add_i32 s0, s0, 1
	v_cndmask_b32_e32 v118, v118, v100, vcc
	v_cndmask_b32_e32 v120, v120, v102, vcc
	;; [unrolled: 1-line block ×4, first 2 shown]
	s_cmp_lg_u32 s3, s0
	s_cbranch_scc1 .LBB90_883
.LBB90_884:
	s_waitcnt lgkmcnt(0)
	v_cmp_eq_f64_e32 vcc, 0, v[117:118]
	v_cmp_eq_f64_e64 s[0:1], 0, v[119:120]
	s_and_b64 s[0:1], vcc, s[0:1]
	s_and_saveexec_b64 s[18:19], s[0:1]
	s_xor_b64 s[0:1], exec, s[18:19]
; %bb.885:
	v_cmp_ne_u32_e32 vcc, 0, v95
	v_cndmask_b32_e32 v95, 43, v95, vcc
; %bb.886:
	s_andn2_saveexec_b64 s[0:1], s[0:1]
	s_cbranch_execz .LBB90_892
; %bb.887:
	v_cmp_ngt_f64_e64 s[18:19], |v[117:118]|, |v[119:120]|
	s_and_saveexec_b64 s[20:21], s[18:19]
	s_xor_b64 s[18:19], exec, s[20:21]
	s_cbranch_execz .LBB90_889
; %bb.888:
	v_div_scale_f64 v[98:99], s[20:21], v[119:120], v[119:120], v[117:118]
	v_rcp_f64_e32 v[100:101], v[98:99]
	v_fma_f64 v[102:103], -v[98:99], v[100:101], 1.0
	v_fma_f64 v[100:101], v[100:101], v[102:103], v[100:101]
	v_div_scale_f64 v[102:103], vcc, v[117:118], v[119:120], v[117:118]
	v_fma_f64 v[104:105], -v[98:99], v[100:101], 1.0
	v_fma_f64 v[100:101], v[100:101], v[104:105], v[100:101]
	v_mul_f64 v[104:105], v[102:103], v[100:101]
	v_fma_f64 v[98:99], -v[98:99], v[104:105], v[102:103]
	v_div_fmas_f64 v[98:99], v[98:99], v[100:101], v[104:105]
	v_div_fixup_f64 v[98:99], v[98:99], v[119:120], v[117:118]
	v_fma_f64 v[100:101], v[117:118], v[98:99], v[119:120]
	v_div_scale_f64 v[102:103], s[20:21], v[100:101], v[100:101], 1.0
	v_div_scale_f64 v[108:109], vcc, 1.0, v[100:101], 1.0
	v_rcp_f64_e32 v[104:105], v[102:103]
	v_fma_f64 v[106:107], -v[102:103], v[104:105], 1.0
	v_fma_f64 v[104:105], v[104:105], v[106:107], v[104:105]
	v_fma_f64 v[106:107], -v[102:103], v[104:105], 1.0
	v_fma_f64 v[104:105], v[104:105], v[106:107], v[104:105]
	v_mul_f64 v[106:107], v[108:109], v[104:105]
	v_fma_f64 v[102:103], -v[102:103], v[106:107], v[108:109]
	v_div_fmas_f64 v[102:103], v[102:103], v[104:105], v[106:107]
	v_div_fixup_f64 v[119:120], v[102:103], v[100:101], 1.0
	v_mul_f64 v[117:118], v[98:99], v[119:120]
	v_xor_b32_e32 v120, 0x80000000, v120
.LBB90_889:
	s_andn2_saveexec_b64 s[18:19], s[18:19]
	s_cbranch_execz .LBB90_891
; %bb.890:
	v_div_scale_f64 v[98:99], s[20:21], v[117:118], v[117:118], v[119:120]
	v_rcp_f64_e32 v[100:101], v[98:99]
	v_fma_f64 v[102:103], -v[98:99], v[100:101], 1.0
	v_fma_f64 v[100:101], v[100:101], v[102:103], v[100:101]
	v_div_scale_f64 v[102:103], vcc, v[119:120], v[117:118], v[119:120]
	v_fma_f64 v[104:105], -v[98:99], v[100:101], 1.0
	v_fma_f64 v[100:101], v[100:101], v[104:105], v[100:101]
	v_mul_f64 v[104:105], v[102:103], v[100:101]
	v_fma_f64 v[98:99], -v[98:99], v[104:105], v[102:103]
	v_div_fmas_f64 v[98:99], v[98:99], v[100:101], v[104:105]
	v_div_fixup_f64 v[98:99], v[98:99], v[117:118], v[119:120]
	v_fma_f64 v[100:101], v[119:120], v[98:99], v[117:118]
	v_div_scale_f64 v[102:103], s[20:21], v[100:101], v[100:101], 1.0
	v_div_scale_f64 v[108:109], vcc, 1.0, v[100:101], 1.0
	v_rcp_f64_e32 v[104:105], v[102:103]
	v_fma_f64 v[106:107], -v[102:103], v[104:105], 1.0
	v_fma_f64 v[104:105], v[104:105], v[106:107], v[104:105]
	v_fma_f64 v[106:107], -v[102:103], v[104:105], 1.0
	v_fma_f64 v[104:105], v[104:105], v[106:107], v[104:105]
	v_mul_f64 v[106:107], v[108:109], v[104:105]
	v_fma_f64 v[102:103], -v[102:103], v[106:107], v[108:109]
	v_div_fmas_f64 v[102:103], v[102:103], v[104:105], v[106:107]
	v_div_fixup_f64 v[117:118], v[102:103], v[100:101], 1.0
	v_mul_f64 v[119:120], v[98:99], -v[117:118]
.LBB90_891:
	s_or_b64 exec, exec, s[18:19]
.LBB90_892:
	s_or_b64 exec, exec, s[0:1]
	v_cmp_ne_u32_e32 vcc, v96, v97
	s_and_saveexec_b64 s[0:1], vcc
	s_xor_b64 s[0:1], exec, s[0:1]
	s_cbranch_execz .LBB90_898
; %bb.893:
	v_cmp_eq_u32_e32 vcc, 42, v96
	s_and_saveexec_b64 s[18:19], vcc
	s_cbranch_execz .LBB90_897
; %bb.894:
	v_cmp_ne_u32_e32 vcc, 42, v97
	s_xor_b64 s[20:21], s[6:7], -1
	s_and_b64 s[22:23], s[20:21], vcc
	s_and_saveexec_b64 s[20:21], s[22:23]
	s_cbranch_execz .LBB90_896
; %bb.895:
	buffer_load_dword v85, off, s[24:27], 0 offset:304 ; 4-byte Folded Reload
	buffer_load_dword v86, off, s[24:27], 0 offset:308 ; 4-byte Folded Reload
	v_ashrrev_i32_e32 v98, 31, v97
	v_lshlrev_b64 v[98:99], 2, v[97:98]
	s_waitcnt vmcnt(1)
	v_add_co_u32_e32 v98, vcc, v85, v98
	s_waitcnt vmcnt(0)
	v_addc_co_u32_e32 v99, vcc, v86, v99, vcc
	global_load_dword v0, v[98:99], off
	global_load_dword v96, v[85:86], off offset:168
	s_waitcnt vmcnt(1)
	global_store_dword v[85:86], v0, off offset:168
	s_waitcnt vmcnt(1)
	global_store_dword v[98:99], v96, off
.LBB90_896:
	s_or_b64 exec, exec, s[20:21]
	v_mov_b32_e32 v96, v97
	v_mov_b32_e32 v0, v97
.LBB90_897:
	s_or_b64 exec, exec, s[18:19]
.LBB90_898:
	s_andn2_saveexec_b64 s[0:1], s[0:1]
	s_cbranch_execz .LBB90_900
; %bb.899:
	v_mov_b32_e32 v96, 42
	ds_write2_b64 v94, v[5:6], v[7:8] offset0:86 offset1:87
	ds_write2_b64 v94, v[1:2], v[3:4] offset0:88 offset1:89
	;; [unrolled: 1-line block ×3, first 2 shown]
.LBB90_900:
	s_or_b64 exec, exec, s[0:1]
	v_cmp_lt_i32_e32 vcc, 42, v96
	s_waitcnt vmcnt(0) lgkmcnt(0)
	s_barrier
	s_and_saveexec_b64 s[0:1], vcc
	s_cbranch_execz .LBB90_902
; %bb.901:
	v_mul_f64 v[97:98], v[117:118], v[11:12]
	v_mul_f64 v[11:12], v[119:120], v[11:12]
	v_fma_f64 v[101:102], v[119:120], v[9:10], v[97:98]
	ds_read2_b64 v[97:100], v94 offset0:86 offset1:87
	v_fma_f64 v[9:10], v[117:118], v[9:10], -v[11:12]
	s_waitcnt lgkmcnt(0)
	v_mul_f64 v[11:12], v[99:100], v[101:102]
	v_fma_f64 v[11:12], v[97:98], v[9:10], -v[11:12]
	v_mul_f64 v[97:98], v[97:98], v[101:102]
	v_add_f64 v[5:6], v[5:6], -v[11:12]
	v_fma_f64 v[97:98], v[99:100], v[9:10], v[97:98]
	v_add_f64 v[7:8], v[7:8], -v[97:98]
	ds_read2_b64 v[97:100], v94 offset0:88 offset1:89
	s_waitcnt lgkmcnt(0)
	v_mul_f64 v[11:12], v[99:100], v[101:102]
	v_fma_f64 v[11:12], v[97:98], v[9:10], -v[11:12]
	v_mul_f64 v[97:98], v[97:98], v[101:102]
	v_add_f64 v[1:2], v[1:2], -v[11:12]
	v_fma_f64 v[97:98], v[99:100], v[9:10], v[97:98]
	v_add_f64 v[3:4], v[3:4], -v[97:98]
	ds_read2_b64 v[97:100], v94 offset0:90 offset1:91
	s_waitcnt lgkmcnt(0)
	v_mul_f64 v[11:12], v[99:100], v[101:102]
	v_fma_f64 v[11:12], v[97:98], v[9:10], -v[11:12]
	v_mul_f64 v[97:98], v[97:98], v[101:102]
	v_add_f64 v[121:122], v[121:122], -v[11:12]
	v_fma_f64 v[97:98], v[99:100], v[9:10], v[97:98]
	v_mov_b32_e32 v11, v101
	v_mov_b32_e32 v12, v102
	v_add_f64 v[123:124], v[123:124], -v[97:98]
.LBB90_902:
	s_or_b64 exec, exec, s[0:1]
	v_lshl_add_u32 v97, v96, 4, v94
	s_barrier
	ds_write2_b64 v97, v[5:6], v[7:8] offset1:1
	s_waitcnt lgkmcnt(0)
	s_barrier
	ds_read2_b64 v[117:120], v94 offset0:86 offset1:87
	s_cmp_lt_i32 s3, 45
	v_mov_b32_e32 v97, 43
	s_cbranch_scc1 .LBB90_905
; %bb.903:
	v_add_u32_e32 v98, 0x2c0, v94
	s_mov_b32 s0, 44
	v_mov_b32_e32 v97, 43
.LBB90_904:                             ; =>This Inner Loop Header: Depth=1
	s_waitcnt lgkmcnt(0)
	v_cmp_gt_f64_e32 vcc, 0, v[117:118]
	v_xor_b32_e32 v103, 0x80000000, v118
	ds_read2_b64 v[99:102], v98 offset1:1
	v_xor_b32_e32 v105, 0x80000000, v120
	v_add_u32_e32 v98, 16, v98
	s_waitcnt lgkmcnt(0)
	v_xor_b32_e32 v107, 0x80000000, v102
	v_cndmask_b32_e32 v104, v118, v103, vcc
	v_cmp_gt_f64_e32 vcc, 0, v[119:120]
	v_mov_b32_e32 v103, v117
	v_cndmask_b32_e32 v106, v120, v105, vcc
	v_cmp_gt_f64_e32 vcc, 0, v[99:100]
	v_mov_b32_e32 v105, v119
	v_add_f64 v[103:104], v[103:104], v[105:106]
	v_xor_b32_e32 v105, 0x80000000, v100
	v_cndmask_b32_e32 v106, v100, v105, vcc
	v_cmp_gt_f64_e32 vcc, 0, v[101:102]
	v_mov_b32_e32 v105, v99
	v_cndmask_b32_e32 v108, v102, v107, vcc
	v_mov_b32_e32 v107, v101
	v_add_f64 v[105:106], v[105:106], v[107:108]
	v_cmp_lt_f64_e32 vcc, v[103:104], v[105:106]
	v_cndmask_b32_e32 v117, v117, v99, vcc
	v_mov_b32_e32 v99, s0
	s_add_i32 s0, s0, 1
	v_cndmask_b32_e32 v118, v118, v100, vcc
	v_cndmask_b32_e32 v120, v120, v102, vcc
	;; [unrolled: 1-line block ×4, first 2 shown]
	s_cmp_lg_u32 s3, s0
	s_cbranch_scc1 .LBB90_904
.LBB90_905:
	s_waitcnt lgkmcnt(0)
	v_cmp_eq_f64_e32 vcc, 0, v[117:118]
	v_cmp_eq_f64_e64 s[0:1], 0, v[119:120]
	s_and_b64 s[0:1], vcc, s[0:1]
	s_and_saveexec_b64 s[18:19], s[0:1]
	s_xor_b64 s[0:1], exec, s[18:19]
; %bb.906:
	v_cmp_ne_u32_e32 vcc, 0, v95
	v_cndmask_b32_e32 v95, 44, v95, vcc
; %bb.907:
	s_andn2_saveexec_b64 s[0:1], s[0:1]
	s_cbranch_execz .LBB90_913
; %bb.908:
	v_cmp_ngt_f64_e64 s[18:19], |v[117:118]|, |v[119:120]|
	s_and_saveexec_b64 s[20:21], s[18:19]
	s_xor_b64 s[18:19], exec, s[20:21]
	s_cbranch_execz .LBB90_910
; %bb.909:
	v_div_scale_f64 v[98:99], s[20:21], v[119:120], v[119:120], v[117:118]
	v_rcp_f64_e32 v[100:101], v[98:99]
	v_fma_f64 v[102:103], -v[98:99], v[100:101], 1.0
	v_fma_f64 v[100:101], v[100:101], v[102:103], v[100:101]
	v_div_scale_f64 v[102:103], vcc, v[117:118], v[119:120], v[117:118]
	v_fma_f64 v[104:105], -v[98:99], v[100:101], 1.0
	v_fma_f64 v[100:101], v[100:101], v[104:105], v[100:101]
	v_mul_f64 v[104:105], v[102:103], v[100:101]
	v_fma_f64 v[98:99], -v[98:99], v[104:105], v[102:103]
	v_div_fmas_f64 v[98:99], v[98:99], v[100:101], v[104:105]
	v_div_fixup_f64 v[98:99], v[98:99], v[119:120], v[117:118]
	v_fma_f64 v[100:101], v[117:118], v[98:99], v[119:120]
	v_div_scale_f64 v[102:103], s[20:21], v[100:101], v[100:101], 1.0
	v_div_scale_f64 v[108:109], vcc, 1.0, v[100:101], 1.0
	v_rcp_f64_e32 v[104:105], v[102:103]
	v_fma_f64 v[106:107], -v[102:103], v[104:105], 1.0
	v_fma_f64 v[104:105], v[104:105], v[106:107], v[104:105]
	v_fma_f64 v[106:107], -v[102:103], v[104:105], 1.0
	v_fma_f64 v[104:105], v[104:105], v[106:107], v[104:105]
	v_mul_f64 v[106:107], v[108:109], v[104:105]
	v_fma_f64 v[102:103], -v[102:103], v[106:107], v[108:109]
	v_div_fmas_f64 v[102:103], v[102:103], v[104:105], v[106:107]
	v_div_fixup_f64 v[119:120], v[102:103], v[100:101], 1.0
	v_mul_f64 v[117:118], v[98:99], v[119:120]
	v_xor_b32_e32 v120, 0x80000000, v120
.LBB90_910:
	s_andn2_saveexec_b64 s[18:19], s[18:19]
	s_cbranch_execz .LBB90_912
; %bb.911:
	v_div_scale_f64 v[98:99], s[20:21], v[117:118], v[117:118], v[119:120]
	v_rcp_f64_e32 v[100:101], v[98:99]
	v_fma_f64 v[102:103], -v[98:99], v[100:101], 1.0
	v_fma_f64 v[100:101], v[100:101], v[102:103], v[100:101]
	v_div_scale_f64 v[102:103], vcc, v[119:120], v[117:118], v[119:120]
	v_fma_f64 v[104:105], -v[98:99], v[100:101], 1.0
	v_fma_f64 v[100:101], v[100:101], v[104:105], v[100:101]
	v_mul_f64 v[104:105], v[102:103], v[100:101]
	v_fma_f64 v[98:99], -v[98:99], v[104:105], v[102:103]
	v_div_fmas_f64 v[98:99], v[98:99], v[100:101], v[104:105]
	v_div_fixup_f64 v[98:99], v[98:99], v[117:118], v[119:120]
	v_fma_f64 v[100:101], v[119:120], v[98:99], v[117:118]
	v_div_scale_f64 v[102:103], s[20:21], v[100:101], v[100:101], 1.0
	v_div_scale_f64 v[108:109], vcc, 1.0, v[100:101], 1.0
	v_rcp_f64_e32 v[104:105], v[102:103]
	v_fma_f64 v[106:107], -v[102:103], v[104:105], 1.0
	v_fma_f64 v[104:105], v[104:105], v[106:107], v[104:105]
	v_fma_f64 v[106:107], -v[102:103], v[104:105], 1.0
	v_fma_f64 v[104:105], v[104:105], v[106:107], v[104:105]
	v_mul_f64 v[106:107], v[108:109], v[104:105]
	v_fma_f64 v[102:103], -v[102:103], v[106:107], v[108:109]
	v_div_fmas_f64 v[102:103], v[102:103], v[104:105], v[106:107]
	v_div_fixup_f64 v[117:118], v[102:103], v[100:101], 1.0
	v_mul_f64 v[119:120], v[98:99], -v[117:118]
.LBB90_912:
	s_or_b64 exec, exec, s[18:19]
.LBB90_913:
	s_or_b64 exec, exec, s[0:1]
	v_cmp_ne_u32_e32 vcc, v96, v97
	s_and_saveexec_b64 s[0:1], vcc
	s_xor_b64 s[0:1], exec, s[0:1]
	s_cbranch_execz .LBB90_919
; %bb.914:
	v_cmp_eq_u32_e32 vcc, 43, v96
	s_and_saveexec_b64 s[18:19], vcc
	s_cbranch_execz .LBB90_918
; %bb.915:
	v_cmp_ne_u32_e32 vcc, 43, v97
	s_xor_b64 s[20:21], s[6:7], -1
	s_and_b64 s[22:23], s[20:21], vcc
	s_and_saveexec_b64 s[20:21], s[22:23]
	s_cbranch_execz .LBB90_917
; %bb.916:
	buffer_load_dword v85, off, s[24:27], 0 offset:304 ; 4-byte Folded Reload
	buffer_load_dword v86, off, s[24:27], 0 offset:308 ; 4-byte Folded Reload
	v_ashrrev_i32_e32 v98, 31, v97
	v_lshlrev_b64 v[98:99], 2, v[97:98]
	s_waitcnt vmcnt(1)
	v_add_co_u32_e32 v98, vcc, v85, v98
	s_waitcnt vmcnt(0)
	v_addc_co_u32_e32 v99, vcc, v86, v99, vcc
	global_load_dword v0, v[98:99], off
	global_load_dword v96, v[85:86], off offset:172
	s_waitcnt vmcnt(1)
	global_store_dword v[85:86], v0, off offset:172
	s_waitcnt vmcnt(1)
	global_store_dword v[98:99], v96, off
.LBB90_917:
	s_or_b64 exec, exec, s[20:21]
	v_mov_b32_e32 v96, v97
	v_mov_b32_e32 v0, v97
.LBB90_918:
	s_or_b64 exec, exec, s[18:19]
.LBB90_919:
	s_andn2_saveexec_b64 s[0:1], s[0:1]
	s_cbranch_execz .LBB90_921
; %bb.920:
	v_mov_b32_e32 v96, 43
	ds_write2_b64 v94, v[1:2], v[3:4] offset0:88 offset1:89
	ds_write2_b64 v94, v[121:122], v[123:124] offset0:90 offset1:91
.LBB90_921:
	s_or_b64 exec, exec, s[0:1]
	v_cmp_lt_i32_e32 vcc, 43, v96
	s_waitcnt vmcnt(0) lgkmcnt(0)
	s_barrier
	s_and_saveexec_b64 s[0:1], vcc
	s_cbranch_execz .LBB90_923
; %bb.922:
	v_mul_f64 v[97:98], v[117:118], v[7:8]
	v_mul_f64 v[7:8], v[119:120], v[7:8]
	v_fma_f64 v[101:102], v[119:120], v[5:6], v[97:98]
	ds_read2_b64 v[97:100], v94 offset0:88 offset1:89
	v_fma_f64 v[5:6], v[117:118], v[5:6], -v[7:8]
	s_waitcnt lgkmcnt(0)
	v_mul_f64 v[7:8], v[99:100], v[101:102]
	v_fma_f64 v[7:8], v[97:98], v[5:6], -v[7:8]
	v_mul_f64 v[97:98], v[97:98], v[101:102]
	v_add_f64 v[1:2], v[1:2], -v[7:8]
	v_fma_f64 v[97:98], v[99:100], v[5:6], v[97:98]
	v_add_f64 v[3:4], v[3:4], -v[97:98]
	ds_read2_b64 v[97:100], v94 offset0:90 offset1:91
	s_waitcnt lgkmcnt(0)
	v_mul_f64 v[7:8], v[99:100], v[101:102]
	v_fma_f64 v[7:8], v[97:98], v[5:6], -v[7:8]
	v_mul_f64 v[97:98], v[97:98], v[101:102]
	v_add_f64 v[121:122], v[121:122], -v[7:8]
	v_fma_f64 v[97:98], v[99:100], v[5:6], v[97:98]
	v_mov_b32_e32 v7, v101
	v_mov_b32_e32 v8, v102
	v_add_f64 v[123:124], v[123:124], -v[97:98]
.LBB90_923:
	s_or_b64 exec, exec, s[0:1]
	v_lshl_add_u32 v97, v96, 4, v94
	s_barrier
	ds_write2_b64 v97, v[1:2], v[3:4] offset1:1
	s_waitcnt lgkmcnt(0)
	s_barrier
	ds_read2_b64 v[117:120], v94 offset0:88 offset1:89
	s_cmp_lt_i32 s3, 46
	v_mov_b32_e32 v97, 44
	s_cbranch_scc1 .LBB90_926
; %bb.924:
	v_add_u32_e32 v98, 0x2d0, v94
	s_mov_b32 s0, 45
	v_mov_b32_e32 v97, 44
.LBB90_925:                             ; =>This Inner Loop Header: Depth=1
	s_waitcnt lgkmcnt(0)
	v_cmp_gt_f64_e32 vcc, 0, v[117:118]
	v_xor_b32_e32 v103, 0x80000000, v118
	ds_read2_b64 v[99:102], v98 offset1:1
	v_xor_b32_e32 v105, 0x80000000, v120
	v_add_u32_e32 v98, 16, v98
	s_waitcnt lgkmcnt(0)
	v_xor_b32_e32 v107, 0x80000000, v102
	v_cndmask_b32_e32 v104, v118, v103, vcc
	v_cmp_gt_f64_e32 vcc, 0, v[119:120]
	v_mov_b32_e32 v103, v117
	v_cndmask_b32_e32 v106, v120, v105, vcc
	v_cmp_gt_f64_e32 vcc, 0, v[99:100]
	v_mov_b32_e32 v105, v119
	v_add_f64 v[103:104], v[103:104], v[105:106]
	v_xor_b32_e32 v105, 0x80000000, v100
	v_cndmask_b32_e32 v106, v100, v105, vcc
	v_cmp_gt_f64_e32 vcc, 0, v[101:102]
	v_mov_b32_e32 v105, v99
	v_cndmask_b32_e32 v108, v102, v107, vcc
	v_mov_b32_e32 v107, v101
	v_add_f64 v[105:106], v[105:106], v[107:108]
	v_cmp_lt_f64_e32 vcc, v[103:104], v[105:106]
	v_cndmask_b32_e32 v117, v117, v99, vcc
	v_mov_b32_e32 v99, s0
	s_add_i32 s0, s0, 1
	v_cndmask_b32_e32 v118, v118, v100, vcc
	v_cndmask_b32_e32 v120, v120, v102, vcc
	;; [unrolled: 1-line block ×4, first 2 shown]
	s_cmp_lg_u32 s3, s0
	s_cbranch_scc1 .LBB90_925
.LBB90_926:
	s_waitcnt lgkmcnt(0)
	v_cmp_eq_f64_e32 vcc, 0, v[117:118]
	v_cmp_eq_f64_e64 s[0:1], 0, v[119:120]
	s_and_b64 s[0:1], vcc, s[0:1]
	s_and_saveexec_b64 s[18:19], s[0:1]
	s_xor_b64 s[0:1], exec, s[18:19]
; %bb.927:
	v_cmp_ne_u32_e32 vcc, 0, v95
	v_cndmask_b32_e32 v95, 45, v95, vcc
; %bb.928:
	s_andn2_saveexec_b64 s[0:1], s[0:1]
	s_cbranch_execz .LBB90_934
; %bb.929:
	v_cmp_ngt_f64_e64 s[18:19], |v[117:118]|, |v[119:120]|
	s_and_saveexec_b64 s[20:21], s[18:19]
	s_xor_b64 s[18:19], exec, s[20:21]
	s_cbranch_execz .LBB90_931
; %bb.930:
	v_div_scale_f64 v[98:99], s[20:21], v[119:120], v[119:120], v[117:118]
	v_rcp_f64_e32 v[100:101], v[98:99]
	v_fma_f64 v[102:103], -v[98:99], v[100:101], 1.0
	v_fma_f64 v[100:101], v[100:101], v[102:103], v[100:101]
	v_div_scale_f64 v[102:103], vcc, v[117:118], v[119:120], v[117:118]
	v_fma_f64 v[104:105], -v[98:99], v[100:101], 1.0
	v_fma_f64 v[100:101], v[100:101], v[104:105], v[100:101]
	v_mul_f64 v[104:105], v[102:103], v[100:101]
	v_fma_f64 v[98:99], -v[98:99], v[104:105], v[102:103]
	v_div_fmas_f64 v[98:99], v[98:99], v[100:101], v[104:105]
	v_div_fixup_f64 v[98:99], v[98:99], v[119:120], v[117:118]
	v_fma_f64 v[100:101], v[117:118], v[98:99], v[119:120]
	v_div_scale_f64 v[102:103], s[20:21], v[100:101], v[100:101], 1.0
	v_div_scale_f64 v[108:109], vcc, 1.0, v[100:101], 1.0
	v_rcp_f64_e32 v[104:105], v[102:103]
	v_fma_f64 v[106:107], -v[102:103], v[104:105], 1.0
	v_fma_f64 v[104:105], v[104:105], v[106:107], v[104:105]
	v_fma_f64 v[106:107], -v[102:103], v[104:105], 1.0
	v_fma_f64 v[104:105], v[104:105], v[106:107], v[104:105]
	v_mul_f64 v[106:107], v[108:109], v[104:105]
	v_fma_f64 v[102:103], -v[102:103], v[106:107], v[108:109]
	v_div_fmas_f64 v[102:103], v[102:103], v[104:105], v[106:107]
	v_div_fixup_f64 v[119:120], v[102:103], v[100:101], 1.0
	v_mul_f64 v[117:118], v[98:99], v[119:120]
	v_xor_b32_e32 v120, 0x80000000, v120
.LBB90_931:
	s_andn2_saveexec_b64 s[18:19], s[18:19]
	s_cbranch_execz .LBB90_933
; %bb.932:
	v_div_scale_f64 v[98:99], s[20:21], v[117:118], v[117:118], v[119:120]
	v_rcp_f64_e32 v[100:101], v[98:99]
	v_fma_f64 v[102:103], -v[98:99], v[100:101], 1.0
	v_fma_f64 v[100:101], v[100:101], v[102:103], v[100:101]
	v_div_scale_f64 v[102:103], vcc, v[119:120], v[117:118], v[119:120]
	v_fma_f64 v[104:105], -v[98:99], v[100:101], 1.0
	v_fma_f64 v[100:101], v[100:101], v[104:105], v[100:101]
	v_mul_f64 v[104:105], v[102:103], v[100:101]
	v_fma_f64 v[98:99], -v[98:99], v[104:105], v[102:103]
	v_div_fmas_f64 v[98:99], v[98:99], v[100:101], v[104:105]
	v_div_fixup_f64 v[98:99], v[98:99], v[117:118], v[119:120]
	v_fma_f64 v[100:101], v[119:120], v[98:99], v[117:118]
	v_div_scale_f64 v[102:103], s[20:21], v[100:101], v[100:101], 1.0
	v_div_scale_f64 v[108:109], vcc, 1.0, v[100:101], 1.0
	v_rcp_f64_e32 v[104:105], v[102:103]
	v_fma_f64 v[106:107], -v[102:103], v[104:105], 1.0
	v_fma_f64 v[104:105], v[104:105], v[106:107], v[104:105]
	v_fma_f64 v[106:107], -v[102:103], v[104:105], 1.0
	v_fma_f64 v[104:105], v[104:105], v[106:107], v[104:105]
	v_mul_f64 v[106:107], v[108:109], v[104:105]
	v_fma_f64 v[102:103], -v[102:103], v[106:107], v[108:109]
	v_div_fmas_f64 v[102:103], v[102:103], v[104:105], v[106:107]
	v_div_fixup_f64 v[117:118], v[102:103], v[100:101], 1.0
	v_mul_f64 v[119:120], v[98:99], -v[117:118]
.LBB90_933:
	s_or_b64 exec, exec, s[18:19]
.LBB90_934:
	s_or_b64 exec, exec, s[0:1]
	v_cmp_ne_u32_e32 vcc, v96, v97
	s_and_saveexec_b64 s[0:1], vcc
	s_xor_b64 s[0:1], exec, s[0:1]
	s_cbranch_execz .LBB90_940
; %bb.935:
	v_cmp_eq_u32_e32 vcc, 44, v96
	s_and_saveexec_b64 s[18:19], vcc
	s_cbranch_execz .LBB90_939
; %bb.936:
	v_cmp_ne_u32_e32 vcc, 44, v97
	s_xor_b64 s[20:21], s[6:7], -1
	s_and_b64 s[22:23], s[20:21], vcc
	s_and_saveexec_b64 s[20:21], s[22:23]
	s_cbranch_execz .LBB90_938
; %bb.937:
	buffer_load_dword v85, off, s[24:27], 0 offset:304 ; 4-byte Folded Reload
	buffer_load_dword v86, off, s[24:27], 0 offset:308 ; 4-byte Folded Reload
	v_ashrrev_i32_e32 v98, 31, v97
	v_lshlrev_b64 v[98:99], 2, v[97:98]
	s_waitcnt vmcnt(1)
	v_add_co_u32_e32 v98, vcc, v85, v98
	s_waitcnt vmcnt(0)
	v_addc_co_u32_e32 v99, vcc, v86, v99, vcc
	global_load_dword v0, v[98:99], off
	global_load_dword v96, v[85:86], off offset:176
	s_waitcnt vmcnt(1)
	global_store_dword v[85:86], v0, off offset:176
	s_waitcnt vmcnt(1)
	global_store_dword v[98:99], v96, off
.LBB90_938:
	s_or_b64 exec, exec, s[20:21]
	v_mov_b32_e32 v96, v97
	v_mov_b32_e32 v0, v97
.LBB90_939:
	s_or_b64 exec, exec, s[18:19]
.LBB90_940:
	s_andn2_saveexec_b64 s[0:1], s[0:1]
; %bb.941:
	v_mov_b32_e32 v96, 44
	ds_write2_b64 v94, v[121:122], v[123:124] offset0:90 offset1:91
; %bb.942:
	s_or_b64 exec, exec, s[0:1]
	v_cmp_lt_i32_e32 vcc, 44, v96
	s_waitcnt vmcnt(0) lgkmcnt(0)
	s_barrier
	s_and_saveexec_b64 s[0:1], vcc
	s_cbranch_execz .LBB90_944
; %bb.943:
	v_mul_f64 v[97:98], v[117:118], v[3:4]
	v_mul_f64 v[3:4], v[119:120], v[3:4]
	v_fma_f64 v[101:102], v[119:120], v[1:2], v[97:98]
	ds_read2_b64 v[97:100], v94 offset0:90 offset1:91
	v_fma_f64 v[1:2], v[117:118], v[1:2], -v[3:4]
	s_waitcnt lgkmcnt(0)
	v_mul_f64 v[3:4], v[99:100], v[101:102]
	v_fma_f64 v[3:4], v[97:98], v[1:2], -v[3:4]
	v_mul_f64 v[97:98], v[97:98], v[101:102]
	v_add_f64 v[121:122], v[121:122], -v[3:4]
	v_fma_f64 v[97:98], v[99:100], v[1:2], v[97:98]
	v_mov_b32_e32 v3, v101
	v_mov_b32_e32 v4, v102
	v_add_f64 v[123:124], v[123:124], -v[97:98]
.LBB90_944:
	s_or_b64 exec, exec, s[0:1]
	v_lshl_add_u32 v97, v96, 4, v94
	s_barrier
	ds_write2_b64 v97, v[121:122], v[123:124] offset1:1
	s_waitcnt lgkmcnt(0)
	s_barrier
	ds_read2_b64 v[117:120], v94 offset0:90 offset1:91
	s_cmp_lt_i32 s3, 47
	v_mov_b32_e32 v97, 45
	s_cbranch_scc1 .LBB90_947
; %bb.945:
	v_add_u32_e32 v94, 0x2e0, v94
	s_mov_b32 s0, 46
	v_mov_b32_e32 v97, 45
.LBB90_946:                             ; =>This Inner Loop Header: Depth=1
	s_waitcnt lgkmcnt(0)
	v_cmp_gt_f64_e32 vcc, 0, v[117:118]
	v_xor_b32_e32 v102, 0x80000000, v118
	ds_read2_b64 v[98:101], v94 offset1:1
	v_xor_b32_e32 v104, 0x80000000, v120
	v_add_u32_e32 v94, 16, v94
	s_waitcnt lgkmcnt(0)
	v_xor_b32_e32 v106, 0x80000000, v101
	v_cndmask_b32_e32 v103, v118, v102, vcc
	v_cmp_gt_f64_e32 vcc, 0, v[119:120]
	v_mov_b32_e32 v102, v117
	v_cndmask_b32_e32 v105, v120, v104, vcc
	v_cmp_gt_f64_e32 vcc, 0, v[98:99]
	v_mov_b32_e32 v104, v119
	v_add_f64 v[102:103], v[102:103], v[104:105]
	v_xor_b32_e32 v104, 0x80000000, v99
	v_cndmask_b32_e32 v105, v99, v104, vcc
	v_cmp_gt_f64_e32 vcc, 0, v[100:101]
	v_mov_b32_e32 v104, v98
	v_cndmask_b32_e32 v107, v101, v106, vcc
	v_mov_b32_e32 v106, v100
	v_add_f64 v[104:105], v[104:105], v[106:107]
	v_cmp_lt_f64_e32 vcc, v[102:103], v[104:105]
	v_cndmask_b32_e32 v117, v117, v98, vcc
	v_mov_b32_e32 v98, s0
	s_add_i32 s0, s0, 1
	v_cndmask_b32_e32 v118, v118, v99, vcc
	v_cndmask_b32_e32 v120, v120, v101, vcc
	;; [unrolled: 1-line block ×4, first 2 shown]
	s_cmp_lg_u32 s3, s0
	s_cbranch_scc1 .LBB90_946
.LBB90_947:
	s_waitcnt lgkmcnt(0)
	v_cmp_eq_f64_e32 vcc, 0, v[117:118]
	v_cmp_eq_f64_e64 s[0:1], 0, v[119:120]
	s_and_b64 s[0:1], vcc, s[0:1]
	s_and_saveexec_b64 s[18:19], s[0:1]
	s_xor_b64 s[0:1], exec, s[18:19]
; %bb.948:
	v_cmp_ne_u32_e32 vcc, 0, v95
	v_cndmask_b32_e32 v95, 46, v95, vcc
; %bb.949:
	s_andn2_saveexec_b64 s[0:1], s[0:1]
	s_cbranch_execz .LBB90_955
; %bb.950:
	v_cmp_ngt_f64_e64 s[18:19], |v[117:118]|, |v[119:120]|
	s_and_saveexec_b64 s[20:21], s[18:19]
	s_xor_b64 s[18:19], exec, s[20:21]
	s_cbranch_execz .LBB90_952
; %bb.951:
	v_div_scale_f64 v[98:99], s[20:21], v[119:120], v[119:120], v[117:118]
	v_rcp_f64_e32 v[100:101], v[98:99]
	v_fma_f64 v[102:103], -v[98:99], v[100:101], 1.0
	v_fma_f64 v[100:101], v[100:101], v[102:103], v[100:101]
	v_div_scale_f64 v[102:103], vcc, v[117:118], v[119:120], v[117:118]
	v_fma_f64 v[104:105], -v[98:99], v[100:101], 1.0
	v_fma_f64 v[100:101], v[100:101], v[104:105], v[100:101]
	v_mul_f64 v[104:105], v[102:103], v[100:101]
	v_fma_f64 v[98:99], -v[98:99], v[104:105], v[102:103]
	v_div_fmas_f64 v[98:99], v[98:99], v[100:101], v[104:105]
	v_div_fixup_f64 v[98:99], v[98:99], v[119:120], v[117:118]
	v_fma_f64 v[100:101], v[117:118], v[98:99], v[119:120]
	v_div_scale_f64 v[102:103], s[20:21], v[100:101], v[100:101], 1.0
	v_div_scale_f64 v[108:109], vcc, 1.0, v[100:101], 1.0
	v_rcp_f64_e32 v[104:105], v[102:103]
	v_fma_f64 v[106:107], -v[102:103], v[104:105], 1.0
	v_fma_f64 v[104:105], v[104:105], v[106:107], v[104:105]
	v_fma_f64 v[106:107], -v[102:103], v[104:105], 1.0
	v_fma_f64 v[104:105], v[104:105], v[106:107], v[104:105]
	v_mul_f64 v[106:107], v[108:109], v[104:105]
	v_fma_f64 v[102:103], -v[102:103], v[106:107], v[108:109]
	v_div_fmas_f64 v[102:103], v[102:103], v[104:105], v[106:107]
	v_div_fixup_f64 v[119:120], v[102:103], v[100:101], 1.0
	v_mul_f64 v[117:118], v[98:99], v[119:120]
	v_xor_b32_e32 v120, 0x80000000, v120
.LBB90_952:
	s_andn2_saveexec_b64 s[18:19], s[18:19]
	s_cbranch_execz .LBB90_954
; %bb.953:
	v_div_scale_f64 v[98:99], s[20:21], v[117:118], v[117:118], v[119:120]
	v_rcp_f64_e32 v[100:101], v[98:99]
	v_fma_f64 v[102:103], -v[98:99], v[100:101], 1.0
	v_fma_f64 v[100:101], v[100:101], v[102:103], v[100:101]
	v_div_scale_f64 v[102:103], vcc, v[119:120], v[117:118], v[119:120]
	v_fma_f64 v[104:105], -v[98:99], v[100:101], 1.0
	v_fma_f64 v[100:101], v[100:101], v[104:105], v[100:101]
	v_mul_f64 v[104:105], v[102:103], v[100:101]
	v_fma_f64 v[98:99], -v[98:99], v[104:105], v[102:103]
	v_div_fmas_f64 v[98:99], v[98:99], v[100:101], v[104:105]
	v_div_fixup_f64 v[98:99], v[98:99], v[117:118], v[119:120]
	v_fma_f64 v[100:101], v[119:120], v[98:99], v[117:118]
	v_div_scale_f64 v[102:103], s[20:21], v[100:101], v[100:101], 1.0
	v_div_scale_f64 v[108:109], vcc, 1.0, v[100:101], 1.0
	v_rcp_f64_e32 v[104:105], v[102:103]
	v_fma_f64 v[106:107], -v[102:103], v[104:105], 1.0
	v_fma_f64 v[104:105], v[104:105], v[106:107], v[104:105]
	v_fma_f64 v[106:107], -v[102:103], v[104:105], 1.0
	v_fma_f64 v[104:105], v[104:105], v[106:107], v[104:105]
	v_mul_f64 v[106:107], v[108:109], v[104:105]
	v_fma_f64 v[102:103], -v[102:103], v[106:107], v[108:109]
	v_div_fmas_f64 v[102:103], v[102:103], v[104:105], v[106:107]
	v_div_fixup_f64 v[117:118], v[102:103], v[100:101], 1.0
	v_mul_f64 v[119:120], v[98:99], -v[117:118]
.LBB90_954:
	s_or_b64 exec, exec, s[18:19]
.LBB90_955:
	s_or_b64 exec, exec, s[0:1]
	v_cmp_ne_u32_e32 vcc, v96, v97
	v_mov_b32_e32 v98, 45
	s_and_saveexec_b64 s[0:1], vcc
	s_cbranch_execz .LBB90_961
; %bb.956:
	v_cmp_eq_u32_e32 vcc, 45, v96
	s_and_saveexec_b64 s[18:19], vcc
	s_cbranch_execz .LBB90_960
; %bb.957:
	v_cmp_ne_u32_e32 vcc, 45, v97
	s_xor_b64 s[6:7], s[6:7], -1
	s_and_b64 s[20:21], s[6:7], vcc
	s_and_saveexec_b64 s[6:7], s[20:21]
	s_cbranch_execz .LBB90_959
; %bb.958:
	buffer_load_dword v85, off, s[24:27], 0 offset:304 ; 4-byte Folded Reload
	buffer_load_dword v86, off, s[24:27], 0 offset:308 ; 4-byte Folded Reload
	v_ashrrev_i32_e32 v98, 31, v97
	v_lshlrev_b64 v[98:99], 2, v[97:98]
	s_waitcnt vmcnt(1)
	v_add_co_u32_e32 v98, vcc, v85, v98
	s_waitcnt vmcnt(0)
	v_addc_co_u32_e32 v99, vcc, v86, v99, vcc
	global_load_dword v0, v[98:99], off
	global_load_dword v94, v[85:86], off offset:180
	s_waitcnt vmcnt(1)
	global_store_dword v[85:86], v0, off offset:180
	s_waitcnt vmcnt(1)
	global_store_dword v[98:99], v94, off
.LBB90_959:
	s_or_b64 exec, exec, s[6:7]
	v_mov_b32_e32 v96, v97
	v_mov_b32_e32 v0, v97
.LBB90_960:
	s_or_b64 exec, exec, s[18:19]
	v_mov_b32_e32 v98, v96
.LBB90_961:
	s_or_b64 exec, exec, s[0:1]
	v_cmp_gt_i32_e32 vcc, 46, v98
	v_ashrrev_i32_e32 v99, 31, v98
	s_waitcnt vmcnt(0)
	s_barrier
	s_barrier
	s_and_saveexec_b64 s[0:1], vcc
	s_cbranch_execz .LBB90_963
; %bb.962:
	v_mul_lo_u32 v94, s15, v115
	v_mul_lo_u32 v100, s14, v116
	v_mad_u64_u32 v[96:97], s[6:7], s14, v115, 0
	s_lshl_b64 s[6:7], s[12:13], 2
	v_add3_u32 v0, v0, s17, 1
	v_add3_u32 v97, v97, v100, v94
	v_lshlrev_b64 v[96:97], 2, v[96:97]
	v_mov_b32_e32 v94, s11
	v_add_co_u32_e32 v96, vcc, s10, v96
	v_addc_co_u32_e32 v94, vcc, v94, v97, vcc
	v_mov_b32_e32 v97, s7
	v_add_co_u32_e32 v100, vcc, s6, v96
	v_addc_co_u32_e32 v94, vcc, v94, v97, vcc
	v_lshlrev_b64 v[96:97], 2, v[98:99]
	v_add_co_u32_e32 v96, vcc, v100, v96
	v_addc_co_u32_e32 v97, vcc, v94, v97, vcc
	global_store_dword v[96:97], v0, off
.LBB90_963:
	s_or_b64 exec, exec, s[0:1]
	v_mov_b32_e32 v85, v89
	v_mov_b32_e32 v86, v90
	v_mov_b32_e32 v87, v91
	v_mov_b32_e32 v88, v92
	v_cmp_eq_u32_e32 vcc, 0, v98
	s_and_saveexec_b64 s[6:7], vcc
	s_cbranch_execz .LBB90_966
; %bb.964:
	v_lshlrev_b64 v[96:97], 2, v[115:116]
	v_mov_b32_e32 v0, s5
	v_add_co_u32_e32 v100, vcc, s4, v96
	v_addc_co_u32_e32 v101, vcc, v0, v97, vcc
	global_load_dword v0, v[100:101], off
	v_cmp_ne_u32_e64 s[0:1], 0, v95
	s_waitcnt vmcnt(0)
	v_cmp_eq_u32_e32 vcc, 0, v0
	s_and_b64 s[0:1], vcc, s[0:1]
	s_and_b64 exec, exec, s[0:1]
	s_cbranch_execz .LBB90_966
; %bb.965:
	v_add_u32_e32 v0, s17, v95
	global_store_dword v[100:101], v0, off
.LBB90_966:
	s_or_b64 exec, exec, s[6:7]
	buffer_load_dword v89, off, s[24:27], 0 offset:344 ; 4-byte Folded Reload
	buffer_load_dword v90, off, s[24:27], 0 offset:348 ; 4-byte Folded Reload
	;; [unrolled: 1-line block ×4, first 2 shown]
	v_mul_f64 v[94:95], v[117:118], v[123:124]
	v_mul_f64 v[96:97], v[119:120], v[123:124]
	v_cmp_lt_i32_e32 vcc, 45, v98
	v_mov_b32_e32 v0, s9
	v_fma_f64 v[94:95], v[119:120], v[121:122], v[94:95]
	v_fma_f64 v[96:97], v[117:118], v[121:122], -v[96:97]
	v_cndmask_b32_e32 v120, v124, v95, vcc
	v_cndmask_b32_e32 v119, v123, v94, vcc
	v_lshlrev_b64 v[94:95], 4, v[98:99]
	v_cndmask_b32_e32 v118, v122, v97, vcc
	v_cndmask_b32_e32 v117, v121, v96, vcc
	v_add_co_u32_e32 v94, vcc, v127, v94
	v_addc_co_u32_e32 v95, vcc, v93, v95, vcc
	s_waitcnt vmcnt(0)
	global_store_dwordx4 v[94:95], v[89:92], off
	buffer_load_dword v89, off, s[24:27], 0 offset:328 ; 4-byte Folded Reload
	s_nop 0
	buffer_load_dword v90, off, s[24:27], 0 offset:332 ; 4-byte Folded Reload
	buffer_load_dword v91, off, s[24:27], 0 offset:336 ; 4-byte Folded Reload
	;; [unrolled: 1-line block ×3, first 2 shown]
	v_add_co_u32_e32 v94, vcc, s8, v94
	v_addc_co_u32_e32 v95, vcc, v95, v0, vcc
	s_waitcnt vmcnt(0)
	global_store_dwordx4 v[94:95], v[89:92], off
	buffer_load_dword v89, off, s[24:27], 0 offset:312 ; 4-byte Folded Reload
	s_nop 0
	buffer_load_dword v90, off, s[24:27], 0 offset:316 ; 4-byte Folded Reload
	buffer_load_dword v91, off, s[24:27], 0 offset:320 ; 4-byte Folded Reload
	;; [unrolled: 1-line block ×3, first 2 shown]
	v_add_u32_e32 v94, s16, v98
	v_ashrrev_i32_e32 v95, 31, v94
	v_lshlrev_b64 v[95:96], 4, v[94:95]
	v_add_u32_e32 v94, s2, v94
	v_add_co_u32_e32 v95, vcc, v127, v95
	v_addc_co_u32_e32 v96, vcc, v93, v96, vcc
	s_waitcnt vmcnt(0)
	global_store_dwordx4 v[95:96], v[89:92], off
	buffer_load_dword v89, off, s[24:27], 0 offset:288 ; 4-byte Folded Reload
	s_nop 0
	buffer_load_dword v90, off, s[24:27], 0 offset:292 ; 4-byte Folded Reload
	buffer_load_dword v91, off, s[24:27], 0 offset:296 ; 4-byte Folded Reload
	buffer_load_dword v92, off, s[24:27], 0 offset:300 ; 4-byte Folded Reload
	v_ashrrev_i32_e32 v95, 31, v94
	v_lshlrev_b64 v[95:96], 4, v[94:95]
	v_add_u32_e32 v94, s2, v94
	v_add_co_u32_e32 v95, vcc, v127, v95
	v_addc_co_u32_e32 v96, vcc, v93, v96, vcc
	s_waitcnt vmcnt(0)
	global_store_dwordx4 v[95:96], v[89:92], off
	buffer_load_dword v89, off, s[24:27], 0 offset:272 ; 4-byte Folded Reload
	s_nop 0
	buffer_load_dword v90, off, s[24:27], 0 offset:276 ; 4-byte Folded Reload
	buffer_load_dword v91, off, s[24:27], 0 offset:280 ; 4-byte Folded Reload
	buffer_load_dword v92, off, s[24:27], 0 offset:284 ; 4-byte Folded Reload
	;; [unrolled: 12-line block ×18, first 2 shown]
	v_ashrrev_i32_e32 v95, 31, v94
	v_lshlrev_b64 v[95:96], 4, v[94:95]
	v_add_u32_e32 v94, s2, v94
	v_add_co_u32_e32 v95, vcc, v127, v95
	v_addc_co_u32_e32 v96, vcc, v93, v96, vcc
	s_waitcnt vmcnt(0)
	global_store_dwordx4 v[95:96], v[89:92], off
	buffer_load_dword v89, off, s[24:27], 0 ; 4-byte Folded Reload
	s_nop 0
	buffer_load_dword v90, off, s[24:27], 0 offset:4 ; 4-byte Folded Reload
	buffer_load_dword v91, off, s[24:27], 0 offset:8 ; 4-byte Folded Reload
	;; [unrolled: 1-line block ×3, first 2 shown]
	v_ashrrev_i32_e32 v95, 31, v94
	v_lshlrev_b64 v[95:96], 4, v[94:95]
	v_add_u32_e32 v94, s2, v94
	v_add_co_u32_e32 v95, vcc, v127, v95
	v_addc_co_u32_e32 v96, vcc, v93, v96, vcc
	s_waitcnt vmcnt(0)
	global_store_dwordx4 v[95:96], v[89:92], off
	v_ashrrev_i32_e32 v95, 31, v94
	v_lshlrev_b64 v[95:96], 4, v[94:95]
	v_add_u32_e32 v89, s2, v94
	v_ashrrev_i32_e32 v90, 31, v89
	v_add_co_u32_e32 v95, vcc, v127, v95
	v_lshlrev_b64 v[90:91], 4, v[89:90]
	v_addc_co_u32_e32 v96, vcc, v93, v96, vcc
	v_add_co_u32_e32 v90, vcc, v127, v90
	v_addc_co_u32_e32 v91, vcc, v93, v91, vcc
	global_store_dwordx4 v[95:96], v[111:114], off
	global_store_dwordx4 v[90:91], v[85:88], off
	s_nop 0
	v_add_u32_e32 v85, s2, v89
	v_ashrrev_i32_e32 v86, 31, v85
	v_lshlrev_b64 v[86:87], 4, v[85:86]
	v_add_co_u32_e32 v86, vcc, v127, v86
	v_addc_co_u32_e32 v87, vcc, v93, v87, vcc
	global_store_dwordx4 v[86:87], v[81:84], off
	s_nop 0
	v_add_u32_e32 v81, s2, v85
	v_ashrrev_i32_e32 v82, 31, v81
	v_lshlrev_b64 v[82:83], 4, v[81:82]
	v_add_co_u32_e32 v82, vcc, v127, v82
	v_addc_co_u32_e32 v83, vcc, v93, v83, vcc
	;; [unrolled: 7-line block ×20, first 2 shown]
	global_store_dwordx4 v[10:11], v[5:8], off
	s_nop 0
	v_add_u32_e32 v5, s2, v9
	v_ashrrev_i32_e32 v6, 31, v5
	v_lshlrev_b64 v[6:7], 4, v[5:6]
	v_add_u32_e32 v0, s2, v5
	v_add_co_u32_e32 v6, vcc, v127, v6
	v_addc_co_u32_e32 v7, vcc, v93, v7, vcc
	global_store_dwordx4 v[6:7], v[1:4], off
	s_nop 0
	v_ashrrev_i32_e32 v1, 31, v0
	v_lshlrev_b64 v[0:1], 4, v[0:1]
	v_add_co_u32_e32 v0, vcc, v127, v0
	v_addc_co_u32_e32 v1, vcc, v93, v1, vcc
	global_store_dwordx4 v[0:1], v[117:120], off
.LBB90_967:
	s_endpgm
	.section	.rodata,"a",@progbits
	.p2align	6, 0x0
	.amdhsa_kernel _ZN9rocsolver6v33100L18getf2_small_kernelILi46E19rocblas_complex_numIdEiiPS3_EEvT1_T3_lS5_lPS5_llPT2_S5_S5_S7_l
		.amdhsa_group_segment_fixed_size 0
		.amdhsa_private_segment_fixed_size 372
		.amdhsa_kernarg_size 352
		.amdhsa_user_sgpr_count 6
		.amdhsa_user_sgpr_private_segment_buffer 1
		.amdhsa_user_sgpr_dispatch_ptr 0
		.amdhsa_user_sgpr_queue_ptr 0
		.amdhsa_user_sgpr_kernarg_segment_ptr 1
		.amdhsa_user_sgpr_dispatch_id 0
		.amdhsa_user_sgpr_flat_scratch_init 0
		.amdhsa_user_sgpr_private_segment_size 0
		.amdhsa_uses_dynamic_stack 0
		.amdhsa_system_sgpr_private_segment_wavefront_offset 1
		.amdhsa_system_sgpr_workgroup_id_x 1
		.amdhsa_system_sgpr_workgroup_id_y 1
		.amdhsa_system_sgpr_workgroup_id_z 0
		.amdhsa_system_sgpr_workgroup_info 0
		.amdhsa_system_vgpr_workitem_id 1
		.amdhsa_next_free_vgpr 128
		.amdhsa_next_free_sgpr 30
		.amdhsa_reserve_vcc 1
		.amdhsa_reserve_flat_scratch 0
		.amdhsa_float_round_mode_32 0
		.amdhsa_float_round_mode_16_64 0
		.amdhsa_float_denorm_mode_32 3
		.amdhsa_float_denorm_mode_16_64 3
		.amdhsa_dx10_clamp 1
		.amdhsa_ieee_mode 1
		.amdhsa_fp16_overflow 0
		.amdhsa_exception_fp_ieee_invalid_op 0
		.amdhsa_exception_fp_denorm_src 0
		.amdhsa_exception_fp_ieee_div_zero 0
		.amdhsa_exception_fp_ieee_overflow 0
		.amdhsa_exception_fp_ieee_underflow 0
		.amdhsa_exception_fp_ieee_inexact 0
		.amdhsa_exception_int_div_zero 0
	.end_amdhsa_kernel
	.section	.text._ZN9rocsolver6v33100L18getf2_small_kernelILi46E19rocblas_complex_numIdEiiPS3_EEvT1_T3_lS5_lPS5_llPT2_S5_S5_S7_l,"axG",@progbits,_ZN9rocsolver6v33100L18getf2_small_kernelILi46E19rocblas_complex_numIdEiiPS3_EEvT1_T3_lS5_lPS5_llPT2_S5_S5_S7_l,comdat
.Lfunc_end90:
	.size	_ZN9rocsolver6v33100L18getf2_small_kernelILi46E19rocblas_complex_numIdEiiPS3_EEvT1_T3_lS5_lPS5_llPT2_S5_S5_S7_l, .Lfunc_end90-_ZN9rocsolver6v33100L18getf2_small_kernelILi46E19rocblas_complex_numIdEiiPS3_EEvT1_T3_lS5_lPS5_llPT2_S5_S5_S7_l
                                        ; -- End function
	.set _ZN9rocsolver6v33100L18getf2_small_kernelILi46E19rocblas_complex_numIdEiiPS3_EEvT1_T3_lS5_lPS5_llPT2_S5_S5_S7_l.num_vgpr, 128
	.set _ZN9rocsolver6v33100L18getf2_small_kernelILi46E19rocblas_complex_numIdEiiPS3_EEvT1_T3_lS5_lPS5_llPT2_S5_S5_S7_l.num_agpr, 0
	.set _ZN9rocsolver6v33100L18getf2_small_kernelILi46E19rocblas_complex_numIdEiiPS3_EEvT1_T3_lS5_lPS5_llPT2_S5_S5_S7_l.numbered_sgpr, 30
	.set _ZN9rocsolver6v33100L18getf2_small_kernelILi46E19rocblas_complex_numIdEiiPS3_EEvT1_T3_lS5_lPS5_llPT2_S5_S5_S7_l.num_named_barrier, 0
	.set _ZN9rocsolver6v33100L18getf2_small_kernelILi46E19rocblas_complex_numIdEiiPS3_EEvT1_T3_lS5_lPS5_llPT2_S5_S5_S7_l.private_seg_size, 372
	.set _ZN9rocsolver6v33100L18getf2_small_kernelILi46E19rocblas_complex_numIdEiiPS3_EEvT1_T3_lS5_lPS5_llPT2_S5_S5_S7_l.uses_vcc, 1
	.set _ZN9rocsolver6v33100L18getf2_small_kernelILi46E19rocblas_complex_numIdEiiPS3_EEvT1_T3_lS5_lPS5_llPT2_S5_S5_S7_l.uses_flat_scratch, 0
	.set _ZN9rocsolver6v33100L18getf2_small_kernelILi46E19rocblas_complex_numIdEiiPS3_EEvT1_T3_lS5_lPS5_llPT2_S5_S5_S7_l.has_dyn_sized_stack, 0
	.set _ZN9rocsolver6v33100L18getf2_small_kernelILi46E19rocblas_complex_numIdEiiPS3_EEvT1_T3_lS5_lPS5_llPT2_S5_S5_S7_l.has_recursion, 0
	.set _ZN9rocsolver6v33100L18getf2_small_kernelILi46E19rocblas_complex_numIdEiiPS3_EEvT1_T3_lS5_lPS5_llPT2_S5_S5_S7_l.has_indirect_call, 0
	.section	.AMDGPU.csdata,"",@progbits
; Kernel info:
; codeLenInByte = 145808
; TotalNumSgprs: 34
; NumVgprs: 128
; ScratchSize: 372
; MemoryBound: 0
; FloatMode: 240
; IeeeMode: 1
; LDSByteSize: 0 bytes/workgroup (compile time only)
; SGPRBlocks: 4
; VGPRBlocks: 31
; NumSGPRsForWavesPerEU: 34
; NumVGPRsForWavesPerEU: 128
; Occupancy: 2
; WaveLimiterHint : 0
; COMPUTE_PGM_RSRC2:SCRATCH_EN: 1
; COMPUTE_PGM_RSRC2:USER_SGPR: 6
; COMPUTE_PGM_RSRC2:TRAP_HANDLER: 0
; COMPUTE_PGM_RSRC2:TGID_X_EN: 1
; COMPUTE_PGM_RSRC2:TGID_Y_EN: 1
; COMPUTE_PGM_RSRC2:TGID_Z_EN: 0
; COMPUTE_PGM_RSRC2:TIDIG_COMP_CNT: 1
	.section	.text._ZN9rocsolver6v33100L23getf2_npvt_small_kernelILi46E19rocblas_complex_numIdEiiPS3_EEvT1_T3_lS5_lPT2_S5_S5_,"axG",@progbits,_ZN9rocsolver6v33100L23getf2_npvt_small_kernelILi46E19rocblas_complex_numIdEiiPS3_EEvT1_T3_lS5_lPT2_S5_S5_,comdat
	.globl	_ZN9rocsolver6v33100L23getf2_npvt_small_kernelILi46E19rocblas_complex_numIdEiiPS3_EEvT1_T3_lS5_lPT2_S5_S5_ ; -- Begin function _ZN9rocsolver6v33100L23getf2_npvt_small_kernelILi46E19rocblas_complex_numIdEiiPS3_EEvT1_T3_lS5_lPT2_S5_S5_
	.p2align	8
	.type	_ZN9rocsolver6v33100L23getf2_npvt_small_kernelILi46E19rocblas_complex_numIdEiiPS3_EEvT1_T3_lS5_lPT2_S5_S5_,@function
_ZN9rocsolver6v33100L23getf2_npvt_small_kernelILi46E19rocblas_complex_numIdEiiPS3_EEvT1_T3_lS5_lPT2_S5_S5_: ; @_ZN9rocsolver6v33100L23getf2_npvt_small_kernelILi46E19rocblas_complex_numIdEiiPS3_EEvT1_T3_lS5_lPT2_S5_S5_
; %bb.0:
	s_mov_b64 s[22:23], s[2:3]
	s_mov_b64 s[20:21], s[0:1]
	s_load_dword s0, s[4:5], 0x44
	s_load_dwordx2 s[12:13], s[4:5], 0x30
	s_add_u32 s20, s20, s8
	s_addc_u32 s21, s21, 0
	s_waitcnt lgkmcnt(0)
	s_lshr_b32 s2, s0, 16
	s_mul_i32 s7, s7, s2
	v_add_u32_e32 v87, s7, v1
	v_cmp_gt_i32_e32 vcc, s12, v87
	s_and_saveexec_b64 s[0:1], vcc
	s_cbranch_execnz .LBB91_1
; %bb.418:
	s_getpc_b64 s[0:1]
.Lpost_getpc5:
	s_add_u32 s0, s0, (.LBB91_417-.Lpost_getpc5)&4294967295
	s_addc_u32 s1, s1, (.LBB91_417-.Lpost_getpc5)>>32
	s_setpc_b64 s[0:1]
.LBB91_1:
	s_load_dwordx4 s[8:11], s[4:5], 0x20
	s_load_dwordx4 s[16:19], s[4:5], 0x8
	v_ashrrev_i32_e32 v88, 31, v87
	s_mulk_i32 s2, 0x2e0
	s_waitcnt lgkmcnt(0)
	v_mul_lo_u32 v4, s9, v87
	v_mul_lo_u32 v5, s8, v88
	v_mad_u64_u32 v[2:3], s[0:1], s8, v87, 0
	s_load_dword s0, s[4:5], 0x18
	v_mov_b32_e32 v6, s17
	v_add3_u32 v3, v3, v5, v4
	v_lshlrev_b64 v[2:3], 4, v[2:3]
	s_lshl_b64 s[4:5], s[18:19], 4
	v_add_co_u32_e32 v2, vcc, s16, v2
	v_addc_co_u32_e32 v3, vcc, v6, v3, vcc
	v_mov_b32_e32 v4, s5
	v_add_co_u32_e32 v2, vcc, s4, v2
	s_waitcnt lgkmcnt(0)
	s_add_i32 s1, s0, s0
	v_addc_co_u32_e32 v3, vcc, v3, v4, vcc
	v_add_u32_e32 v4, s1, v0
	v_ashrrev_i32_e32 v5, 31, v4
	v_lshlrev_b64 v[5:6], 4, v[4:5]
	v_add_u32_e32 v4, s0, v4
	v_add_co_u32_e32 v91, vcc, v2, v5
	v_ashrrev_i32_e32 v5, 31, v4
	v_addc_co_u32_e32 v92, vcc, v3, v6, vcc
	v_lshlrev_b64 v[5:6], 4, v[4:5]
	v_add_u32_e32 v4, s0, v4
	v_add_co_u32_e32 v7, vcc, v2, v5
	v_ashrrev_i32_e32 v5, 31, v4
	v_addc_co_u32_e32 v8, vcc, v3, v6, vcc
	;; [unrolled: 5-line block ×42, first 2 shown]
	v_lshlrev_b64 v[5:6], 4, v[4:5]
	v_add_u32_e32 v4, s0, v4
	v_add_co_u32_e32 v113, vcc, v2, v5
	v_ashrrev_i32_e32 v5, 31, v4
	v_lshlrev_b64 v[4:5], 4, v[4:5]
	v_addc_co_u32_e32 v114, vcc, v3, v6, vcc
	v_add_co_u32_e32 v115, vcc, v2, v4
	v_addc_co_u32_e32 v116, vcc, v3, v5, vcc
	v_lshlrev_b32_e32 v4, 4, v0
	v_add_co_u32_e32 v4, vcc, v2, v4
	s_ashr_i32 s1, s0, 31
	v_addc_co_u32_e32 v5, vcc, 0, v3, vcc
	s_lshl_b64 s[0:1], s[0:1], 4
	v_mov_b32_e32 v2, s1
	v_add_co_u32_e32 v61, vcc, s0, v4
	v_addc_co_u32_e32 v62, vcc, v5, v2, vcc
	buffer_store_dword v4, off, s[20:23], 0 offset:712 ; 4-byte Folded Spill
	s_nop 0
	buffer_store_dword v5, off, s[20:23], 0 offset:716 ; 4-byte Folded Spill
	s_movk_i32 s0, 0x2e0
	s_add_i32 s1, s2, 0
	v_mad_u32_u24 v125, v1, s0, 0
	v_lshl_add_u32 v127, v1, 4, s1
	v_cmp_ne_u32_e64 s[2:3], 0, v0
	v_cmp_eq_u32_e64 s[0:1], 0, v0
	global_load_dwordx4 v[1:4], v[4:5], off
	s_waitcnt vmcnt(0)
	buffer_store_dword v1, off, s[20:23], 0 offset:352 ; 4-byte Folded Spill
	s_nop 0
	buffer_store_dword v2, off, s[20:23], 0 offset:356 ; 4-byte Folded Spill
	buffer_store_dword v3, off, s[20:23], 0 offset:360 ; 4-byte Folded Spill
	buffer_store_dword v4, off, s[20:23], 0 offset:364 ; 4-byte Folded Spill
	buffer_store_dword v61, off, s[20:23], 0 offset:720 ; 4-byte Folded Spill
	s_nop 0
	buffer_store_dword v62, off, s[20:23], 0 offset:724 ; 4-byte Folded Spill
	global_load_dwordx4 v[1:4], v[61:62], off
	s_waitcnt vmcnt(0)
	buffer_store_dword v1, off, s[20:23], 0 offset:336 ; 4-byte Folded Spill
	s_nop 0
	buffer_store_dword v2, off, s[20:23], 0 offset:340 ; 4-byte Folded Spill
	buffer_store_dword v3, off, s[20:23], 0 offset:344 ; 4-byte Folded Spill
	buffer_store_dword v4, off, s[20:23], 0 offset:348 ; 4-byte Folded Spill
	global_load_dwordx4 v[1:4], v[91:92], off
	s_waitcnt vmcnt(0)
	buffer_store_dword v1, off, s[20:23], 0 offset:320 ; 4-byte Folded Spill
	s_nop 0
	buffer_store_dword v2, off, s[20:23], 0 offset:324 ; 4-byte Folded Spill
	buffer_store_dword v3, off, s[20:23], 0 offset:328 ; 4-byte Folded Spill
	buffer_store_dword v4, off, s[20:23], 0 offset:332 ; 4-byte Folded Spill
	buffer_store_dword v7, off, s[20:23], 0 offset:384 ; 4-byte Folded Spill
	s_nop 0
	buffer_store_dword v8, off, s[20:23], 0 offset:388 ; 4-byte Folded Spill
	global_load_dwordx4 v[1:4], v[7:8], off
	s_waitcnt vmcnt(0)
	buffer_store_dword v1, off, s[20:23], 0 offset:304 ; 4-byte Folded Spill
	s_nop 0
	buffer_store_dword v2, off, s[20:23], 0 offset:308 ; 4-byte Folded Spill
	buffer_store_dword v3, off, s[20:23], 0 offset:312 ; 4-byte Folded Spill
	buffer_store_dword v4, off, s[20:23], 0 offset:316 ; 4-byte Folded Spill
	;; [unrolled: 17-line block ×3, first 2 shown]
	buffer_store_dword v11, off, s[20:23], 0 offset:400 ; 4-byte Folded Spill
	s_nop 0
	buffer_store_dword v12, off, s[20:23], 0 offset:404 ; 4-byte Folded Spill
	global_load_dwordx4 v[1:4], v[11:12], off
	s_waitcnt vmcnt(0)
	buffer_store_dword v1, off, s[20:23], 0 offset:256 ; 4-byte Folded Spill
	s_nop 0
	buffer_store_dword v2, off, s[20:23], 0 offset:260 ; 4-byte Folded Spill
	buffer_store_dword v3, off, s[20:23], 0 offset:264 ; 4-byte Folded Spill
	buffer_store_dword v4, off, s[20:23], 0 offset:268 ; 4-byte Folded Spill
	buffer_store_dword v13, off, s[20:23], 0 offset:408 ; 4-byte Folded Spill
	s_nop 0
	buffer_store_dword v14, off, s[20:23], 0 offset:412 ; 4-byte Folded Spill
	global_load_dwordx4 v[1:4], v[13:14], off
	s_waitcnt vmcnt(0)
	buffer_store_dword v1, off, s[20:23], 0 offset:240 ; 4-byte Folded Spill
	s_nop 0
	buffer_store_dword v2, off, s[20:23], 0 offset:244 ; 4-byte Folded Spill
	buffer_store_dword v3, off, s[20:23], 0 offset:248 ; 4-byte Folded Spill
	buffer_store_dword v4, off, s[20:23], 0 offset:252 ; 4-byte Folded Spill
	buffer_store_dword v15, off, s[20:23], 0 offset:416 ; 4-byte Folded Spill
	s_nop 0
	buffer_store_dword v16, off, s[20:23], 0 offset:420 ; 4-byte Folded Spill
	global_load_dwordx4 v[1:4], v[15:16], off
	s_waitcnt vmcnt(0)
	buffer_store_dword v1, off, s[20:23], 0 offset:224 ; 4-byte Folded Spill
	s_nop 0
	buffer_store_dword v2, off, s[20:23], 0 offset:228 ; 4-byte Folded Spill
	buffer_store_dword v3, off, s[20:23], 0 offset:232 ; 4-byte Folded Spill
	buffer_store_dword v4, off, s[20:23], 0 offset:236 ; 4-byte Folded Spill
	buffer_store_dword v17, off, s[20:23], 0 offset:424 ; 4-byte Folded Spill
	s_nop 0
	buffer_store_dword v18, off, s[20:23], 0 offset:428 ; 4-byte Folded Spill
	global_load_dwordx4 v[1:4], v[17:18], off
	s_waitcnt vmcnt(0)
	buffer_store_dword v1, off, s[20:23], 0 offset:208 ; 4-byte Folded Spill
	s_nop 0
	buffer_store_dword v2, off, s[20:23], 0 offset:212 ; 4-byte Folded Spill
	buffer_store_dword v3, off, s[20:23], 0 offset:216 ; 4-byte Folded Spill
	buffer_store_dword v4, off, s[20:23], 0 offset:220 ; 4-byte Folded Spill
	buffer_store_dword v19, off, s[20:23], 0 offset:432 ; 4-byte Folded Spill
	s_nop 0
	buffer_store_dword v20, off, s[20:23], 0 offset:436 ; 4-byte Folded Spill
	global_load_dwordx4 v[1:4], v[19:20], off
	s_waitcnt vmcnt(0)
	buffer_store_dword v1, off, s[20:23], 0 offset:192 ; 4-byte Folded Spill
	s_nop 0
	buffer_store_dword v2, off, s[20:23], 0 offset:196 ; 4-byte Folded Spill
	buffer_store_dword v3, off, s[20:23], 0 offset:200 ; 4-byte Folded Spill
	buffer_store_dword v4, off, s[20:23], 0 offset:204 ; 4-byte Folded Spill
	buffer_store_dword v21, off, s[20:23], 0 offset:440 ; 4-byte Folded Spill
	s_nop 0
	buffer_store_dword v22, off, s[20:23], 0 offset:444 ; 4-byte Folded Spill
	global_load_dwordx4 v[1:4], v[21:22], off
	s_waitcnt vmcnt(0)
	buffer_store_dword v1, off, s[20:23], 0 offset:176 ; 4-byte Folded Spill
	s_nop 0
	buffer_store_dword v2, off, s[20:23], 0 offset:180 ; 4-byte Folded Spill
	buffer_store_dword v3, off, s[20:23], 0 offset:184 ; 4-byte Folded Spill
	buffer_store_dword v4, off, s[20:23], 0 offset:188 ; 4-byte Folded Spill
	buffer_store_dword v23, off, s[20:23], 0 offset:448 ; 4-byte Folded Spill
	s_nop 0
	buffer_store_dword v24, off, s[20:23], 0 offset:452 ; 4-byte Folded Spill
	global_load_dwordx4 v[1:4], v[23:24], off
	s_waitcnt vmcnt(0)
	buffer_store_dword v1, off, s[20:23], 0 offset:160 ; 4-byte Folded Spill
	s_nop 0
	buffer_store_dword v2, off, s[20:23], 0 offset:164 ; 4-byte Folded Spill
	buffer_store_dword v3, off, s[20:23], 0 offset:168 ; 4-byte Folded Spill
	buffer_store_dword v4, off, s[20:23], 0 offset:172 ; 4-byte Folded Spill
	buffer_store_dword v25, off, s[20:23], 0 offset:456 ; 4-byte Folded Spill
	s_nop 0
	buffer_store_dword v26, off, s[20:23], 0 offset:460 ; 4-byte Folded Spill
	global_load_dwordx4 v[1:4], v[25:26], off
	s_waitcnt vmcnt(0)
	buffer_store_dword v1, off, s[20:23], 0 offset:144 ; 4-byte Folded Spill
	s_nop 0
	buffer_store_dword v2, off, s[20:23], 0 offset:148 ; 4-byte Folded Spill
	buffer_store_dword v3, off, s[20:23], 0 offset:152 ; 4-byte Folded Spill
	buffer_store_dword v4, off, s[20:23], 0 offset:156 ; 4-byte Folded Spill
	buffer_store_dword v27, off, s[20:23], 0 offset:464 ; 4-byte Folded Spill
	s_nop 0
	buffer_store_dword v28, off, s[20:23], 0 offset:468 ; 4-byte Folded Spill
	global_load_dwordx4 v[1:4], v[27:28], off
	s_waitcnt vmcnt(0)
	buffer_store_dword v1, off, s[20:23], 0 offset:128 ; 4-byte Folded Spill
	s_nop 0
	buffer_store_dword v2, off, s[20:23], 0 offset:132 ; 4-byte Folded Spill
	buffer_store_dword v3, off, s[20:23], 0 offset:136 ; 4-byte Folded Spill
	buffer_store_dword v4, off, s[20:23], 0 offset:140 ; 4-byte Folded Spill
	buffer_store_dword v29, off, s[20:23], 0 offset:472 ; 4-byte Folded Spill
	s_nop 0
	buffer_store_dword v30, off, s[20:23], 0 offset:476 ; 4-byte Folded Spill
	global_load_dwordx4 v[1:4], v[29:30], off
	s_waitcnt vmcnt(0)
	buffer_store_dword v1, off, s[20:23], 0 offset:112 ; 4-byte Folded Spill
	s_nop 0
	buffer_store_dword v2, off, s[20:23], 0 offset:116 ; 4-byte Folded Spill
	buffer_store_dword v3, off, s[20:23], 0 offset:120 ; 4-byte Folded Spill
	buffer_store_dword v4, off, s[20:23], 0 offset:124 ; 4-byte Folded Spill
	buffer_store_dword v31, off, s[20:23], 0 offset:480 ; 4-byte Folded Spill
	s_nop 0
	buffer_store_dword v32, off, s[20:23], 0 offset:484 ; 4-byte Folded Spill
	global_load_dwordx4 v[1:4], v[31:32], off
	s_waitcnt vmcnt(0)
	buffer_store_dword v1, off, s[20:23], 0 offset:96 ; 4-byte Folded Spill
	s_nop 0
	buffer_store_dword v2, off, s[20:23], 0 offset:100 ; 4-byte Folded Spill
	buffer_store_dword v3, off, s[20:23], 0 offset:104 ; 4-byte Folded Spill
	buffer_store_dword v4, off, s[20:23], 0 offset:108 ; 4-byte Folded Spill
	buffer_store_dword v33, off, s[20:23], 0 offset:488 ; 4-byte Folded Spill
	s_nop 0
	buffer_store_dword v34, off, s[20:23], 0 offset:492 ; 4-byte Folded Spill
	global_load_dwordx4 v[1:4], v[33:34], off
	s_waitcnt vmcnt(0)
	buffer_store_dword v1, off, s[20:23], 0 offset:80 ; 4-byte Folded Spill
	s_nop 0
	buffer_store_dword v2, off, s[20:23], 0 offset:84 ; 4-byte Folded Spill
	buffer_store_dword v3, off, s[20:23], 0 offset:88 ; 4-byte Folded Spill
	buffer_store_dword v4, off, s[20:23], 0 offset:92 ; 4-byte Folded Spill
	buffer_store_dword v35, off, s[20:23], 0 offset:496 ; 4-byte Folded Spill
	s_nop 0
	buffer_store_dword v36, off, s[20:23], 0 offset:500 ; 4-byte Folded Spill
	global_load_dwordx4 v[1:4], v[35:36], off
	s_waitcnt vmcnt(0)
	buffer_store_dword v1, off, s[20:23], 0 offset:64 ; 4-byte Folded Spill
	s_nop 0
	buffer_store_dword v2, off, s[20:23], 0 offset:68 ; 4-byte Folded Spill
	buffer_store_dword v3, off, s[20:23], 0 offset:72 ; 4-byte Folded Spill
	buffer_store_dword v4, off, s[20:23], 0 offset:76 ; 4-byte Folded Spill
	buffer_store_dword v37, off, s[20:23], 0 offset:504 ; 4-byte Folded Spill
	s_nop 0
	buffer_store_dword v38, off, s[20:23], 0 offset:508 ; 4-byte Folded Spill
	global_load_dwordx4 v[1:4], v[37:38], off
	s_waitcnt vmcnt(0)
	buffer_store_dword v1, off, s[20:23], 0 offset:48 ; 4-byte Folded Spill
	s_nop 0
	buffer_store_dword v2, off, s[20:23], 0 offset:52 ; 4-byte Folded Spill
	buffer_store_dword v3, off, s[20:23], 0 offset:56 ; 4-byte Folded Spill
	buffer_store_dword v4, off, s[20:23], 0 offset:60 ; 4-byte Folded Spill
	buffer_store_dword v39, off, s[20:23], 0 offset:512 ; 4-byte Folded Spill
	s_nop 0
	buffer_store_dword v40, off, s[20:23], 0 offset:516 ; 4-byte Folded Spill
	global_load_dwordx4 v[117:120], v[39:40], off
	s_nop 0
	buffer_store_dword v41, off, s[20:23], 0 offset:520 ; 4-byte Folded Spill
	s_nop 0
	buffer_store_dword v42, off, s[20:23], 0 offset:524 ; 4-byte Folded Spill
	global_load_dwordx4 v[121:124], v[41:42], off
	s_nop 0
	;; [unrolled: 5-line block ×5, first 2 shown]
	buffer_store_dword v45, off, s[20:23], 0 offset:536 ; 4-byte Folded Spill
	s_nop 0
	buffer_store_dword v46, off, s[20:23], 0 offset:540 ; 4-byte Folded Spill
	global_load_dwordx4 v[5:8], v[45:46], off
	s_waitcnt vmcnt(0)
	buffer_store_dword v5, off, s[20:23], 0 offset:32 ; 4-byte Folded Spill
	s_nop 0
	buffer_store_dword v6, off, s[20:23], 0 offset:36 ; 4-byte Folded Spill
	buffer_store_dword v7, off, s[20:23], 0 offset:40 ; 4-byte Folded Spill
	;; [unrolled: 1-line block ×3, first 2 shown]
	global_load_dwordx4 v[5:8], v[81:82], off
	s_waitcnt vmcnt(0)
	buffer_store_dword v5, off, s[20:23], 0 offset:16 ; 4-byte Folded Spill
	s_nop 0
	buffer_store_dword v6, off, s[20:23], 0 offset:20 ; 4-byte Folded Spill
	buffer_store_dword v7, off, s[20:23], 0 offset:24 ; 4-byte Folded Spill
	buffer_store_dword v8, off, s[20:23], 0 offset:28 ; 4-byte Folded Spill
	buffer_store_dword v47, off, s[20:23], 0 offset:544 ; 4-byte Folded Spill
	s_nop 0
	buffer_store_dword v48, off, s[20:23], 0 offset:548 ; 4-byte Folded Spill
	global_load_dwordx4 v[5:8], v[47:48], off
	s_waitcnt vmcnt(0)
	buffer_store_dword v5, off, s[20:23], 0 ; 4-byte Folded Spill
	s_nop 0
	buffer_store_dword v6, off, s[20:23], 0 offset:4 ; 4-byte Folded Spill
	buffer_store_dword v7, off, s[20:23], 0 offset:8 ; 4-byte Folded Spill
	;; [unrolled: 1-line block ×4, first 2 shown]
	s_nop 0
	buffer_store_dword v50, off, s[20:23], 0 offset:556 ; 4-byte Folded Spill
	global_load_dwordx4 v[65:68], v[49:50], off
	s_nop 0
	buffer_store_dword v51, off, s[20:23], 0 offset:560 ; 4-byte Folded Spill
	s_nop 0
	buffer_store_dword v52, off, s[20:23], 0 offset:564 ; 4-byte Folded Spill
	global_load_dwordx4 v[61:64], v[51:52], off
	s_nop 0
	buffer_store_dword v53, off, s[20:23], 0 offset:568 ; 4-byte Folded Spill
	;; [unrolled: 5-line block ×8, first 2 shown]
	s_nop 0
	buffer_store_dword v98, off, s[20:23], 0 offset:620 ; 4-byte Folded Spill
	v_mov_b32_e32 v96, v4
	v_mov_b32_e32 v95, v3
	;; [unrolled: 1-line block ×4, first 2 shown]
	global_load_dwordx4 v[29:32], v[97:98], off
	s_nop 0
	buffer_store_dword v99, off, s[20:23], 0 offset:624 ; 4-byte Folded Spill
	s_nop 0
	buffer_store_dword v100, off, s[20:23], 0 offset:628 ; 4-byte Folded Spill
	global_load_dwordx4 v[25:28], v[99:100], off
	s_nop 0
	buffer_store_dword v101, off, s[20:23], 0 offset:632 ; 4-byte Folded Spill
	s_nop 0
	buffer_store_dword v102, off, s[20:23], 0 offset:636 ; 4-byte Folded Spill
	;; [unrolled: 5-line block ×8, first 2 shown]
	v_mov_b32_e32 v112, v80
	v_mov_b32_e32 v111, v79
	;; [unrolled: 1-line block ×4, first 2 shown]
	global_load_dwordx4 v[77:80], v[113:114], off
	s_nop 0
	buffer_store_dword v115, off, s[20:23], 0 offset:688 ; 4-byte Folded Spill
	s_nop 0
	buffer_store_dword v116, off, s[20:23], 0 offset:692 ; 4-byte Folded Spill
	global_load_dwordx4 v[73:76], v[115:116], off
	v_mov_b32_e32 v116, v40
	v_mov_b32_e32 v115, v39
	v_mov_b32_e32 v114, v38
	v_mov_b32_e32 v113, v37
	s_waitcnt vmcnt(30)
	v_mov_b32_e32 v40, v36
	v_mov_b32_e32 v39, v35
	v_mov_b32_e32 v38, v34
	v_mov_b32_e32 v37, v33
	s_waitcnt vmcnt(27)
	;; [unrolled: 5-line block ×10, first 2 shown]
	v_mov_b32_e32 v1, v77
	v_mov_b32_e32 v2, v78
	;; [unrolled: 1-line block ×4, first 2 shown]
	s_and_saveexec_b64 s[6:7], s[0:1]
	s_cbranch_execz .LBB91_8
; %bb.2:
	buffer_load_dword v69, off, s[20:23], 0 offset:352 ; 4-byte Folded Reload
	buffer_load_dword v70, off, s[20:23], 0 offset:356 ; 4-byte Folded Reload
	;; [unrolled: 1-line block ×4, first 2 shown]
	s_waitcnt vmcnt(0)
	ds_write2_b64 v127, v[69:70], v[71:72] offset1:1
	buffer_load_dword v69, off, s[20:23], 0 offset:336 ; 4-byte Folded Reload
	buffer_load_dword v70, off, s[20:23], 0 offset:340 ; 4-byte Folded Reload
	buffer_load_dword v71, off, s[20:23], 0 offset:344 ; 4-byte Folded Reload
	buffer_load_dword v72, off, s[20:23], 0 offset:348 ; 4-byte Folded Reload
	s_waitcnt vmcnt(0)
	ds_write2_b64 v125, v[69:70], v[71:72] offset0:2 offset1:3
	buffer_load_dword v69, off, s[20:23], 0 offset:320 ; 4-byte Folded Reload
	buffer_load_dword v70, off, s[20:23], 0 offset:324 ; 4-byte Folded Reload
	buffer_load_dword v71, off, s[20:23], 0 offset:328 ; 4-byte Folded Reload
	buffer_load_dword v72, off, s[20:23], 0 offset:332 ; 4-byte Folded Reload
	s_waitcnt vmcnt(0)
	ds_write2_b64 v125, v[69:70], v[71:72] offset0:4 offset1:5
	;; [unrolled: 6-line block ×19, first 2 shown]
	ds_write2_b64 v125, v[117:118], v[119:120] offset0:40 offset1:41
	ds_write2_b64 v125, v[121:122], v[123:124] offset0:42 offset1:43
	;; [unrolled: 1-line block ×5, first 2 shown]
	buffer_load_dword v77, off, s[20:23], 0 offset:32 ; 4-byte Folded Reload
	buffer_load_dword v78, off, s[20:23], 0 offset:36 ; 4-byte Folded Reload
	;; [unrolled: 1-line block ×4, first 2 shown]
	v_mov_b32_e32 v69, v73
	v_mov_b32_e32 v70, v74
	;; [unrolled: 1-line block ×4, first 2 shown]
	s_waitcnt vmcnt(0)
	ds_write2_b64 v125, v[77:78], v[79:80] offset0:50 offset1:51
	buffer_load_dword v73, off, s[20:23], 0 offset:16 ; 4-byte Folded Reload
	buffer_load_dword v74, off, s[20:23], 0 offset:20 ; 4-byte Folded Reload
	;; [unrolled: 1-line block ×4, first 2 shown]
	s_waitcnt vmcnt(0)
	ds_write2_b64 v125, v[73:74], v[75:76] offset0:52 offset1:53
	v_mov_b32_e32 v76, v72
	v_mov_b32_e32 v75, v71
	;; [unrolled: 1-line block ×4, first 2 shown]
	buffer_load_dword v69, off, s[20:23], 0 ; 4-byte Folded Reload
	buffer_load_dword v70, off, s[20:23], 0 offset:4 ; 4-byte Folded Reload
	buffer_load_dword v71, off, s[20:23], 0 offset:8 ; 4-byte Folded Reload
	;; [unrolled: 1-line block ×3, first 2 shown]
	s_waitcnt vmcnt(0)
	ds_write2_b64 v125, v[69:70], v[71:72] offset0:54 offset1:55
	ds_write2_b64 v125, v[65:66], v[67:68] offset0:56 offset1:57
	;; [unrolled: 1-line block ×19, first 2 shown]
	ds_read2_b64 v[97:100], v127 offset1:1
	s_waitcnt lgkmcnt(0)
	v_cmp_neq_f64_e32 vcc, 0, v[97:98]
	v_cmp_neq_f64_e64 s[4:5], 0, v[99:100]
	s_or_b64 s[4:5], vcc, s[4:5]
	s_and_b64 exec, exec, s[4:5]
	s_cbranch_execz .LBB91_8
; %bb.3:
	v_cmp_ngt_f64_e64 s[4:5], |v[97:98]|, |v[99:100]|
                                        ; implicit-def: $vgpr101_vgpr102
	s_and_saveexec_b64 s[8:9], s[4:5]
	s_xor_b64 s[4:5], exec, s[8:9]
                                        ; implicit-def: $vgpr103_vgpr104
	s_cbranch_execz .LBB91_5
; %bb.4:
	v_div_scale_f64 v[101:102], s[8:9], v[99:100], v[99:100], v[97:98]
	v_rcp_f64_e32 v[103:104], v[101:102]
	v_fma_f64 v[105:106], -v[101:102], v[103:104], 1.0
	v_fma_f64 v[103:104], v[103:104], v[105:106], v[103:104]
	v_div_scale_f64 v[105:106], vcc, v[97:98], v[99:100], v[97:98]
	v_fma_f64 v[107:108], -v[101:102], v[103:104], 1.0
	v_fma_f64 v[103:104], v[103:104], v[107:108], v[103:104]
	v_mul_f64 v[107:108], v[105:106], v[103:104]
	v_fma_f64 v[101:102], -v[101:102], v[107:108], v[105:106]
	v_div_fmas_f64 v[101:102], v[101:102], v[103:104], v[107:108]
	v_div_fixup_f64 v[101:102], v[101:102], v[99:100], v[97:98]
	v_fma_f64 v[97:98], v[97:98], v[101:102], v[99:100]
	v_div_scale_f64 v[99:100], s[8:9], v[97:98], v[97:98], 1.0
	v_div_scale_f64 v[107:108], vcc, 1.0, v[97:98], 1.0
	v_rcp_f64_e32 v[103:104], v[99:100]
	v_fma_f64 v[105:106], -v[99:100], v[103:104], 1.0
	v_fma_f64 v[103:104], v[103:104], v[105:106], v[103:104]
	v_fma_f64 v[105:106], -v[99:100], v[103:104], 1.0
	v_fma_f64 v[103:104], v[103:104], v[105:106], v[103:104]
	v_mul_f64 v[105:106], v[107:108], v[103:104]
	v_fma_f64 v[99:100], -v[99:100], v[105:106], v[107:108]
	v_div_fmas_f64 v[99:100], v[99:100], v[103:104], v[105:106]
	v_div_fixup_f64 v[103:104], v[99:100], v[97:98], 1.0
                                        ; implicit-def: $vgpr97_vgpr98
	v_mul_f64 v[101:102], v[101:102], v[103:104]
	v_xor_b32_e32 v104, 0x80000000, v104
.LBB91_5:
	s_andn2_saveexec_b64 s[4:5], s[4:5]
	s_cbranch_execz .LBB91_7
; %bb.6:
	v_div_scale_f64 v[101:102], s[8:9], v[97:98], v[97:98], v[99:100]
	v_rcp_f64_e32 v[103:104], v[101:102]
	v_fma_f64 v[105:106], -v[101:102], v[103:104], 1.0
	v_fma_f64 v[103:104], v[103:104], v[105:106], v[103:104]
	v_div_scale_f64 v[105:106], vcc, v[99:100], v[97:98], v[99:100]
	v_fma_f64 v[107:108], -v[101:102], v[103:104], 1.0
	v_fma_f64 v[103:104], v[103:104], v[107:108], v[103:104]
	v_mul_f64 v[107:108], v[105:106], v[103:104]
	v_fma_f64 v[101:102], -v[101:102], v[107:108], v[105:106]
	v_div_fmas_f64 v[101:102], v[101:102], v[103:104], v[107:108]
	v_div_fixup_f64 v[103:104], v[101:102], v[97:98], v[99:100]
	v_fma_f64 v[97:98], v[99:100], v[103:104], v[97:98]
	v_div_scale_f64 v[99:100], s[8:9], v[97:98], v[97:98], 1.0
	v_div_scale_f64 v[107:108], vcc, 1.0, v[97:98], 1.0
	v_rcp_f64_e32 v[101:102], v[99:100]
	v_fma_f64 v[105:106], -v[99:100], v[101:102], 1.0
	v_fma_f64 v[101:102], v[101:102], v[105:106], v[101:102]
	v_fma_f64 v[105:106], -v[99:100], v[101:102], 1.0
	v_fma_f64 v[101:102], v[101:102], v[105:106], v[101:102]
	v_mul_f64 v[105:106], v[107:108], v[101:102]
	v_fma_f64 v[99:100], -v[99:100], v[105:106], v[107:108]
	v_div_fmas_f64 v[99:100], v[99:100], v[101:102], v[105:106]
	v_div_fixup_f64 v[101:102], v[99:100], v[97:98], 1.0
	v_mul_f64 v[103:104], v[103:104], -v[101:102]
.LBB91_7:
	s_or_b64 exec, exec, s[4:5]
	ds_write2_b64 v127, v[101:102], v[103:104] offset1:1
.LBB91_8:
	s_or_b64 exec, exec, s[6:7]
	s_waitcnt vmcnt(0) lgkmcnt(0)
	s_barrier
	ds_read2_b64 v[69:72], v127 offset1:1
	s_waitcnt lgkmcnt(0)
	buffer_store_dword v69, off, s[20:23], 0 offset:728 ; 4-byte Folded Spill
	s_nop 0
	buffer_store_dword v70, off, s[20:23], 0 offset:732 ; 4-byte Folded Spill
	buffer_store_dword v71, off, s[20:23], 0 offset:736 ; 4-byte Folded Spill
	;; [unrolled: 1-line block ×3, first 2 shown]
	s_and_saveexec_b64 s[4:5], s[2:3]
	s_cbranch_execz .LBB91_10
; %bb.9:
	buffer_load_dword v103, off, s[20:23], 0 offset:352 ; 4-byte Folded Reload
	buffer_load_dword v104, off, s[20:23], 0 offset:356 ; 4-byte Folded Reload
	;; [unrolled: 1-line block ×8, first 2 shown]
	s_waitcnt vmcnt(2)
	v_mul_f64 v[99:100], v[69:70], v[105:106]
	s_waitcnt vmcnt(0)
	v_mul_f64 v[97:98], v[71:72], v[105:106]
	v_fma_f64 v[105:106], v[71:72], v[103:104], v[99:100]
	ds_read2_b64 v[99:102], v125 offset0:2 offset1:3
	v_fma_f64 v[97:98], v[69:70], v[103:104], -v[97:98]
	buffer_load_dword v69, off, s[20:23], 0 offset:336 ; 4-byte Folded Reload
	buffer_load_dword v70, off, s[20:23], 0 offset:340 ; 4-byte Folded Reload
	buffer_load_dword v71, off, s[20:23], 0 offset:344 ; 4-byte Folded Reload
	buffer_load_dword v72, off, s[20:23], 0 offset:348 ; 4-byte Folded Reload
	s_waitcnt lgkmcnt(0)
	v_mul_f64 v[103:104], v[101:102], v[105:106]
	v_fma_f64 v[103:104], v[99:100], v[97:98], -v[103:104]
	v_mul_f64 v[99:100], v[99:100], v[105:106]
	v_fma_f64 v[99:100], v[101:102], v[97:98], v[99:100]
	s_waitcnt vmcnt(2)
	v_add_f64 v[69:70], v[69:70], -v[103:104]
	s_waitcnt vmcnt(0)
	v_add_f64 v[71:72], v[71:72], -v[99:100]
	buffer_store_dword v69, off, s[20:23], 0 offset:336 ; 4-byte Folded Spill
	s_nop 0
	buffer_store_dword v70, off, s[20:23], 0 offset:340 ; 4-byte Folded Spill
	buffer_store_dword v71, off, s[20:23], 0 offset:344 ; 4-byte Folded Spill
	buffer_store_dword v72, off, s[20:23], 0 offset:348 ; 4-byte Folded Spill
	ds_read2_b64 v[99:102], v125 offset0:4 offset1:5
	buffer_load_dword v69, off, s[20:23], 0 offset:320 ; 4-byte Folded Reload
	buffer_load_dword v70, off, s[20:23], 0 offset:324 ; 4-byte Folded Reload
	buffer_load_dword v71, off, s[20:23], 0 offset:328 ; 4-byte Folded Reload
	buffer_load_dword v72, off, s[20:23], 0 offset:332 ; 4-byte Folded Reload
	s_waitcnt lgkmcnt(0)
	v_mul_f64 v[103:104], v[101:102], v[105:106]
	v_fma_f64 v[103:104], v[99:100], v[97:98], -v[103:104]
	v_mul_f64 v[99:100], v[99:100], v[105:106]
	v_fma_f64 v[99:100], v[101:102], v[97:98], v[99:100]
	s_waitcnt vmcnt(2)
	v_add_f64 v[69:70], v[69:70], -v[103:104]
	s_waitcnt vmcnt(0)
	v_add_f64 v[71:72], v[71:72], -v[99:100]
	buffer_store_dword v69, off, s[20:23], 0 offset:320 ; 4-byte Folded Spill
	s_nop 0
	buffer_store_dword v70, off, s[20:23], 0 offset:324 ; 4-byte Folded Spill
	buffer_store_dword v71, off, s[20:23], 0 offset:328 ; 4-byte Folded Spill
	buffer_store_dword v72, off, s[20:23], 0 offset:332 ; 4-byte Folded Spill
	ds_read2_b64 v[99:102], v125 offset0:6 offset1:7
	;; [unrolled: 19-line block ×19, first 2 shown]
	v_mov_b32_e32 v69, v73
	v_mov_b32_e32 v70, v74
	;; [unrolled: 1-line block ×4, first 2 shown]
	s_waitcnt lgkmcnt(0)
	v_mul_f64 v[103:104], v[101:102], v[105:106]
	v_fma_f64 v[103:104], v[99:100], v[97:98], -v[103:104]
	v_mul_f64 v[99:100], v[99:100], v[105:106]
	v_add_f64 v[117:118], v[117:118], -v[103:104]
	v_fma_f64 v[99:100], v[101:102], v[97:98], v[99:100]
	v_add_f64 v[119:120], v[119:120], -v[99:100]
	ds_read2_b64 v[99:102], v125 offset0:42 offset1:43
	s_waitcnt lgkmcnt(0)
	v_mul_f64 v[103:104], v[101:102], v[105:106]
	v_fma_f64 v[103:104], v[99:100], v[97:98], -v[103:104]
	v_mul_f64 v[99:100], v[99:100], v[105:106]
	v_add_f64 v[121:122], v[121:122], -v[103:104]
	v_fma_f64 v[99:100], v[101:102], v[97:98], v[99:100]
	v_add_f64 v[123:124], v[123:124], -v[99:100]
	ds_read2_b64 v[99:102], v125 offset0:44 offset1:45
	;; [unrolled: 8-line block ×5, first 2 shown]
	buffer_load_dword v77, off, s[20:23], 0 offset:32 ; 4-byte Folded Reload
	buffer_load_dword v78, off, s[20:23], 0 offset:36 ; 4-byte Folded Reload
	;; [unrolled: 1-line block ×4, first 2 shown]
	s_waitcnt lgkmcnt(0)
	v_mul_f64 v[103:104], v[101:102], v[105:106]
	v_fma_f64 v[103:104], v[99:100], v[97:98], -v[103:104]
	v_mul_f64 v[99:100], v[99:100], v[105:106]
	v_fma_f64 v[99:100], v[101:102], v[97:98], v[99:100]
	s_waitcnt vmcnt(2)
	v_add_f64 v[77:78], v[77:78], -v[103:104]
	s_waitcnt vmcnt(0)
	v_add_f64 v[79:80], v[79:80], -v[99:100]
	buffer_store_dword v77, off, s[20:23], 0 offset:32 ; 4-byte Folded Spill
	s_nop 0
	buffer_store_dword v78, off, s[20:23], 0 offset:36 ; 4-byte Folded Spill
	buffer_store_dword v79, off, s[20:23], 0 offset:40 ; 4-byte Folded Spill
	;; [unrolled: 1-line block ×3, first 2 shown]
	ds_read2_b64 v[99:102], v125 offset0:52 offset1:53
	buffer_load_dword v73, off, s[20:23], 0 offset:16 ; 4-byte Folded Reload
	buffer_load_dword v74, off, s[20:23], 0 offset:20 ; 4-byte Folded Reload
	;; [unrolled: 1-line block ×4, first 2 shown]
	s_waitcnt lgkmcnt(0)
	v_mul_f64 v[103:104], v[101:102], v[105:106]
	v_fma_f64 v[103:104], v[99:100], v[97:98], -v[103:104]
	v_mul_f64 v[99:100], v[99:100], v[105:106]
	v_fma_f64 v[99:100], v[101:102], v[97:98], v[99:100]
	s_waitcnt vmcnt(2)
	v_add_f64 v[73:74], v[73:74], -v[103:104]
	s_waitcnt vmcnt(0)
	v_add_f64 v[75:76], v[75:76], -v[99:100]
	buffer_store_dword v73, off, s[20:23], 0 offset:16 ; 4-byte Folded Spill
	s_nop 0
	buffer_store_dword v74, off, s[20:23], 0 offset:20 ; 4-byte Folded Spill
	buffer_store_dword v75, off, s[20:23], 0 offset:24 ; 4-byte Folded Spill
	;; [unrolled: 1-line block ×3, first 2 shown]
	v_mov_b32_e32 v76, v72
	v_mov_b32_e32 v75, v71
	;; [unrolled: 1-line block ×4, first 2 shown]
	ds_read2_b64 v[99:102], v125 offset0:54 offset1:55
	buffer_load_dword v69, off, s[20:23], 0 ; 4-byte Folded Reload
	buffer_load_dword v70, off, s[20:23], 0 offset:4 ; 4-byte Folded Reload
	buffer_load_dword v71, off, s[20:23], 0 offset:8 ; 4-byte Folded Reload
	;; [unrolled: 1-line block ×3, first 2 shown]
	s_waitcnt lgkmcnt(0)
	v_mul_f64 v[103:104], v[101:102], v[105:106]
	v_fma_f64 v[103:104], v[99:100], v[97:98], -v[103:104]
	v_mul_f64 v[99:100], v[99:100], v[105:106]
	v_fma_f64 v[99:100], v[101:102], v[97:98], v[99:100]
	s_waitcnt vmcnt(2)
	v_add_f64 v[69:70], v[69:70], -v[103:104]
	s_waitcnt vmcnt(0)
	v_add_f64 v[71:72], v[71:72], -v[99:100]
	buffer_store_dword v69, off, s[20:23], 0 ; 4-byte Folded Spill
	s_nop 0
	buffer_store_dword v70, off, s[20:23], 0 offset:4 ; 4-byte Folded Spill
	buffer_store_dword v71, off, s[20:23], 0 offset:8 ; 4-byte Folded Spill
	;; [unrolled: 1-line block ×3, first 2 shown]
	ds_read2_b64 v[99:102], v125 offset0:56 offset1:57
	s_waitcnt lgkmcnt(0)
	v_mul_f64 v[103:104], v[101:102], v[105:106]
	v_fma_f64 v[103:104], v[99:100], v[97:98], -v[103:104]
	v_mul_f64 v[99:100], v[99:100], v[105:106]
	v_add_f64 v[65:66], v[65:66], -v[103:104]
	v_fma_f64 v[99:100], v[101:102], v[97:98], v[99:100]
	v_add_f64 v[67:68], v[67:68], -v[99:100]
	ds_read2_b64 v[99:102], v125 offset0:58 offset1:59
	s_waitcnt lgkmcnt(0)
	v_mul_f64 v[103:104], v[101:102], v[105:106]
	v_fma_f64 v[103:104], v[99:100], v[97:98], -v[103:104]
	v_mul_f64 v[99:100], v[99:100], v[105:106]
	v_add_f64 v[61:62], v[61:62], -v[103:104]
	v_fma_f64 v[99:100], v[101:102], v[97:98], v[99:100]
	v_add_f64 v[63:64], v[63:64], -v[99:100]
	;; [unrolled: 8-line block ×16, first 2 shown]
	ds_read2_b64 v[99:102], v125 offset0:88 offset1:89
	s_waitcnt lgkmcnt(0)
	v_mul_f64 v[103:104], v[101:102], v[105:106]
	v_fma_f64 v[103:104], v[99:100], v[97:98], -v[103:104]
	v_mul_f64 v[99:100], v[99:100], v[105:106]
	v_add_f64 v[1:2], v[1:2], -v[103:104]
	v_fma_f64 v[99:100], v[101:102], v[97:98], v[99:100]
	ds_read2_b64 v[101:104], v125 offset0:90 offset1:91
	v_add_f64 v[3:4], v[3:4], -v[99:100]
	s_waitcnt lgkmcnt(0)
	v_mul_f64 v[99:100], v[103:104], v[105:106]
	v_fma_f64 v[99:100], v[101:102], v[97:98], -v[99:100]
	v_mul_f64 v[101:102], v[101:102], v[105:106]
	v_add_f64 v[73:74], v[73:74], -v[99:100]
	v_fma_f64 v[101:102], v[103:104], v[97:98], v[101:102]
	v_mov_b32_e32 v104, v98
	v_mov_b32_e32 v103, v97
	buffer_store_dword v103, off, s[20:23], 0 offset:352 ; 4-byte Folded Spill
	s_nop 0
	buffer_store_dword v104, off, s[20:23], 0 offset:356 ; 4-byte Folded Spill
	buffer_store_dword v105, off, s[20:23], 0 offset:360 ; 4-byte Folded Spill
	;; [unrolled: 1-line block ×3, first 2 shown]
	v_add_f64 v[75:76], v[75:76], -v[101:102]
.LBB91_10:
	s_or_b64 exec, exec, s[4:5]
	v_cmp_eq_u32_e32 vcc, 1, v0
	s_waitcnt vmcnt(0)
	s_barrier
	s_and_saveexec_b64 s[4:5], vcc
	s_cbranch_execz .LBB91_17
; %bb.11:
	buffer_load_dword v69, off, s[20:23], 0 offset:336 ; 4-byte Folded Reload
	buffer_load_dword v70, off, s[20:23], 0 offset:340 ; 4-byte Folded Reload
	buffer_load_dword v71, off, s[20:23], 0 offset:344 ; 4-byte Folded Reload
	buffer_load_dword v72, off, s[20:23], 0 offset:348 ; 4-byte Folded Reload
	s_waitcnt vmcnt(0)
	ds_write2_b64 v127, v[69:70], v[71:72] offset1:1
	buffer_load_dword v69, off, s[20:23], 0 offset:320 ; 4-byte Folded Reload
	buffer_load_dword v70, off, s[20:23], 0 offset:324 ; 4-byte Folded Reload
	buffer_load_dword v71, off, s[20:23], 0 offset:328 ; 4-byte Folded Reload
	buffer_load_dword v72, off, s[20:23], 0 offset:332 ; 4-byte Folded Reload
	s_waitcnt vmcnt(0)
	ds_write2_b64 v125, v[69:70], v[71:72] offset0:4 offset1:5
	buffer_load_dword v69, off, s[20:23], 0 offset:304 ; 4-byte Folded Reload
	buffer_load_dword v70, off, s[20:23], 0 offset:308 ; 4-byte Folded Reload
	buffer_load_dword v71, off, s[20:23], 0 offset:312 ; 4-byte Folded Reload
	buffer_load_dword v72, off, s[20:23], 0 offset:316 ; 4-byte Folded Reload
	s_waitcnt vmcnt(0)
	ds_write2_b64 v125, v[69:70], v[71:72] offset0:6 offset1:7
	;; [unrolled: 6-line block ×18, first 2 shown]
	ds_write2_b64 v125, v[117:118], v[119:120] offset0:40 offset1:41
	ds_write2_b64 v125, v[121:122], v[123:124] offset0:42 offset1:43
	;; [unrolled: 1-line block ×5, first 2 shown]
	buffer_load_dword v77, off, s[20:23], 0 offset:32 ; 4-byte Folded Reload
	buffer_load_dword v78, off, s[20:23], 0 offset:36 ; 4-byte Folded Reload
	;; [unrolled: 1-line block ×4, first 2 shown]
	v_mov_b32_e32 v69, v73
	v_mov_b32_e32 v70, v74
	;; [unrolled: 1-line block ×4, first 2 shown]
	s_waitcnt vmcnt(0)
	ds_write2_b64 v125, v[77:78], v[79:80] offset0:50 offset1:51
	buffer_load_dword v73, off, s[20:23], 0 offset:16 ; 4-byte Folded Reload
	buffer_load_dword v74, off, s[20:23], 0 offset:20 ; 4-byte Folded Reload
	;; [unrolled: 1-line block ×4, first 2 shown]
	s_waitcnt vmcnt(0)
	ds_write2_b64 v125, v[73:74], v[75:76] offset0:52 offset1:53
	v_mov_b32_e32 v76, v72
	v_mov_b32_e32 v75, v71
	;; [unrolled: 1-line block ×4, first 2 shown]
	buffer_load_dword v69, off, s[20:23], 0 ; 4-byte Folded Reload
	buffer_load_dword v70, off, s[20:23], 0 offset:4 ; 4-byte Folded Reload
	buffer_load_dword v71, off, s[20:23], 0 offset:8 ; 4-byte Folded Reload
	;; [unrolled: 1-line block ×3, first 2 shown]
	s_waitcnt vmcnt(0)
	ds_write2_b64 v125, v[69:70], v[71:72] offset0:54 offset1:55
	ds_write2_b64 v125, v[65:66], v[67:68] offset0:56 offset1:57
	;; [unrolled: 1-line block ×19, first 2 shown]
	ds_read2_b64 v[97:100], v127 offset1:1
	s_waitcnt lgkmcnt(0)
	v_cmp_neq_f64_e32 vcc, 0, v[97:98]
	v_cmp_neq_f64_e64 s[2:3], 0, v[99:100]
	s_or_b64 s[2:3], vcc, s[2:3]
	s_and_b64 exec, exec, s[2:3]
	s_cbranch_execz .LBB91_17
; %bb.12:
	v_cmp_ngt_f64_e64 s[2:3], |v[97:98]|, |v[99:100]|
                                        ; implicit-def: $vgpr101_vgpr102
	s_and_saveexec_b64 s[6:7], s[2:3]
	s_xor_b64 s[2:3], exec, s[6:7]
                                        ; implicit-def: $vgpr103_vgpr104
	s_cbranch_execz .LBB91_14
; %bb.13:
	v_div_scale_f64 v[101:102], s[6:7], v[99:100], v[99:100], v[97:98]
	v_rcp_f64_e32 v[103:104], v[101:102]
	v_fma_f64 v[105:106], -v[101:102], v[103:104], 1.0
	v_fma_f64 v[103:104], v[103:104], v[105:106], v[103:104]
	v_div_scale_f64 v[105:106], vcc, v[97:98], v[99:100], v[97:98]
	v_fma_f64 v[107:108], -v[101:102], v[103:104], 1.0
	v_fma_f64 v[103:104], v[103:104], v[107:108], v[103:104]
	v_mul_f64 v[107:108], v[105:106], v[103:104]
	v_fma_f64 v[101:102], -v[101:102], v[107:108], v[105:106]
	v_div_fmas_f64 v[101:102], v[101:102], v[103:104], v[107:108]
	v_div_fixup_f64 v[101:102], v[101:102], v[99:100], v[97:98]
	v_fma_f64 v[97:98], v[97:98], v[101:102], v[99:100]
	v_div_scale_f64 v[99:100], s[6:7], v[97:98], v[97:98], 1.0
	v_div_scale_f64 v[107:108], vcc, 1.0, v[97:98], 1.0
	v_rcp_f64_e32 v[103:104], v[99:100]
	v_fma_f64 v[105:106], -v[99:100], v[103:104], 1.0
	v_fma_f64 v[103:104], v[103:104], v[105:106], v[103:104]
	v_fma_f64 v[105:106], -v[99:100], v[103:104], 1.0
	v_fma_f64 v[103:104], v[103:104], v[105:106], v[103:104]
	v_mul_f64 v[105:106], v[107:108], v[103:104]
	v_fma_f64 v[99:100], -v[99:100], v[105:106], v[107:108]
	v_div_fmas_f64 v[99:100], v[99:100], v[103:104], v[105:106]
	v_div_fixup_f64 v[103:104], v[99:100], v[97:98], 1.0
                                        ; implicit-def: $vgpr97_vgpr98
	v_mul_f64 v[101:102], v[101:102], v[103:104]
	v_xor_b32_e32 v104, 0x80000000, v104
.LBB91_14:
	s_andn2_saveexec_b64 s[2:3], s[2:3]
	s_cbranch_execz .LBB91_16
; %bb.15:
	v_div_scale_f64 v[101:102], s[6:7], v[97:98], v[97:98], v[99:100]
	v_rcp_f64_e32 v[103:104], v[101:102]
	v_fma_f64 v[105:106], -v[101:102], v[103:104], 1.0
	v_fma_f64 v[103:104], v[103:104], v[105:106], v[103:104]
	v_div_scale_f64 v[105:106], vcc, v[99:100], v[97:98], v[99:100]
	v_fma_f64 v[107:108], -v[101:102], v[103:104], 1.0
	v_fma_f64 v[103:104], v[103:104], v[107:108], v[103:104]
	v_mul_f64 v[107:108], v[105:106], v[103:104]
	v_fma_f64 v[101:102], -v[101:102], v[107:108], v[105:106]
	v_div_fmas_f64 v[101:102], v[101:102], v[103:104], v[107:108]
	v_div_fixup_f64 v[103:104], v[101:102], v[97:98], v[99:100]
	v_fma_f64 v[97:98], v[99:100], v[103:104], v[97:98]
	v_div_scale_f64 v[99:100], s[6:7], v[97:98], v[97:98], 1.0
	v_div_scale_f64 v[107:108], vcc, 1.0, v[97:98], 1.0
	v_rcp_f64_e32 v[101:102], v[99:100]
	v_fma_f64 v[105:106], -v[99:100], v[101:102], 1.0
	v_fma_f64 v[101:102], v[101:102], v[105:106], v[101:102]
	v_fma_f64 v[105:106], -v[99:100], v[101:102], 1.0
	v_fma_f64 v[101:102], v[101:102], v[105:106], v[101:102]
	v_mul_f64 v[105:106], v[107:108], v[101:102]
	v_fma_f64 v[99:100], -v[99:100], v[105:106], v[107:108]
	v_div_fmas_f64 v[99:100], v[99:100], v[101:102], v[105:106]
	v_div_fixup_f64 v[101:102], v[99:100], v[97:98], 1.0
	v_mul_f64 v[103:104], v[103:104], -v[101:102]
.LBB91_16:
	s_or_b64 exec, exec, s[2:3]
	ds_write2_b64 v127, v[101:102], v[103:104] offset1:1
.LBB91_17:
	s_or_b64 exec, exec, s[4:5]
	s_waitcnt lgkmcnt(0)
	s_barrier
	ds_read2_b64 v[69:72], v127 offset1:1
	v_cmp_lt_u32_e32 vcc, 1, v0
	s_waitcnt lgkmcnt(0)
	buffer_store_dword v69, off, s[20:23], 0 offset:744 ; 4-byte Folded Spill
	s_nop 0
	buffer_store_dword v70, off, s[20:23], 0 offset:748 ; 4-byte Folded Spill
	buffer_store_dword v71, off, s[20:23], 0 offset:752 ; 4-byte Folded Spill
	;; [unrolled: 1-line block ×3, first 2 shown]
	s_and_saveexec_b64 s[2:3], vcc
	s_cbranch_execz .LBB91_19
; %bb.18:
	buffer_load_dword v103, off, s[20:23], 0 offset:336 ; 4-byte Folded Reload
	buffer_load_dword v104, off, s[20:23], 0 offset:340 ; 4-byte Folded Reload
	;; [unrolled: 1-line block ×8, first 2 shown]
	s_waitcnt vmcnt(2)
	v_mul_f64 v[99:100], v[69:70], v[105:106]
	s_waitcnt vmcnt(0)
	v_mul_f64 v[97:98], v[71:72], v[105:106]
	v_fma_f64 v[105:106], v[71:72], v[103:104], v[99:100]
	ds_read2_b64 v[99:102], v125 offset0:4 offset1:5
	v_fma_f64 v[97:98], v[69:70], v[103:104], -v[97:98]
	buffer_load_dword v69, off, s[20:23], 0 offset:320 ; 4-byte Folded Reload
	buffer_load_dword v70, off, s[20:23], 0 offset:324 ; 4-byte Folded Reload
	buffer_load_dword v71, off, s[20:23], 0 offset:328 ; 4-byte Folded Reload
	buffer_load_dword v72, off, s[20:23], 0 offset:332 ; 4-byte Folded Reload
	s_waitcnt lgkmcnt(0)
	v_mul_f64 v[103:104], v[101:102], v[105:106]
	v_fma_f64 v[103:104], v[99:100], v[97:98], -v[103:104]
	v_mul_f64 v[99:100], v[99:100], v[105:106]
	v_fma_f64 v[99:100], v[101:102], v[97:98], v[99:100]
	s_waitcnt vmcnt(2)
	v_add_f64 v[69:70], v[69:70], -v[103:104]
	s_waitcnt vmcnt(0)
	v_add_f64 v[71:72], v[71:72], -v[99:100]
	buffer_store_dword v69, off, s[20:23], 0 offset:320 ; 4-byte Folded Spill
	s_nop 0
	buffer_store_dword v70, off, s[20:23], 0 offset:324 ; 4-byte Folded Spill
	buffer_store_dword v71, off, s[20:23], 0 offset:328 ; 4-byte Folded Spill
	buffer_store_dword v72, off, s[20:23], 0 offset:332 ; 4-byte Folded Spill
	ds_read2_b64 v[99:102], v125 offset0:6 offset1:7
	buffer_load_dword v69, off, s[20:23], 0 offset:304 ; 4-byte Folded Reload
	buffer_load_dword v70, off, s[20:23], 0 offset:308 ; 4-byte Folded Reload
	buffer_load_dword v71, off, s[20:23], 0 offset:312 ; 4-byte Folded Reload
	buffer_load_dword v72, off, s[20:23], 0 offset:316 ; 4-byte Folded Reload
	s_waitcnt lgkmcnt(0)
	v_mul_f64 v[103:104], v[101:102], v[105:106]
	v_fma_f64 v[103:104], v[99:100], v[97:98], -v[103:104]
	v_mul_f64 v[99:100], v[99:100], v[105:106]
	v_fma_f64 v[99:100], v[101:102], v[97:98], v[99:100]
	s_waitcnt vmcnt(2)
	v_add_f64 v[69:70], v[69:70], -v[103:104]
	s_waitcnt vmcnt(0)
	v_add_f64 v[71:72], v[71:72], -v[99:100]
	buffer_store_dword v69, off, s[20:23], 0 offset:304 ; 4-byte Folded Spill
	s_nop 0
	buffer_store_dword v70, off, s[20:23], 0 offset:308 ; 4-byte Folded Spill
	buffer_store_dword v71, off, s[20:23], 0 offset:312 ; 4-byte Folded Spill
	buffer_store_dword v72, off, s[20:23], 0 offset:316 ; 4-byte Folded Spill
	ds_read2_b64 v[99:102], v125 offset0:8 offset1:9
	;; [unrolled: 19-line block ×18, first 2 shown]
	v_mov_b32_e32 v69, v73
	v_mov_b32_e32 v70, v74
	;; [unrolled: 1-line block ×4, first 2 shown]
	s_waitcnt lgkmcnt(0)
	v_mul_f64 v[103:104], v[101:102], v[105:106]
	v_fma_f64 v[103:104], v[99:100], v[97:98], -v[103:104]
	v_mul_f64 v[99:100], v[99:100], v[105:106]
	v_add_f64 v[117:118], v[117:118], -v[103:104]
	v_fma_f64 v[99:100], v[101:102], v[97:98], v[99:100]
	v_add_f64 v[119:120], v[119:120], -v[99:100]
	ds_read2_b64 v[99:102], v125 offset0:42 offset1:43
	s_waitcnt lgkmcnt(0)
	v_mul_f64 v[103:104], v[101:102], v[105:106]
	v_fma_f64 v[103:104], v[99:100], v[97:98], -v[103:104]
	v_mul_f64 v[99:100], v[99:100], v[105:106]
	v_add_f64 v[121:122], v[121:122], -v[103:104]
	v_fma_f64 v[99:100], v[101:102], v[97:98], v[99:100]
	v_add_f64 v[123:124], v[123:124], -v[99:100]
	ds_read2_b64 v[99:102], v125 offset0:44 offset1:45
	s_waitcnt lgkmcnt(0)
	v_mul_f64 v[103:104], v[101:102], v[105:106]
	v_fma_f64 v[103:104], v[99:100], v[97:98], -v[103:104]
	v_mul_f64 v[99:100], v[99:100], v[105:106]
	v_add_f64 v[109:110], v[109:110], -v[103:104]
	v_fma_f64 v[99:100], v[101:102], v[97:98], v[99:100]
	v_add_f64 v[111:112], v[111:112], -v[99:100]
	ds_read2_b64 v[99:102], v125 offset0:46 offset1:47
	s_waitcnt lgkmcnt(0)
	v_mul_f64 v[103:104], v[101:102], v[105:106]
	v_fma_f64 v[103:104], v[99:100], v[97:98], -v[103:104]
	v_mul_f64 v[99:100], v[99:100], v[105:106]
	v_add_f64 v[113:114], v[113:114], -v[103:104]
	v_fma_f64 v[99:100], v[101:102], v[97:98], v[99:100]
	v_add_f64 v[115:116], v[115:116], -v[99:100]
	ds_read2_b64 v[99:102], v125 offset0:48 offset1:49
	s_waitcnt lgkmcnt(0)
	v_mul_f64 v[103:104], v[101:102], v[105:106]
	v_fma_f64 v[103:104], v[99:100], v[97:98], -v[103:104]
	v_mul_f64 v[99:100], v[99:100], v[105:106]
	v_add_f64 v[93:94], v[93:94], -v[103:104]
	v_fma_f64 v[99:100], v[101:102], v[97:98], v[99:100]
	v_add_f64 v[95:96], v[95:96], -v[99:100]
	ds_read2_b64 v[99:102], v125 offset0:50 offset1:51
	buffer_load_dword v77, off, s[20:23], 0 offset:32 ; 4-byte Folded Reload
	buffer_load_dword v78, off, s[20:23], 0 offset:36 ; 4-byte Folded Reload
	;; [unrolled: 1-line block ×4, first 2 shown]
	s_waitcnt lgkmcnt(0)
	v_mul_f64 v[103:104], v[101:102], v[105:106]
	v_fma_f64 v[103:104], v[99:100], v[97:98], -v[103:104]
	v_mul_f64 v[99:100], v[99:100], v[105:106]
	v_fma_f64 v[99:100], v[101:102], v[97:98], v[99:100]
	s_waitcnt vmcnt(2)
	v_add_f64 v[77:78], v[77:78], -v[103:104]
	s_waitcnt vmcnt(0)
	v_add_f64 v[79:80], v[79:80], -v[99:100]
	buffer_store_dword v77, off, s[20:23], 0 offset:32 ; 4-byte Folded Spill
	s_nop 0
	buffer_store_dword v78, off, s[20:23], 0 offset:36 ; 4-byte Folded Spill
	buffer_store_dword v79, off, s[20:23], 0 offset:40 ; 4-byte Folded Spill
	;; [unrolled: 1-line block ×3, first 2 shown]
	ds_read2_b64 v[99:102], v125 offset0:52 offset1:53
	buffer_load_dword v73, off, s[20:23], 0 offset:16 ; 4-byte Folded Reload
	buffer_load_dword v74, off, s[20:23], 0 offset:20 ; 4-byte Folded Reload
	;; [unrolled: 1-line block ×4, first 2 shown]
	s_waitcnt lgkmcnt(0)
	v_mul_f64 v[103:104], v[101:102], v[105:106]
	v_fma_f64 v[103:104], v[99:100], v[97:98], -v[103:104]
	v_mul_f64 v[99:100], v[99:100], v[105:106]
	v_fma_f64 v[99:100], v[101:102], v[97:98], v[99:100]
	s_waitcnt vmcnt(2)
	v_add_f64 v[73:74], v[73:74], -v[103:104]
	s_waitcnt vmcnt(0)
	v_add_f64 v[75:76], v[75:76], -v[99:100]
	buffer_store_dword v73, off, s[20:23], 0 offset:16 ; 4-byte Folded Spill
	s_nop 0
	buffer_store_dword v74, off, s[20:23], 0 offset:20 ; 4-byte Folded Spill
	buffer_store_dword v75, off, s[20:23], 0 offset:24 ; 4-byte Folded Spill
	;; [unrolled: 1-line block ×3, first 2 shown]
	v_mov_b32_e32 v76, v72
	v_mov_b32_e32 v75, v71
	;; [unrolled: 1-line block ×4, first 2 shown]
	ds_read2_b64 v[99:102], v125 offset0:54 offset1:55
	buffer_load_dword v69, off, s[20:23], 0 ; 4-byte Folded Reload
	buffer_load_dword v70, off, s[20:23], 0 offset:4 ; 4-byte Folded Reload
	buffer_load_dword v71, off, s[20:23], 0 offset:8 ; 4-byte Folded Reload
	;; [unrolled: 1-line block ×3, first 2 shown]
	s_waitcnt lgkmcnt(0)
	v_mul_f64 v[103:104], v[101:102], v[105:106]
	v_fma_f64 v[103:104], v[99:100], v[97:98], -v[103:104]
	v_mul_f64 v[99:100], v[99:100], v[105:106]
	v_fma_f64 v[99:100], v[101:102], v[97:98], v[99:100]
	s_waitcnt vmcnt(2)
	v_add_f64 v[69:70], v[69:70], -v[103:104]
	s_waitcnt vmcnt(0)
	v_add_f64 v[71:72], v[71:72], -v[99:100]
	buffer_store_dword v69, off, s[20:23], 0 ; 4-byte Folded Spill
	s_nop 0
	buffer_store_dword v70, off, s[20:23], 0 offset:4 ; 4-byte Folded Spill
	buffer_store_dword v71, off, s[20:23], 0 offset:8 ; 4-byte Folded Spill
	buffer_store_dword v72, off, s[20:23], 0 offset:12 ; 4-byte Folded Spill
	ds_read2_b64 v[99:102], v125 offset0:56 offset1:57
	s_waitcnt lgkmcnt(0)
	v_mul_f64 v[103:104], v[101:102], v[105:106]
	v_fma_f64 v[103:104], v[99:100], v[97:98], -v[103:104]
	v_mul_f64 v[99:100], v[99:100], v[105:106]
	v_add_f64 v[65:66], v[65:66], -v[103:104]
	v_fma_f64 v[99:100], v[101:102], v[97:98], v[99:100]
	v_add_f64 v[67:68], v[67:68], -v[99:100]
	ds_read2_b64 v[99:102], v125 offset0:58 offset1:59
	s_waitcnt lgkmcnt(0)
	v_mul_f64 v[103:104], v[101:102], v[105:106]
	v_fma_f64 v[103:104], v[99:100], v[97:98], -v[103:104]
	v_mul_f64 v[99:100], v[99:100], v[105:106]
	v_add_f64 v[61:62], v[61:62], -v[103:104]
	v_fma_f64 v[99:100], v[101:102], v[97:98], v[99:100]
	v_add_f64 v[63:64], v[63:64], -v[99:100]
	;; [unrolled: 8-line block ×16, first 2 shown]
	ds_read2_b64 v[99:102], v125 offset0:88 offset1:89
	s_waitcnt lgkmcnt(0)
	v_mul_f64 v[103:104], v[101:102], v[105:106]
	v_fma_f64 v[103:104], v[99:100], v[97:98], -v[103:104]
	v_mul_f64 v[99:100], v[99:100], v[105:106]
	v_add_f64 v[1:2], v[1:2], -v[103:104]
	v_fma_f64 v[99:100], v[101:102], v[97:98], v[99:100]
	ds_read2_b64 v[101:104], v125 offset0:90 offset1:91
	v_add_f64 v[3:4], v[3:4], -v[99:100]
	s_waitcnt lgkmcnt(0)
	v_mul_f64 v[99:100], v[103:104], v[105:106]
	v_fma_f64 v[99:100], v[101:102], v[97:98], -v[99:100]
	v_mul_f64 v[101:102], v[101:102], v[105:106]
	v_add_f64 v[73:74], v[73:74], -v[99:100]
	v_fma_f64 v[101:102], v[103:104], v[97:98], v[101:102]
	v_mov_b32_e32 v104, v98
	v_mov_b32_e32 v103, v97
	buffer_store_dword v103, off, s[20:23], 0 offset:336 ; 4-byte Folded Spill
	s_nop 0
	buffer_store_dword v104, off, s[20:23], 0 offset:340 ; 4-byte Folded Spill
	buffer_store_dword v105, off, s[20:23], 0 offset:344 ; 4-byte Folded Spill
	;; [unrolled: 1-line block ×3, first 2 shown]
	v_add_f64 v[75:76], v[75:76], -v[101:102]
.LBB91_19:
	s_or_b64 exec, exec, s[2:3]
	v_cmp_eq_u32_e32 vcc, 2, v0
	s_waitcnt vmcnt(0)
	s_barrier
	s_and_saveexec_b64 s[4:5], vcc
	s_cbranch_execz .LBB91_26
; %bb.20:
	buffer_load_dword v69, off, s[20:23], 0 offset:320 ; 4-byte Folded Reload
	buffer_load_dword v70, off, s[20:23], 0 offset:324 ; 4-byte Folded Reload
	;; [unrolled: 1-line block ×4, first 2 shown]
	s_waitcnt vmcnt(0)
	ds_write2_b64 v127, v[69:70], v[71:72] offset1:1
	buffer_load_dword v69, off, s[20:23], 0 offset:304 ; 4-byte Folded Reload
	buffer_load_dword v70, off, s[20:23], 0 offset:308 ; 4-byte Folded Reload
	buffer_load_dword v71, off, s[20:23], 0 offset:312 ; 4-byte Folded Reload
	buffer_load_dword v72, off, s[20:23], 0 offset:316 ; 4-byte Folded Reload
	s_waitcnt vmcnt(0)
	ds_write2_b64 v125, v[69:70], v[71:72] offset0:6 offset1:7
	buffer_load_dword v69, off, s[20:23], 0 offset:288 ; 4-byte Folded Reload
	buffer_load_dword v70, off, s[20:23], 0 offset:292 ; 4-byte Folded Reload
	buffer_load_dword v71, off, s[20:23], 0 offset:296 ; 4-byte Folded Reload
	buffer_load_dword v72, off, s[20:23], 0 offset:300 ; 4-byte Folded Reload
	s_waitcnt vmcnt(0)
	ds_write2_b64 v125, v[69:70], v[71:72] offset0:8 offset1:9
	;; [unrolled: 6-line block ×17, first 2 shown]
	ds_write2_b64 v125, v[117:118], v[119:120] offset0:40 offset1:41
	ds_write2_b64 v125, v[121:122], v[123:124] offset0:42 offset1:43
	;; [unrolled: 1-line block ×5, first 2 shown]
	buffer_load_dword v77, off, s[20:23], 0 offset:32 ; 4-byte Folded Reload
	buffer_load_dword v78, off, s[20:23], 0 offset:36 ; 4-byte Folded Reload
	;; [unrolled: 1-line block ×4, first 2 shown]
	v_mov_b32_e32 v69, v73
	v_mov_b32_e32 v70, v74
	;; [unrolled: 1-line block ×4, first 2 shown]
	s_waitcnt vmcnt(0)
	ds_write2_b64 v125, v[77:78], v[79:80] offset0:50 offset1:51
	buffer_load_dword v73, off, s[20:23], 0 offset:16 ; 4-byte Folded Reload
	buffer_load_dword v74, off, s[20:23], 0 offset:20 ; 4-byte Folded Reload
	;; [unrolled: 1-line block ×4, first 2 shown]
	s_waitcnt vmcnt(0)
	ds_write2_b64 v125, v[73:74], v[75:76] offset0:52 offset1:53
	v_mov_b32_e32 v76, v72
	v_mov_b32_e32 v75, v71
	;; [unrolled: 1-line block ×4, first 2 shown]
	buffer_load_dword v69, off, s[20:23], 0 ; 4-byte Folded Reload
	buffer_load_dword v70, off, s[20:23], 0 offset:4 ; 4-byte Folded Reload
	buffer_load_dword v71, off, s[20:23], 0 offset:8 ; 4-byte Folded Reload
	;; [unrolled: 1-line block ×3, first 2 shown]
	s_waitcnt vmcnt(0)
	ds_write2_b64 v125, v[69:70], v[71:72] offset0:54 offset1:55
	ds_write2_b64 v125, v[65:66], v[67:68] offset0:56 offset1:57
	;; [unrolled: 1-line block ×19, first 2 shown]
	ds_read2_b64 v[97:100], v127 offset1:1
	s_waitcnt lgkmcnt(0)
	v_cmp_neq_f64_e32 vcc, 0, v[97:98]
	v_cmp_neq_f64_e64 s[2:3], 0, v[99:100]
	s_or_b64 s[2:3], vcc, s[2:3]
	s_and_b64 exec, exec, s[2:3]
	s_cbranch_execz .LBB91_26
; %bb.21:
	v_cmp_ngt_f64_e64 s[2:3], |v[97:98]|, |v[99:100]|
                                        ; implicit-def: $vgpr101_vgpr102
	s_and_saveexec_b64 s[6:7], s[2:3]
	s_xor_b64 s[2:3], exec, s[6:7]
                                        ; implicit-def: $vgpr103_vgpr104
	s_cbranch_execz .LBB91_23
; %bb.22:
	v_div_scale_f64 v[101:102], s[6:7], v[99:100], v[99:100], v[97:98]
	v_rcp_f64_e32 v[103:104], v[101:102]
	v_fma_f64 v[105:106], -v[101:102], v[103:104], 1.0
	v_fma_f64 v[103:104], v[103:104], v[105:106], v[103:104]
	v_div_scale_f64 v[105:106], vcc, v[97:98], v[99:100], v[97:98]
	v_fma_f64 v[107:108], -v[101:102], v[103:104], 1.0
	v_fma_f64 v[103:104], v[103:104], v[107:108], v[103:104]
	v_mul_f64 v[107:108], v[105:106], v[103:104]
	v_fma_f64 v[101:102], -v[101:102], v[107:108], v[105:106]
	v_div_fmas_f64 v[101:102], v[101:102], v[103:104], v[107:108]
	v_div_fixup_f64 v[101:102], v[101:102], v[99:100], v[97:98]
	v_fma_f64 v[97:98], v[97:98], v[101:102], v[99:100]
	v_div_scale_f64 v[99:100], s[6:7], v[97:98], v[97:98], 1.0
	v_div_scale_f64 v[107:108], vcc, 1.0, v[97:98], 1.0
	v_rcp_f64_e32 v[103:104], v[99:100]
	v_fma_f64 v[105:106], -v[99:100], v[103:104], 1.0
	v_fma_f64 v[103:104], v[103:104], v[105:106], v[103:104]
	v_fma_f64 v[105:106], -v[99:100], v[103:104], 1.0
	v_fma_f64 v[103:104], v[103:104], v[105:106], v[103:104]
	v_mul_f64 v[105:106], v[107:108], v[103:104]
	v_fma_f64 v[99:100], -v[99:100], v[105:106], v[107:108]
	v_div_fmas_f64 v[99:100], v[99:100], v[103:104], v[105:106]
	v_div_fixup_f64 v[103:104], v[99:100], v[97:98], 1.0
                                        ; implicit-def: $vgpr97_vgpr98
	v_mul_f64 v[101:102], v[101:102], v[103:104]
	v_xor_b32_e32 v104, 0x80000000, v104
.LBB91_23:
	s_andn2_saveexec_b64 s[2:3], s[2:3]
	s_cbranch_execz .LBB91_25
; %bb.24:
	v_div_scale_f64 v[101:102], s[6:7], v[97:98], v[97:98], v[99:100]
	v_rcp_f64_e32 v[103:104], v[101:102]
	v_fma_f64 v[105:106], -v[101:102], v[103:104], 1.0
	v_fma_f64 v[103:104], v[103:104], v[105:106], v[103:104]
	v_div_scale_f64 v[105:106], vcc, v[99:100], v[97:98], v[99:100]
	v_fma_f64 v[107:108], -v[101:102], v[103:104], 1.0
	v_fma_f64 v[103:104], v[103:104], v[107:108], v[103:104]
	v_mul_f64 v[107:108], v[105:106], v[103:104]
	v_fma_f64 v[101:102], -v[101:102], v[107:108], v[105:106]
	v_div_fmas_f64 v[101:102], v[101:102], v[103:104], v[107:108]
	v_div_fixup_f64 v[103:104], v[101:102], v[97:98], v[99:100]
	v_fma_f64 v[97:98], v[99:100], v[103:104], v[97:98]
	v_div_scale_f64 v[99:100], s[6:7], v[97:98], v[97:98], 1.0
	v_div_scale_f64 v[107:108], vcc, 1.0, v[97:98], 1.0
	v_rcp_f64_e32 v[101:102], v[99:100]
	v_fma_f64 v[105:106], -v[99:100], v[101:102], 1.0
	v_fma_f64 v[101:102], v[101:102], v[105:106], v[101:102]
	v_fma_f64 v[105:106], -v[99:100], v[101:102], 1.0
	v_fma_f64 v[101:102], v[101:102], v[105:106], v[101:102]
	v_mul_f64 v[105:106], v[107:108], v[101:102]
	v_fma_f64 v[99:100], -v[99:100], v[105:106], v[107:108]
	v_div_fmas_f64 v[99:100], v[99:100], v[101:102], v[105:106]
	v_div_fixup_f64 v[101:102], v[99:100], v[97:98], 1.0
	v_mul_f64 v[103:104], v[103:104], -v[101:102]
.LBB91_25:
	s_or_b64 exec, exec, s[2:3]
	ds_write2_b64 v127, v[101:102], v[103:104] offset1:1
.LBB91_26:
	s_or_b64 exec, exec, s[4:5]
	s_waitcnt lgkmcnt(0)
	s_barrier
	ds_read2_b64 v[69:72], v127 offset1:1
	v_cmp_lt_u32_e32 vcc, 2, v0
	s_waitcnt lgkmcnt(0)
	buffer_store_dword v69, off, s[20:23], 0 offset:760 ; 4-byte Folded Spill
	s_nop 0
	buffer_store_dword v70, off, s[20:23], 0 offset:764 ; 4-byte Folded Spill
	buffer_store_dword v71, off, s[20:23], 0 offset:768 ; 4-byte Folded Spill
	;; [unrolled: 1-line block ×3, first 2 shown]
	s_and_saveexec_b64 s[2:3], vcc
	s_cbranch_execz .LBB91_28
; %bb.27:
	buffer_load_dword v103, off, s[20:23], 0 offset:320 ; 4-byte Folded Reload
	buffer_load_dword v104, off, s[20:23], 0 offset:324 ; 4-byte Folded Reload
	buffer_load_dword v105, off, s[20:23], 0 offset:328 ; 4-byte Folded Reload
	buffer_load_dword v106, off, s[20:23], 0 offset:332 ; 4-byte Folded Reload
	buffer_load_dword v69, off, s[20:23], 0 offset:760 ; 4-byte Folded Reload
	buffer_load_dword v70, off, s[20:23], 0 offset:764 ; 4-byte Folded Reload
	buffer_load_dword v71, off, s[20:23], 0 offset:768 ; 4-byte Folded Reload
	buffer_load_dword v72, off, s[20:23], 0 offset:772 ; 4-byte Folded Reload
	s_waitcnt vmcnt(2)
	v_mul_f64 v[99:100], v[69:70], v[105:106]
	s_waitcnt vmcnt(0)
	v_mul_f64 v[97:98], v[71:72], v[105:106]
	v_fma_f64 v[105:106], v[71:72], v[103:104], v[99:100]
	ds_read2_b64 v[99:102], v125 offset0:6 offset1:7
	v_fma_f64 v[97:98], v[69:70], v[103:104], -v[97:98]
	buffer_load_dword v69, off, s[20:23], 0 offset:304 ; 4-byte Folded Reload
	buffer_load_dword v70, off, s[20:23], 0 offset:308 ; 4-byte Folded Reload
	buffer_load_dword v71, off, s[20:23], 0 offset:312 ; 4-byte Folded Reload
	buffer_load_dword v72, off, s[20:23], 0 offset:316 ; 4-byte Folded Reload
	s_waitcnt lgkmcnt(0)
	v_mul_f64 v[103:104], v[101:102], v[105:106]
	v_fma_f64 v[103:104], v[99:100], v[97:98], -v[103:104]
	v_mul_f64 v[99:100], v[99:100], v[105:106]
	v_fma_f64 v[99:100], v[101:102], v[97:98], v[99:100]
	s_waitcnt vmcnt(2)
	v_add_f64 v[69:70], v[69:70], -v[103:104]
	s_waitcnt vmcnt(0)
	v_add_f64 v[71:72], v[71:72], -v[99:100]
	buffer_store_dword v69, off, s[20:23], 0 offset:304 ; 4-byte Folded Spill
	s_nop 0
	buffer_store_dword v70, off, s[20:23], 0 offset:308 ; 4-byte Folded Spill
	buffer_store_dword v71, off, s[20:23], 0 offset:312 ; 4-byte Folded Spill
	buffer_store_dword v72, off, s[20:23], 0 offset:316 ; 4-byte Folded Spill
	ds_read2_b64 v[99:102], v125 offset0:8 offset1:9
	buffer_load_dword v69, off, s[20:23], 0 offset:288 ; 4-byte Folded Reload
	buffer_load_dword v70, off, s[20:23], 0 offset:292 ; 4-byte Folded Reload
	buffer_load_dword v71, off, s[20:23], 0 offset:296 ; 4-byte Folded Reload
	buffer_load_dword v72, off, s[20:23], 0 offset:300 ; 4-byte Folded Reload
	s_waitcnt lgkmcnt(0)
	v_mul_f64 v[103:104], v[101:102], v[105:106]
	v_fma_f64 v[103:104], v[99:100], v[97:98], -v[103:104]
	v_mul_f64 v[99:100], v[99:100], v[105:106]
	v_fma_f64 v[99:100], v[101:102], v[97:98], v[99:100]
	s_waitcnt vmcnt(2)
	v_add_f64 v[69:70], v[69:70], -v[103:104]
	s_waitcnt vmcnt(0)
	v_add_f64 v[71:72], v[71:72], -v[99:100]
	buffer_store_dword v69, off, s[20:23], 0 offset:288 ; 4-byte Folded Spill
	s_nop 0
	buffer_store_dword v70, off, s[20:23], 0 offset:292 ; 4-byte Folded Spill
	buffer_store_dword v71, off, s[20:23], 0 offset:296 ; 4-byte Folded Spill
	buffer_store_dword v72, off, s[20:23], 0 offset:300 ; 4-byte Folded Spill
	ds_read2_b64 v[99:102], v125 offset0:10 offset1:11
	;; [unrolled: 19-line block ×17, first 2 shown]
	v_mov_b32_e32 v69, v73
	v_mov_b32_e32 v70, v74
	;; [unrolled: 1-line block ×4, first 2 shown]
	s_waitcnt lgkmcnt(0)
	v_mul_f64 v[103:104], v[101:102], v[105:106]
	v_fma_f64 v[103:104], v[99:100], v[97:98], -v[103:104]
	v_mul_f64 v[99:100], v[99:100], v[105:106]
	v_add_f64 v[117:118], v[117:118], -v[103:104]
	v_fma_f64 v[99:100], v[101:102], v[97:98], v[99:100]
	v_add_f64 v[119:120], v[119:120], -v[99:100]
	ds_read2_b64 v[99:102], v125 offset0:42 offset1:43
	s_waitcnt lgkmcnt(0)
	v_mul_f64 v[103:104], v[101:102], v[105:106]
	v_fma_f64 v[103:104], v[99:100], v[97:98], -v[103:104]
	v_mul_f64 v[99:100], v[99:100], v[105:106]
	v_add_f64 v[121:122], v[121:122], -v[103:104]
	v_fma_f64 v[99:100], v[101:102], v[97:98], v[99:100]
	v_add_f64 v[123:124], v[123:124], -v[99:100]
	ds_read2_b64 v[99:102], v125 offset0:44 offset1:45
	;; [unrolled: 8-line block ×5, first 2 shown]
	buffer_load_dword v77, off, s[20:23], 0 offset:32 ; 4-byte Folded Reload
	buffer_load_dword v78, off, s[20:23], 0 offset:36 ; 4-byte Folded Reload
	;; [unrolled: 1-line block ×4, first 2 shown]
	s_waitcnt lgkmcnt(0)
	v_mul_f64 v[103:104], v[101:102], v[105:106]
	v_fma_f64 v[103:104], v[99:100], v[97:98], -v[103:104]
	v_mul_f64 v[99:100], v[99:100], v[105:106]
	v_fma_f64 v[99:100], v[101:102], v[97:98], v[99:100]
	s_waitcnt vmcnt(2)
	v_add_f64 v[77:78], v[77:78], -v[103:104]
	s_waitcnt vmcnt(0)
	v_add_f64 v[79:80], v[79:80], -v[99:100]
	buffer_store_dword v77, off, s[20:23], 0 offset:32 ; 4-byte Folded Spill
	s_nop 0
	buffer_store_dword v78, off, s[20:23], 0 offset:36 ; 4-byte Folded Spill
	buffer_store_dword v79, off, s[20:23], 0 offset:40 ; 4-byte Folded Spill
	;; [unrolled: 1-line block ×3, first 2 shown]
	ds_read2_b64 v[99:102], v125 offset0:52 offset1:53
	buffer_load_dword v73, off, s[20:23], 0 offset:16 ; 4-byte Folded Reload
	buffer_load_dword v74, off, s[20:23], 0 offset:20 ; 4-byte Folded Reload
	;; [unrolled: 1-line block ×4, first 2 shown]
	s_waitcnt lgkmcnt(0)
	v_mul_f64 v[103:104], v[101:102], v[105:106]
	v_fma_f64 v[103:104], v[99:100], v[97:98], -v[103:104]
	v_mul_f64 v[99:100], v[99:100], v[105:106]
	v_fma_f64 v[99:100], v[101:102], v[97:98], v[99:100]
	s_waitcnt vmcnt(2)
	v_add_f64 v[73:74], v[73:74], -v[103:104]
	s_waitcnt vmcnt(0)
	v_add_f64 v[75:76], v[75:76], -v[99:100]
	buffer_store_dword v73, off, s[20:23], 0 offset:16 ; 4-byte Folded Spill
	s_nop 0
	buffer_store_dword v74, off, s[20:23], 0 offset:20 ; 4-byte Folded Spill
	buffer_store_dword v75, off, s[20:23], 0 offset:24 ; 4-byte Folded Spill
	buffer_store_dword v76, off, s[20:23], 0 offset:28 ; 4-byte Folded Spill
	v_mov_b32_e32 v76, v72
	v_mov_b32_e32 v75, v71
	;; [unrolled: 1-line block ×4, first 2 shown]
	ds_read2_b64 v[99:102], v125 offset0:54 offset1:55
	buffer_load_dword v69, off, s[20:23], 0 ; 4-byte Folded Reload
	buffer_load_dword v70, off, s[20:23], 0 offset:4 ; 4-byte Folded Reload
	buffer_load_dword v71, off, s[20:23], 0 offset:8 ; 4-byte Folded Reload
	;; [unrolled: 1-line block ×3, first 2 shown]
	s_waitcnt lgkmcnt(0)
	v_mul_f64 v[103:104], v[101:102], v[105:106]
	v_fma_f64 v[103:104], v[99:100], v[97:98], -v[103:104]
	v_mul_f64 v[99:100], v[99:100], v[105:106]
	v_fma_f64 v[99:100], v[101:102], v[97:98], v[99:100]
	s_waitcnt vmcnt(2)
	v_add_f64 v[69:70], v[69:70], -v[103:104]
	s_waitcnt vmcnt(0)
	v_add_f64 v[71:72], v[71:72], -v[99:100]
	buffer_store_dword v69, off, s[20:23], 0 ; 4-byte Folded Spill
	s_nop 0
	buffer_store_dword v70, off, s[20:23], 0 offset:4 ; 4-byte Folded Spill
	buffer_store_dword v71, off, s[20:23], 0 offset:8 ; 4-byte Folded Spill
	;; [unrolled: 1-line block ×3, first 2 shown]
	ds_read2_b64 v[99:102], v125 offset0:56 offset1:57
	s_waitcnt lgkmcnt(0)
	v_mul_f64 v[103:104], v[101:102], v[105:106]
	v_fma_f64 v[103:104], v[99:100], v[97:98], -v[103:104]
	v_mul_f64 v[99:100], v[99:100], v[105:106]
	v_add_f64 v[65:66], v[65:66], -v[103:104]
	v_fma_f64 v[99:100], v[101:102], v[97:98], v[99:100]
	v_add_f64 v[67:68], v[67:68], -v[99:100]
	ds_read2_b64 v[99:102], v125 offset0:58 offset1:59
	s_waitcnt lgkmcnt(0)
	v_mul_f64 v[103:104], v[101:102], v[105:106]
	v_fma_f64 v[103:104], v[99:100], v[97:98], -v[103:104]
	v_mul_f64 v[99:100], v[99:100], v[105:106]
	v_add_f64 v[61:62], v[61:62], -v[103:104]
	v_fma_f64 v[99:100], v[101:102], v[97:98], v[99:100]
	v_add_f64 v[63:64], v[63:64], -v[99:100]
	;; [unrolled: 8-line block ×16, first 2 shown]
	ds_read2_b64 v[99:102], v125 offset0:88 offset1:89
	s_waitcnt lgkmcnt(0)
	v_mul_f64 v[103:104], v[101:102], v[105:106]
	v_fma_f64 v[103:104], v[99:100], v[97:98], -v[103:104]
	v_mul_f64 v[99:100], v[99:100], v[105:106]
	v_add_f64 v[1:2], v[1:2], -v[103:104]
	v_fma_f64 v[99:100], v[101:102], v[97:98], v[99:100]
	ds_read2_b64 v[101:104], v125 offset0:90 offset1:91
	v_add_f64 v[3:4], v[3:4], -v[99:100]
	s_waitcnt lgkmcnt(0)
	v_mul_f64 v[99:100], v[103:104], v[105:106]
	v_fma_f64 v[99:100], v[101:102], v[97:98], -v[99:100]
	v_mul_f64 v[101:102], v[101:102], v[105:106]
	v_add_f64 v[73:74], v[73:74], -v[99:100]
	v_fma_f64 v[101:102], v[103:104], v[97:98], v[101:102]
	v_mov_b32_e32 v104, v98
	v_mov_b32_e32 v103, v97
	buffer_store_dword v103, off, s[20:23], 0 offset:320 ; 4-byte Folded Spill
	s_nop 0
	buffer_store_dword v104, off, s[20:23], 0 offset:324 ; 4-byte Folded Spill
	buffer_store_dword v105, off, s[20:23], 0 offset:328 ; 4-byte Folded Spill
	;; [unrolled: 1-line block ×3, first 2 shown]
	v_add_f64 v[75:76], v[75:76], -v[101:102]
.LBB91_28:
	s_or_b64 exec, exec, s[2:3]
	v_cmp_eq_u32_e32 vcc, 3, v0
	s_waitcnt vmcnt(0)
	s_barrier
	s_and_saveexec_b64 s[4:5], vcc
	s_cbranch_execz .LBB91_35
; %bb.29:
	buffer_load_dword v69, off, s[20:23], 0 offset:304 ; 4-byte Folded Reload
	buffer_load_dword v70, off, s[20:23], 0 offset:308 ; 4-byte Folded Reload
	;; [unrolled: 1-line block ×4, first 2 shown]
	s_waitcnt vmcnt(0)
	ds_write2_b64 v127, v[69:70], v[71:72] offset1:1
	buffer_load_dword v69, off, s[20:23], 0 offset:288 ; 4-byte Folded Reload
	buffer_load_dword v70, off, s[20:23], 0 offset:292 ; 4-byte Folded Reload
	buffer_load_dword v71, off, s[20:23], 0 offset:296 ; 4-byte Folded Reload
	buffer_load_dword v72, off, s[20:23], 0 offset:300 ; 4-byte Folded Reload
	s_waitcnt vmcnt(0)
	ds_write2_b64 v125, v[69:70], v[71:72] offset0:8 offset1:9
	buffer_load_dword v69, off, s[20:23], 0 offset:272 ; 4-byte Folded Reload
	buffer_load_dword v70, off, s[20:23], 0 offset:276 ; 4-byte Folded Reload
	buffer_load_dword v71, off, s[20:23], 0 offset:280 ; 4-byte Folded Reload
	buffer_load_dword v72, off, s[20:23], 0 offset:284 ; 4-byte Folded Reload
	s_waitcnt vmcnt(0)
	ds_write2_b64 v125, v[69:70], v[71:72] offset0:10 offset1:11
	;; [unrolled: 6-line block ×16, first 2 shown]
	ds_write2_b64 v125, v[117:118], v[119:120] offset0:40 offset1:41
	ds_write2_b64 v125, v[121:122], v[123:124] offset0:42 offset1:43
	;; [unrolled: 1-line block ×5, first 2 shown]
	buffer_load_dword v77, off, s[20:23], 0 offset:32 ; 4-byte Folded Reload
	buffer_load_dword v78, off, s[20:23], 0 offset:36 ; 4-byte Folded Reload
	;; [unrolled: 1-line block ×4, first 2 shown]
	v_mov_b32_e32 v69, v73
	v_mov_b32_e32 v70, v74
	;; [unrolled: 1-line block ×4, first 2 shown]
	s_waitcnt vmcnt(0)
	ds_write2_b64 v125, v[77:78], v[79:80] offset0:50 offset1:51
	buffer_load_dword v73, off, s[20:23], 0 offset:16 ; 4-byte Folded Reload
	buffer_load_dword v74, off, s[20:23], 0 offset:20 ; 4-byte Folded Reload
	;; [unrolled: 1-line block ×4, first 2 shown]
	s_waitcnt vmcnt(0)
	ds_write2_b64 v125, v[73:74], v[75:76] offset0:52 offset1:53
	v_mov_b32_e32 v76, v72
	v_mov_b32_e32 v75, v71
	;; [unrolled: 1-line block ×4, first 2 shown]
	buffer_load_dword v69, off, s[20:23], 0 ; 4-byte Folded Reload
	buffer_load_dword v70, off, s[20:23], 0 offset:4 ; 4-byte Folded Reload
	buffer_load_dword v71, off, s[20:23], 0 offset:8 ; 4-byte Folded Reload
	;; [unrolled: 1-line block ×3, first 2 shown]
	s_waitcnt vmcnt(0)
	ds_write2_b64 v125, v[69:70], v[71:72] offset0:54 offset1:55
	ds_write2_b64 v125, v[65:66], v[67:68] offset0:56 offset1:57
	;; [unrolled: 1-line block ×19, first 2 shown]
	ds_read2_b64 v[97:100], v127 offset1:1
	s_waitcnt lgkmcnt(0)
	v_cmp_neq_f64_e32 vcc, 0, v[97:98]
	v_cmp_neq_f64_e64 s[2:3], 0, v[99:100]
	s_or_b64 s[2:3], vcc, s[2:3]
	s_and_b64 exec, exec, s[2:3]
	s_cbranch_execz .LBB91_35
; %bb.30:
	v_cmp_ngt_f64_e64 s[2:3], |v[97:98]|, |v[99:100]|
                                        ; implicit-def: $vgpr101_vgpr102
	s_and_saveexec_b64 s[6:7], s[2:3]
	s_xor_b64 s[2:3], exec, s[6:7]
                                        ; implicit-def: $vgpr103_vgpr104
	s_cbranch_execz .LBB91_32
; %bb.31:
	v_div_scale_f64 v[101:102], s[6:7], v[99:100], v[99:100], v[97:98]
	v_rcp_f64_e32 v[103:104], v[101:102]
	v_fma_f64 v[105:106], -v[101:102], v[103:104], 1.0
	v_fma_f64 v[103:104], v[103:104], v[105:106], v[103:104]
	v_div_scale_f64 v[105:106], vcc, v[97:98], v[99:100], v[97:98]
	v_fma_f64 v[107:108], -v[101:102], v[103:104], 1.0
	v_fma_f64 v[103:104], v[103:104], v[107:108], v[103:104]
	v_mul_f64 v[107:108], v[105:106], v[103:104]
	v_fma_f64 v[101:102], -v[101:102], v[107:108], v[105:106]
	v_div_fmas_f64 v[101:102], v[101:102], v[103:104], v[107:108]
	v_div_fixup_f64 v[101:102], v[101:102], v[99:100], v[97:98]
	v_fma_f64 v[97:98], v[97:98], v[101:102], v[99:100]
	v_div_scale_f64 v[99:100], s[6:7], v[97:98], v[97:98], 1.0
	v_div_scale_f64 v[107:108], vcc, 1.0, v[97:98], 1.0
	v_rcp_f64_e32 v[103:104], v[99:100]
	v_fma_f64 v[105:106], -v[99:100], v[103:104], 1.0
	v_fma_f64 v[103:104], v[103:104], v[105:106], v[103:104]
	v_fma_f64 v[105:106], -v[99:100], v[103:104], 1.0
	v_fma_f64 v[103:104], v[103:104], v[105:106], v[103:104]
	v_mul_f64 v[105:106], v[107:108], v[103:104]
	v_fma_f64 v[99:100], -v[99:100], v[105:106], v[107:108]
	v_div_fmas_f64 v[99:100], v[99:100], v[103:104], v[105:106]
	v_div_fixup_f64 v[103:104], v[99:100], v[97:98], 1.0
                                        ; implicit-def: $vgpr97_vgpr98
	v_mul_f64 v[101:102], v[101:102], v[103:104]
	v_xor_b32_e32 v104, 0x80000000, v104
.LBB91_32:
	s_andn2_saveexec_b64 s[2:3], s[2:3]
	s_cbranch_execz .LBB91_34
; %bb.33:
	v_div_scale_f64 v[101:102], s[6:7], v[97:98], v[97:98], v[99:100]
	v_rcp_f64_e32 v[103:104], v[101:102]
	v_fma_f64 v[105:106], -v[101:102], v[103:104], 1.0
	v_fma_f64 v[103:104], v[103:104], v[105:106], v[103:104]
	v_div_scale_f64 v[105:106], vcc, v[99:100], v[97:98], v[99:100]
	v_fma_f64 v[107:108], -v[101:102], v[103:104], 1.0
	v_fma_f64 v[103:104], v[103:104], v[107:108], v[103:104]
	v_mul_f64 v[107:108], v[105:106], v[103:104]
	v_fma_f64 v[101:102], -v[101:102], v[107:108], v[105:106]
	v_div_fmas_f64 v[101:102], v[101:102], v[103:104], v[107:108]
	v_div_fixup_f64 v[103:104], v[101:102], v[97:98], v[99:100]
	v_fma_f64 v[97:98], v[99:100], v[103:104], v[97:98]
	v_div_scale_f64 v[99:100], s[6:7], v[97:98], v[97:98], 1.0
	v_div_scale_f64 v[107:108], vcc, 1.0, v[97:98], 1.0
	v_rcp_f64_e32 v[101:102], v[99:100]
	v_fma_f64 v[105:106], -v[99:100], v[101:102], 1.0
	v_fma_f64 v[101:102], v[101:102], v[105:106], v[101:102]
	v_fma_f64 v[105:106], -v[99:100], v[101:102], 1.0
	v_fma_f64 v[101:102], v[101:102], v[105:106], v[101:102]
	v_mul_f64 v[105:106], v[107:108], v[101:102]
	v_fma_f64 v[99:100], -v[99:100], v[105:106], v[107:108]
	v_div_fmas_f64 v[99:100], v[99:100], v[101:102], v[105:106]
	v_div_fixup_f64 v[101:102], v[99:100], v[97:98], 1.0
	v_mul_f64 v[103:104], v[103:104], -v[101:102]
.LBB91_34:
	s_or_b64 exec, exec, s[2:3]
	ds_write2_b64 v127, v[101:102], v[103:104] offset1:1
.LBB91_35:
	s_or_b64 exec, exec, s[4:5]
	s_waitcnt lgkmcnt(0)
	s_barrier
	ds_read2_b64 v[69:72], v127 offset1:1
	v_cmp_lt_u32_e32 vcc, 3, v0
	s_waitcnt lgkmcnt(0)
	buffer_store_dword v69, off, s[20:23], 0 offset:776 ; 4-byte Folded Spill
	s_nop 0
	buffer_store_dword v70, off, s[20:23], 0 offset:780 ; 4-byte Folded Spill
	buffer_store_dword v71, off, s[20:23], 0 offset:784 ; 4-byte Folded Spill
	;; [unrolled: 1-line block ×3, first 2 shown]
	s_and_saveexec_b64 s[2:3], vcc
	s_cbranch_execz .LBB91_37
; %bb.36:
	buffer_load_dword v103, off, s[20:23], 0 offset:304 ; 4-byte Folded Reload
	buffer_load_dword v104, off, s[20:23], 0 offset:308 ; 4-byte Folded Reload
	;; [unrolled: 1-line block ×8, first 2 shown]
	s_waitcnt vmcnt(2)
	v_mul_f64 v[99:100], v[69:70], v[105:106]
	s_waitcnt vmcnt(0)
	v_mul_f64 v[97:98], v[71:72], v[105:106]
	v_fma_f64 v[105:106], v[71:72], v[103:104], v[99:100]
	ds_read2_b64 v[99:102], v125 offset0:8 offset1:9
	v_fma_f64 v[97:98], v[69:70], v[103:104], -v[97:98]
	buffer_load_dword v69, off, s[20:23], 0 offset:288 ; 4-byte Folded Reload
	buffer_load_dword v70, off, s[20:23], 0 offset:292 ; 4-byte Folded Reload
	buffer_load_dword v71, off, s[20:23], 0 offset:296 ; 4-byte Folded Reload
	buffer_load_dword v72, off, s[20:23], 0 offset:300 ; 4-byte Folded Reload
	s_waitcnt lgkmcnt(0)
	v_mul_f64 v[103:104], v[101:102], v[105:106]
	v_fma_f64 v[103:104], v[99:100], v[97:98], -v[103:104]
	v_mul_f64 v[99:100], v[99:100], v[105:106]
	v_fma_f64 v[99:100], v[101:102], v[97:98], v[99:100]
	s_waitcnt vmcnt(2)
	v_add_f64 v[69:70], v[69:70], -v[103:104]
	s_waitcnt vmcnt(0)
	v_add_f64 v[71:72], v[71:72], -v[99:100]
	buffer_store_dword v69, off, s[20:23], 0 offset:288 ; 4-byte Folded Spill
	s_nop 0
	buffer_store_dword v70, off, s[20:23], 0 offset:292 ; 4-byte Folded Spill
	buffer_store_dword v71, off, s[20:23], 0 offset:296 ; 4-byte Folded Spill
	buffer_store_dword v72, off, s[20:23], 0 offset:300 ; 4-byte Folded Spill
	ds_read2_b64 v[99:102], v125 offset0:10 offset1:11
	buffer_load_dword v69, off, s[20:23], 0 offset:272 ; 4-byte Folded Reload
	buffer_load_dword v70, off, s[20:23], 0 offset:276 ; 4-byte Folded Reload
	buffer_load_dword v71, off, s[20:23], 0 offset:280 ; 4-byte Folded Reload
	buffer_load_dword v72, off, s[20:23], 0 offset:284 ; 4-byte Folded Reload
	s_waitcnt lgkmcnt(0)
	v_mul_f64 v[103:104], v[101:102], v[105:106]
	v_fma_f64 v[103:104], v[99:100], v[97:98], -v[103:104]
	v_mul_f64 v[99:100], v[99:100], v[105:106]
	v_fma_f64 v[99:100], v[101:102], v[97:98], v[99:100]
	s_waitcnt vmcnt(2)
	v_add_f64 v[69:70], v[69:70], -v[103:104]
	s_waitcnt vmcnt(0)
	v_add_f64 v[71:72], v[71:72], -v[99:100]
	buffer_store_dword v69, off, s[20:23], 0 offset:272 ; 4-byte Folded Spill
	s_nop 0
	buffer_store_dword v70, off, s[20:23], 0 offset:276 ; 4-byte Folded Spill
	buffer_store_dword v71, off, s[20:23], 0 offset:280 ; 4-byte Folded Spill
	buffer_store_dword v72, off, s[20:23], 0 offset:284 ; 4-byte Folded Spill
	ds_read2_b64 v[99:102], v125 offset0:12 offset1:13
	;; [unrolled: 19-line block ×16, first 2 shown]
	v_mov_b32_e32 v69, v73
	v_mov_b32_e32 v70, v74
	;; [unrolled: 1-line block ×4, first 2 shown]
	s_waitcnt lgkmcnt(0)
	v_mul_f64 v[103:104], v[101:102], v[105:106]
	v_fma_f64 v[103:104], v[99:100], v[97:98], -v[103:104]
	v_mul_f64 v[99:100], v[99:100], v[105:106]
	v_add_f64 v[117:118], v[117:118], -v[103:104]
	v_fma_f64 v[99:100], v[101:102], v[97:98], v[99:100]
	v_add_f64 v[119:120], v[119:120], -v[99:100]
	ds_read2_b64 v[99:102], v125 offset0:42 offset1:43
	s_waitcnt lgkmcnt(0)
	v_mul_f64 v[103:104], v[101:102], v[105:106]
	v_fma_f64 v[103:104], v[99:100], v[97:98], -v[103:104]
	v_mul_f64 v[99:100], v[99:100], v[105:106]
	v_add_f64 v[121:122], v[121:122], -v[103:104]
	v_fma_f64 v[99:100], v[101:102], v[97:98], v[99:100]
	v_add_f64 v[123:124], v[123:124], -v[99:100]
	ds_read2_b64 v[99:102], v125 offset0:44 offset1:45
	s_waitcnt lgkmcnt(0)
	v_mul_f64 v[103:104], v[101:102], v[105:106]
	v_fma_f64 v[103:104], v[99:100], v[97:98], -v[103:104]
	v_mul_f64 v[99:100], v[99:100], v[105:106]
	v_add_f64 v[109:110], v[109:110], -v[103:104]
	v_fma_f64 v[99:100], v[101:102], v[97:98], v[99:100]
	v_add_f64 v[111:112], v[111:112], -v[99:100]
	ds_read2_b64 v[99:102], v125 offset0:46 offset1:47
	s_waitcnt lgkmcnt(0)
	v_mul_f64 v[103:104], v[101:102], v[105:106]
	v_fma_f64 v[103:104], v[99:100], v[97:98], -v[103:104]
	v_mul_f64 v[99:100], v[99:100], v[105:106]
	v_add_f64 v[113:114], v[113:114], -v[103:104]
	v_fma_f64 v[99:100], v[101:102], v[97:98], v[99:100]
	v_add_f64 v[115:116], v[115:116], -v[99:100]
	ds_read2_b64 v[99:102], v125 offset0:48 offset1:49
	s_waitcnt lgkmcnt(0)
	v_mul_f64 v[103:104], v[101:102], v[105:106]
	v_fma_f64 v[103:104], v[99:100], v[97:98], -v[103:104]
	v_mul_f64 v[99:100], v[99:100], v[105:106]
	v_add_f64 v[93:94], v[93:94], -v[103:104]
	v_fma_f64 v[99:100], v[101:102], v[97:98], v[99:100]
	v_add_f64 v[95:96], v[95:96], -v[99:100]
	ds_read2_b64 v[99:102], v125 offset0:50 offset1:51
	buffer_load_dword v77, off, s[20:23], 0 offset:32 ; 4-byte Folded Reload
	buffer_load_dword v78, off, s[20:23], 0 offset:36 ; 4-byte Folded Reload
	;; [unrolled: 1-line block ×4, first 2 shown]
	s_waitcnt lgkmcnt(0)
	v_mul_f64 v[103:104], v[101:102], v[105:106]
	v_fma_f64 v[103:104], v[99:100], v[97:98], -v[103:104]
	v_mul_f64 v[99:100], v[99:100], v[105:106]
	v_fma_f64 v[99:100], v[101:102], v[97:98], v[99:100]
	s_waitcnt vmcnt(2)
	v_add_f64 v[77:78], v[77:78], -v[103:104]
	s_waitcnt vmcnt(0)
	v_add_f64 v[79:80], v[79:80], -v[99:100]
	buffer_store_dword v77, off, s[20:23], 0 offset:32 ; 4-byte Folded Spill
	s_nop 0
	buffer_store_dword v78, off, s[20:23], 0 offset:36 ; 4-byte Folded Spill
	buffer_store_dword v79, off, s[20:23], 0 offset:40 ; 4-byte Folded Spill
	;; [unrolled: 1-line block ×3, first 2 shown]
	ds_read2_b64 v[99:102], v125 offset0:52 offset1:53
	buffer_load_dword v73, off, s[20:23], 0 offset:16 ; 4-byte Folded Reload
	buffer_load_dword v74, off, s[20:23], 0 offset:20 ; 4-byte Folded Reload
	;; [unrolled: 1-line block ×4, first 2 shown]
	s_waitcnt lgkmcnt(0)
	v_mul_f64 v[103:104], v[101:102], v[105:106]
	v_fma_f64 v[103:104], v[99:100], v[97:98], -v[103:104]
	v_mul_f64 v[99:100], v[99:100], v[105:106]
	v_fma_f64 v[99:100], v[101:102], v[97:98], v[99:100]
	s_waitcnt vmcnt(2)
	v_add_f64 v[73:74], v[73:74], -v[103:104]
	s_waitcnt vmcnt(0)
	v_add_f64 v[75:76], v[75:76], -v[99:100]
	buffer_store_dword v73, off, s[20:23], 0 offset:16 ; 4-byte Folded Spill
	s_nop 0
	buffer_store_dword v74, off, s[20:23], 0 offset:20 ; 4-byte Folded Spill
	buffer_store_dword v75, off, s[20:23], 0 offset:24 ; 4-byte Folded Spill
	;; [unrolled: 1-line block ×3, first 2 shown]
	v_mov_b32_e32 v76, v72
	v_mov_b32_e32 v75, v71
	;; [unrolled: 1-line block ×4, first 2 shown]
	ds_read2_b64 v[99:102], v125 offset0:54 offset1:55
	buffer_load_dword v69, off, s[20:23], 0 ; 4-byte Folded Reload
	buffer_load_dword v70, off, s[20:23], 0 offset:4 ; 4-byte Folded Reload
	buffer_load_dword v71, off, s[20:23], 0 offset:8 ; 4-byte Folded Reload
	;; [unrolled: 1-line block ×3, first 2 shown]
	s_waitcnt lgkmcnt(0)
	v_mul_f64 v[103:104], v[101:102], v[105:106]
	v_fma_f64 v[103:104], v[99:100], v[97:98], -v[103:104]
	v_mul_f64 v[99:100], v[99:100], v[105:106]
	v_fma_f64 v[99:100], v[101:102], v[97:98], v[99:100]
	s_waitcnt vmcnt(2)
	v_add_f64 v[69:70], v[69:70], -v[103:104]
	s_waitcnt vmcnt(0)
	v_add_f64 v[71:72], v[71:72], -v[99:100]
	buffer_store_dword v69, off, s[20:23], 0 ; 4-byte Folded Spill
	s_nop 0
	buffer_store_dword v70, off, s[20:23], 0 offset:4 ; 4-byte Folded Spill
	buffer_store_dword v71, off, s[20:23], 0 offset:8 ; 4-byte Folded Spill
	;; [unrolled: 1-line block ×3, first 2 shown]
	ds_read2_b64 v[99:102], v125 offset0:56 offset1:57
	s_waitcnt lgkmcnt(0)
	v_mul_f64 v[103:104], v[101:102], v[105:106]
	v_fma_f64 v[103:104], v[99:100], v[97:98], -v[103:104]
	v_mul_f64 v[99:100], v[99:100], v[105:106]
	v_add_f64 v[65:66], v[65:66], -v[103:104]
	v_fma_f64 v[99:100], v[101:102], v[97:98], v[99:100]
	v_add_f64 v[67:68], v[67:68], -v[99:100]
	ds_read2_b64 v[99:102], v125 offset0:58 offset1:59
	s_waitcnt lgkmcnt(0)
	v_mul_f64 v[103:104], v[101:102], v[105:106]
	v_fma_f64 v[103:104], v[99:100], v[97:98], -v[103:104]
	v_mul_f64 v[99:100], v[99:100], v[105:106]
	v_add_f64 v[61:62], v[61:62], -v[103:104]
	v_fma_f64 v[99:100], v[101:102], v[97:98], v[99:100]
	v_add_f64 v[63:64], v[63:64], -v[99:100]
	ds_read2_b64 v[99:102], v125 offset0:60 offset1:61
	s_waitcnt lgkmcnt(0)
	v_mul_f64 v[103:104], v[101:102], v[105:106]
	v_fma_f64 v[103:104], v[99:100], v[97:98], -v[103:104]
	v_mul_f64 v[99:100], v[99:100], v[105:106]
	v_add_f64 v[57:58], v[57:58], -v[103:104]
	v_fma_f64 v[99:100], v[101:102], v[97:98], v[99:100]
	v_add_f64 v[59:60], v[59:60], -v[99:100]
	ds_read2_b64 v[99:102], v125 offset0:62 offset1:63
	s_waitcnt lgkmcnt(0)
	v_mul_f64 v[103:104], v[101:102], v[105:106]
	v_fma_f64 v[103:104], v[99:100], v[97:98], -v[103:104]
	v_mul_f64 v[99:100], v[99:100], v[105:106]
	v_add_f64 v[53:54], v[53:54], -v[103:104]
	v_fma_f64 v[99:100], v[101:102], v[97:98], v[99:100]
	v_add_f64 v[55:56], v[55:56], -v[99:100]
	ds_read2_b64 v[99:102], v125 offset0:64 offset1:65
	s_waitcnt lgkmcnt(0)
	v_mul_f64 v[103:104], v[101:102], v[105:106]
	v_fma_f64 v[103:104], v[99:100], v[97:98], -v[103:104]
	v_mul_f64 v[99:100], v[99:100], v[105:106]
	v_add_f64 v[49:50], v[49:50], -v[103:104]
	v_fma_f64 v[99:100], v[101:102], v[97:98], v[99:100]
	v_add_f64 v[51:52], v[51:52], -v[99:100]
	ds_read2_b64 v[99:102], v125 offset0:66 offset1:67
	s_waitcnt lgkmcnt(0)
	v_mul_f64 v[103:104], v[101:102], v[105:106]
	v_fma_f64 v[103:104], v[99:100], v[97:98], -v[103:104]
	v_mul_f64 v[99:100], v[99:100], v[105:106]
	v_add_f64 v[45:46], v[45:46], -v[103:104]
	v_fma_f64 v[99:100], v[101:102], v[97:98], v[99:100]
	v_add_f64 v[47:48], v[47:48], -v[99:100]
	ds_read2_b64 v[99:102], v125 offset0:68 offset1:69
	s_waitcnt lgkmcnt(0)
	v_mul_f64 v[103:104], v[101:102], v[105:106]
	v_fma_f64 v[103:104], v[99:100], v[97:98], -v[103:104]
	v_mul_f64 v[99:100], v[99:100], v[105:106]
	v_add_f64 v[41:42], v[41:42], -v[103:104]
	v_fma_f64 v[99:100], v[101:102], v[97:98], v[99:100]
	v_add_f64 v[43:44], v[43:44], -v[99:100]
	ds_read2_b64 v[99:102], v125 offset0:70 offset1:71
	s_waitcnt lgkmcnt(0)
	v_mul_f64 v[103:104], v[101:102], v[105:106]
	v_fma_f64 v[103:104], v[99:100], v[97:98], -v[103:104]
	v_mul_f64 v[99:100], v[99:100], v[105:106]
	v_add_f64 v[37:38], v[37:38], -v[103:104]
	v_fma_f64 v[99:100], v[101:102], v[97:98], v[99:100]
	v_add_f64 v[39:40], v[39:40], -v[99:100]
	ds_read2_b64 v[99:102], v125 offset0:72 offset1:73
	s_waitcnt lgkmcnt(0)
	v_mul_f64 v[103:104], v[101:102], v[105:106]
	v_fma_f64 v[103:104], v[99:100], v[97:98], -v[103:104]
	v_mul_f64 v[99:100], v[99:100], v[105:106]
	v_add_f64 v[33:34], v[33:34], -v[103:104]
	v_fma_f64 v[99:100], v[101:102], v[97:98], v[99:100]
	v_add_f64 v[35:36], v[35:36], -v[99:100]
	ds_read2_b64 v[99:102], v125 offset0:74 offset1:75
	s_waitcnt lgkmcnt(0)
	v_mul_f64 v[103:104], v[101:102], v[105:106]
	v_fma_f64 v[103:104], v[99:100], v[97:98], -v[103:104]
	v_mul_f64 v[99:100], v[99:100], v[105:106]
	v_add_f64 v[29:30], v[29:30], -v[103:104]
	v_fma_f64 v[99:100], v[101:102], v[97:98], v[99:100]
	v_add_f64 v[31:32], v[31:32], -v[99:100]
	ds_read2_b64 v[99:102], v125 offset0:76 offset1:77
	s_waitcnt lgkmcnt(0)
	v_mul_f64 v[103:104], v[101:102], v[105:106]
	v_fma_f64 v[103:104], v[99:100], v[97:98], -v[103:104]
	v_mul_f64 v[99:100], v[99:100], v[105:106]
	v_add_f64 v[25:26], v[25:26], -v[103:104]
	v_fma_f64 v[99:100], v[101:102], v[97:98], v[99:100]
	v_add_f64 v[27:28], v[27:28], -v[99:100]
	ds_read2_b64 v[99:102], v125 offset0:78 offset1:79
	s_waitcnt lgkmcnt(0)
	v_mul_f64 v[103:104], v[101:102], v[105:106]
	v_fma_f64 v[103:104], v[99:100], v[97:98], -v[103:104]
	v_mul_f64 v[99:100], v[99:100], v[105:106]
	v_add_f64 v[21:22], v[21:22], -v[103:104]
	v_fma_f64 v[99:100], v[101:102], v[97:98], v[99:100]
	v_add_f64 v[23:24], v[23:24], -v[99:100]
	ds_read2_b64 v[99:102], v125 offset0:80 offset1:81
	s_waitcnt lgkmcnt(0)
	v_mul_f64 v[103:104], v[101:102], v[105:106]
	v_fma_f64 v[103:104], v[99:100], v[97:98], -v[103:104]
	v_mul_f64 v[99:100], v[99:100], v[105:106]
	v_add_f64 v[17:18], v[17:18], -v[103:104]
	v_fma_f64 v[99:100], v[101:102], v[97:98], v[99:100]
	v_add_f64 v[19:20], v[19:20], -v[99:100]
	ds_read2_b64 v[99:102], v125 offset0:82 offset1:83
	s_waitcnt lgkmcnt(0)
	v_mul_f64 v[103:104], v[101:102], v[105:106]
	v_fma_f64 v[103:104], v[99:100], v[97:98], -v[103:104]
	v_mul_f64 v[99:100], v[99:100], v[105:106]
	v_add_f64 v[13:14], v[13:14], -v[103:104]
	v_fma_f64 v[99:100], v[101:102], v[97:98], v[99:100]
	v_add_f64 v[15:16], v[15:16], -v[99:100]
	ds_read2_b64 v[99:102], v125 offset0:84 offset1:85
	s_waitcnt lgkmcnt(0)
	v_mul_f64 v[103:104], v[101:102], v[105:106]
	v_fma_f64 v[103:104], v[99:100], v[97:98], -v[103:104]
	v_mul_f64 v[99:100], v[99:100], v[105:106]
	v_add_f64 v[9:10], v[9:10], -v[103:104]
	v_fma_f64 v[99:100], v[101:102], v[97:98], v[99:100]
	v_add_f64 v[11:12], v[11:12], -v[99:100]
	ds_read2_b64 v[99:102], v125 offset0:86 offset1:87
	s_waitcnt lgkmcnt(0)
	v_mul_f64 v[103:104], v[101:102], v[105:106]
	v_fma_f64 v[103:104], v[99:100], v[97:98], -v[103:104]
	v_mul_f64 v[99:100], v[99:100], v[105:106]
	v_add_f64 v[5:6], v[5:6], -v[103:104]
	v_fma_f64 v[99:100], v[101:102], v[97:98], v[99:100]
	v_add_f64 v[7:8], v[7:8], -v[99:100]
	ds_read2_b64 v[99:102], v125 offset0:88 offset1:89
	s_waitcnt lgkmcnt(0)
	v_mul_f64 v[103:104], v[101:102], v[105:106]
	v_fma_f64 v[103:104], v[99:100], v[97:98], -v[103:104]
	v_mul_f64 v[99:100], v[99:100], v[105:106]
	v_add_f64 v[1:2], v[1:2], -v[103:104]
	v_fma_f64 v[99:100], v[101:102], v[97:98], v[99:100]
	v_add_f64 v[3:4], v[3:4], -v[99:100]
	ds_read2_b64 v[99:102], v125 offset0:90 offset1:91
	s_waitcnt lgkmcnt(0)
	v_mul_f64 v[103:104], v[101:102], v[105:106]
	v_fma_f64 v[103:104], v[99:100], v[97:98], -v[103:104]
	v_mul_f64 v[99:100], v[99:100], v[105:106]
	v_add_f64 v[73:74], v[73:74], -v[103:104]
	v_fma_f64 v[99:100], v[101:102], v[97:98], v[99:100]
	v_mov_b32_e32 v104, v98
	v_mov_b32_e32 v103, v97
	buffer_store_dword v103, off, s[20:23], 0 offset:304 ; 4-byte Folded Spill
	s_nop 0
	buffer_store_dword v104, off, s[20:23], 0 offset:308 ; 4-byte Folded Spill
	buffer_store_dword v105, off, s[20:23], 0 offset:312 ; 4-byte Folded Spill
	;; [unrolled: 1-line block ×3, first 2 shown]
	v_add_f64 v[75:76], v[75:76], -v[99:100]
.LBB91_37:
	s_or_b64 exec, exec, s[2:3]
	v_cmp_eq_u32_e32 vcc, 4, v0
	s_waitcnt vmcnt(0)
	s_barrier
	s_and_saveexec_b64 s[4:5], vcc
	s_cbranch_execz .LBB91_44
; %bb.38:
	buffer_load_dword v69, off, s[20:23], 0 offset:288 ; 4-byte Folded Reload
	buffer_load_dword v70, off, s[20:23], 0 offset:292 ; 4-byte Folded Reload
	;; [unrolled: 1-line block ×4, first 2 shown]
	s_waitcnt vmcnt(0)
	ds_write2_b64 v127, v[69:70], v[71:72] offset1:1
	buffer_load_dword v69, off, s[20:23], 0 offset:272 ; 4-byte Folded Reload
	buffer_load_dword v70, off, s[20:23], 0 offset:276 ; 4-byte Folded Reload
	buffer_load_dword v71, off, s[20:23], 0 offset:280 ; 4-byte Folded Reload
	buffer_load_dword v72, off, s[20:23], 0 offset:284 ; 4-byte Folded Reload
	s_waitcnt vmcnt(0)
	ds_write2_b64 v125, v[69:70], v[71:72] offset0:10 offset1:11
	buffer_load_dword v69, off, s[20:23], 0 offset:256 ; 4-byte Folded Reload
	buffer_load_dword v70, off, s[20:23], 0 offset:260 ; 4-byte Folded Reload
	buffer_load_dword v71, off, s[20:23], 0 offset:264 ; 4-byte Folded Reload
	buffer_load_dword v72, off, s[20:23], 0 offset:268 ; 4-byte Folded Reload
	s_waitcnt vmcnt(0)
	ds_write2_b64 v125, v[69:70], v[71:72] offset0:12 offset1:13
	;; [unrolled: 6-line block ×15, first 2 shown]
	ds_write2_b64 v125, v[117:118], v[119:120] offset0:40 offset1:41
	ds_write2_b64 v125, v[121:122], v[123:124] offset0:42 offset1:43
	;; [unrolled: 1-line block ×5, first 2 shown]
	buffer_load_dword v77, off, s[20:23], 0 offset:32 ; 4-byte Folded Reload
	buffer_load_dword v78, off, s[20:23], 0 offset:36 ; 4-byte Folded Reload
	buffer_load_dword v79, off, s[20:23], 0 offset:40 ; 4-byte Folded Reload
	buffer_load_dword v80, off, s[20:23], 0 offset:44 ; 4-byte Folded Reload
	v_mov_b32_e32 v69, v73
	v_mov_b32_e32 v70, v74
	;; [unrolled: 1-line block ×4, first 2 shown]
	s_waitcnt vmcnt(0)
	ds_write2_b64 v125, v[77:78], v[79:80] offset0:50 offset1:51
	buffer_load_dword v73, off, s[20:23], 0 offset:16 ; 4-byte Folded Reload
	buffer_load_dword v74, off, s[20:23], 0 offset:20 ; 4-byte Folded Reload
	;; [unrolled: 1-line block ×4, first 2 shown]
	s_waitcnt vmcnt(0)
	ds_write2_b64 v125, v[73:74], v[75:76] offset0:52 offset1:53
	v_mov_b32_e32 v76, v72
	v_mov_b32_e32 v75, v71
	;; [unrolled: 1-line block ×4, first 2 shown]
	buffer_load_dword v69, off, s[20:23], 0 ; 4-byte Folded Reload
	buffer_load_dword v70, off, s[20:23], 0 offset:4 ; 4-byte Folded Reload
	buffer_load_dword v71, off, s[20:23], 0 offset:8 ; 4-byte Folded Reload
	;; [unrolled: 1-line block ×3, first 2 shown]
	s_waitcnt vmcnt(0)
	ds_write2_b64 v125, v[69:70], v[71:72] offset0:54 offset1:55
	ds_write2_b64 v125, v[65:66], v[67:68] offset0:56 offset1:57
	;; [unrolled: 1-line block ×19, first 2 shown]
	ds_read2_b64 v[97:100], v127 offset1:1
	s_waitcnt lgkmcnt(0)
	v_cmp_neq_f64_e32 vcc, 0, v[97:98]
	v_cmp_neq_f64_e64 s[2:3], 0, v[99:100]
	s_or_b64 s[2:3], vcc, s[2:3]
	s_and_b64 exec, exec, s[2:3]
	s_cbranch_execz .LBB91_44
; %bb.39:
	v_cmp_ngt_f64_e64 s[2:3], |v[97:98]|, |v[99:100]|
                                        ; implicit-def: $vgpr101_vgpr102
	s_and_saveexec_b64 s[6:7], s[2:3]
	s_xor_b64 s[2:3], exec, s[6:7]
                                        ; implicit-def: $vgpr103_vgpr104
	s_cbranch_execz .LBB91_41
; %bb.40:
	v_div_scale_f64 v[101:102], s[6:7], v[99:100], v[99:100], v[97:98]
	v_rcp_f64_e32 v[103:104], v[101:102]
	v_fma_f64 v[105:106], -v[101:102], v[103:104], 1.0
	v_fma_f64 v[103:104], v[103:104], v[105:106], v[103:104]
	v_div_scale_f64 v[105:106], vcc, v[97:98], v[99:100], v[97:98]
	v_fma_f64 v[107:108], -v[101:102], v[103:104], 1.0
	v_fma_f64 v[103:104], v[103:104], v[107:108], v[103:104]
	v_mul_f64 v[107:108], v[105:106], v[103:104]
	v_fma_f64 v[101:102], -v[101:102], v[107:108], v[105:106]
	v_div_fmas_f64 v[101:102], v[101:102], v[103:104], v[107:108]
	v_div_fixup_f64 v[101:102], v[101:102], v[99:100], v[97:98]
	v_fma_f64 v[97:98], v[97:98], v[101:102], v[99:100]
	v_div_scale_f64 v[99:100], s[6:7], v[97:98], v[97:98], 1.0
	v_div_scale_f64 v[107:108], vcc, 1.0, v[97:98], 1.0
	v_rcp_f64_e32 v[103:104], v[99:100]
	v_fma_f64 v[105:106], -v[99:100], v[103:104], 1.0
	v_fma_f64 v[103:104], v[103:104], v[105:106], v[103:104]
	v_fma_f64 v[105:106], -v[99:100], v[103:104], 1.0
	v_fma_f64 v[103:104], v[103:104], v[105:106], v[103:104]
	v_mul_f64 v[105:106], v[107:108], v[103:104]
	v_fma_f64 v[99:100], -v[99:100], v[105:106], v[107:108]
	v_div_fmas_f64 v[99:100], v[99:100], v[103:104], v[105:106]
	v_div_fixup_f64 v[103:104], v[99:100], v[97:98], 1.0
                                        ; implicit-def: $vgpr97_vgpr98
	v_mul_f64 v[101:102], v[101:102], v[103:104]
	v_xor_b32_e32 v104, 0x80000000, v104
.LBB91_41:
	s_andn2_saveexec_b64 s[2:3], s[2:3]
	s_cbranch_execz .LBB91_43
; %bb.42:
	v_div_scale_f64 v[101:102], s[6:7], v[97:98], v[97:98], v[99:100]
	v_rcp_f64_e32 v[103:104], v[101:102]
	v_fma_f64 v[105:106], -v[101:102], v[103:104], 1.0
	v_fma_f64 v[103:104], v[103:104], v[105:106], v[103:104]
	v_div_scale_f64 v[105:106], vcc, v[99:100], v[97:98], v[99:100]
	v_fma_f64 v[107:108], -v[101:102], v[103:104], 1.0
	v_fma_f64 v[103:104], v[103:104], v[107:108], v[103:104]
	v_mul_f64 v[107:108], v[105:106], v[103:104]
	v_fma_f64 v[101:102], -v[101:102], v[107:108], v[105:106]
	v_div_fmas_f64 v[101:102], v[101:102], v[103:104], v[107:108]
	v_div_fixup_f64 v[103:104], v[101:102], v[97:98], v[99:100]
	v_fma_f64 v[97:98], v[99:100], v[103:104], v[97:98]
	v_div_scale_f64 v[99:100], s[6:7], v[97:98], v[97:98], 1.0
	v_div_scale_f64 v[107:108], vcc, 1.0, v[97:98], 1.0
	v_rcp_f64_e32 v[101:102], v[99:100]
	v_fma_f64 v[105:106], -v[99:100], v[101:102], 1.0
	v_fma_f64 v[101:102], v[101:102], v[105:106], v[101:102]
	v_fma_f64 v[105:106], -v[99:100], v[101:102], 1.0
	v_fma_f64 v[101:102], v[101:102], v[105:106], v[101:102]
	v_mul_f64 v[105:106], v[107:108], v[101:102]
	v_fma_f64 v[99:100], -v[99:100], v[105:106], v[107:108]
	v_div_fmas_f64 v[99:100], v[99:100], v[101:102], v[105:106]
	v_div_fixup_f64 v[101:102], v[99:100], v[97:98], 1.0
	v_mul_f64 v[103:104], v[103:104], -v[101:102]
.LBB91_43:
	s_or_b64 exec, exec, s[2:3]
	ds_write2_b64 v127, v[101:102], v[103:104] offset1:1
.LBB91_44:
	s_or_b64 exec, exec, s[4:5]
	s_waitcnt lgkmcnt(0)
	s_barrier
	ds_read2_b64 v[69:72], v127 offset1:1
	v_cmp_lt_u32_e32 vcc, 4, v0
	s_waitcnt lgkmcnt(0)
	buffer_store_dword v69, off, s[20:23], 0 offset:792 ; 4-byte Folded Spill
	s_nop 0
	buffer_store_dword v70, off, s[20:23], 0 offset:796 ; 4-byte Folded Spill
	buffer_store_dword v71, off, s[20:23], 0 offset:800 ; 4-byte Folded Spill
	;; [unrolled: 1-line block ×3, first 2 shown]
	s_and_saveexec_b64 s[2:3], vcc
	s_cbranch_execz .LBB91_46
; %bb.45:
	buffer_load_dword v103, off, s[20:23], 0 offset:288 ; 4-byte Folded Reload
	buffer_load_dword v104, off, s[20:23], 0 offset:292 ; 4-byte Folded Reload
	;; [unrolled: 1-line block ×8, first 2 shown]
	s_waitcnt vmcnt(2)
	v_mul_f64 v[99:100], v[69:70], v[105:106]
	s_waitcnt vmcnt(0)
	v_mul_f64 v[97:98], v[71:72], v[105:106]
	v_fma_f64 v[105:106], v[71:72], v[103:104], v[99:100]
	ds_read2_b64 v[99:102], v125 offset0:10 offset1:11
	v_fma_f64 v[97:98], v[69:70], v[103:104], -v[97:98]
	buffer_load_dword v69, off, s[20:23], 0 offset:272 ; 4-byte Folded Reload
	buffer_load_dword v70, off, s[20:23], 0 offset:276 ; 4-byte Folded Reload
	buffer_load_dword v71, off, s[20:23], 0 offset:280 ; 4-byte Folded Reload
	buffer_load_dword v72, off, s[20:23], 0 offset:284 ; 4-byte Folded Reload
	s_waitcnt lgkmcnt(0)
	v_mul_f64 v[103:104], v[101:102], v[105:106]
	v_fma_f64 v[103:104], v[99:100], v[97:98], -v[103:104]
	v_mul_f64 v[99:100], v[99:100], v[105:106]
	v_fma_f64 v[99:100], v[101:102], v[97:98], v[99:100]
	s_waitcnt vmcnt(2)
	v_add_f64 v[69:70], v[69:70], -v[103:104]
	s_waitcnt vmcnt(0)
	v_add_f64 v[71:72], v[71:72], -v[99:100]
	buffer_store_dword v69, off, s[20:23], 0 offset:272 ; 4-byte Folded Spill
	s_nop 0
	buffer_store_dword v70, off, s[20:23], 0 offset:276 ; 4-byte Folded Spill
	buffer_store_dword v71, off, s[20:23], 0 offset:280 ; 4-byte Folded Spill
	buffer_store_dword v72, off, s[20:23], 0 offset:284 ; 4-byte Folded Spill
	ds_read2_b64 v[99:102], v125 offset0:12 offset1:13
	buffer_load_dword v69, off, s[20:23], 0 offset:256 ; 4-byte Folded Reload
	buffer_load_dword v70, off, s[20:23], 0 offset:260 ; 4-byte Folded Reload
	buffer_load_dword v71, off, s[20:23], 0 offset:264 ; 4-byte Folded Reload
	buffer_load_dword v72, off, s[20:23], 0 offset:268 ; 4-byte Folded Reload
	s_waitcnt lgkmcnt(0)
	v_mul_f64 v[103:104], v[101:102], v[105:106]
	v_fma_f64 v[103:104], v[99:100], v[97:98], -v[103:104]
	v_mul_f64 v[99:100], v[99:100], v[105:106]
	v_fma_f64 v[99:100], v[101:102], v[97:98], v[99:100]
	s_waitcnt vmcnt(2)
	v_add_f64 v[69:70], v[69:70], -v[103:104]
	s_waitcnt vmcnt(0)
	v_add_f64 v[71:72], v[71:72], -v[99:100]
	buffer_store_dword v69, off, s[20:23], 0 offset:256 ; 4-byte Folded Spill
	s_nop 0
	buffer_store_dword v70, off, s[20:23], 0 offset:260 ; 4-byte Folded Spill
	buffer_store_dword v71, off, s[20:23], 0 offset:264 ; 4-byte Folded Spill
	buffer_store_dword v72, off, s[20:23], 0 offset:268 ; 4-byte Folded Spill
	ds_read2_b64 v[99:102], v125 offset0:14 offset1:15
	;; [unrolled: 19-line block ×15, first 2 shown]
	v_mov_b32_e32 v69, v73
	v_mov_b32_e32 v70, v74
	;; [unrolled: 1-line block ×4, first 2 shown]
	s_waitcnt lgkmcnt(0)
	v_mul_f64 v[103:104], v[101:102], v[105:106]
	v_fma_f64 v[103:104], v[99:100], v[97:98], -v[103:104]
	v_mul_f64 v[99:100], v[99:100], v[105:106]
	v_add_f64 v[117:118], v[117:118], -v[103:104]
	v_fma_f64 v[99:100], v[101:102], v[97:98], v[99:100]
	v_add_f64 v[119:120], v[119:120], -v[99:100]
	ds_read2_b64 v[99:102], v125 offset0:42 offset1:43
	s_waitcnt lgkmcnt(0)
	v_mul_f64 v[103:104], v[101:102], v[105:106]
	v_fma_f64 v[103:104], v[99:100], v[97:98], -v[103:104]
	v_mul_f64 v[99:100], v[99:100], v[105:106]
	v_add_f64 v[121:122], v[121:122], -v[103:104]
	v_fma_f64 v[99:100], v[101:102], v[97:98], v[99:100]
	v_add_f64 v[123:124], v[123:124], -v[99:100]
	ds_read2_b64 v[99:102], v125 offset0:44 offset1:45
	;; [unrolled: 8-line block ×5, first 2 shown]
	buffer_load_dword v77, off, s[20:23], 0 offset:32 ; 4-byte Folded Reload
	buffer_load_dword v78, off, s[20:23], 0 offset:36 ; 4-byte Folded Reload
	;; [unrolled: 1-line block ×4, first 2 shown]
	s_waitcnt lgkmcnt(0)
	v_mul_f64 v[103:104], v[101:102], v[105:106]
	v_fma_f64 v[103:104], v[99:100], v[97:98], -v[103:104]
	v_mul_f64 v[99:100], v[99:100], v[105:106]
	v_fma_f64 v[99:100], v[101:102], v[97:98], v[99:100]
	s_waitcnt vmcnt(2)
	v_add_f64 v[77:78], v[77:78], -v[103:104]
	s_waitcnt vmcnt(0)
	v_add_f64 v[79:80], v[79:80], -v[99:100]
	buffer_store_dword v77, off, s[20:23], 0 offset:32 ; 4-byte Folded Spill
	s_nop 0
	buffer_store_dword v78, off, s[20:23], 0 offset:36 ; 4-byte Folded Spill
	buffer_store_dword v79, off, s[20:23], 0 offset:40 ; 4-byte Folded Spill
	;; [unrolled: 1-line block ×3, first 2 shown]
	ds_read2_b64 v[99:102], v125 offset0:52 offset1:53
	buffer_load_dword v73, off, s[20:23], 0 offset:16 ; 4-byte Folded Reload
	buffer_load_dword v74, off, s[20:23], 0 offset:20 ; 4-byte Folded Reload
	;; [unrolled: 1-line block ×4, first 2 shown]
	s_waitcnt lgkmcnt(0)
	v_mul_f64 v[103:104], v[101:102], v[105:106]
	v_fma_f64 v[103:104], v[99:100], v[97:98], -v[103:104]
	v_mul_f64 v[99:100], v[99:100], v[105:106]
	v_fma_f64 v[99:100], v[101:102], v[97:98], v[99:100]
	s_waitcnt vmcnt(2)
	v_add_f64 v[73:74], v[73:74], -v[103:104]
	s_waitcnt vmcnt(0)
	v_add_f64 v[75:76], v[75:76], -v[99:100]
	buffer_store_dword v73, off, s[20:23], 0 offset:16 ; 4-byte Folded Spill
	s_nop 0
	buffer_store_dword v74, off, s[20:23], 0 offset:20 ; 4-byte Folded Spill
	buffer_store_dword v75, off, s[20:23], 0 offset:24 ; 4-byte Folded Spill
	;; [unrolled: 1-line block ×3, first 2 shown]
	v_mov_b32_e32 v76, v72
	v_mov_b32_e32 v75, v71
	;; [unrolled: 1-line block ×4, first 2 shown]
	ds_read2_b64 v[99:102], v125 offset0:54 offset1:55
	buffer_load_dword v69, off, s[20:23], 0 ; 4-byte Folded Reload
	buffer_load_dword v70, off, s[20:23], 0 offset:4 ; 4-byte Folded Reload
	buffer_load_dword v71, off, s[20:23], 0 offset:8 ; 4-byte Folded Reload
	;; [unrolled: 1-line block ×3, first 2 shown]
	s_waitcnt lgkmcnt(0)
	v_mul_f64 v[103:104], v[101:102], v[105:106]
	v_fma_f64 v[103:104], v[99:100], v[97:98], -v[103:104]
	v_mul_f64 v[99:100], v[99:100], v[105:106]
	v_fma_f64 v[99:100], v[101:102], v[97:98], v[99:100]
	s_waitcnt vmcnt(2)
	v_add_f64 v[69:70], v[69:70], -v[103:104]
	s_waitcnt vmcnt(0)
	v_add_f64 v[71:72], v[71:72], -v[99:100]
	buffer_store_dword v69, off, s[20:23], 0 ; 4-byte Folded Spill
	s_nop 0
	buffer_store_dword v70, off, s[20:23], 0 offset:4 ; 4-byte Folded Spill
	buffer_store_dword v71, off, s[20:23], 0 offset:8 ; 4-byte Folded Spill
	;; [unrolled: 1-line block ×3, first 2 shown]
	ds_read2_b64 v[99:102], v125 offset0:56 offset1:57
	s_waitcnt lgkmcnt(0)
	v_mul_f64 v[103:104], v[101:102], v[105:106]
	v_fma_f64 v[103:104], v[99:100], v[97:98], -v[103:104]
	v_mul_f64 v[99:100], v[99:100], v[105:106]
	v_add_f64 v[65:66], v[65:66], -v[103:104]
	v_fma_f64 v[99:100], v[101:102], v[97:98], v[99:100]
	v_add_f64 v[67:68], v[67:68], -v[99:100]
	ds_read2_b64 v[99:102], v125 offset0:58 offset1:59
	s_waitcnt lgkmcnt(0)
	v_mul_f64 v[103:104], v[101:102], v[105:106]
	v_fma_f64 v[103:104], v[99:100], v[97:98], -v[103:104]
	v_mul_f64 v[99:100], v[99:100], v[105:106]
	v_add_f64 v[61:62], v[61:62], -v[103:104]
	v_fma_f64 v[99:100], v[101:102], v[97:98], v[99:100]
	v_add_f64 v[63:64], v[63:64], -v[99:100]
	;; [unrolled: 8-line block ×17, first 2 shown]
	ds_read2_b64 v[99:102], v125 offset0:90 offset1:91
	s_waitcnt lgkmcnt(0)
	v_mul_f64 v[103:104], v[101:102], v[105:106]
	v_fma_f64 v[103:104], v[99:100], v[97:98], -v[103:104]
	v_mul_f64 v[99:100], v[99:100], v[105:106]
	v_add_f64 v[73:74], v[73:74], -v[103:104]
	v_fma_f64 v[99:100], v[101:102], v[97:98], v[99:100]
	v_mov_b32_e32 v104, v98
	v_mov_b32_e32 v103, v97
	buffer_store_dword v103, off, s[20:23], 0 offset:288 ; 4-byte Folded Spill
	s_nop 0
	buffer_store_dword v104, off, s[20:23], 0 offset:292 ; 4-byte Folded Spill
	buffer_store_dword v105, off, s[20:23], 0 offset:296 ; 4-byte Folded Spill
	;; [unrolled: 1-line block ×3, first 2 shown]
	v_add_f64 v[75:76], v[75:76], -v[99:100]
.LBB91_46:
	s_or_b64 exec, exec, s[2:3]
	v_cmp_eq_u32_e32 vcc, 5, v0
	s_waitcnt vmcnt(0)
	s_barrier
	s_and_saveexec_b64 s[4:5], vcc
	s_cbranch_execz .LBB91_53
; %bb.47:
	buffer_load_dword v69, off, s[20:23], 0 offset:272 ; 4-byte Folded Reload
	buffer_load_dword v70, off, s[20:23], 0 offset:276 ; 4-byte Folded Reload
	;; [unrolled: 1-line block ×4, first 2 shown]
	s_waitcnt vmcnt(0)
	ds_write2_b64 v127, v[69:70], v[71:72] offset1:1
	buffer_load_dword v69, off, s[20:23], 0 offset:256 ; 4-byte Folded Reload
	buffer_load_dword v70, off, s[20:23], 0 offset:260 ; 4-byte Folded Reload
	buffer_load_dword v71, off, s[20:23], 0 offset:264 ; 4-byte Folded Reload
	buffer_load_dword v72, off, s[20:23], 0 offset:268 ; 4-byte Folded Reload
	s_waitcnt vmcnt(0)
	ds_write2_b64 v125, v[69:70], v[71:72] offset0:12 offset1:13
	buffer_load_dword v69, off, s[20:23], 0 offset:240 ; 4-byte Folded Reload
	buffer_load_dword v70, off, s[20:23], 0 offset:244 ; 4-byte Folded Reload
	buffer_load_dword v71, off, s[20:23], 0 offset:248 ; 4-byte Folded Reload
	buffer_load_dword v72, off, s[20:23], 0 offset:252 ; 4-byte Folded Reload
	s_waitcnt vmcnt(0)
	ds_write2_b64 v125, v[69:70], v[71:72] offset0:14 offset1:15
	;; [unrolled: 6-line block ×14, first 2 shown]
	ds_write2_b64 v125, v[117:118], v[119:120] offset0:40 offset1:41
	ds_write2_b64 v125, v[121:122], v[123:124] offset0:42 offset1:43
	;; [unrolled: 1-line block ×5, first 2 shown]
	buffer_load_dword v77, off, s[20:23], 0 offset:32 ; 4-byte Folded Reload
	buffer_load_dword v78, off, s[20:23], 0 offset:36 ; 4-byte Folded Reload
	;; [unrolled: 1-line block ×4, first 2 shown]
	v_mov_b32_e32 v69, v73
	v_mov_b32_e32 v70, v74
	;; [unrolled: 1-line block ×4, first 2 shown]
	s_waitcnt vmcnt(0)
	ds_write2_b64 v125, v[77:78], v[79:80] offset0:50 offset1:51
	buffer_load_dword v73, off, s[20:23], 0 offset:16 ; 4-byte Folded Reload
	buffer_load_dword v74, off, s[20:23], 0 offset:20 ; 4-byte Folded Reload
	buffer_load_dword v75, off, s[20:23], 0 offset:24 ; 4-byte Folded Reload
	buffer_load_dword v76, off, s[20:23], 0 offset:28 ; 4-byte Folded Reload
	s_waitcnt vmcnt(0)
	ds_write2_b64 v125, v[73:74], v[75:76] offset0:52 offset1:53
	v_mov_b32_e32 v76, v72
	v_mov_b32_e32 v75, v71
	;; [unrolled: 1-line block ×4, first 2 shown]
	buffer_load_dword v69, off, s[20:23], 0 ; 4-byte Folded Reload
	buffer_load_dword v70, off, s[20:23], 0 offset:4 ; 4-byte Folded Reload
	buffer_load_dword v71, off, s[20:23], 0 offset:8 ; 4-byte Folded Reload
	;; [unrolled: 1-line block ×3, first 2 shown]
	s_waitcnt vmcnt(0)
	ds_write2_b64 v125, v[69:70], v[71:72] offset0:54 offset1:55
	ds_write2_b64 v125, v[65:66], v[67:68] offset0:56 offset1:57
	;; [unrolled: 1-line block ×19, first 2 shown]
	ds_read2_b64 v[97:100], v127 offset1:1
	s_waitcnt lgkmcnt(0)
	v_cmp_neq_f64_e32 vcc, 0, v[97:98]
	v_cmp_neq_f64_e64 s[2:3], 0, v[99:100]
	s_or_b64 s[2:3], vcc, s[2:3]
	s_and_b64 exec, exec, s[2:3]
	s_cbranch_execz .LBB91_53
; %bb.48:
	v_cmp_ngt_f64_e64 s[2:3], |v[97:98]|, |v[99:100]|
                                        ; implicit-def: $vgpr101_vgpr102
	s_and_saveexec_b64 s[6:7], s[2:3]
	s_xor_b64 s[2:3], exec, s[6:7]
                                        ; implicit-def: $vgpr103_vgpr104
	s_cbranch_execz .LBB91_50
; %bb.49:
	v_div_scale_f64 v[101:102], s[6:7], v[99:100], v[99:100], v[97:98]
	v_rcp_f64_e32 v[103:104], v[101:102]
	v_fma_f64 v[105:106], -v[101:102], v[103:104], 1.0
	v_fma_f64 v[103:104], v[103:104], v[105:106], v[103:104]
	v_div_scale_f64 v[105:106], vcc, v[97:98], v[99:100], v[97:98]
	v_fma_f64 v[107:108], -v[101:102], v[103:104], 1.0
	v_fma_f64 v[103:104], v[103:104], v[107:108], v[103:104]
	v_mul_f64 v[107:108], v[105:106], v[103:104]
	v_fma_f64 v[101:102], -v[101:102], v[107:108], v[105:106]
	v_div_fmas_f64 v[101:102], v[101:102], v[103:104], v[107:108]
	v_div_fixup_f64 v[101:102], v[101:102], v[99:100], v[97:98]
	v_fma_f64 v[97:98], v[97:98], v[101:102], v[99:100]
	v_div_scale_f64 v[99:100], s[6:7], v[97:98], v[97:98], 1.0
	v_div_scale_f64 v[107:108], vcc, 1.0, v[97:98], 1.0
	v_rcp_f64_e32 v[103:104], v[99:100]
	v_fma_f64 v[105:106], -v[99:100], v[103:104], 1.0
	v_fma_f64 v[103:104], v[103:104], v[105:106], v[103:104]
	v_fma_f64 v[105:106], -v[99:100], v[103:104], 1.0
	v_fma_f64 v[103:104], v[103:104], v[105:106], v[103:104]
	v_mul_f64 v[105:106], v[107:108], v[103:104]
	v_fma_f64 v[99:100], -v[99:100], v[105:106], v[107:108]
	v_div_fmas_f64 v[99:100], v[99:100], v[103:104], v[105:106]
	v_div_fixup_f64 v[103:104], v[99:100], v[97:98], 1.0
                                        ; implicit-def: $vgpr97_vgpr98
	v_mul_f64 v[101:102], v[101:102], v[103:104]
	v_xor_b32_e32 v104, 0x80000000, v104
.LBB91_50:
	s_andn2_saveexec_b64 s[2:3], s[2:3]
	s_cbranch_execz .LBB91_52
; %bb.51:
	v_div_scale_f64 v[101:102], s[6:7], v[97:98], v[97:98], v[99:100]
	v_rcp_f64_e32 v[103:104], v[101:102]
	v_fma_f64 v[105:106], -v[101:102], v[103:104], 1.0
	v_fma_f64 v[103:104], v[103:104], v[105:106], v[103:104]
	v_div_scale_f64 v[105:106], vcc, v[99:100], v[97:98], v[99:100]
	v_fma_f64 v[107:108], -v[101:102], v[103:104], 1.0
	v_fma_f64 v[103:104], v[103:104], v[107:108], v[103:104]
	v_mul_f64 v[107:108], v[105:106], v[103:104]
	v_fma_f64 v[101:102], -v[101:102], v[107:108], v[105:106]
	v_div_fmas_f64 v[101:102], v[101:102], v[103:104], v[107:108]
	v_div_fixup_f64 v[103:104], v[101:102], v[97:98], v[99:100]
	v_fma_f64 v[97:98], v[99:100], v[103:104], v[97:98]
	v_div_scale_f64 v[99:100], s[6:7], v[97:98], v[97:98], 1.0
	v_div_scale_f64 v[107:108], vcc, 1.0, v[97:98], 1.0
	v_rcp_f64_e32 v[101:102], v[99:100]
	v_fma_f64 v[105:106], -v[99:100], v[101:102], 1.0
	v_fma_f64 v[101:102], v[101:102], v[105:106], v[101:102]
	v_fma_f64 v[105:106], -v[99:100], v[101:102], 1.0
	v_fma_f64 v[101:102], v[101:102], v[105:106], v[101:102]
	v_mul_f64 v[105:106], v[107:108], v[101:102]
	v_fma_f64 v[99:100], -v[99:100], v[105:106], v[107:108]
	v_div_fmas_f64 v[99:100], v[99:100], v[101:102], v[105:106]
	v_div_fixup_f64 v[101:102], v[99:100], v[97:98], 1.0
	v_mul_f64 v[103:104], v[103:104], -v[101:102]
.LBB91_52:
	s_or_b64 exec, exec, s[2:3]
	ds_write2_b64 v127, v[101:102], v[103:104] offset1:1
.LBB91_53:
	s_or_b64 exec, exec, s[4:5]
	s_waitcnt lgkmcnt(0)
	s_barrier
	ds_read2_b64 v[69:72], v127 offset1:1
	v_cmp_lt_u32_e32 vcc, 5, v0
	s_waitcnt lgkmcnt(0)
	buffer_store_dword v69, off, s[20:23], 0 offset:808 ; 4-byte Folded Spill
	s_nop 0
	buffer_store_dword v70, off, s[20:23], 0 offset:812 ; 4-byte Folded Spill
	buffer_store_dword v71, off, s[20:23], 0 offset:816 ; 4-byte Folded Spill
	buffer_store_dword v72, off, s[20:23], 0 offset:820 ; 4-byte Folded Spill
	s_and_saveexec_b64 s[2:3], vcc
	s_cbranch_execz .LBB91_55
; %bb.54:
	buffer_load_dword v103, off, s[20:23], 0 offset:272 ; 4-byte Folded Reload
	buffer_load_dword v104, off, s[20:23], 0 offset:276 ; 4-byte Folded Reload
	;; [unrolled: 1-line block ×8, first 2 shown]
	s_waitcnt vmcnt(2)
	v_mul_f64 v[99:100], v[69:70], v[105:106]
	s_waitcnt vmcnt(0)
	v_mul_f64 v[97:98], v[71:72], v[105:106]
	v_fma_f64 v[105:106], v[71:72], v[103:104], v[99:100]
	ds_read2_b64 v[99:102], v125 offset0:12 offset1:13
	v_fma_f64 v[97:98], v[69:70], v[103:104], -v[97:98]
	buffer_load_dword v69, off, s[20:23], 0 offset:256 ; 4-byte Folded Reload
	buffer_load_dword v70, off, s[20:23], 0 offset:260 ; 4-byte Folded Reload
	buffer_load_dword v71, off, s[20:23], 0 offset:264 ; 4-byte Folded Reload
	buffer_load_dword v72, off, s[20:23], 0 offset:268 ; 4-byte Folded Reload
	s_waitcnt lgkmcnt(0)
	v_mul_f64 v[103:104], v[101:102], v[105:106]
	v_fma_f64 v[103:104], v[99:100], v[97:98], -v[103:104]
	v_mul_f64 v[99:100], v[99:100], v[105:106]
	v_fma_f64 v[99:100], v[101:102], v[97:98], v[99:100]
	s_waitcnt vmcnt(2)
	v_add_f64 v[69:70], v[69:70], -v[103:104]
	s_waitcnt vmcnt(0)
	v_add_f64 v[71:72], v[71:72], -v[99:100]
	buffer_store_dword v69, off, s[20:23], 0 offset:256 ; 4-byte Folded Spill
	s_nop 0
	buffer_store_dword v70, off, s[20:23], 0 offset:260 ; 4-byte Folded Spill
	buffer_store_dword v71, off, s[20:23], 0 offset:264 ; 4-byte Folded Spill
	buffer_store_dword v72, off, s[20:23], 0 offset:268 ; 4-byte Folded Spill
	ds_read2_b64 v[99:102], v125 offset0:14 offset1:15
	buffer_load_dword v69, off, s[20:23], 0 offset:240 ; 4-byte Folded Reload
	buffer_load_dword v70, off, s[20:23], 0 offset:244 ; 4-byte Folded Reload
	buffer_load_dword v71, off, s[20:23], 0 offset:248 ; 4-byte Folded Reload
	buffer_load_dword v72, off, s[20:23], 0 offset:252 ; 4-byte Folded Reload
	s_waitcnt lgkmcnt(0)
	v_mul_f64 v[103:104], v[101:102], v[105:106]
	v_fma_f64 v[103:104], v[99:100], v[97:98], -v[103:104]
	v_mul_f64 v[99:100], v[99:100], v[105:106]
	v_fma_f64 v[99:100], v[101:102], v[97:98], v[99:100]
	s_waitcnt vmcnt(2)
	v_add_f64 v[69:70], v[69:70], -v[103:104]
	s_waitcnt vmcnt(0)
	v_add_f64 v[71:72], v[71:72], -v[99:100]
	buffer_store_dword v69, off, s[20:23], 0 offset:240 ; 4-byte Folded Spill
	s_nop 0
	buffer_store_dword v70, off, s[20:23], 0 offset:244 ; 4-byte Folded Spill
	buffer_store_dword v71, off, s[20:23], 0 offset:248 ; 4-byte Folded Spill
	buffer_store_dword v72, off, s[20:23], 0 offset:252 ; 4-byte Folded Spill
	ds_read2_b64 v[99:102], v125 offset0:16 offset1:17
	;; [unrolled: 19-line block ×14, first 2 shown]
	v_mov_b32_e32 v69, v73
	v_mov_b32_e32 v70, v74
	v_mov_b32_e32 v71, v75
	v_mov_b32_e32 v72, v76
	s_waitcnt lgkmcnt(0)
	v_mul_f64 v[103:104], v[101:102], v[105:106]
	v_fma_f64 v[103:104], v[99:100], v[97:98], -v[103:104]
	v_mul_f64 v[99:100], v[99:100], v[105:106]
	v_add_f64 v[117:118], v[117:118], -v[103:104]
	v_fma_f64 v[99:100], v[101:102], v[97:98], v[99:100]
	v_add_f64 v[119:120], v[119:120], -v[99:100]
	ds_read2_b64 v[99:102], v125 offset0:42 offset1:43
	s_waitcnt lgkmcnt(0)
	v_mul_f64 v[103:104], v[101:102], v[105:106]
	v_fma_f64 v[103:104], v[99:100], v[97:98], -v[103:104]
	v_mul_f64 v[99:100], v[99:100], v[105:106]
	v_add_f64 v[121:122], v[121:122], -v[103:104]
	v_fma_f64 v[99:100], v[101:102], v[97:98], v[99:100]
	v_add_f64 v[123:124], v[123:124], -v[99:100]
	ds_read2_b64 v[99:102], v125 offset0:44 offset1:45
	s_waitcnt lgkmcnt(0)
	v_mul_f64 v[103:104], v[101:102], v[105:106]
	v_fma_f64 v[103:104], v[99:100], v[97:98], -v[103:104]
	v_mul_f64 v[99:100], v[99:100], v[105:106]
	v_add_f64 v[109:110], v[109:110], -v[103:104]
	v_fma_f64 v[99:100], v[101:102], v[97:98], v[99:100]
	v_add_f64 v[111:112], v[111:112], -v[99:100]
	ds_read2_b64 v[99:102], v125 offset0:46 offset1:47
	s_waitcnt lgkmcnt(0)
	v_mul_f64 v[103:104], v[101:102], v[105:106]
	v_fma_f64 v[103:104], v[99:100], v[97:98], -v[103:104]
	v_mul_f64 v[99:100], v[99:100], v[105:106]
	v_add_f64 v[113:114], v[113:114], -v[103:104]
	v_fma_f64 v[99:100], v[101:102], v[97:98], v[99:100]
	v_add_f64 v[115:116], v[115:116], -v[99:100]
	ds_read2_b64 v[99:102], v125 offset0:48 offset1:49
	s_waitcnt lgkmcnt(0)
	v_mul_f64 v[103:104], v[101:102], v[105:106]
	v_fma_f64 v[103:104], v[99:100], v[97:98], -v[103:104]
	v_mul_f64 v[99:100], v[99:100], v[105:106]
	v_add_f64 v[93:94], v[93:94], -v[103:104]
	v_fma_f64 v[99:100], v[101:102], v[97:98], v[99:100]
	v_add_f64 v[95:96], v[95:96], -v[99:100]
	ds_read2_b64 v[99:102], v125 offset0:50 offset1:51
	buffer_load_dword v77, off, s[20:23], 0 offset:32 ; 4-byte Folded Reload
	buffer_load_dword v78, off, s[20:23], 0 offset:36 ; 4-byte Folded Reload
	;; [unrolled: 1-line block ×4, first 2 shown]
	s_waitcnt lgkmcnt(0)
	v_mul_f64 v[103:104], v[101:102], v[105:106]
	v_fma_f64 v[103:104], v[99:100], v[97:98], -v[103:104]
	v_mul_f64 v[99:100], v[99:100], v[105:106]
	v_fma_f64 v[99:100], v[101:102], v[97:98], v[99:100]
	s_waitcnt vmcnt(2)
	v_add_f64 v[77:78], v[77:78], -v[103:104]
	s_waitcnt vmcnt(0)
	v_add_f64 v[79:80], v[79:80], -v[99:100]
	buffer_store_dword v77, off, s[20:23], 0 offset:32 ; 4-byte Folded Spill
	s_nop 0
	buffer_store_dword v78, off, s[20:23], 0 offset:36 ; 4-byte Folded Spill
	buffer_store_dword v79, off, s[20:23], 0 offset:40 ; 4-byte Folded Spill
	;; [unrolled: 1-line block ×3, first 2 shown]
	ds_read2_b64 v[99:102], v125 offset0:52 offset1:53
	buffer_load_dword v73, off, s[20:23], 0 offset:16 ; 4-byte Folded Reload
	buffer_load_dword v74, off, s[20:23], 0 offset:20 ; 4-byte Folded Reload
	;; [unrolled: 1-line block ×4, first 2 shown]
	s_waitcnt lgkmcnt(0)
	v_mul_f64 v[103:104], v[101:102], v[105:106]
	v_fma_f64 v[103:104], v[99:100], v[97:98], -v[103:104]
	v_mul_f64 v[99:100], v[99:100], v[105:106]
	v_fma_f64 v[99:100], v[101:102], v[97:98], v[99:100]
	s_waitcnt vmcnt(2)
	v_add_f64 v[73:74], v[73:74], -v[103:104]
	s_waitcnt vmcnt(0)
	v_add_f64 v[75:76], v[75:76], -v[99:100]
	buffer_store_dword v73, off, s[20:23], 0 offset:16 ; 4-byte Folded Spill
	s_nop 0
	buffer_store_dword v74, off, s[20:23], 0 offset:20 ; 4-byte Folded Spill
	buffer_store_dword v75, off, s[20:23], 0 offset:24 ; 4-byte Folded Spill
	;; [unrolled: 1-line block ×3, first 2 shown]
	v_mov_b32_e32 v76, v72
	v_mov_b32_e32 v75, v71
	;; [unrolled: 1-line block ×4, first 2 shown]
	ds_read2_b64 v[99:102], v125 offset0:54 offset1:55
	buffer_load_dword v69, off, s[20:23], 0 ; 4-byte Folded Reload
	buffer_load_dword v70, off, s[20:23], 0 offset:4 ; 4-byte Folded Reload
	buffer_load_dword v71, off, s[20:23], 0 offset:8 ; 4-byte Folded Reload
	;; [unrolled: 1-line block ×3, first 2 shown]
	s_waitcnt lgkmcnt(0)
	v_mul_f64 v[103:104], v[101:102], v[105:106]
	v_fma_f64 v[103:104], v[99:100], v[97:98], -v[103:104]
	v_mul_f64 v[99:100], v[99:100], v[105:106]
	v_fma_f64 v[99:100], v[101:102], v[97:98], v[99:100]
	s_waitcnt vmcnt(2)
	v_add_f64 v[69:70], v[69:70], -v[103:104]
	s_waitcnt vmcnt(0)
	v_add_f64 v[71:72], v[71:72], -v[99:100]
	buffer_store_dword v69, off, s[20:23], 0 ; 4-byte Folded Spill
	s_nop 0
	buffer_store_dword v70, off, s[20:23], 0 offset:4 ; 4-byte Folded Spill
	buffer_store_dword v71, off, s[20:23], 0 offset:8 ; 4-byte Folded Spill
	;; [unrolled: 1-line block ×3, first 2 shown]
	ds_read2_b64 v[99:102], v125 offset0:56 offset1:57
	s_waitcnt lgkmcnt(0)
	v_mul_f64 v[103:104], v[101:102], v[105:106]
	v_fma_f64 v[103:104], v[99:100], v[97:98], -v[103:104]
	v_mul_f64 v[99:100], v[99:100], v[105:106]
	v_add_f64 v[65:66], v[65:66], -v[103:104]
	v_fma_f64 v[99:100], v[101:102], v[97:98], v[99:100]
	v_add_f64 v[67:68], v[67:68], -v[99:100]
	ds_read2_b64 v[99:102], v125 offset0:58 offset1:59
	s_waitcnt lgkmcnt(0)
	v_mul_f64 v[103:104], v[101:102], v[105:106]
	v_fma_f64 v[103:104], v[99:100], v[97:98], -v[103:104]
	v_mul_f64 v[99:100], v[99:100], v[105:106]
	v_add_f64 v[61:62], v[61:62], -v[103:104]
	v_fma_f64 v[99:100], v[101:102], v[97:98], v[99:100]
	v_add_f64 v[63:64], v[63:64], -v[99:100]
	;; [unrolled: 8-line block ×17, first 2 shown]
	ds_read2_b64 v[99:102], v125 offset0:90 offset1:91
	s_waitcnt lgkmcnt(0)
	v_mul_f64 v[103:104], v[101:102], v[105:106]
	v_fma_f64 v[103:104], v[99:100], v[97:98], -v[103:104]
	v_mul_f64 v[99:100], v[99:100], v[105:106]
	v_add_f64 v[73:74], v[73:74], -v[103:104]
	v_fma_f64 v[99:100], v[101:102], v[97:98], v[99:100]
	v_mov_b32_e32 v104, v98
	v_mov_b32_e32 v103, v97
	buffer_store_dword v103, off, s[20:23], 0 offset:272 ; 4-byte Folded Spill
	s_nop 0
	buffer_store_dword v104, off, s[20:23], 0 offset:276 ; 4-byte Folded Spill
	buffer_store_dword v105, off, s[20:23], 0 offset:280 ; 4-byte Folded Spill
	;; [unrolled: 1-line block ×3, first 2 shown]
	v_add_f64 v[75:76], v[75:76], -v[99:100]
.LBB91_55:
	s_or_b64 exec, exec, s[2:3]
	v_cmp_eq_u32_e32 vcc, 6, v0
	s_waitcnt vmcnt(0)
	s_barrier
	s_and_saveexec_b64 s[4:5], vcc
	s_cbranch_execz .LBB91_62
; %bb.56:
	buffer_load_dword v69, off, s[20:23], 0 offset:256 ; 4-byte Folded Reload
	buffer_load_dword v70, off, s[20:23], 0 offset:260 ; 4-byte Folded Reload
	;; [unrolled: 1-line block ×4, first 2 shown]
	s_waitcnt vmcnt(0)
	ds_write2_b64 v127, v[69:70], v[71:72] offset1:1
	buffer_load_dword v69, off, s[20:23], 0 offset:240 ; 4-byte Folded Reload
	buffer_load_dword v70, off, s[20:23], 0 offset:244 ; 4-byte Folded Reload
	buffer_load_dword v71, off, s[20:23], 0 offset:248 ; 4-byte Folded Reload
	buffer_load_dword v72, off, s[20:23], 0 offset:252 ; 4-byte Folded Reload
	s_waitcnt vmcnt(0)
	ds_write2_b64 v125, v[69:70], v[71:72] offset0:14 offset1:15
	buffer_load_dword v69, off, s[20:23], 0 offset:224 ; 4-byte Folded Reload
	buffer_load_dword v70, off, s[20:23], 0 offset:228 ; 4-byte Folded Reload
	buffer_load_dword v71, off, s[20:23], 0 offset:232 ; 4-byte Folded Reload
	buffer_load_dword v72, off, s[20:23], 0 offset:236 ; 4-byte Folded Reload
	s_waitcnt vmcnt(0)
	ds_write2_b64 v125, v[69:70], v[71:72] offset0:16 offset1:17
	;; [unrolled: 6-line block ×13, first 2 shown]
	ds_write2_b64 v125, v[117:118], v[119:120] offset0:40 offset1:41
	ds_write2_b64 v125, v[121:122], v[123:124] offset0:42 offset1:43
	ds_write2_b64 v125, v[109:110], v[111:112] offset0:44 offset1:45
	ds_write2_b64 v125, v[113:114], v[115:116] offset0:46 offset1:47
	ds_write2_b64 v125, v[93:94], v[95:96] offset0:48 offset1:49
	buffer_load_dword v77, off, s[20:23], 0 offset:32 ; 4-byte Folded Reload
	buffer_load_dword v78, off, s[20:23], 0 offset:36 ; 4-byte Folded Reload
	;; [unrolled: 1-line block ×4, first 2 shown]
	v_mov_b32_e32 v69, v73
	v_mov_b32_e32 v70, v74
	;; [unrolled: 1-line block ×4, first 2 shown]
	s_waitcnt vmcnt(0)
	ds_write2_b64 v125, v[77:78], v[79:80] offset0:50 offset1:51
	buffer_load_dword v73, off, s[20:23], 0 offset:16 ; 4-byte Folded Reload
	buffer_load_dword v74, off, s[20:23], 0 offset:20 ; 4-byte Folded Reload
	;; [unrolled: 1-line block ×4, first 2 shown]
	s_waitcnt vmcnt(0)
	ds_write2_b64 v125, v[73:74], v[75:76] offset0:52 offset1:53
	v_mov_b32_e32 v76, v72
	v_mov_b32_e32 v75, v71
	;; [unrolled: 1-line block ×4, first 2 shown]
	buffer_load_dword v69, off, s[20:23], 0 ; 4-byte Folded Reload
	buffer_load_dword v70, off, s[20:23], 0 offset:4 ; 4-byte Folded Reload
	buffer_load_dword v71, off, s[20:23], 0 offset:8 ; 4-byte Folded Reload
	;; [unrolled: 1-line block ×3, first 2 shown]
	s_waitcnt vmcnt(0)
	ds_write2_b64 v125, v[69:70], v[71:72] offset0:54 offset1:55
	ds_write2_b64 v125, v[65:66], v[67:68] offset0:56 offset1:57
	ds_write2_b64 v125, v[61:62], v[63:64] offset0:58 offset1:59
	ds_write2_b64 v125, v[57:58], v[59:60] offset0:60 offset1:61
	ds_write2_b64 v125, v[53:54], v[55:56] offset0:62 offset1:63
	ds_write2_b64 v125, v[49:50], v[51:52] offset0:64 offset1:65
	ds_write2_b64 v125, v[45:46], v[47:48] offset0:66 offset1:67
	ds_write2_b64 v125, v[41:42], v[43:44] offset0:68 offset1:69
	ds_write2_b64 v125, v[37:38], v[39:40] offset0:70 offset1:71
	ds_write2_b64 v125, v[33:34], v[35:36] offset0:72 offset1:73
	ds_write2_b64 v125, v[29:30], v[31:32] offset0:74 offset1:75
	ds_write2_b64 v125, v[25:26], v[27:28] offset0:76 offset1:77
	ds_write2_b64 v125, v[21:22], v[23:24] offset0:78 offset1:79
	ds_write2_b64 v125, v[17:18], v[19:20] offset0:80 offset1:81
	ds_write2_b64 v125, v[13:14], v[15:16] offset0:82 offset1:83
	ds_write2_b64 v125, v[9:10], v[11:12] offset0:84 offset1:85
	ds_write2_b64 v125, v[5:6], v[7:8] offset0:86 offset1:87
	ds_write2_b64 v125, v[1:2], v[3:4] offset0:88 offset1:89
	ds_write2_b64 v125, v[73:74], v[75:76] offset0:90 offset1:91
	ds_read2_b64 v[97:100], v127 offset1:1
	s_waitcnt lgkmcnt(0)
	v_cmp_neq_f64_e32 vcc, 0, v[97:98]
	v_cmp_neq_f64_e64 s[2:3], 0, v[99:100]
	s_or_b64 s[2:3], vcc, s[2:3]
	s_and_b64 exec, exec, s[2:3]
	s_cbranch_execz .LBB91_62
; %bb.57:
	v_cmp_ngt_f64_e64 s[2:3], |v[97:98]|, |v[99:100]|
                                        ; implicit-def: $vgpr101_vgpr102
	s_and_saveexec_b64 s[6:7], s[2:3]
	s_xor_b64 s[2:3], exec, s[6:7]
                                        ; implicit-def: $vgpr103_vgpr104
	s_cbranch_execz .LBB91_59
; %bb.58:
	v_div_scale_f64 v[101:102], s[6:7], v[99:100], v[99:100], v[97:98]
	v_rcp_f64_e32 v[103:104], v[101:102]
	v_fma_f64 v[105:106], -v[101:102], v[103:104], 1.0
	v_fma_f64 v[103:104], v[103:104], v[105:106], v[103:104]
	v_div_scale_f64 v[105:106], vcc, v[97:98], v[99:100], v[97:98]
	v_fma_f64 v[107:108], -v[101:102], v[103:104], 1.0
	v_fma_f64 v[103:104], v[103:104], v[107:108], v[103:104]
	v_mul_f64 v[107:108], v[105:106], v[103:104]
	v_fma_f64 v[101:102], -v[101:102], v[107:108], v[105:106]
	v_div_fmas_f64 v[101:102], v[101:102], v[103:104], v[107:108]
	v_div_fixup_f64 v[101:102], v[101:102], v[99:100], v[97:98]
	v_fma_f64 v[97:98], v[97:98], v[101:102], v[99:100]
	v_div_scale_f64 v[99:100], s[6:7], v[97:98], v[97:98], 1.0
	v_div_scale_f64 v[107:108], vcc, 1.0, v[97:98], 1.0
	v_rcp_f64_e32 v[103:104], v[99:100]
	v_fma_f64 v[105:106], -v[99:100], v[103:104], 1.0
	v_fma_f64 v[103:104], v[103:104], v[105:106], v[103:104]
	v_fma_f64 v[105:106], -v[99:100], v[103:104], 1.0
	v_fma_f64 v[103:104], v[103:104], v[105:106], v[103:104]
	v_mul_f64 v[105:106], v[107:108], v[103:104]
	v_fma_f64 v[99:100], -v[99:100], v[105:106], v[107:108]
	v_div_fmas_f64 v[99:100], v[99:100], v[103:104], v[105:106]
	v_div_fixup_f64 v[103:104], v[99:100], v[97:98], 1.0
                                        ; implicit-def: $vgpr97_vgpr98
	v_mul_f64 v[101:102], v[101:102], v[103:104]
	v_xor_b32_e32 v104, 0x80000000, v104
.LBB91_59:
	s_andn2_saveexec_b64 s[2:3], s[2:3]
	s_cbranch_execz .LBB91_61
; %bb.60:
	v_div_scale_f64 v[101:102], s[6:7], v[97:98], v[97:98], v[99:100]
	v_rcp_f64_e32 v[103:104], v[101:102]
	v_fma_f64 v[105:106], -v[101:102], v[103:104], 1.0
	v_fma_f64 v[103:104], v[103:104], v[105:106], v[103:104]
	v_div_scale_f64 v[105:106], vcc, v[99:100], v[97:98], v[99:100]
	v_fma_f64 v[107:108], -v[101:102], v[103:104], 1.0
	v_fma_f64 v[103:104], v[103:104], v[107:108], v[103:104]
	v_mul_f64 v[107:108], v[105:106], v[103:104]
	v_fma_f64 v[101:102], -v[101:102], v[107:108], v[105:106]
	v_div_fmas_f64 v[101:102], v[101:102], v[103:104], v[107:108]
	v_div_fixup_f64 v[103:104], v[101:102], v[97:98], v[99:100]
	v_fma_f64 v[97:98], v[99:100], v[103:104], v[97:98]
	v_div_scale_f64 v[99:100], s[6:7], v[97:98], v[97:98], 1.0
	v_div_scale_f64 v[107:108], vcc, 1.0, v[97:98], 1.0
	v_rcp_f64_e32 v[101:102], v[99:100]
	v_fma_f64 v[105:106], -v[99:100], v[101:102], 1.0
	v_fma_f64 v[101:102], v[101:102], v[105:106], v[101:102]
	v_fma_f64 v[105:106], -v[99:100], v[101:102], 1.0
	v_fma_f64 v[101:102], v[101:102], v[105:106], v[101:102]
	v_mul_f64 v[105:106], v[107:108], v[101:102]
	v_fma_f64 v[99:100], -v[99:100], v[105:106], v[107:108]
	v_div_fmas_f64 v[99:100], v[99:100], v[101:102], v[105:106]
	v_div_fixup_f64 v[101:102], v[99:100], v[97:98], 1.0
	v_mul_f64 v[103:104], v[103:104], -v[101:102]
.LBB91_61:
	s_or_b64 exec, exec, s[2:3]
	ds_write2_b64 v127, v[101:102], v[103:104] offset1:1
.LBB91_62:
	s_or_b64 exec, exec, s[4:5]
	s_waitcnt lgkmcnt(0)
	s_barrier
	ds_read2_b64 v[69:72], v127 offset1:1
	v_cmp_lt_u32_e32 vcc, 6, v0
	s_waitcnt lgkmcnt(0)
	buffer_store_dword v69, off, s[20:23], 0 offset:824 ; 4-byte Folded Spill
	s_nop 0
	buffer_store_dword v70, off, s[20:23], 0 offset:828 ; 4-byte Folded Spill
	buffer_store_dword v71, off, s[20:23], 0 offset:832 ; 4-byte Folded Spill
	;; [unrolled: 1-line block ×3, first 2 shown]
	s_and_saveexec_b64 s[2:3], vcc
	s_cbranch_execz .LBB91_64
; %bb.63:
	buffer_load_dword v103, off, s[20:23], 0 offset:256 ; 4-byte Folded Reload
	buffer_load_dword v104, off, s[20:23], 0 offset:260 ; 4-byte Folded Reload
	;; [unrolled: 1-line block ×8, first 2 shown]
	s_waitcnt vmcnt(2)
	v_mul_f64 v[99:100], v[69:70], v[105:106]
	s_waitcnt vmcnt(0)
	v_mul_f64 v[97:98], v[71:72], v[105:106]
	v_fma_f64 v[105:106], v[71:72], v[103:104], v[99:100]
	ds_read2_b64 v[99:102], v125 offset0:14 offset1:15
	v_fma_f64 v[97:98], v[69:70], v[103:104], -v[97:98]
	buffer_load_dword v69, off, s[20:23], 0 offset:240 ; 4-byte Folded Reload
	buffer_load_dword v70, off, s[20:23], 0 offset:244 ; 4-byte Folded Reload
	buffer_load_dword v71, off, s[20:23], 0 offset:248 ; 4-byte Folded Reload
	buffer_load_dword v72, off, s[20:23], 0 offset:252 ; 4-byte Folded Reload
	s_waitcnt lgkmcnt(0)
	v_mul_f64 v[103:104], v[101:102], v[105:106]
	v_fma_f64 v[103:104], v[99:100], v[97:98], -v[103:104]
	v_mul_f64 v[99:100], v[99:100], v[105:106]
	v_fma_f64 v[99:100], v[101:102], v[97:98], v[99:100]
	s_waitcnt vmcnt(2)
	v_add_f64 v[69:70], v[69:70], -v[103:104]
	s_waitcnt vmcnt(0)
	v_add_f64 v[71:72], v[71:72], -v[99:100]
	buffer_store_dword v69, off, s[20:23], 0 offset:240 ; 4-byte Folded Spill
	s_nop 0
	buffer_store_dword v70, off, s[20:23], 0 offset:244 ; 4-byte Folded Spill
	buffer_store_dword v71, off, s[20:23], 0 offset:248 ; 4-byte Folded Spill
	buffer_store_dword v72, off, s[20:23], 0 offset:252 ; 4-byte Folded Spill
	ds_read2_b64 v[99:102], v125 offset0:16 offset1:17
	buffer_load_dword v69, off, s[20:23], 0 offset:224 ; 4-byte Folded Reload
	buffer_load_dword v70, off, s[20:23], 0 offset:228 ; 4-byte Folded Reload
	buffer_load_dword v71, off, s[20:23], 0 offset:232 ; 4-byte Folded Reload
	buffer_load_dword v72, off, s[20:23], 0 offset:236 ; 4-byte Folded Reload
	s_waitcnt lgkmcnt(0)
	v_mul_f64 v[103:104], v[101:102], v[105:106]
	v_fma_f64 v[103:104], v[99:100], v[97:98], -v[103:104]
	v_mul_f64 v[99:100], v[99:100], v[105:106]
	v_fma_f64 v[99:100], v[101:102], v[97:98], v[99:100]
	s_waitcnt vmcnt(2)
	v_add_f64 v[69:70], v[69:70], -v[103:104]
	s_waitcnt vmcnt(0)
	v_add_f64 v[71:72], v[71:72], -v[99:100]
	buffer_store_dword v69, off, s[20:23], 0 offset:224 ; 4-byte Folded Spill
	s_nop 0
	buffer_store_dword v70, off, s[20:23], 0 offset:228 ; 4-byte Folded Spill
	buffer_store_dword v71, off, s[20:23], 0 offset:232 ; 4-byte Folded Spill
	buffer_store_dword v72, off, s[20:23], 0 offset:236 ; 4-byte Folded Spill
	ds_read2_b64 v[99:102], v125 offset0:18 offset1:19
	buffer_load_dword v69, off, s[20:23], 0 offset:208 ; 4-byte Folded Reload
	buffer_load_dword v70, off, s[20:23], 0 offset:212 ; 4-byte Folded Reload
	buffer_load_dword v71, off, s[20:23], 0 offset:216 ; 4-byte Folded Reload
	buffer_load_dword v72, off, s[20:23], 0 offset:220 ; 4-byte Folded Reload
	s_waitcnt lgkmcnt(0)
	v_mul_f64 v[103:104], v[101:102], v[105:106]
	v_fma_f64 v[103:104], v[99:100], v[97:98], -v[103:104]
	v_mul_f64 v[99:100], v[99:100], v[105:106]
	v_fma_f64 v[99:100], v[101:102], v[97:98], v[99:100]
	s_waitcnt vmcnt(2)
	v_add_f64 v[69:70], v[69:70], -v[103:104]
	s_waitcnt vmcnt(0)
	v_add_f64 v[71:72], v[71:72], -v[99:100]
	buffer_store_dword v69, off, s[20:23], 0 offset:208 ; 4-byte Folded Spill
	s_nop 0
	buffer_store_dword v70, off, s[20:23], 0 offset:212 ; 4-byte Folded Spill
	buffer_store_dword v71, off, s[20:23], 0 offset:216 ; 4-byte Folded Spill
	buffer_store_dword v72, off, s[20:23], 0 offset:220 ; 4-byte Folded Spill
	ds_read2_b64 v[99:102], v125 offset0:20 offset1:21
	buffer_load_dword v69, off, s[20:23], 0 offset:192 ; 4-byte Folded Reload
	buffer_load_dword v70, off, s[20:23], 0 offset:196 ; 4-byte Folded Reload
	buffer_load_dword v71, off, s[20:23], 0 offset:200 ; 4-byte Folded Reload
	buffer_load_dword v72, off, s[20:23], 0 offset:204 ; 4-byte Folded Reload
	s_waitcnt lgkmcnt(0)
	v_mul_f64 v[103:104], v[101:102], v[105:106]
	v_fma_f64 v[103:104], v[99:100], v[97:98], -v[103:104]
	v_mul_f64 v[99:100], v[99:100], v[105:106]
	v_fma_f64 v[99:100], v[101:102], v[97:98], v[99:100]
	s_waitcnt vmcnt(2)
	v_add_f64 v[69:70], v[69:70], -v[103:104]
	s_waitcnt vmcnt(0)
	v_add_f64 v[71:72], v[71:72], -v[99:100]
	buffer_store_dword v69, off, s[20:23], 0 offset:192 ; 4-byte Folded Spill
	s_nop 0
	buffer_store_dword v70, off, s[20:23], 0 offset:196 ; 4-byte Folded Spill
	buffer_store_dword v71, off, s[20:23], 0 offset:200 ; 4-byte Folded Spill
	buffer_store_dword v72, off, s[20:23], 0 offset:204 ; 4-byte Folded Spill
	ds_read2_b64 v[99:102], v125 offset0:22 offset1:23
	buffer_load_dword v69, off, s[20:23], 0 offset:176 ; 4-byte Folded Reload
	buffer_load_dword v70, off, s[20:23], 0 offset:180 ; 4-byte Folded Reload
	buffer_load_dword v71, off, s[20:23], 0 offset:184 ; 4-byte Folded Reload
	buffer_load_dword v72, off, s[20:23], 0 offset:188 ; 4-byte Folded Reload
	s_waitcnt lgkmcnt(0)
	v_mul_f64 v[103:104], v[101:102], v[105:106]
	v_fma_f64 v[103:104], v[99:100], v[97:98], -v[103:104]
	v_mul_f64 v[99:100], v[99:100], v[105:106]
	v_fma_f64 v[99:100], v[101:102], v[97:98], v[99:100]
	s_waitcnt vmcnt(2)
	v_add_f64 v[69:70], v[69:70], -v[103:104]
	s_waitcnt vmcnt(0)
	v_add_f64 v[71:72], v[71:72], -v[99:100]
	buffer_store_dword v69, off, s[20:23], 0 offset:176 ; 4-byte Folded Spill
	s_nop 0
	buffer_store_dword v70, off, s[20:23], 0 offset:180 ; 4-byte Folded Spill
	buffer_store_dword v71, off, s[20:23], 0 offset:184 ; 4-byte Folded Spill
	buffer_store_dword v72, off, s[20:23], 0 offset:188 ; 4-byte Folded Spill
	ds_read2_b64 v[99:102], v125 offset0:24 offset1:25
	buffer_load_dword v69, off, s[20:23], 0 offset:160 ; 4-byte Folded Reload
	buffer_load_dword v70, off, s[20:23], 0 offset:164 ; 4-byte Folded Reload
	buffer_load_dword v71, off, s[20:23], 0 offset:168 ; 4-byte Folded Reload
	buffer_load_dword v72, off, s[20:23], 0 offset:172 ; 4-byte Folded Reload
	s_waitcnt lgkmcnt(0)
	v_mul_f64 v[103:104], v[101:102], v[105:106]
	v_fma_f64 v[103:104], v[99:100], v[97:98], -v[103:104]
	v_mul_f64 v[99:100], v[99:100], v[105:106]
	v_fma_f64 v[99:100], v[101:102], v[97:98], v[99:100]
	s_waitcnt vmcnt(2)
	v_add_f64 v[69:70], v[69:70], -v[103:104]
	s_waitcnt vmcnt(0)
	v_add_f64 v[71:72], v[71:72], -v[99:100]
	buffer_store_dword v69, off, s[20:23], 0 offset:160 ; 4-byte Folded Spill
	s_nop 0
	buffer_store_dword v70, off, s[20:23], 0 offset:164 ; 4-byte Folded Spill
	buffer_store_dword v71, off, s[20:23], 0 offset:168 ; 4-byte Folded Spill
	buffer_store_dword v72, off, s[20:23], 0 offset:172 ; 4-byte Folded Spill
	ds_read2_b64 v[99:102], v125 offset0:26 offset1:27
	buffer_load_dword v69, off, s[20:23], 0 offset:144 ; 4-byte Folded Reload
	buffer_load_dword v70, off, s[20:23], 0 offset:148 ; 4-byte Folded Reload
	buffer_load_dword v71, off, s[20:23], 0 offset:152 ; 4-byte Folded Reload
	buffer_load_dword v72, off, s[20:23], 0 offset:156 ; 4-byte Folded Reload
	s_waitcnt lgkmcnt(0)
	v_mul_f64 v[103:104], v[101:102], v[105:106]
	v_fma_f64 v[103:104], v[99:100], v[97:98], -v[103:104]
	v_mul_f64 v[99:100], v[99:100], v[105:106]
	v_fma_f64 v[99:100], v[101:102], v[97:98], v[99:100]
	s_waitcnt vmcnt(2)
	v_add_f64 v[69:70], v[69:70], -v[103:104]
	s_waitcnt vmcnt(0)
	v_add_f64 v[71:72], v[71:72], -v[99:100]
	buffer_store_dword v69, off, s[20:23], 0 offset:144 ; 4-byte Folded Spill
	s_nop 0
	buffer_store_dword v70, off, s[20:23], 0 offset:148 ; 4-byte Folded Spill
	buffer_store_dword v71, off, s[20:23], 0 offset:152 ; 4-byte Folded Spill
	buffer_store_dword v72, off, s[20:23], 0 offset:156 ; 4-byte Folded Spill
	ds_read2_b64 v[99:102], v125 offset0:28 offset1:29
	buffer_load_dword v69, off, s[20:23], 0 offset:128 ; 4-byte Folded Reload
	buffer_load_dword v70, off, s[20:23], 0 offset:132 ; 4-byte Folded Reload
	buffer_load_dword v71, off, s[20:23], 0 offset:136 ; 4-byte Folded Reload
	buffer_load_dword v72, off, s[20:23], 0 offset:140 ; 4-byte Folded Reload
	s_waitcnt lgkmcnt(0)
	v_mul_f64 v[103:104], v[101:102], v[105:106]
	v_fma_f64 v[103:104], v[99:100], v[97:98], -v[103:104]
	v_mul_f64 v[99:100], v[99:100], v[105:106]
	v_fma_f64 v[99:100], v[101:102], v[97:98], v[99:100]
	s_waitcnt vmcnt(2)
	v_add_f64 v[69:70], v[69:70], -v[103:104]
	s_waitcnt vmcnt(0)
	v_add_f64 v[71:72], v[71:72], -v[99:100]
	buffer_store_dword v69, off, s[20:23], 0 offset:128 ; 4-byte Folded Spill
	s_nop 0
	buffer_store_dword v70, off, s[20:23], 0 offset:132 ; 4-byte Folded Spill
	buffer_store_dword v71, off, s[20:23], 0 offset:136 ; 4-byte Folded Spill
	buffer_store_dword v72, off, s[20:23], 0 offset:140 ; 4-byte Folded Spill
	ds_read2_b64 v[99:102], v125 offset0:30 offset1:31
	buffer_load_dword v69, off, s[20:23], 0 offset:112 ; 4-byte Folded Reload
	buffer_load_dword v70, off, s[20:23], 0 offset:116 ; 4-byte Folded Reload
	buffer_load_dword v71, off, s[20:23], 0 offset:120 ; 4-byte Folded Reload
	buffer_load_dword v72, off, s[20:23], 0 offset:124 ; 4-byte Folded Reload
	s_waitcnt lgkmcnt(0)
	v_mul_f64 v[103:104], v[101:102], v[105:106]
	v_fma_f64 v[103:104], v[99:100], v[97:98], -v[103:104]
	v_mul_f64 v[99:100], v[99:100], v[105:106]
	v_fma_f64 v[99:100], v[101:102], v[97:98], v[99:100]
	s_waitcnt vmcnt(2)
	v_add_f64 v[69:70], v[69:70], -v[103:104]
	s_waitcnt vmcnt(0)
	v_add_f64 v[71:72], v[71:72], -v[99:100]
	buffer_store_dword v69, off, s[20:23], 0 offset:112 ; 4-byte Folded Spill
	s_nop 0
	buffer_store_dword v70, off, s[20:23], 0 offset:116 ; 4-byte Folded Spill
	buffer_store_dword v71, off, s[20:23], 0 offset:120 ; 4-byte Folded Spill
	buffer_store_dword v72, off, s[20:23], 0 offset:124 ; 4-byte Folded Spill
	ds_read2_b64 v[99:102], v125 offset0:32 offset1:33
	buffer_load_dword v69, off, s[20:23], 0 offset:96 ; 4-byte Folded Reload
	buffer_load_dword v70, off, s[20:23], 0 offset:100 ; 4-byte Folded Reload
	buffer_load_dword v71, off, s[20:23], 0 offset:104 ; 4-byte Folded Reload
	buffer_load_dword v72, off, s[20:23], 0 offset:108 ; 4-byte Folded Reload
	s_waitcnt lgkmcnt(0)
	v_mul_f64 v[103:104], v[101:102], v[105:106]
	v_fma_f64 v[103:104], v[99:100], v[97:98], -v[103:104]
	v_mul_f64 v[99:100], v[99:100], v[105:106]
	v_fma_f64 v[99:100], v[101:102], v[97:98], v[99:100]
	s_waitcnt vmcnt(2)
	v_add_f64 v[69:70], v[69:70], -v[103:104]
	s_waitcnt vmcnt(0)
	v_add_f64 v[71:72], v[71:72], -v[99:100]
	buffer_store_dword v69, off, s[20:23], 0 offset:96 ; 4-byte Folded Spill
	s_nop 0
	buffer_store_dword v70, off, s[20:23], 0 offset:100 ; 4-byte Folded Spill
	buffer_store_dword v71, off, s[20:23], 0 offset:104 ; 4-byte Folded Spill
	buffer_store_dword v72, off, s[20:23], 0 offset:108 ; 4-byte Folded Spill
	ds_read2_b64 v[99:102], v125 offset0:34 offset1:35
	buffer_load_dword v69, off, s[20:23], 0 offset:80 ; 4-byte Folded Reload
	buffer_load_dword v70, off, s[20:23], 0 offset:84 ; 4-byte Folded Reload
	buffer_load_dword v71, off, s[20:23], 0 offset:88 ; 4-byte Folded Reload
	buffer_load_dword v72, off, s[20:23], 0 offset:92 ; 4-byte Folded Reload
	s_waitcnt lgkmcnt(0)
	v_mul_f64 v[103:104], v[101:102], v[105:106]
	v_fma_f64 v[103:104], v[99:100], v[97:98], -v[103:104]
	v_mul_f64 v[99:100], v[99:100], v[105:106]
	v_fma_f64 v[99:100], v[101:102], v[97:98], v[99:100]
	s_waitcnt vmcnt(2)
	v_add_f64 v[69:70], v[69:70], -v[103:104]
	s_waitcnt vmcnt(0)
	v_add_f64 v[71:72], v[71:72], -v[99:100]
	buffer_store_dword v69, off, s[20:23], 0 offset:80 ; 4-byte Folded Spill
	s_nop 0
	buffer_store_dword v70, off, s[20:23], 0 offset:84 ; 4-byte Folded Spill
	buffer_store_dword v71, off, s[20:23], 0 offset:88 ; 4-byte Folded Spill
	buffer_store_dword v72, off, s[20:23], 0 offset:92 ; 4-byte Folded Spill
	ds_read2_b64 v[99:102], v125 offset0:36 offset1:37
	buffer_load_dword v69, off, s[20:23], 0 offset:64 ; 4-byte Folded Reload
	buffer_load_dword v70, off, s[20:23], 0 offset:68 ; 4-byte Folded Reload
	buffer_load_dword v71, off, s[20:23], 0 offset:72 ; 4-byte Folded Reload
	buffer_load_dword v72, off, s[20:23], 0 offset:76 ; 4-byte Folded Reload
	s_waitcnt lgkmcnt(0)
	v_mul_f64 v[103:104], v[101:102], v[105:106]
	v_fma_f64 v[103:104], v[99:100], v[97:98], -v[103:104]
	v_mul_f64 v[99:100], v[99:100], v[105:106]
	v_fma_f64 v[99:100], v[101:102], v[97:98], v[99:100]
	s_waitcnt vmcnt(2)
	v_add_f64 v[69:70], v[69:70], -v[103:104]
	s_waitcnt vmcnt(0)
	v_add_f64 v[71:72], v[71:72], -v[99:100]
	buffer_store_dword v69, off, s[20:23], 0 offset:64 ; 4-byte Folded Spill
	s_nop 0
	buffer_store_dword v70, off, s[20:23], 0 offset:68 ; 4-byte Folded Spill
	buffer_store_dword v71, off, s[20:23], 0 offset:72 ; 4-byte Folded Spill
	buffer_store_dword v72, off, s[20:23], 0 offset:76 ; 4-byte Folded Spill
	ds_read2_b64 v[99:102], v125 offset0:38 offset1:39
	buffer_load_dword v69, off, s[20:23], 0 offset:48 ; 4-byte Folded Reload
	buffer_load_dword v70, off, s[20:23], 0 offset:52 ; 4-byte Folded Reload
	buffer_load_dword v71, off, s[20:23], 0 offset:56 ; 4-byte Folded Reload
	buffer_load_dword v72, off, s[20:23], 0 offset:60 ; 4-byte Folded Reload
	s_waitcnt lgkmcnt(0)
	v_mul_f64 v[103:104], v[101:102], v[105:106]
	v_fma_f64 v[103:104], v[99:100], v[97:98], -v[103:104]
	v_mul_f64 v[99:100], v[99:100], v[105:106]
	v_fma_f64 v[99:100], v[101:102], v[97:98], v[99:100]
	s_waitcnt vmcnt(2)
	v_add_f64 v[69:70], v[69:70], -v[103:104]
	s_waitcnt vmcnt(0)
	v_add_f64 v[71:72], v[71:72], -v[99:100]
	buffer_store_dword v69, off, s[20:23], 0 offset:48 ; 4-byte Folded Spill
	s_nop 0
	buffer_store_dword v70, off, s[20:23], 0 offset:52 ; 4-byte Folded Spill
	buffer_store_dword v71, off, s[20:23], 0 offset:56 ; 4-byte Folded Spill
	buffer_store_dword v72, off, s[20:23], 0 offset:60 ; 4-byte Folded Spill
	ds_read2_b64 v[99:102], v125 offset0:40 offset1:41
	v_mov_b32_e32 v69, v73
	v_mov_b32_e32 v70, v74
	;; [unrolled: 1-line block ×4, first 2 shown]
	s_waitcnt lgkmcnt(0)
	v_mul_f64 v[103:104], v[101:102], v[105:106]
	v_fma_f64 v[103:104], v[99:100], v[97:98], -v[103:104]
	v_mul_f64 v[99:100], v[99:100], v[105:106]
	v_add_f64 v[117:118], v[117:118], -v[103:104]
	v_fma_f64 v[99:100], v[101:102], v[97:98], v[99:100]
	v_add_f64 v[119:120], v[119:120], -v[99:100]
	ds_read2_b64 v[99:102], v125 offset0:42 offset1:43
	s_waitcnt lgkmcnt(0)
	v_mul_f64 v[103:104], v[101:102], v[105:106]
	v_fma_f64 v[103:104], v[99:100], v[97:98], -v[103:104]
	v_mul_f64 v[99:100], v[99:100], v[105:106]
	v_add_f64 v[121:122], v[121:122], -v[103:104]
	v_fma_f64 v[99:100], v[101:102], v[97:98], v[99:100]
	v_add_f64 v[123:124], v[123:124], -v[99:100]
	ds_read2_b64 v[99:102], v125 offset0:44 offset1:45
	;; [unrolled: 8-line block ×5, first 2 shown]
	buffer_load_dword v77, off, s[20:23], 0 offset:32 ; 4-byte Folded Reload
	buffer_load_dword v78, off, s[20:23], 0 offset:36 ; 4-byte Folded Reload
	;; [unrolled: 1-line block ×4, first 2 shown]
	s_waitcnt lgkmcnt(0)
	v_mul_f64 v[103:104], v[101:102], v[105:106]
	v_fma_f64 v[103:104], v[99:100], v[97:98], -v[103:104]
	v_mul_f64 v[99:100], v[99:100], v[105:106]
	v_fma_f64 v[99:100], v[101:102], v[97:98], v[99:100]
	s_waitcnt vmcnt(2)
	v_add_f64 v[77:78], v[77:78], -v[103:104]
	s_waitcnt vmcnt(0)
	v_add_f64 v[79:80], v[79:80], -v[99:100]
	buffer_store_dword v77, off, s[20:23], 0 offset:32 ; 4-byte Folded Spill
	s_nop 0
	buffer_store_dword v78, off, s[20:23], 0 offset:36 ; 4-byte Folded Spill
	buffer_store_dword v79, off, s[20:23], 0 offset:40 ; 4-byte Folded Spill
	;; [unrolled: 1-line block ×3, first 2 shown]
	ds_read2_b64 v[99:102], v125 offset0:52 offset1:53
	buffer_load_dword v73, off, s[20:23], 0 offset:16 ; 4-byte Folded Reload
	buffer_load_dword v74, off, s[20:23], 0 offset:20 ; 4-byte Folded Reload
	;; [unrolled: 1-line block ×4, first 2 shown]
	s_waitcnt lgkmcnt(0)
	v_mul_f64 v[103:104], v[101:102], v[105:106]
	v_fma_f64 v[103:104], v[99:100], v[97:98], -v[103:104]
	v_mul_f64 v[99:100], v[99:100], v[105:106]
	v_fma_f64 v[99:100], v[101:102], v[97:98], v[99:100]
	s_waitcnt vmcnt(2)
	v_add_f64 v[73:74], v[73:74], -v[103:104]
	s_waitcnt vmcnt(0)
	v_add_f64 v[75:76], v[75:76], -v[99:100]
	buffer_store_dword v73, off, s[20:23], 0 offset:16 ; 4-byte Folded Spill
	s_nop 0
	buffer_store_dword v74, off, s[20:23], 0 offset:20 ; 4-byte Folded Spill
	buffer_store_dword v75, off, s[20:23], 0 offset:24 ; 4-byte Folded Spill
	;; [unrolled: 1-line block ×3, first 2 shown]
	v_mov_b32_e32 v76, v72
	v_mov_b32_e32 v75, v71
	v_mov_b32_e32 v74, v70
	v_mov_b32_e32 v73, v69
	ds_read2_b64 v[99:102], v125 offset0:54 offset1:55
	buffer_load_dword v69, off, s[20:23], 0 ; 4-byte Folded Reload
	buffer_load_dword v70, off, s[20:23], 0 offset:4 ; 4-byte Folded Reload
	buffer_load_dword v71, off, s[20:23], 0 offset:8 ; 4-byte Folded Reload
	;; [unrolled: 1-line block ×3, first 2 shown]
	s_waitcnt lgkmcnt(0)
	v_mul_f64 v[103:104], v[101:102], v[105:106]
	v_fma_f64 v[103:104], v[99:100], v[97:98], -v[103:104]
	v_mul_f64 v[99:100], v[99:100], v[105:106]
	v_fma_f64 v[99:100], v[101:102], v[97:98], v[99:100]
	s_waitcnt vmcnt(2)
	v_add_f64 v[69:70], v[69:70], -v[103:104]
	s_waitcnt vmcnt(0)
	v_add_f64 v[71:72], v[71:72], -v[99:100]
	buffer_store_dword v69, off, s[20:23], 0 ; 4-byte Folded Spill
	s_nop 0
	buffer_store_dword v70, off, s[20:23], 0 offset:4 ; 4-byte Folded Spill
	buffer_store_dword v71, off, s[20:23], 0 offset:8 ; 4-byte Folded Spill
	;; [unrolled: 1-line block ×3, first 2 shown]
	ds_read2_b64 v[99:102], v125 offset0:56 offset1:57
	s_waitcnt lgkmcnt(0)
	v_mul_f64 v[103:104], v[101:102], v[105:106]
	v_fma_f64 v[103:104], v[99:100], v[97:98], -v[103:104]
	v_mul_f64 v[99:100], v[99:100], v[105:106]
	v_add_f64 v[65:66], v[65:66], -v[103:104]
	v_fma_f64 v[99:100], v[101:102], v[97:98], v[99:100]
	v_add_f64 v[67:68], v[67:68], -v[99:100]
	ds_read2_b64 v[99:102], v125 offset0:58 offset1:59
	s_waitcnt lgkmcnt(0)
	v_mul_f64 v[103:104], v[101:102], v[105:106]
	v_fma_f64 v[103:104], v[99:100], v[97:98], -v[103:104]
	v_mul_f64 v[99:100], v[99:100], v[105:106]
	v_add_f64 v[61:62], v[61:62], -v[103:104]
	v_fma_f64 v[99:100], v[101:102], v[97:98], v[99:100]
	v_add_f64 v[63:64], v[63:64], -v[99:100]
	;; [unrolled: 8-line block ×17, first 2 shown]
	ds_read2_b64 v[99:102], v125 offset0:90 offset1:91
	s_waitcnt lgkmcnt(0)
	v_mul_f64 v[103:104], v[101:102], v[105:106]
	v_fma_f64 v[103:104], v[99:100], v[97:98], -v[103:104]
	v_mul_f64 v[99:100], v[99:100], v[105:106]
	v_add_f64 v[73:74], v[73:74], -v[103:104]
	v_fma_f64 v[99:100], v[101:102], v[97:98], v[99:100]
	v_mov_b32_e32 v104, v98
	v_mov_b32_e32 v103, v97
	buffer_store_dword v103, off, s[20:23], 0 offset:256 ; 4-byte Folded Spill
	s_nop 0
	buffer_store_dword v104, off, s[20:23], 0 offset:260 ; 4-byte Folded Spill
	buffer_store_dword v105, off, s[20:23], 0 offset:264 ; 4-byte Folded Spill
	;; [unrolled: 1-line block ×3, first 2 shown]
	v_add_f64 v[75:76], v[75:76], -v[99:100]
.LBB91_64:
	s_or_b64 exec, exec, s[2:3]
	v_cmp_eq_u32_e32 vcc, 7, v0
	s_waitcnt vmcnt(0)
	s_barrier
	s_and_saveexec_b64 s[4:5], vcc
	s_cbranch_execz .LBB91_71
; %bb.65:
	buffer_load_dword v69, off, s[20:23], 0 offset:240 ; 4-byte Folded Reload
	buffer_load_dword v70, off, s[20:23], 0 offset:244 ; 4-byte Folded Reload
	;; [unrolled: 1-line block ×4, first 2 shown]
	s_waitcnt vmcnt(0)
	ds_write2_b64 v127, v[69:70], v[71:72] offset1:1
	buffer_load_dword v69, off, s[20:23], 0 offset:224 ; 4-byte Folded Reload
	buffer_load_dword v70, off, s[20:23], 0 offset:228 ; 4-byte Folded Reload
	buffer_load_dword v71, off, s[20:23], 0 offset:232 ; 4-byte Folded Reload
	buffer_load_dword v72, off, s[20:23], 0 offset:236 ; 4-byte Folded Reload
	s_waitcnt vmcnt(0)
	ds_write2_b64 v125, v[69:70], v[71:72] offset0:16 offset1:17
	buffer_load_dword v69, off, s[20:23], 0 offset:208 ; 4-byte Folded Reload
	buffer_load_dword v70, off, s[20:23], 0 offset:212 ; 4-byte Folded Reload
	buffer_load_dword v71, off, s[20:23], 0 offset:216 ; 4-byte Folded Reload
	buffer_load_dword v72, off, s[20:23], 0 offset:220 ; 4-byte Folded Reload
	s_waitcnt vmcnt(0)
	ds_write2_b64 v125, v[69:70], v[71:72] offset0:18 offset1:19
	;; [unrolled: 6-line block ×12, first 2 shown]
	ds_write2_b64 v125, v[117:118], v[119:120] offset0:40 offset1:41
	ds_write2_b64 v125, v[121:122], v[123:124] offset0:42 offset1:43
	;; [unrolled: 1-line block ×5, first 2 shown]
	buffer_load_dword v77, off, s[20:23], 0 offset:32 ; 4-byte Folded Reload
	buffer_load_dword v78, off, s[20:23], 0 offset:36 ; 4-byte Folded Reload
	;; [unrolled: 1-line block ×4, first 2 shown]
	v_mov_b32_e32 v69, v73
	v_mov_b32_e32 v70, v74
	;; [unrolled: 1-line block ×4, first 2 shown]
	s_waitcnt vmcnt(0)
	ds_write2_b64 v125, v[77:78], v[79:80] offset0:50 offset1:51
	buffer_load_dword v73, off, s[20:23], 0 offset:16 ; 4-byte Folded Reload
	buffer_load_dword v74, off, s[20:23], 0 offset:20 ; 4-byte Folded Reload
	;; [unrolled: 1-line block ×4, first 2 shown]
	s_waitcnt vmcnt(0)
	ds_write2_b64 v125, v[73:74], v[75:76] offset0:52 offset1:53
	v_mov_b32_e32 v76, v72
	v_mov_b32_e32 v75, v71
	;; [unrolled: 1-line block ×4, first 2 shown]
	buffer_load_dword v69, off, s[20:23], 0 ; 4-byte Folded Reload
	buffer_load_dword v70, off, s[20:23], 0 offset:4 ; 4-byte Folded Reload
	buffer_load_dword v71, off, s[20:23], 0 offset:8 ; 4-byte Folded Reload
	;; [unrolled: 1-line block ×3, first 2 shown]
	s_waitcnt vmcnt(0)
	ds_write2_b64 v125, v[69:70], v[71:72] offset0:54 offset1:55
	ds_write2_b64 v125, v[65:66], v[67:68] offset0:56 offset1:57
	;; [unrolled: 1-line block ×19, first 2 shown]
	ds_read2_b64 v[97:100], v127 offset1:1
	s_waitcnt lgkmcnt(0)
	v_cmp_neq_f64_e32 vcc, 0, v[97:98]
	v_cmp_neq_f64_e64 s[2:3], 0, v[99:100]
	s_or_b64 s[2:3], vcc, s[2:3]
	s_and_b64 exec, exec, s[2:3]
	s_cbranch_execz .LBB91_71
; %bb.66:
	v_cmp_ngt_f64_e64 s[2:3], |v[97:98]|, |v[99:100]|
                                        ; implicit-def: $vgpr101_vgpr102
	s_and_saveexec_b64 s[6:7], s[2:3]
	s_xor_b64 s[2:3], exec, s[6:7]
                                        ; implicit-def: $vgpr103_vgpr104
	s_cbranch_execz .LBB91_68
; %bb.67:
	v_div_scale_f64 v[101:102], s[6:7], v[99:100], v[99:100], v[97:98]
	v_rcp_f64_e32 v[103:104], v[101:102]
	v_fma_f64 v[105:106], -v[101:102], v[103:104], 1.0
	v_fma_f64 v[103:104], v[103:104], v[105:106], v[103:104]
	v_div_scale_f64 v[105:106], vcc, v[97:98], v[99:100], v[97:98]
	v_fma_f64 v[107:108], -v[101:102], v[103:104], 1.0
	v_fma_f64 v[103:104], v[103:104], v[107:108], v[103:104]
	v_mul_f64 v[107:108], v[105:106], v[103:104]
	v_fma_f64 v[101:102], -v[101:102], v[107:108], v[105:106]
	v_div_fmas_f64 v[101:102], v[101:102], v[103:104], v[107:108]
	v_div_fixup_f64 v[101:102], v[101:102], v[99:100], v[97:98]
	v_fma_f64 v[97:98], v[97:98], v[101:102], v[99:100]
	v_div_scale_f64 v[99:100], s[6:7], v[97:98], v[97:98], 1.0
	v_div_scale_f64 v[107:108], vcc, 1.0, v[97:98], 1.0
	v_rcp_f64_e32 v[103:104], v[99:100]
	v_fma_f64 v[105:106], -v[99:100], v[103:104], 1.0
	v_fma_f64 v[103:104], v[103:104], v[105:106], v[103:104]
	v_fma_f64 v[105:106], -v[99:100], v[103:104], 1.0
	v_fma_f64 v[103:104], v[103:104], v[105:106], v[103:104]
	v_mul_f64 v[105:106], v[107:108], v[103:104]
	v_fma_f64 v[99:100], -v[99:100], v[105:106], v[107:108]
	v_div_fmas_f64 v[99:100], v[99:100], v[103:104], v[105:106]
	v_div_fixup_f64 v[103:104], v[99:100], v[97:98], 1.0
                                        ; implicit-def: $vgpr97_vgpr98
	v_mul_f64 v[101:102], v[101:102], v[103:104]
	v_xor_b32_e32 v104, 0x80000000, v104
.LBB91_68:
	s_andn2_saveexec_b64 s[2:3], s[2:3]
	s_cbranch_execz .LBB91_70
; %bb.69:
	v_div_scale_f64 v[101:102], s[6:7], v[97:98], v[97:98], v[99:100]
	v_rcp_f64_e32 v[103:104], v[101:102]
	v_fma_f64 v[105:106], -v[101:102], v[103:104], 1.0
	v_fma_f64 v[103:104], v[103:104], v[105:106], v[103:104]
	v_div_scale_f64 v[105:106], vcc, v[99:100], v[97:98], v[99:100]
	v_fma_f64 v[107:108], -v[101:102], v[103:104], 1.0
	v_fma_f64 v[103:104], v[103:104], v[107:108], v[103:104]
	v_mul_f64 v[107:108], v[105:106], v[103:104]
	v_fma_f64 v[101:102], -v[101:102], v[107:108], v[105:106]
	v_div_fmas_f64 v[101:102], v[101:102], v[103:104], v[107:108]
	v_div_fixup_f64 v[103:104], v[101:102], v[97:98], v[99:100]
	v_fma_f64 v[97:98], v[99:100], v[103:104], v[97:98]
	v_div_scale_f64 v[99:100], s[6:7], v[97:98], v[97:98], 1.0
	v_div_scale_f64 v[107:108], vcc, 1.0, v[97:98], 1.0
	v_rcp_f64_e32 v[101:102], v[99:100]
	v_fma_f64 v[105:106], -v[99:100], v[101:102], 1.0
	v_fma_f64 v[101:102], v[101:102], v[105:106], v[101:102]
	v_fma_f64 v[105:106], -v[99:100], v[101:102], 1.0
	v_fma_f64 v[101:102], v[101:102], v[105:106], v[101:102]
	v_mul_f64 v[105:106], v[107:108], v[101:102]
	v_fma_f64 v[99:100], -v[99:100], v[105:106], v[107:108]
	v_div_fmas_f64 v[99:100], v[99:100], v[101:102], v[105:106]
	v_div_fixup_f64 v[101:102], v[99:100], v[97:98], 1.0
	v_mul_f64 v[103:104], v[103:104], -v[101:102]
.LBB91_70:
	s_or_b64 exec, exec, s[2:3]
	ds_write2_b64 v127, v[101:102], v[103:104] offset1:1
.LBB91_71:
	s_or_b64 exec, exec, s[4:5]
	s_waitcnt lgkmcnt(0)
	s_barrier
	ds_read2_b64 v[69:72], v127 offset1:1
	v_cmp_lt_u32_e32 vcc, 7, v0
	s_waitcnt lgkmcnt(0)
	buffer_store_dword v69, off, s[20:23], 0 offset:840 ; 4-byte Folded Spill
	s_nop 0
	buffer_store_dword v70, off, s[20:23], 0 offset:844 ; 4-byte Folded Spill
	buffer_store_dword v71, off, s[20:23], 0 offset:848 ; 4-byte Folded Spill
	;; [unrolled: 1-line block ×3, first 2 shown]
	s_and_saveexec_b64 s[2:3], vcc
	s_cbranch_execz .LBB91_73
; %bb.72:
	buffer_load_dword v103, off, s[20:23], 0 offset:240 ; 4-byte Folded Reload
	buffer_load_dword v104, off, s[20:23], 0 offset:244 ; 4-byte Folded Reload
	;; [unrolled: 1-line block ×8, first 2 shown]
	s_waitcnt vmcnt(2)
	v_mul_f64 v[99:100], v[69:70], v[105:106]
	s_waitcnt vmcnt(0)
	v_mul_f64 v[97:98], v[71:72], v[105:106]
	v_fma_f64 v[105:106], v[71:72], v[103:104], v[99:100]
	ds_read2_b64 v[99:102], v125 offset0:16 offset1:17
	v_fma_f64 v[97:98], v[69:70], v[103:104], -v[97:98]
	buffer_load_dword v69, off, s[20:23], 0 offset:224 ; 4-byte Folded Reload
	buffer_load_dword v70, off, s[20:23], 0 offset:228 ; 4-byte Folded Reload
	buffer_load_dword v71, off, s[20:23], 0 offset:232 ; 4-byte Folded Reload
	buffer_load_dword v72, off, s[20:23], 0 offset:236 ; 4-byte Folded Reload
	s_waitcnt lgkmcnt(0)
	v_mul_f64 v[103:104], v[101:102], v[105:106]
	v_fma_f64 v[103:104], v[99:100], v[97:98], -v[103:104]
	v_mul_f64 v[99:100], v[99:100], v[105:106]
	v_fma_f64 v[99:100], v[101:102], v[97:98], v[99:100]
	s_waitcnt vmcnt(2)
	v_add_f64 v[69:70], v[69:70], -v[103:104]
	s_waitcnt vmcnt(0)
	v_add_f64 v[71:72], v[71:72], -v[99:100]
	buffer_store_dword v69, off, s[20:23], 0 offset:224 ; 4-byte Folded Spill
	s_nop 0
	buffer_store_dword v70, off, s[20:23], 0 offset:228 ; 4-byte Folded Spill
	buffer_store_dword v71, off, s[20:23], 0 offset:232 ; 4-byte Folded Spill
	buffer_store_dword v72, off, s[20:23], 0 offset:236 ; 4-byte Folded Spill
	ds_read2_b64 v[99:102], v125 offset0:18 offset1:19
	buffer_load_dword v69, off, s[20:23], 0 offset:208 ; 4-byte Folded Reload
	buffer_load_dword v70, off, s[20:23], 0 offset:212 ; 4-byte Folded Reload
	buffer_load_dword v71, off, s[20:23], 0 offset:216 ; 4-byte Folded Reload
	buffer_load_dword v72, off, s[20:23], 0 offset:220 ; 4-byte Folded Reload
	s_waitcnt lgkmcnt(0)
	v_mul_f64 v[103:104], v[101:102], v[105:106]
	v_fma_f64 v[103:104], v[99:100], v[97:98], -v[103:104]
	v_mul_f64 v[99:100], v[99:100], v[105:106]
	v_fma_f64 v[99:100], v[101:102], v[97:98], v[99:100]
	s_waitcnt vmcnt(2)
	v_add_f64 v[69:70], v[69:70], -v[103:104]
	s_waitcnt vmcnt(0)
	v_add_f64 v[71:72], v[71:72], -v[99:100]
	buffer_store_dword v69, off, s[20:23], 0 offset:208 ; 4-byte Folded Spill
	s_nop 0
	buffer_store_dword v70, off, s[20:23], 0 offset:212 ; 4-byte Folded Spill
	buffer_store_dword v71, off, s[20:23], 0 offset:216 ; 4-byte Folded Spill
	buffer_store_dword v72, off, s[20:23], 0 offset:220 ; 4-byte Folded Spill
	ds_read2_b64 v[99:102], v125 offset0:20 offset1:21
	;; [unrolled: 19-line block ×12, first 2 shown]
	v_mov_b32_e32 v69, v73
	v_mov_b32_e32 v70, v74
	;; [unrolled: 1-line block ×4, first 2 shown]
	s_waitcnt lgkmcnt(0)
	v_mul_f64 v[103:104], v[101:102], v[105:106]
	v_fma_f64 v[103:104], v[99:100], v[97:98], -v[103:104]
	v_mul_f64 v[99:100], v[99:100], v[105:106]
	v_add_f64 v[117:118], v[117:118], -v[103:104]
	v_fma_f64 v[99:100], v[101:102], v[97:98], v[99:100]
	v_add_f64 v[119:120], v[119:120], -v[99:100]
	ds_read2_b64 v[99:102], v125 offset0:42 offset1:43
	s_waitcnt lgkmcnt(0)
	v_mul_f64 v[103:104], v[101:102], v[105:106]
	v_fma_f64 v[103:104], v[99:100], v[97:98], -v[103:104]
	v_mul_f64 v[99:100], v[99:100], v[105:106]
	v_add_f64 v[121:122], v[121:122], -v[103:104]
	v_fma_f64 v[99:100], v[101:102], v[97:98], v[99:100]
	v_add_f64 v[123:124], v[123:124], -v[99:100]
	ds_read2_b64 v[99:102], v125 offset0:44 offset1:45
	;; [unrolled: 8-line block ×5, first 2 shown]
	buffer_load_dword v77, off, s[20:23], 0 offset:32 ; 4-byte Folded Reload
	buffer_load_dword v78, off, s[20:23], 0 offset:36 ; 4-byte Folded Reload
	;; [unrolled: 1-line block ×4, first 2 shown]
	s_waitcnt lgkmcnt(0)
	v_mul_f64 v[103:104], v[101:102], v[105:106]
	v_fma_f64 v[103:104], v[99:100], v[97:98], -v[103:104]
	v_mul_f64 v[99:100], v[99:100], v[105:106]
	v_fma_f64 v[99:100], v[101:102], v[97:98], v[99:100]
	s_waitcnt vmcnt(2)
	v_add_f64 v[77:78], v[77:78], -v[103:104]
	s_waitcnt vmcnt(0)
	v_add_f64 v[79:80], v[79:80], -v[99:100]
	buffer_store_dword v77, off, s[20:23], 0 offset:32 ; 4-byte Folded Spill
	s_nop 0
	buffer_store_dword v78, off, s[20:23], 0 offset:36 ; 4-byte Folded Spill
	buffer_store_dword v79, off, s[20:23], 0 offset:40 ; 4-byte Folded Spill
	;; [unrolled: 1-line block ×3, first 2 shown]
	ds_read2_b64 v[99:102], v125 offset0:52 offset1:53
	buffer_load_dword v73, off, s[20:23], 0 offset:16 ; 4-byte Folded Reload
	buffer_load_dword v74, off, s[20:23], 0 offset:20 ; 4-byte Folded Reload
	;; [unrolled: 1-line block ×4, first 2 shown]
	s_waitcnt lgkmcnt(0)
	v_mul_f64 v[103:104], v[101:102], v[105:106]
	v_fma_f64 v[103:104], v[99:100], v[97:98], -v[103:104]
	v_mul_f64 v[99:100], v[99:100], v[105:106]
	v_fma_f64 v[99:100], v[101:102], v[97:98], v[99:100]
	s_waitcnt vmcnt(2)
	v_add_f64 v[73:74], v[73:74], -v[103:104]
	s_waitcnt vmcnt(0)
	v_add_f64 v[75:76], v[75:76], -v[99:100]
	buffer_store_dword v73, off, s[20:23], 0 offset:16 ; 4-byte Folded Spill
	s_nop 0
	buffer_store_dword v74, off, s[20:23], 0 offset:20 ; 4-byte Folded Spill
	buffer_store_dword v75, off, s[20:23], 0 offset:24 ; 4-byte Folded Spill
	;; [unrolled: 1-line block ×3, first 2 shown]
	v_mov_b32_e32 v76, v72
	v_mov_b32_e32 v75, v71
	;; [unrolled: 1-line block ×4, first 2 shown]
	ds_read2_b64 v[99:102], v125 offset0:54 offset1:55
	buffer_load_dword v69, off, s[20:23], 0 ; 4-byte Folded Reload
	buffer_load_dword v70, off, s[20:23], 0 offset:4 ; 4-byte Folded Reload
	buffer_load_dword v71, off, s[20:23], 0 offset:8 ; 4-byte Folded Reload
	;; [unrolled: 1-line block ×3, first 2 shown]
	s_waitcnt lgkmcnt(0)
	v_mul_f64 v[103:104], v[101:102], v[105:106]
	v_fma_f64 v[103:104], v[99:100], v[97:98], -v[103:104]
	v_mul_f64 v[99:100], v[99:100], v[105:106]
	v_fma_f64 v[99:100], v[101:102], v[97:98], v[99:100]
	s_waitcnt vmcnt(2)
	v_add_f64 v[69:70], v[69:70], -v[103:104]
	s_waitcnt vmcnt(0)
	v_add_f64 v[71:72], v[71:72], -v[99:100]
	buffer_store_dword v69, off, s[20:23], 0 ; 4-byte Folded Spill
	s_nop 0
	buffer_store_dword v70, off, s[20:23], 0 offset:4 ; 4-byte Folded Spill
	buffer_store_dword v71, off, s[20:23], 0 offset:8 ; 4-byte Folded Spill
	;; [unrolled: 1-line block ×3, first 2 shown]
	ds_read2_b64 v[99:102], v125 offset0:56 offset1:57
	s_waitcnt lgkmcnt(0)
	v_mul_f64 v[103:104], v[101:102], v[105:106]
	v_fma_f64 v[103:104], v[99:100], v[97:98], -v[103:104]
	v_mul_f64 v[99:100], v[99:100], v[105:106]
	v_add_f64 v[65:66], v[65:66], -v[103:104]
	v_fma_f64 v[99:100], v[101:102], v[97:98], v[99:100]
	v_add_f64 v[67:68], v[67:68], -v[99:100]
	ds_read2_b64 v[99:102], v125 offset0:58 offset1:59
	s_waitcnt lgkmcnt(0)
	v_mul_f64 v[103:104], v[101:102], v[105:106]
	v_fma_f64 v[103:104], v[99:100], v[97:98], -v[103:104]
	v_mul_f64 v[99:100], v[99:100], v[105:106]
	v_add_f64 v[61:62], v[61:62], -v[103:104]
	v_fma_f64 v[99:100], v[101:102], v[97:98], v[99:100]
	v_add_f64 v[63:64], v[63:64], -v[99:100]
	;; [unrolled: 8-line block ×17, first 2 shown]
	ds_read2_b64 v[99:102], v125 offset0:90 offset1:91
	s_waitcnt lgkmcnt(0)
	v_mul_f64 v[103:104], v[101:102], v[105:106]
	v_fma_f64 v[103:104], v[99:100], v[97:98], -v[103:104]
	v_mul_f64 v[99:100], v[99:100], v[105:106]
	v_add_f64 v[73:74], v[73:74], -v[103:104]
	v_fma_f64 v[99:100], v[101:102], v[97:98], v[99:100]
	v_mov_b32_e32 v104, v98
	v_mov_b32_e32 v103, v97
	buffer_store_dword v103, off, s[20:23], 0 offset:240 ; 4-byte Folded Spill
	s_nop 0
	buffer_store_dword v104, off, s[20:23], 0 offset:244 ; 4-byte Folded Spill
	buffer_store_dword v105, off, s[20:23], 0 offset:248 ; 4-byte Folded Spill
	buffer_store_dword v106, off, s[20:23], 0 offset:252 ; 4-byte Folded Spill
	v_add_f64 v[75:76], v[75:76], -v[99:100]
.LBB91_73:
	s_or_b64 exec, exec, s[2:3]
	v_cmp_eq_u32_e32 vcc, 8, v0
	s_waitcnt vmcnt(0)
	s_barrier
	s_and_saveexec_b64 s[4:5], vcc
	s_cbranch_execz .LBB91_80
; %bb.74:
	buffer_load_dword v69, off, s[20:23], 0 offset:224 ; 4-byte Folded Reload
	buffer_load_dword v70, off, s[20:23], 0 offset:228 ; 4-byte Folded Reload
	;; [unrolled: 1-line block ×4, first 2 shown]
	s_waitcnt vmcnt(0)
	ds_write2_b64 v127, v[69:70], v[71:72] offset1:1
	buffer_load_dword v69, off, s[20:23], 0 offset:208 ; 4-byte Folded Reload
	buffer_load_dword v70, off, s[20:23], 0 offset:212 ; 4-byte Folded Reload
	buffer_load_dword v71, off, s[20:23], 0 offset:216 ; 4-byte Folded Reload
	buffer_load_dword v72, off, s[20:23], 0 offset:220 ; 4-byte Folded Reload
	s_waitcnt vmcnt(0)
	ds_write2_b64 v125, v[69:70], v[71:72] offset0:18 offset1:19
	buffer_load_dword v69, off, s[20:23], 0 offset:192 ; 4-byte Folded Reload
	buffer_load_dword v70, off, s[20:23], 0 offset:196 ; 4-byte Folded Reload
	buffer_load_dword v71, off, s[20:23], 0 offset:200 ; 4-byte Folded Reload
	buffer_load_dword v72, off, s[20:23], 0 offset:204 ; 4-byte Folded Reload
	s_waitcnt vmcnt(0)
	ds_write2_b64 v125, v[69:70], v[71:72] offset0:20 offset1:21
	buffer_load_dword v69, off, s[20:23], 0 offset:176 ; 4-byte Folded Reload
	buffer_load_dword v70, off, s[20:23], 0 offset:180 ; 4-byte Folded Reload
	buffer_load_dword v71, off, s[20:23], 0 offset:184 ; 4-byte Folded Reload
	buffer_load_dword v72, off, s[20:23], 0 offset:188 ; 4-byte Folded Reload
	s_waitcnt vmcnt(0)
	ds_write2_b64 v125, v[69:70], v[71:72] offset0:22 offset1:23
	buffer_load_dword v69, off, s[20:23], 0 offset:160 ; 4-byte Folded Reload
	buffer_load_dword v70, off, s[20:23], 0 offset:164 ; 4-byte Folded Reload
	buffer_load_dword v71, off, s[20:23], 0 offset:168 ; 4-byte Folded Reload
	buffer_load_dword v72, off, s[20:23], 0 offset:172 ; 4-byte Folded Reload
	s_waitcnt vmcnt(0)
	ds_write2_b64 v125, v[69:70], v[71:72] offset0:24 offset1:25
	buffer_load_dword v69, off, s[20:23], 0 offset:144 ; 4-byte Folded Reload
	buffer_load_dword v70, off, s[20:23], 0 offset:148 ; 4-byte Folded Reload
	buffer_load_dword v71, off, s[20:23], 0 offset:152 ; 4-byte Folded Reload
	buffer_load_dword v72, off, s[20:23], 0 offset:156 ; 4-byte Folded Reload
	s_waitcnt vmcnt(0)
	ds_write2_b64 v125, v[69:70], v[71:72] offset0:26 offset1:27
	buffer_load_dword v69, off, s[20:23], 0 offset:128 ; 4-byte Folded Reload
	buffer_load_dword v70, off, s[20:23], 0 offset:132 ; 4-byte Folded Reload
	buffer_load_dword v71, off, s[20:23], 0 offset:136 ; 4-byte Folded Reload
	buffer_load_dword v72, off, s[20:23], 0 offset:140 ; 4-byte Folded Reload
	s_waitcnt vmcnt(0)
	ds_write2_b64 v125, v[69:70], v[71:72] offset0:28 offset1:29
	buffer_load_dword v69, off, s[20:23], 0 offset:112 ; 4-byte Folded Reload
	buffer_load_dword v70, off, s[20:23], 0 offset:116 ; 4-byte Folded Reload
	buffer_load_dword v71, off, s[20:23], 0 offset:120 ; 4-byte Folded Reload
	buffer_load_dword v72, off, s[20:23], 0 offset:124 ; 4-byte Folded Reload
	s_waitcnt vmcnt(0)
	ds_write2_b64 v125, v[69:70], v[71:72] offset0:30 offset1:31
	buffer_load_dword v69, off, s[20:23], 0 offset:96 ; 4-byte Folded Reload
	buffer_load_dword v70, off, s[20:23], 0 offset:100 ; 4-byte Folded Reload
	buffer_load_dword v71, off, s[20:23], 0 offset:104 ; 4-byte Folded Reload
	buffer_load_dword v72, off, s[20:23], 0 offset:108 ; 4-byte Folded Reload
	s_waitcnt vmcnt(0)
	ds_write2_b64 v125, v[69:70], v[71:72] offset0:32 offset1:33
	buffer_load_dword v69, off, s[20:23], 0 offset:80 ; 4-byte Folded Reload
	buffer_load_dword v70, off, s[20:23], 0 offset:84 ; 4-byte Folded Reload
	buffer_load_dword v71, off, s[20:23], 0 offset:88 ; 4-byte Folded Reload
	buffer_load_dword v72, off, s[20:23], 0 offset:92 ; 4-byte Folded Reload
	s_waitcnt vmcnt(0)
	ds_write2_b64 v125, v[69:70], v[71:72] offset0:34 offset1:35
	buffer_load_dword v69, off, s[20:23], 0 offset:64 ; 4-byte Folded Reload
	buffer_load_dword v70, off, s[20:23], 0 offset:68 ; 4-byte Folded Reload
	buffer_load_dword v71, off, s[20:23], 0 offset:72 ; 4-byte Folded Reload
	buffer_load_dword v72, off, s[20:23], 0 offset:76 ; 4-byte Folded Reload
	s_waitcnt vmcnt(0)
	ds_write2_b64 v125, v[69:70], v[71:72] offset0:36 offset1:37
	buffer_load_dword v69, off, s[20:23], 0 offset:48 ; 4-byte Folded Reload
	buffer_load_dword v70, off, s[20:23], 0 offset:52 ; 4-byte Folded Reload
	buffer_load_dword v71, off, s[20:23], 0 offset:56 ; 4-byte Folded Reload
	buffer_load_dword v72, off, s[20:23], 0 offset:60 ; 4-byte Folded Reload
	s_waitcnt vmcnt(0)
	ds_write2_b64 v125, v[69:70], v[71:72] offset0:38 offset1:39
	ds_write2_b64 v125, v[117:118], v[119:120] offset0:40 offset1:41
	ds_write2_b64 v125, v[121:122], v[123:124] offset0:42 offset1:43
	;; [unrolled: 1-line block ×5, first 2 shown]
	buffer_load_dword v77, off, s[20:23], 0 offset:32 ; 4-byte Folded Reload
	buffer_load_dword v78, off, s[20:23], 0 offset:36 ; 4-byte Folded Reload
	;; [unrolled: 1-line block ×4, first 2 shown]
	v_mov_b32_e32 v69, v73
	v_mov_b32_e32 v70, v74
	;; [unrolled: 1-line block ×4, first 2 shown]
	s_waitcnt vmcnt(0)
	ds_write2_b64 v125, v[77:78], v[79:80] offset0:50 offset1:51
	buffer_load_dword v73, off, s[20:23], 0 offset:16 ; 4-byte Folded Reload
	buffer_load_dword v74, off, s[20:23], 0 offset:20 ; 4-byte Folded Reload
	;; [unrolled: 1-line block ×4, first 2 shown]
	s_waitcnt vmcnt(0)
	ds_write2_b64 v125, v[73:74], v[75:76] offset0:52 offset1:53
	v_mov_b32_e32 v76, v72
	v_mov_b32_e32 v75, v71
	;; [unrolled: 1-line block ×4, first 2 shown]
	buffer_load_dword v69, off, s[20:23], 0 ; 4-byte Folded Reload
	buffer_load_dword v70, off, s[20:23], 0 offset:4 ; 4-byte Folded Reload
	buffer_load_dword v71, off, s[20:23], 0 offset:8 ; 4-byte Folded Reload
	;; [unrolled: 1-line block ×3, first 2 shown]
	s_waitcnt vmcnt(0)
	ds_write2_b64 v125, v[69:70], v[71:72] offset0:54 offset1:55
	ds_write2_b64 v125, v[65:66], v[67:68] offset0:56 offset1:57
	;; [unrolled: 1-line block ×19, first 2 shown]
	ds_read2_b64 v[97:100], v127 offset1:1
	s_waitcnt lgkmcnt(0)
	v_cmp_neq_f64_e32 vcc, 0, v[97:98]
	v_cmp_neq_f64_e64 s[2:3], 0, v[99:100]
	s_or_b64 s[2:3], vcc, s[2:3]
	s_and_b64 exec, exec, s[2:3]
	s_cbranch_execz .LBB91_80
; %bb.75:
	v_cmp_ngt_f64_e64 s[2:3], |v[97:98]|, |v[99:100]|
                                        ; implicit-def: $vgpr101_vgpr102
	s_and_saveexec_b64 s[6:7], s[2:3]
	s_xor_b64 s[2:3], exec, s[6:7]
                                        ; implicit-def: $vgpr103_vgpr104
	s_cbranch_execz .LBB91_77
; %bb.76:
	v_div_scale_f64 v[101:102], s[6:7], v[99:100], v[99:100], v[97:98]
	v_rcp_f64_e32 v[103:104], v[101:102]
	v_fma_f64 v[105:106], -v[101:102], v[103:104], 1.0
	v_fma_f64 v[103:104], v[103:104], v[105:106], v[103:104]
	v_div_scale_f64 v[105:106], vcc, v[97:98], v[99:100], v[97:98]
	v_fma_f64 v[107:108], -v[101:102], v[103:104], 1.0
	v_fma_f64 v[103:104], v[103:104], v[107:108], v[103:104]
	v_mul_f64 v[107:108], v[105:106], v[103:104]
	v_fma_f64 v[101:102], -v[101:102], v[107:108], v[105:106]
	v_div_fmas_f64 v[101:102], v[101:102], v[103:104], v[107:108]
	v_div_fixup_f64 v[101:102], v[101:102], v[99:100], v[97:98]
	v_fma_f64 v[97:98], v[97:98], v[101:102], v[99:100]
	v_div_scale_f64 v[99:100], s[6:7], v[97:98], v[97:98], 1.0
	v_div_scale_f64 v[107:108], vcc, 1.0, v[97:98], 1.0
	v_rcp_f64_e32 v[103:104], v[99:100]
	v_fma_f64 v[105:106], -v[99:100], v[103:104], 1.0
	v_fma_f64 v[103:104], v[103:104], v[105:106], v[103:104]
	v_fma_f64 v[105:106], -v[99:100], v[103:104], 1.0
	v_fma_f64 v[103:104], v[103:104], v[105:106], v[103:104]
	v_mul_f64 v[105:106], v[107:108], v[103:104]
	v_fma_f64 v[99:100], -v[99:100], v[105:106], v[107:108]
	v_div_fmas_f64 v[99:100], v[99:100], v[103:104], v[105:106]
	v_div_fixup_f64 v[103:104], v[99:100], v[97:98], 1.0
                                        ; implicit-def: $vgpr97_vgpr98
	v_mul_f64 v[101:102], v[101:102], v[103:104]
	v_xor_b32_e32 v104, 0x80000000, v104
.LBB91_77:
	s_andn2_saveexec_b64 s[2:3], s[2:3]
	s_cbranch_execz .LBB91_79
; %bb.78:
	v_div_scale_f64 v[101:102], s[6:7], v[97:98], v[97:98], v[99:100]
	v_rcp_f64_e32 v[103:104], v[101:102]
	v_fma_f64 v[105:106], -v[101:102], v[103:104], 1.0
	v_fma_f64 v[103:104], v[103:104], v[105:106], v[103:104]
	v_div_scale_f64 v[105:106], vcc, v[99:100], v[97:98], v[99:100]
	v_fma_f64 v[107:108], -v[101:102], v[103:104], 1.0
	v_fma_f64 v[103:104], v[103:104], v[107:108], v[103:104]
	v_mul_f64 v[107:108], v[105:106], v[103:104]
	v_fma_f64 v[101:102], -v[101:102], v[107:108], v[105:106]
	v_div_fmas_f64 v[101:102], v[101:102], v[103:104], v[107:108]
	v_div_fixup_f64 v[103:104], v[101:102], v[97:98], v[99:100]
	v_fma_f64 v[97:98], v[99:100], v[103:104], v[97:98]
	v_div_scale_f64 v[99:100], s[6:7], v[97:98], v[97:98], 1.0
	v_div_scale_f64 v[107:108], vcc, 1.0, v[97:98], 1.0
	v_rcp_f64_e32 v[101:102], v[99:100]
	v_fma_f64 v[105:106], -v[99:100], v[101:102], 1.0
	v_fma_f64 v[101:102], v[101:102], v[105:106], v[101:102]
	v_fma_f64 v[105:106], -v[99:100], v[101:102], 1.0
	v_fma_f64 v[101:102], v[101:102], v[105:106], v[101:102]
	v_mul_f64 v[105:106], v[107:108], v[101:102]
	v_fma_f64 v[99:100], -v[99:100], v[105:106], v[107:108]
	v_div_fmas_f64 v[99:100], v[99:100], v[101:102], v[105:106]
	v_div_fixup_f64 v[101:102], v[99:100], v[97:98], 1.0
	v_mul_f64 v[103:104], v[103:104], -v[101:102]
.LBB91_79:
	s_or_b64 exec, exec, s[2:3]
	ds_write2_b64 v127, v[101:102], v[103:104] offset1:1
.LBB91_80:
	s_or_b64 exec, exec, s[4:5]
	s_waitcnt lgkmcnt(0)
	s_barrier
	ds_read2_b64 v[69:72], v127 offset1:1
	v_cmp_lt_u32_e32 vcc, 8, v0
	s_waitcnt lgkmcnt(0)
	buffer_store_dword v69, off, s[20:23], 0 offset:856 ; 4-byte Folded Spill
	s_nop 0
	buffer_store_dword v70, off, s[20:23], 0 offset:860 ; 4-byte Folded Spill
	buffer_store_dword v71, off, s[20:23], 0 offset:864 ; 4-byte Folded Spill
	buffer_store_dword v72, off, s[20:23], 0 offset:868 ; 4-byte Folded Spill
	s_and_saveexec_b64 s[2:3], vcc
	s_cbranch_execz .LBB91_82
; %bb.81:
	buffer_load_dword v103, off, s[20:23], 0 offset:224 ; 4-byte Folded Reload
	buffer_load_dword v104, off, s[20:23], 0 offset:228 ; 4-byte Folded Reload
	;; [unrolled: 1-line block ×8, first 2 shown]
	s_waitcnt vmcnt(2)
	v_mul_f64 v[99:100], v[69:70], v[105:106]
	s_waitcnt vmcnt(0)
	v_mul_f64 v[97:98], v[71:72], v[105:106]
	v_fma_f64 v[105:106], v[71:72], v[103:104], v[99:100]
	ds_read2_b64 v[99:102], v125 offset0:18 offset1:19
	v_fma_f64 v[97:98], v[69:70], v[103:104], -v[97:98]
	buffer_load_dword v69, off, s[20:23], 0 offset:208 ; 4-byte Folded Reload
	buffer_load_dword v70, off, s[20:23], 0 offset:212 ; 4-byte Folded Reload
	buffer_load_dword v71, off, s[20:23], 0 offset:216 ; 4-byte Folded Reload
	buffer_load_dword v72, off, s[20:23], 0 offset:220 ; 4-byte Folded Reload
	s_waitcnt lgkmcnt(0)
	v_mul_f64 v[103:104], v[101:102], v[105:106]
	v_fma_f64 v[103:104], v[99:100], v[97:98], -v[103:104]
	v_mul_f64 v[99:100], v[99:100], v[105:106]
	v_fma_f64 v[99:100], v[101:102], v[97:98], v[99:100]
	s_waitcnt vmcnt(2)
	v_add_f64 v[69:70], v[69:70], -v[103:104]
	s_waitcnt vmcnt(0)
	v_add_f64 v[71:72], v[71:72], -v[99:100]
	buffer_store_dword v69, off, s[20:23], 0 offset:208 ; 4-byte Folded Spill
	s_nop 0
	buffer_store_dword v70, off, s[20:23], 0 offset:212 ; 4-byte Folded Spill
	buffer_store_dword v71, off, s[20:23], 0 offset:216 ; 4-byte Folded Spill
	buffer_store_dword v72, off, s[20:23], 0 offset:220 ; 4-byte Folded Spill
	ds_read2_b64 v[99:102], v125 offset0:20 offset1:21
	buffer_load_dword v69, off, s[20:23], 0 offset:192 ; 4-byte Folded Reload
	buffer_load_dword v70, off, s[20:23], 0 offset:196 ; 4-byte Folded Reload
	buffer_load_dword v71, off, s[20:23], 0 offset:200 ; 4-byte Folded Reload
	buffer_load_dword v72, off, s[20:23], 0 offset:204 ; 4-byte Folded Reload
	s_waitcnt lgkmcnt(0)
	v_mul_f64 v[103:104], v[101:102], v[105:106]
	v_fma_f64 v[103:104], v[99:100], v[97:98], -v[103:104]
	v_mul_f64 v[99:100], v[99:100], v[105:106]
	v_fma_f64 v[99:100], v[101:102], v[97:98], v[99:100]
	s_waitcnt vmcnt(2)
	v_add_f64 v[69:70], v[69:70], -v[103:104]
	s_waitcnt vmcnt(0)
	v_add_f64 v[71:72], v[71:72], -v[99:100]
	buffer_store_dword v69, off, s[20:23], 0 offset:192 ; 4-byte Folded Spill
	s_nop 0
	buffer_store_dword v70, off, s[20:23], 0 offset:196 ; 4-byte Folded Spill
	buffer_store_dword v71, off, s[20:23], 0 offset:200 ; 4-byte Folded Spill
	buffer_store_dword v72, off, s[20:23], 0 offset:204 ; 4-byte Folded Spill
	ds_read2_b64 v[99:102], v125 offset0:22 offset1:23
	;; [unrolled: 19-line block ×11, first 2 shown]
	v_mov_b32_e32 v69, v73
	v_mov_b32_e32 v70, v74
	;; [unrolled: 1-line block ×4, first 2 shown]
	s_waitcnt lgkmcnt(0)
	v_mul_f64 v[103:104], v[101:102], v[105:106]
	v_fma_f64 v[103:104], v[99:100], v[97:98], -v[103:104]
	v_mul_f64 v[99:100], v[99:100], v[105:106]
	v_add_f64 v[117:118], v[117:118], -v[103:104]
	v_fma_f64 v[99:100], v[101:102], v[97:98], v[99:100]
	v_add_f64 v[119:120], v[119:120], -v[99:100]
	ds_read2_b64 v[99:102], v125 offset0:42 offset1:43
	s_waitcnt lgkmcnt(0)
	v_mul_f64 v[103:104], v[101:102], v[105:106]
	v_fma_f64 v[103:104], v[99:100], v[97:98], -v[103:104]
	v_mul_f64 v[99:100], v[99:100], v[105:106]
	v_add_f64 v[121:122], v[121:122], -v[103:104]
	v_fma_f64 v[99:100], v[101:102], v[97:98], v[99:100]
	v_add_f64 v[123:124], v[123:124], -v[99:100]
	ds_read2_b64 v[99:102], v125 offset0:44 offset1:45
	;; [unrolled: 8-line block ×5, first 2 shown]
	buffer_load_dword v77, off, s[20:23], 0 offset:32 ; 4-byte Folded Reload
	buffer_load_dword v78, off, s[20:23], 0 offset:36 ; 4-byte Folded Reload
	;; [unrolled: 1-line block ×4, first 2 shown]
	s_waitcnt lgkmcnt(0)
	v_mul_f64 v[103:104], v[101:102], v[105:106]
	v_fma_f64 v[103:104], v[99:100], v[97:98], -v[103:104]
	v_mul_f64 v[99:100], v[99:100], v[105:106]
	v_fma_f64 v[99:100], v[101:102], v[97:98], v[99:100]
	s_waitcnt vmcnt(2)
	v_add_f64 v[77:78], v[77:78], -v[103:104]
	s_waitcnt vmcnt(0)
	v_add_f64 v[79:80], v[79:80], -v[99:100]
	buffer_store_dword v77, off, s[20:23], 0 offset:32 ; 4-byte Folded Spill
	s_nop 0
	buffer_store_dword v78, off, s[20:23], 0 offset:36 ; 4-byte Folded Spill
	buffer_store_dword v79, off, s[20:23], 0 offset:40 ; 4-byte Folded Spill
	;; [unrolled: 1-line block ×3, first 2 shown]
	ds_read2_b64 v[99:102], v125 offset0:52 offset1:53
	buffer_load_dword v73, off, s[20:23], 0 offset:16 ; 4-byte Folded Reload
	buffer_load_dword v74, off, s[20:23], 0 offset:20 ; 4-byte Folded Reload
	;; [unrolled: 1-line block ×4, first 2 shown]
	s_waitcnt lgkmcnt(0)
	v_mul_f64 v[103:104], v[101:102], v[105:106]
	v_fma_f64 v[103:104], v[99:100], v[97:98], -v[103:104]
	v_mul_f64 v[99:100], v[99:100], v[105:106]
	v_fma_f64 v[99:100], v[101:102], v[97:98], v[99:100]
	s_waitcnt vmcnt(2)
	v_add_f64 v[73:74], v[73:74], -v[103:104]
	s_waitcnt vmcnt(0)
	v_add_f64 v[75:76], v[75:76], -v[99:100]
	buffer_store_dword v73, off, s[20:23], 0 offset:16 ; 4-byte Folded Spill
	s_nop 0
	buffer_store_dword v74, off, s[20:23], 0 offset:20 ; 4-byte Folded Spill
	buffer_store_dword v75, off, s[20:23], 0 offset:24 ; 4-byte Folded Spill
	;; [unrolled: 1-line block ×3, first 2 shown]
	v_mov_b32_e32 v76, v72
	v_mov_b32_e32 v75, v71
	;; [unrolled: 1-line block ×4, first 2 shown]
	ds_read2_b64 v[99:102], v125 offset0:54 offset1:55
	buffer_load_dword v69, off, s[20:23], 0 ; 4-byte Folded Reload
	buffer_load_dword v70, off, s[20:23], 0 offset:4 ; 4-byte Folded Reload
	buffer_load_dword v71, off, s[20:23], 0 offset:8 ; 4-byte Folded Reload
	;; [unrolled: 1-line block ×3, first 2 shown]
	s_waitcnt lgkmcnt(0)
	v_mul_f64 v[103:104], v[101:102], v[105:106]
	v_fma_f64 v[103:104], v[99:100], v[97:98], -v[103:104]
	v_mul_f64 v[99:100], v[99:100], v[105:106]
	v_fma_f64 v[99:100], v[101:102], v[97:98], v[99:100]
	s_waitcnt vmcnt(2)
	v_add_f64 v[69:70], v[69:70], -v[103:104]
	s_waitcnt vmcnt(0)
	v_add_f64 v[71:72], v[71:72], -v[99:100]
	buffer_store_dword v69, off, s[20:23], 0 ; 4-byte Folded Spill
	s_nop 0
	buffer_store_dword v70, off, s[20:23], 0 offset:4 ; 4-byte Folded Spill
	buffer_store_dword v71, off, s[20:23], 0 offset:8 ; 4-byte Folded Spill
	;; [unrolled: 1-line block ×3, first 2 shown]
	ds_read2_b64 v[99:102], v125 offset0:56 offset1:57
	s_waitcnt lgkmcnt(0)
	v_mul_f64 v[103:104], v[101:102], v[105:106]
	v_fma_f64 v[103:104], v[99:100], v[97:98], -v[103:104]
	v_mul_f64 v[99:100], v[99:100], v[105:106]
	v_add_f64 v[65:66], v[65:66], -v[103:104]
	v_fma_f64 v[99:100], v[101:102], v[97:98], v[99:100]
	v_add_f64 v[67:68], v[67:68], -v[99:100]
	ds_read2_b64 v[99:102], v125 offset0:58 offset1:59
	s_waitcnt lgkmcnt(0)
	v_mul_f64 v[103:104], v[101:102], v[105:106]
	v_fma_f64 v[103:104], v[99:100], v[97:98], -v[103:104]
	v_mul_f64 v[99:100], v[99:100], v[105:106]
	v_add_f64 v[61:62], v[61:62], -v[103:104]
	v_fma_f64 v[99:100], v[101:102], v[97:98], v[99:100]
	v_add_f64 v[63:64], v[63:64], -v[99:100]
	;; [unrolled: 8-line block ×17, first 2 shown]
	ds_read2_b64 v[99:102], v125 offset0:90 offset1:91
	s_waitcnt lgkmcnt(0)
	v_mul_f64 v[103:104], v[101:102], v[105:106]
	v_fma_f64 v[103:104], v[99:100], v[97:98], -v[103:104]
	v_mul_f64 v[99:100], v[99:100], v[105:106]
	v_add_f64 v[73:74], v[73:74], -v[103:104]
	v_fma_f64 v[99:100], v[101:102], v[97:98], v[99:100]
	v_mov_b32_e32 v104, v98
	v_mov_b32_e32 v103, v97
	buffer_store_dword v103, off, s[20:23], 0 offset:224 ; 4-byte Folded Spill
	s_nop 0
	buffer_store_dword v104, off, s[20:23], 0 offset:228 ; 4-byte Folded Spill
	buffer_store_dword v105, off, s[20:23], 0 offset:232 ; 4-byte Folded Spill
	;; [unrolled: 1-line block ×3, first 2 shown]
	v_add_f64 v[75:76], v[75:76], -v[99:100]
.LBB91_82:
	s_or_b64 exec, exec, s[2:3]
	v_cmp_eq_u32_e32 vcc, 9, v0
	s_waitcnt vmcnt(0)
	s_barrier
	s_and_saveexec_b64 s[4:5], vcc
	s_cbranch_execz .LBB91_89
; %bb.83:
	buffer_load_dword v69, off, s[20:23], 0 offset:208 ; 4-byte Folded Reload
	buffer_load_dword v70, off, s[20:23], 0 offset:212 ; 4-byte Folded Reload
	;; [unrolled: 1-line block ×4, first 2 shown]
	s_waitcnt vmcnt(0)
	ds_write2_b64 v127, v[69:70], v[71:72] offset1:1
	buffer_load_dword v69, off, s[20:23], 0 offset:192 ; 4-byte Folded Reload
	buffer_load_dword v70, off, s[20:23], 0 offset:196 ; 4-byte Folded Reload
	buffer_load_dword v71, off, s[20:23], 0 offset:200 ; 4-byte Folded Reload
	buffer_load_dword v72, off, s[20:23], 0 offset:204 ; 4-byte Folded Reload
	s_waitcnt vmcnt(0)
	ds_write2_b64 v125, v[69:70], v[71:72] offset0:20 offset1:21
	buffer_load_dword v69, off, s[20:23], 0 offset:176 ; 4-byte Folded Reload
	buffer_load_dword v70, off, s[20:23], 0 offset:180 ; 4-byte Folded Reload
	buffer_load_dword v71, off, s[20:23], 0 offset:184 ; 4-byte Folded Reload
	buffer_load_dword v72, off, s[20:23], 0 offset:188 ; 4-byte Folded Reload
	s_waitcnt vmcnt(0)
	ds_write2_b64 v125, v[69:70], v[71:72] offset0:22 offset1:23
	;; [unrolled: 6-line block ×10, first 2 shown]
	ds_write2_b64 v125, v[117:118], v[119:120] offset0:40 offset1:41
	ds_write2_b64 v125, v[121:122], v[123:124] offset0:42 offset1:43
	;; [unrolled: 1-line block ×5, first 2 shown]
	buffer_load_dword v77, off, s[20:23], 0 offset:32 ; 4-byte Folded Reload
	buffer_load_dword v78, off, s[20:23], 0 offset:36 ; 4-byte Folded Reload
	;; [unrolled: 1-line block ×4, first 2 shown]
	v_mov_b32_e32 v69, v73
	v_mov_b32_e32 v70, v74
	;; [unrolled: 1-line block ×4, first 2 shown]
	s_waitcnt vmcnt(0)
	ds_write2_b64 v125, v[77:78], v[79:80] offset0:50 offset1:51
	buffer_load_dword v73, off, s[20:23], 0 offset:16 ; 4-byte Folded Reload
	buffer_load_dword v74, off, s[20:23], 0 offset:20 ; 4-byte Folded Reload
	;; [unrolled: 1-line block ×4, first 2 shown]
	s_waitcnt vmcnt(0)
	ds_write2_b64 v125, v[73:74], v[75:76] offset0:52 offset1:53
	v_mov_b32_e32 v76, v72
	v_mov_b32_e32 v75, v71
	;; [unrolled: 1-line block ×4, first 2 shown]
	buffer_load_dword v69, off, s[20:23], 0 ; 4-byte Folded Reload
	buffer_load_dword v70, off, s[20:23], 0 offset:4 ; 4-byte Folded Reload
	buffer_load_dword v71, off, s[20:23], 0 offset:8 ; 4-byte Folded Reload
	;; [unrolled: 1-line block ×3, first 2 shown]
	s_waitcnt vmcnt(0)
	ds_write2_b64 v125, v[69:70], v[71:72] offset0:54 offset1:55
	ds_write2_b64 v125, v[65:66], v[67:68] offset0:56 offset1:57
	;; [unrolled: 1-line block ×19, first 2 shown]
	ds_read2_b64 v[97:100], v127 offset1:1
	s_waitcnt lgkmcnt(0)
	v_cmp_neq_f64_e32 vcc, 0, v[97:98]
	v_cmp_neq_f64_e64 s[2:3], 0, v[99:100]
	s_or_b64 s[2:3], vcc, s[2:3]
	s_and_b64 exec, exec, s[2:3]
	s_cbranch_execz .LBB91_89
; %bb.84:
	v_cmp_ngt_f64_e64 s[2:3], |v[97:98]|, |v[99:100]|
                                        ; implicit-def: $vgpr101_vgpr102
	s_and_saveexec_b64 s[6:7], s[2:3]
	s_xor_b64 s[2:3], exec, s[6:7]
                                        ; implicit-def: $vgpr103_vgpr104
	s_cbranch_execz .LBB91_86
; %bb.85:
	v_div_scale_f64 v[101:102], s[6:7], v[99:100], v[99:100], v[97:98]
	v_rcp_f64_e32 v[103:104], v[101:102]
	v_fma_f64 v[105:106], -v[101:102], v[103:104], 1.0
	v_fma_f64 v[103:104], v[103:104], v[105:106], v[103:104]
	v_div_scale_f64 v[105:106], vcc, v[97:98], v[99:100], v[97:98]
	v_fma_f64 v[107:108], -v[101:102], v[103:104], 1.0
	v_fma_f64 v[103:104], v[103:104], v[107:108], v[103:104]
	v_mul_f64 v[107:108], v[105:106], v[103:104]
	v_fma_f64 v[101:102], -v[101:102], v[107:108], v[105:106]
	v_div_fmas_f64 v[101:102], v[101:102], v[103:104], v[107:108]
	v_div_fixup_f64 v[101:102], v[101:102], v[99:100], v[97:98]
	v_fma_f64 v[97:98], v[97:98], v[101:102], v[99:100]
	v_div_scale_f64 v[99:100], s[6:7], v[97:98], v[97:98], 1.0
	v_div_scale_f64 v[107:108], vcc, 1.0, v[97:98], 1.0
	v_rcp_f64_e32 v[103:104], v[99:100]
	v_fma_f64 v[105:106], -v[99:100], v[103:104], 1.0
	v_fma_f64 v[103:104], v[103:104], v[105:106], v[103:104]
	v_fma_f64 v[105:106], -v[99:100], v[103:104], 1.0
	v_fma_f64 v[103:104], v[103:104], v[105:106], v[103:104]
	v_mul_f64 v[105:106], v[107:108], v[103:104]
	v_fma_f64 v[99:100], -v[99:100], v[105:106], v[107:108]
	v_div_fmas_f64 v[99:100], v[99:100], v[103:104], v[105:106]
	v_div_fixup_f64 v[103:104], v[99:100], v[97:98], 1.0
                                        ; implicit-def: $vgpr97_vgpr98
	v_mul_f64 v[101:102], v[101:102], v[103:104]
	v_xor_b32_e32 v104, 0x80000000, v104
.LBB91_86:
	s_andn2_saveexec_b64 s[2:3], s[2:3]
	s_cbranch_execz .LBB91_88
; %bb.87:
	v_div_scale_f64 v[101:102], s[6:7], v[97:98], v[97:98], v[99:100]
	v_rcp_f64_e32 v[103:104], v[101:102]
	v_fma_f64 v[105:106], -v[101:102], v[103:104], 1.0
	v_fma_f64 v[103:104], v[103:104], v[105:106], v[103:104]
	v_div_scale_f64 v[105:106], vcc, v[99:100], v[97:98], v[99:100]
	v_fma_f64 v[107:108], -v[101:102], v[103:104], 1.0
	v_fma_f64 v[103:104], v[103:104], v[107:108], v[103:104]
	v_mul_f64 v[107:108], v[105:106], v[103:104]
	v_fma_f64 v[101:102], -v[101:102], v[107:108], v[105:106]
	v_div_fmas_f64 v[101:102], v[101:102], v[103:104], v[107:108]
	v_div_fixup_f64 v[103:104], v[101:102], v[97:98], v[99:100]
	v_fma_f64 v[97:98], v[99:100], v[103:104], v[97:98]
	v_div_scale_f64 v[99:100], s[6:7], v[97:98], v[97:98], 1.0
	v_div_scale_f64 v[107:108], vcc, 1.0, v[97:98], 1.0
	v_rcp_f64_e32 v[101:102], v[99:100]
	v_fma_f64 v[105:106], -v[99:100], v[101:102], 1.0
	v_fma_f64 v[101:102], v[101:102], v[105:106], v[101:102]
	v_fma_f64 v[105:106], -v[99:100], v[101:102], 1.0
	v_fma_f64 v[101:102], v[101:102], v[105:106], v[101:102]
	v_mul_f64 v[105:106], v[107:108], v[101:102]
	v_fma_f64 v[99:100], -v[99:100], v[105:106], v[107:108]
	v_div_fmas_f64 v[99:100], v[99:100], v[101:102], v[105:106]
	v_div_fixup_f64 v[101:102], v[99:100], v[97:98], 1.0
	v_mul_f64 v[103:104], v[103:104], -v[101:102]
.LBB91_88:
	s_or_b64 exec, exec, s[2:3]
	ds_write2_b64 v127, v[101:102], v[103:104] offset1:1
.LBB91_89:
	s_or_b64 exec, exec, s[4:5]
	s_waitcnt lgkmcnt(0)
	s_barrier
	ds_read2_b64 v[69:72], v127 offset1:1
	v_cmp_lt_u32_e32 vcc, 9, v0
	s_waitcnt lgkmcnt(0)
	buffer_store_dword v69, off, s[20:23], 0 offset:872 ; 4-byte Folded Spill
	s_nop 0
	buffer_store_dword v70, off, s[20:23], 0 offset:876 ; 4-byte Folded Spill
	buffer_store_dword v71, off, s[20:23], 0 offset:880 ; 4-byte Folded Spill
	buffer_store_dword v72, off, s[20:23], 0 offset:884 ; 4-byte Folded Spill
	s_and_saveexec_b64 s[2:3], vcc
	s_cbranch_execz .LBB91_91
; %bb.90:
	buffer_load_dword v103, off, s[20:23], 0 offset:208 ; 4-byte Folded Reload
	buffer_load_dword v104, off, s[20:23], 0 offset:212 ; 4-byte Folded Reload
	buffer_load_dword v105, off, s[20:23], 0 offset:216 ; 4-byte Folded Reload
	buffer_load_dword v106, off, s[20:23], 0 offset:220 ; 4-byte Folded Reload
	buffer_load_dword v69, off, s[20:23], 0 offset:872 ; 4-byte Folded Reload
	buffer_load_dword v70, off, s[20:23], 0 offset:876 ; 4-byte Folded Reload
	buffer_load_dword v71, off, s[20:23], 0 offset:880 ; 4-byte Folded Reload
	buffer_load_dword v72, off, s[20:23], 0 offset:884 ; 4-byte Folded Reload
	s_waitcnt vmcnt(2)
	v_mul_f64 v[99:100], v[69:70], v[105:106]
	s_waitcnt vmcnt(0)
	v_mul_f64 v[97:98], v[71:72], v[105:106]
	v_fma_f64 v[105:106], v[71:72], v[103:104], v[99:100]
	ds_read2_b64 v[99:102], v125 offset0:20 offset1:21
	v_fma_f64 v[97:98], v[69:70], v[103:104], -v[97:98]
	buffer_load_dword v69, off, s[20:23], 0 offset:192 ; 4-byte Folded Reload
	buffer_load_dword v70, off, s[20:23], 0 offset:196 ; 4-byte Folded Reload
	buffer_load_dword v71, off, s[20:23], 0 offset:200 ; 4-byte Folded Reload
	buffer_load_dword v72, off, s[20:23], 0 offset:204 ; 4-byte Folded Reload
	s_waitcnt lgkmcnt(0)
	v_mul_f64 v[103:104], v[101:102], v[105:106]
	v_fma_f64 v[103:104], v[99:100], v[97:98], -v[103:104]
	v_mul_f64 v[99:100], v[99:100], v[105:106]
	v_fma_f64 v[99:100], v[101:102], v[97:98], v[99:100]
	s_waitcnt vmcnt(2)
	v_add_f64 v[69:70], v[69:70], -v[103:104]
	s_waitcnt vmcnt(0)
	v_add_f64 v[71:72], v[71:72], -v[99:100]
	buffer_store_dword v69, off, s[20:23], 0 offset:192 ; 4-byte Folded Spill
	s_nop 0
	buffer_store_dword v70, off, s[20:23], 0 offset:196 ; 4-byte Folded Spill
	buffer_store_dword v71, off, s[20:23], 0 offset:200 ; 4-byte Folded Spill
	buffer_store_dword v72, off, s[20:23], 0 offset:204 ; 4-byte Folded Spill
	ds_read2_b64 v[99:102], v125 offset0:22 offset1:23
	buffer_load_dword v69, off, s[20:23], 0 offset:176 ; 4-byte Folded Reload
	buffer_load_dword v70, off, s[20:23], 0 offset:180 ; 4-byte Folded Reload
	buffer_load_dword v71, off, s[20:23], 0 offset:184 ; 4-byte Folded Reload
	buffer_load_dword v72, off, s[20:23], 0 offset:188 ; 4-byte Folded Reload
	s_waitcnt lgkmcnt(0)
	v_mul_f64 v[103:104], v[101:102], v[105:106]
	v_fma_f64 v[103:104], v[99:100], v[97:98], -v[103:104]
	v_mul_f64 v[99:100], v[99:100], v[105:106]
	v_fma_f64 v[99:100], v[101:102], v[97:98], v[99:100]
	s_waitcnt vmcnt(2)
	v_add_f64 v[69:70], v[69:70], -v[103:104]
	s_waitcnt vmcnt(0)
	v_add_f64 v[71:72], v[71:72], -v[99:100]
	buffer_store_dword v69, off, s[20:23], 0 offset:176 ; 4-byte Folded Spill
	s_nop 0
	buffer_store_dword v70, off, s[20:23], 0 offset:180 ; 4-byte Folded Spill
	buffer_store_dword v71, off, s[20:23], 0 offset:184 ; 4-byte Folded Spill
	buffer_store_dword v72, off, s[20:23], 0 offset:188 ; 4-byte Folded Spill
	ds_read2_b64 v[99:102], v125 offset0:24 offset1:25
	buffer_load_dword v69, off, s[20:23], 0 offset:160 ; 4-byte Folded Reload
	buffer_load_dword v70, off, s[20:23], 0 offset:164 ; 4-byte Folded Reload
	buffer_load_dword v71, off, s[20:23], 0 offset:168 ; 4-byte Folded Reload
	buffer_load_dword v72, off, s[20:23], 0 offset:172 ; 4-byte Folded Reload
	s_waitcnt lgkmcnt(0)
	v_mul_f64 v[103:104], v[101:102], v[105:106]
	v_fma_f64 v[103:104], v[99:100], v[97:98], -v[103:104]
	v_mul_f64 v[99:100], v[99:100], v[105:106]
	v_fma_f64 v[99:100], v[101:102], v[97:98], v[99:100]
	s_waitcnt vmcnt(2)
	v_add_f64 v[69:70], v[69:70], -v[103:104]
	s_waitcnt vmcnt(0)
	v_add_f64 v[71:72], v[71:72], -v[99:100]
	buffer_store_dword v69, off, s[20:23], 0 offset:160 ; 4-byte Folded Spill
	s_nop 0
	buffer_store_dword v70, off, s[20:23], 0 offset:164 ; 4-byte Folded Spill
	buffer_store_dword v71, off, s[20:23], 0 offset:168 ; 4-byte Folded Spill
	buffer_store_dword v72, off, s[20:23], 0 offset:172 ; 4-byte Folded Spill
	ds_read2_b64 v[99:102], v125 offset0:26 offset1:27
	buffer_load_dword v69, off, s[20:23], 0 offset:144 ; 4-byte Folded Reload
	buffer_load_dword v70, off, s[20:23], 0 offset:148 ; 4-byte Folded Reload
	buffer_load_dword v71, off, s[20:23], 0 offset:152 ; 4-byte Folded Reload
	buffer_load_dword v72, off, s[20:23], 0 offset:156 ; 4-byte Folded Reload
	s_waitcnt lgkmcnt(0)
	v_mul_f64 v[103:104], v[101:102], v[105:106]
	v_fma_f64 v[103:104], v[99:100], v[97:98], -v[103:104]
	v_mul_f64 v[99:100], v[99:100], v[105:106]
	v_fma_f64 v[99:100], v[101:102], v[97:98], v[99:100]
	s_waitcnt vmcnt(2)
	v_add_f64 v[69:70], v[69:70], -v[103:104]
	s_waitcnt vmcnt(0)
	v_add_f64 v[71:72], v[71:72], -v[99:100]
	buffer_store_dword v69, off, s[20:23], 0 offset:144 ; 4-byte Folded Spill
	s_nop 0
	buffer_store_dword v70, off, s[20:23], 0 offset:148 ; 4-byte Folded Spill
	buffer_store_dword v71, off, s[20:23], 0 offset:152 ; 4-byte Folded Spill
	buffer_store_dword v72, off, s[20:23], 0 offset:156 ; 4-byte Folded Spill
	ds_read2_b64 v[99:102], v125 offset0:28 offset1:29
	buffer_load_dword v69, off, s[20:23], 0 offset:128 ; 4-byte Folded Reload
	buffer_load_dword v70, off, s[20:23], 0 offset:132 ; 4-byte Folded Reload
	buffer_load_dword v71, off, s[20:23], 0 offset:136 ; 4-byte Folded Reload
	buffer_load_dword v72, off, s[20:23], 0 offset:140 ; 4-byte Folded Reload
	s_waitcnt lgkmcnt(0)
	v_mul_f64 v[103:104], v[101:102], v[105:106]
	v_fma_f64 v[103:104], v[99:100], v[97:98], -v[103:104]
	v_mul_f64 v[99:100], v[99:100], v[105:106]
	v_fma_f64 v[99:100], v[101:102], v[97:98], v[99:100]
	s_waitcnt vmcnt(2)
	v_add_f64 v[69:70], v[69:70], -v[103:104]
	s_waitcnt vmcnt(0)
	v_add_f64 v[71:72], v[71:72], -v[99:100]
	buffer_store_dword v69, off, s[20:23], 0 offset:128 ; 4-byte Folded Spill
	s_nop 0
	buffer_store_dword v70, off, s[20:23], 0 offset:132 ; 4-byte Folded Spill
	buffer_store_dword v71, off, s[20:23], 0 offset:136 ; 4-byte Folded Spill
	buffer_store_dword v72, off, s[20:23], 0 offset:140 ; 4-byte Folded Spill
	ds_read2_b64 v[99:102], v125 offset0:30 offset1:31
	buffer_load_dword v69, off, s[20:23], 0 offset:112 ; 4-byte Folded Reload
	buffer_load_dword v70, off, s[20:23], 0 offset:116 ; 4-byte Folded Reload
	buffer_load_dword v71, off, s[20:23], 0 offset:120 ; 4-byte Folded Reload
	buffer_load_dword v72, off, s[20:23], 0 offset:124 ; 4-byte Folded Reload
	s_waitcnt lgkmcnt(0)
	v_mul_f64 v[103:104], v[101:102], v[105:106]
	v_fma_f64 v[103:104], v[99:100], v[97:98], -v[103:104]
	v_mul_f64 v[99:100], v[99:100], v[105:106]
	v_fma_f64 v[99:100], v[101:102], v[97:98], v[99:100]
	s_waitcnt vmcnt(2)
	v_add_f64 v[69:70], v[69:70], -v[103:104]
	s_waitcnt vmcnt(0)
	v_add_f64 v[71:72], v[71:72], -v[99:100]
	buffer_store_dword v69, off, s[20:23], 0 offset:112 ; 4-byte Folded Spill
	s_nop 0
	buffer_store_dword v70, off, s[20:23], 0 offset:116 ; 4-byte Folded Spill
	buffer_store_dword v71, off, s[20:23], 0 offset:120 ; 4-byte Folded Spill
	buffer_store_dword v72, off, s[20:23], 0 offset:124 ; 4-byte Folded Spill
	ds_read2_b64 v[99:102], v125 offset0:32 offset1:33
	buffer_load_dword v69, off, s[20:23], 0 offset:96 ; 4-byte Folded Reload
	buffer_load_dword v70, off, s[20:23], 0 offset:100 ; 4-byte Folded Reload
	buffer_load_dword v71, off, s[20:23], 0 offset:104 ; 4-byte Folded Reload
	buffer_load_dword v72, off, s[20:23], 0 offset:108 ; 4-byte Folded Reload
	s_waitcnt lgkmcnt(0)
	v_mul_f64 v[103:104], v[101:102], v[105:106]
	v_fma_f64 v[103:104], v[99:100], v[97:98], -v[103:104]
	v_mul_f64 v[99:100], v[99:100], v[105:106]
	v_fma_f64 v[99:100], v[101:102], v[97:98], v[99:100]
	s_waitcnt vmcnt(2)
	v_add_f64 v[69:70], v[69:70], -v[103:104]
	s_waitcnt vmcnt(0)
	v_add_f64 v[71:72], v[71:72], -v[99:100]
	buffer_store_dword v69, off, s[20:23], 0 offset:96 ; 4-byte Folded Spill
	s_nop 0
	buffer_store_dword v70, off, s[20:23], 0 offset:100 ; 4-byte Folded Spill
	buffer_store_dword v71, off, s[20:23], 0 offset:104 ; 4-byte Folded Spill
	buffer_store_dword v72, off, s[20:23], 0 offset:108 ; 4-byte Folded Spill
	ds_read2_b64 v[99:102], v125 offset0:34 offset1:35
	buffer_load_dword v69, off, s[20:23], 0 offset:80 ; 4-byte Folded Reload
	buffer_load_dword v70, off, s[20:23], 0 offset:84 ; 4-byte Folded Reload
	buffer_load_dword v71, off, s[20:23], 0 offset:88 ; 4-byte Folded Reload
	buffer_load_dword v72, off, s[20:23], 0 offset:92 ; 4-byte Folded Reload
	s_waitcnt lgkmcnt(0)
	v_mul_f64 v[103:104], v[101:102], v[105:106]
	v_fma_f64 v[103:104], v[99:100], v[97:98], -v[103:104]
	v_mul_f64 v[99:100], v[99:100], v[105:106]
	v_fma_f64 v[99:100], v[101:102], v[97:98], v[99:100]
	s_waitcnt vmcnt(2)
	v_add_f64 v[69:70], v[69:70], -v[103:104]
	s_waitcnt vmcnt(0)
	v_add_f64 v[71:72], v[71:72], -v[99:100]
	buffer_store_dword v69, off, s[20:23], 0 offset:80 ; 4-byte Folded Spill
	s_nop 0
	buffer_store_dword v70, off, s[20:23], 0 offset:84 ; 4-byte Folded Spill
	buffer_store_dword v71, off, s[20:23], 0 offset:88 ; 4-byte Folded Spill
	buffer_store_dword v72, off, s[20:23], 0 offset:92 ; 4-byte Folded Spill
	ds_read2_b64 v[99:102], v125 offset0:36 offset1:37
	buffer_load_dword v69, off, s[20:23], 0 offset:64 ; 4-byte Folded Reload
	buffer_load_dword v70, off, s[20:23], 0 offset:68 ; 4-byte Folded Reload
	buffer_load_dword v71, off, s[20:23], 0 offset:72 ; 4-byte Folded Reload
	buffer_load_dword v72, off, s[20:23], 0 offset:76 ; 4-byte Folded Reload
	s_waitcnt lgkmcnt(0)
	v_mul_f64 v[103:104], v[101:102], v[105:106]
	v_fma_f64 v[103:104], v[99:100], v[97:98], -v[103:104]
	v_mul_f64 v[99:100], v[99:100], v[105:106]
	v_fma_f64 v[99:100], v[101:102], v[97:98], v[99:100]
	s_waitcnt vmcnt(2)
	v_add_f64 v[69:70], v[69:70], -v[103:104]
	s_waitcnt vmcnt(0)
	v_add_f64 v[71:72], v[71:72], -v[99:100]
	buffer_store_dword v69, off, s[20:23], 0 offset:64 ; 4-byte Folded Spill
	s_nop 0
	buffer_store_dword v70, off, s[20:23], 0 offset:68 ; 4-byte Folded Spill
	buffer_store_dword v71, off, s[20:23], 0 offset:72 ; 4-byte Folded Spill
	buffer_store_dword v72, off, s[20:23], 0 offset:76 ; 4-byte Folded Spill
	ds_read2_b64 v[99:102], v125 offset0:38 offset1:39
	buffer_load_dword v69, off, s[20:23], 0 offset:48 ; 4-byte Folded Reload
	buffer_load_dword v70, off, s[20:23], 0 offset:52 ; 4-byte Folded Reload
	buffer_load_dword v71, off, s[20:23], 0 offset:56 ; 4-byte Folded Reload
	buffer_load_dword v72, off, s[20:23], 0 offset:60 ; 4-byte Folded Reload
	s_waitcnt lgkmcnt(0)
	v_mul_f64 v[103:104], v[101:102], v[105:106]
	v_fma_f64 v[103:104], v[99:100], v[97:98], -v[103:104]
	v_mul_f64 v[99:100], v[99:100], v[105:106]
	v_fma_f64 v[99:100], v[101:102], v[97:98], v[99:100]
	s_waitcnt vmcnt(2)
	v_add_f64 v[69:70], v[69:70], -v[103:104]
	s_waitcnt vmcnt(0)
	v_add_f64 v[71:72], v[71:72], -v[99:100]
	buffer_store_dword v69, off, s[20:23], 0 offset:48 ; 4-byte Folded Spill
	s_nop 0
	buffer_store_dword v70, off, s[20:23], 0 offset:52 ; 4-byte Folded Spill
	buffer_store_dword v71, off, s[20:23], 0 offset:56 ; 4-byte Folded Spill
	buffer_store_dword v72, off, s[20:23], 0 offset:60 ; 4-byte Folded Spill
	ds_read2_b64 v[99:102], v125 offset0:40 offset1:41
	v_mov_b32_e32 v69, v73
	v_mov_b32_e32 v70, v74
	;; [unrolled: 1-line block ×4, first 2 shown]
	s_waitcnt lgkmcnt(0)
	v_mul_f64 v[103:104], v[101:102], v[105:106]
	v_fma_f64 v[103:104], v[99:100], v[97:98], -v[103:104]
	v_mul_f64 v[99:100], v[99:100], v[105:106]
	v_add_f64 v[117:118], v[117:118], -v[103:104]
	v_fma_f64 v[99:100], v[101:102], v[97:98], v[99:100]
	v_add_f64 v[119:120], v[119:120], -v[99:100]
	ds_read2_b64 v[99:102], v125 offset0:42 offset1:43
	s_waitcnt lgkmcnt(0)
	v_mul_f64 v[103:104], v[101:102], v[105:106]
	v_fma_f64 v[103:104], v[99:100], v[97:98], -v[103:104]
	v_mul_f64 v[99:100], v[99:100], v[105:106]
	v_add_f64 v[121:122], v[121:122], -v[103:104]
	v_fma_f64 v[99:100], v[101:102], v[97:98], v[99:100]
	v_add_f64 v[123:124], v[123:124], -v[99:100]
	ds_read2_b64 v[99:102], v125 offset0:44 offset1:45
	;; [unrolled: 8-line block ×5, first 2 shown]
	buffer_load_dword v77, off, s[20:23], 0 offset:32 ; 4-byte Folded Reload
	buffer_load_dword v78, off, s[20:23], 0 offset:36 ; 4-byte Folded Reload
	buffer_load_dword v79, off, s[20:23], 0 offset:40 ; 4-byte Folded Reload
	buffer_load_dword v80, off, s[20:23], 0 offset:44 ; 4-byte Folded Reload
	s_waitcnt lgkmcnt(0)
	v_mul_f64 v[103:104], v[101:102], v[105:106]
	v_fma_f64 v[103:104], v[99:100], v[97:98], -v[103:104]
	v_mul_f64 v[99:100], v[99:100], v[105:106]
	v_fma_f64 v[99:100], v[101:102], v[97:98], v[99:100]
	s_waitcnt vmcnt(2)
	v_add_f64 v[77:78], v[77:78], -v[103:104]
	s_waitcnt vmcnt(0)
	v_add_f64 v[79:80], v[79:80], -v[99:100]
	buffer_store_dword v77, off, s[20:23], 0 offset:32 ; 4-byte Folded Spill
	s_nop 0
	buffer_store_dword v78, off, s[20:23], 0 offset:36 ; 4-byte Folded Spill
	buffer_store_dword v79, off, s[20:23], 0 offset:40 ; 4-byte Folded Spill
	;; [unrolled: 1-line block ×3, first 2 shown]
	ds_read2_b64 v[99:102], v125 offset0:52 offset1:53
	buffer_load_dword v73, off, s[20:23], 0 offset:16 ; 4-byte Folded Reload
	buffer_load_dword v74, off, s[20:23], 0 offset:20 ; 4-byte Folded Reload
	;; [unrolled: 1-line block ×4, first 2 shown]
	s_waitcnt lgkmcnt(0)
	v_mul_f64 v[103:104], v[101:102], v[105:106]
	v_fma_f64 v[103:104], v[99:100], v[97:98], -v[103:104]
	v_mul_f64 v[99:100], v[99:100], v[105:106]
	v_fma_f64 v[99:100], v[101:102], v[97:98], v[99:100]
	s_waitcnt vmcnt(2)
	v_add_f64 v[73:74], v[73:74], -v[103:104]
	s_waitcnt vmcnt(0)
	v_add_f64 v[75:76], v[75:76], -v[99:100]
	buffer_store_dword v73, off, s[20:23], 0 offset:16 ; 4-byte Folded Spill
	s_nop 0
	buffer_store_dword v74, off, s[20:23], 0 offset:20 ; 4-byte Folded Spill
	buffer_store_dword v75, off, s[20:23], 0 offset:24 ; 4-byte Folded Spill
	buffer_store_dword v76, off, s[20:23], 0 offset:28 ; 4-byte Folded Spill
	v_mov_b32_e32 v76, v72
	v_mov_b32_e32 v75, v71
	;; [unrolled: 1-line block ×4, first 2 shown]
	ds_read2_b64 v[99:102], v125 offset0:54 offset1:55
	buffer_load_dword v69, off, s[20:23], 0 ; 4-byte Folded Reload
	buffer_load_dword v70, off, s[20:23], 0 offset:4 ; 4-byte Folded Reload
	buffer_load_dword v71, off, s[20:23], 0 offset:8 ; 4-byte Folded Reload
	;; [unrolled: 1-line block ×3, first 2 shown]
	s_waitcnt lgkmcnt(0)
	v_mul_f64 v[103:104], v[101:102], v[105:106]
	v_fma_f64 v[103:104], v[99:100], v[97:98], -v[103:104]
	v_mul_f64 v[99:100], v[99:100], v[105:106]
	v_fma_f64 v[99:100], v[101:102], v[97:98], v[99:100]
	s_waitcnt vmcnt(2)
	v_add_f64 v[69:70], v[69:70], -v[103:104]
	s_waitcnt vmcnt(0)
	v_add_f64 v[71:72], v[71:72], -v[99:100]
	buffer_store_dword v69, off, s[20:23], 0 ; 4-byte Folded Spill
	s_nop 0
	buffer_store_dword v70, off, s[20:23], 0 offset:4 ; 4-byte Folded Spill
	buffer_store_dword v71, off, s[20:23], 0 offset:8 ; 4-byte Folded Spill
	;; [unrolled: 1-line block ×3, first 2 shown]
	ds_read2_b64 v[99:102], v125 offset0:56 offset1:57
	s_waitcnt lgkmcnt(0)
	v_mul_f64 v[103:104], v[101:102], v[105:106]
	v_fma_f64 v[103:104], v[99:100], v[97:98], -v[103:104]
	v_mul_f64 v[99:100], v[99:100], v[105:106]
	v_add_f64 v[65:66], v[65:66], -v[103:104]
	v_fma_f64 v[99:100], v[101:102], v[97:98], v[99:100]
	v_add_f64 v[67:68], v[67:68], -v[99:100]
	ds_read2_b64 v[99:102], v125 offset0:58 offset1:59
	s_waitcnt lgkmcnt(0)
	v_mul_f64 v[103:104], v[101:102], v[105:106]
	v_fma_f64 v[103:104], v[99:100], v[97:98], -v[103:104]
	v_mul_f64 v[99:100], v[99:100], v[105:106]
	v_add_f64 v[61:62], v[61:62], -v[103:104]
	v_fma_f64 v[99:100], v[101:102], v[97:98], v[99:100]
	v_add_f64 v[63:64], v[63:64], -v[99:100]
	;; [unrolled: 8-line block ×17, first 2 shown]
	ds_read2_b64 v[99:102], v125 offset0:90 offset1:91
	s_waitcnt lgkmcnt(0)
	v_mul_f64 v[103:104], v[101:102], v[105:106]
	v_fma_f64 v[103:104], v[99:100], v[97:98], -v[103:104]
	v_mul_f64 v[99:100], v[99:100], v[105:106]
	v_add_f64 v[73:74], v[73:74], -v[103:104]
	v_fma_f64 v[99:100], v[101:102], v[97:98], v[99:100]
	v_mov_b32_e32 v104, v98
	v_mov_b32_e32 v103, v97
	buffer_store_dword v103, off, s[20:23], 0 offset:208 ; 4-byte Folded Spill
	s_nop 0
	buffer_store_dword v104, off, s[20:23], 0 offset:212 ; 4-byte Folded Spill
	buffer_store_dword v105, off, s[20:23], 0 offset:216 ; 4-byte Folded Spill
	;; [unrolled: 1-line block ×3, first 2 shown]
	v_add_f64 v[75:76], v[75:76], -v[99:100]
.LBB91_91:
	s_or_b64 exec, exec, s[2:3]
	v_cmp_eq_u32_e32 vcc, 10, v0
	s_waitcnt vmcnt(0)
	s_barrier
	s_and_saveexec_b64 s[4:5], vcc
	s_cbranch_execz .LBB91_98
; %bb.92:
	buffer_load_dword v69, off, s[20:23], 0 offset:192 ; 4-byte Folded Reload
	buffer_load_dword v70, off, s[20:23], 0 offset:196 ; 4-byte Folded Reload
	;; [unrolled: 1-line block ×4, first 2 shown]
	s_waitcnt vmcnt(0)
	ds_write2_b64 v127, v[69:70], v[71:72] offset1:1
	buffer_load_dword v69, off, s[20:23], 0 offset:176 ; 4-byte Folded Reload
	buffer_load_dword v70, off, s[20:23], 0 offset:180 ; 4-byte Folded Reload
	buffer_load_dword v71, off, s[20:23], 0 offset:184 ; 4-byte Folded Reload
	buffer_load_dword v72, off, s[20:23], 0 offset:188 ; 4-byte Folded Reload
	s_waitcnt vmcnt(0)
	ds_write2_b64 v125, v[69:70], v[71:72] offset0:22 offset1:23
	buffer_load_dword v69, off, s[20:23], 0 offset:160 ; 4-byte Folded Reload
	buffer_load_dword v70, off, s[20:23], 0 offset:164 ; 4-byte Folded Reload
	buffer_load_dword v71, off, s[20:23], 0 offset:168 ; 4-byte Folded Reload
	buffer_load_dword v72, off, s[20:23], 0 offset:172 ; 4-byte Folded Reload
	s_waitcnt vmcnt(0)
	ds_write2_b64 v125, v[69:70], v[71:72] offset0:24 offset1:25
	;; [unrolled: 6-line block ×9, first 2 shown]
	ds_write2_b64 v125, v[117:118], v[119:120] offset0:40 offset1:41
	ds_write2_b64 v125, v[121:122], v[123:124] offset0:42 offset1:43
	;; [unrolled: 1-line block ×5, first 2 shown]
	buffer_load_dword v77, off, s[20:23], 0 offset:32 ; 4-byte Folded Reload
	buffer_load_dword v78, off, s[20:23], 0 offset:36 ; 4-byte Folded Reload
	;; [unrolled: 1-line block ×4, first 2 shown]
	v_mov_b32_e32 v69, v73
	v_mov_b32_e32 v70, v74
	;; [unrolled: 1-line block ×4, first 2 shown]
	s_waitcnt vmcnt(0)
	ds_write2_b64 v125, v[77:78], v[79:80] offset0:50 offset1:51
	buffer_load_dword v73, off, s[20:23], 0 offset:16 ; 4-byte Folded Reload
	buffer_load_dword v74, off, s[20:23], 0 offset:20 ; 4-byte Folded Reload
	;; [unrolled: 1-line block ×4, first 2 shown]
	s_waitcnt vmcnt(0)
	ds_write2_b64 v125, v[73:74], v[75:76] offset0:52 offset1:53
	v_mov_b32_e32 v76, v72
	v_mov_b32_e32 v75, v71
	;; [unrolled: 1-line block ×4, first 2 shown]
	buffer_load_dword v69, off, s[20:23], 0 ; 4-byte Folded Reload
	buffer_load_dword v70, off, s[20:23], 0 offset:4 ; 4-byte Folded Reload
	buffer_load_dword v71, off, s[20:23], 0 offset:8 ; 4-byte Folded Reload
	;; [unrolled: 1-line block ×3, first 2 shown]
	s_waitcnt vmcnt(0)
	ds_write2_b64 v125, v[69:70], v[71:72] offset0:54 offset1:55
	ds_write2_b64 v125, v[65:66], v[67:68] offset0:56 offset1:57
	;; [unrolled: 1-line block ×19, first 2 shown]
	ds_read2_b64 v[97:100], v127 offset1:1
	s_waitcnt lgkmcnt(0)
	v_cmp_neq_f64_e32 vcc, 0, v[97:98]
	v_cmp_neq_f64_e64 s[2:3], 0, v[99:100]
	s_or_b64 s[2:3], vcc, s[2:3]
	s_and_b64 exec, exec, s[2:3]
	s_cbranch_execz .LBB91_98
; %bb.93:
	v_cmp_ngt_f64_e64 s[2:3], |v[97:98]|, |v[99:100]|
                                        ; implicit-def: $vgpr101_vgpr102
	s_and_saveexec_b64 s[6:7], s[2:3]
	s_xor_b64 s[2:3], exec, s[6:7]
                                        ; implicit-def: $vgpr103_vgpr104
	s_cbranch_execz .LBB91_95
; %bb.94:
	v_div_scale_f64 v[101:102], s[6:7], v[99:100], v[99:100], v[97:98]
	v_rcp_f64_e32 v[103:104], v[101:102]
	v_fma_f64 v[105:106], -v[101:102], v[103:104], 1.0
	v_fma_f64 v[103:104], v[103:104], v[105:106], v[103:104]
	v_div_scale_f64 v[105:106], vcc, v[97:98], v[99:100], v[97:98]
	v_fma_f64 v[107:108], -v[101:102], v[103:104], 1.0
	v_fma_f64 v[103:104], v[103:104], v[107:108], v[103:104]
	v_mul_f64 v[107:108], v[105:106], v[103:104]
	v_fma_f64 v[101:102], -v[101:102], v[107:108], v[105:106]
	v_div_fmas_f64 v[101:102], v[101:102], v[103:104], v[107:108]
	v_div_fixup_f64 v[101:102], v[101:102], v[99:100], v[97:98]
	v_fma_f64 v[97:98], v[97:98], v[101:102], v[99:100]
	v_div_scale_f64 v[99:100], s[6:7], v[97:98], v[97:98], 1.0
	v_div_scale_f64 v[107:108], vcc, 1.0, v[97:98], 1.0
	v_rcp_f64_e32 v[103:104], v[99:100]
	v_fma_f64 v[105:106], -v[99:100], v[103:104], 1.0
	v_fma_f64 v[103:104], v[103:104], v[105:106], v[103:104]
	v_fma_f64 v[105:106], -v[99:100], v[103:104], 1.0
	v_fma_f64 v[103:104], v[103:104], v[105:106], v[103:104]
	v_mul_f64 v[105:106], v[107:108], v[103:104]
	v_fma_f64 v[99:100], -v[99:100], v[105:106], v[107:108]
	v_div_fmas_f64 v[99:100], v[99:100], v[103:104], v[105:106]
	v_div_fixup_f64 v[103:104], v[99:100], v[97:98], 1.0
                                        ; implicit-def: $vgpr97_vgpr98
	v_mul_f64 v[101:102], v[101:102], v[103:104]
	v_xor_b32_e32 v104, 0x80000000, v104
.LBB91_95:
	s_andn2_saveexec_b64 s[2:3], s[2:3]
	s_cbranch_execz .LBB91_97
; %bb.96:
	v_div_scale_f64 v[101:102], s[6:7], v[97:98], v[97:98], v[99:100]
	v_rcp_f64_e32 v[103:104], v[101:102]
	v_fma_f64 v[105:106], -v[101:102], v[103:104], 1.0
	v_fma_f64 v[103:104], v[103:104], v[105:106], v[103:104]
	v_div_scale_f64 v[105:106], vcc, v[99:100], v[97:98], v[99:100]
	v_fma_f64 v[107:108], -v[101:102], v[103:104], 1.0
	v_fma_f64 v[103:104], v[103:104], v[107:108], v[103:104]
	v_mul_f64 v[107:108], v[105:106], v[103:104]
	v_fma_f64 v[101:102], -v[101:102], v[107:108], v[105:106]
	v_div_fmas_f64 v[101:102], v[101:102], v[103:104], v[107:108]
	v_div_fixup_f64 v[103:104], v[101:102], v[97:98], v[99:100]
	v_fma_f64 v[97:98], v[99:100], v[103:104], v[97:98]
	v_div_scale_f64 v[99:100], s[6:7], v[97:98], v[97:98], 1.0
	v_div_scale_f64 v[107:108], vcc, 1.0, v[97:98], 1.0
	v_rcp_f64_e32 v[101:102], v[99:100]
	v_fma_f64 v[105:106], -v[99:100], v[101:102], 1.0
	v_fma_f64 v[101:102], v[101:102], v[105:106], v[101:102]
	v_fma_f64 v[105:106], -v[99:100], v[101:102], 1.0
	v_fma_f64 v[101:102], v[101:102], v[105:106], v[101:102]
	v_mul_f64 v[105:106], v[107:108], v[101:102]
	v_fma_f64 v[99:100], -v[99:100], v[105:106], v[107:108]
	v_div_fmas_f64 v[99:100], v[99:100], v[101:102], v[105:106]
	v_div_fixup_f64 v[101:102], v[99:100], v[97:98], 1.0
	v_mul_f64 v[103:104], v[103:104], -v[101:102]
.LBB91_97:
	s_or_b64 exec, exec, s[2:3]
	ds_write2_b64 v127, v[101:102], v[103:104] offset1:1
.LBB91_98:
	s_or_b64 exec, exec, s[4:5]
	s_waitcnt lgkmcnt(0)
	s_barrier
	ds_read2_b64 v[69:72], v127 offset1:1
	v_cmp_lt_u32_e32 vcc, 10, v0
	s_waitcnt lgkmcnt(0)
	buffer_store_dword v69, off, s[20:23], 0 offset:888 ; 4-byte Folded Spill
	s_nop 0
	buffer_store_dword v70, off, s[20:23], 0 offset:892 ; 4-byte Folded Spill
	buffer_store_dword v71, off, s[20:23], 0 offset:896 ; 4-byte Folded Spill
	;; [unrolled: 1-line block ×3, first 2 shown]
	s_and_saveexec_b64 s[2:3], vcc
	s_cbranch_execz .LBB91_100
; %bb.99:
	buffer_load_dword v103, off, s[20:23], 0 offset:192 ; 4-byte Folded Reload
	buffer_load_dword v104, off, s[20:23], 0 offset:196 ; 4-byte Folded Reload
	;; [unrolled: 1-line block ×8, first 2 shown]
	s_waitcnt vmcnt(2)
	v_mul_f64 v[99:100], v[69:70], v[105:106]
	s_waitcnt vmcnt(0)
	v_mul_f64 v[97:98], v[71:72], v[105:106]
	v_fma_f64 v[105:106], v[71:72], v[103:104], v[99:100]
	ds_read2_b64 v[99:102], v125 offset0:22 offset1:23
	v_fma_f64 v[97:98], v[69:70], v[103:104], -v[97:98]
	buffer_load_dword v69, off, s[20:23], 0 offset:176 ; 4-byte Folded Reload
	buffer_load_dword v70, off, s[20:23], 0 offset:180 ; 4-byte Folded Reload
	buffer_load_dword v71, off, s[20:23], 0 offset:184 ; 4-byte Folded Reload
	buffer_load_dword v72, off, s[20:23], 0 offset:188 ; 4-byte Folded Reload
	s_waitcnt lgkmcnt(0)
	v_mul_f64 v[103:104], v[101:102], v[105:106]
	v_fma_f64 v[103:104], v[99:100], v[97:98], -v[103:104]
	v_mul_f64 v[99:100], v[99:100], v[105:106]
	v_fma_f64 v[99:100], v[101:102], v[97:98], v[99:100]
	s_waitcnt vmcnt(2)
	v_add_f64 v[69:70], v[69:70], -v[103:104]
	s_waitcnt vmcnt(0)
	v_add_f64 v[71:72], v[71:72], -v[99:100]
	buffer_store_dword v69, off, s[20:23], 0 offset:176 ; 4-byte Folded Spill
	s_nop 0
	buffer_store_dword v70, off, s[20:23], 0 offset:180 ; 4-byte Folded Spill
	buffer_store_dword v71, off, s[20:23], 0 offset:184 ; 4-byte Folded Spill
	buffer_store_dword v72, off, s[20:23], 0 offset:188 ; 4-byte Folded Spill
	ds_read2_b64 v[99:102], v125 offset0:24 offset1:25
	buffer_load_dword v69, off, s[20:23], 0 offset:160 ; 4-byte Folded Reload
	buffer_load_dword v70, off, s[20:23], 0 offset:164 ; 4-byte Folded Reload
	buffer_load_dword v71, off, s[20:23], 0 offset:168 ; 4-byte Folded Reload
	buffer_load_dword v72, off, s[20:23], 0 offset:172 ; 4-byte Folded Reload
	s_waitcnt lgkmcnt(0)
	v_mul_f64 v[103:104], v[101:102], v[105:106]
	v_fma_f64 v[103:104], v[99:100], v[97:98], -v[103:104]
	v_mul_f64 v[99:100], v[99:100], v[105:106]
	v_fma_f64 v[99:100], v[101:102], v[97:98], v[99:100]
	s_waitcnt vmcnt(2)
	v_add_f64 v[69:70], v[69:70], -v[103:104]
	s_waitcnt vmcnt(0)
	v_add_f64 v[71:72], v[71:72], -v[99:100]
	buffer_store_dword v69, off, s[20:23], 0 offset:160 ; 4-byte Folded Spill
	s_nop 0
	buffer_store_dword v70, off, s[20:23], 0 offset:164 ; 4-byte Folded Spill
	buffer_store_dword v71, off, s[20:23], 0 offset:168 ; 4-byte Folded Spill
	buffer_store_dword v72, off, s[20:23], 0 offset:172 ; 4-byte Folded Spill
	ds_read2_b64 v[99:102], v125 offset0:26 offset1:27
	;; [unrolled: 19-line block ×9, first 2 shown]
	v_mov_b32_e32 v69, v73
	v_mov_b32_e32 v70, v74
	;; [unrolled: 1-line block ×4, first 2 shown]
	s_waitcnt lgkmcnt(0)
	v_mul_f64 v[103:104], v[101:102], v[105:106]
	v_fma_f64 v[103:104], v[99:100], v[97:98], -v[103:104]
	v_mul_f64 v[99:100], v[99:100], v[105:106]
	v_add_f64 v[117:118], v[117:118], -v[103:104]
	v_fma_f64 v[99:100], v[101:102], v[97:98], v[99:100]
	v_add_f64 v[119:120], v[119:120], -v[99:100]
	ds_read2_b64 v[99:102], v125 offset0:42 offset1:43
	s_waitcnt lgkmcnt(0)
	v_mul_f64 v[103:104], v[101:102], v[105:106]
	v_fma_f64 v[103:104], v[99:100], v[97:98], -v[103:104]
	v_mul_f64 v[99:100], v[99:100], v[105:106]
	v_add_f64 v[121:122], v[121:122], -v[103:104]
	v_fma_f64 v[99:100], v[101:102], v[97:98], v[99:100]
	v_add_f64 v[123:124], v[123:124], -v[99:100]
	ds_read2_b64 v[99:102], v125 offset0:44 offset1:45
	;; [unrolled: 8-line block ×5, first 2 shown]
	buffer_load_dword v77, off, s[20:23], 0 offset:32 ; 4-byte Folded Reload
	buffer_load_dword v78, off, s[20:23], 0 offset:36 ; 4-byte Folded Reload
	;; [unrolled: 1-line block ×4, first 2 shown]
	s_waitcnt lgkmcnt(0)
	v_mul_f64 v[103:104], v[101:102], v[105:106]
	v_fma_f64 v[103:104], v[99:100], v[97:98], -v[103:104]
	v_mul_f64 v[99:100], v[99:100], v[105:106]
	v_fma_f64 v[99:100], v[101:102], v[97:98], v[99:100]
	s_waitcnt vmcnt(2)
	v_add_f64 v[77:78], v[77:78], -v[103:104]
	s_waitcnt vmcnt(0)
	v_add_f64 v[79:80], v[79:80], -v[99:100]
	buffer_store_dword v77, off, s[20:23], 0 offset:32 ; 4-byte Folded Spill
	s_nop 0
	buffer_store_dword v78, off, s[20:23], 0 offset:36 ; 4-byte Folded Spill
	buffer_store_dword v79, off, s[20:23], 0 offset:40 ; 4-byte Folded Spill
	;; [unrolled: 1-line block ×3, first 2 shown]
	ds_read2_b64 v[99:102], v125 offset0:52 offset1:53
	buffer_load_dword v73, off, s[20:23], 0 offset:16 ; 4-byte Folded Reload
	buffer_load_dword v74, off, s[20:23], 0 offset:20 ; 4-byte Folded Reload
	;; [unrolled: 1-line block ×4, first 2 shown]
	s_waitcnt lgkmcnt(0)
	v_mul_f64 v[103:104], v[101:102], v[105:106]
	v_fma_f64 v[103:104], v[99:100], v[97:98], -v[103:104]
	v_mul_f64 v[99:100], v[99:100], v[105:106]
	v_fma_f64 v[99:100], v[101:102], v[97:98], v[99:100]
	s_waitcnt vmcnt(2)
	v_add_f64 v[73:74], v[73:74], -v[103:104]
	s_waitcnt vmcnt(0)
	v_add_f64 v[75:76], v[75:76], -v[99:100]
	buffer_store_dword v73, off, s[20:23], 0 offset:16 ; 4-byte Folded Spill
	s_nop 0
	buffer_store_dword v74, off, s[20:23], 0 offset:20 ; 4-byte Folded Spill
	buffer_store_dword v75, off, s[20:23], 0 offset:24 ; 4-byte Folded Spill
	;; [unrolled: 1-line block ×3, first 2 shown]
	v_mov_b32_e32 v76, v72
	v_mov_b32_e32 v75, v71
	v_mov_b32_e32 v74, v70
	v_mov_b32_e32 v73, v69
	ds_read2_b64 v[99:102], v125 offset0:54 offset1:55
	buffer_load_dword v69, off, s[20:23], 0 ; 4-byte Folded Reload
	buffer_load_dword v70, off, s[20:23], 0 offset:4 ; 4-byte Folded Reload
	buffer_load_dword v71, off, s[20:23], 0 offset:8 ; 4-byte Folded Reload
	;; [unrolled: 1-line block ×3, first 2 shown]
	s_waitcnt lgkmcnt(0)
	v_mul_f64 v[103:104], v[101:102], v[105:106]
	v_fma_f64 v[103:104], v[99:100], v[97:98], -v[103:104]
	v_mul_f64 v[99:100], v[99:100], v[105:106]
	v_fma_f64 v[99:100], v[101:102], v[97:98], v[99:100]
	s_waitcnt vmcnt(2)
	v_add_f64 v[69:70], v[69:70], -v[103:104]
	s_waitcnt vmcnt(0)
	v_add_f64 v[71:72], v[71:72], -v[99:100]
	buffer_store_dword v69, off, s[20:23], 0 ; 4-byte Folded Spill
	s_nop 0
	buffer_store_dword v70, off, s[20:23], 0 offset:4 ; 4-byte Folded Spill
	buffer_store_dword v71, off, s[20:23], 0 offset:8 ; 4-byte Folded Spill
	;; [unrolled: 1-line block ×3, first 2 shown]
	ds_read2_b64 v[99:102], v125 offset0:56 offset1:57
	s_waitcnt lgkmcnt(0)
	v_mul_f64 v[103:104], v[101:102], v[105:106]
	v_fma_f64 v[103:104], v[99:100], v[97:98], -v[103:104]
	v_mul_f64 v[99:100], v[99:100], v[105:106]
	v_add_f64 v[65:66], v[65:66], -v[103:104]
	v_fma_f64 v[99:100], v[101:102], v[97:98], v[99:100]
	v_add_f64 v[67:68], v[67:68], -v[99:100]
	ds_read2_b64 v[99:102], v125 offset0:58 offset1:59
	s_waitcnt lgkmcnt(0)
	v_mul_f64 v[103:104], v[101:102], v[105:106]
	v_fma_f64 v[103:104], v[99:100], v[97:98], -v[103:104]
	v_mul_f64 v[99:100], v[99:100], v[105:106]
	v_add_f64 v[61:62], v[61:62], -v[103:104]
	v_fma_f64 v[99:100], v[101:102], v[97:98], v[99:100]
	v_add_f64 v[63:64], v[63:64], -v[99:100]
	;; [unrolled: 8-line block ×17, first 2 shown]
	ds_read2_b64 v[99:102], v125 offset0:90 offset1:91
	s_waitcnt lgkmcnt(0)
	v_mul_f64 v[103:104], v[101:102], v[105:106]
	v_fma_f64 v[103:104], v[99:100], v[97:98], -v[103:104]
	v_mul_f64 v[99:100], v[99:100], v[105:106]
	v_add_f64 v[73:74], v[73:74], -v[103:104]
	v_fma_f64 v[99:100], v[101:102], v[97:98], v[99:100]
	v_mov_b32_e32 v104, v98
	v_mov_b32_e32 v103, v97
	buffer_store_dword v103, off, s[20:23], 0 offset:192 ; 4-byte Folded Spill
	s_nop 0
	buffer_store_dword v104, off, s[20:23], 0 offset:196 ; 4-byte Folded Spill
	buffer_store_dword v105, off, s[20:23], 0 offset:200 ; 4-byte Folded Spill
	;; [unrolled: 1-line block ×3, first 2 shown]
	v_add_f64 v[75:76], v[75:76], -v[99:100]
.LBB91_100:
	s_or_b64 exec, exec, s[2:3]
	v_cmp_eq_u32_e32 vcc, 11, v0
	s_waitcnt vmcnt(0)
	s_barrier
	s_and_saveexec_b64 s[4:5], vcc
	s_cbranch_execz .LBB91_107
; %bb.101:
	buffer_load_dword v69, off, s[20:23], 0 offset:176 ; 4-byte Folded Reload
	buffer_load_dword v70, off, s[20:23], 0 offset:180 ; 4-byte Folded Reload
	;; [unrolled: 1-line block ×4, first 2 shown]
	s_waitcnt vmcnt(0)
	ds_write2_b64 v127, v[69:70], v[71:72] offset1:1
	buffer_load_dword v69, off, s[20:23], 0 offset:160 ; 4-byte Folded Reload
	buffer_load_dword v70, off, s[20:23], 0 offset:164 ; 4-byte Folded Reload
	buffer_load_dword v71, off, s[20:23], 0 offset:168 ; 4-byte Folded Reload
	buffer_load_dword v72, off, s[20:23], 0 offset:172 ; 4-byte Folded Reload
	s_waitcnt vmcnt(0)
	ds_write2_b64 v125, v[69:70], v[71:72] offset0:24 offset1:25
	buffer_load_dword v69, off, s[20:23], 0 offset:144 ; 4-byte Folded Reload
	buffer_load_dword v70, off, s[20:23], 0 offset:148 ; 4-byte Folded Reload
	buffer_load_dword v71, off, s[20:23], 0 offset:152 ; 4-byte Folded Reload
	buffer_load_dword v72, off, s[20:23], 0 offset:156 ; 4-byte Folded Reload
	s_waitcnt vmcnt(0)
	ds_write2_b64 v125, v[69:70], v[71:72] offset0:26 offset1:27
	;; [unrolled: 6-line block ×8, first 2 shown]
	ds_write2_b64 v125, v[117:118], v[119:120] offset0:40 offset1:41
	ds_write2_b64 v125, v[121:122], v[123:124] offset0:42 offset1:43
	;; [unrolled: 1-line block ×5, first 2 shown]
	buffer_load_dword v77, off, s[20:23], 0 offset:32 ; 4-byte Folded Reload
	buffer_load_dword v78, off, s[20:23], 0 offset:36 ; 4-byte Folded Reload
	;; [unrolled: 1-line block ×4, first 2 shown]
	v_mov_b32_e32 v69, v73
	v_mov_b32_e32 v70, v74
	v_mov_b32_e32 v71, v75
	v_mov_b32_e32 v72, v76
	s_waitcnt vmcnt(0)
	ds_write2_b64 v125, v[77:78], v[79:80] offset0:50 offset1:51
	buffer_load_dword v73, off, s[20:23], 0 offset:16 ; 4-byte Folded Reload
	buffer_load_dword v74, off, s[20:23], 0 offset:20 ; 4-byte Folded Reload
	;; [unrolled: 1-line block ×4, first 2 shown]
	s_waitcnt vmcnt(0)
	ds_write2_b64 v125, v[73:74], v[75:76] offset0:52 offset1:53
	v_mov_b32_e32 v76, v72
	v_mov_b32_e32 v75, v71
	;; [unrolled: 1-line block ×4, first 2 shown]
	buffer_load_dword v69, off, s[20:23], 0 ; 4-byte Folded Reload
	buffer_load_dword v70, off, s[20:23], 0 offset:4 ; 4-byte Folded Reload
	buffer_load_dword v71, off, s[20:23], 0 offset:8 ; 4-byte Folded Reload
	buffer_load_dword v72, off, s[20:23], 0 offset:12 ; 4-byte Folded Reload
	s_waitcnt vmcnt(0)
	ds_write2_b64 v125, v[69:70], v[71:72] offset0:54 offset1:55
	ds_write2_b64 v125, v[65:66], v[67:68] offset0:56 offset1:57
	;; [unrolled: 1-line block ×19, first 2 shown]
	ds_read2_b64 v[97:100], v127 offset1:1
	s_waitcnt lgkmcnt(0)
	v_cmp_neq_f64_e32 vcc, 0, v[97:98]
	v_cmp_neq_f64_e64 s[2:3], 0, v[99:100]
	s_or_b64 s[2:3], vcc, s[2:3]
	s_and_b64 exec, exec, s[2:3]
	s_cbranch_execz .LBB91_107
; %bb.102:
	v_cmp_ngt_f64_e64 s[2:3], |v[97:98]|, |v[99:100]|
                                        ; implicit-def: $vgpr101_vgpr102
	s_and_saveexec_b64 s[6:7], s[2:3]
	s_xor_b64 s[2:3], exec, s[6:7]
                                        ; implicit-def: $vgpr103_vgpr104
	s_cbranch_execz .LBB91_104
; %bb.103:
	v_div_scale_f64 v[101:102], s[6:7], v[99:100], v[99:100], v[97:98]
	v_rcp_f64_e32 v[103:104], v[101:102]
	v_fma_f64 v[105:106], -v[101:102], v[103:104], 1.0
	v_fma_f64 v[103:104], v[103:104], v[105:106], v[103:104]
	v_div_scale_f64 v[105:106], vcc, v[97:98], v[99:100], v[97:98]
	v_fma_f64 v[107:108], -v[101:102], v[103:104], 1.0
	v_fma_f64 v[103:104], v[103:104], v[107:108], v[103:104]
	v_mul_f64 v[107:108], v[105:106], v[103:104]
	v_fma_f64 v[101:102], -v[101:102], v[107:108], v[105:106]
	v_div_fmas_f64 v[101:102], v[101:102], v[103:104], v[107:108]
	v_div_fixup_f64 v[101:102], v[101:102], v[99:100], v[97:98]
	v_fma_f64 v[97:98], v[97:98], v[101:102], v[99:100]
	v_div_scale_f64 v[99:100], s[6:7], v[97:98], v[97:98], 1.0
	v_div_scale_f64 v[107:108], vcc, 1.0, v[97:98], 1.0
	v_rcp_f64_e32 v[103:104], v[99:100]
	v_fma_f64 v[105:106], -v[99:100], v[103:104], 1.0
	v_fma_f64 v[103:104], v[103:104], v[105:106], v[103:104]
	v_fma_f64 v[105:106], -v[99:100], v[103:104], 1.0
	v_fma_f64 v[103:104], v[103:104], v[105:106], v[103:104]
	v_mul_f64 v[105:106], v[107:108], v[103:104]
	v_fma_f64 v[99:100], -v[99:100], v[105:106], v[107:108]
	v_div_fmas_f64 v[99:100], v[99:100], v[103:104], v[105:106]
	v_div_fixup_f64 v[103:104], v[99:100], v[97:98], 1.0
                                        ; implicit-def: $vgpr97_vgpr98
	v_mul_f64 v[101:102], v[101:102], v[103:104]
	v_xor_b32_e32 v104, 0x80000000, v104
.LBB91_104:
	s_andn2_saveexec_b64 s[2:3], s[2:3]
	s_cbranch_execz .LBB91_106
; %bb.105:
	v_div_scale_f64 v[101:102], s[6:7], v[97:98], v[97:98], v[99:100]
	v_rcp_f64_e32 v[103:104], v[101:102]
	v_fma_f64 v[105:106], -v[101:102], v[103:104], 1.0
	v_fma_f64 v[103:104], v[103:104], v[105:106], v[103:104]
	v_div_scale_f64 v[105:106], vcc, v[99:100], v[97:98], v[99:100]
	v_fma_f64 v[107:108], -v[101:102], v[103:104], 1.0
	v_fma_f64 v[103:104], v[103:104], v[107:108], v[103:104]
	v_mul_f64 v[107:108], v[105:106], v[103:104]
	v_fma_f64 v[101:102], -v[101:102], v[107:108], v[105:106]
	v_div_fmas_f64 v[101:102], v[101:102], v[103:104], v[107:108]
	v_div_fixup_f64 v[103:104], v[101:102], v[97:98], v[99:100]
	v_fma_f64 v[97:98], v[99:100], v[103:104], v[97:98]
	v_div_scale_f64 v[99:100], s[6:7], v[97:98], v[97:98], 1.0
	v_div_scale_f64 v[107:108], vcc, 1.0, v[97:98], 1.0
	v_rcp_f64_e32 v[101:102], v[99:100]
	v_fma_f64 v[105:106], -v[99:100], v[101:102], 1.0
	v_fma_f64 v[101:102], v[101:102], v[105:106], v[101:102]
	v_fma_f64 v[105:106], -v[99:100], v[101:102], 1.0
	v_fma_f64 v[101:102], v[101:102], v[105:106], v[101:102]
	v_mul_f64 v[105:106], v[107:108], v[101:102]
	v_fma_f64 v[99:100], -v[99:100], v[105:106], v[107:108]
	v_div_fmas_f64 v[99:100], v[99:100], v[101:102], v[105:106]
	v_div_fixup_f64 v[101:102], v[99:100], v[97:98], 1.0
	v_mul_f64 v[103:104], v[103:104], -v[101:102]
.LBB91_106:
	s_or_b64 exec, exec, s[2:3]
	ds_write2_b64 v127, v[101:102], v[103:104] offset1:1
.LBB91_107:
	s_or_b64 exec, exec, s[4:5]
	s_waitcnt lgkmcnt(0)
	s_barrier
	ds_read2_b64 v[69:72], v127 offset1:1
	v_cmp_lt_u32_e32 vcc, 11, v0
	s_waitcnt lgkmcnt(0)
	buffer_store_dword v69, off, s[20:23], 0 offset:904 ; 4-byte Folded Spill
	s_nop 0
	buffer_store_dword v70, off, s[20:23], 0 offset:908 ; 4-byte Folded Spill
	buffer_store_dword v71, off, s[20:23], 0 offset:912 ; 4-byte Folded Spill
	;; [unrolled: 1-line block ×3, first 2 shown]
	s_and_saveexec_b64 s[2:3], vcc
	s_cbranch_execz .LBB91_109
; %bb.108:
	buffer_load_dword v103, off, s[20:23], 0 offset:176 ; 4-byte Folded Reload
	buffer_load_dword v104, off, s[20:23], 0 offset:180 ; 4-byte Folded Reload
	;; [unrolled: 1-line block ×8, first 2 shown]
	s_waitcnt vmcnt(2)
	v_mul_f64 v[99:100], v[69:70], v[105:106]
	s_waitcnt vmcnt(0)
	v_mul_f64 v[97:98], v[71:72], v[105:106]
	v_fma_f64 v[105:106], v[71:72], v[103:104], v[99:100]
	ds_read2_b64 v[99:102], v125 offset0:24 offset1:25
	v_fma_f64 v[97:98], v[69:70], v[103:104], -v[97:98]
	buffer_load_dword v69, off, s[20:23], 0 offset:160 ; 4-byte Folded Reload
	buffer_load_dword v70, off, s[20:23], 0 offset:164 ; 4-byte Folded Reload
	buffer_load_dword v71, off, s[20:23], 0 offset:168 ; 4-byte Folded Reload
	buffer_load_dword v72, off, s[20:23], 0 offset:172 ; 4-byte Folded Reload
	s_waitcnt lgkmcnt(0)
	v_mul_f64 v[103:104], v[101:102], v[105:106]
	v_fma_f64 v[103:104], v[99:100], v[97:98], -v[103:104]
	v_mul_f64 v[99:100], v[99:100], v[105:106]
	v_fma_f64 v[99:100], v[101:102], v[97:98], v[99:100]
	s_waitcnt vmcnt(2)
	v_add_f64 v[69:70], v[69:70], -v[103:104]
	s_waitcnt vmcnt(0)
	v_add_f64 v[71:72], v[71:72], -v[99:100]
	buffer_store_dword v69, off, s[20:23], 0 offset:160 ; 4-byte Folded Spill
	s_nop 0
	buffer_store_dword v70, off, s[20:23], 0 offset:164 ; 4-byte Folded Spill
	buffer_store_dword v71, off, s[20:23], 0 offset:168 ; 4-byte Folded Spill
	buffer_store_dword v72, off, s[20:23], 0 offset:172 ; 4-byte Folded Spill
	ds_read2_b64 v[99:102], v125 offset0:26 offset1:27
	buffer_load_dword v69, off, s[20:23], 0 offset:144 ; 4-byte Folded Reload
	buffer_load_dword v70, off, s[20:23], 0 offset:148 ; 4-byte Folded Reload
	buffer_load_dword v71, off, s[20:23], 0 offset:152 ; 4-byte Folded Reload
	buffer_load_dword v72, off, s[20:23], 0 offset:156 ; 4-byte Folded Reload
	s_waitcnt lgkmcnt(0)
	v_mul_f64 v[103:104], v[101:102], v[105:106]
	v_fma_f64 v[103:104], v[99:100], v[97:98], -v[103:104]
	v_mul_f64 v[99:100], v[99:100], v[105:106]
	v_fma_f64 v[99:100], v[101:102], v[97:98], v[99:100]
	s_waitcnt vmcnt(2)
	v_add_f64 v[69:70], v[69:70], -v[103:104]
	s_waitcnt vmcnt(0)
	v_add_f64 v[71:72], v[71:72], -v[99:100]
	buffer_store_dword v69, off, s[20:23], 0 offset:144 ; 4-byte Folded Spill
	s_nop 0
	buffer_store_dword v70, off, s[20:23], 0 offset:148 ; 4-byte Folded Spill
	buffer_store_dword v71, off, s[20:23], 0 offset:152 ; 4-byte Folded Spill
	buffer_store_dword v72, off, s[20:23], 0 offset:156 ; 4-byte Folded Spill
	ds_read2_b64 v[99:102], v125 offset0:28 offset1:29
	;; [unrolled: 19-line block ×8, first 2 shown]
	v_mov_b32_e32 v69, v73
	v_mov_b32_e32 v70, v74
	;; [unrolled: 1-line block ×4, first 2 shown]
	s_waitcnt lgkmcnt(0)
	v_mul_f64 v[103:104], v[101:102], v[105:106]
	v_fma_f64 v[103:104], v[99:100], v[97:98], -v[103:104]
	v_mul_f64 v[99:100], v[99:100], v[105:106]
	v_add_f64 v[117:118], v[117:118], -v[103:104]
	v_fma_f64 v[99:100], v[101:102], v[97:98], v[99:100]
	v_add_f64 v[119:120], v[119:120], -v[99:100]
	ds_read2_b64 v[99:102], v125 offset0:42 offset1:43
	s_waitcnt lgkmcnt(0)
	v_mul_f64 v[103:104], v[101:102], v[105:106]
	v_fma_f64 v[103:104], v[99:100], v[97:98], -v[103:104]
	v_mul_f64 v[99:100], v[99:100], v[105:106]
	v_add_f64 v[121:122], v[121:122], -v[103:104]
	v_fma_f64 v[99:100], v[101:102], v[97:98], v[99:100]
	v_add_f64 v[123:124], v[123:124], -v[99:100]
	ds_read2_b64 v[99:102], v125 offset0:44 offset1:45
	;; [unrolled: 8-line block ×5, first 2 shown]
	buffer_load_dword v77, off, s[20:23], 0 offset:32 ; 4-byte Folded Reload
	buffer_load_dword v78, off, s[20:23], 0 offset:36 ; 4-byte Folded Reload
	;; [unrolled: 1-line block ×4, first 2 shown]
	s_waitcnt lgkmcnt(0)
	v_mul_f64 v[103:104], v[101:102], v[105:106]
	v_fma_f64 v[103:104], v[99:100], v[97:98], -v[103:104]
	v_mul_f64 v[99:100], v[99:100], v[105:106]
	v_fma_f64 v[99:100], v[101:102], v[97:98], v[99:100]
	s_waitcnt vmcnt(2)
	v_add_f64 v[77:78], v[77:78], -v[103:104]
	s_waitcnt vmcnt(0)
	v_add_f64 v[79:80], v[79:80], -v[99:100]
	buffer_store_dword v77, off, s[20:23], 0 offset:32 ; 4-byte Folded Spill
	s_nop 0
	buffer_store_dword v78, off, s[20:23], 0 offset:36 ; 4-byte Folded Spill
	buffer_store_dword v79, off, s[20:23], 0 offset:40 ; 4-byte Folded Spill
	;; [unrolled: 1-line block ×3, first 2 shown]
	ds_read2_b64 v[99:102], v125 offset0:52 offset1:53
	buffer_load_dword v73, off, s[20:23], 0 offset:16 ; 4-byte Folded Reload
	buffer_load_dword v74, off, s[20:23], 0 offset:20 ; 4-byte Folded Reload
	;; [unrolled: 1-line block ×4, first 2 shown]
	s_waitcnt lgkmcnt(0)
	v_mul_f64 v[103:104], v[101:102], v[105:106]
	v_fma_f64 v[103:104], v[99:100], v[97:98], -v[103:104]
	v_mul_f64 v[99:100], v[99:100], v[105:106]
	v_fma_f64 v[99:100], v[101:102], v[97:98], v[99:100]
	s_waitcnt vmcnt(2)
	v_add_f64 v[73:74], v[73:74], -v[103:104]
	s_waitcnt vmcnt(0)
	v_add_f64 v[75:76], v[75:76], -v[99:100]
	buffer_store_dword v73, off, s[20:23], 0 offset:16 ; 4-byte Folded Spill
	s_nop 0
	buffer_store_dword v74, off, s[20:23], 0 offset:20 ; 4-byte Folded Spill
	buffer_store_dword v75, off, s[20:23], 0 offset:24 ; 4-byte Folded Spill
	;; [unrolled: 1-line block ×3, first 2 shown]
	v_mov_b32_e32 v76, v72
	v_mov_b32_e32 v75, v71
	;; [unrolled: 1-line block ×4, first 2 shown]
	ds_read2_b64 v[99:102], v125 offset0:54 offset1:55
	buffer_load_dword v69, off, s[20:23], 0 ; 4-byte Folded Reload
	buffer_load_dword v70, off, s[20:23], 0 offset:4 ; 4-byte Folded Reload
	buffer_load_dword v71, off, s[20:23], 0 offset:8 ; 4-byte Folded Reload
	;; [unrolled: 1-line block ×3, first 2 shown]
	s_waitcnt lgkmcnt(0)
	v_mul_f64 v[103:104], v[101:102], v[105:106]
	v_fma_f64 v[103:104], v[99:100], v[97:98], -v[103:104]
	v_mul_f64 v[99:100], v[99:100], v[105:106]
	v_fma_f64 v[99:100], v[101:102], v[97:98], v[99:100]
	s_waitcnt vmcnt(2)
	v_add_f64 v[69:70], v[69:70], -v[103:104]
	s_waitcnt vmcnt(0)
	v_add_f64 v[71:72], v[71:72], -v[99:100]
	buffer_store_dword v69, off, s[20:23], 0 ; 4-byte Folded Spill
	s_nop 0
	buffer_store_dword v70, off, s[20:23], 0 offset:4 ; 4-byte Folded Spill
	buffer_store_dword v71, off, s[20:23], 0 offset:8 ; 4-byte Folded Spill
	;; [unrolled: 1-line block ×3, first 2 shown]
	ds_read2_b64 v[99:102], v125 offset0:56 offset1:57
	s_waitcnt lgkmcnt(0)
	v_mul_f64 v[103:104], v[101:102], v[105:106]
	v_fma_f64 v[103:104], v[99:100], v[97:98], -v[103:104]
	v_mul_f64 v[99:100], v[99:100], v[105:106]
	v_add_f64 v[65:66], v[65:66], -v[103:104]
	v_fma_f64 v[99:100], v[101:102], v[97:98], v[99:100]
	v_add_f64 v[67:68], v[67:68], -v[99:100]
	ds_read2_b64 v[99:102], v125 offset0:58 offset1:59
	s_waitcnt lgkmcnt(0)
	v_mul_f64 v[103:104], v[101:102], v[105:106]
	v_fma_f64 v[103:104], v[99:100], v[97:98], -v[103:104]
	v_mul_f64 v[99:100], v[99:100], v[105:106]
	v_add_f64 v[61:62], v[61:62], -v[103:104]
	v_fma_f64 v[99:100], v[101:102], v[97:98], v[99:100]
	v_add_f64 v[63:64], v[63:64], -v[99:100]
	;; [unrolled: 8-line block ×17, first 2 shown]
	ds_read2_b64 v[99:102], v125 offset0:90 offset1:91
	s_waitcnt lgkmcnt(0)
	v_mul_f64 v[103:104], v[101:102], v[105:106]
	v_fma_f64 v[103:104], v[99:100], v[97:98], -v[103:104]
	v_mul_f64 v[99:100], v[99:100], v[105:106]
	v_add_f64 v[73:74], v[73:74], -v[103:104]
	v_fma_f64 v[99:100], v[101:102], v[97:98], v[99:100]
	v_mov_b32_e32 v104, v98
	v_mov_b32_e32 v103, v97
	buffer_store_dword v103, off, s[20:23], 0 offset:176 ; 4-byte Folded Spill
	s_nop 0
	buffer_store_dword v104, off, s[20:23], 0 offset:180 ; 4-byte Folded Spill
	buffer_store_dword v105, off, s[20:23], 0 offset:184 ; 4-byte Folded Spill
	;; [unrolled: 1-line block ×3, first 2 shown]
	v_add_f64 v[75:76], v[75:76], -v[99:100]
.LBB91_109:
	s_or_b64 exec, exec, s[2:3]
	v_cmp_eq_u32_e32 vcc, 12, v0
	s_waitcnt vmcnt(0)
	s_barrier
	s_and_saveexec_b64 s[4:5], vcc
	s_cbranch_execz .LBB91_116
; %bb.110:
	buffer_load_dword v69, off, s[20:23], 0 offset:160 ; 4-byte Folded Reload
	buffer_load_dword v70, off, s[20:23], 0 offset:164 ; 4-byte Folded Reload
	;; [unrolled: 1-line block ×4, first 2 shown]
	s_waitcnt vmcnt(0)
	ds_write2_b64 v127, v[69:70], v[71:72] offset1:1
	buffer_load_dword v69, off, s[20:23], 0 offset:144 ; 4-byte Folded Reload
	buffer_load_dword v70, off, s[20:23], 0 offset:148 ; 4-byte Folded Reload
	buffer_load_dword v71, off, s[20:23], 0 offset:152 ; 4-byte Folded Reload
	buffer_load_dword v72, off, s[20:23], 0 offset:156 ; 4-byte Folded Reload
	s_waitcnt vmcnt(0)
	ds_write2_b64 v125, v[69:70], v[71:72] offset0:26 offset1:27
	buffer_load_dword v69, off, s[20:23], 0 offset:128 ; 4-byte Folded Reload
	buffer_load_dword v70, off, s[20:23], 0 offset:132 ; 4-byte Folded Reload
	buffer_load_dword v71, off, s[20:23], 0 offset:136 ; 4-byte Folded Reload
	buffer_load_dword v72, off, s[20:23], 0 offset:140 ; 4-byte Folded Reload
	s_waitcnt vmcnt(0)
	ds_write2_b64 v125, v[69:70], v[71:72] offset0:28 offset1:29
	;; [unrolled: 6-line block ×7, first 2 shown]
	ds_write2_b64 v125, v[117:118], v[119:120] offset0:40 offset1:41
	ds_write2_b64 v125, v[121:122], v[123:124] offset0:42 offset1:43
	;; [unrolled: 1-line block ×5, first 2 shown]
	buffer_load_dword v77, off, s[20:23], 0 offset:32 ; 4-byte Folded Reload
	buffer_load_dword v78, off, s[20:23], 0 offset:36 ; 4-byte Folded Reload
	buffer_load_dword v79, off, s[20:23], 0 offset:40 ; 4-byte Folded Reload
	buffer_load_dword v80, off, s[20:23], 0 offset:44 ; 4-byte Folded Reload
	v_mov_b32_e32 v69, v73
	v_mov_b32_e32 v70, v74
	;; [unrolled: 1-line block ×4, first 2 shown]
	s_waitcnt vmcnt(0)
	ds_write2_b64 v125, v[77:78], v[79:80] offset0:50 offset1:51
	buffer_load_dword v73, off, s[20:23], 0 offset:16 ; 4-byte Folded Reload
	buffer_load_dword v74, off, s[20:23], 0 offset:20 ; 4-byte Folded Reload
	;; [unrolled: 1-line block ×4, first 2 shown]
	s_waitcnt vmcnt(0)
	ds_write2_b64 v125, v[73:74], v[75:76] offset0:52 offset1:53
	v_mov_b32_e32 v76, v72
	v_mov_b32_e32 v75, v71
	;; [unrolled: 1-line block ×4, first 2 shown]
	buffer_load_dword v69, off, s[20:23], 0 ; 4-byte Folded Reload
	buffer_load_dword v70, off, s[20:23], 0 offset:4 ; 4-byte Folded Reload
	buffer_load_dword v71, off, s[20:23], 0 offset:8 ; 4-byte Folded Reload
	;; [unrolled: 1-line block ×3, first 2 shown]
	s_waitcnt vmcnt(0)
	ds_write2_b64 v125, v[69:70], v[71:72] offset0:54 offset1:55
	ds_write2_b64 v125, v[65:66], v[67:68] offset0:56 offset1:57
	;; [unrolled: 1-line block ×19, first 2 shown]
	ds_read2_b64 v[97:100], v127 offset1:1
	s_waitcnt lgkmcnt(0)
	v_cmp_neq_f64_e32 vcc, 0, v[97:98]
	v_cmp_neq_f64_e64 s[2:3], 0, v[99:100]
	s_or_b64 s[2:3], vcc, s[2:3]
	s_and_b64 exec, exec, s[2:3]
	s_cbranch_execz .LBB91_116
; %bb.111:
	v_cmp_ngt_f64_e64 s[2:3], |v[97:98]|, |v[99:100]|
                                        ; implicit-def: $vgpr101_vgpr102
	s_and_saveexec_b64 s[6:7], s[2:3]
	s_xor_b64 s[2:3], exec, s[6:7]
                                        ; implicit-def: $vgpr103_vgpr104
	s_cbranch_execz .LBB91_113
; %bb.112:
	v_div_scale_f64 v[101:102], s[6:7], v[99:100], v[99:100], v[97:98]
	v_rcp_f64_e32 v[103:104], v[101:102]
	v_fma_f64 v[105:106], -v[101:102], v[103:104], 1.0
	v_fma_f64 v[103:104], v[103:104], v[105:106], v[103:104]
	v_div_scale_f64 v[105:106], vcc, v[97:98], v[99:100], v[97:98]
	v_fma_f64 v[107:108], -v[101:102], v[103:104], 1.0
	v_fma_f64 v[103:104], v[103:104], v[107:108], v[103:104]
	v_mul_f64 v[107:108], v[105:106], v[103:104]
	v_fma_f64 v[101:102], -v[101:102], v[107:108], v[105:106]
	v_div_fmas_f64 v[101:102], v[101:102], v[103:104], v[107:108]
	v_div_fixup_f64 v[101:102], v[101:102], v[99:100], v[97:98]
	v_fma_f64 v[97:98], v[97:98], v[101:102], v[99:100]
	v_div_scale_f64 v[99:100], s[6:7], v[97:98], v[97:98], 1.0
	v_div_scale_f64 v[107:108], vcc, 1.0, v[97:98], 1.0
	v_rcp_f64_e32 v[103:104], v[99:100]
	v_fma_f64 v[105:106], -v[99:100], v[103:104], 1.0
	v_fma_f64 v[103:104], v[103:104], v[105:106], v[103:104]
	v_fma_f64 v[105:106], -v[99:100], v[103:104], 1.0
	v_fma_f64 v[103:104], v[103:104], v[105:106], v[103:104]
	v_mul_f64 v[105:106], v[107:108], v[103:104]
	v_fma_f64 v[99:100], -v[99:100], v[105:106], v[107:108]
	v_div_fmas_f64 v[99:100], v[99:100], v[103:104], v[105:106]
	v_div_fixup_f64 v[103:104], v[99:100], v[97:98], 1.0
                                        ; implicit-def: $vgpr97_vgpr98
	v_mul_f64 v[101:102], v[101:102], v[103:104]
	v_xor_b32_e32 v104, 0x80000000, v104
.LBB91_113:
	s_andn2_saveexec_b64 s[2:3], s[2:3]
	s_cbranch_execz .LBB91_115
; %bb.114:
	v_div_scale_f64 v[101:102], s[6:7], v[97:98], v[97:98], v[99:100]
	v_rcp_f64_e32 v[103:104], v[101:102]
	v_fma_f64 v[105:106], -v[101:102], v[103:104], 1.0
	v_fma_f64 v[103:104], v[103:104], v[105:106], v[103:104]
	v_div_scale_f64 v[105:106], vcc, v[99:100], v[97:98], v[99:100]
	v_fma_f64 v[107:108], -v[101:102], v[103:104], 1.0
	v_fma_f64 v[103:104], v[103:104], v[107:108], v[103:104]
	v_mul_f64 v[107:108], v[105:106], v[103:104]
	v_fma_f64 v[101:102], -v[101:102], v[107:108], v[105:106]
	v_div_fmas_f64 v[101:102], v[101:102], v[103:104], v[107:108]
	v_div_fixup_f64 v[103:104], v[101:102], v[97:98], v[99:100]
	v_fma_f64 v[97:98], v[99:100], v[103:104], v[97:98]
	v_div_scale_f64 v[99:100], s[6:7], v[97:98], v[97:98], 1.0
	v_div_scale_f64 v[107:108], vcc, 1.0, v[97:98], 1.0
	v_rcp_f64_e32 v[101:102], v[99:100]
	v_fma_f64 v[105:106], -v[99:100], v[101:102], 1.0
	v_fma_f64 v[101:102], v[101:102], v[105:106], v[101:102]
	v_fma_f64 v[105:106], -v[99:100], v[101:102], 1.0
	v_fma_f64 v[101:102], v[101:102], v[105:106], v[101:102]
	v_mul_f64 v[105:106], v[107:108], v[101:102]
	v_fma_f64 v[99:100], -v[99:100], v[105:106], v[107:108]
	v_div_fmas_f64 v[99:100], v[99:100], v[101:102], v[105:106]
	v_div_fixup_f64 v[101:102], v[99:100], v[97:98], 1.0
	v_mul_f64 v[103:104], v[103:104], -v[101:102]
.LBB91_115:
	s_or_b64 exec, exec, s[2:3]
	ds_write2_b64 v127, v[101:102], v[103:104] offset1:1
.LBB91_116:
	s_or_b64 exec, exec, s[4:5]
	s_waitcnt lgkmcnt(0)
	s_barrier
	ds_read2_b64 v[69:72], v127 offset1:1
	v_cmp_lt_u32_e32 vcc, 12, v0
	s_waitcnt lgkmcnt(0)
	buffer_store_dword v69, off, s[20:23], 0 offset:920 ; 4-byte Folded Spill
	s_nop 0
	buffer_store_dword v70, off, s[20:23], 0 offset:924 ; 4-byte Folded Spill
	buffer_store_dword v71, off, s[20:23], 0 offset:928 ; 4-byte Folded Spill
	;; [unrolled: 1-line block ×3, first 2 shown]
	s_and_saveexec_b64 s[2:3], vcc
	s_cbranch_execz .LBB91_118
; %bb.117:
	buffer_load_dword v103, off, s[20:23], 0 offset:160 ; 4-byte Folded Reload
	buffer_load_dword v104, off, s[20:23], 0 offset:164 ; 4-byte Folded Reload
	;; [unrolled: 1-line block ×8, first 2 shown]
	s_waitcnt vmcnt(2)
	v_mul_f64 v[99:100], v[69:70], v[105:106]
	s_waitcnt vmcnt(0)
	v_mul_f64 v[97:98], v[71:72], v[105:106]
	v_fma_f64 v[105:106], v[71:72], v[103:104], v[99:100]
	ds_read2_b64 v[99:102], v125 offset0:26 offset1:27
	v_fma_f64 v[97:98], v[69:70], v[103:104], -v[97:98]
	buffer_load_dword v69, off, s[20:23], 0 offset:144 ; 4-byte Folded Reload
	buffer_load_dword v70, off, s[20:23], 0 offset:148 ; 4-byte Folded Reload
	buffer_load_dword v71, off, s[20:23], 0 offset:152 ; 4-byte Folded Reload
	buffer_load_dword v72, off, s[20:23], 0 offset:156 ; 4-byte Folded Reload
	s_waitcnt lgkmcnt(0)
	v_mul_f64 v[103:104], v[101:102], v[105:106]
	v_fma_f64 v[103:104], v[99:100], v[97:98], -v[103:104]
	v_mul_f64 v[99:100], v[99:100], v[105:106]
	v_fma_f64 v[99:100], v[101:102], v[97:98], v[99:100]
	s_waitcnt vmcnt(2)
	v_add_f64 v[69:70], v[69:70], -v[103:104]
	s_waitcnt vmcnt(0)
	v_add_f64 v[71:72], v[71:72], -v[99:100]
	buffer_store_dword v69, off, s[20:23], 0 offset:144 ; 4-byte Folded Spill
	s_nop 0
	buffer_store_dword v70, off, s[20:23], 0 offset:148 ; 4-byte Folded Spill
	buffer_store_dword v71, off, s[20:23], 0 offset:152 ; 4-byte Folded Spill
	buffer_store_dword v72, off, s[20:23], 0 offset:156 ; 4-byte Folded Spill
	ds_read2_b64 v[99:102], v125 offset0:28 offset1:29
	buffer_load_dword v69, off, s[20:23], 0 offset:128 ; 4-byte Folded Reload
	buffer_load_dword v70, off, s[20:23], 0 offset:132 ; 4-byte Folded Reload
	buffer_load_dword v71, off, s[20:23], 0 offset:136 ; 4-byte Folded Reload
	buffer_load_dword v72, off, s[20:23], 0 offset:140 ; 4-byte Folded Reload
	s_waitcnt lgkmcnt(0)
	v_mul_f64 v[103:104], v[101:102], v[105:106]
	v_fma_f64 v[103:104], v[99:100], v[97:98], -v[103:104]
	v_mul_f64 v[99:100], v[99:100], v[105:106]
	v_fma_f64 v[99:100], v[101:102], v[97:98], v[99:100]
	s_waitcnt vmcnt(2)
	v_add_f64 v[69:70], v[69:70], -v[103:104]
	s_waitcnt vmcnt(0)
	v_add_f64 v[71:72], v[71:72], -v[99:100]
	buffer_store_dword v69, off, s[20:23], 0 offset:128 ; 4-byte Folded Spill
	s_nop 0
	buffer_store_dword v70, off, s[20:23], 0 offset:132 ; 4-byte Folded Spill
	buffer_store_dword v71, off, s[20:23], 0 offset:136 ; 4-byte Folded Spill
	buffer_store_dword v72, off, s[20:23], 0 offset:140 ; 4-byte Folded Spill
	ds_read2_b64 v[99:102], v125 offset0:30 offset1:31
	;; [unrolled: 19-line block ×7, first 2 shown]
	v_mov_b32_e32 v69, v73
	v_mov_b32_e32 v70, v74
	;; [unrolled: 1-line block ×4, first 2 shown]
	s_waitcnt lgkmcnt(0)
	v_mul_f64 v[103:104], v[101:102], v[105:106]
	v_fma_f64 v[103:104], v[99:100], v[97:98], -v[103:104]
	v_mul_f64 v[99:100], v[99:100], v[105:106]
	v_add_f64 v[117:118], v[117:118], -v[103:104]
	v_fma_f64 v[99:100], v[101:102], v[97:98], v[99:100]
	v_add_f64 v[119:120], v[119:120], -v[99:100]
	ds_read2_b64 v[99:102], v125 offset0:42 offset1:43
	s_waitcnt lgkmcnt(0)
	v_mul_f64 v[103:104], v[101:102], v[105:106]
	v_fma_f64 v[103:104], v[99:100], v[97:98], -v[103:104]
	v_mul_f64 v[99:100], v[99:100], v[105:106]
	v_add_f64 v[121:122], v[121:122], -v[103:104]
	v_fma_f64 v[99:100], v[101:102], v[97:98], v[99:100]
	v_add_f64 v[123:124], v[123:124], -v[99:100]
	ds_read2_b64 v[99:102], v125 offset0:44 offset1:45
	;; [unrolled: 8-line block ×5, first 2 shown]
	buffer_load_dword v77, off, s[20:23], 0 offset:32 ; 4-byte Folded Reload
	buffer_load_dword v78, off, s[20:23], 0 offset:36 ; 4-byte Folded Reload
	buffer_load_dword v79, off, s[20:23], 0 offset:40 ; 4-byte Folded Reload
	buffer_load_dword v80, off, s[20:23], 0 offset:44 ; 4-byte Folded Reload
	s_waitcnt lgkmcnt(0)
	v_mul_f64 v[103:104], v[101:102], v[105:106]
	v_fma_f64 v[103:104], v[99:100], v[97:98], -v[103:104]
	v_mul_f64 v[99:100], v[99:100], v[105:106]
	v_fma_f64 v[99:100], v[101:102], v[97:98], v[99:100]
	s_waitcnt vmcnt(2)
	v_add_f64 v[77:78], v[77:78], -v[103:104]
	s_waitcnt vmcnt(0)
	v_add_f64 v[79:80], v[79:80], -v[99:100]
	buffer_store_dword v77, off, s[20:23], 0 offset:32 ; 4-byte Folded Spill
	s_nop 0
	buffer_store_dword v78, off, s[20:23], 0 offset:36 ; 4-byte Folded Spill
	buffer_store_dword v79, off, s[20:23], 0 offset:40 ; 4-byte Folded Spill
	;; [unrolled: 1-line block ×3, first 2 shown]
	ds_read2_b64 v[99:102], v125 offset0:52 offset1:53
	buffer_load_dword v73, off, s[20:23], 0 offset:16 ; 4-byte Folded Reload
	buffer_load_dword v74, off, s[20:23], 0 offset:20 ; 4-byte Folded Reload
	;; [unrolled: 1-line block ×4, first 2 shown]
	s_waitcnt lgkmcnt(0)
	v_mul_f64 v[103:104], v[101:102], v[105:106]
	v_fma_f64 v[103:104], v[99:100], v[97:98], -v[103:104]
	v_mul_f64 v[99:100], v[99:100], v[105:106]
	v_fma_f64 v[99:100], v[101:102], v[97:98], v[99:100]
	s_waitcnt vmcnt(2)
	v_add_f64 v[73:74], v[73:74], -v[103:104]
	s_waitcnt vmcnt(0)
	v_add_f64 v[75:76], v[75:76], -v[99:100]
	buffer_store_dword v73, off, s[20:23], 0 offset:16 ; 4-byte Folded Spill
	s_nop 0
	buffer_store_dword v74, off, s[20:23], 0 offset:20 ; 4-byte Folded Spill
	buffer_store_dword v75, off, s[20:23], 0 offset:24 ; 4-byte Folded Spill
	;; [unrolled: 1-line block ×3, first 2 shown]
	v_mov_b32_e32 v76, v72
	v_mov_b32_e32 v75, v71
	;; [unrolled: 1-line block ×4, first 2 shown]
	ds_read2_b64 v[99:102], v125 offset0:54 offset1:55
	buffer_load_dword v69, off, s[20:23], 0 ; 4-byte Folded Reload
	buffer_load_dword v70, off, s[20:23], 0 offset:4 ; 4-byte Folded Reload
	buffer_load_dword v71, off, s[20:23], 0 offset:8 ; 4-byte Folded Reload
	;; [unrolled: 1-line block ×3, first 2 shown]
	s_waitcnt lgkmcnt(0)
	v_mul_f64 v[103:104], v[101:102], v[105:106]
	v_fma_f64 v[103:104], v[99:100], v[97:98], -v[103:104]
	v_mul_f64 v[99:100], v[99:100], v[105:106]
	v_fma_f64 v[99:100], v[101:102], v[97:98], v[99:100]
	s_waitcnt vmcnt(2)
	v_add_f64 v[69:70], v[69:70], -v[103:104]
	s_waitcnt vmcnt(0)
	v_add_f64 v[71:72], v[71:72], -v[99:100]
	buffer_store_dword v69, off, s[20:23], 0 ; 4-byte Folded Spill
	s_nop 0
	buffer_store_dword v70, off, s[20:23], 0 offset:4 ; 4-byte Folded Spill
	buffer_store_dword v71, off, s[20:23], 0 offset:8 ; 4-byte Folded Spill
	;; [unrolled: 1-line block ×3, first 2 shown]
	ds_read2_b64 v[99:102], v125 offset0:56 offset1:57
	s_waitcnt lgkmcnt(0)
	v_mul_f64 v[103:104], v[101:102], v[105:106]
	v_fma_f64 v[103:104], v[99:100], v[97:98], -v[103:104]
	v_mul_f64 v[99:100], v[99:100], v[105:106]
	v_add_f64 v[65:66], v[65:66], -v[103:104]
	v_fma_f64 v[99:100], v[101:102], v[97:98], v[99:100]
	v_add_f64 v[67:68], v[67:68], -v[99:100]
	ds_read2_b64 v[99:102], v125 offset0:58 offset1:59
	s_waitcnt lgkmcnt(0)
	v_mul_f64 v[103:104], v[101:102], v[105:106]
	v_fma_f64 v[103:104], v[99:100], v[97:98], -v[103:104]
	v_mul_f64 v[99:100], v[99:100], v[105:106]
	v_add_f64 v[61:62], v[61:62], -v[103:104]
	v_fma_f64 v[99:100], v[101:102], v[97:98], v[99:100]
	v_add_f64 v[63:64], v[63:64], -v[99:100]
	;; [unrolled: 8-line block ×17, first 2 shown]
	ds_read2_b64 v[99:102], v125 offset0:90 offset1:91
	s_waitcnt lgkmcnt(0)
	v_mul_f64 v[103:104], v[101:102], v[105:106]
	v_fma_f64 v[103:104], v[99:100], v[97:98], -v[103:104]
	v_mul_f64 v[99:100], v[99:100], v[105:106]
	v_add_f64 v[73:74], v[73:74], -v[103:104]
	v_fma_f64 v[99:100], v[101:102], v[97:98], v[99:100]
	v_mov_b32_e32 v104, v98
	v_mov_b32_e32 v103, v97
	buffer_store_dword v103, off, s[20:23], 0 offset:160 ; 4-byte Folded Spill
	s_nop 0
	buffer_store_dword v104, off, s[20:23], 0 offset:164 ; 4-byte Folded Spill
	buffer_store_dword v105, off, s[20:23], 0 offset:168 ; 4-byte Folded Spill
	buffer_store_dword v106, off, s[20:23], 0 offset:172 ; 4-byte Folded Spill
	v_add_f64 v[75:76], v[75:76], -v[99:100]
.LBB91_118:
	s_or_b64 exec, exec, s[2:3]
	v_cmp_eq_u32_e32 vcc, 13, v0
	s_waitcnt vmcnt(0)
	s_barrier
	s_and_saveexec_b64 s[4:5], vcc
	s_cbranch_execz .LBB91_125
; %bb.119:
	buffer_load_dword v69, off, s[20:23], 0 offset:144 ; 4-byte Folded Reload
	buffer_load_dword v70, off, s[20:23], 0 offset:148 ; 4-byte Folded Reload
	buffer_load_dword v71, off, s[20:23], 0 offset:152 ; 4-byte Folded Reload
	buffer_load_dword v72, off, s[20:23], 0 offset:156 ; 4-byte Folded Reload
	s_waitcnt vmcnt(0)
	ds_write2_b64 v127, v[69:70], v[71:72] offset1:1
	buffer_load_dword v69, off, s[20:23], 0 offset:128 ; 4-byte Folded Reload
	buffer_load_dword v70, off, s[20:23], 0 offset:132 ; 4-byte Folded Reload
	buffer_load_dword v71, off, s[20:23], 0 offset:136 ; 4-byte Folded Reload
	buffer_load_dword v72, off, s[20:23], 0 offset:140 ; 4-byte Folded Reload
	s_waitcnt vmcnt(0)
	ds_write2_b64 v125, v[69:70], v[71:72] offset0:28 offset1:29
	buffer_load_dword v69, off, s[20:23], 0 offset:112 ; 4-byte Folded Reload
	buffer_load_dword v70, off, s[20:23], 0 offset:116 ; 4-byte Folded Reload
	buffer_load_dword v71, off, s[20:23], 0 offset:120 ; 4-byte Folded Reload
	buffer_load_dword v72, off, s[20:23], 0 offset:124 ; 4-byte Folded Reload
	s_waitcnt vmcnt(0)
	ds_write2_b64 v125, v[69:70], v[71:72] offset0:30 offset1:31
	;; [unrolled: 6-line block ×6, first 2 shown]
	ds_write2_b64 v125, v[117:118], v[119:120] offset0:40 offset1:41
	ds_write2_b64 v125, v[121:122], v[123:124] offset0:42 offset1:43
	;; [unrolled: 1-line block ×5, first 2 shown]
	buffer_load_dword v77, off, s[20:23], 0 offset:32 ; 4-byte Folded Reload
	buffer_load_dword v78, off, s[20:23], 0 offset:36 ; 4-byte Folded Reload
	buffer_load_dword v79, off, s[20:23], 0 offset:40 ; 4-byte Folded Reload
	buffer_load_dword v80, off, s[20:23], 0 offset:44 ; 4-byte Folded Reload
	v_mov_b32_e32 v69, v73
	v_mov_b32_e32 v70, v74
	;; [unrolled: 1-line block ×4, first 2 shown]
	s_waitcnt vmcnt(0)
	ds_write2_b64 v125, v[77:78], v[79:80] offset0:50 offset1:51
	buffer_load_dword v73, off, s[20:23], 0 offset:16 ; 4-byte Folded Reload
	buffer_load_dword v74, off, s[20:23], 0 offset:20 ; 4-byte Folded Reload
	;; [unrolled: 1-line block ×4, first 2 shown]
	s_waitcnt vmcnt(0)
	ds_write2_b64 v125, v[73:74], v[75:76] offset0:52 offset1:53
	v_mov_b32_e32 v76, v72
	v_mov_b32_e32 v75, v71
	v_mov_b32_e32 v74, v70
	v_mov_b32_e32 v73, v69
	buffer_load_dword v69, off, s[20:23], 0 ; 4-byte Folded Reload
	buffer_load_dword v70, off, s[20:23], 0 offset:4 ; 4-byte Folded Reload
	buffer_load_dword v71, off, s[20:23], 0 offset:8 ; 4-byte Folded Reload
	;; [unrolled: 1-line block ×3, first 2 shown]
	s_waitcnt vmcnt(0)
	ds_write2_b64 v125, v[69:70], v[71:72] offset0:54 offset1:55
	ds_write2_b64 v125, v[65:66], v[67:68] offset0:56 offset1:57
	;; [unrolled: 1-line block ×19, first 2 shown]
	ds_read2_b64 v[97:100], v127 offset1:1
	s_waitcnt lgkmcnt(0)
	v_cmp_neq_f64_e32 vcc, 0, v[97:98]
	v_cmp_neq_f64_e64 s[2:3], 0, v[99:100]
	s_or_b64 s[2:3], vcc, s[2:3]
	s_and_b64 exec, exec, s[2:3]
	s_cbranch_execz .LBB91_125
; %bb.120:
	v_cmp_ngt_f64_e64 s[2:3], |v[97:98]|, |v[99:100]|
                                        ; implicit-def: $vgpr101_vgpr102
	s_and_saveexec_b64 s[6:7], s[2:3]
	s_xor_b64 s[2:3], exec, s[6:7]
                                        ; implicit-def: $vgpr103_vgpr104
	s_cbranch_execz .LBB91_122
; %bb.121:
	v_div_scale_f64 v[101:102], s[6:7], v[99:100], v[99:100], v[97:98]
	v_rcp_f64_e32 v[103:104], v[101:102]
	v_fma_f64 v[105:106], -v[101:102], v[103:104], 1.0
	v_fma_f64 v[103:104], v[103:104], v[105:106], v[103:104]
	v_div_scale_f64 v[105:106], vcc, v[97:98], v[99:100], v[97:98]
	v_fma_f64 v[107:108], -v[101:102], v[103:104], 1.0
	v_fma_f64 v[103:104], v[103:104], v[107:108], v[103:104]
	v_mul_f64 v[107:108], v[105:106], v[103:104]
	v_fma_f64 v[101:102], -v[101:102], v[107:108], v[105:106]
	v_div_fmas_f64 v[101:102], v[101:102], v[103:104], v[107:108]
	v_div_fixup_f64 v[101:102], v[101:102], v[99:100], v[97:98]
	v_fma_f64 v[97:98], v[97:98], v[101:102], v[99:100]
	v_div_scale_f64 v[99:100], s[6:7], v[97:98], v[97:98], 1.0
	v_div_scale_f64 v[107:108], vcc, 1.0, v[97:98], 1.0
	v_rcp_f64_e32 v[103:104], v[99:100]
	v_fma_f64 v[105:106], -v[99:100], v[103:104], 1.0
	v_fma_f64 v[103:104], v[103:104], v[105:106], v[103:104]
	v_fma_f64 v[105:106], -v[99:100], v[103:104], 1.0
	v_fma_f64 v[103:104], v[103:104], v[105:106], v[103:104]
	v_mul_f64 v[105:106], v[107:108], v[103:104]
	v_fma_f64 v[99:100], -v[99:100], v[105:106], v[107:108]
	v_div_fmas_f64 v[99:100], v[99:100], v[103:104], v[105:106]
	v_div_fixup_f64 v[103:104], v[99:100], v[97:98], 1.0
                                        ; implicit-def: $vgpr97_vgpr98
	v_mul_f64 v[101:102], v[101:102], v[103:104]
	v_xor_b32_e32 v104, 0x80000000, v104
.LBB91_122:
	s_andn2_saveexec_b64 s[2:3], s[2:3]
	s_cbranch_execz .LBB91_124
; %bb.123:
	v_div_scale_f64 v[101:102], s[6:7], v[97:98], v[97:98], v[99:100]
	v_rcp_f64_e32 v[103:104], v[101:102]
	v_fma_f64 v[105:106], -v[101:102], v[103:104], 1.0
	v_fma_f64 v[103:104], v[103:104], v[105:106], v[103:104]
	v_div_scale_f64 v[105:106], vcc, v[99:100], v[97:98], v[99:100]
	v_fma_f64 v[107:108], -v[101:102], v[103:104], 1.0
	v_fma_f64 v[103:104], v[103:104], v[107:108], v[103:104]
	v_mul_f64 v[107:108], v[105:106], v[103:104]
	v_fma_f64 v[101:102], -v[101:102], v[107:108], v[105:106]
	v_div_fmas_f64 v[101:102], v[101:102], v[103:104], v[107:108]
	v_div_fixup_f64 v[103:104], v[101:102], v[97:98], v[99:100]
	v_fma_f64 v[97:98], v[99:100], v[103:104], v[97:98]
	v_div_scale_f64 v[99:100], s[6:7], v[97:98], v[97:98], 1.0
	v_div_scale_f64 v[107:108], vcc, 1.0, v[97:98], 1.0
	v_rcp_f64_e32 v[101:102], v[99:100]
	v_fma_f64 v[105:106], -v[99:100], v[101:102], 1.0
	v_fma_f64 v[101:102], v[101:102], v[105:106], v[101:102]
	v_fma_f64 v[105:106], -v[99:100], v[101:102], 1.0
	v_fma_f64 v[101:102], v[101:102], v[105:106], v[101:102]
	v_mul_f64 v[105:106], v[107:108], v[101:102]
	v_fma_f64 v[99:100], -v[99:100], v[105:106], v[107:108]
	v_div_fmas_f64 v[99:100], v[99:100], v[101:102], v[105:106]
	v_div_fixup_f64 v[101:102], v[99:100], v[97:98], 1.0
	v_mul_f64 v[103:104], v[103:104], -v[101:102]
.LBB91_124:
	s_or_b64 exec, exec, s[2:3]
	ds_write2_b64 v127, v[101:102], v[103:104] offset1:1
.LBB91_125:
	s_or_b64 exec, exec, s[4:5]
	s_waitcnt lgkmcnt(0)
	s_barrier
	ds_read2_b64 v[69:72], v127 offset1:1
	v_cmp_lt_u32_e32 vcc, 13, v0
	s_waitcnt lgkmcnt(0)
	buffer_store_dword v69, off, s[20:23], 0 offset:936 ; 4-byte Folded Spill
	s_nop 0
	buffer_store_dword v70, off, s[20:23], 0 offset:940 ; 4-byte Folded Spill
	buffer_store_dword v71, off, s[20:23], 0 offset:944 ; 4-byte Folded Spill
	;; [unrolled: 1-line block ×3, first 2 shown]
	s_and_saveexec_b64 s[2:3], vcc
	s_cbranch_execz .LBB91_127
; %bb.126:
	buffer_load_dword v103, off, s[20:23], 0 offset:144 ; 4-byte Folded Reload
	buffer_load_dword v104, off, s[20:23], 0 offset:148 ; 4-byte Folded Reload
	buffer_load_dword v105, off, s[20:23], 0 offset:152 ; 4-byte Folded Reload
	buffer_load_dword v106, off, s[20:23], 0 offset:156 ; 4-byte Folded Reload
	buffer_load_dword v69, off, s[20:23], 0 offset:936 ; 4-byte Folded Reload
	buffer_load_dword v70, off, s[20:23], 0 offset:940 ; 4-byte Folded Reload
	buffer_load_dword v71, off, s[20:23], 0 offset:944 ; 4-byte Folded Reload
	buffer_load_dword v72, off, s[20:23], 0 offset:948 ; 4-byte Folded Reload
	s_waitcnt vmcnt(2)
	v_mul_f64 v[99:100], v[69:70], v[105:106]
	s_waitcnt vmcnt(0)
	v_mul_f64 v[97:98], v[71:72], v[105:106]
	v_fma_f64 v[105:106], v[71:72], v[103:104], v[99:100]
	ds_read2_b64 v[99:102], v125 offset0:28 offset1:29
	v_fma_f64 v[97:98], v[69:70], v[103:104], -v[97:98]
	buffer_load_dword v69, off, s[20:23], 0 offset:128 ; 4-byte Folded Reload
	buffer_load_dword v70, off, s[20:23], 0 offset:132 ; 4-byte Folded Reload
	buffer_load_dword v71, off, s[20:23], 0 offset:136 ; 4-byte Folded Reload
	buffer_load_dword v72, off, s[20:23], 0 offset:140 ; 4-byte Folded Reload
	s_waitcnt lgkmcnt(0)
	v_mul_f64 v[103:104], v[101:102], v[105:106]
	v_fma_f64 v[103:104], v[99:100], v[97:98], -v[103:104]
	v_mul_f64 v[99:100], v[99:100], v[105:106]
	v_fma_f64 v[99:100], v[101:102], v[97:98], v[99:100]
	s_waitcnt vmcnt(2)
	v_add_f64 v[69:70], v[69:70], -v[103:104]
	s_waitcnt vmcnt(0)
	v_add_f64 v[71:72], v[71:72], -v[99:100]
	buffer_store_dword v69, off, s[20:23], 0 offset:128 ; 4-byte Folded Spill
	s_nop 0
	buffer_store_dword v70, off, s[20:23], 0 offset:132 ; 4-byte Folded Spill
	buffer_store_dword v71, off, s[20:23], 0 offset:136 ; 4-byte Folded Spill
	buffer_store_dword v72, off, s[20:23], 0 offset:140 ; 4-byte Folded Spill
	ds_read2_b64 v[99:102], v125 offset0:30 offset1:31
	buffer_load_dword v69, off, s[20:23], 0 offset:112 ; 4-byte Folded Reload
	buffer_load_dword v70, off, s[20:23], 0 offset:116 ; 4-byte Folded Reload
	buffer_load_dword v71, off, s[20:23], 0 offset:120 ; 4-byte Folded Reload
	buffer_load_dword v72, off, s[20:23], 0 offset:124 ; 4-byte Folded Reload
	s_waitcnt lgkmcnt(0)
	v_mul_f64 v[103:104], v[101:102], v[105:106]
	v_fma_f64 v[103:104], v[99:100], v[97:98], -v[103:104]
	v_mul_f64 v[99:100], v[99:100], v[105:106]
	v_fma_f64 v[99:100], v[101:102], v[97:98], v[99:100]
	s_waitcnt vmcnt(2)
	v_add_f64 v[69:70], v[69:70], -v[103:104]
	s_waitcnt vmcnt(0)
	v_add_f64 v[71:72], v[71:72], -v[99:100]
	buffer_store_dword v69, off, s[20:23], 0 offset:112 ; 4-byte Folded Spill
	s_nop 0
	buffer_store_dword v70, off, s[20:23], 0 offset:116 ; 4-byte Folded Spill
	buffer_store_dword v71, off, s[20:23], 0 offset:120 ; 4-byte Folded Spill
	buffer_store_dword v72, off, s[20:23], 0 offset:124 ; 4-byte Folded Spill
	ds_read2_b64 v[99:102], v125 offset0:32 offset1:33
	;; [unrolled: 19-line block ×6, first 2 shown]
	v_mov_b32_e32 v69, v73
	v_mov_b32_e32 v70, v74
	;; [unrolled: 1-line block ×4, first 2 shown]
	s_waitcnt lgkmcnt(0)
	v_mul_f64 v[103:104], v[101:102], v[105:106]
	v_fma_f64 v[103:104], v[99:100], v[97:98], -v[103:104]
	v_mul_f64 v[99:100], v[99:100], v[105:106]
	v_add_f64 v[117:118], v[117:118], -v[103:104]
	v_fma_f64 v[99:100], v[101:102], v[97:98], v[99:100]
	v_add_f64 v[119:120], v[119:120], -v[99:100]
	ds_read2_b64 v[99:102], v125 offset0:42 offset1:43
	s_waitcnt lgkmcnt(0)
	v_mul_f64 v[103:104], v[101:102], v[105:106]
	v_fma_f64 v[103:104], v[99:100], v[97:98], -v[103:104]
	v_mul_f64 v[99:100], v[99:100], v[105:106]
	v_add_f64 v[121:122], v[121:122], -v[103:104]
	v_fma_f64 v[99:100], v[101:102], v[97:98], v[99:100]
	v_add_f64 v[123:124], v[123:124], -v[99:100]
	ds_read2_b64 v[99:102], v125 offset0:44 offset1:45
	;; [unrolled: 8-line block ×5, first 2 shown]
	buffer_load_dword v77, off, s[20:23], 0 offset:32 ; 4-byte Folded Reload
	buffer_load_dword v78, off, s[20:23], 0 offset:36 ; 4-byte Folded Reload
	;; [unrolled: 1-line block ×4, first 2 shown]
	s_waitcnt lgkmcnt(0)
	v_mul_f64 v[103:104], v[101:102], v[105:106]
	v_fma_f64 v[103:104], v[99:100], v[97:98], -v[103:104]
	v_mul_f64 v[99:100], v[99:100], v[105:106]
	v_fma_f64 v[99:100], v[101:102], v[97:98], v[99:100]
	s_waitcnt vmcnt(2)
	v_add_f64 v[77:78], v[77:78], -v[103:104]
	s_waitcnt vmcnt(0)
	v_add_f64 v[79:80], v[79:80], -v[99:100]
	buffer_store_dword v77, off, s[20:23], 0 offset:32 ; 4-byte Folded Spill
	s_nop 0
	buffer_store_dword v78, off, s[20:23], 0 offset:36 ; 4-byte Folded Spill
	buffer_store_dword v79, off, s[20:23], 0 offset:40 ; 4-byte Folded Spill
	;; [unrolled: 1-line block ×3, first 2 shown]
	ds_read2_b64 v[99:102], v125 offset0:52 offset1:53
	buffer_load_dword v73, off, s[20:23], 0 offset:16 ; 4-byte Folded Reload
	buffer_load_dword v74, off, s[20:23], 0 offset:20 ; 4-byte Folded Reload
	;; [unrolled: 1-line block ×4, first 2 shown]
	s_waitcnt lgkmcnt(0)
	v_mul_f64 v[103:104], v[101:102], v[105:106]
	v_fma_f64 v[103:104], v[99:100], v[97:98], -v[103:104]
	v_mul_f64 v[99:100], v[99:100], v[105:106]
	v_fma_f64 v[99:100], v[101:102], v[97:98], v[99:100]
	s_waitcnt vmcnt(2)
	v_add_f64 v[73:74], v[73:74], -v[103:104]
	s_waitcnt vmcnt(0)
	v_add_f64 v[75:76], v[75:76], -v[99:100]
	buffer_store_dword v73, off, s[20:23], 0 offset:16 ; 4-byte Folded Spill
	s_nop 0
	buffer_store_dword v74, off, s[20:23], 0 offset:20 ; 4-byte Folded Spill
	buffer_store_dword v75, off, s[20:23], 0 offset:24 ; 4-byte Folded Spill
	;; [unrolled: 1-line block ×3, first 2 shown]
	v_mov_b32_e32 v76, v72
	v_mov_b32_e32 v75, v71
	;; [unrolled: 1-line block ×4, first 2 shown]
	ds_read2_b64 v[99:102], v125 offset0:54 offset1:55
	buffer_load_dword v69, off, s[20:23], 0 ; 4-byte Folded Reload
	buffer_load_dword v70, off, s[20:23], 0 offset:4 ; 4-byte Folded Reload
	buffer_load_dword v71, off, s[20:23], 0 offset:8 ; 4-byte Folded Reload
	;; [unrolled: 1-line block ×3, first 2 shown]
	s_waitcnt lgkmcnt(0)
	v_mul_f64 v[103:104], v[101:102], v[105:106]
	v_fma_f64 v[103:104], v[99:100], v[97:98], -v[103:104]
	v_mul_f64 v[99:100], v[99:100], v[105:106]
	v_fma_f64 v[99:100], v[101:102], v[97:98], v[99:100]
	s_waitcnt vmcnt(2)
	v_add_f64 v[69:70], v[69:70], -v[103:104]
	s_waitcnt vmcnt(0)
	v_add_f64 v[71:72], v[71:72], -v[99:100]
	buffer_store_dword v69, off, s[20:23], 0 ; 4-byte Folded Spill
	s_nop 0
	buffer_store_dword v70, off, s[20:23], 0 offset:4 ; 4-byte Folded Spill
	buffer_store_dword v71, off, s[20:23], 0 offset:8 ; 4-byte Folded Spill
	;; [unrolled: 1-line block ×3, first 2 shown]
	ds_read2_b64 v[99:102], v125 offset0:56 offset1:57
	s_waitcnt lgkmcnt(0)
	v_mul_f64 v[103:104], v[101:102], v[105:106]
	v_fma_f64 v[103:104], v[99:100], v[97:98], -v[103:104]
	v_mul_f64 v[99:100], v[99:100], v[105:106]
	v_add_f64 v[65:66], v[65:66], -v[103:104]
	v_fma_f64 v[99:100], v[101:102], v[97:98], v[99:100]
	v_add_f64 v[67:68], v[67:68], -v[99:100]
	ds_read2_b64 v[99:102], v125 offset0:58 offset1:59
	s_waitcnt lgkmcnt(0)
	v_mul_f64 v[103:104], v[101:102], v[105:106]
	v_fma_f64 v[103:104], v[99:100], v[97:98], -v[103:104]
	v_mul_f64 v[99:100], v[99:100], v[105:106]
	v_add_f64 v[61:62], v[61:62], -v[103:104]
	v_fma_f64 v[99:100], v[101:102], v[97:98], v[99:100]
	v_add_f64 v[63:64], v[63:64], -v[99:100]
	;; [unrolled: 8-line block ×17, first 2 shown]
	ds_read2_b64 v[99:102], v125 offset0:90 offset1:91
	s_waitcnt lgkmcnt(0)
	v_mul_f64 v[103:104], v[101:102], v[105:106]
	v_fma_f64 v[103:104], v[99:100], v[97:98], -v[103:104]
	v_mul_f64 v[99:100], v[99:100], v[105:106]
	v_add_f64 v[73:74], v[73:74], -v[103:104]
	v_fma_f64 v[99:100], v[101:102], v[97:98], v[99:100]
	v_mov_b32_e32 v104, v98
	v_mov_b32_e32 v103, v97
	buffer_store_dword v103, off, s[20:23], 0 offset:144 ; 4-byte Folded Spill
	s_nop 0
	buffer_store_dword v104, off, s[20:23], 0 offset:148 ; 4-byte Folded Spill
	buffer_store_dword v105, off, s[20:23], 0 offset:152 ; 4-byte Folded Spill
	;; [unrolled: 1-line block ×3, first 2 shown]
	v_add_f64 v[75:76], v[75:76], -v[99:100]
.LBB91_127:
	s_or_b64 exec, exec, s[2:3]
	v_cmp_eq_u32_e32 vcc, 14, v0
	s_waitcnt vmcnt(0)
	s_barrier
	s_and_saveexec_b64 s[4:5], vcc
	s_cbranch_execz .LBB91_134
; %bb.128:
	buffer_load_dword v69, off, s[20:23], 0 offset:128 ; 4-byte Folded Reload
	buffer_load_dword v70, off, s[20:23], 0 offset:132 ; 4-byte Folded Reload
	;; [unrolled: 1-line block ×4, first 2 shown]
	s_waitcnt vmcnt(0)
	ds_write2_b64 v127, v[69:70], v[71:72] offset1:1
	buffer_load_dword v69, off, s[20:23], 0 offset:112 ; 4-byte Folded Reload
	buffer_load_dword v70, off, s[20:23], 0 offset:116 ; 4-byte Folded Reload
	buffer_load_dword v71, off, s[20:23], 0 offset:120 ; 4-byte Folded Reload
	buffer_load_dword v72, off, s[20:23], 0 offset:124 ; 4-byte Folded Reload
	s_waitcnt vmcnt(0)
	ds_write2_b64 v125, v[69:70], v[71:72] offset0:30 offset1:31
	buffer_load_dword v69, off, s[20:23], 0 offset:96 ; 4-byte Folded Reload
	buffer_load_dword v70, off, s[20:23], 0 offset:100 ; 4-byte Folded Reload
	buffer_load_dword v71, off, s[20:23], 0 offset:104 ; 4-byte Folded Reload
	buffer_load_dword v72, off, s[20:23], 0 offset:108 ; 4-byte Folded Reload
	s_waitcnt vmcnt(0)
	ds_write2_b64 v125, v[69:70], v[71:72] offset0:32 offset1:33
	;; [unrolled: 6-line block ×5, first 2 shown]
	ds_write2_b64 v125, v[117:118], v[119:120] offset0:40 offset1:41
	ds_write2_b64 v125, v[121:122], v[123:124] offset0:42 offset1:43
	;; [unrolled: 1-line block ×5, first 2 shown]
	buffer_load_dword v77, off, s[20:23], 0 offset:32 ; 4-byte Folded Reload
	buffer_load_dword v78, off, s[20:23], 0 offset:36 ; 4-byte Folded Reload
	;; [unrolled: 1-line block ×4, first 2 shown]
	v_mov_b32_e32 v69, v73
	v_mov_b32_e32 v70, v74
	;; [unrolled: 1-line block ×4, first 2 shown]
	s_waitcnt vmcnt(0)
	ds_write2_b64 v125, v[77:78], v[79:80] offset0:50 offset1:51
	buffer_load_dword v73, off, s[20:23], 0 offset:16 ; 4-byte Folded Reload
	buffer_load_dword v74, off, s[20:23], 0 offset:20 ; 4-byte Folded Reload
	;; [unrolled: 1-line block ×4, first 2 shown]
	s_waitcnt vmcnt(0)
	ds_write2_b64 v125, v[73:74], v[75:76] offset0:52 offset1:53
	v_mov_b32_e32 v76, v72
	v_mov_b32_e32 v75, v71
	;; [unrolled: 1-line block ×4, first 2 shown]
	buffer_load_dword v69, off, s[20:23], 0 ; 4-byte Folded Reload
	buffer_load_dword v70, off, s[20:23], 0 offset:4 ; 4-byte Folded Reload
	buffer_load_dword v71, off, s[20:23], 0 offset:8 ; 4-byte Folded Reload
	;; [unrolled: 1-line block ×3, first 2 shown]
	s_waitcnt vmcnt(0)
	ds_write2_b64 v125, v[69:70], v[71:72] offset0:54 offset1:55
	ds_write2_b64 v125, v[65:66], v[67:68] offset0:56 offset1:57
	;; [unrolled: 1-line block ×19, first 2 shown]
	ds_read2_b64 v[97:100], v127 offset1:1
	s_waitcnt lgkmcnt(0)
	v_cmp_neq_f64_e32 vcc, 0, v[97:98]
	v_cmp_neq_f64_e64 s[2:3], 0, v[99:100]
	s_or_b64 s[2:3], vcc, s[2:3]
	s_and_b64 exec, exec, s[2:3]
	s_cbranch_execz .LBB91_134
; %bb.129:
	v_cmp_ngt_f64_e64 s[2:3], |v[97:98]|, |v[99:100]|
                                        ; implicit-def: $vgpr101_vgpr102
	s_and_saveexec_b64 s[6:7], s[2:3]
	s_xor_b64 s[2:3], exec, s[6:7]
                                        ; implicit-def: $vgpr103_vgpr104
	s_cbranch_execz .LBB91_131
; %bb.130:
	v_div_scale_f64 v[101:102], s[6:7], v[99:100], v[99:100], v[97:98]
	v_rcp_f64_e32 v[103:104], v[101:102]
	v_fma_f64 v[105:106], -v[101:102], v[103:104], 1.0
	v_fma_f64 v[103:104], v[103:104], v[105:106], v[103:104]
	v_div_scale_f64 v[105:106], vcc, v[97:98], v[99:100], v[97:98]
	v_fma_f64 v[107:108], -v[101:102], v[103:104], 1.0
	v_fma_f64 v[103:104], v[103:104], v[107:108], v[103:104]
	v_mul_f64 v[107:108], v[105:106], v[103:104]
	v_fma_f64 v[101:102], -v[101:102], v[107:108], v[105:106]
	v_div_fmas_f64 v[101:102], v[101:102], v[103:104], v[107:108]
	v_div_fixup_f64 v[101:102], v[101:102], v[99:100], v[97:98]
	v_fma_f64 v[97:98], v[97:98], v[101:102], v[99:100]
	v_div_scale_f64 v[99:100], s[6:7], v[97:98], v[97:98], 1.0
	v_div_scale_f64 v[107:108], vcc, 1.0, v[97:98], 1.0
	v_rcp_f64_e32 v[103:104], v[99:100]
	v_fma_f64 v[105:106], -v[99:100], v[103:104], 1.0
	v_fma_f64 v[103:104], v[103:104], v[105:106], v[103:104]
	v_fma_f64 v[105:106], -v[99:100], v[103:104], 1.0
	v_fma_f64 v[103:104], v[103:104], v[105:106], v[103:104]
	v_mul_f64 v[105:106], v[107:108], v[103:104]
	v_fma_f64 v[99:100], -v[99:100], v[105:106], v[107:108]
	v_div_fmas_f64 v[99:100], v[99:100], v[103:104], v[105:106]
	v_div_fixup_f64 v[103:104], v[99:100], v[97:98], 1.0
                                        ; implicit-def: $vgpr97_vgpr98
	v_mul_f64 v[101:102], v[101:102], v[103:104]
	v_xor_b32_e32 v104, 0x80000000, v104
.LBB91_131:
	s_andn2_saveexec_b64 s[2:3], s[2:3]
	s_cbranch_execz .LBB91_133
; %bb.132:
	v_div_scale_f64 v[101:102], s[6:7], v[97:98], v[97:98], v[99:100]
	v_rcp_f64_e32 v[103:104], v[101:102]
	v_fma_f64 v[105:106], -v[101:102], v[103:104], 1.0
	v_fma_f64 v[103:104], v[103:104], v[105:106], v[103:104]
	v_div_scale_f64 v[105:106], vcc, v[99:100], v[97:98], v[99:100]
	v_fma_f64 v[107:108], -v[101:102], v[103:104], 1.0
	v_fma_f64 v[103:104], v[103:104], v[107:108], v[103:104]
	v_mul_f64 v[107:108], v[105:106], v[103:104]
	v_fma_f64 v[101:102], -v[101:102], v[107:108], v[105:106]
	v_div_fmas_f64 v[101:102], v[101:102], v[103:104], v[107:108]
	v_div_fixup_f64 v[103:104], v[101:102], v[97:98], v[99:100]
	v_fma_f64 v[97:98], v[99:100], v[103:104], v[97:98]
	v_div_scale_f64 v[99:100], s[6:7], v[97:98], v[97:98], 1.0
	v_div_scale_f64 v[107:108], vcc, 1.0, v[97:98], 1.0
	v_rcp_f64_e32 v[101:102], v[99:100]
	v_fma_f64 v[105:106], -v[99:100], v[101:102], 1.0
	v_fma_f64 v[101:102], v[101:102], v[105:106], v[101:102]
	v_fma_f64 v[105:106], -v[99:100], v[101:102], 1.0
	v_fma_f64 v[101:102], v[101:102], v[105:106], v[101:102]
	v_mul_f64 v[105:106], v[107:108], v[101:102]
	v_fma_f64 v[99:100], -v[99:100], v[105:106], v[107:108]
	v_div_fmas_f64 v[99:100], v[99:100], v[101:102], v[105:106]
	v_div_fixup_f64 v[101:102], v[99:100], v[97:98], 1.0
	v_mul_f64 v[103:104], v[103:104], -v[101:102]
.LBB91_133:
	s_or_b64 exec, exec, s[2:3]
	ds_write2_b64 v127, v[101:102], v[103:104] offset1:1
.LBB91_134:
	s_or_b64 exec, exec, s[4:5]
	s_waitcnt lgkmcnt(0)
	s_barrier
	ds_read2_b64 v[69:72], v127 offset1:1
	v_cmp_lt_u32_e32 vcc, 14, v0
	s_waitcnt lgkmcnt(0)
	buffer_store_dword v69, off, s[20:23], 0 offset:952 ; 4-byte Folded Spill
	s_nop 0
	buffer_store_dword v70, off, s[20:23], 0 offset:956 ; 4-byte Folded Spill
	buffer_store_dword v71, off, s[20:23], 0 offset:960 ; 4-byte Folded Spill
	;; [unrolled: 1-line block ×3, first 2 shown]
	s_and_saveexec_b64 s[2:3], vcc
	s_cbranch_execz .LBB91_136
; %bb.135:
	buffer_load_dword v103, off, s[20:23], 0 offset:128 ; 4-byte Folded Reload
	buffer_load_dword v104, off, s[20:23], 0 offset:132 ; 4-byte Folded Reload
	;; [unrolled: 1-line block ×8, first 2 shown]
	s_waitcnt vmcnt(2)
	v_mul_f64 v[99:100], v[69:70], v[105:106]
	s_waitcnt vmcnt(0)
	v_mul_f64 v[97:98], v[71:72], v[105:106]
	v_fma_f64 v[105:106], v[71:72], v[103:104], v[99:100]
	ds_read2_b64 v[99:102], v125 offset0:30 offset1:31
	v_fma_f64 v[97:98], v[69:70], v[103:104], -v[97:98]
	buffer_load_dword v69, off, s[20:23], 0 offset:112 ; 4-byte Folded Reload
	buffer_load_dword v70, off, s[20:23], 0 offset:116 ; 4-byte Folded Reload
	buffer_load_dword v71, off, s[20:23], 0 offset:120 ; 4-byte Folded Reload
	buffer_load_dword v72, off, s[20:23], 0 offset:124 ; 4-byte Folded Reload
	s_waitcnt lgkmcnt(0)
	v_mul_f64 v[103:104], v[101:102], v[105:106]
	v_fma_f64 v[103:104], v[99:100], v[97:98], -v[103:104]
	v_mul_f64 v[99:100], v[99:100], v[105:106]
	v_fma_f64 v[99:100], v[101:102], v[97:98], v[99:100]
	s_waitcnt vmcnt(2)
	v_add_f64 v[69:70], v[69:70], -v[103:104]
	s_waitcnt vmcnt(0)
	v_add_f64 v[71:72], v[71:72], -v[99:100]
	buffer_store_dword v69, off, s[20:23], 0 offset:112 ; 4-byte Folded Spill
	s_nop 0
	buffer_store_dword v70, off, s[20:23], 0 offset:116 ; 4-byte Folded Spill
	buffer_store_dword v71, off, s[20:23], 0 offset:120 ; 4-byte Folded Spill
	buffer_store_dword v72, off, s[20:23], 0 offset:124 ; 4-byte Folded Spill
	ds_read2_b64 v[99:102], v125 offset0:32 offset1:33
	buffer_load_dword v69, off, s[20:23], 0 offset:96 ; 4-byte Folded Reload
	buffer_load_dword v70, off, s[20:23], 0 offset:100 ; 4-byte Folded Reload
	buffer_load_dword v71, off, s[20:23], 0 offset:104 ; 4-byte Folded Reload
	buffer_load_dword v72, off, s[20:23], 0 offset:108 ; 4-byte Folded Reload
	s_waitcnt lgkmcnt(0)
	v_mul_f64 v[103:104], v[101:102], v[105:106]
	v_fma_f64 v[103:104], v[99:100], v[97:98], -v[103:104]
	v_mul_f64 v[99:100], v[99:100], v[105:106]
	v_fma_f64 v[99:100], v[101:102], v[97:98], v[99:100]
	s_waitcnt vmcnt(2)
	v_add_f64 v[69:70], v[69:70], -v[103:104]
	s_waitcnt vmcnt(0)
	v_add_f64 v[71:72], v[71:72], -v[99:100]
	buffer_store_dword v69, off, s[20:23], 0 offset:96 ; 4-byte Folded Spill
	s_nop 0
	buffer_store_dword v70, off, s[20:23], 0 offset:100 ; 4-byte Folded Spill
	buffer_store_dword v71, off, s[20:23], 0 offset:104 ; 4-byte Folded Spill
	buffer_store_dword v72, off, s[20:23], 0 offset:108 ; 4-byte Folded Spill
	ds_read2_b64 v[99:102], v125 offset0:34 offset1:35
	;; [unrolled: 19-line block ×5, first 2 shown]
	v_mov_b32_e32 v69, v73
	v_mov_b32_e32 v70, v74
	;; [unrolled: 1-line block ×4, first 2 shown]
	s_waitcnt lgkmcnt(0)
	v_mul_f64 v[103:104], v[101:102], v[105:106]
	v_fma_f64 v[103:104], v[99:100], v[97:98], -v[103:104]
	v_mul_f64 v[99:100], v[99:100], v[105:106]
	v_add_f64 v[117:118], v[117:118], -v[103:104]
	v_fma_f64 v[99:100], v[101:102], v[97:98], v[99:100]
	v_add_f64 v[119:120], v[119:120], -v[99:100]
	ds_read2_b64 v[99:102], v125 offset0:42 offset1:43
	s_waitcnt lgkmcnt(0)
	v_mul_f64 v[103:104], v[101:102], v[105:106]
	v_fma_f64 v[103:104], v[99:100], v[97:98], -v[103:104]
	v_mul_f64 v[99:100], v[99:100], v[105:106]
	v_add_f64 v[121:122], v[121:122], -v[103:104]
	v_fma_f64 v[99:100], v[101:102], v[97:98], v[99:100]
	v_add_f64 v[123:124], v[123:124], -v[99:100]
	ds_read2_b64 v[99:102], v125 offset0:44 offset1:45
	;; [unrolled: 8-line block ×5, first 2 shown]
	buffer_load_dword v77, off, s[20:23], 0 offset:32 ; 4-byte Folded Reload
	buffer_load_dword v78, off, s[20:23], 0 offset:36 ; 4-byte Folded Reload
	;; [unrolled: 1-line block ×4, first 2 shown]
	s_waitcnt lgkmcnt(0)
	v_mul_f64 v[103:104], v[101:102], v[105:106]
	v_fma_f64 v[103:104], v[99:100], v[97:98], -v[103:104]
	v_mul_f64 v[99:100], v[99:100], v[105:106]
	v_fma_f64 v[99:100], v[101:102], v[97:98], v[99:100]
	s_waitcnt vmcnt(2)
	v_add_f64 v[77:78], v[77:78], -v[103:104]
	s_waitcnt vmcnt(0)
	v_add_f64 v[79:80], v[79:80], -v[99:100]
	buffer_store_dword v77, off, s[20:23], 0 offset:32 ; 4-byte Folded Spill
	s_nop 0
	buffer_store_dword v78, off, s[20:23], 0 offset:36 ; 4-byte Folded Spill
	buffer_store_dword v79, off, s[20:23], 0 offset:40 ; 4-byte Folded Spill
	;; [unrolled: 1-line block ×3, first 2 shown]
	ds_read2_b64 v[99:102], v125 offset0:52 offset1:53
	buffer_load_dword v73, off, s[20:23], 0 offset:16 ; 4-byte Folded Reload
	buffer_load_dword v74, off, s[20:23], 0 offset:20 ; 4-byte Folded Reload
	;; [unrolled: 1-line block ×4, first 2 shown]
	s_waitcnt lgkmcnt(0)
	v_mul_f64 v[103:104], v[101:102], v[105:106]
	v_fma_f64 v[103:104], v[99:100], v[97:98], -v[103:104]
	v_mul_f64 v[99:100], v[99:100], v[105:106]
	v_fma_f64 v[99:100], v[101:102], v[97:98], v[99:100]
	s_waitcnt vmcnt(2)
	v_add_f64 v[73:74], v[73:74], -v[103:104]
	s_waitcnt vmcnt(0)
	v_add_f64 v[75:76], v[75:76], -v[99:100]
	buffer_store_dword v73, off, s[20:23], 0 offset:16 ; 4-byte Folded Spill
	s_nop 0
	buffer_store_dword v74, off, s[20:23], 0 offset:20 ; 4-byte Folded Spill
	buffer_store_dword v75, off, s[20:23], 0 offset:24 ; 4-byte Folded Spill
	;; [unrolled: 1-line block ×3, first 2 shown]
	v_mov_b32_e32 v76, v72
	v_mov_b32_e32 v75, v71
	;; [unrolled: 1-line block ×4, first 2 shown]
	ds_read2_b64 v[99:102], v125 offset0:54 offset1:55
	buffer_load_dword v69, off, s[20:23], 0 ; 4-byte Folded Reload
	buffer_load_dword v70, off, s[20:23], 0 offset:4 ; 4-byte Folded Reload
	buffer_load_dword v71, off, s[20:23], 0 offset:8 ; 4-byte Folded Reload
	;; [unrolled: 1-line block ×3, first 2 shown]
	s_waitcnt lgkmcnt(0)
	v_mul_f64 v[103:104], v[101:102], v[105:106]
	v_fma_f64 v[103:104], v[99:100], v[97:98], -v[103:104]
	v_mul_f64 v[99:100], v[99:100], v[105:106]
	v_fma_f64 v[99:100], v[101:102], v[97:98], v[99:100]
	s_waitcnt vmcnt(2)
	v_add_f64 v[69:70], v[69:70], -v[103:104]
	s_waitcnt vmcnt(0)
	v_add_f64 v[71:72], v[71:72], -v[99:100]
	buffer_store_dword v69, off, s[20:23], 0 ; 4-byte Folded Spill
	s_nop 0
	buffer_store_dword v70, off, s[20:23], 0 offset:4 ; 4-byte Folded Spill
	buffer_store_dword v71, off, s[20:23], 0 offset:8 ; 4-byte Folded Spill
	buffer_store_dword v72, off, s[20:23], 0 offset:12 ; 4-byte Folded Spill
	ds_read2_b64 v[99:102], v125 offset0:56 offset1:57
	s_waitcnt lgkmcnt(0)
	v_mul_f64 v[103:104], v[101:102], v[105:106]
	v_fma_f64 v[103:104], v[99:100], v[97:98], -v[103:104]
	v_mul_f64 v[99:100], v[99:100], v[105:106]
	v_add_f64 v[65:66], v[65:66], -v[103:104]
	v_fma_f64 v[99:100], v[101:102], v[97:98], v[99:100]
	v_add_f64 v[67:68], v[67:68], -v[99:100]
	ds_read2_b64 v[99:102], v125 offset0:58 offset1:59
	s_waitcnt lgkmcnt(0)
	v_mul_f64 v[103:104], v[101:102], v[105:106]
	v_fma_f64 v[103:104], v[99:100], v[97:98], -v[103:104]
	v_mul_f64 v[99:100], v[99:100], v[105:106]
	v_add_f64 v[61:62], v[61:62], -v[103:104]
	v_fma_f64 v[99:100], v[101:102], v[97:98], v[99:100]
	v_add_f64 v[63:64], v[63:64], -v[99:100]
	;; [unrolled: 8-line block ×17, first 2 shown]
	ds_read2_b64 v[99:102], v125 offset0:90 offset1:91
	s_waitcnt lgkmcnt(0)
	v_mul_f64 v[103:104], v[101:102], v[105:106]
	v_fma_f64 v[103:104], v[99:100], v[97:98], -v[103:104]
	v_mul_f64 v[99:100], v[99:100], v[105:106]
	v_add_f64 v[73:74], v[73:74], -v[103:104]
	v_fma_f64 v[99:100], v[101:102], v[97:98], v[99:100]
	v_mov_b32_e32 v104, v98
	v_mov_b32_e32 v103, v97
	buffer_store_dword v103, off, s[20:23], 0 offset:128 ; 4-byte Folded Spill
	s_nop 0
	buffer_store_dword v104, off, s[20:23], 0 offset:132 ; 4-byte Folded Spill
	buffer_store_dword v105, off, s[20:23], 0 offset:136 ; 4-byte Folded Spill
	;; [unrolled: 1-line block ×3, first 2 shown]
	v_add_f64 v[75:76], v[75:76], -v[99:100]
.LBB91_136:
	s_or_b64 exec, exec, s[2:3]
	v_cmp_eq_u32_e32 vcc, 15, v0
	s_waitcnt vmcnt(0)
	s_barrier
	s_and_saveexec_b64 s[4:5], vcc
	s_cbranch_execz .LBB91_143
; %bb.137:
	buffer_load_dword v69, off, s[20:23], 0 offset:112 ; 4-byte Folded Reload
	buffer_load_dword v70, off, s[20:23], 0 offset:116 ; 4-byte Folded Reload
	;; [unrolled: 1-line block ×4, first 2 shown]
	s_waitcnt vmcnt(0)
	ds_write2_b64 v127, v[69:70], v[71:72] offset1:1
	buffer_load_dword v69, off, s[20:23], 0 offset:96 ; 4-byte Folded Reload
	buffer_load_dword v70, off, s[20:23], 0 offset:100 ; 4-byte Folded Reload
	buffer_load_dword v71, off, s[20:23], 0 offset:104 ; 4-byte Folded Reload
	buffer_load_dword v72, off, s[20:23], 0 offset:108 ; 4-byte Folded Reload
	s_waitcnt vmcnt(0)
	ds_write2_b64 v125, v[69:70], v[71:72] offset0:32 offset1:33
	buffer_load_dword v69, off, s[20:23], 0 offset:80 ; 4-byte Folded Reload
	buffer_load_dword v70, off, s[20:23], 0 offset:84 ; 4-byte Folded Reload
	buffer_load_dword v71, off, s[20:23], 0 offset:88 ; 4-byte Folded Reload
	buffer_load_dword v72, off, s[20:23], 0 offset:92 ; 4-byte Folded Reload
	s_waitcnt vmcnt(0)
	ds_write2_b64 v125, v[69:70], v[71:72] offset0:34 offset1:35
	;; [unrolled: 6-line block ×4, first 2 shown]
	ds_write2_b64 v125, v[117:118], v[119:120] offset0:40 offset1:41
	ds_write2_b64 v125, v[121:122], v[123:124] offset0:42 offset1:43
	;; [unrolled: 1-line block ×5, first 2 shown]
	buffer_load_dword v77, off, s[20:23], 0 offset:32 ; 4-byte Folded Reload
	buffer_load_dword v78, off, s[20:23], 0 offset:36 ; 4-byte Folded Reload
	;; [unrolled: 1-line block ×4, first 2 shown]
	v_mov_b32_e32 v69, v73
	v_mov_b32_e32 v70, v74
	;; [unrolled: 1-line block ×4, first 2 shown]
	s_waitcnt vmcnt(0)
	ds_write2_b64 v125, v[77:78], v[79:80] offset0:50 offset1:51
	buffer_load_dword v73, off, s[20:23], 0 offset:16 ; 4-byte Folded Reload
	buffer_load_dword v74, off, s[20:23], 0 offset:20 ; 4-byte Folded Reload
	;; [unrolled: 1-line block ×4, first 2 shown]
	s_waitcnt vmcnt(0)
	ds_write2_b64 v125, v[73:74], v[75:76] offset0:52 offset1:53
	v_mov_b32_e32 v76, v72
	v_mov_b32_e32 v75, v71
	;; [unrolled: 1-line block ×4, first 2 shown]
	buffer_load_dword v69, off, s[20:23], 0 ; 4-byte Folded Reload
	buffer_load_dword v70, off, s[20:23], 0 offset:4 ; 4-byte Folded Reload
	buffer_load_dword v71, off, s[20:23], 0 offset:8 ; 4-byte Folded Reload
	;; [unrolled: 1-line block ×3, first 2 shown]
	s_waitcnt vmcnt(0)
	ds_write2_b64 v125, v[69:70], v[71:72] offset0:54 offset1:55
	ds_write2_b64 v125, v[65:66], v[67:68] offset0:56 offset1:57
	;; [unrolled: 1-line block ×19, first 2 shown]
	ds_read2_b64 v[97:100], v127 offset1:1
	s_waitcnt lgkmcnt(0)
	v_cmp_neq_f64_e32 vcc, 0, v[97:98]
	v_cmp_neq_f64_e64 s[2:3], 0, v[99:100]
	s_or_b64 s[2:3], vcc, s[2:3]
	s_and_b64 exec, exec, s[2:3]
	s_cbranch_execz .LBB91_143
; %bb.138:
	v_cmp_ngt_f64_e64 s[2:3], |v[97:98]|, |v[99:100]|
                                        ; implicit-def: $vgpr101_vgpr102
	s_and_saveexec_b64 s[6:7], s[2:3]
	s_xor_b64 s[2:3], exec, s[6:7]
                                        ; implicit-def: $vgpr103_vgpr104
	s_cbranch_execz .LBB91_140
; %bb.139:
	v_div_scale_f64 v[101:102], s[6:7], v[99:100], v[99:100], v[97:98]
	v_rcp_f64_e32 v[103:104], v[101:102]
	v_fma_f64 v[105:106], -v[101:102], v[103:104], 1.0
	v_fma_f64 v[103:104], v[103:104], v[105:106], v[103:104]
	v_div_scale_f64 v[105:106], vcc, v[97:98], v[99:100], v[97:98]
	v_fma_f64 v[107:108], -v[101:102], v[103:104], 1.0
	v_fma_f64 v[103:104], v[103:104], v[107:108], v[103:104]
	v_mul_f64 v[107:108], v[105:106], v[103:104]
	v_fma_f64 v[101:102], -v[101:102], v[107:108], v[105:106]
	v_div_fmas_f64 v[101:102], v[101:102], v[103:104], v[107:108]
	v_div_fixup_f64 v[101:102], v[101:102], v[99:100], v[97:98]
	v_fma_f64 v[97:98], v[97:98], v[101:102], v[99:100]
	v_div_scale_f64 v[99:100], s[6:7], v[97:98], v[97:98], 1.0
	v_div_scale_f64 v[107:108], vcc, 1.0, v[97:98], 1.0
	v_rcp_f64_e32 v[103:104], v[99:100]
	v_fma_f64 v[105:106], -v[99:100], v[103:104], 1.0
	v_fma_f64 v[103:104], v[103:104], v[105:106], v[103:104]
	v_fma_f64 v[105:106], -v[99:100], v[103:104], 1.0
	v_fma_f64 v[103:104], v[103:104], v[105:106], v[103:104]
	v_mul_f64 v[105:106], v[107:108], v[103:104]
	v_fma_f64 v[99:100], -v[99:100], v[105:106], v[107:108]
	v_div_fmas_f64 v[99:100], v[99:100], v[103:104], v[105:106]
	v_div_fixup_f64 v[103:104], v[99:100], v[97:98], 1.0
                                        ; implicit-def: $vgpr97_vgpr98
	v_mul_f64 v[101:102], v[101:102], v[103:104]
	v_xor_b32_e32 v104, 0x80000000, v104
.LBB91_140:
	s_andn2_saveexec_b64 s[2:3], s[2:3]
	s_cbranch_execz .LBB91_142
; %bb.141:
	v_div_scale_f64 v[101:102], s[6:7], v[97:98], v[97:98], v[99:100]
	v_rcp_f64_e32 v[103:104], v[101:102]
	v_fma_f64 v[105:106], -v[101:102], v[103:104], 1.0
	v_fma_f64 v[103:104], v[103:104], v[105:106], v[103:104]
	v_div_scale_f64 v[105:106], vcc, v[99:100], v[97:98], v[99:100]
	v_fma_f64 v[107:108], -v[101:102], v[103:104], 1.0
	v_fma_f64 v[103:104], v[103:104], v[107:108], v[103:104]
	v_mul_f64 v[107:108], v[105:106], v[103:104]
	v_fma_f64 v[101:102], -v[101:102], v[107:108], v[105:106]
	v_div_fmas_f64 v[101:102], v[101:102], v[103:104], v[107:108]
	v_div_fixup_f64 v[103:104], v[101:102], v[97:98], v[99:100]
	v_fma_f64 v[97:98], v[99:100], v[103:104], v[97:98]
	v_div_scale_f64 v[99:100], s[6:7], v[97:98], v[97:98], 1.0
	v_div_scale_f64 v[107:108], vcc, 1.0, v[97:98], 1.0
	v_rcp_f64_e32 v[101:102], v[99:100]
	v_fma_f64 v[105:106], -v[99:100], v[101:102], 1.0
	v_fma_f64 v[101:102], v[101:102], v[105:106], v[101:102]
	v_fma_f64 v[105:106], -v[99:100], v[101:102], 1.0
	v_fma_f64 v[101:102], v[101:102], v[105:106], v[101:102]
	v_mul_f64 v[105:106], v[107:108], v[101:102]
	v_fma_f64 v[99:100], -v[99:100], v[105:106], v[107:108]
	v_div_fmas_f64 v[99:100], v[99:100], v[101:102], v[105:106]
	v_div_fixup_f64 v[101:102], v[99:100], v[97:98], 1.0
	v_mul_f64 v[103:104], v[103:104], -v[101:102]
.LBB91_142:
	s_or_b64 exec, exec, s[2:3]
	ds_write2_b64 v127, v[101:102], v[103:104] offset1:1
.LBB91_143:
	s_or_b64 exec, exec, s[4:5]
	s_waitcnt lgkmcnt(0)
	s_barrier
	ds_read2_b64 v[69:72], v127 offset1:1
	v_cmp_lt_u32_e32 vcc, 15, v0
	s_waitcnt lgkmcnt(0)
	buffer_store_dword v69, off, s[20:23], 0 offset:968 ; 4-byte Folded Spill
	s_nop 0
	buffer_store_dword v70, off, s[20:23], 0 offset:972 ; 4-byte Folded Spill
	buffer_store_dword v71, off, s[20:23], 0 offset:976 ; 4-byte Folded Spill
	;; [unrolled: 1-line block ×3, first 2 shown]
	s_and_saveexec_b64 s[2:3], vcc
	s_cbranch_execz .LBB91_145
; %bb.144:
	buffer_load_dword v103, off, s[20:23], 0 offset:112 ; 4-byte Folded Reload
	buffer_load_dword v104, off, s[20:23], 0 offset:116 ; 4-byte Folded Reload
	;; [unrolled: 1-line block ×8, first 2 shown]
	s_waitcnt vmcnt(2)
	v_mul_f64 v[99:100], v[69:70], v[105:106]
	s_waitcnt vmcnt(0)
	v_mul_f64 v[97:98], v[71:72], v[105:106]
	v_fma_f64 v[105:106], v[71:72], v[103:104], v[99:100]
	ds_read2_b64 v[99:102], v125 offset0:32 offset1:33
	v_fma_f64 v[97:98], v[69:70], v[103:104], -v[97:98]
	buffer_load_dword v69, off, s[20:23], 0 offset:96 ; 4-byte Folded Reload
	buffer_load_dword v70, off, s[20:23], 0 offset:100 ; 4-byte Folded Reload
	buffer_load_dword v71, off, s[20:23], 0 offset:104 ; 4-byte Folded Reload
	buffer_load_dword v72, off, s[20:23], 0 offset:108 ; 4-byte Folded Reload
	s_waitcnt lgkmcnt(0)
	v_mul_f64 v[103:104], v[101:102], v[105:106]
	v_fma_f64 v[103:104], v[99:100], v[97:98], -v[103:104]
	v_mul_f64 v[99:100], v[99:100], v[105:106]
	v_fma_f64 v[99:100], v[101:102], v[97:98], v[99:100]
	s_waitcnt vmcnt(2)
	v_add_f64 v[69:70], v[69:70], -v[103:104]
	s_waitcnt vmcnt(0)
	v_add_f64 v[71:72], v[71:72], -v[99:100]
	buffer_store_dword v69, off, s[20:23], 0 offset:96 ; 4-byte Folded Spill
	s_nop 0
	buffer_store_dword v70, off, s[20:23], 0 offset:100 ; 4-byte Folded Spill
	buffer_store_dword v71, off, s[20:23], 0 offset:104 ; 4-byte Folded Spill
	buffer_store_dword v72, off, s[20:23], 0 offset:108 ; 4-byte Folded Spill
	ds_read2_b64 v[99:102], v125 offset0:34 offset1:35
	buffer_load_dword v69, off, s[20:23], 0 offset:80 ; 4-byte Folded Reload
	buffer_load_dword v70, off, s[20:23], 0 offset:84 ; 4-byte Folded Reload
	buffer_load_dword v71, off, s[20:23], 0 offset:88 ; 4-byte Folded Reload
	buffer_load_dword v72, off, s[20:23], 0 offset:92 ; 4-byte Folded Reload
	s_waitcnt lgkmcnt(0)
	v_mul_f64 v[103:104], v[101:102], v[105:106]
	v_fma_f64 v[103:104], v[99:100], v[97:98], -v[103:104]
	v_mul_f64 v[99:100], v[99:100], v[105:106]
	v_fma_f64 v[99:100], v[101:102], v[97:98], v[99:100]
	s_waitcnt vmcnt(2)
	v_add_f64 v[69:70], v[69:70], -v[103:104]
	s_waitcnt vmcnt(0)
	v_add_f64 v[71:72], v[71:72], -v[99:100]
	buffer_store_dword v69, off, s[20:23], 0 offset:80 ; 4-byte Folded Spill
	s_nop 0
	buffer_store_dword v70, off, s[20:23], 0 offset:84 ; 4-byte Folded Spill
	buffer_store_dword v71, off, s[20:23], 0 offset:88 ; 4-byte Folded Spill
	buffer_store_dword v72, off, s[20:23], 0 offset:92 ; 4-byte Folded Spill
	ds_read2_b64 v[99:102], v125 offset0:36 offset1:37
	;; [unrolled: 19-line block ×4, first 2 shown]
	v_mov_b32_e32 v69, v73
	v_mov_b32_e32 v70, v74
	;; [unrolled: 1-line block ×4, first 2 shown]
	s_waitcnt lgkmcnt(0)
	v_mul_f64 v[103:104], v[101:102], v[105:106]
	v_fma_f64 v[103:104], v[99:100], v[97:98], -v[103:104]
	v_mul_f64 v[99:100], v[99:100], v[105:106]
	v_add_f64 v[117:118], v[117:118], -v[103:104]
	v_fma_f64 v[99:100], v[101:102], v[97:98], v[99:100]
	v_add_f64 v[119:120], v[119:120], -v[99:100]
	ds_read2_b64 v[99:102], v125 offset0:42 offset1:43
	s_waitcnt lgkmcnt(0)
	v_mul_f64 v[103:104], v[101:102], v[105:106]
	v_fma_f64 v[103:104], v[99:100], v[97:98], -v[103:104]
	v_mul_f64 v[99:100], v[99:100], v[105:106]
	v_add_f64 v[121:122], v[121:122], -v[103:104]
	v_fma_f64 v[99:100], v[101:102], v[97:98], v[99:100]
	v_add_f64 v[123:124], v[123:124], -v[99:100]
	ds_read2_b64 v[99:102], v125 offset0:44 offset1:45
	s_waitcnt lgkmcnt(0)
	v_mul_f64 v[103:104], v[101:102], v[105:106]
	v_fma_f64 v[103:104], v[99:100], v[97:98], -v[103:104]
	v_mul_f64 v[99:100], v[99:100], v[105:106]
	v_add_f64 v[109:110], v[109:110], -v[103:104]
	v_fma_f64 v[99:100], v[101:102], v[97:98], v[99:100]
	v_add_f64 v[111:112], v[111:112], -v[99:100]
	ds_read2_b64 v[99:102], v125 offset0:46 offset1:47
	s_waitcnt lgkmcnt(0)
	v_mul_f64 v[103:104], v[101:102], v[105:106]
	v_fma_f64 v[103:104], v[99:100], v[97:98], -v[103:104]
	v_mul_f64 v[99:100], v[99:100], v[105:106]
	v_add_f64 v[113:114], v[113:114], -v[103:104]
	v_fma_f64 v[99:100], v[101:102], v[97:98], v[99:100]
	v_add_f64 v[115:116], v[115:116], -v[99:100]
	ds_read2_b64 v[99:102], v125 offset0:48 offset1:49
	s_waitcnt lgkmcnt(0)
	v_mul_f64 v[103:104], v[101:102], v[105:106]
	v_fma_f64 v[103:104], v[99:100], v[97:98], -v[103:104]
	v_mul_f64 v[99:100], v[99:100], v[105:106]
	v_add_f64 v[93:94], v[93:94], -v[103:104]
	v_fma_f64 v[99:100], v[101:102], v[97:98], v[99:100]
	v_add_f64 v[95:96], v[95:96], -v[99:100]
	ds_read2_b64 v[99:102], v125 offset0:50 offset1:51
	buffer_load_dword v77, off, s[20:23], 0 offset:32 ; 4-byte Folded Reload
	buffer_load_dword v78, off, s[20:23], 0 offset:36 ; 4-byte Folded Reload
	;; [unrolled: 1-line block ×4, first 2 shown]
	s_waitcnt lgkmcnt(0)
	v_mul_f64 v[103:104], v[101:102], v[105:106]
	v_fma_f64 v[103:104], v[99:100], v[97:98], -v[103:104]
	v_mul_f64 v[99:100], v[99:100], v[105:106]
	v_fma_f64 v[99:100], v[101:102], v[97:98], v[99:100]
	s_waitcnt vmcnt(2)
	v_add_f64 v[77:78], v[77:78], -v[103:104]
	s_waitcnt vmcnt(0)
	v_add_f64 v[79:80], v[79:80], -v[99:100]
	buffer_store_dword v77, off, s[20:23], 0 offset:32 ; 4-byte Folded Spill
	s_nop 0
	buffer_store_dword v78, off, s[20:23], 0 offset:36 ; 4-byte Folded Spill
	buffer_store_dword v79, off, s[20:23], 0 offset:40 ; 4-byte Folded Spill
	buffer_store_dword v80, off, s[20:23], 0 offset:44 ; 4-byte Folded Spill
	ds_read2_b64 v[99:102], v125 offset0:52 offset1:53
	buffer_load_dword v73, off, s[20:23], 0 offset:16 ; 4-byte Folded Reload
	buffer_load_dword v74, off, s[20:23], 0 offset:20 ; 4-byte Folded Reload
	;; [unrolled: 1-line block ×4, first 2 shown]
	s_waitcnt lgkmcnt(0)
	v_mul_f64 v[103:104], v[101:102], v[105:106]
	v_fma_f64 v[103:104], v[99:100], v[97:98], -v[103:104]
	v_mul_f64 v[99:100], v[99:100], v[105:106]
	v_fma_f64 v[99:100], v[101:102], v[97:98], v[99:100]
	s_waitcnt vmcnt(2)
	v_add_f64 v[73:74], v[73:74], -v[103:104]
	s_waitcnt vmcnt(0)
	v_add_f64 v[75:76], v[75:76], -v[99:100]
	buffer_store_dword v73, off, s[20:23], 0 offset:16 ; 4-byte Folded Spill
	s_nop 0
	buffer_store_dword v74, off, s[20:23], 0 offset:20 ; 4-byte Folded Spill
	buffer_store_dword v75, off, s[20:23], 0 offset:24 ; 4-byte Folded Spill
	;; [unrolled: 1-line block ×3, first 2 shown]
	v_mov_b32_e32 v76, v72
	v_mov_b32_e32 v75, v71
	;; [unrolled: 1-line block ×4, first 2 shown]
	ds_read2_b64 v[99:102], v125 offset0:54 offset1:55
	buffer_load_dword v69, off, s[20:23], 0 ; 4-byte Folded Reload
	buffer_load_dword v70, off, s[20:23], 0 offset:4 ; 4-byte Folded Reload
	buffer_load_dword v71, off, s[20:23], 0 offset:8 ; 4-byte Folded Reload
	;; [unrolled: 1-line block ×3, first 2 shown]
	s_waitcnt lgkmcnt(0)
	v_mul_f64 v[103:104], v[101:102], v[105:106]
	v_fma_f64 v[103:104], v[99:100], v[97:98], -v[103:104]
	v_mul_f64 v[99:100], v[99:100], v[105:106]
	v_fma_f64 v[99:100], v[101:102], v[97:98], v[99:100]
	s_waitcnt vmcnt(2)
	v_add_f64 v[69:70], v[69:70], -v[103:104]
	s_waitcnt vmcnt(0)
	v_add_f64 v[71:72], v[71:72], -v[99:100]
	buffer_store_dword v69, off, s[20:23], 0 ; 4-byte Folded Spill
	s_nop 0
	buffer_store_dword v70, off, s[20:23], 0 offset:4 ; 4-byte Folded Spill
	buffer_store_dword v71, off, s[20:23], 0 offset:8 ; 4-byte Folded Spill
	;; [unrolled: 1-line block ×3, first 2 shown]
	ds_read2_b64 v[99:102], v125 offset0:56 offset1:57
	s_waitcnt lgkmcnt(0)
	v_mul_f64 v[103:104], v[101:102], v[105:106]
	v_fma_f64 v[103:104], v[99:100], v[97:98], -v[103:104]
	v_mul_f64 v[99:100], v[99:100], v[105:106]
	v_add_f64 v[65:66], v[65:66], -v[103:104]
	v_fma_f64 v[99:100], v[101:102], v[97:98], v[99:100]
	v_add_f64 v[67:68], v[67:68], -v[99:100]
	ds_read2_b64 v[99:102], v125 offset0:58 offset1:59
	s_waitcnt lgkmcnt(0)
	v_mul_f64 v[103:104], v[101:102], v[105:106]
	v_fma_f64 v[103:104], v[99:100], v[97:98], -v[103:104]
	v_mul_f64 v[99:100], v[99:100], v[105:106]
	v_add_f64 v[61:62], v[61:62], -v[103:104]
	v_fma_f64 v[99:100], v[101:102], v[97:98], v[99:100]
	v_add_f64 v[63:64], v[63:64], -v[99:100]
	;; [unrolled: 8-line block ×17, first 2 shown]
	ds_read2_b64 v[99:102], v125 offset0:90 offset1:91
	s_waitcnt lgkmcnt(0)
	v_mul_f64 v[103:104], v[101:102], v[105:106]
	v_fma_f64 v[103:104], v[99:100], v[97:98], -v[103:104]
	v_mul_f64 v[99:100], v[99:100], v[105:106]
	v_add_f64 v[73:74], v[73:74], -v[103:104]
	v_fma_f64 v[99:100], v[101:102], v[97:98], v[99:100]
	v_mov_b32_e32 v104, v98
	v_mov_b32_e32 v103, v97
	buffer_store_dword v103, off, s[20:23], 0 offset:112 ; 4-byte Folded Spill
	s_nop 0
	buffer_store_dword v104, off, s[20:23], 0 offset:116 ; 4-byte Folded Spill
	buffer_store_dword v105, off, s[20:23], 0 offset:120 ; 4-byte Folded Spill
	;; [unrolled: 1-line block ×3, first 2 shown]
	v_add_f64 v[75:76], v[75:76], -v[99:100]
.LBB91_145:
	s_or_b64 exec, exec, s[2:3]
	v_cmp_eq_u32_e32 vcc, 16, v0
	s_waitcnt vmcnt(0)
	s_barrier
	s_and_saveexec_b64 s[4:5], vcc
	s_cbranch_execz .LBB91_152
; %bb.146:
	buffer_load_dword v69, off, s[20:23], 0 offset:96 ; 4-byte Folded Reload
	buffer_load_dword v70, off, s[20:23], 0 offset:100 ; 4-byte Folded Reload
	buffer_load_dword v71, off, s[20:23], 0 offset:104 ; 4-byte Folded Reload
	buffer_load_dword v72, off, s[20:23], 0 offset:108 ; 4-byte Folded Reload
	s_waitcnt vmcnt(0)
	ds_write2_b64 v127, v[69:70], v[71:72] offset1:1
	buffer_load_dword v69, off, s[20:23], 0 offset:80 ; 4-byte Folded Reload
	buffer_load_dword v70, off, s[20:23], 0 offset:84 ; 4-byte Folded Reload
	buffer_load_dword v71, off, s[20:23], 0 offset:88 ; 4-byte Folded Reload
	buffer_load_dword v72, off, s[20:23], 0 offset:92 ; 4-byte Folded Reload
	s_waitcnt vmcnt(0)
	ds_write2_b64 v125, v[69:70], v[71:72] offset0:34 offset1:35
	buffer_load_dword v69, off, s[20:23], 0 offset:64 ; 4-byte Folded Reload
	buffer_load_dword v70, off, s[20:23], 0 offset:68 ; 4-byte Folded Reload
	buffer_load_dword v71, off, s[20:23], 0 offset:72 ; 4-byte Folded Reload
	buffer_load_dword v72, off, s[20:23], 0 offset:76 ; 4-byte Folded Reload
	s_waitcnt vmcnt(0)
	ds_write2_b64 v125, v[69:70], v[71:72] offset0:36 offset1:37
	buffer_load_dword v69, off, s[20:23], 0 offset:48 ; 4-byte Folded Reload
	buffer_load_dword v70, off, s[20:23], 0 offset:52 ; 4-byte Folded Reload
	buffer_load_dword v71, off, s[20:23], 0 offset:56 ; 4-byte Folded Reload
	buffer_load_dword v72, off, s[20:23], 0 offset:60 ; 4-byte Folded Reload
	s_waitcnt vmcnt(0)
	ds_write2_b64 v125, v[69:70], v[71:72] offset0:38 offset1:39
	ds_write2_b64 v125, v[117:118], v[119:120] offset0:40 offset1:41
	ds_write2_b64 v125, v[121:122], v[123:124] offset0:42 offset1:43
	;; [unrolled: 1-line block ×5, first 2 shown]
	buffer_load_dword v77, off, s[20:23], 0 offset:32 ; 4-byte Folded Reload
	buffer_load_dword v78, off, s[20:23], 0 offset:36 ; 4-byte Folded Reload
	;; [unrolled: 1-line block ×4, first 2 shown]
	v_mov_b32_e32 v69, v73
	v_mov_b32_e32 v70, v74
	;; [unrolled: 1-line block ×4, first 2 shown]
	s_waitcnt vmcnt(0)
	ds_write2_b64 v125, v[77:78], v[79:80] offset0:50 offset1:51
	buffer_load_dword v73, off, s[20:23], 0 offset:16 ; 4-byte Folded Reload
	buffer_load_dword v74, off, s[20:23], 0 offset:20 ; 4-byte Folded Reload
	;; [unrolled: 1-line block ×4, first 2 shown]
	s_waitcnt vmcnt(0)
	ds_write2_b64 v125, v[73:74], v[75:76] offset0:52 offset1:53
	v_mov_b32_e32 v76, v72
	v_mov_b32_e32 v75, v71
	v_mov_b32_e32 v74, v70
	v_mov_b32_e32 v73, v69
	buffer_load_dword v69, off, s[20:23], 0 ; 4-byte Folded Reload
	buffer_load_dword v70, off, s[20:23], 0 offset:4 ; 4-byte Folded Reload
	buffer_load_dword v71, off, s[20:23], 0 offset:8 ; 4-byte Folded Reload
	buffer_load_dword v72, off, s[20:23], 0 offset:12 ; 4-byte Folded Reload
	s_waitcnt vmcnt(0)
	ds_write2_b64 v125, v[69:70], v[71:72] offset0:54 offset1:55
	ds_write2_b64 v125, v[65:66], v[67:68] offset0:56 offset1:57
	;; [unrolled: 1-line block ×19, first 2 shown]
	ds_read2_b64 v[97:100], v127 offset1:1
	s_waitcnt lgkmcnt(0)
	v_cmp_neq_f64_e32 vcc, 0, v[97:98]
	v_cmp_neq_f64_e64 s[2:3], 0, v[99:100]
	s_or_b64 s[2:3], vcc, s[2:3]
	s_and_b64 exec, exec, s[2:3]
	s_cbranch_execz .LBB91_152
; %bb.147:
	v_cmp_ngt_f64_e64 s[2:3], |v[97:98]|, |v[99:100]|
                                        ; implicit-def: $vgpr101_vgpr102
	s_and_saveexec_b64 s[6:7], s[2:3]
	s_xor_b64 s[2:3], exec, s[6:7]
                                        ; implicit-def: $vgpr103_vgpr104
	s_cbranch_execz .LBB91_149
; %bb.148:
	v_div_scale_f64 v[101:102], s[6:7], v[99:100], v[99:100], v[97:98]
	v_rcp_f64_e32 v[103:104], v[101:102]
	v_fma_f64 v[105:106], -v[101:102], v[103:104], 1.0
	v_fma_f64 v[103:104], v[103:104], v[105:106], v[103:104]
	v_div_scale_f64 v[105:106], vcc, v[97:98], v[99:100], v[97:98]
	v_fma_f64 v[107:108], -v[101:102], v[103:104], 1.0
	v_fma_f64 v[103:104], v[103:104], v[107:108], v[103:104]
	v_mul_f64 v[107:108], v[105:106], v[103:104]
	v_fma_f64 v[101:102], -v[101:102], v[107:108], v[105:106]
	v_div_fmas_f64 v[101:102], v[101:102], v[103:104], v[107:108]
	v_div_fixup_f64 v[101:102], v[101:102], v[99:100], v[97:98]
	v_fma_f64 v[97:98], v[97:98], v[101:102], v[99:100]
	v_div_scale_f64 v[99:100], s[6:7], v[97:98], v[97:98], 1.0
	v_div_scale_f64 v[107:108], vcc, 1.0, v[97:98], 1.0
	v_rcp_f64_e32 v[103:104], v[99:100]
	v_fma_f64 v[105:106], -v[99:100], v[103:104], 1.0
	v_fma_f64 v[103:104], v[103:104], v[105:106], v[103:104]
	v_fma_f64 v[105:106], -v[99:100], v[103:104], 1.0
	v_fma_f64 v[103:104], v[103:104], v[105:106], v[103:104]
	v_mul_f64 v[105:106], v[107:108], v[103:104]
	v_fma_f64 v[99:100], -v[99:100], v[105:106], v[107:108]
	v_div_fmas_f64 v[99:100], v[99:100], v[103:104], v[105:106]
	v_div_fixup_f64 v[103:104], v[99:100], v[97:98], 1.0
                                        ; implicit-def: $vgpr97_vgpr98
	v_mul_f64 v[101:102], v[101:102], v[103:104]
	v_xor_b32_e32 v104, 0x80000000, v104
.LBB91_149:
	s_andn2_saveexec_b64 s[2:3], s[2:3]
	s_cbranch_execz .LBB91_151
; %bb.150:
	v_div_scale_f64 v[101:102], s[6:7], v[97:98], v[97:98], v[99:100]
	v_rcp_f64_e32 v[103:104], v[101:102]
	v_fma_f64 v[105:106], -v[101:102], v[103:104], 1.0
	v_fma_f64 v[103:104], v[103:104], v[105:106], v[103:104]
	v_div_scale_f64 v[105:106], vcc, v[99:100], v[97:98], v[99:100]
	v_fma_f64 v[107:108], -v[101:102], v[103:104], 1.0
	v_fma_f64 v[103:104], v[103:104], v[107:108], v[103:104]
	v_mul_f64 v[107:108], v[105:106], v[103:104]
	v_fma_f64 v[101:102], -v[101:102], v[107:108], v[105:106]
	v_div_fmas_f64 v[101:102], v[101:102], v[103:104], v[107:108]
	v_div_fixup_f64 v[103:104], v[101:102], v[97:98], v[99:100]
	v_fma_f64 v[97:98], v[99:100], v[103:104], v[97:98]
	v_div_scale_f64 v[99:100], s[6:7], v[97:98], v[97:98], 1.0
	v_div_scale_f64 v[107:108], vcc, 1.0, v[97:98], 1.0
	v_rcp_f64_e32 v[101:102], v[99:100]
	v_fma_f64 v[105:106], -v[99:100], v[101:102], 1.0
	v_fma_f64 v[101:102], v[101:102], v[105:106], v[101:102]
	v_fma_f64 v[105:106], -v[99:100], v[101:102], 1.0
	v_fma_f64 v[101:102], v[101:102], v[105:106], v[101:102]
	v_mul_f64 v[105:106], v[107:108], v[101:102]
	v_fma_f64 v[99:100], -v[99:100], v[105:106], v[107:108]
	v_div_fmas_f64 v[99:100], v[99:100], v[101:102], v[105:106]
	v_div_fixup_f64 v[101:102], v[99:100], v[97:98], 1.0
	v_mul_f64 v[103:104], v[103:104], -v[101:102]
.LBB91_151:
	s_or_b64 exec, exec, s[2:3]
	ds_write2_b64 v127, v[101:102], v[103:104] offset1:1
.LBB91_152:
	s_or_b64 exec, exec, s[4:5]
	s_waitcnt lgkmcnt(0)
	s_barrier
	ds_read2_b64 v[69:72], v127 offset1:1
	v_cmp_lt_u32_e32 vcc, 16, v0
	s_waitcnt lgkmcnt(0)
	buffer_store_dword v69, off, s[20:23], 0 offset:984 ; 4-byte Folded Spill
	s_nop 0
	buffer_store_dword v70, off, s[20:23], 0 offset:988 ; 4-byte Folded Spill
	buffer_store_dword v71, off, s[20:23], 0 offset:992 ; 4-byte Folded Spill
	;; [unrolled: 1-line block ×3, first 2 shown]
	s_and_saveexec_b64 s[2:3], vcc
	s_cbranch_execz .LBB91_154
; %bb.153:
	buffer_load_dword v103, off, s[20:23], 0 offset:96 ; 4-byte Folded Reload
	buffer_load_dword v104, off, s[20:23], 0 offset:100 ; 4-byte Folded Reload
	;; [unrolled: 1-line block ×8, first 2 shown]
	s_waitcnt vmcnt(2)
	v_mul_f64 v[99:100], v[69:70], v[105:106]
	s_waitcnt vmcnt(0)
	v_mul_f64 v[97:98], v[71:72], v[105:106]
	v_fma_f64 v[105:106], v[71:72], v[103:104], v[99:100]
	ds_read2_b64 v[99:102], v125 offset0:34 offset1:35
	v_fma_f64 v[97:98], v[69:70], v[103:104], -v[97:98]
	buffer_load_dword v69, off, s[20:23], 0 offset:80 ; 4-byte Folded Reload
	buffer_load_dword v70, off, s[20:23], 0 offset:84 ; 4-byte Folded Reload
	buffer_load_dword v71, off, s[20:23], 0 offset:88 ; 4-byte Folded Reload
	buffer_load_dword v72, off, s[20:23], 0 offset:92 ; 4-byte Folded Reload
	s_waitcnt lgkmcnt(0)
	v_mul_f64 v[103:104], v[101:102], v[105:106]
	v_fma_f64 v[103:104], v[99:100], v[97:98], -v[103:104]
	v_mul_f64 v[99:100], v[99:100], v[105:106]
	v_fma_f64 v[99:100], v[101:102], v[97:98], v[99:100]
	s_waitcnt vmcnt(2)
	v_add_f64 v[69:70], v[69:70], -v[103:104]
	s_waitcnt vmcnt(0)
	v_add_f64 v[71:72], v[71:72], -v[99:100]
	buffer_store_dword v69, off, s[20:23], 0 offset:80 ; 4-byte Folded Spill
	s_nop 0
	buffer_store_dword v70, off, s[20:23], 0 offset:84 ; 4-byte Folded Spill
	buffer_store_dword v71, off, s[20:23], 0 offset:88 ; 4-byte Folded Spill
	buffer_store_dword v72, off, s[20:23], 0 offset:92 ; 4-byte Folded Spill
	ds_read2_b64 v[99:102], v125 offset0:36 offset1:37
	buffer_load_dword v69, off, s[20:23], 0 offset:64 ; 4-byte Folded Reload
	buffer_load_dword v70, off, s[20:23], 0 offset:68 ; 4-byte Folded Reload
	buffer_load_dword v71, off, s[20:23], 0 offset:72 ; 4-byte Folded Reload
	buffer_load_dword v72, off, s[20:23], 0 offset:76 ; 4-byte Folded Reload
	s_waitcnt lgkmcnt(0)
	v_mul_f64 v[103:104], v[101:102], v[105:106]
	v_fma_f64 v[103:104], v[99:100], v[97:98], -v[103:104]
	v_mul_f64 v[99:100], v[99:100], v[105:106]
	v_fma_f64 v[99:100], v[101:102], v[97:98], v[99:100]
	s_waitcnt vmcnt(2)
	v_add_f64 v[69:70], v[69:70], -v[103:104]
	s_waitcnt vmcnt(0)
	v_add_f64 v[71:72], v[71:72], -v[99:100]
	buffer_store_dword v69, off, s[20:23], 0 offset:64 ; 4-byte Folded Spill
	s_nop 0
	buffer_store_dword v70, off, s[20:23], 0 offset:68 ; 4-byte Folded Spill
	buffer_store_dword v71, off, s[20:23], 0 offset:72 ; 4-byte Folded Spill
	buffer_store_dword v72, off, s[20:23], 0 offset:76 ; 4-byte Folded Spill
	ds_read2_b64 v[99:102], v125 offset0:38 offset1:39
	;; [unrolled: 19-line block ×3, first 2 shown]
	v_mov_b32_e32 v69, v73
	v_mov_b32_e32 v70, v74
	;; [unrolled: 1-line block ×4, first 2 shown]
	s_waitcnt lgkmcnt(0)
	v_mul_f64 v[103:104], v[101:102], v[105:106]
	v_fma_f64 v[103:104], v[99:100], v[97:98], -v[103:104]
	v_mul_f64 v[99:100], v[99:100], v[105:106]
	v_add_f64 v[117:118], v[117:118], -v[103:104]
	v_fma_f64 v[99:100], v[101:102], v[97:98], v[99:100]
	v_add_f64 v[119:120], v[119:120], -v[99:100]
	ds_read2_b64 v[99:102], v125 offset0:42 offset1:43
	s_waitcnt lgkmcnt(0)
	v_mul_f64 v[103:104], v[101:102], v[105:106]
	v_fma_f64 v[103:104], v[99:100], v[97:98], -v[103:104]
	v_mul_f64 v[99:100], v[99:100], v[105:106]
	v_add_f64 v[121:122], v[121:122], -v[103:104]
	v_fma_f64 v[99:100], v[101:102], v[97:98], v[99:100]
	v_add_f64 v[123:124], v[123:124], -v[99:100]
	ds_read2_b64 v[99:102], v125 offset0:44 offset1:45
	;; [unrolled: 8-line block ×5, first 2 shown]
	buffer_load_dword v77, off, s[20:23], 0 offset:32 ; 4-byte Folded Reload
	buffer_load_dword v78, off, s[20:23], 0 offset:36 ; 4-byte Folded Reload
	;; [unrolled: 1-line block ×4, first 2 shown]
	s_waitcnt lgkmcnt(0)
	v_mul_f64 v[103:104], v[101:102], v[105:106]
	v_fma_f64 v[103:104], v[99:100], v[97:98], -v[103:104]
	v_mul_f64 v[99:100], v[99:100], v[105:106]
	v_fma_f64 v[99:100], v[101:102], v[97:98], v[99:100]
	s_waitcnt vmcnt(2)
	v_add_f64 v[77:78], v[77:78], -v[103:104]
	s_waitcnt vmcnt(0)
	v_add_f64 v[79:80], v[79:80], -v[99:100]
	buffer_store_dword v77, off, s[20:23], 0 offset:32 ; 4-byte Folded Spill
	s_nop 0
	buffer_store_dword v78, off, s[20:23], 0 offset:36 ; 4-byte Folded Spill
	buffer_store_dword v79, off, s[20:23], 0 offset:40 ; 4-byte Folded Spill
	;; [unrolled: 1-line block ×3, first 2 shown]
	ds_read2_b64 v[99:102], v125 offset0:52 offset1:53
	buffer_load_dword v73, off, s[20:23], 0 offset:16 ; 4-byte Folded Reload
	buffer_load_dword v74, off, s[20:23], 0 offset:20 ; 4-byte Folded Reload
	;; [unrolled: 1-line block ×4, first 2 shown]
	s_waitcnt lgkmcnt(0)
	v_mul_f64 v[103:104], v[101:102], v[105:106]
	v_fma_f64 v[103:104], v[99:100], v[97:98], -v[103:104]
	v_mul_f64 v[99:100], v[99:100], v[105:106]
	v_fma_f64 v[99:100], v[101:102], v[97:98], v[99:100]
	s_waitcnt vmcnt(2)
	v_add_f64 v[73:74], v[73:74], -v[103:104]
	s_waitcnt vmcnt(0)
	v_add_f64 v[75:76], v[75:76], -v[99:100]
	buffer_store_dword v73, off, s[20:23], 0 offset:16 ; 4-byte Folded Spill
	s_nop 0
	buffer_store_dword v74, off, s[20:23], 0 offset:20 ; 4-byte Folded Spill
	buffer_store_dword v75, off, s[20:23], 0 offset:24 ; 4-byte Folded Spill
	;; [unrolled: 1-line block ×3, first 2 shown]
	v_mov_b32_e32 v76, v72
	v_mov_b32_e32 v75, v71
	;; [unrolled: 1-line block ×4, first 2 shown]
	ds_read2_b64 v[99:102], v125 offset0:54 offset1:55
	buffer_load_dword v69, off, s[20:23], 0 ; 4-byte Folded Reload
	buffer_load_dword v70, off, s[20:23], 0 offset:4 ; 4-byte Folded Reload
	buffer_load_dword v71, off, s[20:23], 0 offset:8 ; 4-byte Folded Reload
	;; [unrolled: 1-line block ×3, first 2 shown]
	s_waitcnt lgkmcnt(0)
	v_mul_f64 v[103:104], v[101:102], v[105:106]
	v_fma_f64 v[103:104], v[99:100], v[97:98], -v[103:104]
	v_mul_f64 v[99:100], v[99:100], v[105:106]
	v_fma_f64 v[99:100], v[101:102], v[97:98], v[99:100]
	s_waitcnt vmcnt(2)
	v_add_f64 v[69:70], v[69:70], -v[103:104]
	s_waitcnt vmcnt(0)
	v_add_f64 v[71:72], v[71:72], -v[99:100]
	buffer_store_dword v69, off, s[20:23], 0 ; 4-byte Folded Spill
	s_nop 0
	buffer_store_dword v70, off, s[20:23], 0 offset:4 ; 4-byte Folded Spill
	buffer_store_dword v71, off, s[20:23], 0 offset:8 ; 4-byte Folded Spill
	;; [unrolled: 1-line block ×3, first 2 shown]
	ds_read2_b64 v[99:102], v125 offset0:56 offset1:57
	s_waitcnt lgkmcnt(0)
	v_mul_f64 v[103:104], v[101:102], v[105:106]
	v_fma_f64 v[103:104], v[99:100], v[97:98], -v[103:104]
	v_mul_f64 v[99:100], v[99:100], v[105:106]
	v_add_f64 v[65:66], v[65:66], -v[103:104]
	v_fma_f64 v[99:100], v[101:102], v[97:98], v[99:100]
	v_add_f64 v[67:68], v[67:68], -v[99:100]
	ds_read2_b64 v[99:102], v125 offset0:58 offset1:59
	s_waitcnt lgkmcnt(0)
	v_mul_f64 v[103:104], v[101:102], v[105:106]
	v_fma_f64 v[103:104], v[99:100], v[97:98], -v[103:104]
	v_mul_f64 v[99:100], v[99:100], v[105:106]
	v_add_f64 v[61:62], v[61:62], -v[103:104]
	v_fma_f64 v[99:100], v[101:102], v[97:98], v[99:100]
	v_add_f64 v[63:64], v[63:64], -v[99:100]
	;; [unrolled: 8-line block ×17, first 2 shown]
	ds_read2_b64 v[99:102], v125 offset0:90 offset1:91
	s_waitcnt lgkmcnt(0)
	v_mul_f64 v[103:104], v[101:102], v[105:106]
	v_fma_f64 v[103:104], v[99:100], v[97:98], -v[103:104]
	v_mul_f64 v[99:100], v[99:100], v[105:106]
	v_add_f64 v[73:74], v[73:74], -v[103:104]
	v_fma_f64 v[99:100], v[101:102], v[97:98], v[99:100]
	v_mov_b32_e32 v104, v98
	v_mov_b32_e32 v103, v97
	buffer_store_dword v103, off, s[20:23], 0 offset:96 ; 4-byte Folded Spill
	s_nop 0
	buffer_store_dword v104, off, s[20:23], 0 offset:100 ; 4-byte Folded Spill
	buffer_store_dword v105, off, s[20:23], 0 offset:104 ; 4-byte Folded Spill
	;; [unrolled: 1-line block ×3, first 2 shown]
	v_add_f64 v[75:76], v[75:76], -v[99:100]
.LBB91_154:
	s_or_b64 exec, exec, s[2:3]
	v_cmp_eq_u32_e32 vcc, 17, v0
	s_waitcnt vmcnt(0)
	s_barrier
	s_and_saveexec_b64 s[4:5], vcc
	s_cbranch_execz .LBB91_161
; %bb.155:
	buffer_load_dword v69, off, s[20:23], 0 offset:80 ; 4-byte Folded Reload
	buffer_load_dword v70, off, s[20:23], 0 offset:84 ; 4-byte Folded Reload
	;; [unrolled: 1-line block ×4, first 2 shown]
	s_waitcnt vmcnt(0)
	ds_write2_b64 v127, v[69:70], v[71:72] offset1:1
	buffer_load_dword v69, off, s[20:23], 0 offset:64 ; 4-byte Folded Reload
	buffer_load_dword v70, off, s[20:23], 0 offset:68 ; 4-byte Folded Reload
	;; [unrolled: 1-line block ×4, first 2 shown]
	s_waitcnt vmcnt(0)
	ds_write2_b64 v125, v[69:70], v[71:72] offset0:36 offset1:37
	buffer_load_dword v69, off, s[20:23], 0 offset:48 ; 4-byte Folded Reload
	buffer_load_dword v70, off, s[20:23], 0 offset:52 ; 4-byte Folded Reload
	;; [unrolled: 1-line block ×4, first 2 shown]
	s_waitcnt vmcnt(0)
	ds_write2_b64 v125, v[69:70], v[71:72] offset0:38 offset1:39
	ds_write2_b64 v125, v[117:118], v[119:120] offset0:40 offset1:41
	;; [unrolled: 1-line block ×6, first 2 shown]
	buffer_load_dword v77, off, s[20:23], 0 offset:32 ; 4-byte Folded Reload
	buffer_load_dword v78, off, s[20:23], 0 offset:36 ; 4-byte Folded Reload
	;; [unrolled: 1-line block ×4, first 2 shown]
	v_mov_b32_e32 v69, v73
	v_mov_b32_e32 v70, v74
	;; [unrolled: 1-line block ×4, first 2 shown]
	s_waitcnt vmcnt(0)
	ds_write2_b64 v125, v[77:78], v[79:80] offset0:50 offset1:51
	buffer_load_dword v73, off, s[20:23], 0 offset:16 ; 4-byte Folded Reload
	buffer_load_dword v74, off, s[20:23], 0 offset:20 ; 4-byte Folded Reload
	;; [unrolled: 1-line block ×4, first 2 shown]
	s_waitcnt vmcnt(0)
	ds_write2_b64 v125, v[73:74], v[75:76] offset0:52 offset1:53
	v_mov_b32_e32 v76, v72
	v_mov_b32_e32 v75, v71
	;; [unrolled: 1-line block ×4, first 2 shown]
	buffer_load_dword v69, off, s[20:23], 0 ; 4-byte Folded Reload
	buffer_load_dword v70, off, s[20:23], 0 offset:4 ; 4-byte Folded Reload
	buffer_load_dword v71, off, s[20:23], 0 offset:8 ; 4-byte Folded Reload
	;; [unrolled: 1-line block ×3, first 2 shown]
	s_waitcnt vmcnt(0)
	ds_write2_b64 v125, v[69:70], v[71:72] offset0:54 offset1:55
	ds_write2_b64 v125, v[65:66], v[67:68] offset0:56 offset1:57
	;; [unrolled: 1-line block ×19, first 2 shown]
	ds_read2_b64 v[97:100], v127 offset1:1
	s_waitcnt lgkmcnt(0)
	v_cmp_neq_f64_e32 vcc, 0, v[97:98]
	v_cmp_neq_f64_e64 s[2:3], 0, v[99:100]
	s_or_b64 s[2:3], vcc, s[2:3]
	s_and_b64 exec, exec, s[2:3]
	s_cbranch_execz .LBB91_161
; %bb.156:
	v_cmp_ngt_f64_e64 s[2:3], |v[97:98]|, |v[99:100]|
                                        ; implicit-def: $vgpr101_vgpr102
	s_and_saveexec_b64 s[6:7], s[2:3]
	s_xor_b64 s[2:3], exec, s[6:7]
                                        ; implicit-def: $vgpr103_vgpr104
	s_cbranch_execz .LBB91_158
; %bb.157:
	v_div_scale_f64 v[101:102], s[6:7], v[99:100], v[99:100], v[97:98]
	v_rcp_f64_e32 v[103:104], v[101:102]
	v_fma_f64 v[105:106], -v[101:102], v[103:104], 1.0
	v_fma_f64 v[103:104], v[103:104], v[105:106], v[103:104]
	v_div_scale_f64 v[105:106], vcc, v[97:98], v[99:100], v[97:98]
	v_fma_f64 v[107:108], -v[101:102], v[103:104], 1.0
	v_fma_f64 v[103:104], v[103:104], v[107:108], v[103:104]
	v_mul_f64 v[107:108], v[105:106], v[103:104]
	v_fma_f64 v[101:102], -v[101:102], v[107:108], v[105:106]
	v_div_fmas_f64 v[101:102], v[101:102], v[103:104], v[107:108]
	v_div_fixup_f64 v[101:102], v[101:102], v[99:100], v[97:98]
	v_fma_f64 v[97:98], v[97:98], v[101:102], v[99:100]
	v_div_scale_f64 v[99:100], s[6:7], v[97:98], v[97:98], 1.0
	v_div_scale_f64 v[107:108], vcc, 1.0, v[97:98], 1.0
	v_rcp_f64_e32 v[103:104], v[99:100]
	v_fma_f64 v[105:106], -v[99:100], v[103:104], 1.0
	v_fma_f64 v[103:104], v[103:104], v[105:106], v[103:104]
	v_fma_f64 v[105:106], -v[99:100], v[103:104], 1.0
	v_fma_f64 v[103:104], v[103:104], v[105:106], v[103:104]
	v_mul_f64 v[105:106], v[107:108], v[103:104]
	v_fma_f64 v[99:100], -v[99:100], v[105:106], v[107:108]
	v_div_fmas_f64 v[99:100], v[99:100], v[103:104], v[105:106]
	v_div_fixup_f64 v[103:104], v[99:100], v[97:98], 1.0
                                        ; implicit-def: $vgpr97_vgpr98
	v_mul_f64 v[101:102], v[101:102], v[103:104]
	v_xor_b32_e32 v104, 0x80000000, v104
.LBB91_158:
	s_andn2_saveexec_b64 s[2:3], s[2:3]
	s_cbranch_execz .LBB91_160
; %bb.159:
	v_div_scale_f64 v[101:102], s[6:7], v[97:98], v[97:98], v[99:100]
	v_rcp_f64_e32 v[103:104], v[101:102]
	v_fma_f64 v[105:106], -v[101:102], v[103:104], 1.0
	v_fma_f64 v[103:104], v[103:104], v[105:106], v[103:104]
	v_div_scale_f64 v[105:106], vcc, v[99:100], v[97:98], v[99:100]
	v_fma_f64 v[107:108], -v[101:102], v[103:104], 1.0
	v_fma_f64 v[103:104], v[103:104], v[107:108], v[103:104]
	v_mul_f64 v[107:108], v[105:106], v[103:104]
	v_fma_f64 v[101:102], -v[101:102], v[107:108], v[105:106]
	v_div_fmas_f64 v[101:102], v[101:102], v[103:104], v[107:108]
	v_div_fixup_f64 v[103:104], v[101:102], v[97:98], v[99:100]
	v_fma_f64 v[97:98], v[99:100], v[103:104], v[97:98]
	v_div_scale_f64 v[99:100], s[6:7], v[97:98], v[97:98], 1.0
	v_div_scale_f64 v[107:108], vcc, 1.0, v[97:98], 1.0
	v_rcp_f64_e32 v[101:102], v[99:100]
	v_fma_f64 v[105:106], -v[99:100], v[101:102], 1.0
	v_fma_f64 v[101:102], v[101:102], v[105:106], v[101:102]
	v_fma_f64 v[105:106], -v[99:100], v[101:102], 1.0
	v_fma_f64 v[101:102], v[101:102], v[105:106], v[101:102]
	v_mul_f64 v[105:106], v[107:108], v[101:102]
	v_fma_f64 v[99:100], -v[99:100], v[105:106], v[107:108]
	v_div_fmas_f64 v[99:100], v[99:100], v[101:102], v[105:106]
	v_div_fixup_f64 v[101:102], v[99:100], v[97:98], 1.0
	v_mul_f64 v[103:104], v[103:104], -v[101:102]
.LBB91_160:
	s_or_b64 exec, exec, s[2:3]
	ds_write2_b64 v127, v[101:102], v[103:104] offset1:1
.LBB91_161:
	s_or_b64 exec, exec, s[4:5]
	s_waitcnt lgkmcnt(0)
	s_barrier
	ds_read2_b64 v[69:72], v127 offset1:1
	v_cmp_lt_u32_e32 vcc, 17, v0
	s_waitcnt lgkmcnt(0)
	buffer_store_dword v69, off, s[20:23], 0 offset:1000 ; 4-byte Folded Spill
	s_nop 0
	buffer_store_dword v70, off, s[20:23], 0 offset:1004 ; 4-byte Folded Spill
	buffer_store_dword v71, off, s[20:23], 0 offset:1008 ; 4-byte Folded Spill
	;; [unrolled: 1-line block ×3, first 2 shown]
	s_and_saveexec_b64 s[2:3], vcc
	s_cbranch_execz .LBB91_163
; %bb.162:
	buffer_load_dword v103, off, s[20:23], 0 offset:80 ; 4-byte Folded Reload
	buffer_load_dword v104, off, s[20:23], 0 offset:84 ; 4-byte Folded Reload
	;; [unrolled: 1-line block ×8, first 2 shown]
	s_waitcnt vmcnt(2)
	v_mul_f64 v[99:100], v[69:70], v[105:106]
	s_waitcnt vmcnt(0)
	v_mul_f64 v[97:98], v[71:72], v[105:106]
	v_fma_f64 v[105:106], v[71:72], v[103:104], v[99:100]
	ds_read2_b64 v[99:102], v125 offset0:36 offset1:37
	v_fma_f64 v[97:98], v[69:70], v[103:104], -v[97:98]
	buffer_load_dword v69, off, s[20:23], 0 offset:64 ; 4-byte Folded Reload
	buffer_load_dword v70, off, s[20:23], 0 offset:68 ; 4-byte Folded Reload
	;; [unrolled: 1-line block ×4, first 2 shown]
	s_waitcnt lgkmcnt(0)
	v_mul_f64 v[103:104], v[101:102], v[105:106]
	v_fma_f64 v[103:104], v[99:100], v[97:98], -v[103:104]
	v_mul_f64 v[99:100], v[99:100], v[105:106]
	v_fma_f64 v[99:100], v[101:102], v[97:98], v[99:100]
	s_waitcnt vmcnt(2)
	v_add_f64 v[69:70], v[69:70], -v[103:104]
	s_waitcnt vmcnt(0)
	v_add_f64 v[71:72], v[71:72], -v[99:100]
	buffer_store_dword v69, off, s[20:23], 0 offset:64 ; 4-byte Folded Spill
	s_nop 0
	buffer_store_dword v70, off, s[20:23], 0 offset:68 ; 4-byte Folded Spill
	buffer_store_dword v71, off, s[20:23], 0 offset:72 ; 4-byte Folded Spill
	;; [unrolled: 1-line block ×3, first 2 shown]
	ds_read2_b64 v[99:102], v125 offset0:38 offset1:39
	buffer_load_dword v69, off, s[20:23], 0 offset:48 ; 4-byte Folded Reload
	buffer_load_dword v70, off, s[20:23], 0 offset:52 ; 4-byte Folded Reload
	;; [unrolled: 1-line block ×4, first 2 shown]
	s_waitcnt lgkmcnt(0)
	v_mul_f64 v[103:104], v[101:102], v[105:106]
	v_fma_f64 v[103:104], v[99:100], v[97:98], -v[103:104]
	v_mul_f64 v[99:100], v[99:100], v[105:106]
	v_fma_f64 v[99:100], v[101:102], v[97:98], v[99:100]
	s_waitcnt vmcnt(2)
	v_add_f64 v[69:70], v[69:70], -v[103:104]
	s_waitcnt vmcnt(0)
	v_add_f64 v[71:72], v[71:72], -v[99:100]
	buffer_store_dword v69, off, s[20:23], 0 offset:48 ; 4-byte Folded Spill
	s_nop 0
	buffer_store_dword v70, off, s[20:23], 0 offset:52 ; 4-byte Folded Spill
	buffer_store_dword v71, off, s[20:23], 0 offset:56 ; 4-byte Folded Spill
	;; [unrolled: 1-line block ×3, first 2 shown]
	ds_read2_b64 v[99:102], v125 offset0:40 offset1:41
	v_mov_b32_e32 v69, v73
	v_mov_b32_e32 v70, v74
	;; [unrolled: 1-line block ×4, first 2 shown]
	s_waitcnt lgkmcnt(0)
	v_mul_f64 v[103:104], v[101:102], v[105:106]
	v_fma_f64 v[103:104], v[99:100], v[97:98], -v[103:104]
	v_mul_f64 v[99:100], v[99:100], v[105:106]
	v_add_f64 v[117:118], v[117:118], -v[103:104]
	v_fma_f64 v[99:100], v[101:102], v[97:98], v[99:100]
	v_add_f64 v[119:120], v[119:120], -v[99:100]
	ds_read2_b64 v[99:102], v125 offset0:42 offset1:43
	s_waitcnt lgkmcnt(0)
	v_mul_f64 v[103:104], v[101:102], v[105:106]
	v_fma_f64 v[103:104], v[99:100], v[97:98], -v[103:104]
	v_mul_f64 v[99:100], v[99:100], v[105:106]
	v_add_f64 v[121:122], v[121:122], -v[103:104]
	v_fma_f64 v[99:100], v[101:102], v[97:98], v[99:100]
	v_add_f64 v[123:124], v[123:124], -v[99:100]
	ds_read2_b64 v[99:102], v125 offset0:44 offset1:45
	;; [unrolled: 8-line block ×5, first 2 shown]
	buffer_load_dword v77, off, s[20:23], 0 offset:32 ; 4-byte Folded Reload
	buffer_load_dword v78, off, s[20:23], 0 offset:36 ; 4-byte Folded Reload
	;; [unrolled: 1-line block ×4, first 2 shown]
	s_waitcnt lgkmcnt(0)
	v_mul_f64 v[103:104], v[101:102], v[105:106]
	v_fma_f64 v[103:104], v[99:100], v[97:98], -v[103:104]
	v_mul_f64 v[99:100], v[99:100], v[105:106]
	v_fma_f64 v[99:100], v[101:102], v[97:98], v[99:100]
	s_waitcnt vmcnt(2)
	v_add_f64 v[77:78], v[77:78], -v[103:104]
	s_waitcnt vmcnt(0)
	v_add_f64 v[79:80], v[79:80], -v[99:100]
	buffer_store_dword v77, off, s[20:23], 0 offset:32 ; 4-byte Folded Spill
	s_nop 0
	buffer_store_dword v78, off, s[20:23], 0 offset:36 ; 4-byte Folded Spill
	buffer_store_dword v79, off, s[20:23], 0 offset:40 ; 4-byte Folded Spill
	buffer_store_dword v80, off, s[20:23], 0 offset:44 ; 4-byte Folded Spill
	ds_read2_b64 v[99:102], v125 offset0:52 offset1:53
	buffer_load_dword v73, off, s[20:23], 0 offset:16 ; 4-byte Folded Reload
	buffer_load_dword v74, off, s[20:23], 0 offset:20 ; 4-byte Folded Reload
	;; [unrolled: 1-line block ×4, first 2 shown]
	s_waitcnt lgkmcnt(0)
	v_mul_f64 v[103:104], v[101:102], v[105:106]
	v_fma_f64 v[103:104], v[99:100], v[97:98], -v[103:104]
	v_mul_f64 v[99:100], v[99:100], v[105:106]
	v_fma_f64 v[99:100], v[101:102], v[97:98], v[99:100]
	s_waitcnt vmcnt(2)
	v_add_f64 v[73:74], v[73:74], -v[103:104]
	s_waitcnt vmcnt(0)
	v_add_f64 v[75:76], v[75:76], -v[99:100]
	buffer_store_dword v73, off, s[20:23], 0 offset:16 ; 4-byte Folded Spill
	s_nop 0
	buffer_store_dword v74, off, s[20:23], 0 offset:20 ; 4-byte Folded Spill
	buffer_store_dword v75, off, s[20:23], 0 offset:24 ; 4-byte Folded Spill
	;; [unrolled: 1-line block ×3, first 2 shown]
	v_mov_b32_e32 v76, v72
	v_mov_b32_e32 v75, v71
	;; [unrolled: 1-line block ×4, first 2 shown]
	ds_read2_b64 v[99:102], v125 offset0:54 offset1:55
	buffer_load_dword v69, off, s[20:23], 0 ; 4-byte Folded Reload
	buffer_load_dword v70, off, s[20:23], 0 offset:4 ; 4-byte Folded Reload
	buffer_load_dword v71, off, s[20:23], 0 offset:8 ; 4-byte Folded Reload
	;; [unrolled: 1-line block ×3, first 2 shown]
	s_waitcnt lgkmcnt(0)
	v_mul_f64 v[103:104], v[101:102], v[105:106]
	v_fma_f64 v[103:104], v[99:100], v[97:98], -v[103:104]
	v_mul_f64 v[99:100], v[99:100], v[105:106]
	v_fma_f64 v[99:100], v[101:102], v[97:98], v[99:100]
	s_waitcnt vmcnt(2)
	v_add_f64 v[69:70], v[69:70], -v[103:104]
	s_waitcnt vmcnt(0)
	v_add_f64 v[71:72], v[71:72], -v[99:100]
	buffer_store_dword v69, off, s[20:23], 0 ; 4-byte Folded Spill
	s_nop 0
	buffer_store_dword v70, off, s[20:23], 0 offset:4 ; 4-byte Folded Spill
	buffer_store_dword v71, off, s[20:23], 0 offset:8 ; 4-byte Folded Spill
	;; [unrolled: 1-line block ×3, first 2 shown]
	ds_read2_b64 v[99:102], v125 offset0:56 offset1:57
	s_waitcnt lgkmcnt(0)
	v_mul_f64 v[103:104], v[101:102], v[105:106]
	v_fma_f64 v[103:104], v[99:100], v[97:98], -v[103:104]
	v_mul_f64 v[99:100], v[99:100], v[105:106]
	v_add_f64 v[65:66], v[65:66], -v[103:104]
	v_fma_f64 v[99:100], v[101:102], v[97:98], v[99:100]
	v_add_f64 v[67:68], v[67:68], -v[99:100]
	ds_read2_b64 v[99:102], v125 offset0:58 offset1:59
	s_waitcnt lgkmcnt(0)
	v_mul_f64 v[103:104], v[101:102], v[105:106]
	v_fma_f64 v[103:104], v[99:100], v[97:98], -v[103:104]
	v_mul_f64 v[99:100], v[99:100], v[105:106]
	v_add_f64 v[61:62], v[61:62], -v[103:104]
	v_fma_f64 v[99:100], v[101:102], v[97:98], v[99:100]
	v_add_f64 v[63:64], v[63:64], -v[99:100]
	;; [unrolled: 8-line block ×17, first 2 shown]
	ds_read2_b64 v[99:102], v125 offset0:90 offset1:91
	s_waitcnt lgkmcnt(0)
	v_mul_f64 v[103:104], v[101:102], v[105:106]
	v_fma_f64 v[103:104], v[99:100], v[97:98], -v[103:104]
	v_mul_f64 v[99:100], v[99:100], v[105:106]
	v_add_f64 v[73:74], v[73:74], -v[103:104]
	v_fma_f64 v[99:100], v[101:102], v[97:98], v[99:100]
	v_mov_b32_e32 v104, v98
	v_mov_b32_e32 v103, v97
	buffer_store_dword v103, off, s[20:23], 0 offset:80 ; 4-byte Folded Spill
	s_nop 0
	buffer_store_dword v104, off, s[20:23], 0 offset:84 ; 4-byte Folded Spill
	buffer_store_dword v105, off, s[20:23], 0 offset:88 ; 4-byte Folded Spill
	;; [unrolled: 1-line block ×3, first 2 shown]
	v_add_f64 v[75:76], v[75:76], -v[99:100]
.LBB91_163:
	s_or_b64 exec, exec, s[2:3]
	v_cmp_eq_u32_e32 vcc, 18, v0
	s_waitcnt vmcnt(0)
	s_barrier
	s_and_saveexec_b64 s[4:5], vcc
	s_cbranch_execz .LBB91_170
; %bb.164:
	buffer_load_dword v69, off, s[20:23], 0 offset:64 ; 4-byte Folded Reload
	buffer_load_dword v70, off, s[20:23], 0 offset:68 ; 4-byte Folded Reload
	;; [unrolled: 1-line block ×4, first 2 shown]
	s_waitcnt vmcnt(0)
	ds_write2_b64 v127, v[69:70], v[71:72] offset1:1
	buffer_load_dword v69, off, s[20:23], 0 offset:48 ; 4-byte Folded Reload
	buffer_load_dword v70, off, s[20:23], 0 offset:52 ; 4-byte Folded Reload
	;; [unrolled: 1-line block ×4, first 2 shown]
	s_waitcnt vmcnt(0)
	ds_write2_b64 v125, v[69:70], v[71:72] offset0:38 offset1:39
	ds_write2_b64 v125, v[117:118], v[119:120] offset0:40 offset1:41
	ds_write2_b64 v125, v[121:122], v[123:124] offset0:42 offset1:43
	ds_write2_b64 v125, v[109:110], v[111:112] offset0:44 offset1:45
	ds_write2_b64 v125, v[113:114], v[115:116] offset0:46 offset1:47
	ds_write2_b64 v125, v[93:94], v[95:96] offset0:48 offset1:49
	buffer_load_dword v77, off, s[20:23], 0 offset:32 ; 4-byte Folded Reload
	buffer_load_dword v78, off, s[20:23], 0 offset:36 ; 4-byte Folded Reload
	;; [unrolled: 1-line block ×4, first 2 shown]
	v_mov_b32_e32 v69, v73
	v_mov_b32_e32 v70, v74
	;; [unrolled: 1-line block ×4, first 2 shown]
	s_waitcnt vmcnt(0)
	ds_write2_b64 v125, v[77:78], v[79:80] offset0:50 offset1:51
	buffer_load_dword v73, off, s[20:23], 0 offset:16 ; 4-byte Folded Reload
	buffer_load_dword v74, off, s[20:23], 0 offset:20 ; 4-byte Folded Reload
	;; [unrolled: 1-line block ×4, first 2 shown]
	s_waitcnt vmcnt(0)
	ds_write2_b64 v125, v[73:74], v[75:76] offset0:52 offset1:53
	v_mov_b32_e32 v76, v72
	v_mov_b32_e32 v75, v71
	;; [unrolled: 1-line block ×4, first 2 shown]
	buffer_load_dword v69, off, s[20:23], 0 ; 4-byte Folded Reload
	buffer_load_dword v70, off, s[20:23], 0 offset:4 ; 4-byte Folded Reload
	buffer_load_dword v71, off, s[20:23], 0 offset:8 ; 4-byte Folded Reload
	;; [unrolled: 1-line block ×3, first 2 shown]
	s_waitcnt vmcnt(0)
	ds_write2_b64 v125, v[69:70], v[71:72] offset0:54 offset1:55
	ds_write2_b64 v125, v[65:66], v[67:68] offset0:56 offset1:57
	;; [unrolled: 1-line block ×19, first 2 shown]
	ds_read2_b64 v[97:100], v127 offset1:1
	s_waitcnt lgkmcnt(0)
	v_cmp_neq_f64_e32 vcc, 0, v[97:98]
	v_cmp_neq_f64_e64 s[2:3], 0, v[99:100]
	s_or_b64 s[2:3], vcc, s[2:3]
	s_and_b64 exec, exec, s[2:3]
	s_cbranch_execz .LBB91_170
; %bb.165:
	v_cmp_ngt_f64_e64 s[2:3], |v[97:98]|, |v[99:100]|
                                        ; implicit-def: $vgpr101_vgpr102
	s_and_saveexec_b64 s[6:7], s[2:3]
	s_xor_b64 s[2:3], exec, s[6:7]
                                        ; implicit-def: $vgpr103_vgpr104
	s_cbranch_execz .LBB91_167
; %bb.166:
	v_div_scale_f64 v[101:102], s[6:7], v[99:100], v[99:100], v[97:98]
	v_rcp_f64_e32 v[103:104], v[101:102]
	v_fma_f64 v[105:106], -v[101:102], v[103:104], 1.0
	v_fma_f64 v[103:104], v[103:104], v[105:106], v[103:104]
	v_div_scale_f64 v[105:106], vcc, v[97:98], v[99:100], v[97:98]
	v_fma_f64 v[107:108], -v[101:102], v[103:104], 1.0
	v_fma_f64 v[103:104], v[103:104], v[107:108], v[103:104]
	v_mul_f64 v[107:108], v[105:106], v[103:104]
	v_fma_f64 v[101:102], -v[101:102], v[107:108], v[105:106]
	v_div_fmas_f64 v[101:102], v[101:102], v[103:104], v[107:108]
	v_div_fixup_f64 v[101:102], v[101:102], v[99:100], v[97:98]
	v_fma_f64 v[97:98], v[97:98], v[101:102], v[99:100]
	v_div_scale_f64 v[99:100], s[6:7], v[97:98], v[97:98], 1.0
	v_div_scale_f64 v[107:108], vcc, 1.0, v[97:98], 1.0
	v_rcp_f64_e32 v[103:104], v[99:100]
	v_fma_f64 v[105:106], -v[99:100], v[103:104], 1.0
	v_fma_f64 v[103:104], v[103:104], v[105:106], v[103:104]
	v_fma_f64 v[105:106], -v[99:100], v[103:104], 1.0
	v_fma_f64 v[103:104], v[103:104], v[105:106], v[103:104]
	v_mul_f64 v[105:106], v[107:108], v[103:104]
	v_fma_f64 v[99:100], -v[99:100], v[105:106], v[107:108]
	v_div_fmas_f64 v[99:100], v[99:100], v[103:104], v[105:106]
	v_div_fixup_f64 v[103:104], v[99:100], v[97:98], 1.0
                                        ; implicit-def: $vgpr97_vgpr98
	v_mul_f64 v[101:102], v[101:102], v[103:104]
	v_xor_b32_e32 v104, 0x80000000, v104
.LBB91_167:
	s_andn2_saveexec_b64 s[2:3], s[2:3]
	s_cbranch_execz .LBB91_169
; %bb.168:
	v_div_scale_f64 v[101:102], s[6:7], v[97:98], v[97:98], v[99:100]
	v_rcp_f64_e32 v[103:104], v[101:102]
	v_fma_f64 v[105:106], -v[101:102], v[103:104], 1.0
	v_fma_f64 v[103:104], v[103:104], v[105:106], v[103:104]
	v_div_scale_f64 v[105:106], vcc, v[99:100], v[97:98], v[99:100]
	v_fma_f64 v[107:108], -v[101:102], v[103:104], 1.0
	v_fma_f64 v[103:104], v[103:104], v[107:108], v[103:104]
	v_mul_f64 v[107:108], v[105:106], v[103:104]
	v_fma_f64 v[101:102], -v[101:102], v[107:108], v[105:106]
	v_div_fmas_f64 v[101:102], v[101:102], v[103:104], v[107:108]
	v_div_fixup_f64 v[103:104], v[101:102], v[97:98], v[99:100]
	v_fma_f64 v[97:98], v[99:100], v[103:104], v[97:98]
	v_div_scale_f64 v[99:100], s[6:7], v[97:98], v[97:98], 1.0
	v_div_scale_f64 v[107:108], vcc, 1.0, v[97:98], 1.0
	v_rcp_f64_e32 v[101:102], v[99:100]
	v_fma_f64 v[105:106], -v[99:100], v[101:102], 1.0
	v_fma_f64 v[101:102], v[101:102], v[105:106], v[101:102]
	v_fma_f64 v[105:106], -v[99:100], v[101:102], 1.0
	v_fma_f64 v[101:102], v[101:102], v[105:106], v[101:102]
	v_mul_f64 v[105:106], v[107:108], v[101:102]
	v_fma_f64 v[99:100], -v[99:100], v[105:106], v[107:108]
	v_div_fmas_f64 v[99:100], v[99:100], v[101:102], v[105:106]
	v_div_fixup_f64 v[101:102], v[99:100], v[97:98], 1.0
	v_mul_f64 v[103:104], v[103:104], -v[101:102]
.LBB91_169:
	s_or_b64 exec, exec, s[2:3]
	ds_write2_b64 v127, v[101:102], v[103:104] offset1:1
.LBB91_170:
	s_or_b64 exec, exec, s[4:5]
	s_waitcnt lgkmcnt(0)
	s_barrier
	ds_read2_b64 v[69:72], v127 offset1:1
	v_cmp_lt_u32_e32 vcc, 18, v0
	s_waitcnt lgkmcnt(0)
	buffer_store_dword v69, off, s[20:23], 0 offset:1016 ; 4-byte Folded Spill
	s_nop 0
	buffer_store_dword v70, off, s[20:23], 0 offset:1020 ; 4-byte Folded Spill
	buffer_store_dword v71, off, s[20:23], 0 offset:1024 ; 4-byte Folded Spill
	;; [unrolled: 1-line block ×3, first 2 shown]
	s_and_saveexec_b64 s[2:3], vcc
	s_cbranch_execz .LBB91_172
; %bb.171:
	buffer_load_dword v103, off, s[20:23], 0 offset:64 ; 4-byte Folded Reload
	buffer_load_dword v104, off, s[20:23], 0 offset:68 ; 4-byte Folded Reload
	;; [unrolled: 1-line block ×8, first 2 shown]
	s_waitcnt vmcnt(2)
	v_mul_f64 v[99:100], v[69:70], v[105:106]
	s_waitcnt vmcnt(0)
	v_mul_f64 v[97:98], v[71:72], v[105:106]
	v_fma_f64 v[105:106], v[71:72], v[103:104], v[99:100]
	ds_read2_b64 v[99:102], v125 offset0:38 offset1:39
	v_fma_f64 v[97:98], v[69:70], v[103:104], -v[97:98]
	buffer_load_dword v69, off, s[20:23], 0 offset:48 ; 4-byte Folded Reload
	buffer_load_dword v70, off, s[20:23], 0 offset:52 ; 4-byte Folded Reload
	;; [unrolled: 1-line block ×4, first 2 shown]
	s_waitcnt lgkmcnt(0)
	v_mul_f64 v[103:104], v[101:102], v[105:106]
	v_fma_f64 v[103:104], v[99:100], v[97:98], -v[103:104]
	v_mul_f64 v[99:100], v[99:100], v[105:106]
	v_fma_f64 v[99:100], v[101:102], v[97:98], v[99:100]
	s_waitcnt vmcnt(2)
	v_add_f64 v[69:70], v[69:70], -v[103:104]
	s_waitcnt vmcnt(0)
	v_add_f64 v[71:72], v[71:72], -v[99:100]
	buffer_store_dword v69, off, s[20:23], 0 offset:48 ; 4-byte Folded Spill
	s_nop 0
	buffer_store_dword v70, off, s[20:23], 0 offset:52 ; 4-byte Folded Spill
	buffer_store_dword v71, off, s[20:23], 0 offset:56 ; 4-byte Folded Spill
	;; [unrolled: 1-line block ×3, first 2 shown]
	ds_read2_b64 v[99:102], v125 offset0:40 offset1:41
	v_mov_b32_e32 v69, v73
	v_mov_b32_e32 v70, v74
	;; [unrolled: 1-line block ×4, first 2 shown]
	s_waitcnt lgkmcnt(0)
	v_mul_f64 v[103:104], v[101:102], v[105:106]
	v_fma_f64 v[103:104], v[99:100], v[97:98], -v[103:104]
	v_mul_f64 v[99:100], v[99:100], v[105:106]
	v_add_f64 v[117:118], v[117:118], -v[103:104]
	v_fma_f64 v[99:100], v[101:102], v[97:98], v[99:100]
	v_add_f64 v[119:120], v[119:120], -v[99:100]
	ds_read2_b64 v[99:102], v125 offset0:42 offset1:43
	s_waitcnt lgkmcnt(0)
	v_mul_f64 v[103:104], v[101:102], v[105:106]
	v_fma_f64 v[103:104], v[99:100], v[97:98], -v[103:104]
	v_mul_f64 v[99:100], v[99:100], v[105:106]
	v_add_f64 v[121:122], v[121:122], -v[103:104]
	v_fma_f64 v[99:100], v[101:102], v[97:98], v[99:100]
	v_add_f64 v[123:124], v[123:124], -v[99:100]
	ds_read2_b64 v[99:102], v125 offset0:44 offset1:45
	;; [unrolled: 8-line block ×5, first 2 shown]
	buffer_load_dword v77, off, s[20:23], 0 offset:32 ; 4-byte Folded Reload
	buffer_load_dword v78, off, s[20:23], 0 offset:36 ; 4-byte Folded Reload
	;; [unrolled: 1-line block ×4, first 2 shown]
	s_waitcnt lgkmcnt(0)
	v_mul_f64 v[103:104], v[101:102], v[105:106]
	v_fma_f64 v[103:104], v[99:100], v[97:98], -v[103:104]
	v_mul_f64 v[99:100], v[99:100], v[105:106]
	v_fma_f64 v[99:100], v[101:102], v[97:98], v[99:100]
	s_waitcnt vmcnt(2)
	v_add_f64 v[77:78], v[77:78], -v[103:104]
	s_waitcnt vmcnt(0)
	v_add_f64 v[79:80], v[79:80], -v[99:100]
	buffer_store_dword v77, off, s[20:23], 0 offset:32 ; 4-byte Folded Spill
	s_nop 0
	buffer_store_dword v78, off, s[20:23], 0 offset:36 ; 4-byte Folded Spill
	buffer_store_dword v79, off, s[20:23], 0 offset:40 ; 4-byte Folded Spill
	;; [unrolled: 1-line block ×3, first 2 shown]
	ds_read2_b64 v[99:102], v125 offset0:52 offset1:53
	buffer_load_dword v73, off, s[20:23], 0 offset:16 ; 4-byte Folded Reload
	buffer_load_dword v74, off, s[20:23], 0 offset:20 ; 4-byte Folded Reload
	;; [unrolled: 1-line block ×4, first 2 shown]
	s_waitcnt lgkmcnt(0)
	v_mul_f64 v[103:104], v[101:102], v[105:106]
	v_fma_f64 v[103:104], v[99:100], v[97:98], -v[103:104]
	v_mul_f64 v[99:100], v[99:100], v[105:106]
	v_fma_f64 v[99:100], v[101:102], v[97:98], v[99:100]
	s_waitcnt vmcnt(2)
	v_add_f64 v[73:74], v[73:74], -v[103:104]
	s_waitcnt vmcnt(0)
	v_add_f64 v[75:76], v[75:76], -v[99:100]
	buffer_store_dword v73, off, s[20:23], 0 offset:16 ; 4-byte Folded Spill
	s_nop 0
	buffer_store_dword v74, off, s[20:23], 0 offset:20 ; 4-byte Folded Spill
	buffer_store_dword v75, off, s[20:23], 0 offset:24 ; 4-byte Folded Spill
	buffer_store_dword v76, off, s[20:23], 0 offset:28 ; 4-byte Folded Spill
	v_mov_b32_e32 v76, v72
	v_mov_b32_e32 v75, v71
	v_mov_b32_e32 v74, v70
	v_mov_b32_e32 v73, v69
	ds_read2_b64 v[99:102], v125 offset0:54 offset1:55
	buffer_load_dword v69, off, s[20:23], 0 ; 4-byte Folded Reload
	buffer_load_dword v70, off, s[20:23], 0 offset:4 ; 4-byte Folded Reload
	buffer_load_dword v71, off, s[20:23], 0 offset:8 ; 4-byte Folded Reload
	;; [unrolled: 1-line block ×3, first 2 shown]
	s_waitcnt lgkmcnt(0)
	v_mul_f64 v[103:104], v[101:102], v[105:106]
	v_fma_f64 v[103:104], v[99:100], v[97:98], -v[103:104]
	v_mul_f64 v[99:100], v[99:100], v[105:106]
	v_fma_f64 v[99:100], v[101:102], v[97:98], v[99:100]
	s_waitcnt vmcnt(2)
	v_add_f64 v[69:70], v[69:70], -v[103:104]
	s_waitcnt vmcnt(0)
	v_add_f64 v[71:72], v[71:72], -v[99:100]
	buffer_store_dword v69, off, s[20:23], 0 ; 4-byte Folded Spill
	s_nop 0
	buffer_store_dword v70, off, s[20:23], 0 offset:4 ; 4-byte Folded Spill
	buffer_store_dword v71, off, s[20:23], 0 offset:8 ; 4-byte Folded Spill
	;; [unrolled: 1-line block ×3, first 2 shown]
	ds_read2_b64 v[99:102], v125 offset0:56 offset1:57
	s_waitcnt lgkmcnt(0)
	v_mul_f64 v[103:104], v[101:102], v[105:106]
	v_fma_f64 v[103:104], v[99:100], v[97:98], -v[103:104]
	v_mul_f64 v[99:100], v[99:100], v[105:106]
	v_add_f64 v[65:66], v[65:66], -v[103:104]
	v_fma_f64 v[99:100], v[101:102], v[97:98], v[99:100]
	v_add_f64 v[67:68], v[67:68], -v[99:100]
	ds_read2_b64 v[99:102], v125 offset0:58 offset1:59
	s_waitcnt lgkmcnt(0)
	v_mul_f64 v[103:104], v[101:102], v[105:106]
	v_fma_f64 v[103:104], v[99:100], v[97:98], -v[103:104]
	v_mul_f64 v[99:100], v[99:100], v[105:106]
	v_add_f64 v[61:62], v[61:62], -v[103:104]
	v_fma_f64 v[99:100], v[101:102], v[97:98], v[99:100]
	v_add_f64 v[63:64], v[63:64], -v[99:100]
	;; [unrolled: 8-line block ×17, first 2 shown]
	ds_read2_b64 v[99:102], v125 offset0:90 offset1:91
	s_waitcnt lgkmcnt(0)
	v_mul_f64 v[103:104], v[101:102], v[105:106]
	v_fma_f64 v[103:104], v[99:100], v[97:98], -v[103:104]
	v_mul_f64 v[99:100], v[99:100], v[105:106]
	v_add_f64 v[73:74], v[73:74], -v[103:104]
	v_fma_f64 v[99:100], v[101:102], v[97:98], v[99:100]
	v_mov_b32_e32 v104, v98
	v_mov_b32_e32 v103, v97
	buffer_store_dword v103, off, s[20:23], 0 offset:64 ; 4-byte Folded Spill
	s_nop 0
	buffer_store_dword v104, off, s[20:23], 0 offset:68 ; 4-byte Folded Spill
	buffer_store_dword v105, off, s[20:23], 0 offset:72 ; 4-byte Folded Spill
	;; [unrolled: 1-line block ×3, first 2 shown]
	v_add_f64 v[75:76], v[75:76], -v[99:100]
.LBB91_172:
	s_or_b64 exec, exec, s[2:3]
	v_cmp_eq_u32_e32 vcc, 19, v0
	s_waitcnt vmcnt(0)
	s_barrier
	s_and_saveexec_b64 s[4:5], vcc
	s_cbranch_execz .LBB91_179
; %bb.173:
	buffer_load_dword v69, off, s[20:23], 0 offset:48 ; 4-byte Folded Reload
	buffer_load_dword v70, off, s[20:23], 0 offset:52 ; 4-byte Folded Reload
	;; [unrolled: 1-line block ×4, first 2 shown]
	s_waitcnt vmcnt(0)
	ds_write2_b64 v127, v[69:70], v[71:72] offset1:1
	ds_write2_b64 v125, v[117:118], v[119:120] offset0:40 offset1:41
	ds_write2_b64 v125, v[121:122], v[123:124] offset0:42 offset1:43
	;; [unrolled: 1-line block ×5, first 2 shown]
	buffer_load_dword v77, off, s[20:23], 0 offset:32 ; 4-byte Folded Reload
	buffer_load_dword v78, off, s[20:23], 0 offset:36 ; 4-byte Folded Reload
	;; [unrolled: 1-line block ×4, first 2 shown]
	v_mov_b32_e32 v69, v73
	v_mov_b32_e32 v70, v74
	;; [unrolled: 1-line block ×4, first 2 shown]
	s_waitcnt vmcnt(0)
	ds_write2_b64 v125, v[77:78], v[79:80] offset0:50 offset1:51
	buffer_load_dword v73, off, s[20:23], 0 offset:16 ; 4-byte Folded Reload
	buffer_load_dword v74, off, s[20:23], 0 offset:20 ; 4-byte Folded Reload
	;; [unrolled: 1-line block ×4, first 2 shown]
	s_waitcnt vmcnt(0)
	ds_write2_b64 v125, v[73:74], v[75:76] offset0:52 offset1:53
	v_mov_b32_e32 v76, v72
	v_mov_b32_e32 v75, v71
	;; [unrolled: 1-line block ×4, first 2 shown]
	buffer_load_dword v69, off, s[20:23], 0 ; 4-byte Folded Reload
	buffer_load_dword v70, off, s[20:23], 0 offset:4 ; 4-byte Folded Reload
	buffer_load_dword v71, off, s[20:23], 0 offset:8 ; 4-byte Folded Reload
	;; [unrolled: 1-line block ×3, first 2 shown]
	s_waitcnt vmcnt(0)
	ds_write2_b64 v125, v[69:70], v[71:72] offset0:54 offset1:55
	ds_write2_b64 v125, v[65:66], v[67:68] offset0:56 offset1:57
	;; [unrolled: 1-line block ×19, first 2 shown]
	ds_read2_b64 v[97:100], v127 offset1:1
	s_waitcnt lgkmcnt(0)
	v_cmp_neq_f64_e32 vcc, 0, v[97:98]
	v_cmp_neq_f64_e64 s[2:3], 0, v[99:100]
	s_or_b64 s[2:3], vcc, s[2:3]
	s_and_b64 exec, exec, s[2:3]
	s_cbranch_execz .LBB91_179
; %bb.174:
	v_cmp_ngt_f64_e64 s[2:3], |v[97:98]|, |v[99:100]|
                                        ; implicit-def: $vgpr101_vgpr102
	s_and_saveexec_b64 s[6:7], s[2:3]
	s_xor_b64 s[2:3], exec, s[6:7]
                                        ; implicit-def: $vgpr103_vgpr104
	s_cbranch_execz .LBB91_176
; %bb.175:
	v_div_scale_f64 v[101:102], s[6:7], v[99:100], v[99:100], v[97:98]
	v_rcp_f64_e32 v[103:104], v[101:102]
	v_fma_f64 v[105:106], -v[101:102], v[103:104], 1.0
	v_fma_f64 v[103:104], v[103:104], v[105:106], v[103:104]
	v_div_scale_f64 v[105:106], vcc, v[97:98], v[99:100], v[97:98]
	v_fma_f64 v[107:108], -v[101:102], v[103:104], 1.0
	v_fma_f64 v[103:104], v[103:104], v[107:108], v[103:104]
	v_mul_f64 v[107:108], v[105:106], v[103:104]
	v_fma_f64 v[101:102], -v[101:102], v[107:108], v[105:106]
	v_div_fmas_f64 v[101:102], v[101:102], v[103:104], v[107:108]
	v_div_fixup_f64 v[101:102], v[101:102], v[99:100], v[97:98]
	v_fma_f64 v[97:98], v[97:98], v[101:102], v[99:100]
	v_div_scale_f64 v[99:100], s[6:7], v[97:98], v[97:98], 1.0
	v_div_scale_f64 v[107:108], vcc, 1.0, v[97:98], 1.0
	v_rcp_f64_e32 v[103:104], v[99:100]
	v_fma_f64 v[105:106], -v[99:100], v[103:104], 1.0
	v_fma_f64 v[103:104], v[103:104], v[105:106], v[103:104]
	v_fma_f64 v[105:106], -v[99:100], v[103:104], 1.0
	v_fma_f64 v[103:104], v[103:104], v[105:106], v[103:104]
	v_mul_f64 v[105:106], v[107:108], v[103:104]
	v_fma_f64 v[99:100], -v[99:100], v[105:106], v[107:108]
	v_div_fmas_f64 v[99:100], v[99:100], v[103:104], v[105:106]
	v_div_fixup_f64 v[103:104], v[99:100], v[97:98], 1.0
                                        ; implicit-def: $vgpr97_vgpr98
	v_mul_f64 v[101:102], v[101:102], v[103:104]
	v_xor_b32_e32 v104, 0x80000000, v104
.LBB91_176:
	s_andn2_saveexec_b64 s[2:3], s[2:3]
	s_cbranch_execz .LBB91_178
; %bb.177:
	v_div_scale_f64 v[101:102], s[6:7], v[97:98], v[97:98], v[99:100]
	v_rcp_f64_e32 v[103:104], v[101:102]
	v_fma_f64 v[105:106], -v[101:102], v[103:104], 1.0
	v_fma_f64 v[103:104], v[103:104], v[105:106], v[103:104]
	v_div_scale_f64 v[105:106], vcc, v[99:100], v[97:98], v[99:100]
	v_fma_f64 v[107:108], -v[101:102], v[103:104], 1.0
	v_fma_f64 v[103:104], v[103:104], v[107:108], v[103:104]
	v_mul_f64 v[107:108], v[105:106], v[103:104]
	v_fma_f64 v[101:102], -v[101:102], v[107:108], v[105:106]
	v_div_fmas_f64 v[101:102], v[101:102], v[103:104], v[107:108]
	v_div_fixup_f64 v[103:104], v[101:102], v[97:98], v[99:100]
	v_fma_f64 v[97:98], v[99:100], v[103:104], v[97:98]
	v_div_scale_f64 v[99:100], s[6:7], v[97:98], v[97:98], 1.0
	v_div_scale_f64 v[107:108], vcc, 1.0, v[97:98], 1.0
	v_rcp_f64_e32 v[101:102], v[99:100]
	v_fma_f64 v[105:106], -v[99:100], v[101:102], 1.0
	v_fma_f64 v[101:102], v[101:102], v[105:106], v[101:102]
	v_fma_f64 v[105:106], -v[99:100], v[101:102], 1.0
	v_fma_f64 v[101:102], v[101:102], v[105:106], v[101:102]
	v_mul_f64 v[105:106], v[107:108], v[101:102]
	v_fma_f64 v[99:100], -v[99:100], v[105:106], v[107:108]
	v_div_fmas_f64 v[99:100], v[99:100], v[101:102], v[105:106]
	v_div_fixup_f64 v[101:102], v[99:100], v[97:98], 1.0
	v_mul_f64 v[103:104], v[103:104], -v[101:102]
.LBB91_178:
	s_or_b64 exec, exec, s[2:3]
	ds_write2_b64 v127, v[101:102], v[103:104] offset1:1
.LBB91_179:
	s_or_b64 exec, exec, s[4:5]
	s_waitcnt lgkmcnt(0)
	s_barrier
	ds_read2_b64 v[69:72], v127 offset1:1
	v_cmp_lt_u32_e32 vcc, 19, v0
	s_waitcnt lgkmcnt(0)
	buffer_store_dword v69, off, s[20:23], 0 offset:1032 ; 4-byte Folded Spill
	s_nop 0
	buffer_store_dword v70, off, s[20:23], 0 offset:1036 ; 4-byte Folded Spill
	buffer_store_dword v71, off, s[20:23], 0 offset:1040 ; 4-byte Folded Spill
	;; [unrolled: 1-line block ×3, first 2 shown]
	s_and_saveexec_b64 s[2:3], vcc
	s_cbranch_execz .LBB91_181
; %bb.180:
	buffer_load_dword v103, off, s[20:23], 0 offset:48 ; 4-byte Folded Reload
	buffer_load_dword v104, off, s[20:23], 0 offset:52 ; 4-byte Folded Reload
	;; [unrolled: 1-line block ×8, first 2 shown]
	s_waitcnt vmcnt(2)
	v_mul_f64 v[99:100], v[69:70], v[105:106]
	s_waitcnt vmcnt(0)
	v_mul_f64 v[97:98], v[71:72], v[105:106]
	v_fma_f64 v[105:106], v[71:72], v[103:104], v[99:100]
	ds_read2_b64 v[99:102], v125 offset0:40 offset1:41
	v_fma_f64 v[97:98], v[69:70], v[103:104], -v[97:98]
	v_mov_b32_e32 v69, v73
	v_mov_b32_e32 v70, v74
	v_mov_b32_e32 v71, v75
	v_mov_b32_e32 v72, v76
	s_waitcnt lgkmcnt(0)
	v_mul_f64 v[103:104], v[101:102], v[105:106]
	v_fma_f64 v[103:104], v[99:100], v[97:98], -v[103:104]
	v_mul_f64 v[99:100], v[99:100], v[105:106]
	v_add_f64 v[117:118], v[117:118], -v[103:104]
	v_fma_f64 v[99:100], v[101:102], v[97:98], v[99:100]
	v_add_f64 v[119:120], v[119:120], -v[99:100]
	ds_read2_b64 v[99:102], v125 offset0:42 offset1:43
	s_waitcnt lgkmcnt(0)
	v_mul_f64 v[103:104], v[101:102], v[105:106]
	v_fma_f64 v[103:104], v[99:100], v[97:98], -v[103:104]
	v_mul_f64 v[99:100], v[99:100], v[105:106]
	v_add_f64 v[121:122], v[121:122], -v[103:104]
	v_fma_f64 v[99:100], v[101:102], v[97:98], v[99:100]
	v_add_f64 v[123:124], v[123:124], -v[99:100]
	ds_read2_b64 v[99:102], v125 offset0:44 offset1:45
	;; [unrolled: 8-line block ×5, first 2 shown]
	buffer_load_dword v77, off, s[20:23], 0 offset:32 ; 4-byte Folded Reload
	buffer_load_dword v78, off, s[20:23], 0 offset:36 ; 4-byte Folded Reload
	;; [unrolled: 1-line block ×4, first 2 shown]
	s_waitcnt lgkmcnt(0)
	v_mul_f64 v[103:104], v[101:102], v[105:106]
	v_fma_f64 v[103:104], v[99:100], v[97:98], -v[103:104]
	v_mul_f64 v[99:100], v[99:100], v[105:106]
	v_fma_f64 v[99:100], v[101:102], v[97:98], v[99:100]
	s_waitcnt vmcnt(2)
	v_add_f64 v[77:78], v[77:78], -v[103:104]
	s_waitcnt vmcnt(0)
	v_add_f64 v[79:80], v[79:80], -v[99:100]
	buffer_store_dword v77, off, s[20:23], 0 offset:32 ; 4-byte Folded Spill
	s_nop 0
	buffer_store_dword v78, off, s[20:23], 0 offset:36 ; 4-byte Folded Spill
	buffer_store_dword v79, off, s[20:23], 0 offset:40 ; 4-byte Folded Spill
	;; [unrolled: 1-line block ×3, first 2 shown]
	ds_read2_b64 v[99:102], v125 offset0:52 offset1:53
	buffer_load_dword v73, off, s[20:23], 0 offset:16 ; 4-byte Folded Reload
	buffer_load_dword v74, off, s[20:23], 0 offset:20 ; 4-byte Folded Reload
	;; [unrolled: 1-line block ×4, first 2 shown]
	s_waitcnt lgkmcnt(0)
	v_mul_f64 v[103:104], v[101:102], v[105:106]
	v_fma_f64 v[103:104], v[99:100], v[97:98], -v[103:104]
	v_mul_f64 v[99:100], v[99:100], v[105:106]
	v_fma_f64 v[99:100], v[101:102], v[97:98], v[99:100]
	s_waitcnt vmcnt(2)
	v_add_f64 v[73:74], v[73:74], -v[103:104]
	s_waitcnt vmcnt(0)
	v_add_f64 v[75:76], v[75:76], -v[99:100]
	buffer_store_dword v73, off, s[20:23], 0 offset:16 ; 4-byte Folded Spill
	s_nop 0
	buffer_store_dword v74, off, s[20:23], 0 offset:20 ; 4-byte Folded Spill
	buffer_store_dword v75, off, s[20:23], 0 offset:24 ; 4-byte Folded Spill
	;; [unrolled: 1-line block ×3, first 2 shown]
	v_mov_b32_e32 v76, v72
	v_mov_b32_e32 v75, v71
	;; [unrolled: 1-line block ×4, first 2 shown]
	ds_read2_b64 v[99:102], v125 offset0:54 offset1:55
	buffer_load_dword v69, off, s[20:23], 0 ; 4-byte Folded Reload
	buffer_load_dword v70, off, s[20:23], 0 offset:4 ; 4-byte Folded Reload
	buffer_load_dword v71, off, s[20:23], 0 offset:8 ; 4-byte Folded Reload
	;; [unrolled: 1-line block ×3, first 2 shown]
	s_waitcnt lgkmcnt(0)
	v_mul_f64 v[103:104], v[101:102], v[105:106]
	v_fma_f64 v[103:104], v[99:100], v[97:98], -v[103:104]
	v_mul_f64 v[99:100], v[99:100], v[105:106]
	v_fma_f64 v[99:100], v[101:102], v[97:98], v[99:100]
	s_waitcnt vmcnt(2)
	v_add_f64 v[69:70], v[69:70], -v[103:104]
	s_waitcnt vmcnt(0)
	v_add_f64 v[71:72], v[71:72], -v[99:100]
	buffer_store_dword v69, off, s[20:23], 0 ; 4-byte Folded Spill
	s_nop 0
	buffer_store_dword v70, off, s[20:23], 0 offset:4 ; 4-byte Folded Spill
	buffer_store_dword v71, off, s[20:23], 0 offset:8 ; 4-byte Folded Spill
	;; [unrolled: 1-line block ×3, first 2 shown]
	ds_read2_b64 v[99:102], v125 offset0:56 offset1:57
	s_waitcnt lgkmcnt(0)
	v_mul_f64 v[103:104], v[101:102], v[105:106]
	v_fma_f64 v[103:104], v[99:100], v[97:98], -v[103:104]
	v_mul_f64 v[99:100], v[99:100], v[105:106]
	v_add_f64 v[65:66], v[65:66], -v[103:104]
	v_fma_f64 v[99:100], v[101:102], v[97:98], v[99:100]
	v_add_f64 v[67:68], v[67:68], -v[99:100]
	ds_read2_b64 v[99:102], v125 offset0:58 offset1:59
	s_waitcnt lgkmcnt(0)
	v_mul_f64 v[103:104], v[101:102], v[105:106]
	v_fma_f64 v[103:104], v[99:100], v[97:98], -v[103:104]
	v_mul_f64 v[99:100], v[99:100], v[105:106]
	v_add_f64 v[61:62], v[61:62], -v[103:104]
	v_fma_f64 v[99:100], v[101:102], v[97:98], v[99:100]
	v_add_f64 v[63:64], v[63:64], -v[99:100]
	;; [unrolled: 8-line block ×17, first 2 shown]
	ds_read2_b64 v[99:102], v125 offset0:90 offset1:91
	s_waitcnt lgkmcnt(0)
	v_mul_f64 v[103:104], v[101:102], v[105:106]
	v_fma_f64 v[103:104], v[99:100], v[97:98], -v[103:104]
	v_mul_f64 v[99:100], v[99:100], v[105:106]
	v_add_f64 v[73:74], v[73:74], -v[103:104]
	v_fma_f64 v[99:100], v[101:102], v[97:98], v[99:100]
	v_mov_b32_e32 v104, v98
	v_mov_b32_e32 v103, v97
	buffer_store_dword v103, off, s[20:23], 0 offset:48 ; 4-byte Folded Spill
	s_nop 0
	buffer_store_dword v104, off, s[20:23], 0 offset:52 ; 4-byte Folded Spill
	buffer_store_dword v105, off, s[20:23], 0 offset:56 ; 4-byte Folded Spill
	buffer_store_dword v106, off, s[20:23], 0 offset:60 ; 4-byte Folded Spill
	v_add_f64 v[75:76], v[75:76], -v[99:100]
.LBB91_181:
	s_or_b64 exec, exec, s[2:3]
	v_cmp_eq_u32_e32 vcc, 20, v0
	s_waitcnt vmcnt(0)
	s_barrier
	s_and_saveexec_b64 s[4:5], vcc
	s_cbranch_execz .LBB91_188
; %bb.182:
	ds_write2_b64 v127, v[117:118], v[119:120] offset1:1
	ds_write2_b64 v125, v[121:122], v[123:124] offset0:42 offset1:43
	ds_write2_b64 v125, v[109:110], v[111:112] offset0:44 offset1:45
	;; [unrolled: 1-line block ×4, first 2 shown]
	buffer_load_dword v77, off, s[20:23], 0 offset:32 ; 4-byte Folded Reload
	buffer_load_dword v78, off, s[20:23], 0 offset:36 ; 4-byte Folded Reload
	;; [unrolled: 1-line block ×4, first 2 shown]
	v_mov_b32_e32 v69, v73
	v_mov_b32_e32 v70, v74
	;; [unrolled: 1-line block ×4, first 2 shown]
	s_waitcnt vmcnt(0)
	ds_write2_b64 v125, v[77:78], v[79:80] offset0:50 offset1:51
	buffer_load_dword v73, off, s[20:23], 0 offset:16 ; 4-byte Folded Reload
	buffer_load_dword v74, off, s[20:23], 0 offset:20 ; 4-byte Folded Reload
	;; [unrolled: 1-line block ×4, first 2 shown]
	s_waitcnt vmcnt(0)
	ds_write2_b64 v125, v[73:74], v[75:76] offset0:52 offset1:53
	v_mov_b32_e32 v76, v72
	v_mov_b32_e32 v75, v71
	v_mov_b32_e32 v74, v70
	v_mov_b32_e32 v73, v69
	buffer_load_dword v69, off, s[20:23], 0 ; 4-byte Folded Reload
	buffer_load_dword v70, off, s[20:23], 0 offset:4 ; 4-byte Folded Reload
	buffer_load_dword v71, off, s[20:23], 0 offset:8 ; 4-byte Folded Reload
	;; [unrolled: 1-line block ×3, first 2 shown]
	s_waitcnt vmcnt(0)
	ds_write2_b64 v125, v[69:70], v[71:72] offset0:54 offset1:55
	ds_write2_b64 v125, v[65:66], v[67:68] offset0:56 offset1:57
	;; [unrolled: 1-line block ×19, first 2 shown]
	ds_read2_b64 v[97:100], v127 offset1:1
	s_waitcnt lgkmcnt(0)
	v_cmp_neq_f64_e32 vcc, 0, v[97:98]
	v_cmp_neq_f64_e64 s[2:3], 0, v[99:100]
	s_or_b64 s[2:3], vcc, s[2:3]
	s_and_b64 exec, exec, s[2:3]
	s_cbranch_execz .LBB91_188
; %bb.183:
	v_cmp_ngt_f64_e64 s[2:3], |v[97:98]|, |v[99:100]|
                                        ; implicit-def: $vgpr101_vgpr102
	s_and_saveexec_b64 s[6:7], s[2:3]
	s_xor_b64 s[2:3], exec, s[6:7]
                                        ; implicit-def: $vgpr103_vgpr104
	s_cbranch_execz .LBB91_185
; %bb.184:
	v_div_scale_f64 v[101:102], s[6:7], v[99:100], v[99:100], v[97:98]
	v_rcp_f64_e32 v[103:104], v[101:102]
	v_fma_f64 v[105:106], -v[101:102], v[103:104], 1.0
	v_fma_f64 v[103:104], v[103:104], v[105:106], v[103:104]
	v_div_scale_f64 v[105:106], vcc, v[97:98], v[99:100], v[97:98]
	v_fma_f64 v[107:108], -v[101:102], v[103:104], 1.0
	v_fma_f64 v[103:104], v[103:104], v[107:108], v[103:104]
	v_mul_f64 v[107:108], v[105:106], v[103:104]
	v_fma_f64 v[101:102], -v[101:102], v[107:108], v[105:106]
	v_div_fmas_f64 v[101:102], v[101:102], v[103:104], v[107:108]
	v_div_fixup_f64 v[101:102], v[101:102], v[99:100], v[97:98]
	v_fma_f64 v[97:98], v[97:98], v[101:102], v[99:100]
	v_div_scale_f64 v[99:100], s[6:7], v[97:98], v[97:98], 1.0
	v_div_scale_f64 v[107:108], vcc, 1.0, v[97:98], 1.0
	v_rcp_f64_e32 v[103:104], v[99:100]
	v_fma_f64 v[105:106], -v[99:100], v[103:104], 1.0
	v_fma_f64 v[103:104], v[103:104], v[105:106], v[103:104]
	v_fma_f64 v[105:106], -v[99:100], v[103:104], 1.0
	v_fma_f64 v[103:104], v[103:104], v[105:106], v[103:104]
	v_mul_f64 v[105:106], v[107:108], v[103:104]
	v_fma_f64 v[99:100], -v[99:100], v[105:106], v[107:108]
	v_div_fmas_f64 v[99:100], v[99:100], v[103:104], v[105:106]
	v_div_fixup_f64 v[103:104], v[99:100], v[97:98], 1.0
                                        ; implicit-def: $vgpr97_vgpr98
	v_mul_f64 v[101:102], v[101:102], v[103:104]
	v_xor_b32_e32 v104, 0x80000000, v104
.LBB91_185:
	s_andn2_saveexec_b64 s[2:3], s[2:3]
	s_cbranch_execz .LBB91_187
; %bb.186:
	v_div_scale_f64 v[101:102], s[6:7], v[97:98], v[97:98], v[99:100]
	v_rcp_f64_e32 v[103:104], v[101:102]
	v_fma_f64 v[105:106], -v[101:102], v[103:104], 1.0
	v_fma_f64 v[103:104], v[103:104], v[105:106], v[103:104]
	v_div_scale_f64 v[105:106], vcc, v[99:100], v[97:98], v[99:100]
	v_fma_f64 v[107:108], -v[101:102], v[103:104], 1.0
	v_fma_f64 v[103:104], v[103:104], v[107:108], v[103:104]
	v_mul_f64 v[107:108], v[105:106], v[103:104]
	v_fma_f64 v[101:102], -v[101:102], v[107:108], v[105:106]
	v_div_fmas_f64 v[101:102], v[101:102], v[103:104], v[107:108]
	v_div_fixup_f64 v[103:104], v[101:102], v[97:98], v[99:100]
	v_fma_f64 v[97:98], v[99:100], v[103:104], v[97:98]
	v_div_scale_f64 v[99:100], s[6:7], v[97:98], v[97:98], 1.0
	v_div_scale_f64 v[107:108], vcc, 1.0, v[97:98], 1.0
	v_rcp_f64_e32 v[101:102], v[99:100]
	v_fma_f64 v[105:106], -v[99:100], v[101:102], 1.0
	v_fma_f64 v[101:102], v[101:102], v[105:106], v[101:102]
	v_fma_f64 v[105:106], -v[99:100], v[101:102], 1.0
	v_fma_f64 v[101:102], v[101:102], v[105:106], v[101:102]
	v_mul_f64 v[105:106], v[107:108], v[101:102]
	v_fma_f64 v[99:100], -v[99:100], v[105:106], v[107:108]
	v_div_fmas_f64 v[99:100], v[99:100], v[101:102], v[105:106]
	v_div_fixup_f64 v[101:102], v[99:100], v[97:98], 1.0
	v_mul_f64 v[103:104], v[103:104], -v[101:102]
.LBB91_187:
	s_or_b64 exec, exec, s[2:3]
	ds_write2_b64 v127, v[101:102], v[103:104] offset1:1
.LBB91_188:
	s_or_b64 exec, exec, s[4:5]
	s_waitcnt lgkmcnt(0)
	s_barrier
	ds_read2_b64 v[69:72], v127 offset1:1
	v_cmp_lt_u32_e32 vcc, 20, v0
	s_waitcnt lgkmcnt(0)
	buffer_store_dword v69, off, s[20:23], 0 offset:1048 ; 4-byte Folded Spill
	s_nop 0
	buffer_store_dword v70, off, s[20:23], 0 offset:1052 ; 4-byte Folded Spill
	buffer_store_dword v71, off, s[20:23], 0 offset:1056 ; 4-byte Folded Spill
	;; [unrolled: 1-line block ×3, first 2 shown]
	s_and_saveexec_b64 s[2:3], vcc
	s_cbranch_execz .LBB91_190
; %bb.189:
	buffer_load_dword v69, off, s[20:23], 0 offset:1048 ; 4-byte Folded Reload
	buffer_load_dword v70, off, s[20:23], 0 offset:1052 ; 4-byte Folded Reload
	;; [unrolled: 1-line block ×4, first 2 shown]
	s_waitcnt vmcnt(2)
	v_mul_f64 v[99:100], v[69:70], v[119:120]
	s_waitcnt vmcnt(0)
	v_mul_f64 v[97:98], v[71:72], v[119:120]
	v_fma_f64 v[119:120], v[71:72], v[117:118], v[99:100]
	ds_read2_b64 v[99:102], v125 offset0:42 offset1:43
	v_fma_f64 v[97:98], v[69:70], v[117:118], -v[97:98]
	v_mov_b32_e32 v69, v73
	v_mov_b32_e32 v70, v74
	;; [unrolled: 1-line block ×4, first 2 shown]
	s_waitcnt lgkmcnt(0)
	v_mul_f64 v[103:104], v[101:102], v[119:120]
	v_mov_b32_e32 v118, v98
	v_mov_b32_e32 v117, v97
	v_fma_f64 v[103:104], v[99:100], v[97:98], -v[103:104]
	v_mul_f64 v[99:100], v[99:100], v[119:120]
	v_add_f64 v[121:122], v[121:122], -v[103:104]
	v_fma_f64 v[99:100], v[101:102], v[97:98], v[99:100]
	v_add_f64 v[123:124], v[123:124], -v[99:100]
	ds_read2_b64 v[99:102], v125 offset0:44 offset1:45
	s_waitcnt lgkmcnt(0)
	v_mul_f64 v[103:104], v[101:102], v[119:120]
	v_fma_f64 v[103:104], v[99:100], v[97:98], -v[103:104]
	v_mul_f64 v[99:100], v[99:100], v[119:120]
	v_add_f64 v[109:110], v[109:110], -v[103:104]
	v_fma_f64 v[99:100], v[101:102], v[97:98], v[99:100]
	v_add_f64 v[111:112], v[111:112], -v[99:100]
	ds_read2_b64 v[99:102], v125 offset0:46 offset1:47
	s_waitcnt lgkmcnt(0)
	v_mul_f64 v[103:104], v[101:102], v[119:120]
	v_fma_f64 v[103:104], v[99:100], v[97:98], -v[103:104]
	v_mul_f64 v[99:100], v[99:100], v[119:120]
	v_add_f64 v[113:114], v[113:114], -v[103:104]
	v_fma_f64 v[99:100], v[101:102], v[97:98], v[99:100]
	v_add_f64 v[115:116], v[115:116], -v[99:100]
	ds_read2_b64 v[99:102], v125 offset0:48 offset1:49
	s_waitcnt lgkmcnt(0)
	v_mul_f64 v[103:104], v[101:102], v[119:120]
	v_fma_f64 v[103:104], v[99:100], v[97:98], -v[103:104]
	v_mul_f64 v[99:100], v[99:100], v[119:120]
	v_add_f64 v[93:94], v[93:94], -v[103:104]
	v_fma_f64 v[99:100], v[101:102], v[97:98], v[99:100]
	v_add_f64 v[95:96], v[95:96], -v[99:100]
	ds_read2_b64 v[99:102], v125 offset0:50 offset1:51
	buffer_load_dword v77, off, s[20:23], 0 offset:32 ; 4-byte Folded Reload
	buffer_load_dword v78, off, s[20:23], 0 offset:36 ; 4-byte Folded Reload
	;; [unrolled: 1-line block ×4, first 2 shown]
	s_waitcnt lgkmcnt(0)
	v_mul_f64 v[103:104], v[101:102], v[119:120]
	v_fma_f64 v[103:104], v[99:100], v[97:98], -v[103:104]
	v_mul_f64 v[99:100], v[99:100], v[119:120]
	v_fma_f64 v[99:100], v[101:102], v[97:98], v[99:100]
	s_waitcnt vmcnt(2)
	v_add_f64 v[77:78], v[77:78], -v[103:104]
	s_waitcnt vmcnt(0)
	v_add_f64 v[79:80], v[79:80], -v[99:100]
	buffer_store_dword v77, off, s[20:23], 0 offset:32 ; 4-byte Folded Spill
	s_nop 0
	buffer_store_dword v78, off, s[20:23], 0 offset:36 ; 4-byte Folded Spill
	buffer_store_dword v79, off, s[20:23], 0 offset:40 ; 4-byte Folded Spill
	;; [unrolled: 1-line block ×3, first 2 shown]
	ds_read2_b64 v[99:102], v125 offset0:52 offset1:53
	buffer_load_dword v73, off, s[20:23], 0 offset:16 ; 4-byte Folded Reload
	buffer_load_dword v74, off, s[20:23], 0 offset:20 ; 4-byte Folded Reload
	;; [unrolled: 1-line block ×4, first 2 shown]
	s_waitcnt lgkmcnt(0)
	v_mul_f64 v[103:104], v[101:102], v[119:120]
	v_fma_f64 v[103:104], v[99:100], v[97:98], -v[103:104]
	v_mul_f64 v[99:100], v[99:100], v[119:120]
	v_fma_f64 v[99:100], v[101:102], v[97:98], v[99:100]
	s_waitcnt vmcnt(2)
	v_add_f64 v[73:74], v[73:74], -v[103:104]
	s_waitcnt vmcnt(0)
	v_add_f64 v[75:76], v[75:76], -v[99:100]
	buffer_store_dword v73, off, s[20:23], 0 offset:16 ; 4-byte Folded Spill
	s_nop 0
	buffer_store_dword v74, off, s[20:23], 0 offset:20 ; 4-byte Folded Spill
	buffer_store_dword v75, off, s[20:23], 0 offset:24 ; 4-byte Folded Spill
	;; [unrolled: 1-line block ×3, first 2 shown]
	v_mov_b32_e32 v76, v72
	v_mov_b32_e32 v75, v71
	;; [unrolled: 1-line block ×4, first 2 shown]
	ds_read2_b64 v[99:102], v125 offset0:54 offset1:55
	buffer_load_dword v69, off, s[20:23], 0 ; 4-byte Folded Reload
	buffer_load_dword v70, off, s[20:23], 0 offset:4 ; 4-byte Folded Reload
	buffer_load_dword v71, off, s[20:23], 0 offset:8 ; 4-byte Folded Reload
	;; [unrolled: 1-line block ×3, first 2 shown]
	s_waitcnt lgkmcnt(0)
	v_mul_f64 v[103:104], v[101:102], v[119:120]
	v_fma_f64 v[103:104], v[99:100], v[97:98], -v[103:104]
	v_mul_f64 v[99:100], v[99:100], v[119:120]
	v_fma_f64 v[99:100], v[101:102], v[97:98], v[99:100]
	s_waitcnt vmcnt(2)
	v_add_f64 v[69:70], v[69:70], -v[103:104]
	s_waitcnt vmcnt(0)
	v_add_f64 v[71:72], v[71:72], -v[99:100]
	buffer_store_dword v69, off, s[20:23], 0 ; 4-byte Folded Spill
	s_nop 0
	buffer_store_dword v70, off, s[20:23], 0 offset:4 ; 4-byte Folded Spill
	buffer_store_dword v71, off, s[20:23], 0 offset:8 ; 4-byte Folded Spill
	;; [unrolled: 1-line block ×3, first 2 shown]
	ds_read2_b64 v[99:102], v125 offset0:56 offset1:57
	s_waitcnt lgkmcnt(0)
	v_mul_f64 v[103:104], v[101:102], v[119:120]
	v_fma_f64 v[103:104], v[99:100], v[97:98], -v[103:104]
	v_mul_f64 v[99:100], v[99:100], v[119:120]
	v_add_f64 v[65:66], v[65:66], -v[103:104]
	v_fma_f64 v[99:100], v[101:102], v[97:98], v[99:100]
	v_add_f64 v[67:68], v[67:68], -v[99:100]
	ds_read2_b64 v[99:102], v125 offset0:58 offset1:59
	s_waitcnt lgkmcnt(0)
	v_mul_f64 v[103:104], v[101:102], v[119:120]
	v_fma_f64 v[103:104], v[99:100], v[97:98], -v[103:104]
	v_mul_f64 v[99:100], v[99:100], v[119:120]
	v_add_f64 v[61:62], v[61:62], -v[103:104]
	v_fma_f64 v[99:100], v[101:102], v[97:98], v[99:100]
	v_add_f64 v[63:64], v[63:64], -v[99:100]
	;; [unrolled: 8-line block ×18, first 2 shown]
.LBB91_190:
	s_or_b64 exec, exec, s[2:3]
	v_cmp_eq_u32_e32 vcc, 21, v0
	s_waitcnt vmcnt(0)
	s_barrier
	s_and_saveexec_b64 s[4:5], vcc
	s_cbranch_execz .LBB91_197
; %bb.191:
	ds_write2_b64 v127, v[121:122], v[123:124] offset1:1
	ds_write2_b64 v125, v[109:110], v[111:112] offset0:44 offset1:45
	ds_write2_b64 v125, v[113:114], v[115:116] offset0:46 offset1:47
	;; [unrolled: 1-line block ×3, first 2 shown]
	buffer_load_dword v77, off, s[20:23], 0 offset:32 ; 4-byte Folded Reload
	buffer_load_dword v78, off, s[20:23], 0 offset:36 ; 4-byte Folded Reload
	;; [unrolled: 1-line block ×4, first 2 shown]
	v_mov_b32_e32 v69, v73
	v_mov_b32_e32 v70, v74
	;; [unrolled: 1-line block ×4, first 2 shown]
	s_waitcnt vmcnt(0)
	ds_write2_b64 v125, v[77:78], v[79:80] offset0:50 offset1:51
	buffer_load_dword v73, off, s[20:23], 0 offset:16 ; 4-byte Folded Reload
	buffer_load_dword v74, off, s[20:23], 0 offset:20 ; 4-byte Folded Reload
	;; [unrolled: 1-line block ×4, first 2 shown]
	s_waitcnt vmcnt(0)
	ds_write2_b64 v125, v[73:74], v[75:76] offset0:52 offset1:53
	v_mov_b32_e32 v76, v72
	v_mov_b32_e32 v75, v71
	;; [unrolled: 1-line block ×4, first 2 shown]
	buffer_load_dword v69, off, s[20:23], 0 ; 4-byte Folded Reload
	buffer_load_dword v70, off, s[20:23], 0 offset:4 ; 4-byte Folded Reload
	buffer_load_dword v71, off, s[20:23], 0 offset:8 ; 4-byte Folded Reload
	;; [unrolled: 1-line block ×3, first 2 shown]
	s_waitcnt vmcnt(0)
	ds_write2_b64 v125, v[69:70], v[71:72] offset0:54 offset1:55
	ds_write2_b64 v125, v[65:66], v[67:68] offset0:56 offset1:57
	ds_write2_b64 v125, v[61:62], v[63:64] offset0:58 offset1:59
	ds_write2_b64 v125, v[57:58], v[59:60] offset0:60 offset1:61
	ds_write2_b64 v125, v[53:54], v[55:56] offset0:62 offset1:63
	ds_write2_b64 v125, v[49:50], v[51:52] offset0:64 offset1:65
	ds_write2_b64 v125, v[45:46], v[47:48] offset0:66 offset1:67
	ds_write2_b64 v125, v[41:42], v[43:44] offset0:68 offset1:69
	ds_write2_b64 v125, v[37:38], v[39:40] offset0:70 offset1:71
	ds_write2_b64 v125, v[33:34], v[35:36] offset0:72 offset1:73
	ds_write2_b64 v125, v[29:30], v[31:32] offset0:74 offset1:75
	ds_write2_b64 v125, v[25:26], v[27:28] offset0:76 offset1:77
	ds_write2_b64 v125, v[21:22], v[23:24] offset0:78 offset1:79
	ds_write2_b64 v125, v[17:18], v[19:20] offset0:80 offset1:81
	ds_write2_b64 v125, v[13:14], v[15:16] offset0:82 offset1:83
	ds_write2_b64 v125, v[9:10], v[11:12] offset0:84 offset1:85
	ds_write2_b64 v125, v[5:6], v[7:8] offset0:86 offset1:87
	ds_write2_b64 v125, v[1:2], v[3:4] offset0:88 offset1:89
	ds_write2_b64 v125, v[73:74], v[75:76] offset0:90 offset1:91
	ds_read2_b64 v[97:100], v127 offset1:1
	s_waitcnt lgkmcnt(0)
	v_cmp_neq_f64_e32 vcc, 0, v[97:98]
	v_cmp_neq_f64_e64 s[2:3], 0, v[99:100]
	s_or_b64 s[2:3], vcc, s[2:3]
	s_and_b64 exec, exec, s[2:3]
	s_cbranch_execz .LBB91_197
; %bb.192:
	v_cmp_ngt_f64_e64 s[2:3], |v[97:98]|, |v[99:100]|
                                        ; implicit-def: $vgpr101_vgpr102
	s_and_saveexec_b64 s[6:7], s[2:3]
	s_xor_b64 s[2:3], exec, s[6:7]
                                        ; implicit-def: $vgpr103_vgpr104
	s_cbranch_execz .LBB91_194
; %bb.193:
	v_div_scale_f64 v[101:102], s[6:7], v[99:100], v[99:100], v[97:98]
	v_rcp_f64_e32 v[103:104], v[101:102]
	v_fma_f64 v[105:106], -v[101:102], v[103:104], 1.0
	v_fma_f64 v[103:104], v[103:104], v[105:106], v[103:104]
	v_div_scale_f64 v[105:106], vcc, v[97:98], v[99:100], v[97:98]
	v_fma_f64 v[107:108], -v[101:102], v[103:104], 1.0
	v_fma_f64 v[103:104], v[103:104], v[107:108], v[103:104]
	v_mul_f64 v[107:108], v[105:106], v[103:104]
	v_fma_f64 v[101:102], -v[101:102], v[107:108], v[105:106]
	v_div_fmas_f64 v[101:102], v[101:102], v[103:104], v[107:108]
	v_div_fixup_f64 v[101:102], v[101:102], v[99:100], v[97:98]
	v_fma_f64 v[97:98], v[97:98], v[101:102], v[99:100]
	v_div_scale_f64 v[99:100], s[6:7], v[97:98], v[97:98], 1.0
	v_div_scale_f64 v[107:108], vcc, 1.0, v[97:98], 1.0
	v_rcp_f64_e32 v[103:104], v[99:100]
	v_fma_f64 v[105:106], -v[99:100], v[103:104], 1.0
	v_fma_f64 v[103:104], v[103:104], v[105:106], v[103:104]
	v_fma_f64 v[105:106], -v[99:100], v[103:104], 1.0
	v_fma_f64 v[103:104], v[103:104], v[105:106], v[103:104]
	v_mul_f64 v[105:106], v[107:108], v[103:104]
	v_fma_f64 v[99:100], -v[99:100], v[105:106], v[107:108]
	v_div_fmas_f64 v[99:100], v[99:100], v[103:104], v[105:106]
	v_div_fixup_f64 v[103:104], v[99:100], v[97:98], 1.0
                                        ; implicit-def: $vgpr97_vgpr98
	v_mul_f64 v[101:102], v[101:102], v[103:104]
	v_xor_b32_e32 v104, 0x80000000, v104
.LBB91_194:
	s_andn2_saveexec_b64 s[2:3], s[2:3]
	s_cbranch_execz .LBB91_196
; %bb.195:
	v_div_scale_f64 v[101:102], s[6:7], v[97:98], v[97:98], v[99:100]
	v_rcp_f64_e32 v[103:104], v[101:102]
	v_fma_f64 v[105:106], -v[101:102], v[103:104], 1.0
	v_fma_f64 v[103:104], v[103:104], v[105:106], v[103:104]
	v_div_scale_f64 v[105:106], vcc, v[99:100], v[97:98], v[99:100]
	v_fma_f64 v[107:108], -v[101:102], v[103:104], 1.0
	v_fma_f64 v[103:104], v[103:104], v[107:108], v[103:104]
	v_mul_f64 v[107:108], v[105:106], v[103:104]
	v_fma_f64 v[101:102], -v[101:102], v[107:108], v[105:106]
	v_div_fmas_f64 v[101:102], v[101:102], v[103:104], v[107:108]
	v_div_fixup_f64 v[103:104], v[101:102], v[97:98], v[99:100]
	v_fma_f64 v[97:98], v[99:100], v[103:104], v[97:98]
	v_div_scale_f64 v[99:100], s[6:7], v[97:98], v[97:98], 1.0
	v_div_scale_f64 v[107:108], vcc, 1.0, v[97:98], 1.0
	v_rcp_f64_e32 v[101:102], v[99:100]
	v_fma_f64 v[105:106], -v[99:100], v[101:102], 1.0
	v_fma_f64 v[101:102], v[101:102], v[105:106], v[101:102]
	v_fma_f64 v[105:106], -v[99:100], v[101:102], 1.0
	v_fma_f64 v[101:102], v[101:102], v[105:106], v[101:102]
	v_mul_f64 v[105:106], v[107:108], v[101:102]
	v_fma_f64 v[99:100], -v[99:100], v[105:106], v[107:108]
	v_div_fmas_f64 v[99:100], v[99:100], v[101:102], v[105:106]
	v_div_fixup_f64 v[101:102], v[99:100], v[97:98], 1.0
	v_mul_f64 v[103:104], v[103:104], -v[101:102]
.LBB91_196:
	s_or_b64 exec, exec, s[2:3]
	ds_write2_b64 v127, v[101:102], v[103:104] offset1:1
.LBB91_197:
	s_or_b64 exec, exec, s[4:5]
	s_waitcnt lgkmcnt(0)
	s_barrier
	ds_read2_b64 v[69:72], v127 offset1:1
	v_cmp_lt_u32_e32 vcc, 21, v0
	s_waitcnt lgkmcnt(0)
	buffer_store_dword v69, off, s[20:23], 0 offset:1064 ; 4-byte Folded Spill
	s_nop 0
	buffer_store_dword v70, off, s[20:23], 0 offset:1068 ; 4-byte Folded Spill
	buffer_store_dword v71, off, s[20:23], 0 offset:1072 ; 4-byte Folded Spill
	;; [unrolled: 1-line block ×3, first 2 shown]
	s_and_saveexec_b64 s[2:3], vcc
	s_cbranch_execz .LBB91_199
; %bb.198:
	buffer_load_dword v69, off, s[20:23], 0 offset:1064 ; 4-byte Folded Reload
	buffer_load_dword v70, off, s[20:23], 0 offset:1068 ; 4-byte Folded Reload
	;; [unrolled: 1-line block ×4, first 2 shown]
	v_mov_b32_e32 v106, v96
	v_mov_b32_e32 v105, v95
	;; [unrolled: 1-line block ×4, first 2 shown]
	ds_read2_b64 v[99:102], v125 offset0:44 offset1:45
	s_waitcnt vmcnt(2)
	v_mul_f64 v[95:96], v[69:70], v[123:124]
	s_waitcnt vmcnt(0)
	v_mul_f64 v[97:98], v[71:72], v[123:124]
	v_fma_f64 v[123:124], v[71:72], v[121:122], v[95:96]
	v_fma_f64 v[97:98], v[69:70], v[121:122], -v[97:98]
	v_mov_b32_e32 v69, v73
	v_mov_b32_e32 v70, v74
	;; [unrolled: 1-line block ×4, first 2 shown]
	s_waitcnt lgkmcnt(0)
	v_mul_f64 v[93:94], v[101:102], v[123:124]
	v_mov_b32_e32 v122, v98
	v_mov_b32_e32 v121, v97
	v_fma_f64 v[93:94], v[99:100], v[97:98], -v[93:94]
	v_mul_f64 v[99:100], v[99:100], v[123:124]
	v_add_f64 v[109:110], v[109:110], -v[93:94]
	v_fma_f64 v[99:100], v[101:102], v[97:98], v[99:100]
	v_add_f64 v[111:112], v[111:112], -v[99:100]
	ds_read2_b64 v[99:102], v125 offset0:46 offset1:47
	s_waitcnt lgkmcnt(0)
	v_mul_f64 v[93:94], v[101:102], v[123:124]
	v_fma_f64 v[93:94], v[99:100], v[97:98], -v[93:94]
	v_mul_f64 v[99:100], v[99:100], v[123:124]
	v_add_f64 v[113:114], v[113:114], -v[93:94]
	v_fma_f64 v[99:100], v[101:102], v[97:98], v[99:100]
	v_add_f64 v[115:116], v[115:116], -v[99:100]
	ds_read2_b64 v[99:102], v125 offset0:48 offset1:49
	s_waitcnt lgkmcnt(0)
	v_mul_f64 v[93:94], v[101:102], v[123:124]
	v_fma_f64 v[93:94], v[99:100], v[97:98], -v[93:94]
	v_mul_f64 v[99:100], v[99:100], v[123:124]
	v_add_f64 v[103:104], v[103:104], -v[93:94]
	v_fma_f64 v[99:100], v[101:102], v[97:98], v[99:100]
	v_add_f64 v[105:106], v[105:106], -v[99:100]
	ds_read2_b64 v[99:102], v125 offset0:50 offset1:51
	buffer_load_dword v77, off, s[20:23], 0 offset:32 ; 4-byte Folded Reload
	buffer_load_dword v78, off, s[20:23], 0 offset:36 ; 4-byte Folded Reload
	;; [unrolled: 1-line block ×4, first 2 shown]
	s_waitcnt lgkmcnt(0)
	v_mul_f64 v[93:94], v[101:102], v[123:124]
	v_fma_f64 v[93:94], v[99:100], v[97:98], -v[93:94]
	v_mul_f64 v[99:100], v[99:100], v[123:124]
	v_fma_f64 v[99:100], v[101:102], v[97:98], v[99:100]
	s_waitcnt vmcnt(2)
	v_add_f64 v[77:78], v[77:78], -v[93:94]
	s_waitcnt vmcnt(0)
	v_add_f64 v[79:80], v[79:80], -v[99:100]
	buffer_store_dword v77, off, s[20:23], 0 offset:32 ; 4-byte Folded Spill
	s_nop 0
	buffer_store_dword v78, off, s[20:23], 0 offset:36 ; 4-byte Folded Spill
	buffer_store_dword v79, off, s[20:23], 0 offset:40 ; 4-byte Folded Spill
	;; [unrolled: 1-line block ×3, first 2 shown]
	ds_read2_b64 v[99:102], v125 offset0:52 offset1:53
	buffer_load_dword v73, off, s[20:23], 0 offset:16 ; 4-byte Folded Reload
	buffer_load_dword v74, off, s[20:23], 0 offset:20 ; 4-byte Folded Reload
	;; [unrolled: 1-line block ×4, first 2 shown]
	s_waitcnt lgkmcnt(0)
	v_mul_f64 v[93:94], v[101:102], v[123:124]
	v_fma_f64 v[93:94], v[99:100], v[97:98], -v[93:94]
	v_mul_f64 v[99:100], v[99:100], v[123:124]
	v_fma_f64 v[99:100], v[101:102], v[97:98], v[99:100]
	s_waitcnt vmcnt(2)
	v_add_f64 v[73:74], v[73:74], -v[93:94]
	s_waitcnt vmcnt(0)
	v_add_f64 v[75:76], v[75:76], -v[99:100]
	buffer_store_dword v73, off, s[20:23], 0 offset:16 ; 4-byte Folded Spill
	s_nop 0
	buffer_store_dword v74, off, s[20:23], 0 offset:20 ; 4-byte Folded Spill
	buffer_store_dword v75, off, s[20:23], 0 offset:24 ; 4-byte Folded Spill
	;; [unrolled: 1-line block ×3, first 2 shown]
	v_mov_b32_e32 v76, v72
	v_mov_b32_e32 v75, v71
	;; [unrolled: 1-line block ×4, first 2 shown]
	ds_read2_b64 v[99:102], v125 offset0:54 offset1:55
	buffer_load_dword v69, off, s[20:23], 0 ; 4-byte Folded Reload
	buffer_load_dword v70, off, s[20:23], 0 offset:4 ; 4-byte Folded Reload
	buffer_load_dword v71, off, s[20:23], 0 offset:8 ; 4-byte Folded Reload
	buffer_load_dword v72, off, s[20:23], 0 offset:12 ; 4-byte Folded Reload
	s_waitcnt lgkmcnt(0)
	v_mul_f64 v[93:94], v[101:102], v[123:124]
	v_fma_f64 v[93:94], v[99:100], v[97:98], -v[93:94]
	v_mul_f64 v[99:100], v[99:100], v[123:124]
	v_fma_f64 v[99:100], v[101:102], v[97:98], v[99:100]
	s_waitcnt vmcnt(2)
	v_add_f64 v[69:70], v[69:70], -v[93:94]
	s_waitcnt vmcnt(0)
	v_add_f64 v[71:72], v[71:72], -v[99:100]
	buffer_store_dword v69, off, s[20:23], 0 ; 4-byte Folded Spill
	s_nop 0
	buffer_store_dword v70, off, s[20:23], 0 offset:4 ; 4-byte Folded Spill
	buffer_store_dword v71, off, s[20:23], 0 offset:8 ; 4-byte Folded Spill
	;; [unrolled: 1-line block ×3, first 2 shown]
	ds_read2_b64 v[99:102], v125 offset0:56 offset1:57
	s_waitcnt lgkmcnt(0)
	v_mul_f64 v[93:94], v[101:102], v[123:124]
	v_fma_f64 v[93:94], v[99:100], v[97:98], -v[93:94]
	v_mul_f64 v[99:100], v[99:100], v[123:124]
	v_add_f64 v[65:66], v[65:66], -v[93:94]
	v_fma_f64 v[99:100], v[101:102], v[97:98], v[99:100]
	v_add_f64 v[67:68], v[67:68], -v[99:100]
	ds_read2_b64 v[99:102], v125 offset0:58 offset1:59
	s_waitcnt lgkmcnt(0)
	v_mul_f64 v[93:94], v[101:102], v[123:124]
	v_fma_f64 v[93:94], v[99:100], v[97:98], -v[93:94]
	v_mul_f64 v[99:100], v[99:100], v[123:124]
	v_add_f64 v[61:62], v[61:62], -v[93:94]
	v_fma_f64 v[99:100], v[101:102], v[97:98], v[99:100]
	v_add_f64 v[63:64], v[63:64], -v[99:100]
	;; [unrolled: 8-line block ×17, first 2 shown]
	ds_read2_b64 v[99:102], v125 offset0:90 offset1:91
	s_waitcnt lgkmcnt(0)
	v_mul_f64 v[93:94], v[101:102], v[123:124]
	v_fma_f64 v[93:94], v[99:100], v[97:98], -v[93:94]
	v_mul_f64 v[99:100], v[99:100], v[123:124]
	v_add_f64 v[73:74], v[73:74], -v[93:94]
	v_fma_f64 v[99:100], v[101:102], v[97:98], v[99:100]
	v_mov_b32_e32 v93, v103
	v_mov_b32_e32 v94, v104
	;; [unrolled: 1-line block ×4, first 2 shown]
	v_add_f64 v[75:76], v[75:76], -v[99:100]
.LBB91_199:
	s_or_b64 exec, exec, s[2:3]
	v_cmp_eq_u32_e32 vcc, 22, v0
	s_waitcnt vmcnt(0)
	s_barrier
	s_and_saveexec_b64 s[4:5], vcc
	s_cbranch_execz .LBB91_206
; %bb.200:
	ds_write2_b64 v127, v[109:110], v[111:112] offset1:1
	ds_write2_b64 v125, v[113:114], v[115:116] offset0:46 offset1:47
	ds_write2_b64 v125, v[93:94], v[95:96] offset0:48 offset1:49
	buffer_load_dword v77, off, s[20:23], 0 offset:32 ; 4-byte Folded Reload
	buffer_load_dword v78, off, s[20:23], 0 offset:36 ; 4-byte Folded Reload
	;; [unrolled: 1-line block ×4, first 2 shown]
	v_mov_b32_e32 v69, v73
	v_mov_b32_e32 v70, v74
	v_mov_b32_e32 v71, v75
	v_mov_b32_e32 v72, v76
	s_waitcnt vmcnt(0)
	ds_write2_b64 v125, v[77:78], v[79:80] offset0:50 offset1:51
	buffer_load_dword v73, off, s[20:23], 0 offset:16 ; 4-byte Folded Reload
	buffer_load_dword v74, off, s[20:23], 0 offset:20 ; 4-byte Folded Reload
	;; [unrolled: 1-line block ×4, first 2 shown]
	s_waitcnt vmcnt(0)
	ds_write2_b64 v125, v[73:74], v[75:76] offset0:52 offset1:53
	v_mov_b32_e32 v76, v72
	v_mov_b32_e32 v75, v71
	;; [unrolled: 1-line block ×4, first 2 shown]
	buffer_load_dword v69, off, s[20:23], 0 ; 4-byte Folded Reload
	buffer_load_dword v70, off, s[20:23], 0 offset:4 ; 4-byte Folded Reload
	buffer_load_dword v71, off, s[20:23], 0 offset:8 ; 4-byte Folded Reload
	;; [unrolled: 1-line block ×3, first 2 shown]
	s_waitcnt vmcnt(0)
	ds_write2_b64 v125, v[69:70], v[71:72] offset0:54 offset1:55
	ds_write2_b64 v125, v[65:66], v[67:68] offset0:56 offset1:57
	ds_write2_b64 v125, v[61:62], v[63:64] offset0:58 offset1:59
	ds_write2_b64 v125, v[57:58], v[59:60] offset0:60 offset1:61
	ds_write2_b64 v125, v[53:54], v[55:56] offset0:62 offset1:63
	ds_write2_b64 v125, v[49:50], v[51:52] offset0:64 offset1:65
	ds_write2_b64 v125, v[45:46], v[47:48] offset0:66 offset1:67
	ds_write2_b64 v125, v[41:42], v[43:44] offset0:68 offset1:69
	ds_write2_b64 v125, v[37:38], v[39:40] offset0:70 offset1:71
	ds_write2_b64 v125, v[33:34], v[35:36] offset0:72 offset1:73
	ds_write2_b64 v125, v[29:30], v[31:32] offset0:74 offset1:75
	ds_write2_b64 v125, v[25:26], v[27:28] offset0:76 offset1:77
	ds_write2_b64 v125, v[21:22], v[23:24] offset0:78 offset1:79
	ds_write2_b64 v125, v[17:18], v[19:20] offset0:80 offset1:81
	ds_write2_b64 v125, v[13:14], v[15:16] offset0:82 offset1:83
	ds_write2_b64 v125, v[9:10], v[11:12] offset0:84 offset1:85
	ds_write2_b64 v125, v[5:6], v[7:8] offset0:86 offset1:87
	ds_write2_b64 v125, v[1:2], v[3:4] offset0:88 offset1:89
	ds_write2_b64 v125, v[73:74], v[75:76] offset0:90 offset1:91
	ds_read2_b64 v[97:100], v127 offset1:1
	s_waitcnt lgkmcnt(0)
	v_cmp_neq_f64_e32 vcc, 0, v[97:98]
	v_cmp_neq_f64_e64 s[2:3], 0, v[99:100]
	s_or_b64 s[2:3], vcc, s[2:3]
	s_and_b64 exec, exec, s[2:3]
	s_cbranch_execz .LBB91_206
; %bb.201:
	v_cmp_ngt_f64_e64 s[2:3], |v[97:98]|, |v[99:100]|
                                        ; implicit-def: $vgpr101_vgpr102
	s_and_saveexec_b64 s[6:7], s[2:3]
	s_xor_b64 s[2:3], exec, s[6:7]
                                        ; implicit-def: $vgpr103_vgpr104
	s_cbranch_execz .LBB91_203
; %bb.202:
	v_div_scale_f64 v[101:102], s[6:7], v[99:100], v[99:100], v[97:98]
	v_rcp_f64_e32 v[103:104], v[101:102]
	v_fma_f64 v[105:106], -v[101:102], v[103:104], 1.0
	v_fma_f64 v[103:104], v[103:104], v[105:106], v[103:104]
	v_div_scale_f64 v[105:106], vcc, v[97:98], v[99:100], v[97:98]
	v_fma_f64 v[107:108], -v[101:102], v[103:104], 1.0
	v_fma_f64 v[103:104], v[103:104], v[107:108], v[103:104]
	v_mul_f64 v[107:108], v[105:106], v[103:104]
	v_fma_f64 v[101:102], -v[101:102], v[107:108], v[105:106]
	v_div_fmas_f64 v[101:102], v[101:102], v[103:104], v[107:108]
	v_div_fixup_f64 v[101:102], v[101:102], v[99:100], v[97:98]
	v_fma_f64 v[97:98], v[97:98], v[101:102], v[99:100]
	v_div_scale_f64 v[99:100], s[6:7], v[97:98], v[97:98], 1.0
	v_div_scale_f64 v[107:108], vcc, 1.0, v[97:98], 1.0
	v_rcp_f64_e32 v[103:104], v[99:100]
	v_fma_f64 v[105:106], -v[99:100], v[103:104], 1.0
	v_fma_f64 v[103:104], v[103:104], v[105:106], v[103:104]
	v_fma_f64 v[105:106], -v[99:100], v[103:104], 1.0
	v_fma_f64 v[103:104], v[103:104], v[105:106], v[103:104]
	v_mul_f64 v[105:106], v[107:108], v[103:104]
	v_fma_f64 v[99:100], -v[99:100], v[105:106], v[107:108]
	v_div_fmas_f64 v[99:100], v[99:100], v[103:104], v[105:106]
	v_div_fixup_f64 v[103:104], v[99:100], v[97:98], 1.0
                                        ; implicit-def: $vgpr97_vgpr98
	v_mul_f64 v[101:102], v[101:102], v[103:104]
	v_xor_b32_e32 v104, 0x80000000, v104
.LBB91_203:
	s_andn2_saveexec_b64 s[2:3], s[2:3]
	s_cbranch_execz .LBB91_205
; %bb.204:
	v_div_scale_f64 v[101:102], s[6:7], v[97:98], v[97:98], v[99:100]
	v_rcp_f64_e32 v[103:104], v[101:102]
	v_fma_f64 v[105:106], -v[101:102], v[103:104], 1.0
	v_fma_f64 v[103:104], v[103:104], v[105:106], v[103:104]
	v_div_scale_f64 v[105:106], vcc, v[99:100], v[97:98], v[99:100]
	v_fma_f64 v[107:108], -v[101:102], v[103:104], 1.0
	v_fma_f64 v[103:104], v[103:104], v[107:108], v[103:104]
	v_mul_f64 v[107:108], v[105:106], v[103:104]
	v_fma_f64 v[101:102], -v[101:102], v[107:108], v[105:106]
	v_div_fmas_f64 v[101:102], v[101:102], v[103:104], v[107:108]
	v_div_fixup_f64 v[103:104], v[101:102], v[97:98], v[99:100]
	v_fma_f64 v[97:98], v[99:100], v[103:104], v[97:98]
	v_div_scale_f64 v[99:100], s[6:7], v[97:98], v[97:98], 1.0
	v_div_scale_f64 v[107:108], vcc, 1.0, v[97:98], 1.0
	v_rcp_f64_e32 v[101:102], v[99:100]
	v_fma_f64 v[105:106], -v[99:100], v[101:102], 1.0
	v_fma_f64 v[101:102], v[101:102], v[105:106], v[101:102]
	v_fma_f64 v[105:106], -v[99:100], v[101:102], 1.0
	v_fma_f64 v[101:102], v[101:102], v[105:106], v[101:102]
	v_mul_f64 v[105:106], v[107:108], v[101:102]
	v_fma_f64 v[99:100], -v[99:100], v[105:106], v[107:108]
	v_div_fmas_f64 v[99:100], v[99:100], v[101:102], v[105:106]
	v_div_fixup_f64 v[101:102], v[99:100], v[97:98], 1.0
	v_mul_f64 v[103:104], v[103:104], -v[101:102]
.LBB91_205:
	s_or_b64 exec, exec, s[2:3]
	ds_write2_b64 v127, v[101:102], v[103:104] offset1:1
.LBB91_206:
	s_or_b64 exec, exec, s[4:5]
	s_waitcnt lgkmcnt(0)
	s_barrier
	ds_read2_b64 v[69:72], v127 offset1:1
	v_cmp_lt_u32_e32 vcc, 22, v0
	s_waitcnt lgkmcnt(0)
	buffer_store_dword v69, off, s[20:23], 0 offset:1080 ; 4-byte Folded Spill
	s_nop 0
	buffer_store_dword v70, off, s[20:23], 0 offset:1084 ; 4-byte Folded Spill
	buffer_store_dword v71, off, s[20:23], 0 offset:1088 ; 4-byte Folded Spill
	;; [unrolled: 1-line block ×3, first 2 shown]
	s_and_saveexec_b64 s[2:3], vcc
	s_cbranch_execz .LBB91_208
; %bb.207:
	buffer_load_dword v69, off, s[20:23], 0 offset:1080 ; 4-byte Folded Reload
	buffer_load_dword v70, off, s[20:23], 0 offset:1084 ; 4-byte Folded Reload
	;; [unrolled: 1-line block ×4, first 2 shown]
	v_mov_b32_e32 v89, v91
	v_mov_b32_e32 v90, v92
	ds_read2_b64 v[99:102], v125 offset0:46 offset1:47
	s_waitcnt vmcnt(2)
	v_mul_f64 v[91:92], v[69:70], v[111:112]
	s_waitcnt vmcnt(0)
	v_mul_f64 v[97:98], v[71:72], v[111:112]
	v_fma_f64 v[111:112], v[71:72], v[109:110], v[91:92]
	v_mov_b32_e32 v92, v90
	v_fma_f64 v[97:98], v[69:70], v[109:110], -v[97:98]
	v_mov_b32_e32 v91, v89
	v_mov_b32_e32 v69, v73
	;; [unrolled: 1-line block ×5, first 2 shown]
	s_waitcnt lgkmcnt(0)
	v_mul_f64 v[89:90], v[101:102], v[111:112]
	v_mov_b32_e32 v110, v98
	v_mov_b32_e32 v109, v97
	v_fma_f64 v[89:90], v[99:100], v[97:98], -v[89:90]
	v_mul_f64 v[99:100], v[99:100], v[111:112]
	v_add_f64 v[113:114], v[113:114], -v[89:90]
	v_fma_f64 v[99:100], v[101:102], v[97:98], v[99:100]
	v_add_f64 v[115:116], v[115:116], -v[99:100]
	ds_read2_b64 v[99:102], v125 offset0:48 offset1:49
	s_waitcnt lgkmcnt(0)
	v_mul_f64 v[89:90], v[101:102], v[111:112]
	v_fma_f64 v[89:90], v[99:100], v[97:98], -v[89:90]
	v_mul_f64 v[99:100], v[99:100], v[111:112]
	v_add_f64 v[93:94], v[93:94], -v[89:90]
	v_fma_f64 v[99:100], v[101:102], v[97:98], v[99:100]
	v_add_f64 v[95:96], v[95:96], -v[99:100]
	ds_read2_b64 v[99:102], v125 offset0:50 offset1:51
	buffer_load_dword v77, off, s[20:23], 0 offset:32 ; 4-byte Folded Reload
	buffer_load_dword v78, off, s[20:23], 0 offset:36 ; 4-byte Folded Reload
	;; [unrolled: 1-line block ×4, first 2 shown]
	s_waitcnt lgkmcnt(0)
	v_mul_f64 v[89:90], v[101:102], v[111:112]
	v_fma_f64 v[89:90], v[99:100], v[97:98], -v[89:90]
	v_mul_f64 v[99:100], v[99:100], v[111:112]
	v_fma_f64 v[99:100], v[101:102], v[97:98], v[99:100]
	s_waitcnt vmcnt(2)
	v_add_f64 v[77:78], v[77:78], -v[89:90]
	s_waitcnt vmcnt(0)
	v_add_f64 v[79:80], v[79:80], -v[99:100]
	buffer_store_dword v77, off, s[20:23], 0 offset:32 ; 4-byte Folded Spill
	s_nop 0
	buffer_store_dword v78, off, s[20:23], 0 offset:36 ; 4-byte Folded Spill
	buffer_store_dword v79, off, s[20:23], 0 offset:40 ; 4-byte Folded Spill
	;; [unrolled: 1-line block ×3, first 2 shown]
	ds_read2_b64 v[99:102], v125 offset0:52 offset1:53
	buffer_load_dword v73, off, s[20:23], 0 offset:16 ; 4-byte Folded Reload
	buffer_load_dword v74, off, s[20:23], 0 offset:20 ; 4-byte Folded Reload
	;; [unrolled: 1-line block ×4, first 2 shown]
	s_waitcnt lgkmcnt(0)
	v_mul_f64 v[89:90], v[101:102], v[111:112]
	v_fma_f64 v[89:90], v[99:100], v[97:98], -v[89:90]
	v_mul_f64 v[99:100], v[99:100], v[111:112]
	v_fma_f64 v[99:100], v[101:102], v[97:98], v[99:100]
	s_waitcnt vmcnt(2)
	v_add_f64 v[73:74], v[73:74], -v[89:90]
	s_waitcnt vmcnt(0)
	v_add_f64 v[75:76], v[75:76], -v[99:100]
	buffer_store_dword v73, off, s[20:23], 0 offset:16 ; 4-byte Folded Spill
	s_nop 0
	buffer_store_dword v74, off, s[20:23], 0 offset:20 ; 4-byte Folded Spill
	buffer_store_dword v75, off, s[20:23], 0 offset:24 ; 4-byte Folded Spill
	buffer_store_dword v76, off, s[20:23], 0 offset:28 ; 4-byte Folded Spill
	v_mov_b32_e32 v76, v72
	v_mov_b32_e32 v75, v71
	;; [unrolled: 1-line block ×4, first 2 shown]
	ds_read2_b64 v[99:102], v125 offset0:54 offset1:55
	buffer_load_dword v69, off, s[20:23], 0 ; 4-byte Folded Reload
	buffer_load_dword v70, off, s[20:23], 0 offset:4 ; 4-byte Folded Reload
	buffer_load_dword v71, off, s[20:23], 0 offset:8 ; 4-byte Folded Reload
	;; [unrolled: 1-line block ×3, first 2 shown]
	s_waitcnt lgkmcnt(0)
	v_mul_f64 v[89:90], v[101:102], v[111:112]
	v_fma_f64 v[89:90], v[99:100], v[97:98], -v[89:90]
	v_mul_f64 v[99:100], v[99:100], v[111:112]
	v_fma_f64 v[99:100], v[101:102], v[97:98], v[99:100]
	s_waitcnt vmcnt(2)
	v_add_f64 v[69:70], v[69:70], -v[89:90]
	s_waitcnt vmcnt(0)
	v_add_f64 v[71:72], v[71:72], -v[99:100]
	buffer_store_dword v69, off, s[20:23], 0 ; 4-byte Folded Spill
	s_nop 0
	buffer_store_dword v70, off, s[20:23], 0 offset:4 ; 4-byte Folded Spill
	buffer_store_dword v71, off, s[20:23], 0 offset:8 ; 4-byte Folded Spill
	;; [unrolled: 1-line block ×3, first 2 shown]
	ds_read2_b64 v[99:102], v125 offset0:56 offset1:57
	s_waitcnt lgkmcnt(0)
	v_mul_f64 v[89:90], v[101:102], v[111:112]
	v_fma_f64 v[89:90], v[99:100], v[97:98], -v[89:90]
	v_mul_f64 v[99:100], v[99:100], v[111:112]
	v_add_f64 v[65:66], v[65:66], -v[89:90]
	v_fma_f64 v[99:100], v[101:102], v[97:98], v[99:100]
	v_add_f64 v[67:68], v[67:68], -v[99:100]
	ds_read2_b64 v[99:102], v125 offset0:58 offset1:59
	s_waitcnt lgkmcnt(0)
	v_mul_f64 v[89:90], v[101:102], v[111:112]
	v_fma_f64 v[89:90], v[99:100], v[97:98], -v[89:90]
	v_mul_f64 v[99:100], v[99:100], v[111:112]
	v_add_f64 v[61:62], v[61:62], -v[89:90]
	v_fma_f64 v[99:100], v[101:102], v[97:98], v[99:100]
	v_add_f64 v[63:64], v[63:64], -v[99:100]
	;; [unrolled: 8-line block ×18, first 2 shown]
.LBB91_208:
	s_or_b64 exec, exec, s[2:3]
	v_cmp_eq_u32_e32 vcc, 23, v0
	s_waitcnt vmcnt(0)
	s_barrier
	s_and_saveexec_b64 s[4:5], vcc
	s_cbranch_execz .LBB91_215
; %bb.209:
	ds_write2_b64 v127, v[113:114], v[115:116] offset1:1
	ds_write2_b64 v125, v[93:94], v[95:96] offset0:48 offset1:49
	buffer_load_dword v77, off, s[20:23], 0 offset:32 ; 4-byte Folded Reload
	buffer_load_dword v78, off, s[20:23], 0 offset:36 ; 4-byte Folded Reload
	;; [unrolled: 1-line block ×4, first 2 shown]
	v_mov_b32_e32 v69, v73
	v_mov_b32_e32 v70, v74
	v_mov_b32_e32 v71, v75
	v_mov_b32_e32 v72, v76
	s_waitcnt vmcnt(0)
	ds_write2_b64 v125, v[77:78], v[79:80] offset0:50 offset1:51
	buffer_load_dword v73, off, s[20:23], 0 offset:16 ; 4-byte Folded Reload
	buffer_load_dword v74, off, s[20:23], 0 offset:20 ; 4-byte Folded Reload
	;; [unrolled: 1-line block ×4, first 2 shown]
	s_waitcnt vmcnt(0)
	ds_write2_b64 v125, v[73:74], v[75:76] offset0:52 offset1:53
	v_mov_b32_e32 v76, v72
	v_mov_b32_e32 v75, v71
	;; [unrolled: 1-line block ×4, first 2 shown]
	buffer_load_dword v69, off, s[20:23], 0 ; 4-byte Folded Reload
	buffer_load_dword v70, off, s[20:23], 0 offset:4 ; 4-byte Folded Reload
	buffer_load_dword v71, off, s[20:23], 0 offset:8 ; 4-byte Folded Reload
	;; [unrolled: 1-line block ×3, first 2 shown]
	s_waitcnt vmcnt(0)
	ds_write2_b64 v125, v[69:70], v[71:72] offset0:54 offset1:55
	ds_write2_b64 v125, v[65:66], v[67:68] offset0:56 offset1:57
	ds_write2_b64 v125, v[61:62], v[63:64] offset0:58 offset1:59
	ds_write2_b64 v125, v[57:58], v[59:60] offset0:60 offset1:61
	ds_write2_b64 v125, v[53:54], v[55:56] offset0:62 offset1:63
	ds_write2_b64 v125, v[49:50], v[51:52] offset0:64 offset1:65
	ds_write2_b64 v125, v[45:46], v[47:48] offset0:66 offset1:67
	ds_write2_b64 v125, v[41:42], v[43:44] offset0:68 offset1:69
	ds_write2_b64 v125, v[37:38], v[39:40] offset0:70 offset1:71
	ds_write2_b64 v125, v[33:34], v[35:36] offset0:72 offset1:73
	ds_write2_b64 v125, v[29:30], v[31:32] offset0:74 offset1:75
	ds_write2_b64 v125, v[25:26], v[27:28] offset0:76 offset1:77
	ds_write2_b64 v125, v[21:22], v[23:24] offset0:78 offset1:79
	ds_write2_b64 v125, v[17:18], v[19:20] offset0:80 offset1:81
	ds_write2_b64 v125, v[13:14], v[15:16] offset0:82 offset1:83
	ds_write2_b64 v125, v[9:10], v[11:12] offset0:84 offset1:85
	ds_write2_b64 v125, v[5:6], v[7:8] offset0:86 offset1:87
	ds_write2_b64 v125, v[1:2], v[3:4] offset0:88 offset1:89
	ds_write2_b64 v125, v[73:74], v[75:76] offset0:90 offset1:91
	ds_read2_b64 v[97:100], v127 offset1:1
	s_waitcnt lgkmcnt(0)
	v_cmp_neq_f64_e32 vcc, 0, v[97:98]
	v_cmp_neq_f64_e64 s[2:3], 0, v[99:100]
	s_or_b64 s[2:3], vcc, s[2:3]
	s_and_b64 exec, exec, s[2:3]
	s_cbranch_execz .LBB91_215
; %bb.210:
	v_cmp_ngt_f64_e64 s[2:3], |v[97:98]|, |v[99:100]|
                                        ; implicit-def: $vgpr101_vgpr102
	s_and_saveexec_b64 s[6:7], s[2:3]
	s_xor_b64 s[2:3], exec, s[6:7]
                                        ; implicit-def: $vgpr103_vgpr104
	s_cbranch_execz .LBB91_212
; %bb.211:
	v_div_scale_f64 v[101:102], s[6:7], v[99:100], v[99:100], v[97:98]
	v_rcp_f64_e32 v[103:104], v[101:102]
	v_fma_f64 v[105:106], -v[101:102], v[103:104], 1.0
	v_fma_f64 v[103:104], v[103:104], v[105:106], v[103:104]
	v_div_scale_f64 v[105:106], vcc, v[97:98], v[99:100], v[97:98]
	v_fma_f64 v[107:108], -v[101:102], v[103:104], 1.0
	v_fma_f64 v[103:104], v[103:104], v[107:108], v[103:104]
	v_mul_f64 v[107:108], v[105:106], v[103:104]
	v_fma_f64 v[101:102], -v[101:102], v[107:108], v[105:106]
	v_div_fmas_f64 v[101:102], v[101:102], v[103:104], v[107:108]
	v_div_fixup_f64 v[101:102], v[101:102], v[99:100], v[97:98]
	v_fma_f64 v[97:98], v[97:98], v[101:102], v[99:100]
	v_div_scale_f64 v[99:100], s[6:7], v[97:98], v[97:98], 1.0
	v_div_scale_f64 v[107:108], vcc, 1.0, v[97:98], 1.0
	v_rcp_f64_e32 v[103:104], v[99:100]
	v_fma_f64 v[105:106], -v[99:100], v[103:104], 1.0
	v_fma_f64 v[103:104], v[103:104], v[105:106], v[103:104]
	v_fma_f64 v[105:106], -v[99:100], v[103:104], 1.0
	v_fma_f64 v[103:104], v[103:104], v[105:106], v[103:104]
	v_mul_f64 v[105:106], v[107:108], v[103:104]
	v_fma_f64 v[99:100], -v[99:100], v[105:106], v[107:108]
	v_div_fmas_f64 v[99:100], v[99:100], v[103:104], v[105:106]
	v_div_fixup_f64 v[103:104], v[99:100], v[97:98], 1.0
                                        ; implicit-def: $vgpr97_vgpr98
	v_mul_f64 v[101:102], v[101:102], v[103:104]
	v_xor_b32_e32 v104, 0x80000000, v104
.LBB91_212:
	s_andn2_saveexec_b64 s[2:3], s[2:3]
	s_cbranch_execz .LBB91_214
; %bb.213:
	v_div_scale_f64 v[101:102], s[6:7], v[97:98], v[97:98], v[99:100]
	v_rcp_f64_e32 v[103:104], v[101:102]
	v_fma_f64 v[105:106], -v[101:102], v[103:104], 1.0
	v_fma_f64 v[103:104], v[103:104], v[105:106], v[103:104]
	v_div_scale_f64 v[105:106], vcc, v[99:100], v[97:98], v[99:100]
	v_fma_f64 v[107:108], -v[101:102], v[103:104], 1.0
	v_fma_f64 v[103:104], v[103:104], v[107:108], v[103:104]
	v_mul_f64 v[107:108], v[105:106], v[103:104]
	v_fma_f64 v[101:102], -v[101:102], v[107:108], v[105:106]
	v_div_fmas_f64 v[101:102], v[101:102], v[103:104], v[107:108]
	v_div_fixup_f64 v[103:104], v[101:102], v[97:98], v[99:100]
	v_fma_f64 v[97:98], v[99:100], v[103:104], v[97:98]
	v_div_scale_f64 v[99:100], s[6:7], v[97:98], v[97:98], 1.0
	v_div_scale_f64 v[107:108], vcc, 1.0, v[97:98], 1.0
	v_rcp_f64_e32 v[101:102], v[99:100]
	v_fma_f64 v[105:106], -v[99:100], v[101:102], 1.0
	v_fma_f64 v[101:102], v[101:102], v[105:106], v[101:102]
	v_fma_f64 v[105:106], -v[99:100], v[101:102], 1.0
	v_fma_f64 v[101:102], v[101:102], v[105:106], v[101:102]
	v_mul_f64 v[105:106], v[107:108], v[101:102]
	v_fma_f64 v[99:100], -v[99:100], v[105:106], v[107:108]
	v_div_fmas_f64 v[99:100], v[99:100], v[101:102], v[105:106]
	v_div_fixup_f64 v[101:102], v[99:100], v[97:98], 1.0
	v_mul_f64 v[103:104], v[103:104], -v[101:102]
.LBB91_214:
	s_or_b64 exec, exec, s[2:3]
	ds_write2_b64 v127, v[101:102], v[103:104] offset1:1
.LBB91_215:
	s_or_b64 exec, exec, s[4:5]
	s_waitcnt lgkmcnt(0)
	s_barrier
	ds_read2_b64 v[69:72], v127 offset1:1
	v_cmp_lt_u32_e32 vcc, 23, v0
	s_waitcnt lgkmcnt(0)
	buffer_store_dword v69, off, s[20:23], 0 offset:1096 ; 4-byte Folded Spill
	s_nop 0
	buffer_store_dword v70, off, s[20:23], 0 offset:1100 ; 4-byte Folded Spill
	buffer_store_dword v71, off, s[20:23], 0 offset:1104 ; 4-byte Folded Spill
	;; [unrolled: 1-line block ×3, first 2 shown]
	s_and_saveexec_b64 s[2:3], vcc
	s_cbranch_execz .LBB91_217
; %bb.216:
	buffer_load_dword v69, off, s[20:23], 0 offset:1096 ; 4-byte Folded Reload
	buffer_load_dword v70, off, s[20:23], 0 offset:1100 ; 4-byte Folded Reload
	;; [unrolled: 1-line block ×4, first 2 shown]
	v_mov_b32_e32 v90, v86
	v_mov_b32_e32 v89, v85
	;; [unrolled: 1-line block ×4, first 2 shown]
	ds_read2_b64 v[99:102], v125 offset0:48 offset1:49
	s_waitcnt vmcnt(2)
	v_mul_f64 v[87:88], v[69:70], v[115:116]
	s_waitcnt vmcnt(0)
	v_mul_f64 v[97:98], v[71:72], v[115:116]
	v_fma_f64 v[115:116], v[71:72], v[113:114], v[87:88]
	v_mov_b32_e32 v88, v86
	v_fma_f64 v[97:98], v[69:70], v[113:114], -v[97:98]
	v_mov_b32_e32 v87, v85
	v_mov_b32_e32 v69, v73
	;; [unrolled: 1-line block ×5, first 2 shown]
	s_waitcnt lgkmcnt(0)
	v_mul_f64 v[85:86], v[101:102], v[115:116]
	v_mov_b32_e32 v114, v98
	v_mov_b32_e32 v113, v97
	v_fma_f64 v[85:86], v[99:100], v[97:98], -v[85:86]
	v_mul_f64 v[99:100], v[99:100], v[115:116]
	v_add_f64 v[93:94], v[93:94], -v[85:86]
	v_fma_f64 v[99:100], v[101:102], v[97:98], v[99:100]
	v_add_f64 v[95:96], v[95:96], -v[99:100]
	ds_read2_b64 v[99:102], v125 offset0:50 offset1:51
	buffer_load_dword v77, off, s[20:23], 0 offset:32 ; 4-byte Folded Reload
	buffer_load_dword v78, off, s[20:23], 0 offset:36 ; 4-byte Folded Reload
	;; [unrolled: 1-line block ×4, first 2 shown]
	s_waitcnt lgkmcnt(0)
	v_mul_f64 v[85:86], v[101:102], v[115:116]
	v_fma_f64 v[85:86], v[99:100], v[97:98], -v[85:86]
	v_mul_f64 v[99:100], v[99:100], v[115:116]
	v_fma_f64 v[99:100], v[101:102], v[97:98], v[99:100]
	s_waitcnt vmcnt(2)
	v_add_f64 v[77:78], v[77:78], -v[85:86]
	s_waitcnt vmcnt(0)
	v_add_f64 v[79:80], v[79:80], -v[99:100]
	buffer_store_dword v77, off, s[20:23], 0 offset:32 ; 4-byte Folded Spill
	s_nop 0
	buffer_store_dword v78, off, s[20:23], 0 offset:36 ; 4-byte Folded Spill
	buffer_store_dword v79, off, s[20:23], 0 offset:40 ; 4-byte Folded Spill
	;; [unrolled: 1-line block ×3, first 2 shown]
	ds_read2_b64 v[99:102], v125 offset0:52 offset1:53
	buffer_load_dword v73, off, s[20:23], 0 offset:16 ; 4-byte Folded Reload
	buffer_load_dword v74, off, s[20:23], 0 offset:20 ; 4-byte Folded Reload
	;; [unrolled: 1-line block ×4, first 2 shown]
	s_waitcnt lgkmcnt(0)
	v_mul_f64 v[85:86], v[101:102], v[115:116]
	v_fma_f64 v[85:86], v[99:100], v[97:98], -v[85:86]
	v_mul_f64 v[99:100], v[99:100], v[115:116]
	v_fma_f64 v[99:100], v[101:102], v[97:98], v[99:100]
	s_waitcnt vmcnt(2)
	v_add_f64 v[73:74], v[73:74], -v[85:86]
	s_waitcnt vmcnt(0)
	v_add_f64 v[75:76], v[75:76], -v[99:100]
	buffer_store_dword v73, off, s[20:23], 0 offset:16 ; 4-byte Folded Spill
	s_nop 0
	buffer_store_dword v74, off, s[20:23], 0 offset:20 ; 4-byte Folded Spill
	buffer_store_dword v75, off, s[20:23], 0 offset:24 ; 4-byte Folded Spill
	;; [unrolled: 1-line block ×3, first 2 shown]
	v_mov_b32_e32 v76, v72
	v_mov_b32_e32 v75, v71
	v_mov_b32_e32 v74, v70
	v_mov_b32_e32 v73, v69
	ds_read2_b64 v[99:102], v125 offset0:54 offset1:55
	buffer_load_dword v69, off, s[20:23], 0 ; 4-byte Folded Reload
	buffer_load_dword v70, off, s[20:23], 0 offset:4 ; 4-byte Folded Reload
	buffer_load_dword v71, off, s[20:23], 0 offset:8 ; 4-byte Folded Reload
	buffer_load_dword v72, off, s[20:23], 0 offset:12 ; 4-byte Folded Reload
	s_waitcnt lgkmcnt(0)
	v_mul_f64 v[85:86], v[101:102], v[115:116]
	v_fma_f64 v[85:86], v[99:100], v[97:98], -v[85:86]
	v_mul_f64 v[99:100], v[99:100], v[115:116]
	v_fma_f64 v[99:100], v[101:102], v[97:98], v[99:100]
	s_waitcnt vmcnt(2)
	v_add_f64 v[69:70], v[69:70], -v[85:86]
	s_waitcnt vmcnt(0)
	v_add_f64 v[71:72], v[71:72], -v[99:100]
	buffer_store_dword v69, off, s[20:23], 0 ; 4-byte Folded Spill
	s_nop 0
	buffer_store_dword v70, off, s[20:23], 0 offset:4 ; 4-byte Folded Spill
	buffer_store_dword v71, off, s[20:23], 0 offset:8 ; 4-byte Folded Spill
	;; [unrolled: 1-line block ×3, first 2 shown]
	ds_read2_b64 v[99:102], v125 offset0:56 offset1:57
	s_waitcnt lgkmcnt(0)
	v_mul_f64 v[85:86], v[101:102], v[115:116]
	v_fma_f64 v[85:86], v[99:100], v[97:98], -v[85:86]
	v_mul_f64 v[99:100], v[99:100], v[115:116]
	v_add_f64 v[65:66], v[65:66], -v[85:86]
	v_fma_f64 v[99:100], v[101:102], v[97:98], v[99:100]
	v_add_f64 v[67:68], v[67:68], -v[99:100]
	ds_read2_b64 v[99:102], v125 offset0:58 offset1:59
	s_waitcnt lgkmcnt(0)
	v_mul_f64 v[85:86], v[101:102], v[115:116]
	v_fma_f64 v[85:86], v[99:100], v[97:98], -v[85:86]
	v_mul_f64 v[99:100], v[99:100], v[115:116]
	v_add_f64 v[61:62], v[61:62], -v[85:86]
	v_fma_f64 v[99:100], v[101:102], v[97:98], v[99:100]
	v_add_f64 v[63:64], v[63:64], -v[99:100]
	ds_read2_b64 v[99:102], v125 offset0:60 offset1:61
	s_waitcnt lgkmcnt(0)
	v_mul_f64 v[85:86], v[101:102], v[115:116]
	v_fma_f64 v[85:86], v[99:100], v[97:98], -v[85:86]
	v_mul_f64 v[99:100], v[99:100], v[115:116]
	v_add_f64 v[57:58], v[57:58], -v[85:86]
	v_fma_f64 v[99:100], v[101:102], v[97:98], v[99:100]
	v_add_f64 v[59:60], v[59:60], -v[99:100]
	ds_read2_b64 v[99:102], v125 offset0:62 offset1:63
	s_waitcnt lgkmcnt(0)
	v_mul_f64 v[85:86], v[101:102], v[115:116]
	v_fma_f64 v[85:86], v[99:100], v[97:98], -v[85:86]
	v_mul_f64 v[99:100], v[99:100], v[115:116]
	v_add_f64 v[53:54], v[53:54], -v[85:86]
	v_fma_f64 v[99:100], v[101:102], v[97:98], v[99:100]
	v_add_f64 v[55:56], v[55:56], -v[99:100]
	ds_read2_b64 v[99:102], v125 offset0:64 offset1:65
	s_waitcnt lgkmcnt(0)
	v_mul_f64 v[85:86], v[101:102], v[115:116]
	v_fma_f64 v[85:86], v[99:100], v[97:98], -v[85:86]
	v_mul_f64 v[99:100], v[99:100], v[115:116]
	v_add_f64 v[49:50], v[49:50], -v[85:86]
	v_fma_f64 v[99:100], v[101:102], v[97:98], v[99:100]
	v_add_f64 v[51:52], v[51:52], -v[99:100]
	ds_read2_b64 v[99:102], v125 offset0:66 offset1:67
	s_waitcnt lgkmcnt(0)
	v_mul_f64 v[85:86], v[101:102], v[115:116]
	v_fma_f64 v[85:86], v[99:100], v[97:98], -v[85:86]
	v_mul_f64 v[99:100], v[99:100], v[115:116]
	v_add_f64 v[45:46], v[45:46], -v[85:86]
	v_fma_f64 v[99:100], v[101:102], v[97:98], v[99:100]
	v_add_f64 v[47:48], v[47:48], -v[99:100]
	ds_read2_b64 v[99:102], v125 offset0:68 offset1:69
	s_waitcnt lgkmcnt(0)
	v_mul_f64 v[85:86], v[101:102], v[115:116]
	v_fma_f64 v[85:86], v[99:100], v[97:98], -v[85:86]
	v_mul_f64 v[99:100], v[99:100], v[115:116]
	v_add_f64 v[41:42], v[41:42], -v[85:86]
	v_fma_f64 v[99:100], v[101:102], v[97:98], v[99:100]
	v_add_f64 v[43:44], v[43:44], -v[99:100]
	ds_read2_b64 v[99:102], v125 offset0:70 offset1:71
	s_waitcnt lgkmcnt(0)
	v_mul_f64 v[85:86], v[101:102], v[115:116]
	v_fma_f64 v[85:86], v[99:100], v[97:98], -v[85:86]
	v_mul_f64 v[99:100], v[99:100], v[115:116]
	v_add_f64 v[37:38], v[37:38], -v[85:86]
	v_fma_f64 v[99:100], v[101:102], v[97:98], v[99:100]
	v_add_f64 v[39:40], v[39:40], -v[99:100]
	ds_read2_b64 v[99:102], v125 offset0:72 offset1:73
	s_waitcnt lgkmcnt(0)
	v_mul_f64 v[85:86], v[101:102], v[115:116]
	v_fma_f64 v[85:86], v[99:100], v[97:98], -v[85:86]
	v_mul_f64 v[99:100], v[99:100], v[115:116]
	v_add_f64 v[33:34], v[33:34], -v[85:86]
	v_fma_f64 v[99:100], v[101:102], v[97:98], v[99:100]
	v_add_f64 v[35:36], v[35:36], -v[99:100]
	ds_read2_b64 v[99:102], v125 offset0:74 offset1:75
	s_waitcnt lgkmcnt(0)
	v_mul_f64 v[85:86], v[101:102], v[115:116]
	v_fma_f64 v[85:86], v[99:100], v[97:98], -v[85:86]
	v_mul_f64 v[99:100], v[99:100], v[115:116]
	v_add_f64 v[29:30], v[29:30], -v[85:86]
	v_fma_f64 v[99:100], v[101:102], v[97:98], v[99:100]
	v_add_f64 v[31:32], v[31:32], -v[99:100]
	ds_read2_b64 v[99:102], v125 offset0:76 offset1:77
	s_waitcnt lgkmcnt(0)
	v_mul_f64 v[85:86], v[101:102], v[115:116]
	v_fma_f64 v[85:86], v[99:100], v[97:98], -v[85:86]
	v_mul_f64 v[99:100], v[99:100], v[115:116]
	v_add_f64 v[25:26], v[25:26], -v[85:86]
	v_fma_f64 v[99:100], v[101:102], v[97:98], v[99:100]
	v_add_f64 v[27:28], v[27:28], -v[99:100]
	ds_read2_b64 v[99:102], v125 offset0:78 offset1:79
	s_waitcnt lgkmcnt(0)
	v_mul_f64 v[85:86], v[101:102], v[115:116]
	v_fma_f64 v[85:86], v[99:100], v[97:98], -v[85:86]
	v_mul_f64 v[99:100], v[99:100], v[115:116]
	v_add_f64 v[21:22], v[21:22], -v[85:86]
	v_fma_f64 v[99:100], v[101:102], v[97:98], v[99:100]
	v_add_f64 v[23:24], v[23:24], -v[99:100]
	ds_read2_b64 v[99:102], v125 offset0:80 offset1:81
	s_waitcnt lgkmcnt(0)
	v_mul_f64 v[85:86], v[101:102], v[115:116]
	v_fma_f64 v[85:86], v[99:100], v[97:98], -v[85:86]
	v_mul_f64 v[99:100], v[99:100], v[115:116]
	v_add_f64 v[17:18], v[17:18], -v[85:86]
	v_fma_f64 v[99:100], v[101:102], v[97:98], v[99:100]
	v_add_f64 v[19:20], v[19:20], -v[99:100]
	ds_read2_b64 v[99:102], v125 offset0:82 offset1:83
	s_waitcnt lgkmcnt(0)
	v_mul_f64 v[85:86], v[101:102], v[115:116]
	v_fma_f64 v[85:86], v[99:100], v[97:98], -v[85:86]
	v_mul_f64 v[99:100], v[99:100], v[115:116]
	v_add_f64 v[13:14], v[13:14], -v[85:86]
	v_fma_f64 v[99:100], v[101:102], v[97:98], v[99:100]
	v_add_f64 v[15:16], v[15:16], -v[99:100]
	ds_read2_b64 v[99:102], v125 offset0:84 offset1:85
	s_waitcnt lgkmcnt(0)
	v_mul_f64 v[85:86], v[101:102], v[115:116]
	v_fma_f64 v[85:86], v[99:100], v[97:98], -v[85:86]
	v_mul_f64 v[99:100], v[99:100], v[115:116]
	v_add_f64 v[9:10], v[9:10], -v[85:86]
	v_fma_f64 v[99:100], v[101:102], v[97:98], v[99:100]
	v_add_f64 v[11:12], v[11:12], -v[99:100]
	ds_read2_b64 v[99:102], v125 offset0:86 offset1:87
	s_waitcnt lgkmcnt(0)
	v_mul_f64 v[85:86], v[101:102], v[115:116]
	v_fma_f64 v[85:86], v[99:100], v[97:98], -v[85:86]
	v_mul_f64 v[99:100], v[99:100], v[115:116]
	v_add_f64 v[5:6], v[5:6], -v[85:86]
	v_fma_f64 v[99:100], v[101:102], v[97:98], v[99:100]
	v_add_f64 v[7:8], v[7:8], -v[99:100]
	ds_read2_b64 v[99:102], v125 offset0:88 offset1:89
	s_waitcnt lgkmcnt(0)
	v_mul_f64 v[85:86], v[101:102], v[115:116]
	v_fma_f64 v[85:86], v[99:100], v[97:98], -v[85:86]
	v_mul_f64 v[99:100], v[99:100], v[115:116]
	v_add_f64 v[1:2], v[1:2], -v[85:86]
	v_fma_f64 v[99:100], v[101:102], v[97:98], v[99:100]
	v_add_f64 v[3:4], v[3:4], -v[99:100]
	ds_read2_b64 v[99:102], v125 offset0:90 offset1:91
	s_waitcnt lgkmcnt(0)
	v_mul_f64 v[85:86], v[101:102], v[115:116]
	v_fma_f64 v[85:86], v[99:100], v[97:98], -v[85:86]
	v_mul_f64 v[99:100], v[99:100], v[115:116]
	v_add_f64 v[73:74], v[73:74], -v[85:86]
	v_fma_f64 v[99:100], v[101:102], v[97:98], v[99:100]
	v_mov_b32_e32 v85, v89
	v_mov_b32_e32 v86, v90
	v_add_f64 v[75:76], v[75:76], -v[99:100]
.LBB91_217:
	s_or_b64 exec, exec, s[2:3]
	v_cmp_eq_u32_e32 vcc, 24, v0
	s_waitcnt vmcnt(0)
	s_barrier
	s_and_saveexec_b64 s[4:5], vcc
	s_cbranch_execz .LBB91_224
; %bb.218:
	ds_write2_b64 v127, v[93:94], v[95:96] offset1:1
	buffer_load_dword v77, off, s[20:23], 0 offset:32 ; 4-byte Folded Reload
	buffer_load_dword v78, off, s[20:23], 0 offset:36 ; 4-byte Folded Reload
	;; [unrolled: 1-line block ×4, first 2 shown]
	v_mov_b32_e32 v69, v73
	v_mov_b32_e32 v70, v74
	;; [unrolled: 1-line block ×4, first 2 shown]
	s_waitcnt vmcnt(0)
	ds_write2_b64 v125, v[77:78], v[79:80] offset0:50 offset1:51
	buffer_load_dword v73, off, s[20:23], 0 offset:16 ; 4-byte Folded Reload
	buffer_load_dword v74, off, s[20:23], 0 offset:20 ; 4-byte Folded Reload
	;; [unrolled: 1-line block ×4, first 2 shown]
	s_waitcnt vmcnt(0)
	ds_write2_b64 v125, v[73:74], v[75:76] offset0:52 offset1:53
	v_mov_b32_e32 v76, v72
	v_mov_b32_e32 v75, v71
	;; [unrolled: 1-line block ×4, first 2 shown]
	buffer_load_dword v69, off, s[20:23], 0 ; 4-byte Folded Reload
	buffer_load_dword v70, off, s[20:23], 0 offset:4 ; 4-byte Folded Reload
	buffer_load_dword v71, off, s[20:23], 0 offset:8 ; 4-byte Folded Reload
	;; [unrolled: 1-line block ×3, first 2 shown]
	s_waitcnt vmcnt(0)
	ds_write2_b64 v125, v[69:70], v[71:72] offset0:54 offset1:55
	ds_write2_b64 v125, v[65:66], v[67:68] offset0:56 offset1:57
	ds_write2_b64 v125, v[61:62], v[63:64] offset0:58 offset1:59
	ds_write2_b64 v125, v[57:58], v[59:60] offset0:60 offset1:61
	ds_write2_b64 v125, v[53:54], v[55:56] offset0:62 offset1:63
	ds_write2_b64 v125, v[49:50], v[51:52] offset0:64 offset1:65
	ds_write2_b64 v125, v[45:46], v[47:48] offset0:66 offset1:67
	ds_write2_b64 v125, v[41:42], v[43:44] offset0:68 offset1:69
	ds_write2_b64 v125, v[37:38], v[39:40] offset0:70 offset1:71
	ds_write2_b64 v125, v[33:34], v[35:36] offset0:72 offset1:73
	ds_write2_b64 v125, v[29:30], v[31:32] offset0:74 offset1:75
	ds_write2_b64 v125, v[25:26], v[27:28] offset0:76 offset1:77
	ds_write2_b64 v125, v[21:22], v[23:24] offset0:78 offset1:79
	ds_write2_b64 v125, v[17:18], v[19:20] offset0:80 offset1:81
	ds_write2_b64 v125, v[13:14], v[15:16] offset0:82 offset1:83
	ds_write2_b64 v125, v[9:10], v[11:12] offset0:84 offset1:85
	ds_write2_b64 v125, v[5:6], v[7:8] offset0:86 offset1:87
	ds_write2_b64 v125, v[1:2], v[3:4] offset0:88 offset1:89
	ds_write2_b64 v125, v[73:74], v[75:76] offset0:90 offset1:91
	ds_read2_b64 v[97:100], v127 offset1:1
	s_waitcnt lgkmcnt(0)
	v_cmp_neq_f64_e32 vcc, 0, v[97:98]
	v_cmp_neq_f64_e64 s[2:3], 0, v[99:100]
	s_or_b64 s[2:3], vcc, s[2:3]
	s_and_b64 exec, exec, s[2:3]
	s_cbranch_execz .LBB91_224
; %bb.219:
	v_cmp_ngt_f64_e64 s[2:3], |v[97:98]|, |v[99:100]|
                                        ; implicit-def: $vgpr101_vgpr102
	s_and_saveexec_b64 s[6:7], s[2:3]
	s_xor_b64 s[2:3], exec, s[6:7]
                                        ; implicit-def: $vgpr103_vgpr104
	s_cbranch_execz .LBB91_221
; %bb.220:
	v_div_scale_f64 v[101:102], s[6:7], v[99:100], v[99:100], v[97:98]
	v_rcp_f64_e32 v[103:104], v[101:102]
	v_fma_f64 v[105:106], -v[101:102], v[103:104], 1.0
	v_fma_f64 v[103:104], v[103:104], v[105:106], v[103:104]
	v_div_scale_f64 v[105:106], vcc, v[97:98], v[99:100], v[97:98]
	v_fma_f64 v[107:108], -v[101:102], v[103:104], 1.0
	v_fma_f64 v[103:104], v[103:104], v[107:108], v[103:104]
	v_mul_f64 v[107:108], v[105:106], v[103:104]
	v_fma_f64 v[101:102], -v[101:102], v[107:108], v[105:106]
	v_div_fmas_f64 v[101:102], v[101:102], v[103:104], v[107:108]
	v_div_fixup_f64 v[101:102], v[101:102], v[99:100], v[97:98]
	v_fma_f64 v[97:98], v[97:98], v[101:102], v[99:100]
	v_div_scale_f64 v[99:100], s[6:7], v[97:98], v[97:98], 1.0
	v_div_scale_f64 v[107:108], vcc, 1.0, v[97:98], 1.0
	v_rcp_f64_e32 v[103:104], v[99:100]
	v_fma_f64 v[105:106], -v[99:100], v[103:104], 1.0
	v_fma_f64 v[103:104], v[103:104], v[105:106], v[103:104]
	v_fma_f64 v[105:106], -v[99:100], v[103:104], 1.0
	v_fma_f64 v[103:104], v[103:104], v[105:106], v[103:104]
	v_mul_f64 v[105:106], v[107:108], v[103:104]
	v_fma_f64 v[99:100], -v[99:100], v[105:106], v[107:108]
	v_div_fmas_f64 v[99:100], v[99:100], v[103:104], v[105:106]
	v_div_fixup_f64 v[103:104], v[99:100], v[97:98], 1.0
                                        ; implicit-def: $vgpr97_vgpr98
	v_mul_f64 v[101:102], v[101:102], v[103:104]
	v_xor_b32_e32 v104, 0x80000000, v104
.LBB91_221:
	s_andn2_saveexec_b64 s[2:3], s[2:3]
	s_cbranch_execz .LBB91_223
; %bb.222:
	v_div_scale_f64 v[101:102], s[6:7], v[97:98], v[97:98], v[99:100]
	v_rcp_f64_e32 v[103:104], v[101:102]
	v_fma_f64 v[105:106], -v[101:102], v[103:104], 1.0
	v_fma_f64 v[103:104], v[103:104], v[105:106], v[103:104]
	v_div_scale_f64 v[105:106], vcc, v[99:100], v[97:98], v[99:100]
	v_fma_f64 v[107:108], -v[101:102], v[103:104], 1.0
	v_fma_f64 v[103:104], v[103:104], v[107:108], v[103:104]
	v_mul_f64 v[107:108], v[105:106], v[103:104]
	v_fma_f64 v[101:102], -v[101:102], v[107:108], v[105:106]
	v_div_fmas_f64 v[101:102], v[101:102], v[103:104], v[107:108]
	v_div_fixup_f64 v[103:104], v[101:102], v[97:98], v[99:100]
	v_fma_f64 v[97:98], v[99:100], v[103:104], v[97:98]
	v_div_scale_f64 v[99:100], s[6:7], v[97:98], v[97:98], 1.0
	v_div_scale_f64 v[107:108], vcc, 1.0, v[97:98], 1.0
	v_rcp_f64_e32 v[101:102], v[99:100]
	v_fma_f64 v[105:106], -v[99:100], v[101:102], 1.0
	v_fma_f64 v[101:102], v[101:102], v[105:106], v[101:102]
	v_fma_f64 v[105:106], -v[99:100], v[101:102], 1.0
	v_fma_f64 v[101:102], v[101:102], v[105:106], v[101:102]
	v_mul_f64 v[105:106], v[107:108], v[101:102]
	v_fma_f64 v[99:100], -v[99:100], v[105:106], v[107:108]
	v_div_fmas_f64 v[99:100], v[99:100], v[101:102], v[105:106]
	v_div_fixup_f64 v[101:102], v[99:100], v[97:98], 1.0
	v_mul_f64 v[103:104], v[103:104], -v[101:102]
.LBB91_223:
	s_or_b64 exec, exec, s[2:3]
	ds_write2_b64 v127, v[101:102], v[103:104] offset1:1
.LBB91_224:
	s_or_b64 exec, exec, s[4:5]
	s_waitcnt lgkmcnt(0)
	s_barrier
	ds_read2_b64 v[69:72], v127 offset1:1
	v_cmp_lt_u32_e32 vcc, 24, v0
	s_waitcnt lgkmcnt(0)
	buffer_store_dword v69, off, s[20:23], 0 offset:1112 ; 4-byte Folded Spill
	s_nop 0
	buffer_store_dword v70, off, s[20:23], 0 offset:1116 ; 4-byte Folded Spill
	buffer_store_dword v71, off, s[20:23], 0 offset:1120 ; 4-byte Folded Spill
	;; [unrolled: 1-line block ×3, first 2 shown]
	s_and_saveexec_b64 s[2:3], vcc
	s_cbranch_execz .LBB91_226
; %bb.225:
	buffer_load_dword v69, off, s[20:23], 0 offset:1112 ; 4-byte Folded Reload
	buffer_load_dword v70, off, s[20:23], 0 offset:1116 ; 4-byte Folded Reload
	buffer_load_dword v71, off, s[20:23], 0 offset:1120 ; 4-byte Folded Reload
	buffer_load_dword v72, off, s[20:23], 0 offset:1124 ; 4-byte Folded Reload
	ds_read2_b64 v[99:102], v125 offset0:50 offset1:51
	buffer_load_dword v77, off, s[20:23], 0 offset:32 ; 4-byte Folded Reload
	buffer_load_dword v78, off, s[20:23], 0 offset:36 ; 4-byte Folded Reload
	;; [unrolled: 1-line block ×4, first 2 shown]
	v_mov_b32_e32 v90, v82
	v_mov_b32_e32 v89, v81
	s_waitcnt vmcnt(6)
	v_mul_f64 v[83:84], v[69:70], v[95:96]
	s_waitcnt vmcnt(4)
	v_mul_f64 v[97:98], v[71:72], v[95:96]
	v_fma_f64 v[95:96], v[71:72], v[93:94], v[83:84]
	v_fma_f64 v[97:98], v[69:70], v[93:94], -v[97:98]
	v_mov_b32_e32 v69, v73
	v_mov_b32_e32 v70, v74
	;; [unrolled: 1-line block ×4, first 2 shown]
	s_waitcnt lgkmcnt(0)
	v_mul_f64 v[81:82], v[101:102], v[95:96]
	v_mov_b32_e32 v93, v97
	v_mov_b32_e32 v94, v98
	v_fma_f64 v[81:82], v[99:100], v[97:98], -v[81:82]
	v_mul_f64 v[99:100], v[99:100], v[95:96]
	s_waitcnt vmcnt(2)
	v_add_f64 v[77:78], v[77:78], -v[81:82]
	v_fma_f64 v[99:100], v[101:102], v[97:98], v[99:100]
	s_waitcnt vmcnt(0)
	v_add_f64 v[79:80], v[79:80], -v[99:100]
	buffer_store_dword v77, off, s[20:23], 0 offset:32 ; 4-byte Folded Spill
	s_nop 0
	buffer_store_dword v78, off, s[20:23], 0 offset:36 ; 4-byte Folded Spill
	buffer_store_dword v79, off, s[20:23], 0 offset:40 ; 4-byte Folded Spill
	;; [unrolled: 1-line block ×3, first 2 shown]
	ds_read2_b64 v[99:102], v125 offset0:52 offset1:53
	buffer_load_dword v73, off, s[20:23], 0 offset:16 ; 4-byte Folded Reload
	buffer_load_dword v74, off, s[20:23], 0 offset:20 ; 4-byte Folded Reload
	;; [unrolled: 1-line block ×4, first 2 shown]
	s_waitcnt lgkmcnt(0)
	v_mul_f64 v[81:82], v[101:102], v[95:96]
	v_fma_f64 v[81:82], v[99:100], v[97:98], -v[81:82]
	v_mul_f64 v[99:100], v[99:100], v[95:96]
	v_fma_f64 v[99:100], v[101:102], v[97:98], v[99:100]
	s_waitcnt vmcnt(2)
	v_add_f64 v[73:74], v[73:74], -v[81:82]
	s_waitcnt vmcnt(0)
	v_add_f64 v[75:76], v[75:76], -v[99:100]
	buffer_store_dword v73, off, s[20:23], 0 offset:16 ; 4-byte Folded Spill
	s_nop 0
	buffer_store_dword v74, off, s[20:23], 0 offset:20 ; 4-byte Folded Spill
	buffer_store_dword v75, off, s[20:23], 0 offset:24 ; 4-byte Folded Spill
	;; [unrolled: 1-line block ×3, first 2 shown]
	v_mov_b32_e32 v76, v72
	v_mov_b32_e32 v75, v71
	;; [unrolled: 1-line block ×4, first 2 shown]
	ds_read2_b64 v[99:102], v125 offset0:54 offset1:55
	buffer_load_dword v69, off, s[20:23], 0 ; 4-byte Folded Reload
	buffer_load_dword v70, off, s[20:23], 0 offset:4 ; 4-byte Folded Reload
	buffer_load_dword v71, off, s[20:23], 0 offset:8 ; 4-byte Folded Reload
	buffer_load_dword v72, off, s[20:23], 0 offset:12 ; 4-byte Folded Reload
	s_waitcnt lgkmcnt(0)
	v_mul_f64 v[81:82], v[101:102], v[95:96]
	v_fma_f64 v[81:82], v[99:100], v[97:98], -v[81:82]
	v_mul_f64 v[99:100], v[99:100], v[95:96]
	v_fma_f64 v[99:100], v[101:102], v[97:98], v[99:100]
	s_waitcnt vmcnt(2)
	v_add_f64 v[69:70], v[69:70], -v[81:82]
	s_waitcnt vmcnt(0)
	v_add_f64 v[71:72], v[71:72], -v[99:100]
	buffer_store_dword v69, off, s[20:23], 0 ; 4-byte Folded Spill
	s_nop 0
	buffer_store_dword v70, off, s[20:23], 0 offset:4 ; 4-byte Folded Spill
	buffer_store_dword v71, off, s[20:23], 0 offset:8 ; 4-byte Folded Spill
	;; [unrolled: 1-line block ×3, first 2 shown]
	ds_read2_b64 v[99:102], v125 offset0:56 offset1:57
	s_waitcnt lgkmcnt(0)
	v_mul_f64 v[81:82], v[101:102], v[95:96]
	v_fma_f64 v[81:82], v[99:100], v[97:98], -v[81:82]
	v_mul_f64 v[99:100], v[99:100], v[95:96]
	v_add_f64 v[65:66], v[65:66], -v[81:82]
	v_fma_f64 v[99:100], v[101:102], v[97:98], v[99:100]
	v_add_f64 v[67:68], v[67:68], -v[99:100]
	ds_read2_b64 v[99:102], v125 offset0:58 offset1:59
	s_waitcnt lgkmcnt(0)
	v_mul_f64 v[81:82], v[101:102], v[95:96]
	v_fma_f64 v[81:82], v[99:100], v[97:98], -v[81:82]
	v_mul_f64 v[99:100], v[99:100], v[95:96]
	v_add_f64 v[61:62], v[61:62], -v[81:82]
	v_fma_f64 v[99:100], v[101:102], v[97:98], v[99:100]
	v_add_f64 v[63:64], v[63:64], -v[99:100]
	;; [unrolled: 8-line block ×17, first 2 shown]
	ds_read2_b64 v[99:102], v125 offset0:90 offset1:91
	s_waitcnt lgkmcnt(0)
	v_mul_f64 v[81:82], v[101:102], v[95:96]
	v_fma_f64 v[81:82], v[99:100], v[97:98], -v[81:82]
	v_mul_f64 v[99:100], v[99:100], v[95:96]
	v_add_f64 v[73:74], v[73:74], -v[81:82]
	v_fma_f64 v[99:100], v[101:102], v[97:98], v[99:100]
	v_mov_b32_e32 v81, v89
	v_mov_b32_e32 v82, v90
	v_add_f64 v[75:76], v[75:76], -v[99:100]
.LBB91_226:
	s_or_b64 exec, exec, s[2:3]
	v_cmp_eq_u32_e32 vcc, 25, v0
	s_waitcnt vmcnt(0)
	s_barrier
	s_and_saveexec_b64 s[4:5], vcc
	s_cbranch_execz .LBB91_233
; %bb.227:
	buffer_load_dword v77, off, s[20:23], 0 offset:32 ; 4-byte Folded Reload
	buffer_load_dword v78, off, s[20:23], 0 offset:36 ; 4-byte Folded Reload
	;; [unrolled: 1-line block ×4, first 2 shown]
	v_mov_b32_e32 v69, v73
	v_mov_b32_e32 v70, v74
	v_mov_b32_e32 v71, v75
	v_mov_b32_e32 v72, v76
	s_waitcnt vmcnt(0)
	ds_write2_b64 v127, v[77:78], v[79:80] offset1:1
	buffer_load_dword v73, off, s[20:23], 0 offset:16 ; 4-byte Folded Reload
	buffer_load_dword v74, off, s[20:23], 0 offset:20 ; 4-byte Folded Reload
	;; [unrolled: 1-line block ×4, first 2 shown]
	s_waitcnt vmcnt(0)
	ds_write2_b64 v125, v[73:74], v[75:76] offset0:52 offset1:53
	v_mov_b32_e32 v76, v72
	v_mov_b32_e32 v75, v71
	;; [unrolled: 1-line block ×4, first 2 shown]
	buffer_load_dword v69, off, s[20:23], 0 ; 4-byte Folded Reload
	buffer_load_dword v70, off, s[20:23], 0 offset:4 ; 4-byte Folded Reload
	buffer_load_dword v71, off, s[20:23], 0 offset:8 ; 4-byte Folded Reload
	;; [unrolled: 1-line block ×3, first 2 shown]
	s_waitcnt vmcnt(0)
	ds_write2_b64 v125, v[69:70], v[71:72] offset0:54 offset1:55
	ds_write2_b64 v125, v[65:66], v[67:68] offset0:56 offset1:57
	;; [unrolled: 1-line block ×19, first 2 shown]
	ds_read2_b64 v[97:100], v127 offset1:1
	s_waitcnt lgkmcnt(0)
	v_cmp_neq_f64_e32 vcc, 0, v[97:98]
	v_cmp_neq_f64_e64 s[2:3], 0, v[99:100]
	s_or_b64 s[2:3], vcc, s[2:3]
	s_and_b64 exec, exec, s[2:3]
	s_cbranch_execz .LBB91_233
; %bb.228:
	v_cmp_ngt_f64_e64 s[2:3], |v[97:98]|, |v[99:100]|
                                        ; implicit-def: $vgpr101_vgpr102
	s_and_saveexec_b64 s[6:7], s[2:3]
	s_xor_b64 s[2:3], exec, s[6:7]
                                        ; implicit-def: $vgpr103_vgpr104
	s_cbranch_execz .LBB91_230
; %bb.229:
	v_div_scale_f64 v[101:102], s[6:7], v[99:100], v[99:100], v[97:98]
	v_rcp_f64_e32 v[103:104], v[101:102]
	v_fma_f64 v[105:106], -v[101:102], v[103:104], 1.0
	v_fma_f64 v[103:104], v[103:104], v[105:106], v[103:104]
	v_div_scale_f64 v[105:106], vcc, v[97:98], v[99:100], v[97:98]
	v_fma_f64 v[107:108], -v[101:102], v[103:104], 1.0
	v_fma_f64 v[103:104], v[103:104], v[107:108], v[103:104]
	v_mul_f64 v[107:108], v[105:106], v[103:104]
	v_fma_f64 v[101:102], -v[101:102], v[107:108], v[105:106]
	v_div_fmas_f64 v[101:102], v[101:102], v[103:104], v[107:108]
	v_div_fixup_f64 v[101:102], v[101:102], v[99:100], v[97:98]
	v_fma_f64 v[97:98], v[97:98], v[101:102], v[99:100]
	v_div_scale_f64 v[99:100], s[6:7], v[97:98], v[97:98], 1.0
	v_div_scale_f64 v[107:108], vcc, 1.0, v[97:98], 1.0
	v_rcp_f64_e32 v[103:104], v[99:100]
	v_fma_f64 v[105:106], -v[99:100], v[103:104], 1.0
	v_fma_f64 v[103:104], v[103:104], v[105:106], v[103:104]
	v_fma_f64 v[105:106], -v[99:100], v[103:104], 1.0
	v_fma_f64 v[103:104], v[103:104], v[105:106], v[103:104]
	v_mul_f64 v[105:106], v[107:108], v[103:104]
	v_fma_f64 v[99:100], -v[99:100], v[105:106], v[107:108]
	v_div_fmas_f64 v[99:100], v[99:100], v[103:104], v[105:106]
	v_div_fixup_f64 v[103:104], v[99:100], v[97:98], 1.0
                                        ; implicit-def: $vgpr97_vgpr98
	v_mul_f64 v[101:102], v[101:102], v[103:104]
	v_xor_b32_e32 v104, 0x80000000, v104
.LBB91_230:
	s_andn2_saveexec_b64 s[2:3], s[2:3]
	s_cbranch_execz .LBB91_232
; %bb.231:
	v_div_scale_f64 v[101:102], s[6:7], v[97:98], v[97:98], v[99:100]
	v_rcp_f64_e32 v[103:104], v[101:102]
	v_fma_f64 v[105:106], -v[101:102], v[103:104], 1.0
	v_fma_f64 v[103:104], v[103:104], v[105:106], v[103:104]
	v_div_scale_f64 v[105:106], vcc, v[99:100], v[97:98], v[99:100]
	v_fma_f64 v[107:108], -v[101:102], v[103:104], 1.0
	v_fma_f64 v[103:104], v[103:104], v[107:108], v[103:104]
	v_mul_f64 v[107:108], v[105:106], v[103:104]
	v_fma_f64 v[101:102], -v[101:102], v[107:108], v[105:106]
	v_div_fmas_f64 v[101:102], v[101:102], v[103:104], v[107:108]
	v_div_fixup_f64 v[103:104], v[101:102], v[97:98], v[99:100]
	v_fma_f64 v[97:98], v[99:100], v[103:104], v[97:98]
	v_div_scale_f64 v[99:100], s[6:7], v[97:98], v[97:98], 1.0
	v_div_scale_f64 v[107:108], vcc, 1.0, v[97:98], 1.0
	v_rcp_f64_e32 v[101:102], v[99:100]
	v_fma_f64 v[105:106], -v[99:100], v[101:102], 1.0
	v_fma_f64 v[101:102], v[101:102], v[105:106], v[101:102]
	v_fma_f64 v[105:106], -v[99:100], v[101:102], 1.0
	v_fma_f64 v[101:102], v[101:102], v[105:106], v[101:102]
	v_mul_f64 v[105:106], v[107:108], v[101:102]
	v_fma_f64 v[99:100], -v[99:100], v[105:106], v[107:108]
	v_div_fmas_f64 v[99:100], v[99:100], v[101:102], v[105:106]
	v_div_fixup_f64 v[101:102], v[99:100], v[97:98], 1.0
	v_mul_f64 v[103:104], v[103:104], -v[101:102]
.LBB91_232:
	s_or_b64 exec, exec, s[2:3]
	ds_write2_b64 v127, v[101:102], v[103:104] offset1:1
.LBB91_233:
	s_or_b64 exec, exec, s[4:5]
	s_waitcnt lgkmcnt(0)
	s_barrier
	ds_read2_b64 v[69:72], v127 offset1:1
	v_cmp_lt_u32_e32 vcc, 25, v0
	s_waitcnt lgkmcnt(0)
	buffer_store_dword v69, off, s[20:23], 0 offset:1128 ; 4-byte Folded Spill
	s_nop 0
	buffer_store_dword v70, off, s[20:23], 0 offset:1132 ; 4-byte Folded Spill
	buffer_store_dword v71, off, s[20:23], 0 offset:1136 ; 4-byte Folded Spill
	;; [unrolled: 1-line block ×3, first 2 shown]
	s_and_saveexec_b64 s[2:3], vcc
	s_cbranch_execz .LBB91_235
; %bb.234:
	buffer_load_dword v77, off, s[20:23], 0 offset:32 ; 4-byte Folded Reload
	buffer_load_dword v78, off, s[20:23], 0 offset:36 ; 4-byte Folded Reload
	;; [unrolled: 1-line block ×8, first 2 shown]
	ds_read2_b64 v[99:102], v125 offset0:52 offset1:53
	s_waitcnt vmcnt(0)
	v_mul_f64 v[97:98], v[71:72], v[79:80]
	v_mul_f64 v[79:80], v[69:70], v[79:80]
	v_fma_f64 v[97:98], v[69:70], v[77:78], -v[97:98]
	v_fma_f64 v[79:80], v[71:72], v[77:78], v[79:80]
	v_mov_b32_e32 v69, v73
	v_mov_b32_e32 v70, v74
	;; [unrolled: 1-line block ×4, first 2 shown]
	buffer_load_dword v73, off, s[20:23], 0 offset:16 ; 4-byte Folded Reload
	buffer_load_dword v74, off, s[20:23], 0 offset:20 ; 4-byte Folded Reload
	;; [unrolled: 1-line block ×4, first 2 shown]
	s_waitcnt lgkmcnt(0)
	v_mul_f64 v[77:78], v[101:102], v[79:80]
	v_fma_f64 v[77:78], v[99:100], v[97:98], -v[77:78]
	v_mul_f64 v[99:100], v[99:100], v[79:80]
	v_fma_f64 v[99:100], v[101:102], v[97:98], v[99:100]
	s_waitcnt vmcnt(2)
	v_add_f64 v[73:74], v[73:74], -v[77:78]
	s_waitcnt vmcnt(0)
	v_add_f64 v[75:76], v[75:76], -v[99:100]
	buffer_store_dword v73, off, s[20:23], 0 offset:16 ; 4-byte Folded Spill
	s_nop 0
	buffer_store_dword v74, off, s[20:23], 0 offset:20 ; 4-byte Folded Spill
	buffer_store_dword v75, off, s[20:23], 0 offset:24 ; 4-byte Folded Spill
	;; [unrolled: 1-line block ×3, first 2 shown]
	v_mov_b32_e32 v76, v72
	v_mov_b32_e32 v75, v71
	;; [unrolled: 1-line block ×4, first 2 shown]
	ds_read2_b64 v[99:102], v125 offset0:54 offset1:55
	buffer_load_dword v69, off, s[20:23], 0 ; 4-byte Folded Reload
	buffer_load_dword v70, off, s[20:23], 0 offset:4 ; 4-byte Folded Reload
	buffer_load_dword v71, off, s[20:23], 0 offset:8 ; 4-byte Folded Reload
	;; [unrolled: 1-line block ×3, first 2 shown]
	s_waitcnt lgkmcnt(0)
	v_mul_f64 v[77:78], v[101:102], v[79:80]
	v_fma_f64 v[77:78], v[99:100], v[97:98], -v[77:78]
	v_mul_f64 v[99:100], v[99:100], v[79:80]
	v_fma_f64 v[99:100], v[101:102], v[97:98], v[99:100]
	s_waitcnt vmcnt(2)
	v_add_f64 v[69:70], v[69:70], -v[77:78]
	s_waitcnt vmcnt(0)
	v_add_f64 v[71:72], v[71:72], -v[99:100]
	buffer_store_dword v69, off, s[20:23], 0 ; 4-byte Folded Spill
	s_nop 0
	buffer_store_dword v70, off, s[20:23], 0 offset:4 ; 4-byte Folded Spill
	buffer_store_dword v71, off, s[20:23], 0 offset:8 ; 4-byte Folded Spill
	;; [unrolled: 1-line block ×3, first 2 shown]
	ds_read2_b64 v[99:102], v125 offset0:56 offset1:57
	s_waitcnt lgkmcnt(0)
	v_mul_f64 v[77:78], v[101:102], v[79:80]
	v_fma_f64 v[77:78], v[99:100], v[97:98], -v[77:78]
	v_mul_f64 v[99:100], v[99:100], v[79:80]
	v_add_f64 v[65:66], v[65:66], -v[77:78]
	v_fma_f64 v[99:100], v[101:102], v[97:98], v[99:100]
	v_add_f64 v[67:68], v[67:68], -v[99:100]
	ds_read2_b64 v[99:102], v125 offset0:58 offset1:59
	s_waitcnt lgkmcnt(0)
	v_mul_f64 v[77:78], v[101:102], v[79:80]
	v_fma_f64 v[77:78], v[99:100], v[97:98], -v[77:78]
	v_mul_f64 v[99:100], v[99:100], v[79:80]
	v_add_f64 v[61:62], v[61:62], -v[77:78]
	v_fma_f64 v[99:100], v[101:102], v[97:98], v[99:100]
	v_add_f64 v[63:64], v[63:64], -v[99:100]
	;; [unrolled: 8-line block ×17, first 2 shown]
	ds_read2_b64 v[99:102], v125 offset0:90 offset1:91
	s_waitcnt lgkmcnt(0)
	v_mul_f64 v[77:78], v[101:102], v[79:80]
	v_fma_f64 v[77:78], v[99:100], v[97:98], -v[77:78]
	v_mul_f64 v[99:100], v[99:100], v[79:80]
	v_add_f64 v[73:74], v[73:74], -v[77:78]
	v_fma_f64 v[99:100], v[101:102], v[97:98], v[99:100]
	v_mov_b32_e32 v77, v97
	v_mov_b32_e32 v78, v98
	buffer_store_dword v77, off, s[20:23], 0 offset:32 ; 4-byte Folded Spill
	s_nop 0
	buffer_store_dword v78, off, s[20:23], 0 offset:36 ; 4-byte Folded Spill
	buffer_store_dword v79, off, s[20:23], 0 offset:40 ; 4-byte Folded Spill
	buffer_store_dword v80, off, s[20:23], 0 offset:44 ; 4-byte Folded Spill
	v_add_f64 v[75:76], v[75:76], -v[99:100]
.LBB91_235:
	s_or_b64 exec, exec, s[2:3]
	v_cmp_eq_u32_e32 vcc, 26, v0
	s_waitcnt vmcnt(0)
	s_barrier
	s_and_saveexec_b64 s[4:5], vcc
	s_cbranch_execz .LBB91_242
; %bb.236:
	v_mov_b32_e32 v69, v73
	v_mov_b32_e32 v70, v74
	;; [unrolled: 1-line block ×4, first 2 shown]
	buffer_load_dword v73, off, s[20:23], 0 offset:16 ; 4-byte Folded Reload
	buffer_load_dword v74, off, s[20:23], 0 offset:20 ; 4-byte Folded Reload
	;; [unrolled: 1-line block ×4, first 2 shown]
	s_waitcnt vmcnt(0)
	ds_write2_b64 v127, v[73:74], v[75:76] offset1:1
	v_mov_b32_e32 v76, v72
	v_mov_b32_e32 v75, v71
	;; [unrolled: 1-line block ×4, first 2 shown]
	buffer_load_dword v69, off, s[20:23], 0 ; 4-byte Folded Reload
	buffer_load_dword v70, off, s[20:23], 0 offset:4 ; 4-byte Folded Reload
	buffer_load_dword v71, off, s[20:23], 0 offset:8 ; 4-byte Folded Reload
	;; [unrolled: 1-line block ×3, first 2 shown]
	s_waitcnt vmcnt(0)
	ds_write2_b64 v125, v[69:70], v[71:72] offset0:54 offset1:55
	ds_write2_b64 v125, v[65:66], v[67:68] offset0:56 offset1:57
	ds_write2_b64 v125, v[61:62], v[63:64] offset0:58 offset1:59
	ds_write2_b64 v125, v[57:58], v[59:60] offset0:60 offset1:61
	ds_write2_b64 v125, v[53:54], v[55:56] offset0:62 offset1:63
	ds_write2_b64 v125, v[49:50], v[51:52] offset0:64 offset1:65
	ds_write2_b64 v125, v[45:46], v[47:48] offset0:66 offset1:67
	ds_write2_b64 v125, v[41:42], v[43:44] offset0:68 offset1:69
	ds_write2_b64 v125, v[37:38], v[39:40] offset0:70 offset1:71
	ds_write2_b64 v125, v[33:34], v[35:36] offset0:72 offset1:73
	ds_write2_b64 v125, v[29:30], v[31:32] offset0:74 offset1:75
	ds_write2_b64 v125, v[25:26], v[27:28] offset0:76 offset1:77
	ds_write2_b64 v125, v[21:22], v[23:24] offset0:78 offset1:79
	ds_write2_b64 v125, v[17:18], v[19:20] offset0:80 offset1:81
	ds_write2_b64 v125, v[13:14], v[15:16] offset0:82 offset1:83
	ds_write2_b64 v125, v[9:10], v[11:12] offset0:84 offset1:85
	ds_write2_b64 v125, v[5:6], v[7:8] offset0:86 offset1:87
	ds_write2_b64 v125, v[1:2], v[3:4] offset0:88 offset1:89
	ds_write2_b64 v125, v[73:74], v[75:76] offset0:90 offset1:91
	ds_read2_b64 v[97:100], v127 offset1:1
	s_waitcnt lgkmcnt(0)
	v_cmp_neq_f64_e32 vcc, 0, v[97:98]
	v_cmp_neq_f64_e64 s[2:3], 0, v[99:100]
	s_or_b64 s[2:3], vcc, s[2:3]
	s_and_b64 exec, exec, s[2:3]
	s_cbranch_execz .LBB91_242
; %bb.237:
	v_cmp_ngt_f64_e64 s[2:3], |v[97:98]|, |v[99:100]|
                                        ; implicit-def: $vgpr101_vgpr102
	s_and_saveexec_b64 s[6:7], s[2:3]
	s_xor_b64 s[2:3], exec, s[6:7]
                                        ; implicit-def: $vgpr103_vgpr104
	s_cbranch_execz .LBB91_239
; %bb.238:
	v_div_scale_f64 v[101:102], s[6:7], v[99:100], v[99:100], v[97:98]
	v_rcp_f64_e32 v[103:104], v[101:102]
	v_fma_f64 v[105:106], -v[101:102], v[103:104], 1.0
	v_fma_f64 v[103:104], v[103:104], v[105:106], v[103:104]
	v_div_scale_f64 v[105:106], vcc, v[97:98], v[99:100], v[97:98]
	v_fma_f64 v[107:108], -v[101:102], v[103:104], 1.0
	v_fma_f64 v[103:104], v[103:104], v[107:108], v[103:104]
	v_mul_f64 v[107:108], v[105:106], v[103:104]
	v_fma_f64 v[101:102], -v[101:102], v[107:108], v[105:106]
	v_div_fmas_f64 v[101:102], v[101:102], v[103:104], v[107:108]
	v_div_fixup_f64 v[101:102], v[101:102], v[99:100], v[97:98]
	v_fma_f64 v[97:98], v[97:98], v[101:102], v[99:100]
	v_div_scale_f64 v[99:100], s[6:7], v[97:98], v[97:98], 1.0
	v_div_scale_f64 v[107:108], vcc, 1.0, v[97:98], 1.0
	v_rcp_f64_e32 v[103:104], v[99:100]
	v_fma_f64 v[105:106], -v[99:100], v[103:104], 1.0
	v_fma_f64 v[103:104], v[103:104], v[105:106], v[103:104]
	v_fma_f64 v[105:106], -v[99:100], v[103:104], 1.0
	v_fma_f64 v[103:104], v[103:104], v[105:106], v[103:104]
	v_mul_f64 v[105:106], v[107:108], v[103:104]
	v_fma_f64 v[99:100], -v[99:100], v[105:106], v[107:108]
	v_div_fmas_f64 v[99:100], v[99:100], v[103:104], v[105:106]
	v_div_fixup_f64 v[103:104], v[99:100], v[97:98], 1.0
                                        ; implicit-def: $vgpr97_vgpr98
	v_mul_f64 v[101:102], v[101:102], v[103:104]
	v_xor_b32_e32 v104, 0x80000000, v104
.LBB91_239:
	s_andn2_saveexec_b64 s[2:3], s[2:3]
	s_cbranch_execz .LBB91_241
; %bb.240:
	v_div_scale_f64 v[101:102], s[6:7], v[97:98], v[97:98], v[99:100]
	v_rcp_f64_e32 v[103:104], v[101:102]
	v_fma_f64 v[105:106], -v[101:102], v[103:104], 1.0
	v_fma_f64 v[103:104], v[103:104], v[105:106], v[103:104]
	v_div_scale_f64 v[105:106], vcc, v[99:100], v[97:98], v[99:100]
	v_fma_f64 v[107:108], -v[101:102], v[103:104], 1.0
	v_fma_f64 v[103:104], v[103:104], v[107:108], v[103:104]
	v_mul_f64 v[107:108], v[105:106], v[103:104]
	v_fma_f64 v[101:102], -v[101:102], v[107:108], v[105:106]
	v_div_fmas_f64 v[101:102], v[101:102], v[103:104], v[107:108]
	v_div_fixup_f64 v[103:104], v[101:102], v[97:98], v[99:100]
	v_fma_f64 v[97:98], v[99:100], v[103:104], v[97:98]
	v_div_scale_f64 v[99:100], s[6:7], v[97:98], v[97:98], 1.0
	v_div_scale_f64 v[107:108], vcc, 1.0, v[97:98], 1.0
	v_rcp_f64_e32 v[101:102], v[99:100]
	v_fma_f64 v[105:106], -v[99:100], v[101:102], 1.0
	v_fma_f64 v[101:102], v[101:102], v[105:106], v[101:102]
	v_fma_f64 v[105:106], -v[99:100], v[101:102], 1.0
	v_fma_f64 v[101:102], v[101:102], v[105:106], v[101:102]
	v_mul_f64 v[105:106], v[107:108], v[101:102]
	v_fma_f64 v[99:100], -v[99:100], v[105:106], v[107:108]
	v_div_fmas_f64 v[99:100], v[99:100], v[101:102], v[105:106]
	v_div_fixup_f64 v[101:102], v[99:100], v[97:98], 1.0
	v_mul_f64 v[103:104], v[103:104], -v[101:102]
.LBB91_241:
	s_or_b64 exec, exec, s[2:3]
	ds_write2_b64 v127, v[101:102], v[103:104] offset1:1
.LBB91_242:
	s_or_b64 exec, exec, s[4:5]
	s_waitcnt lgkmcnt(0)
	s_barrier
	ds_read2_b64 v[69:72], v127 offset1:1
	v_cmp_lt_u32_e32 vcc, 26, v0
	s_waitcnt lgkmcnt(0)
	buffer_store_dword v69, off, s[20:23], 0 offset:1144 ; 4-byte Folded Spill
	s_nop 0
	buffer_store_dword v70, off, s[20:23], 0 offset:1148 ; 4-byte Folded Spill
	buffer_store_dword v71, off, s[20:23], 0 offset:1152 ; 4-byte Folded Spill
	;; [unrolled: 1-line block ×3, first 2 shown]
	s_and_saveexec_b64 s[2:3], vcc
	s_cbranch_execz .LBB91_244
; %bb.243:
	v_mov_b32_e32 v80, v76
	v_mov_b32_e32 v79, v75
	;; [unrolled: 1-line block ×4, first 2 shown]
	buffer_load_dword v73, off, s[20:23], 0 offset:16 ; 4-byte Folded Reload
	buffer_load_dword v74, off, s[20:23], 0 offset:20 ; 4-byte Folded Reload
	buffer_load_dword v75, off, s[20:23], 0 offset:24 ; 4-byte Folded Reload
	buffer_load_dword v76, off, s[20:23], 0 offset:28 ; 4-byte Folded Reload
	buffer_load_dword v69, off, s[20:23], 0 offset:1144 ; 4-byte Folded Reload
	buffer_load_dword v70, off, s[20:23], 0 offset:1148 ; 4-byte Folded Reload
	buffer_load_dword v71, off, s[20:23], 0 offset:1152 ; 4-byte Folded Reload
	buffer_load_dword v72, off, s[20:23], 0 offset:1156 ; 4-byte Folded Reload
	ds_read2_b64 v[99:102], v125 offset0:54 offset1:55
	s_waitcnt vmcnt(0)
	v_mul_f64 v[97:98], v[71:72], v[75:76]
	v_mul_f64 v[75:76], v[69:70], v[75:76]
	v_fma_f64 v[97:98], v[69:70], v[73:74], -v[97:98]
	v_fma_f64 v[75:76], v[71:72], v[73:74], v[75:76]
	buffer_load_dword v69, off, s[20:23], 0 ; 4-byte Folded Reload
	buffer_load_dword v70, off, s[20:23], 0 offset:4 ; 4-byte Folded Reload
	buffer_load_dword v71, off, s[20:23], 0 offset:8 ; 4-byte Folded Reload
	;; [unrolled: 1-line block ×3, first 2 shown]
	s_waitcnt lgkmcnt(0)
	v_mul_f64 v[73:74], v[101:102], v[75:76]
	v_fma_f64 v[73:74], v[99:100], v[97:98], -v[73:74]
	v_mul_f64 v[99:100], v[99:100], v[75:76]
	v_fma_f64 v[99:100], v[101:102], v[97:98], v[99:100]
	s_waitcnt vmcnt(2)
	v_add_f64 v[69:70], v[69:70], -v[73:74]
	s_waitcnt vmcnt(0)
	v_add_f64 v[71:72], v[71:72], -v[99:100]
	buffer_store_dword v69, off, s[20:23], 0 ; 4-byte Folded Spill
	s_nop 0
	buffer_store_dword v70, off, s[20:23], 0 offset:4 ; 4-byte Folded Spill
	buffer_store_dword v71, off, s[20:23], 0 offset:8 ; 4-byte Folded Spill
	;; [unrolled: 1-line block ×3, first 2 shown]
	ds_read2_b64 v[99:102], v125 offset0:56 offset1:57
	s_waitcnt lgkmcnt(0)
	v_mul_f64 v[73:74], v[101:102], v[75:76]
	v_fma_f64 v[73:74], v[99:100], v[97:98], -v[73:74]
	v_mul_f64 v[99:100], v[99:100], v[75:76]
	v_add_f64 v[65:66], v[65:66], -v[73:74]
	v_fma_f64 v[99:100], v[101:102], v[97:98], v[99:100]
	v_add_f64 v[67:68], v[67:68], -v[99:100]
	ds_read2_b64 v[99:102], v125 offset0:58 offset1:59
	s_waitcnt lgkmcnt(0)
	v_mul_f64 v[73:74], v[101:102], v[75:76]
	v_fma_f64 v[73:74], v[99:100], v[97:98], -v[73:74]
	v_mul_f64 v[99:100], v[99:100], v[75:76]
	v_add_f64 v[61:62], v[61:62], -v[73:74]
	v_fma_f64 v[99:100], v[101:102], v[97:98], v[99:100]
	v_add_f64 v[63:64], v[63:64], -v[99:100]
	;; [unrolled: 8-line block ×17, first 2 shown]
	ds_read2_b64 v[99:102], v125 offset0:90 offset1:91
	s_waitcnt lgkmcnt(0)
	v_mul_f64 v[73:74], v[101:102], v[75:76]
	v_fma_f64 v[73:74], v[99:100], v[97:98], -v[73:74]
	v_mul_f64 v[99:100], v[99:100], v[75:76]
	v_add_f64 v[77:78], v[77:78], -v[73:74]
	v_fma_f64 v[99:100], v[101:102], v[97:98], v[99:100]
	v_mov_b32_e32 v73, v97
	v_mov_b32_e32 v74, v98
	buffer_store_dword v73, off, s[20:23], 0 offset:16 ; 4-byte Folded Spill
	s_nop 0
	buffer_store_dword v74, off, s[20:23], 0 offset:20 ; 4-byte Folded Spill
	buffer_store_dword v75, off, s[20:23], 0 offset:24 ; 4-byte Folded Spill
	;; [unrolled: 1-line block ×3, first 2 shown]
	v_add_f64 v[79:80], v[79:80], -v[99:100]
	v_mov_b32_e32 v73, v77
	v_mov_b32_e32 v74, v78
	;; [unrolled: 1-line block ×4, first 2 shown]
.LBB91_244:
	s_or_b64 exec, exec, s[2:3]
	v_cmp_eq_u32_e32 vcc, 27, v0
	s_waitcnt vmcnt(0)
	s_barrier
	s_and_saveexec_b64 s[4:5], vcc
	s_cbranch_execz .LBB91_251
; %bb.245:
	buffer_load_dword v69, off, s[20:23], 0 ; 4-byte Folded Reload
	buffer_load_dword v70, off, s[20:23], 0 offset:4 ; 4-byte Folded Reload
	buffer_load_dword v71, off, s[20:23], 0 offset:8 ; 4-byte Folded Reload
	;; [unrolled: 1-line block ×3, first 2 shown]
	s_waitcnt vmcnt(0)
	ds_write2_b64 v127, v[69:70], v[71:72] offset1:1
	ds_write2_b64 v125, v[65:66], v[67:68] offset0:56 offset1:57
	ds_write2_b64 v125, v[61:62], v[63:64] offset0:58 offset1:59
	;; [unrolled: 1-line block ×18, first 2 shown]
	ds_read2_b64 v[97:100], v127 offset1:1
	s_waitcnt lgkmcnt(0)
	v_cmp_neq_f64_e32 vcc, 0, v[97:98]
	v_cmp_neq_f64_e64 s[2:3], 0, v[99:100]
	s_or_b64 s[2:3], vcc, s[2:3]
	s_and_b64 exec, exec, s[2:3]
	s_cbranch_execz .LBB91_251
; %bb.246:
	v_cmp_ngt_f64_e64 s[2:3], |v[97:98]|, |v[99:100]|
                                        ; implicit-def: $vgpr101_vgpr102
	s_and_saveexec_b64 s[6:7], s[2:3]
	s_xor_b64 s[2:3], exec, s[6:7]
                                        ; implicit-def: $vgpr103_vgpr104
	s_cbranch_execz .LBB91_248
; %bb.247:
	v_div_scale_f64 v[101:102], s[6:7], v[99:100], v[99:100], v[97:98]
	v_rcp_f64_e32 v[103:104], v[101:102]
	v_fma_f64 v[105:106], -v[101:102], v[103:104], 1.0
	v_fma_f64 v[103:104], v[103:104], v[105:106], v[103:104]
	v_div_scale_f64 v[105:106], vcc, v[97:98], v[99:100], v[97:98]
	v_fma_f64 v[107:108], -v[101:102], v[103:104], 1.0
	v_fma_f64 v[103:104], v[103:104], v[107:108], v[103:104]
	v_mul_f64 v[107:108], v[105:106], v[103:104]
	v_fma_f64 v[101:102], -v[101:102], v[107:108], v[105:106]
	v_div_fmas_f64 v[101:102], v[101:102], v[103:104], v[107:108]
	v_div_fixup_f64 v[101:102], v[101:102], v[99:100], v[97:98]
	v_fma_f64 v[97:98], v[97:98], v[101:102], v[99:100]
	v_div_scale_f64 v[99:100], s[6:7], v[97:98], v[97:98], 1.0
	v_div_scale_f64 v[107:108], vcc, 1.0, v[97:98], 1.0
	v_rcp_f64_e32 v[103:104], v[99:100]
	v_fma_f64 v[105:106], -v[99:100], v[103:104], 1.0
	v_fma_f64 v[103:104], v[103:104], v[105:106], v[103:104]
	v_fma_f64 v[105:106], -v[99:100], v[103:104], 1.0
	v_fma_f64 v[103:104], v[103:104], v[105:106], v[103:104]
	v_mul_f64 v[105:106], v[107:108], v[103:104]
	v_fma_f64 v[99:100], -v[99:100], v[105:106], v[107:108]
	v_div_fmas_f64 v[99:100], v[99:100], v[103:104], v[105:106]
	v_div_fixup_f64 v[103:104], v[99:100], v[97:98], 1.0
                                        ; implicit-def: $vgpr97_vgpr98
	v_mul_f64 v[101:102], v[101:102], v[103:104]
	v_xor_b32_e32 v104, 0x80000000, v104
.LBB91_248:
	s_andn2_saveexec_b64 s[2:3], s[2:3]
	s_cbranch_execz .LBB91_250
; %bb.249:
	v_div_scale_f64 v[101:102], s[6:7], v[97:98], v[97:98], v[99:100]
	v_rcp_f64_e32 v[103:104], v[101:102]
	v_fma_f64 v[105:106], -v[101:102], v[103:104], 1.0
	v_fma_f64 v[103:104], v[103:104], v[105:106], v[103:104]
	v_div_scale_f64 v[105:106], vcc, v[99:100], v[97:98], v[99:100]
	v_fma_f64 v[107:108], -v[101:102], v[103:104], 1.0
	v_fma_f64 v[103:104], v[103:104], v[107:108], v[103:104]
	v_mul_f64 v[107:108], v[105:106], v[103:104]
	v_fma_f64 v[101:102], -v[101:102], v[107:108], v[105:106]
	v_div_fmas_f64 v[101:102], v[101:102], v[103:104], v[107:108]
	v_div_fixup_f64 v[103:104], v[101:102], v[97:98], v[99:100]
	v_fma_f64 v[97:98], v[99:100], v[103:104], v[97:98]
	v_div_scale_f64 v[99:100], s[6:7], v[97:98], v[97:98], 1.0
	v_div_scale_f64 v[107:108], vcc, 1.0, v[97:98], 1.0
	v_rcp_f64_e32 v[101:102], v[99:100]
	v_fma_f64 v[105:106], -v[99:100], v[101:102], 1.0
	v_fma_f64 v[101:102], v[101:102], v[105:106], v[101:102]
	v_fma_f64 v[105:106], -v[99:100], v[101:102], 1.0
	v_fma_f64 v[101:102], v[101:102], v[105:106], v[101:102]
	v_mul_f64 v[105:106], v[107:108], v[101:102]
	v_fma_f64 v[99:100], -v[99:100], v[105:106], v[107:108]
	v_div_fmas_f64 v[99:100], v[99:100], v[101:102], v[105:106]
	v_div_fixup_f64 v[101:102], v[99:100], v[97:98], 1.0
	v_mul_f64 v[103:104], v[103:104], -v[101:102]
.LBB91_250:
	s_or_b64 exec, exec, s[2:3]
	ds_write2_b64 v127, v[101:102], v[103:104] offset1:1
.LBB91_251:
	s_or_b64 exec, exec, s[4:5]
	s_waitcnt lgkmcnt(0)
	s_barrier
	ds_read2_b64 v[69:72], v127 offset1:1
	v_cmp_lt_u32_e32 vcc, 27, v0
	s_waitcnt lgkmcnt(0)
	buffer_store_dword v69, off, s[20:23], 0 offset:1160 ; 4-byte Folded Spill
	s_nop 0
	buffer_store_dword v70, off, s[20:23], 0 offset:1164 ; 4-byte Folded Spill
	buffer_store_dword v71, off, s[20:23], 0 offset:1168 ; 4-byte Folded Spill
	buffer_store_dword v72, off, s[20:23], 0 offset:1172 ; 4-byte Folded Spill
	s_and_saveexec_b64 s[2:3], vcc
	s_cbranch_execz .LBB91_253
; %bb.252:
	buffer_load_dword v69, off, s[20:23], 0 ; 4-byte Folded Reload
	buffer_load_dword v70, off, s[20:23], 0 offset:4 ; 4-byte Folded Reload
	buffer_load_dword v71, off, s[20:23], 0 offset:8 ; 4-byte Folded Reload
	;; [unrolled: 1-line block ×7, first 2 shown]
	ds_read2_b64 v[99:102], v125 offset0:56 offset1:57
	s_waitcnt vmcnt(0)
	v_mul_f64 v[97:98], v[79:80], v[71:72]
	v_mul_f64 v[71:72], v[77:78], v[71:72]
	v_fma_f64 v[97:98], v[77:78], v[69:70], -v[97:98]
	v_fma_f64 v[71:72], v[79:80], v[69:70], v[71:72]
	s_waitcnt lgkmcnt(0)
	v_mul_f64 v[69:70], v[101:102], v[71:72]
	v_fma_f64 v[69:70], v[99:100], v[97:98], -v[69:70]
	v_mul_f64 v[99:100], v[99:100], v[71:72]
	v_add_f64 v[65:66], v[65:66], -v[69:70]
	v_fma_f64 v[99:100], v[101:102], v[97:98], v[99:100]
	v_add_f64 v[67:68], v[67:68], -v[99:100]
	ds_read2_b64 v[99:102], v125 offset0:58 offset1:59
	s_waitcnt lgkmcnt(0)
	v_mul_f64 v[69:70], v[101:102], v[71:72]
	v_fma_f64 v[69:70], v[99:100], v[97:98], -v[69:70]
	v_mul_f64 v[99:100], v[99:100], v[71:72]
	v_add_f64 v[61:62], v[61:62], -v[69:70]
	v_fma_f64 v[99:100], v[101:102], v[97:98], v[99:100]
	v_add_f64 v[63:64], v[63:64], -v[99:100]
	ds_read2_b64 v[99:102], v125 offset0:60 offset1:61
	;; [unrolled: 8-line block ×17, first 2 shown]
	s_waitcnt lgkmcnt(0)
	v_mul_f64 v[69:70], v[101:102], v[71:72]
	v_fma_f64 v[69:70], v[99:100], v[97:98], -v[69:70]
	v_mul_f64 v[99:100], v[99:100], v[71:72]
	v_add_f64 v[73:74], v[73:74], -v[69:70]
	v_fma_f64 v[99:100], v[101:102], v[97:98], v[99:100]
	v_mov_b32_e32 v69, v97
	v_mov_b32_e32 v70, v98
	buffer_store_dword v69, off, s[20:23], 0 ; 4-byte Folded Spill
	s_nop 0
	buffer_store_dword v70, off, s[20:23], 0 offset:4 ; 4-byte Folded Spill
	buffer_store_dword v71, off, s[20:23], 0 offset:8 ; 4-byte Folded Spill
	;; [unrolled: 1-line block ×3, first 2 shown]
	v_add_f64 v[75:76], v[75:76], -v[99:100]
.LBB91_253:
	s_or_b64 exec, exec, s[2:3]
	v_cmp_eq_u32_e32 vcc, 28, v0
	s_waitcnt vmcnt(0)
	s_barrier
	s_and_saveexec_b64 s[4:5], vcc
	s_cbranch_execz .LBB91_260
; %bb.254:
	ds_write2_b64 v127, v[65:66], v[67:68] offset1:1
	ds_write2_b64 v125, v[61:62], v[63:64] offset0:58 offset1:59
	ds_write2_b64 v125, v[57:58], v[59:60] offset0:60 offset1:61
	;; [unrolled: 1-line block ×17, first 2 shown]
	ds_read2_b64 v[97:100], v127 offset1:1
	s_waitcnt lgkmcnt(0)
	v_cmp_neq_f64_e32 vcc, 0, v[97:98]
	v_cmp_neq_f64_e64 s[2:3], 0, v[99:100]
	s_or_b64 s[2:3], vcc, s[2:3]
	s_and_b64 exec, exec, s[2:3]
	s_cbranch_execz .LBB91_260
; %bb.255:
	v_cmp_ngt_f64_e64 s[2:3], |v[97:98]|, |v[99:100]|
                                        ; implicit-def: $vgpr101_vgpr102
	s_and_saveexec_b64 s[6:7], s[2:3]
	s_xor_b64 s[2:3], exec, s[6:7]
                                        ; implicit-def: $vgpr103_vgpr104
	s_cbranch_execz .LBB91_257
; %bb.256:
	v_div_scale_f64 v[101:102], s[6:7], v[99:100], v[99:100], v[97:98]
	v_rcp_f64_e32 v[103:104], v[101:102]
	v_fma_f64 v[105:106], -v[101:102], v[103:104], 1.0
	v_fma_f64 v[103:104], v[103:104], v[105:106], v[103:104]
	v_div_scale_f64 v[105:106], vcc, v[97:98], v[99:100], v[97:98]
	v_fma_f64 v[107:108], -v[101:102], v[103:104], 1.0
	v_fma_f64 v[103:104], v[103:104], v[107:108], v[103:104]
	v_mul_f64 v[107:108], v[105:106], v[103:104]
	v_fma_f64 v[101:102], -v[101:102], v[107:108], v[105:106]
	v_div_fmas_f64 v[101:102], v[101:102], v[103:104], v[107:108]
	v_div_fixup_f64 v[101:102], v[101:102], v[99:100], v[97:98]
	v_fma_f64 v[97:98], v[97:98], v[101:102], v[99:100]
	v_div_scale_f64 v[99:100], s[6:7], v[97:98], v[97:98], 1.0
	v_div_scale_f64 v[107:108], vcc, 1.0, v[97:98], 1.0
	v_rcp_f64_e32 v[103:104], v[99:100]
	v_fma_f64 v[105:106], -v[99:100], v[103:104], 1.0
	v_fma_f64 v[103:104], v[103:104], v[105:106], v[103:104]
	v_fma_f64 v[105:106], -v[99:100], v[103:104], 1.0
	v_fma_f64 v[103:104], v[103:104], v[105:106], v[103:104]
	v_mul_f64 v[105:106], v[107:108], v[103:104]
	v_fma_f64 v[99:100], -v[99:100], v[105:106], v[107:108]
	v_div_fmas_f64 v[99:100], v[99:100], v[103:104], v[105:106]
	v_div_fixup_f64 v[103:104], v[99:100], v[97:98], 1.0
                                        ; implicit-def: $vgpr97_vgpr98
	v_mul_f64 v[101:102], v[101:102], v[103:104]
	v_xor_b32_e32 v104, 0x80000000, v104
.LBB91_257:
	s_andn2_saveexec_b64 s[2:3], s[2:3]
	s_cbranch_execz .LBB91_259
; %bb.258:
	v_div_scale_f64 v[101:102], s[6:7], v[97:98], v[97:98], v[99:100]
	v_rcp_f64_e32 v[103:104], v[101:102]
	v_fma_f64 v[105:106], -v[101:102], v[103:104], 1.0
	v_fma_f64 v[103:104], v[103:104], v[105:106], v[103:104]
	v_div_scale_f64 v[105:106], vcc, v[99:100], v[97:98], v[99:100]
	v_fma_f64 v[107:108], -v[101:102], v[103:104], 1.0
	v_fma_f64 v[103:104], v[103:104], v[107:108], v[103:104]
	v_mul_f64 v[107:108], v[105:106], v[103:104]
	v_fma_f64 v[101:102], -v[101:102], v[107:108], v[105:106]
	v_div_fmas_f64 v[101:102], v[101:102], v[103:104], v[107:108]
	v_div_fixup_f64 v[103:104], v[101:102], v[97:98], v[99:100]
	v_fma_f64 v[97:98], v[99:100], v[103:104], v[97:98]
	v_div_scale_f64 v[99:100], s[6:7], v[97:98], v[97:98], 1.0
	v_div_scale_f64 v[107:108], vcc, 1.0, v[97:98], 1.0
	v_rcp_f64_e32 v[101:102], v[99:100]
	v_fma_f64 v[105:106], -v[99:100], v[101:102], 1.0
	v_fma_f64 v[101:102], v[101:102], v[105:106], v[101:102]
	v_fma_f64 v[105:106], -v[99:100], v[101:102], 1.0
	v_fma_f64 v[101:102], v[101:102], v[105:106], v[101:102]
	v_mul_f64 v[105:106], v[107:108], v[101:102]
	v_fma_f64 v[99:100], -v[99:100], v[105:106], v[107:108]
	v_div_fmas_f64 v[99:100], v[99:100], v[101:102], v[105:106]
	v_div_fixup_f64 v[101:102], v[99:100], v[97:98], 1.0
	v_mul_f64 v[103:104], v[103:104], -v[101:102]
.LBB91_259:
	s_or_b64 exec, exec, s[2:3]
	ds_write2_b64 v127, v[101:102], v[103:104] offset1:1
.LBB91_260:
	s_or_b64 exec, exec, s[4:5]
	s_waitcnt lgkmcnt(0)
	s_barrier
	ds_read2_b64 v[69:72], v127 offset1:1
	v_cmp_lt_u32_e32 vcc, 28, v0
	s_waitcnt lgkmcnt(0)
	buffer_store_dword v69, off, s[20:23], 0 offset:1176 ; 4-byte Folded Spill
	s_nop 0
	buffer_store_dword v70, off, s[20:23], 0 offset:1180 ; 4-byte Folded Spill
	buffer_store_dword v71, off, s[20:23], 0 offset:1184 ; 4-byte Folded Spill
	;; [unrolled: 1-line block ×3, first 2 shown]
	s_and_saveexec_b64 s[2:3], vcc
	s_cbranch_execz .LBB91_262
; %bb.261:
	buffer_load_dword v69, off, s[20:23], 0 offset:1176 ; 4-byte Folded Reload
	buffer_load_dword v70, off, s[20:23], 0 offset:1180 ; 4-byte Folded Reload
	;; [unrolled: 1-line block ×4, first 2 shown]
	ds_read2_b64 v[99:102], v125 offset0:58 offset1:59
	s_waitcnt vmcnt(0)
	v_mul_f64 v[97:98], v[71:72], v[67:68]
	v_mul_f64 v[67:68], v[69:70], v[67:68]
	v_fma_f64 v[97:98], v[69:70], v[65:66], -v[97:98]
	v_fma_f64 v[67:68], v[71:72], v[65:66], v[67:68]
	s_waitcnt lgkmcnt(0)
	v_mul_f64 v[65:66], v[101:102], v[67:68]
	v_fma_f64 v[65:66], v[99:100], v[97:98], -v[65:66]
	v_mul_f64 v[99:100], v[99:100], v[67:68]
	v_add_f64 v[61:62], v[61:62], -v[65:66]
	v_fma_f64 v[99:100], v[101:102], v[97:98], v[99:100]
	v_add_f64 v[63:64], v[63:64], -v[99:100]
	ds_read2_b64 v[99:102], v125 offset0:60 offset1:61
	s_waitcnt lgkmcnt(0)
	v_mul_f64 v[65:66], v[101:102], v[67:68]
	v_fma_f64 v[65:66], v[99:100], v[97:98], -v[65:66]
	v_mul_f64 v[99:100], v[99:100], v[67:68]
	v_add_f64 v[57:58], v[57:58], -v[65:66]
	v_fma_f64 v[99:100], v[101:102], v[97:98], v[99:100]
	v_add_f64 v[59:60], v[59:60], -v[99:100]
	ds_read2_b64 v[99:102], v125 offset0:62 offset1:63
	;; [unrolled: 8-line block ×16, first 2 shown]
	s_waitcnt lgkmcnt(0)
	v_mul_f64 v[65:66], v[101:102], v[67:68]
	v_fma_f64 v[65:66], v[99:100], v[97:98], -v[65:66]
	v_mul_f64 v[99:100], v[99:100], v[67:68]
	v_add_f64 v[73:74], v[73:74], -v[65:66]
	v_fma_f64 v[99:100], v[101:102], v[97:98], v[99:100]
	v_mov_b32_e32 v65, v97
	v_mov_b32_e32 v66, v98
	v_add_f64 v[75:76], v[75:76], -v[99:100]
.LBB91_262:
	s_or_b64 exec, exec, s[2:3]
	v_cmp_eq_u32_e32 vcc, 29, v0
	s_waitcnt vmcnt(0)
	s_barrier
	s_and_saveexec_b64 s[4:5], vcc
	s_cbranch_execz .LBB91_269
; %bb.263:
	ds_write2_b64 v127, v[61:62], v[63:64] offset1:1
	ds_write2_b64 v125, v[57:58], v[59:60] offset0:60 offset1:61
	ds_write2_b64 v125, v[53:54], v[55:56] offset0:62 offset1:63
	;; [unrolled: 1-line block ×16, first 2 shown]
	ds_read2_b64 v[97:100], v127 offset1:1
	s_waitcnt lgkmcnt(0)
	v_cmp_neq_f64_e32 vcc, 0, v[97:98]
	v_cmp_neq_f64_e64 s[2:3], 0, v[99:100]
	s_or_b64 s[2:3], vcc, s[2:3]
	s_and_b64 exec, exec, s[2:3]
	s_cbranch_execz .LBB91_269
; %bb.264:
	v_cmp_ngt_f64_e64 s[2:3], |v[97:98]|, |v[99:100]|
                                        ; implicit-def: $vgpr101_vgpr102
	s_and_saveexec_b64 s[6:7], s[2:3]
	s_xor_b64 s[2:3], exec, s[6:7]
                                        ; implicit-def: $vgpr103_vgpr104
	s_cbranch_execz .LBB91_266
; %bb.265:
	v_div_scale_f64 v[101:102], s[6:7], v[99:100], v[99:100], v[97:98]
	v_rcp_f64_e32 v[103:104], v[101:102]
	v_fma_f64 v[105:106], -v[101:102], v[103:104], 1.0
	v_fma_f64 v[103:104], v[103:104], v[105:106], v[103:104]
	v_div_scale_f64 v[105:106], vcc, v[97:98], v[99:100], v[97:98]
	v_fma_f64 v[107:108], -v[101:102], v[103:104], 1.0
	v_fma_f64 v[103:104], v[103:104], v[107:108], v[103:104]
	v_mul_f64 v[107:108], v[105:106], v[103:104]
	v_fma_f64 v[101:102], -v[101:102], v[107:108], v[105:106]
	v_div_fmas_f64 v[101:102], v[101:102], v[103:104], v[107:108]
	v_div_fixup_f64 v[101:102], v[101:102], v[99:100], v[97:98]
	v_fma_f64 v[97:98], v[97:98], v[101:102], v[99:100]
	v_div_scale_f64 v[99:100], s[6:7], v[97:98], v[97:98], 1.0
	v_div_scale_f64 v[107:108], vcc, 1.0, v[97:98], 1.0
	v_rcp_f64_e32 v[103:104], v[99:100]
	v_fma_f64 v[105:106], -v[99:100], v[103:104], 1.0
	v_fma_f64 v[103:104], v[103:104], v[105:106], v[103:104]
	v_fma_f64 v[105:106], -v[99:100], v[103:104], 1.0
	v_fma_f64 v[103:104], v[103:104], v[105:106], v[103:104]
	v_mul_f64 v[105:106], v[107:108], v[103:104]
	v_fma_f64 v[99:100], -v[99:100], v[105:106], v[107:108]
	v_div_fmas_f64 v[99:100], v[99:100], v[103:104], v[105:106]
	v_div_fixup_f64 v[103:104], v[99:100], v[97:98], 1.0
                                        ; implicit-def: $vgpr97_vgpr98
	v_mul_f64 v[101:102], v[101:102], v[103:104]
	v_xor_b32_e32 v104, 0x80000000, v104
.LBB91_266:
	s_andn2_saveexec_b64 s[2:3], s[2:3]
	s_cbranch_execz .LBB91_268
; %bb.267:
	v_div_scale_f64 v[101:102], s[6:7], v[97:98], v[97:98], v[99:100]
	v_rcp_f64_e32 v[103:104], v[101:102]
	v_fma_f64 v[105:106], -v[101:102], v[103:104], 1.0
	v_fma_f64 v[103:104], v[103:104], v[105:106], v[103:104]
	v_div_scale_f64 v[105:106], vcc, v[99:100], v[97:98], v[99:100]
	v_fma_f64 v[107:108], -v[101:102], v[103:104], 1.0
	v_fma_f64 v[103:104], v[103:104], v[107:108], v[103:104]
	v_mul_f64 v[107:108], v[105:106], v[103:104]
	v_fma_f64 v[101:102], -v[101:102], v[107:108], v[105:106]
	v_div_fmas_f64 v[101:102], v[101:102], v[103:104], v[107:108]
	v_div_fixup_f64 v[103:104], v[101:102], v[97:98], v[99:100]
	v_fma_f64 v[97:98], v[99:100], v[103:104], v[97:98]
	v_div_scale_f64 v[99:100], s[6:7], v[97:98], v[97:98], 1.0
	v_div_scale_f64 v[107:108], vcc, 1.0, v[97:98], 1.0
	v_rcp_f64_e32 v[101:102], v[99:100]
	v_fma_f64 v[105:106], -v[99:100], v[101:102], 1.0
	v_fma_f64 v[101:102], v[101:102], v[105:106], v[101:102]
	v_fma_f64 v[105:106], -v[99:100], v[101:102], 1.0
	v_fma_f64 v[101:102], v[101:102], v[105:106], v[101:102]
	v_mul_f64 v[105:106], v[107:108], v[101:102]
	v_fma_f64 v[99:100], -v[99:100], v[105:106], v[107:108]
	v_div_fmas_f64 v[99:100], v[99:100], v[101:102], v[105:106]
	v_div_fixup_f64 v[101:102], v[99:100], v[97:98], 1.0
	v_mul_f64 v[103:104], v[103:104], -v[101:102]
.LBB91_268:
	s_or_b64 exec, exec, s[2:3]
	ds_write2_b64 v127, v[101:102], v[103:104] offset1:1
.LBB91_269:
	s_or_b64 exec, exec, s[4:5]
	s_waitcnt lgkmcnt(0)
	s_barrier
	ds_read2_b64 v[69:72], v127 offset1:1
	v_cmp_lt_u32_e32 vcc, 29, v0
	s_waitcnt lgkmcnt(0)
	buffer_store_dword v69, off, s[20:23], 0 offset:1192 ; 4-byte Folded Spill
	s_nop 0
	buffer_store_dword v70, off, s[20:23], 0 offset:1196 ; 4-byte Folded Spill
	buffer_store_dword v71, off, s[20:23], 0 offset:1200 ; 4-byte Folded Spill
	;; [unrolled: 1-line block ×3, first 2 shown]
	s_and_saveexec_b64 s[2:3], vcc
	s_cbranch_execz .LBB91_271
; %bb.270:
	buffer_load_dword v69, off, s[20:23], 0 offset:1192 ; 4-byte Folded Reload
	buffer_load_dword v70, off, s[20:23], 0 offset:1196 ; 4-byte Folded Reload
	;; [unrolled: 1-line block ×4, first 2 shown]
	ds_read2_b64 v[99:102], v125 offset0:60 offset1:61
	s_waitcnt vmcnt(2)
	v_mul_f64 v[97:98], v[69:70], v[63:64]
	s_waitcnt vmcnt(0)
	v_mul_f64 v[63:64], v[71:72], v[63:64]
	v_fma_f64 v[97:98], v[71:72], v[61:62], v[97:98]
	v_fma_f64 v[61:62], v[69:70], v[61:62], -v[63:64]
	s_waitcnt lgkmcnt(0)
	v_mul_f64 v[63:64], v[101:102], v[97:98]
	v_fma_f64 v[63:64], v[99:100], v[61:62], -v[63:64]
	v_mul_f64 v[99:100], v[99:100], v[97:98]
	v_add_f64 v[57:58], v[57:58], -v[63:64]
	v_fma_f64 v[99:100], v[101:102], v[61:62], v[99:100]
	v_add_f64 v[59:60], v[59:60], -v[99:100]
	ds_read2_b64 v[99:102], v125 offset0:62 offset1:63
	s_waitcnt lgkmcnt(0)
	v_mul_f64 v[63:64], v[101:102], v[97:98]
	v_fma_f64 v[63:64], v[99:100], v[61:62], -v[63:64]
	v_mul_f64 v[99:100], v[99:100], v[97:98]
	v_add_f64 v[53:54], v[53:54], -v[63:64]
	v_fma_f64 v[99:100], v[101:102], v[61:62], v[99:100]
	v_add_f64 v[55:56], v[55:56], -v[99:100]
	ds_read2_b64 v[99:102], v125 offset0:64 offset1:65
	;; [unrolled: 8-line block ×15, first 2 shown]
	s_waitcnt lgkmcnt(0)
	v_mul_f64 v[63:64], v[101:102], v[97:98]
	v_fma_f64 v[63:64], v[99:100], v[61:62], -v[63:64]
	v_mul_f64 v[99:100], v[99:100], v[97:98]
	v_add_f64 v[73:74], v[73:74], -v[63:64]
	v_fma_f64 v[99:100], v[101:102], v[61:62], v[99:100]
	v_mov_b32_e32 v63, v97
	v_mov_b32_e32 v64, v98
	v_add_f64 v[75:76], v[75:76], -v[99:100]
.LBB91_271:
	s_or_b64 exec, exec, s[2:3]
	v_cmp_eq_u32_e32 vcc, 30, v0
	s_waitcnt vmcnt(0)
	s_barrier
	s_and_saveexec_b64 s[4:5], vcc
	s_cbranch_execz .LBB91_278
; %bb.272:
	ds_write2_b64 v127, v[57:58], v[59:60] offset1:1
	ds_write2_b64 v125, v[53:54], v[55:56] offset0:62 offset1:63
	ds_write2_b64 v125, v[49:50], v[51:52] offset0:64 offset1:65
	;; [unrolled: 1-line block ×15, first 2 shown]
	ds_read2_b64 v[97:100], v127 offset1:1
	s_waitcnt lgkmcnt(0)
	v_cmp_neq_f64_e32 vcc, 0, v[97:98]
	v_cmp_neq_f64_e64 s[2:3], 0, v[99:100]
	s_or_b64 s[2:3], vcc, s[2:3]
	s_and_b64 exec, exec, s[2:3]
	s_cbranch_execz .LBB91_278
; %bb.273:
	v_cmp_ngt_f64_e64 s[2:3], |v[97:98]|, |v[99:100]|
                                        ; implicit-def: $vgpr101_vgpr102
	s_and_saveexec_b64 s[6:7], s[2:3]
	s_xor_b64 s[2:3], exec, s[6:7]
                                        ; implicit-def: $vgpr103_vgpr104
	s_cbranch_execz .LBB91_275
; %bb.274:
	v_div_scale_f64 v[101:102], s[6:7], v[99:100], v[99:100], v[97:98]
	v_rcp_f64_e32 v[103:104], v[101:102]
	v_fma_f64 v[105:106], -v[101:102], v[103:104], 1.0
	v_fma_f64 v[103:104], v[103:104], v[105:106], v[103:104]
	v_div_scale_f64 v[105:106], vcc, v[97:98], v[99:100], v[97:98]
	v_fma_f64 v[107:108], -v[101:102], v[103:104], 1.0
	v_fma_f64 v[103:104], v[103:104], v[107:108], v[103:104]
	v_mul_f64 v[107:108], v[105:106], v[103:104]
	v_fma_f64 v[101:102], -v[101:102], v[107:108], v[105:106]
	v_div_fmas_f64 v[101:102], v[101:102], v[103:104], v[107:108]
	v_div_fixup_f64 v[101:102], v[101:102], v[99:100], v[97:98]
	v_fma_f64 v[97:98], v[97:98], v[101:102], v[99:100]
	v_div_scale_f64 v[99:100], s[6:7], v[97:98], v[97:98], 1.0
	v_div_scale_f64 v[107:108], vcc, 1.0, v[97:98], 1.0
	v_rcp_f64_e32 v[103:104], v[99:100]
	v_fma_f64 v[105:106], -v[99:100], v[103:104], 1.0
	v_fma_f64 v[103:104], v[103:104], v[105:106], v[103:104]
	v_fma_f64 v[105:106], -v[99:100], v[103:104], 1.0
	v_fma_f64 v[103:104], v[103:104], v[105:106], v[103:104]
	v_mul_f64 v[105:106], v[107:108], v[103:104]
	v_fma_f64 v[99:100], -v[99:100], v[105:106], v[107:108]
	v_div_fmas_f64 v[99:100], v[99:100], v[103:104], v[105:106]
	v_div_fixup_f64 v[103:104], v[99:100], v[97:98], 1.0
                                        ; implicit-def: $vgpr97_vgpr98
	v_mul_f64 v[101:102], v[101:102], v[103:104]
	v_xor_b32_e32 v104, 0x80000000, v104
.LBB91_275:
	s_andn2_saveexec_b64 s[2:3], s[2:3]
	s_cbranch_execz .LBB91_277
; %bb.276:
	v_div_scale_f64 v[101:102], s[6:7], v[97:98], v[97:98], v[99:100]
	v_rcp_f64_e32 v[103:104], v[101:102]
	v_fma_f64 v[105:106], -v[101:102], v[103:104], 1.0
	v_fma_f64 v[103:104], v[103:104], v[105:106], v[103:104]
	v_div_scale_f64 v[105:106], vcc, v[99:100], v[97:98], v[99:100]
	v_fma_f64 v[107:108], -v[101:102], v[103:104], 1.0
	v_fma_f64 v[103:104], v[103:104], v[107:108], v[103:104]
	v_mul_f64 v[107:108], v[105:106], v[103:104]
	v_fma_f64 v[101:102], -v[101:102], v[107:108], v[105:106]
	v_div_fmas_f64 v[101:102], v[101:102], v[103:104], v[107:108]
	v_div_fixup_f64 v[103:104], v[101:102], v[97:98], v[99:100]
	v_fma_f64 v[97:98], v[99:100], v[103:104], v[97:98]
	v_div_scale_f64 v[99:100], s[6:7], v[97:98], v[97:98], 1.0
	v_div_scale_f64 v[107:108], vcc, 1.0, v[97:98], 1.0
	v_rcp_f64_e32 v[101:102], v[99:100]
	v_fma_f64 v[105:106], -v[99:100], v[101:102], 1.0
	v_fma_f64 v[101:102], v[101:102], v[105:106], v[101:102]
	v_fma_f64 v[105:106], -v[99:100], v[101:102], 1.0
	v_fma_f64 v[101:102], v[101:102], v[105:106], v[101:102]
	v_mul_f64 v[105:106], v[107:108], v[101:102]
	v_fma_f64 v[99:100], -v[99:100], v[105:106], v[107:108]
	v_div_fmas_f64 v[99:100], v[99:100], v[101:102], v[105:106]
	v_div_fixup_f64 v[101:102], v[99:100], v[97:98], 1.0
	v_mul_f64 v[103:104], v[103:104], -v[101:102]
.LBB91_277:
	s_or_b64 exec, exec, s[2:3]
	ds_write2_b64 v127, v[101:102], v[103:104] offset1:1
.LBB91_278:
	s_or_b64 exec, exec, s[4:5]
	s_waitcnt lgkmcnt(0)
	s_barrier
	ds_read2_b64 v[69:72], v127 offset1:1
	v_cmp_lt_u32_e32 vcc, 30, v0
	s_waitcnt lgkmcnt(0)
	buffer_store_dword v69, off, s[20:23], 0 offset:1208 ; 4-byte Folded Spill
	s_nop 0
	buffer_store_dword v70, off, s[20:23], 0 offset:1212 ; 4-byte Folded Spill
	buffer_store_dword v71, off, s[20:23], 0 offset:1216 ; 4-byte Folded Spill
	;; [unrolled: 1-line block ×3, first 2 shown]
	s_and_saveexec_b64 s[2:3], vcc
	s_cbranch_execz .LBB91_280
; %bb.279:
	buffer_load_dword v69, off, s[20:23], 0 offset:1208 ; 4-byte Folded Reload
	buffer_load_dword v70, off, s[20:23], 0 offset:1212 ; 4-byte Folded Reload
	;; [unrolled: 1-line block ×4, first 2 shown]
	ds_read2_b64 v[99:102], v125 offset0:62 offset1:63
	s_waitcnt vmcnt(2)
	v_mul_f64 v[97:98], v[69:70], v[59:60]
	s_waitcnt vmcnt(0)
	v_mul_f64 v[59:60], v[71:72], v[59:60]
	v_fma_f64 v[97:98], v[71:72], v[57:58], v[97:98]
	v_fma_f64 v[57:58], v[69:70], v[57:58], -v[59:60]
	s_waitcnt lgkmcnt(0)
	v_mul_f64 v[59:60], v[101:102], v[97:98]
	v_fma_f64 v[59:60], v[99:100], v[57:58], -v[59:60]
	v_mul_f64 v[99:100], v[99:100], v[97:98]
	v_add_f64 v[53:54], v[53:54], -v[59:60]
	v_fma_f64 v[99:100], v[101:102], v[57:58], v[99:100]
	v_add_f64 v[55:56], v[55:56], -v[99:100]
	ds_read2_b64 v[99:102], v125 offset0:64 offset1:65
	s_waitcnt lgkmcnt(0)
	v_mul_f64 v[59:60], v[101:102], v[97:98]
	v_fma_f64 v[59:60], v[99:100], v[57:58], -v[59:60]
	v_mul_f64 v[99:100], v[99:100], v[97:98]
	v_add_f64 v[49:50], v[49:50], -v[59:60]
	v_fma_f64 v[99:100], v[101:102], v[57:58], v[99:100]
	v_add_f64 v[51:52], v[51:52], -v[99:100]
	ds_read2_b64 v[99:102], v125 offset0:66 offset1:67
	;; [unrolled: 8-line block ×14, first 2 shown]
	s_waitcnt lgkmcnt(0)
	v_mul_f64 v[59:60], v[101:102], v[97:98]
	v_fma_f64 v[59:60], v[99:100], v[57:58], -v[59:60]
	v_mul_f64 v[99:100], v[99:100], v[97:98]
	v_add_f64 v[73:74], v[73:74], -v[59:60]
	v_fma_f64 v[99:100], v[101:102], v[57:58], v[99:100]
	v_mov_b32_e32 v59, v97
	v_mov_b32_e32 v60, v98
	v_add_f64 v[75:76], v[75:76], -v[99:100]
.LBB91_280:
	s_or_b64 exec, exec, s[2:3]
	v_cmp_eq_u32_e32 vcc, 31, v0
	s_waitcnt vmcnt(0)
	s_barrier
	s_and_saveexec_b64 s[4:5], vcc
	s_cbranch_execz .LBB91_287
; %bb.281:
	ds_write2_b64 v127, v[53:54], v[55:56] offset1:1
	ds_write2_b64 v125, v[49:50], v[51:52] offset0:64 offset1:65
	ds_write2_b64 v125, v[45:46], v[47:48] offset0:66 offset1:67
	;; [unrolled: 1-line block ×14, first 2 shown]
	ds_read2_b64 v[97:100], v127 offset1:1
	s_waitcnt lgkmcnt(0)
	v_cmp_neq_f64_e32 vcc, 0, v[97:98]
	v_cmp_neq_f64_e64 s[2:3], 0, v[99:100]
	s_or_b64 s[2:3], vcc, s[2:3]
	s_and_b64 exec, exec, s[2:3]
	s_cbranch_execz .LBB91_287
; %bb.282:
	v_cmp_ngt_f64_e64 s[2:3], |v[97:98]|, |v[99:100]|
                                        ; implicit-def: $vgpr101_vgpr102
	s_and_saveexec_b64 s[6:7], s[2:3]
	s_xor_b64 s[2:3], exec, s[6:7]
                                        ; implicit-def: $vgpr103_vgpr104
	s_cbranch_execz .LBB91_284
; %bb.283:
	v_div_scale_f64 v[101:102], s[6:7], v[99:100], v[99:100], v[97:98]
	v_rcp_f64_e32 v[103:104], v[101:102]
	v_fma_f64 v[105:106], -v[101:102], v[103:104], 1.0
	v_fma_f64 v[103:104], v[103:104], v[105:106], v[103:104]
	v_div_scale_f64 v[105:106], vcc, v[97:98], v[99:100], v[97:98]
	v_fma_f64 v[107:108], -v[101:102], v[103:104], 1.0
	v_fma_f64 v[103:104], v[103:104], v[107:108], v[103:104]
	v_mul_f64 v[107:108], v[105:106], v[103:104]
	v_fma_f64 v[101:102], -v[101:102], v[107:108], v[105:106]
	v_div_fmas_f64 v[101:102], v[101:102], v[103:104], v[107:108]
	v_div_fixup_f64 v[101:102], v[101:102], v[99:100], v[97:98]
	v_fma_f64 v[97:98], v[97:98], v[101:102], v[99:100]
	v_div_scale_f64 v[99:100], s[6:7], v[97:98], v[97:98], 1.0
	v_div_scale_f64 v[107:108], vcc, 1.0, v[97:98], 1.0
	v_rcp_f64_e32 v[103:104], v[99:100]
	v_fma_f64 v[105:106], -v[99:100], v[103:104], 1.0
	v_fma_f64 v[103:104], v[103:104], v[105:106], v[103:104]
	v_fma_f64 v[105:106], -v[99:100], v[103:104], 1.0
	v_fma_f64 v[103:104], v[103:104], v[105:106], v[103:104]
	v_mul_f64 v[105:106], v[107:108], v[103:104]
	v_fma_f64 v[99:100], -v[99:100], v[105:106], v[107:108]
	v_div_fmas_f64 v[99:100], v[99:100], v[103:104], v[105:106]
	v_div_fixup_f64 v[103:104], v[99:100], v[97:98], 1.0
                                        ; implicit-def: $vgpr97_vgpr98
	v_mul_f64 v[101:102], v[101:102], v[103:104]
	v_xor_b32_e32 v104, 0x80000000, v104
.LBB91_284:
	s_andn2_saveexec_b64 s[2:3], s[2:3]
	s_cbranch_execz .LBB91_286
; %bb.285:
	v_div_scale_f64 v[101:102], s[6:7], v[97:98], v[97:98], v[99:100]
	v_rcp_f64_e32 v[103:104], v[101:102]
	v_fma_f64 v[105:106], -v[101:102], v[103:104], 1.0
	v_fma_f64 v[103:104], v[103:104], v[105:106], v[103:104]
	v_div_scale_f64 v[105:106], vcc, v[99:100], v[97:98], v[99:100]
	v_fma_f64 v[107:108], -v[101:102], v[103:104], 1.0
	v_fma_f64 v[103:104], v[103:104], v[107:108], v[103:104]
	v_mul_f64 v[107:108], v[105:106], v[103:104]
	v_fma_f64 v[101:102], -v[101:102], v[107:108], v[105:106]
	v_div_fmas_f64 v[101:102], v[101:102], v[103:104], v[107:108]
	v_div_fixup_f64 v[103:104], v[101:102], v[97:98], v[99:100]
	v_fma_f64 v[97:98], v[99:100], v[103:104], v[97:98]
	v_div_scale_f64 v[99:100], s[6:7], v[97:98], v[97:98], 1.0
	v_div_scale_f64 v[107:108], vcc, 1.0, v[97:98], 1.0
	v_rcp_f64_e32 v[101:102], v[99:100]
	v_fma_f64 v[105:106], -v[99:100], v[101:102], 1.0
	v_fma_f64 v[101:102], v[101:102], v[105:106], v[101:102]
	v_fma_f64 v[105:106], -v[99:100], v[101:102], 1.0
	v_fma_f64 v[101:102], v[101:102], v[105:106], v[101:102]
	v_mul_f64 v[105:106], v[107:108], v[101:102]
	v_fma_f64 v[99:100], -v[99:100], v[105:106], v[107:108]
	v_div_fmas_f64 v[99:100], v[99:100], v[101:102], v[105:106]
	v_div_fixup_f64 v[101:102], v[99:100], v[97:98], 1.0
	v_mul_f64 v[103:104], v[103:104], -v[101:102]
.LBB91_286:
	s_or_b64 exec, exec, s[2:3]
	ds_write2_b64 v127, v[101:102], v[103:104] offset1:1
.LBB91_287:
	s_or_b64 exec, exec, s[4:5]
	s_waitcnt lgkmcnt(0)
	s_barrier
	ds_read2_b64 v[69:72], v127 offset1:1
	v_cmp_lt_u32_e32 vcc, 31, v0
	s_waitcnt lgkmcnt(0)
	buffer_store_dword v69, off, s[20:23], 0 offset:1224 ; 4-byte Folded Spill
	s_nop 0
	buffer_store_dword v70, off, s[20:23], 0 offset:1228 ; 4-byte Folded Spill
	buffer_store_dword v71, off, s[20:23], 0 offset:1232 ; 4-byte Folded Spill
	;; [unrolled: 1-line block ×3, first 2 shown]
	s_and_saveexec_b64 s[2:3], vcc
	s_cbranch_execz .LBB91_289
; %bb.288:
	buffer_load_dword v69, off, s[20:23], 0 offset:1224 ; 4-byte Folded Reload
	buffer_load_dword v70, off, s[20:23], 0 offset:1228 ; 4-byte Folded Reload
	buffer_load_dword v71, off, s[20:23], 0 offset:1232 ; 4-byte Folded Reload
	buffer_load_dword v72, off, s[20:23], 0 offset:1236 ; 4-byte Folded Reload
	ds_read2_b64 v[99:102], v125 offset0:64 offset1:65
	s_waitcnt vmcnt(2)
	v_mul_f64 v[97:98], v[69:70], v[55:56]
	s_waitcnt vmcnt(0)
	v_mul_f64 v[55:56], v[71:72], v[55:56]
	v_fma_f64 v[97:98], v[71:72], v[53:54], v[97:98]
	v_fma_f64 v[53:54], v[69:70], v[53:54], -v[55:56]
	s_waitcnt lgkmcnt(0)
	v_mul_f64 v[55:56], v[101:102], v[97:98]
	v_fma_f64 v[55:56], v[99:100], v[53:54], -v[55:56]
	v_mul_f64 v[99:100], v[99:100], v[97:98]
	v_add_f64 v[49:50], v[49:50], -v[55:56]
	v_fma_f64 v[99:100], v[101:102], v[53:54], v[99:100]
	v_add_f64 v[51:52], v[51:52], -v[99:100]
	ds_read2_b64 v[99:102], v125 offset0:66 offset1:67
	s_waitcnt lgkmcnt(0)
	v_mul_f64 v[55:56], v[101:102], v[97:98]
	v_fma_f64 v[55:56], v[99:100], v[53:54], -v[55:56]
	v_mul_f64 v[99:100], v[99:100], v[97:98]
	v_add_f64 v[45:46], v[45:46], -v[55:56]
	v_fma_f64 v[99:100], v[101:102], v[53:54], v[99:100]
	v_add_f64 v[47:48], v[47:48], -v[99:100]
	ds_read2_b64 v[99:102], v125 offset0:68 offset1:69
	;; [unrolled: 8-line block ×13, first 2 shown]
	s_waitcnt lgkmcnt(0)
	v_mul_f64 v[55:56], v[101:102], v[97:98]
	v_fma_f64 v[55:56], v[99:100], v[53:54], -v[55:56]
	v_mul_f64 v[99:100], v[99:100], v[97:98]
	v_add_f64 v[73:74], v[73:74], -v[55:56]
	v_fma_f64 v[99:100], v[101:102], v[53:54], v[99:100]
	v_mov_b32_e32 v55, v97
	v_mov_b32_e32 v56, v98
	v_add_f64 v[75:76], v[75:76], -v[99:100]
.LBB91_289:
	s_or_b64 exec, exec, s[2:3]
	v_cmp_eq_u32_e32 vcc, 32, v0
	s_waitcnt vmcnt(0)
	s_barrier
	s_and_saveexec_b64 s[4:5], vcc
	s_cbranch_execz .LBB91_296
; %bb.290:
	ds_write2_b64 v127, v[49:50], v[51:52] offset1:1
	ds_write2_b64 v125, v[45:46], v[47:48] offset0:66 offset1:67
	ds_write2_b64 v125, v[41:42], v[43:44] offset0:68 offset1:69
	;; [unrolled: 1-line block ×13, first 2 shown]
	ds_read2_b64 v[97:100], v127 offset1:1
	s_waitcnt lgkmcnt(0)
	v_cmp_neq_f64_e32 vcc, 0, v[97:98]
	v_cmp_neq_f64_e64 s[2:3], 0, v[99:100]
	s_or_b64 s[2:3], vcc, s[2:3]
	s_and_b64 exec, exec, s[2:3]
	s_cbranch_execz .LBB91_296
; %bb.291:
	v_cmp_ngt_f64_e64 s[2:3], |v[97:98]|, |v[99:100]|
                                        ; implicit-def: $vgpr101_vgpr102
	s_and_saveexec_b64 s[6:7], s[2:3]
	s_xor_b64 s[2:3], exec, s[6:7]
                                        ; implicit-def: $vgpr103_vgpr104
	s_cbranch_execz .LBB91_293
; %bb.292:
	v_div_scale_f64 v[101:102], s[6:7], v[99:100], v[99:100], v[97:98]
	v_rcp_f64_e32 v[103:104], v[101:102]
	v_fma_f64 v[105:106], -v[101:102], v[103:104], 1.0
	v_fma_f64 v[103:104], v[103:104], v[105:106], v[103:104]
	v_div_scale_f64 v[105:106], vcc, v[97:98], v[99:100], v[97:98]
	v_fma_f64 v[107:108], -v[101:102], v[103:104], 1.0
	v_fma_f64 v[103:104], v[103:104], v[107:108], v[103:104]
	v_mul_f64 v[107:108], v[105:106], v[103:104]
	v_fma_f64 v[101:102], -v[101:102], v[107:108], v[105:106]
	v_div_fmas_f64 v[101:102], v[101:102], v[103:104], v[107:108]
	v_div_fixup_f64 v[101:102], v[101:102], v[99:100], v[97:98]
	v_fma_f64 v[97:98], v[97:98], v[101:102], v[99:100]
	v_div_scale_f64 v[99:100], s[6:7], v[97:98], v[97:98], 1.0
	v_div_scale_f64 v[107:108], vcc, 1.0, v[97:98], 1.0
	v_rcp_f64_e32 v[103:104], v[99:100]
	v_fma_f64 v[105:106], -v[99:100], v[103:104], 1.0
	v_fma_f64 v[103:104], v[103:104], v[105:106], v[103:104]
	v_fma_f64 v[105:106], -v[99:100], v[103:104], 1.0
	v_fma_f64 v[103:104], v[103:104], v[105:106], v[103:104]
	v_mul_f64 v[105:106], v[107:108], v[103:104]
	v_fma_f64 v[99:100], -v[99:100], v[105:106], v[107:108]
	v_div_fmas_f64 v[99:100], v[99:100], v[103:104], v[105:106]
	v_div_fixup_f64 v[103:104], v[99:100], v[97:98], 1.0
                                        ; implicit-def: $vgpr97_vgpr98
	v_mul_f64 v[101:102], v[101:102], v[103:104]
	v_xor_b32_e32 v104, 0x80000000, v104
.LBB91_293:
	s_andn2_saveexec_b64 s[2:3], s[2:3]
	s_cbranch_execz .LBB91_295
; %bb.294:
	v_div_scale_f64 v[101:102], s[6:7], v[97:98], v[97:98], v[99:100]
	v_rcp_f64_e32 v[103:104], v[101:102]
	v_fma_f64 v[105:106], -v[101:102], v[103:104], 1.0
	v_fma_f64 v[103:104], v[103:104], v[105:106], v[103:104]
	v_div_scale_f64 v[105:106], vcc, v[99:100], v[97:98], v[99:100]
	v_fma_f64 v[107:108], -v[101:102], v[103:104], 1.0
	v_fma_f64 v[103:104], v[103:104], v[107:108], v[103:104]
	v_mul_f64 v[107:108], v[105:106], v[103:104]
	v_fma_f64 v[101:102], -v[101:102], v[107:108], v[105:106]
	v_div_fmas_f64 v[101:102], v[101:102], v[103:104], v[107:108]
	v_div_fixup_f64 v[103:104], v[101:102], v[97:98], v[99:100]
	v_fma_f64 v[97:98], v[99:100], v[103:104], v[97:98]
	v_div_scale_f64 v[99:100], s[6:7], v[97:98], v[97:98], 1.0
	v_div_scale_f64 v[107:108], vcc, 1.0, v[97:98], 1.0
	v_rcp_f64_e32 v[101:102], v[99:100]
	v_fma_f64 v[105:106], -v[99:100], v[101:102], 1.0
	v_fma_f64 v[101:102], v[101:102], v[105:106], v[101:102]
	v_fma_f64 v[105:106], -v[99:100], v[101:102], 1.0
	v_fma_f64 v[101:102], v[101:102], v[105:106], v[101:102]
	v_mul_f64 v[105:106], v[107:108], v[101:102]
	v_fma_f64 v[99:100], -v[99:100], v[105:106], v[107:108]
	v_div_fmas_f64 v[99:100], v[99:100], v[101:102], v[105:106]
	v_div_fixup_f64 v[101:102], v[99:100], v[97:98], 1.0
	v_mul_f64 v[103:104], v[103:104], -v[101:102]
.LBB91_295:
	s_or_b64 exec, exec, s[2:3]
	ds_write2_b64 v127, v[101:102], v[103:104] offset1:1
.LBB91_296:
	s_or_b64 exec, exec, s[4:5]
	s_waitcnt lgkmcnt(0)
	s_barrier
	ds_read2_b64 v[69:72], v127 offset1:1
	v_cmp_lt_u32_e32 vcc, 32, v0
	s_waitcnt lgkmcnt(0)
	buffer_store_dword v69, off, s[20:23], 0 offset:1240 ; 4-byte Folded Spill
	s_nop 0
	buffer_store_dword v70, off, s[20:23], 0 offset:1244 ; 4-byte Folded Spill
	buffer_store_dword v71, off, s[20:23], 0 offset:1248 ; 4-byte Folded Spill
	;; [unrolled: 1-line block ×3, first 2 shown]
	s_and_saveexec_b64 s[2:3], vcc
	s_cbranch_execz .LBB91_298
; %bb.297:
	buffer_load_dword v69, off, s[20:23], 0 offset:1240 ; 4-byte Folded Reload
	buffer_load_dword v70, off, s[20:23], 0 offset:1244 ; 4-byte Folded Reload
	;; [unrolled: 1-line block ×4, first 2 shown]
	ds_read2_b64 v[99:102], v125 offset0:66 offset1:67
	s_waitcnt vmcnt(2)
	v_mul_f64 v[97:98], v[69:70], v[51:52]
	s_waitcnt vmcnt(0)
	v_mul_f64 v[51:52], v[71:72], v[51:52]
	v_fma_f64 v[97:98], v[71:72], v[49:50], v[97:98]
	v_fma_f64 v[49:50], v[69:70], v[49:50], -v[51:52]
	s_waitcnt lgkmcnt(0)
	v_mul_f64 v[51:52], v[101:102], v[97:98]
	v_fma_f64 v[51:52], v[99:100], v[49:50], -v[51:52]
	v_mul_f64 v[99:100], v[99:100], v[97:98]
	v_add_f64 v[45:46], v[45:46], -v[51:52]
	v_fma_f64 v[99:100], v[101:102], v[49:50], v[99:100]
	v_add_f64 v[47:48], v[47:48], -v[99:100]
	ds_read2_b64 v[99:102], v125 offset0:68 offset1:69
	s_waitcnt lgkmcnt(0)
	v_mul_f64 v[51:52], v[101:102], v[97:98]
	v_fma_f64 v[51:52], v[99:100], v[49:50], -v[51:52]
	v_mul_f64 v[99:100], v[99:100], v[97:98]
	v_add_f64 v[41:42], v[41:42], -v[51:52]
	v_fma_f64 v[99:100], v[101:102], v[49:50], v[99:100]
	v_add_f64 v[43:44], v[43:44], -v[99:100]
	ds_read2_b64 v[99:102], v125 offset0:70 offset1:71
	;; [unrolled: 8-line block ×12, first 2 shown]
	s_waitcnt lgkmcnt(0)
	v_mul_f64 v[51:52], v[101:102], v[97:98]
	v_fma_f64 v[51:52], v[99:100], v[49:50], -v[51:52]
	v_mul_f64 v[99:100], v[99:100], v[97:98]
	v_add_f64 v[73:74], v[73:74], -v[51:52]
	v_fma_f64 v[99:100], v[101:102], v[49:50], v[99:100]
	v_mov_b32_e32 v51, v97
	v_mov_b32_e32 v52, v98
	v_add_f64 v[75:76], v[75:76], -v[99:100]
.LBB91_298:
	s_or_b64 exec, exec, s[2:3]
	v_cmp_eq_u32_e32 vcc, 33, v0
	s_waitcnt vmcnt(0)
	s_barrier
	s_and_saveexec_b64 s[4:5], vcc
	s_cbranch_execz .LBB91_305
; %bb.299:
	ds_write2_b64 v127, v[45:46], v[47:48] offset1:1
	ds_write2_b64 v125, v[41:42], v[43:44] offset0:68 offset1:69
	ds_write2_b64 v125, v[37:38], v[39:40] offset0:70 offset1:71
	ds_write2_b64 v125, v[33:34], v[35:36] offset0:72 offset1:73
	ds_write2_b64 v125, v[29:30], v[31:32] offset0:74 offset1:75
	ds_write2_b64 v125, v[25:26], v[27:28] offset0:76 offset1:77
	ds_write2_b64 v125, v[21:22], v[23:24] offset0:78 offset1:79
	ds_write2_b64 v125, v[17:18], v[19:20] offset0:80 offset1:81
	ds_write2_b64 v125, v[13:14], v[15:16] offset0:82 offset1:83
	ds_write2_b64 v125, v[9:10], v[11:12] offset0:84 offset1:85
	ds_write2_b64 v125, v[5:6], v[7:8] offset0:86 offset1:87
	ds_write2_b64 v125, v[1:2], v[3:4] offset0:88 offset1:89
	ds_write2_b64 v125, v[73:74], v[75:76] offset0:90 offset1:91
	ds_read2_b64 v[97:100], v127 offset1:1
	s_waitcnt lgkmcnt(0)
	v_cmp_neq_f64_e32 vcc, 0, v[97:98]
	v_cmp_neq_f64_e64 s[2:3], 0, v[99:100]
	s_or_b64 s[2:3], vcc, s[2:3]
	s_and_b64 exec, exec, s[2:3]
	s_cbranch_execz .LBB91_305
; %bb.300:
	v_cmp_ngt_f64_e64 s[2:3], |v[97:98]|, |v[99:100]|
                                        ; implicit-def: $vgpr101_vgpr102
	s_and_saveexec_b64 s[6:7], s[2:3]
	s_xor_b64 s[2:3], exec, s[6:7]
                                        ; implicit-def: $vgpr103_vgpr104
	s_cbranch_execz .LBB91_302
; %bb.301:
	v_div_scale_f64 v[101:102], s[6:7], v[99:100], v[99:100], v[97:98]
	v_rcp_f64_e32 v[103:104], v[101:102]
	v_fma_f64 v[105:106], -v[101:102], v[103:104], 1.0
	v_fma_f64 v[103:104], v[103:104], v[105:106], v[103:104]
	v_div_scale_f64 v[105:106], vcc, v[97:98], v[99:100], v[97:98]
	v_fma_f64 v[107:108], -v[101:102], v[103:104], 1.0
	v_fma_f64 v[103:104], v[103:104], v[107:108], v[103:104]
	v_mul_f64 v[107:108], v[105:106], v[103:104]
	v_fma_f64 v[101:102], -v[101:102], v[107:108], v[105:106]
	v_div_fmas_f64 v[101:102], v[101:102], v[103:104], v[107:108]
	v_div_fixup_f64 v[101:102], v[101:102], v[99:100], v[97:98]
	v_fma_f64 v[97:98], v[97:98], v[101:102], v[99:100]
	v_div_scale_f64 v[99:100], s[6:7], v[97:98], v[97:98], 1.0
	v_div_scale_f64 v[107:108], vcc, 1.0, v[97:98], 1.0
	v_rcp_f64_e32 v[103:104], v[99:100]
	v_fma_f64 v[105:106], -v[99:100], v[103:104], 1.0
	v_fma_f64 v[103:104], v[103:104], v[105:106], v[103:104]
	v_fma_f64 v[105:106], -v[99:100], v[103:104], 1.0
	v_fma_f64 v[103:104], v[103:104], v[105:106], v[103:104]
	v_mul_f64 v[105:106], v[107:108], v[103:104]
	v_fma_f64 v[99:100], -v[99:100], v[105:106], v[107:108]
	v_div_fmas_f64 v[99:100], v[99:100], v[103:104], v[105:106]
	v_div_fixup_f64 v[103:104], v[99:100], v[97:98], 1.0
                                        ; implicit-def: $vgpr97_vgpr98
	v_mul_f64 v[101:102], v[101:102], v[103:104]
	v_xor_b32_e32 v104, 0x80000000, v104
.LBB91_302:
	s_andn2_saveexec_b64 s[2:3], s[2:3]
	s_cbranch_execz .LBB91_304
; %bb.303:
	v_div_scale_f64 v[101:102], s[6:7], v[97:98], v[97:98], v[99:100]
	v_rcp_f64_e32 v[103:104], v[101:102]
	v_fma_f64 v[105:106], -v[101:102], v[103:104], 1.0
	v_fma_f64 v[103:104], v[103:104], v[105:106], v[103:104]
	v_div_scale_f64 v[105:106], vcc, v[99:100], v[97:98], v[99:100]
	v_fma_f64 v[107:108], -v[101:102], v[103:104], 1.0
	v_fma_f64 v[103:104], v[103:104], v[107:108], v[103:104]
	v_mul_f64 v[107:108], v[105:106], v[103:104]
	v_fma_f64 v[101:102], -v[101:102], v[107:108], v[105:106]
	v_div_fmas_f64 v[101:102], v[101:102], v[103:104], v[107:108]
	v_div_fixup_f64 v[103:104], v[101:102], v[97:98], v[99:100]
	v_fma_f64 v[97:98], v[99:100], v[103:104], v[97:98]
	v_div_scale_f64 v[99:100], s[6:7], v[97:98], v[97:98], 1.0
	v_div_scale_f64 v[107:108], vcc, 1.0, v[97:98], 1.0
	v_rcp_f64_e32 v[101:102], v[99:100]
	v_fma_f64 v[105:106], -v[99:100], v[101:102], 1.0
	v_fma_f64 v[101:102], v[101:102], v[105:106], v[101:102]
	v_fma_f64 v[105:106], -v[99:100], v[101:102], 1.0
	v_fma_f64 v[101:102], v[101:102], v[105:106], v[101:102]
	v_mul_f64 v[105:106], v[107:108], v[101:102]
	v_fma_f64 v[99:100], -v[99:100], v[105:106], v[107:108]
	v_div_fmas_f64 v[99:100], v[99:100], v[101:102], v[105:106]
	v_div_fixup_f64 v[101:102], v[99:100], v[97:98], 1.0
	v_mul_f64 v[103:104], v[103:104], -v[101:102]
.LBB91_304:
	s_or_b64 exec, exec, s[2:3]
	ds_write2_b64 v127, v[101:102], v[103:104] offset1:1
.LBB91_305:
	s_or_b64 exec, exec, s[4:5]
	s_waitcnt lgkmcnt(0)
	s_barrier
	ds_read2_b64 v[69:72], v127 offset1:1
	v_cmp_lt_u32_e32 vcc, 33, v0
	s_waitcnt lgkmcnt(0)
	buffer_store_dword v69, off, s[20:23], 0 offset:1256 ; 4-byte Folded Spill
	s_nop 0
	buffer_store_dword v70, off, s[20:23], 0 offset:1260 ; 4-byte Folded Spill
	buffer_store_dword v71, off, s[20:23], 0 offset:1264 ; 4-byte Folded Spill
	;; [unrolled: 1-line block ×3, first 2 shown]
	s_and_saveexec_b64 s[2:3], vcc
	s_cbranch_execz .LBB91_307
; %bb.306:
	buffer_load_dword v69, off, s[20:23], 0 offset:1256 ; 4-byte Folded Reload
	buffer_load_dword v70, off, s[20:23], 0 offset:1260 ; 4-byte Folded Reload
	;; [unrolled: 1-line block ×4, first 2 shown]
	ds_read2_b64 v[99:102], v125 offset0:68 offset1:69
	s_waitcnt vmcnt(2)
	v_mul_f64 v[97:98], v[69:70], v[47:48]
	s_waitcnt vmcnt(0)
	v_mul_f64 v[47:48], v[71:72], v[47:48]
	v_fma_f64 v[97:98], v[71:72], v[45:46], v[97:98]
	v_fma_f64 v[45:46], v[69:70], v[45:46], -v[47:48]
	s_waitcnt lgkmcnt(0)
	v_mul_f64 v[47:48], v[101:102], v[97:98]
	v_fma_f64 v[47:48], v[99:100], v[45:46], -v[47:48]
	v_mul_f64 v[99:100], v[99:100], v[97:98]
	v_add_f64 v[41:42], v[41:42], -v[47:48]
	v_fma_f64 v[99:100], v[101:102], v[45:46], v[99:100]
	v_add_f64 v[43:44], v[43:44], -v[99:100]
	ds_read2_b64 v[99:102], v125 offset0:70 offset1:71
	s_waitcnt lgkmcnt(0)
	v_mul_f64 v[47:48], v[101:102], v[97:98]
	v_fma_f64 v[47:48], v[99:100], v[45:46], -v[47:48]
	v_mul_f64 v[99:100], v[99:100], v[97:98]
	v_add_f64 v[37:38], v[37:38], -v[47:48]
	v_fma_f64 v[99:100], v[101:102], v[45:46], v[99:100]
	v_add_f64 v[39:40], v[39:40], -v[99:100]
	ds_read2_b64 v[99:102], v125 offset0:72 offset1:73
	;; [unrolled: 8-line block ×11, first 2 shown]
	s_waitcnt lgkmcnt(0)
	v_mul_f64 v[47:48], v[101:102], v[97:98]
	v_fma_f64 v[47:48], v[99:100], v[45:46], -v[47:48]
	v_mul_f64 v[99:100], v[99:100], v[97:98]
	v_add_f64 v[73:74], v[73:74], -v[47:48]
	v_fma_f64 v[99:100], v[101:102], v[45:46], v[99:100]
	v_mov_b32_e32 v47, v97
	v_mov_b32_e32 v48, v98
	v_add_f64 v[75:76], v[75:76], -v[99:100]
.LBB91_307:
	s_or_b64 exec, exec, s[2:3]
	v_cmp_eq_u32_e32 vcc, 34, v0
	s_waitcnt vmcnt(0)
	s_barrier
	s_and_saveexec_b64 s[4:5], vcc
	s_cbranch_execz .LBB91_314
; %bb.308:
	ds_write2_b64 v127, v[41:42], v[43:44] offset1:1
	ds_write2_b64 v125, v[37:38], v[39:40] offset0:70 offset1:71
	ds_write2_b64 v125, v[33:34], v[35:36] offset0:72 offset1:73
	;; [unrolled: 1-line block ×11, first 2 shown]
	ds_read2_b64 v[97:100], v127 offset1:1
	s_waitcnt lgkmcnt(0)
	v_cmp_neq_f64_e32 vcc, 0, v[97:98]
	v_cmp_neq_f64_e64 s[2:3], 0, v[99:100]
	s_or_b64 s[2:3], vcc, s[2:3]
	s_and_b64 exec, exec, s[2:3]
	s_cbranch_execz .LBB91_314
; %bb.309:
	v_cmp_ngt_f64_e64 s[2:3], |v[97:98]|, |v[99:100]|
                                        ; implicit-def: $vgpr101_vgpr102
	s_and_saveexec_b64 s[6:7], s[2:3]
	s_xor_b64 s[2:3], exec, s[6:7]
                                        ; implicit-def: $vgpr103_vgpr104
	s_cbranch_execz .LBB91_311
; %bb.310:
	v_div_scale_f64 v[101:102], s[6:7], v[99:100], v[99:100], v[97:98]
	v_rcp_f64_e32 v[103:104], v[101:102]
	v_fma_f64 v[105:106], -v[101:102], v[103:104], 1.0
	v_fma_f64 v[103:104], v[103:104], v[105:106], v[103:104]
	v_div_scale_f64 v[105:106], vcc, v[97:98], v[99:100], v[97:98]
	v_fma_f64 v[107:108], -v[101:102], v[103:104], 1.0
	v_fma_f64 v[103:104], v[103:104], v[107:108], v[103:104]
	v_mul_f64 v[107:108], v[105:106], v[103:104]
	v_fma_f64 v[101:102], -v[101:102], v[107:108], v[105:106]
	v_div_fmas_f64 v[101:102], v[101:102], v[103:104], v[107:108]
	v_div_fixup_f64 v[101:102], v[101:102], v[99:100], v[97:98]
	v_fma_f64 v[97:98], v[97:98], v[101:102], v[99:100]
	v_div_scale_f64 v[99:100], s[6:7], v[97:98], v[97:98], 1.0
	v_div_scale_f64 v[107:108], vcc, 1.0, v[97:98], 1.0
	v_rcp_f64_e32 v[103:104], v[99:100]
	v_fma_f64 v[105:106], -v[99:100], v[103:104], 1.0
	v_fma_f64 v[103:104], v[103:104], v[105:106], v[103:104]
	v_fma_f64 v[105:106], -v[99:100], v[103:104], 1.0
	v_fma_f64 v[103:104], v[103:104], v[105:106], v[103:104]
	v_mul_f64 v[105:106], v[107:108], v[103:104]
	v_fma_f64 v[99:100], -v[99:100], v[105:106], v[107:108]
	v_div_fmas_f64 v[99:100], v[99:100], v[103:104], v[105:106]
	v_div_fixup_f64 v[103:104], v[99:100], v[97:98], 1.0
                                        ; implicit-def: $vgpr97_vgpr98
	v_mul_f64 v[101:102], v[101:102], v[103:104]
	v_xor_b32_e32 v104, 0x80000000, v104
.LBB91_311:
	s_andn2_saveexec_b64 s[2:3], s[2:3]
	s_cbranch_execz .LBB91_313
; %bb.312:
	v_div_scale_f64 v[101:102], s[6:7], v[97:98], v[97:98], v[99:100]
	v_rcp_f64_e32 v[103:104], v[101:102]
	v_fma_f64 v[105:106], -v[101:102], v[103:104], 1.0
	v_fma_f64 v[103:104], v[103:104], v[105:106], v[103:104]
	v_div_scale_f64 v[105:106], vcc, v[99:100], v[97:98], v[99:100]
	v_fma_f64 v[107:108], -v[101:102], v[103:104], 1.0
	v_fma_f64 v[103:104], v[103:104], v[107:108], v[103:104]
	v_mul_f64 v[107:108], v[105:106], v[103:104]
	v_fma_f64 v[101:102], -v[101:102], v[107:108], v[105:106]
	v_div_fmas_f64 v[101:102], v[101:102], v[103:104], v[107:108]
	v_div_fixup_f64 v[103:104], v[101:102], v[97:98], v[99:100]
	v_fma_f64 v[97:98], v[99:100], v[103:104], v[97:98]
	v_div_scale_f64 v[99:100], s[6:7], v[97:98], v[97:98], 1.0
	v_div_scale_f64 v[107:108], vcc, 1.0, v[97:98], 1.0
	v_rcp_f64_e32 v[101:102], v[99:100]
	v_fma_f64 v[105:106], -v[99:100], v[101:102], 1.0
	v_fma_f64 v[101:102], v[101:102], v[105:106], v[101:102]
	v_fma_f64 v[105:106], -v[99:100], v[101:102], 1.0
	v_fma_f64 v[101:102], v[101:102], v[105:106], v[101:102]
	v_mul_f64 v[105:106], v[107:108], v[101:102]
	v_fma_f64 v[99:100], -v[99:100], v[105:106], v[107:108]
	v_div_fmas_f64 v[99:100], v[99:100], v[101:102], v[105:106]
	v_div_fixup_f64 v[101:102], v[99:100], v[97:98], 1.0
	v_mul_f64 v[103:104], v[103:104], -v[101:102]
.LBB91_313:
	s_or_b64 exec, exec, s[2:3]
	ds_write2_b64 v127, v[101:102], v[103:104] offset1:1
.LBB91_314:
	s_or_b64 exec, exec, s[4:5]
	s_waitcnt lgkmcnt(0)
	s_barrier
	ds_read2_b64 v[69:72], v127 offset1:1
	v_cmp_lt_u32_e32 vcc, 34, v0
	s_waitcnt lgkmcnt(0)
	buffer_store_dword v69, off, s[20:23], 0 offset:1272 ; 4-byte Folded Spill
	s_nop 0
	buffer_store_dword v70, off, s[20:23], 0 offset:1276 ; 4-byte Folded Spill
	buffer_store_dword v71, off, s[20:23], 0 offset:1280 ; 4-byte Folded Spill
	buffer_store_dword v72, off, s[20:23], 0 offset:1284 ; 4-byte Folded Spill
	s_and_saveexec_b64 s[2:3], vcc
	s_cbranch_execz .LBB91_316
; %bb.315:
	buffer_load_dword v69, off, s[20:23], 0 offset:1272 ; 4-byte Folded Reload
	buffer_load_dword v70, off, s[20:23], 0 offset:1276 ; 4-byte Folded Reload
	;; [unrolled: 1-line block ×4, first 2 shown]
	ds_read2_b64 v[99:102], v125 offset0:70 offset1:71
	s_waitcnt vmcnt(2)
	v_mul_f64 v[97:98], v[69:70], v[43:44]
	s_waitcnt vmcnt(0)
	v_mul_f64 v[43:44], v[71:72], v[43:44]
	v_fma_f64 v[97:98], v[71:72], v[41:42], v[97:98]
	v_fma_f64 v[41:42], v[69:70], v[41:42], -v[43:44]
	s_waitcnt lgkmcnt(0)
	v_mul_f64 v[43:44], v[101:102], v[97:98]
	v_fma_f64 v[43:44], v[99:100], v[41:42], -v[43:44]
	v_mul_f64 v[99:100], v[99:100], v[97:98]
	v_add_f64 v[37:38], v[37:38], -v[43:44]
	v_fma_f64 v[99:100], v[101:102], v[41:42], v[99:100]
	v_add_f64 v[39:40], v[39:40], -v[99:100]
	ds_read2_b64 v[99:102], v125 offset0:72 offset1:73
	s_waitcnt lgkmcnt(0)
	v_mul_f64 v[43:44], v[101:102], v[97:98]
	v_fma_f64 v[43:44], v[99:100], v[41:42], -v[43:44]
	v_mul_f64 v[99:100], v[99:100], v[97:98]
	v_add_f64 v[33:34], v[33:34], -v[43:44]
	v_fma_f64 v[99:100], v[101:102], v[41:42], v[99:100]
	v_add_f64 v[35:36], v[35:36], -v[99:100]
	ds_read2_b64 v[99:102], v125 offset0:74 offset1:75
	;; [unrolled: 8-line block ×10, first 2 shown]
	s_waitcnt lgkmcnt(0)
	v_mul_f64 v[43:44], v[101:102], v[97:98]
	v_fma_f64 v[43:44], v[99:100], v[41:42], -v[43:44]
	v_mul_f64 v[99:100], v[99:100], v[97:98]
	v_add_f64 v[73:74], v[73:74], -v[43:44]
	v_fma_f64 v[99:100], v[101:102], v[41:42], v[99:100]
	v_mov_b32_e32 v43, v97
	v_mov_b32_e32 v44, v98
	v_add_f64 v[75:76], v[75:76], -v[99:100]
.LBB91_316:
	s_or_b64 exec, exec, s[2:3]
	v_cmp_eq_u32_e32 vcc, 35, v0
	s_waitcnt vmcnt(0)
	s_barrier
	s_and_saveexec_b64 s[4:5], vcc
	s_cbranch_execz .LBB91_323
; %bb.317:
	ds_write2_b64 v127, v[37:38], v[39:40] offset1:1
	ds_write2_b64 v125, v[33:34], v[35:36] offset0:72 offset1:73
	ds_write2_b64 v125, v[29:30], v[31:32] offset0:74 offset1:75
	;; [unrolled: 1-line block ×10, first 2 shown]
	ds_read2_b64 v[97:100], v127 offset1:1
	s_waitcnt lgkmcnt(0)
	v_cmp_neq_f64_e32 vcc, 0, v[97:98]
	v_cmp_neq_f64_e64 s[2:3], 0, v[99:100]
	s_or_b64 s[2:3], vcc, s[2:3]
	s_and_b64 exec, exec, s[2:3]
	s_cbranch_execz .LBB91_323
; %bb.318:
	v_cmp_ngt_f64_e64 s[2:3], |v[97:98]|, |v[99:100]|
                                        ; implicit-def: $vgpr101_vgpr102
	s_and_saveexec_b64 s[6:7], s[2:3]
	s_xor_b64 s[2:3], exec, s[6:7]
                                        ; implicit-def: $vgpr103_vgpr104
	s_cbranch_execz .LBB91_320
; %bb.319:
	v_div_scale_f64 v[101:102], s[6:7], v[99:100], v[99:100], v[97:98]
	v_rcp_f64_e32 v[103:104], v[101:102]
	v_fma_f64 v[105:106], -v[101:102], v[103:104], 1.0
	v_fma_f64 v[103:104], v[103:104], v[105:106], v[103:104]
	v_div_scale_f64 v[105:106], vcc, v[97:98], v[99:100], v[97:98]
	v_fma_f64 v[107:108], -v[101:102], v[103:104], 1.0
	v_fma_f64 v[103:104], v[103:104], v[107:108], v[103:104]
	v_mul_f64 v[107:108], v[105:106], v[103:104]
	v_fma_f64 v[101:102], -v[101:102], v[107:108], v[105:106]
	v_div_fmas_f64 v[101:102], v[101:102], v[103:104], v[107:108]
	v_div_fixup_f64 v[101:102], v[101:102], v[99:100], v[97:98]
	v_fma_f64 v[97:98], v[97:98], v[101:102], v[99:100]
	v_div_scale_f64 v[99:100], s[6:7], v[97:98], v[97:98], 1.0
	v_div_scale_f64 v[107:108], vcc, 1.0, v[97:98], 1.0
	v_rcp_f64_e32 v[103:104], v[99:100]
	v_fma_f64 v[105:106], -v[99:100], v[103:104], 1.0
	v_fma_f64 v[103:104], v[103:104], v[105:106], v[103:104]
	v_fma_f64 v[105:106], -v[99:100], v[103:104], 1.0
	v_fma_f64 v[103:104], v[103:104], v[105:106], v[103:104]
	v_mul_f64 v[105:106], v[107:108], v[103:104]
	v_fma_f64 v[99:100], -v[99:100], v[105:106], v[107:108]
	v_div_fmas_f64 v[99:100], v[99:100], v[103:104], v[105:106]
	v_div_fixup_f64 v[103:104], v[99:100], v[97:98], 1.0
                                        ; implicit-def: $vgpr97_vgpr98
	v_mul_f64 v[101:102], v[101:102], v[103:104]
	v_xor_b32_e32 v104, 0x80000000, v104
.LBB91_320:
	s_andn2_saveexec_b64 s[2:3], s[2:3]
	s_cbranch_execz .LBB91_322
; %bb.321:
	v_div_scale_f64 v[101:102], s[6:7], v[97:98], v[97:98], v[99:100]
	v_rcp_f64_e32 v[103:104], v[101:102]
	v_fma_f64 v[105:106], -v[101:102], v[103:104], 1.0
	v_fma_f64 v[103:104], v[103:104], v[105:106], v[103:104]
	v_div_scale_f64 v[105:106], vcc, v[99:100], v[97:98], v[99:100]
	v_fma_f64 v[107:108], -v[101:102], v[103:104], 1.0
	v_fma_f64 v[103:104], v[103:104], v[107:108], v[103:104]
	v_mul_f64 v[107:108], v[105:106], v[103:104]
	v_fma_f64 v[101:102], -v[101:102], v[107:108], v[105:106]
	v_div_fmas_f64 v[101:102], v[101:102], v[103:104], v[107:108]
	v_div_fixup_f64 v[103:104], v[101:102], v[97:98], v[99:100]
	v_fma_f64 v[97:98], v[99:100], v[103:104], v[97:98]
	v_div_scale_f64 v[99:100], s[6:7], v[97:98], v[97:98], 1.0
	v_div_scale_f64 v[107:108], vcc, 1.0, v[97:98], 1.0
	v_rcp_f64_e32 v[101:102], v[99:100]
	v_fma_f64 v[105:106], -v[99:100], v[101:102], 1.0
	v_fma_f64 v[101:102], v[101:102], v[105:106], v[101:102]
	v_fma_f64 v[105:106], -v[99:100], v[101:102], 1.0
	v_fma_f64 v[101:102], v[101:102], v[105:106], v[101:102]
	v_mul_f64 v[105:106], v[107:108], v[101:102]
	v_fma_f64 v[99:100], -v[99:100], v[105:106], v[107:108]
	v_div_fmas_f64 v[99:100], v[99:100], v[101:102], v[105:106]
	v_div_fixup_f64 v[101:102], v[99:100], v[97:98], 1.0
	v_mul_f64 v[103:104], v[103:104], -v[101:102]
.LBB91_322:
	s_or_b64 exec, exec, s[2:3]
	ds_write2_b64 v127, v[101:102], v[103:104] offset1:1
.LBB91_323:
	s_or_b64 exec, exec, s[4:5]
	s_waitcnt lgkmcnt(0)
	s_barrier
	ds_read2_b64 v[69:72], v127 offset1:1
	v_cmp_lt_u32_e32 vcc, 35, v0
	s_waitcnt lgkmcnt(0)
	buffer_store_dword v69, off, s[20:23], 0 offset:1288 ; 4-byte Folded Spill
	s_nop 0
	buffer_store_dword v70, off, s[20:23], 0 offset:1292 ; 4-byte Folded Spill
	buffer_store_dword v71, off, s[20:23], 0 offset:1296 ; 4-byte Folded Spill
	;; [unrolled: 1-line block ×3, first 2 shown]
	s_and_saveexec_b64 s[2:3], vcc
	s_cbranch_execz .LBB91_325
; %bb.324:
	buffer_load_dword v69, off, s[20:23], 0 offset:1288 ; 4-byte Folded Reload
	buffer_load_dword v70, off, s[20:23], 0 offset:1292 ; 4-byte Folded Reload
	;; [unrolled: 1-line block ×4, first 2 shown]
	ds_read2_b64 v[99:102], v125 offset0:72 offset1:73
	s_waitcnt vmcnt(2)
	v_mul_f64 v[97:98], v[69:70], v[39:40]
	s_waitcnt vmcnt(0)
	v_mul_f64 v[39:40], v[71:72], v[39:40]
	v_fma_f64 v[97:98], v[71:72], v[37:38], v[97:98]
	v_fma_f64 v[37:38], v[69:70], v[37:38], -v[39:40]
	s_waitcnt lgkmcnt(0)
	v_mul_f64 v[39:40], v[101:102], v[97:98]
	v_fma_f64 v[39:40], v[99:100], v[37:38], -v[39:40]
	v_mul_f64 v[99:100], v[99:100], v[97:98]
	v_add_f64 v[33:34], v[33:34], -v[39:40]
	v_fma_f64 v[99:100], v[101:102], v[37:38], v[99:100]
	v_add_f64 v[35:36], v[35:36], -v[99:100]
	ds_read2_b64 v[99:102], v125 offset0:74 offset1:75
	s_waitcnt lgkmcnt(0)
	v_mul_f64 v[39:40], v[101:102], v[97:98]
	v_fma_f64 v[39:40], v[99:100], v[37:38], -v[39:40]
	v_mul_f64 v[99:100], v[99:100], v[97:98]
	v_add_f64 v[29:30], v[29:30], -v[39:40]
	v_fma_f64 v[99:100], v[101:102], v[37:38], v[99:100]
	v_add_f64 v[31:32], v[31:32], -v[99:100]
	ds_read2_b64 v[99:102], v125 offset0:76 offset1:77
	;; [unrolled: 8-line block ×9, first 2 shown]
	s_waitcnt lgkmcnt(0)
	v_mul_f64 v[39:40], v[101:102], v[97:98]
	v_fma_f64 v[39:40], v[99:100], v[37:38], -v[39:40]
	v_mul_f64 v[99:100], v[99:100], v[97:98]
	v_add_f64 v[73:74], v[73:74], -v[39:40]
	v_fma_f64 v[99:100], v[101:102], v[37:38], v[99:100]
	v_mov_b32_e32 v39, v97
	v_mov_b32_e32 v40, v98
	v_add_f64 v[75:76], v[75:76], -v[99:100]
.LBB91_325:
	s_or_b64 exec, exec, s[2:3]
	v_cmp_eq_u32_e32 vcc, 36, v0
	s_waitcnt vmcnt(0)
	s_barrier
	s_and_saveexec_b64 s[4:5], vcc
	s_cbranch_execz .LBB91_332
; %bb.326:
	ds_write2_b64 v127, v[33:34], v[35:36] offset1:1
	ds_write2_b64 v125, v[29:30], v[31:32] offset0:74 offset1:75
	ds_write2_b64 v125, v[25:26], v[27:28] offset0:76 offset1:77
	;; [unrolled: 1-line block ×9, first 2 shown]
	ds_read2_b64 v[97:100], v127 offset1:1
	s_waitcnt lgkmcnt(0)
	v_cmp_neq_f64_e32 vcc, 0, v[97:98]
	v_cmp_neq_f64_e64 s[2:3], 0, v[99:100]
	s_or_b64 s[2:3], vcc, s[2:3]
	s_and_b64 exec, exec, s[2:3]
	s_cbranch_execz .LBB91_332
; %bb.327:
	v_cmp_ngt_f64_e64 s[2:3], |v[97:98]|, |v[99:100]|
                                        ; implicit-def: $vgpr101_vgpr102
	s_and_saveexec_b64 s[6:7], s[2:3]
	s_xor_b64 s[2:3], exec, s[6:7]
                                        ; implicit-def: $vgpr103_vgpr104
	s_cbranch_execz .LBB91_329
; %bb.328:
	v_div_scale_f64 v[101:102], s[6:7], v[99:100], v[99:100], v[97:98]
	v_rcp_f64_e32 v[103:104], v[101:102]
	v_fma_f64 v[105:106], -v[101:102], v[103:104], 1.0
	v_fma_f64 v[103:104], v[103:104], v[105:106], v[103:104]
	v_div_scale_f64 v[105:106], vcc, v[97:98], v[99:100], v[97:98]
	v_fma_f64 v[107:108], -v[101:102], v[103:104], 1.0
	v_fma_f64 v[103:104], v[103:104], v[107:108], v[103:104]
	v_mul_f64 v[107:108], v[105:106], v[103:104]
	v_fma_f64 v[101:102], -v[101:102], v[107:108], v[105:106]
	v_div_fmas_f64 v[101:102], v[101:102], v[103:104], v[107:108]
	v_div_fixup_f64 v[101:102], v[101:102], v[99:100], v[97:98]
	v_fma_f64 v[97:98], v[97:98], v[101:102], v[99:100]
	v_div_scale_f64 v[99:100], s[6:7], v[97:98], v[97:98], 1.0
	v_div_scale_f64 v[107:108], vcc, 1.0, v[97:98], 1.0
	v_rcp_f64_e32 v[103:104], v[99:100]
	v_fma_f64 v[105:106], -v[99:100], v[103:104], 1.0
	v_fma_f64 v[103:104], v[103:104], v[105:106], v[103:104]
	v_fma_f64 v[105:106], -v[99:100], v[103:104], 1.0
	v_fma_f64 v[103:104], v[103:104], v[105:106], v[103:104]
	v_mul_f64 v[105:106], v[107:108], v[103:104]
	v_fma_f64 v[99:100], -v[99:100], v[105:106], v[107:108]
	v_div_fmas_f64 v[99:100], v[99:100], v[103:104], v[105:106]
	v_div_fixup_f64 v[103:104], v[99:100], v[97:98], 1.0
                                        ; implicit-def: $vgpr97_vgpr98
	v_mul_f64 v[101:102], v[101:102], v[103:104]
	v_xor_b32_e32 v104, 0x80000000, v104
.LBB91_329:
	s_andn2_saveexec_b64 s[2:3], s[2:3]
	s_cbranch_execz .LBB91_331
; %bb.330:
	v_div_scale_f64 v[101:102], s[6:7], v[97:98], v[97:98], v[99:100]
	v_rcp_f64_e32 v[103:104], v[101:102]
	v_fma_f64 v[105:106], -v[101:102], v[103:104], 1.0
	v_fma_f64 v[103:104], v[103:104], v[105:106], v[103:104]
	v_div_scale_f64 v[105:106], vcc, v[99:100], v[97:98], v[99:100]
	v_fma_f64 v[107:108], -v[101:102], v[103:104], 1.0
	v_fma_f64 v[103:104], v[103:104], v[107:108], v[103:104]
	v_mul_f64 v[107:108], v[105:106], v[103:104]
	v_fma_f64 v[101:102], -v[101:102], v[107:108], v[105:106]
	v_div_fmas_f64 v[101:102], v[101:102], v[103:104], v[107:108]
	v_div_fixup_f64 v[103:104], v[101:102], v[97:98], v[99:100]
	v_fma_f64 v[97:98], v[99:100], v[103:104], v[97:98]
	v_div_scale_f64 v[99:100], s[6:7], v[97:98], v[97:98], 1.0
	v_div_scale_f64 v[107:108], vcc, 1.0, v[97:98], 1.0
	v_rcp_f64_e32 v[101:102], v[99:100]
	v_fma_f64 v[105:106], -v[99:100], v[101:102], 1.0
	v_fma_f64 v[101:102], v[101:102], v[105:106], v[101:102]
	v_fma_f64 v[105:106], -v[99:100], v[101:102], 1.0
	v_fma_f64 v[101:102], v[101:102], v[105:106], v[101:102]
	v_mul_f64 v[105:106], v[107:108], v[101:102]
	v_fma_f64 v[99:100], -v[99:100], v[105:106], v[107:108]
	v_div_fmas_f64 v[99:100], v[99:100], v[101:102], v[105:106]
	v_div_fixup_f64 v[101:102], v[99:100], v[97:98], 1.0
	v_mul_f64 v[103:104], v[103:104], -v[101:102]
.LBB91_331:
	s_or_b64 exec, exec, s[2:3]
	ds_write2_b64 v127, v[101:102], v[103:104] offset1:1
.LBB91_332:
	s_or_b64 exec, exec, s[4:5]
	s_waitcnt lgkmcnt(0)
	s_barrier
	ds_read2_b64 v[69:72], v127 offset1:1
	v_cmp_lt_u32_e32 vcc, 36, v0
	s_waitcnt lgkmcnt(0)
	buffer_store_dword v69, off, s[20:23], 0 offset:1304 ; 4-byte Folded Spill
	s_nop 0
	buffer_store_dword v70, off, s[20:23], 0 offset:1308 ; 4-byte Folded Spill
	buffer_store_dword v71, off, s[20:23], 0 offset:1312 ; 4-byte Folded Spill
	;; [unrolled: 1-line block ×3, first 2 shown]
	s_and_saveexec_b64 s[2:3], vcc
	s_cbranch_execz .LBB91_334
; %bb.333:
	buffer_load_dword v69, off, s[20:23], 0 offset:1304 ; 4-byte Folded Reload
	buffer_load_dword v70, off, s[20:23], 0 offset:1308 ; 4-byte Folded Reload
	;; [unrolled: 1-line block ×4, first 2 shown]
	ds_read2_b64 v[99:102], v125 offset0:74 offset1:75
	s_waitcnt vmcnt(2)
	v_mul_f64 v[97:98], v[69:70], v[35:36]
	s_waitcnt vmcnt(0)
	v_mul_f64 v[35:36], v[71:72], v[35:36]
	v_fma_f64 v[97:98], v[71:72], v[33:34], v[97:98]
	v_fma_f64 v[33:34], v[69:70], v[33:34], -v[35:36]
	s_waitcnt lgkmcnt(0)
	v_mul_f64 v[35:36], v[101:102], v[97:98]
	v_fma_f64 v[35:36], v[99:100], v[33:34], -v[35:36]
	v_mul_f64 v[99:100], v[99:100], v[97:98]
	v_add_f64 v[29:30], v[29:30], -v[35:36]
	v_fma_f64 v[99:100], v[101:102], v[33:34], v[99:100]
	v_add_f64 v[31:32], v[31:32], -v[99:100]
	ds_read2_b64 v[99:102], v125 offset0:76 offset1:77
	s_waitcnt lgkmcnt(0)
	v_mul_f64 v[35:36], v[101:102], v[97:98]
	v_fma_f64 v[35:36], v[99:100], v[33:34], -v[35:36]
	v_mul_f64 v[99:100], v[99:100], v[97:98]
	v_add_f64 v[25:26], v[25:26], -v[35:36]
	v_fma_f64 v[99:100], v[101:102], v[33:34], v[99:100]
	v_add_f64 v[27:28], v[27:28], -v[99:100]
	ds_read2_b64 v[99:102], v125 offset0:78 offset1:79
	;; [unrolled: 8-line block ×8, first 2 shown]
	s_waitcnt lgkmcnt(0)
	v_mul_f64 v[35:36], v[101:102], v[97:98]
	v_fma_f64 v[35:36], v[99:100], v[33:34], -v[35:36]
	v_mul_f64 v[99:100], v[99:100], v[97:98]
	v_add_f64 v[73:74], v[73:74], -v[35:36]
	v_fma_f64 v[99:100], v[101:102], v[33:34], v[99:100]
	v_mov_b32_e32 v35, v97
	v_mov_b32_e32 v36, v98
	v_add_f64 v[75:76], v[75:76], -v[99:100]
.LBB91_334:
	s_or_b64 exec, exec, s[2:3]
	v_cmp_eq_u32_e32 vcc, 37, v0
	s_waitcnt vmcnt(0)
	s_barrier
	s_and_saveexec_b64 s[4:5], vcc
	s_cbranch_execz .LBB91_341
; %bb.335:
	ds_write2_b64 v127, v[29:30], v[31:32] offset1:1
	ds_write2_b64 v125, v[25:26], v[27:28] offset0:76 offset1:77
	ds_write2_b64 v125, v[21:22], v[23:24] offset0:78 offset1:79
	ds_write2_b64 v125, v[17:18], v[19:20] offset0:80 offset1:81
	ds_write2_b64 v125, v[13:14], v[15:16] offset0:82 offset1:83
	ds_write2_b64 v125, v[9:10], v[11:12] offset0:84 offset1:85
	ds_write2_b64 v125, v[5:6], v[7:8] offset0:86 offset1:87
	ds_write2_b64 v125, v[1:2], v[3:4] offset0:88 offset1:89
	ds_write2_b64 v125, v[73:74], v[75:76] offset0:90 offset1:91
	ds_read2_b64 v[97:100], v127 offset1:1
	s_waitcnt lgkmcnt(0)
	v_cmp_neq_f64_e32 vcc, 0, v[97:98]
	v_cmp_neq_f64_e64 s[2:3], 0, v[99:100]
	s_or_b64 s[2:3], vcc, s[2:3]
	s_and_b64 exec, exec, s[2:3]
	s_cbranch_execz .LBB91_341
; %bb.336:
	v_cmp_ngt_f64_e64 s[2:3], |v[97:98]|, |v[99:100]|
                                        ; implicit-def: $vgpr101_vgpr102
	s_and_saveexec_b64 s[6:7], s[2:3]
	s_xor_b64 s[2:3], exec, s[6:7]
                                        ; implicit-def: $vgpr103_vgpr104
	s_cbranch_execz .LBB91_338
; %bb.337:
	v_div_scale_f64 v[101:102], s[6:7], v[99:100], v[99:100], v[97:98]
	v_rcp_f64_e32 v[103:104], v[101:102]
	v_fma_f64 v[105:106], -v[101:102], v[103:104], 1.0
	v_fma_f64 v[103:104], v[103:104], v[105:106], v[103:104]
	v_div_scale_f64 v[105:106], vcc, v[97:98], v[99:100], v[97:98]
	v_fma_f64 v[107:108], -v[101:102], v[103:104], 1.0
	v_fma_f64 v[103:104], v[103:104], v[107:108], v[103:104]
	v_mul_f64 v[107:108], v[105:106], v[103:104]
	v_fma_f64 v[101:102], -v[101:102], v[107:108], v[105:106]
	v_div_fmas_f64 v[101:102], v[101:102], v[103:104], v[107:108]
	v_div_fixup_f64 v[101:102], v[101:102], v[99:100], v[97:98]
	v_fma_f64 v[97:98], v[97:98], v[101:102], v[99:100]
	v_div_scale_f64 v[99:100], s[6:7], v[97:98], v[97:98], 1.0
	v_div_scale_f64 v[107:108], vcc, 1.0, v[97:98], 1.0
	v_rcp_f64_e32 v[103:104], v[99:100]
	v_fma_f64 v[105:106], -v[99:100], v[103:104], 1.0
	v_fma_f64 v[103:104], v[103:104], v[105:106], v[103:104]
	v_fma_f64 v[105:106], -v[99:100], v[103:104], 1.0
	v_fma_f64 v[103:104], v[103:104], v[105:106], v[103:104]
	v_mul_f64 v[105:106], v[107:108], v[103:104]
	v_fma_f64 v[99:100], -v[99:100], v[105:106], v[107:108]
	v_div_fmas_f64 v[99:100], v[99:100], v[103:104], v[105:106]
	v_div_fixup_f64 v[103:104], v[99:100], v[97:98], 1.0
                                        ; implicit-def: $vgpr97_vgpr98
	v_mul_f64 v[101:102], v[101:102], v[103:104]
	v_xor_b32_e32 v104, 0x80000000, v104
.LBB91_338:
	s_andn2_saveexec_b64 s[2:3], s[2:3]
	s_cbranch_execz .LBB91_340
; %bb.339:
	v_div_scale_f64 v[101:102], s[6:7], v[97:98], v[97:98], v[99:100]
	v_rcp_f64_e32 v[103:104], v[101:102]
	v_fma_f64 v[105:106], -v[101:102], v[103:104], 1.0
	v_fma_f64 v[103:104], v[103:104], v[105:106], v[103:104]
	v_div_scale_f64 v[105:106], vcc, v[99:100], v[97:98], v[99:100]
	v_fma_f64 v[107:108], -v[101:102], v[103:104], 1.0
	v_fma_f64 v[103:104], v[103:104], v[107:108], v[103:104]
	v_mul_f64 v[107:108], v[105:106], v[103:104]
	v_fma_f64 v[101:102], -v[101:102], v[107:108], v[105:106]
	v_div_fmas_f64 v[101:102], v[101:102], v[103:104], v[107:108]
	v_div_fixup_f64 v[103:104], v[101:102], v[97:98], v[99:100]
	v_fma_f64 v[97:98], v[99:100], v[103:104], v[97:98]
	v_div_scale_f64 v[99:100], s[6:7], v[97:98], v[97:98], 1.0
	v_div_scale_f64 v[107:108], vcc, 1.0, v[97:98], 1.0
	v_rcp_f64_e32 v[101:102], v[99:100]
	v_fma_f64 v[105:106], -v[99:100], v[101:102], 1.0
	v_fma_f64 v[101:102], v[101:102], v[105:106], v[101:102]
	v_fma_f64 v[105:106], -v[99:100], v[101:102], 1.0
	v_fma_f64 v[101:102], v[101:102], v[105:106], v[101:102]
	v_mul_f64 v[105:106], v[107:108], v[101:102]
	v_fma_f64 v[99:100], -v[99:100], v[105:106], v[107:108]
	v_div_fmas_f64 v[99:100], v[99:100], v[101:102], v[105:106]
	v_div_fixup_f64 v[101:102], v[99:100], v[97:98], 1.0
	v_mul_f64 v[103:104], v[103:104], -v[101:102]
.LBB91_340:
	s_or_b64 exec, exec, s[2:3]
	ds_write2_b64 v127, v[101:102], v[103:104] offset1:1
.LBB91_341:
	s_or_b64 exec, exec, s[4:5]
	s_waitcnt lgkmcnt(0)
	s_barrier
	ds_read2_b64 v[69:72], v127 offset1:1
	v_cmp_lt_u32_e32 vcc, 37, v0
	s_waitcnt lgkmcnt(0)
	buffer_store_dword v69, off, s[20:23], 0 offset:1320 ; 4-byte Folded Spill
	s_nop 0
	buffer_store_dword v70, off, s[20:23], 0 offset:1324 ; 4-byte Folded Spill
	buffer_store_dword v71, off, s[20:23], 0 offset:1328 ; 4-byte Folded Spill
	;; [unrolled: 1-line block ×3, first 2 shown]
	s_and_saveexec_b64 s[2:3], vcc
	s_cbranch_execz .LBB91_343
; %bb.342:
	buffer_load_dword v69, off, s[20:23], 0 offset:1320 ; 4-byte Folded Reload
	buffer_load_dword v70, off, s[20:23], 0 offset:1324 ; 4-byte Folded Reload
	;; [unrolled: 1-line block ×4, first 2 shown]
	ds_read2_b64 v[99:102], v125 offset0:76 offset1:77
	s_waitcnt vmcnt(2)
	v_mul_f64 v[97:98], v[69:70], v[31:32]
	s_waitcnt vmcnt(0)
	v_mul_f64 v[31:32], v[71:72], v[31:32]
	v_fma_f64 v[97:98], v[71:72], v[29:30], v[97:98]
	v_fma_f64 v[29:30], v[69:70], v[29:30], -v[31:32]
	s_waitcnt lgkmcnt(0)
	v_mul_f64 v[31:32], v[101:102], v[97:98]
	v_fma_f64 v[31:32], v[99:100], v[29:30], -v[31:32]
	v_mul_f64 v[99:100], v[99:100], v[97:98]
	v_add_f64 v[25:26], v[25:26], -v[31:32]
	v_fma_f64 v[99:100], v[101:102], v[29:30], v[99:100]
	v_add_f64 v[27:28], v[27:28], -v[99:100]
	ds_read2_b64 v[99:102], v125 offset0:78 offset1:79
	s_waitcnt lgkmcnt(0)
	v_mul_f64 v[31:32], v[101:102], v[97:98]
	v_fma_f64 v[31:32], v[99:100], v[29:30], -v[31:32]
	v_mul_f64 v[99:100], v[99:100], v[97:98]
	v_add_f64 v[21:22], v[21:22], -v[31:32]
	v_fma_f64 v[99:100], v[101:102], v[29:30], v[99:100]
	v_add_f64 v[23:24], v[23:24], -v[99:100]
	ds_read2_b64 v[99:102], v125 offset0:80 offset1:81
	;; [unrolled: 8-line block ×7, first 2 shown]
	s_waitcnt lgkmcnt(0)
	v_mul_f64 v[31:32], v[101:102], v[97:98]
	v_fma_f64 v[31:32], v[99:100], v[29:30], -v[31:32]
	v_mul_f64 v[99:100], v[99:100], v[97:98]
	v_add_f64 v[73:74], v[73:74], -v[31:32]
	v_fma_f64 v[99:100], v[101:102], v[29:30], v[99:100]
	v_mov_b32_e32 v31, v97
	v_mov_b32_e32 v32, v98
	v_add_f64 v[75:76], v[75:76], -v[99:100]
.LBB91_343:
	s_or_b64 exec, exec, s[2:3]
	v_cmp_eq_u32_e32 vcc, 38, v0
	s_waitcnt vmcnt(0)
	s_barrier
	s_and_saveexec_b64 s[4:5], vcc
	s_cbranch_execz .LBB91_350
; %bb.344:
	ds_write2_b64 v127, v[25:26], v[27:28] offset1:1
	ds_write2_b64 v125, v[21:22], v[23:24] offset0:78 offset1:79
	ds_write2_b64 v125, v[17:18], v[19:20] offset0:80 offset1:81
	;; [unrolled: 1-line block ×7, first 2 shown]
	ds_read2_b64 v[97:100], v127 offset1:1
	s_waitcnt lgkmcnt(0)
	v_cmp_neq_f64_e32 vcc, 0, v[97:98]
	v_cmp_neq_f64_e64 s[2:3], 0, v[99:100]
	s_or_b64 s[2:3], vcc, s[2:3]
	s_and_b64 exec, exec, s[2:3]
	s_cbranch_execz .LBB91_350
; %bb.345:
	v_cmp_ngt_f64_e64 s[2:3], |v[97:98]|, |v[99:100]|
                                        ; implicit-def: $vgpr101_vgpr102
	s_and_saveexec_b64 s[6:7], s[2:3]
	s_xor_b64 s[2:3], exec, s[6:7]
                                        ; implicit-def: $vgpr103_vgpr104
	s_cbranch_execz .LBB91_347
; %bb.346:
	v_div_scale_f64 v[101:102], s[6:7], v[99:100], v[99:100], v[97:98]
	v_rcp_f64_e32 v[103:104], v[101:102]
	v_fma_f64 v[105:106], -v[101:102], v[103:104], 1.0
	v_fma_f64 v[103:104], v[103:104], v[105:106], v[103:104]
	v_div_scale_f64 v[105:106], vcc, v[97:98], v[99:100], v[97:98]
	v_fma_f64 v[107:108], -v[101:102], v[103:104], 1.0
	v_fma_f64 v[103:104], v[103:104], v[107:108], v[103:104]
	v_mul_f64 v[107:108], v[105:106], v[103:104]
	v_fma_f64 v[101:102], -v[101:102], v[107:108], v[105:106]
	v_div_fmas_f64 v[101:102], v[101:102], v[103:104], v[107:108]
	v_div_fixup_f64 v[101:102], v[101:102], v[99:100], v[97:98]
	v_fma_f64 v[97:98], v[97:98], v[101:102], v[99:100]
	v_div_scale_f64 v[99:100], s[6:7], v[97:98], v[97:98], 1.0
	v_div_scale_f64 v[107:108], vcc, 1.0, v[97:98], 1.0
	v_rcp_f64_e32 v[103:104], v[99:100]
	v_fma_f64 v[105:106], -v[99:100], v[103:104], 1.0
	v_fma_f64 v[103:104], v[103:104], v[105:106], v[103:104]
	v_fma_f64 v[105:106], -v[99:100], v[103:104], 1.0
	v_fma_f64 v[103:104], v[103:104], v[105:106], v[103:104]
	v_mul_f64 v[105:106], v[107:108], v[103:104]
	v_fma_f64 v[99:100], -v[99:100], v[105:106], v[107:108]
	v_div_fmas_f64 v[99:100], v[99:100], v[103:104], v[105:106]
	v_div_fixup_f64 v[103:104], v[99:100], v[97:98], 1.0
                                        ; implicit-def: $vgpr97_vgpr98
	v_mul_f64 v[101:102], v[101:102], v[103:104]
	v_xor_b32_e32 v104, 0x80000000, v104
.LBB91_347:
	s_andn2_saveexec_b64 s[2:3], s[2:3]
	s_cbranch_execz .LBB91_349
; %bb.348:
	v_div_scale_f64 v[101:102], s[6:7], v[97:98], v[97:98], v[99:100]
	v_rcp_f64_e32 v[103:104], v[101:102]
	v_fma_f64 v[105:106], -v[101:102], v[103:104], 1.0
	v_fma_f64 v[103:104], v[103:104], v[105:106], v[103:104]
	v_div_scale_f64 v[105:106], vcc, v[99:100], v[97:98], v[99:100]
	v_fma_f64 v[107:108], -v[101:102], v[103:104], 1.0
	v_fma_f64 v[103:104], v[103:104], v[107:108], v[103:104]
	v_mul_f64 v[107:108], v[105:106], v[103:104]
	v_fma_f64 v[101:102], -v[101:102], v[107:108], v[105:106]
	v_div_fmas_f64 v[101:102], v[101:102], v[103:104], v[107:108]
	v_div_fixup_f64 v[103:104], v[101:102], v[97:98], v[99:100]
	v_fma_f64 v[97:98], v[99:100], v[103:104], v[97:98]
	v_div_scale_f64 v[99:100], s[6:7], v[97:98], v[97:98], 1.0
	v_div_scale_f64 v[107:108], vcc, 1.0, v[97:98], 1.0
	v_rcp_f64_e32 v[101:102], v[99:100]
	v_fma_f64 v[105:106], -v[99:100], v[101:102], 1.0
	v_fma_f64 v[101:102], v[101:102], v[105:106], v[101:102]
	v_fma_f64 v[105:106], -v[99:100], v[101:102], 1.0
	v_fma_f64 v[101:102], v[101:102], v[105:106], v[101:102]
	v_mul_f64 v[105:106], v[107:108], v[101:102]
	v_fma_f64 v[99:100], -v[99:100], v[105:106], v[107:108]
	v_div_fmas_f64 v[99:100], v[99:100], v[101:102], v[105:106]
	v_div_fixup_f64 v[101:102], v[99:100], v[97:98], 1.0
	v_mul_f64 v[103:104], v[103:104], -v[101:102]
.LBB91_349:
	s_or_b64 exec, exec, s[2:3]
	ds_write2_b64 v127, v[101:102], v[103:104] offset1:1
.LBB91_350:
	s_or_b64 exec, exec, s[4:5]
	s_waitcnt lgkmcnt(0)
	s_barrier
	ds_read2_b64 v[69:72], v127 offset1:1
	v_cmp_lt_u32_e32 vcc, 38, v0
	s_waitcnt lgkmcnt(0)
	buffer_store_dword v69, off, s[20:23], 0 offset:1336 ; 4-byte Folded Spill
	s_nop 0
	buffer_store_dword v70, off, s[20:23], 0 offset:1340 ; 4-byte Folded Spill
	buffer_store_dword v71, off, s[20:23], 0 offset:1344 ; 4-byte Folded Spill
	;; [unrolled: 1-line block ×3, first 2 shown]
	s_and_saveexec_b64 s[2:3], vcc
	s_cbranch_execz .LBB91_352
; %bb.351:
	buffer_load_dword v69, off, s[20:23], 0 offset:1336 ; 4-byte Folded Reload
	buffer_load_dword v70, off, s[20:23], 0 offset:1340 ; 4-byte Folded Reload
	;; [unrolled: 1-line block ×4, first 2 shown]
	ds_read2_b64 v[99:102], v125 offset0:78 offset1:79
	s_waitcnt vmcnt(2)
	v_mul_f64 v[97:98], v[69:70], v[27:28]
	s_waitcnt vmcnt(0)
	v_mul_f64 v[27:28], v[71:72], v[27:28]
	v_fma_f64 v[97:98], v[71:72], v[25:26], v[97:98]
	v_fma_f64 v[25:26], v[69:70], v[25:26], -v[27:28]
	s_waitcnt lgkmcnt(0)
	v_mul_f64 v[27:28], v[101:102], v[97:98]
	v_fma_f64 v[27:28], v[99:100], v[25:26], -v[27:28]
	v_mul_f64 v[99:100], v[99:100], v[97:98]
	v_add_f64 v[21:22], v[21:22], -v[27:28]
	v_fma_f64 v[99:100], v[101:102], v[25:26], v[99:100]
	v_add_f64 v[23:24], v[23:24], -v[99:100]
	ds_read2_b64 v[99:102], v125 offset0:80 offset1:81
	s_waitcnt lgkmcnt(0)
	v_mul_f64 v[27:28], v[101:102], v[97:98]
	v_fma_f64 v[27:28], v[99:100], v[25:26], -v[27:28]
	v_mul_f64 v[99:100], v[99:100], v[97:98]
	v_add_f64 v[17:18], v[17:18], -v[27:28]
	v_fma_f64 v[99:100], v[101:102], v[25:26], v[99:100]
	v_add_f64 v[19:20], v[19:20], -v[99:100]
	ds_read2_b64 v[99:102], v125 offset0:82 offset1:83
	s_waitcnt lgkmcnt(0)
	v_mul_f64 v[27:28], v[101:102], v[97:98]
	v_fma_f64 v[27:28], v[99:100], v[25:26], -v[27:28]
	v_mul_f64 v[99:100], v[99:100], v[97:98]
	v_add_f64 v[13:14], v[13:14], -v[27:28]
	v_fma_f64 v[99:100], v[101:102], v[25:26], v[99:100]
	v_add_f64 v[15:16], v[15:16], -v[99:100]
	ds_read2_b64 v[99:102], v125 offset0:84 offset1:85
	s_waitcnt lgkmcnt(0)
	v_mul_f64 v[27:28], v[101:102], v[97:98]
	v_fma_f64 v[27:28], v[99:100], v[25:26], -v[27:28]
	v_mul_f64 v[99:100], v[99:100], v[97:98]
	v_add_f64 v[9:10], v[9:10], -v[27:28]
	v_fma_f64 v[99:100], v[101:102], v[25:26], v[99:100]
	v_add_f64 v[11:12], v[11:12], -v[99:100]
	ds_read2_b64 v[99:102], v125 offset0:86 offset1:87
	s_waitcnt lgkmcnt(0)
	v_mul_f64 v[27:28], v[101:102], v[97:98]
	v_fma_f64 v[27:28], v[99:100], v[25:26], -v[27:28]
	v_mul_f64 v[99:100], v[99:100], v[97:98]
	v_add_f64 v[5:6], v[5:6], -v[27:28]
	v_fma_f64 v[99:100], v[101:102], v[25:26], v[99:100]
	v_add_f64 v[7:8], v[7:8], -v[99:100]
	ds_read2_b64 v[99:102], v125 offset0:88 offset1:89
	s_waitcnt lgkmcnt(0)
	v_mul_f64 v[27:28], v[101:102], v[97:98]
	v_fma_f64 v[27:28], v[99:100], v[25:26], -v[27:28]
	v_mul_f64 v[99:100], v[99:100], v[97:98]
	v_add_f64 v[1:2], v[1:2], -v[27:28]
	v_fma_f64 v[99:100], v[101:102], v[25:26], v[99:100]
	v_add_f64 v[3:4], v[3:4], -v[99:100]
	ds_read2_b64 v[99:102], v125 offset0:90 offset1:91
	s_waitcnt lgkmcnt(0)
	v_mul_f64 v[27:28], v[101:102], v[97:98]
	v_fma_f64 v[27:28], v[99:100], v[25:26], -v[27:28]
	v_mul_f64 v[99:100], v[99:100], v[97:98]
	v_add_f64 v[73:74], v[73:74], -v[27:28]
	v_fma_f64 v[99:100], v[101:102], v[25:26], v[99:100]
	v_mov_b32_e32 v27, v97
	v_mov_b32_e32 v28, v98
	v_add_f64 v[75:76], v[75:76], -v[99:100]
.LBB91_352:
	s_or_b64 exec, exec, s[2:3]
	v_cmp_eq_u32_e32 vcc, 39, v0
	s_waitcnt vmcnt(0)
	s_barrier
	s_and_saveexec_b64 s[4:5], vcc
	s_cbranch_execz .LBB91_359
; %bb.353:
	ds_write2_b64 v127, v[21:22], v[23:24] offset1:1
	ds_write2_b64 v125, v[17:18], v[19:20] offset0:80 offset1:81
	ds_write2_b64 v125, v[13:14], v[15:16] offset0:82 offset1:83
	;; [unrolled: 1-line block ×6, first 2 shown]
	ds_read2_b64 v[97:100], v127 offset1:1
	s_waitcnt lgkmcnt(0)
	v_cmp_neq_f64_e32 vcc, 0, v[97:98]
	v_cmp_neq_f64_e64 s[2:3], 0, v[99:100]
	s_or_b64 s[2:3], vcc, s[2:3]
	s_and_b64 exec, exec, s[2:3]
	s_cbranch_execz .LBB91_359
; %bb.354:
	v_cmp_ngt_f64_e64 s[2:3], |v[97:98]|, |v[99:100]|
                                        ; implicit-def: $vgpr101_vgpr102
	s_and_saveexec_b64 s[6:7], s[2:3]
	s_xor_b64 s[2:3], exec, s[6:7]
                                        ; implicit-def: $vgpr103_vgpr104
	s_cbranch_execz .LBB91_356
; %bb.355:
	v_div_scale_f64 v[101:102], s[6:7], v[99:100], v[99:100], v[97:98]
	v_rcp_f64_e32 v[103:104], v[101:102]
	v_fma_f64 v[105:106], -v[101:102], v[103:104], 1.0
	v_fma_f64 v[103:104], v[103:104], v[105:106], v[103:104]
	v_div_scale_f64 v[105:106], vcc, v[97:98], v[99:100], v[97:98]
	v_fma_f64 v[107:108], -v[101:102], v[103:104], 1.0
	v_fma_f64 v[103:104], v[103:104], v[107:108], v[103:104]
	v_mul_f64 v[107:108], v[105:106], v[103:104]
	v_fma_f64 v[101:102], -v[101:102], v[107:108], v[105:106]
	v_div_fmas_f64 v[101:102], v[101:102], v[103:104], v[107:108]
	v_div_fixup_f64 v[101:102], v[101:102], v[99:100], v[97:98]
	v_fma_f64 v[97:98], v[97:98], v[101:102], v[99:100]
	v_div_scale_f64 v[99:100], s[6:7], v[97:98], v[97:98], 1.0
	v_div_scale_f64 v[107:108], vcc, 1.0, v[97:98], 1.0
	v_rcp_f64_e32 v[103:104], v[99:100]
	v_fma_f64 v[105:106], -v[99:100], v[103:104], 1.0
	v_fma_f64 v[103:104], v[103:104], v[105:106], v[103:104]
	v_fma_f64 v[105:106], -v[99:100], v[103:104], 1.0
	v_fma_f64 v[103:104], v[103:104], v[105:106], v[103:104]
	v_mul_f64 v[105:106], v[107:108], v[103:104]
	v_fma_f64 v[99:100], -v[99:100], v[105:106], v[107:108]
	v_div_fmas_f64 v[99:100], v[99:100], v[103:104], v[105:106]
	v_div_fixup_f64 v[103:104], v[99:100], v[97:98], 1.0
                                        ; implicit-def: $vgpr97_vgpr98
	v_mul_f64 v[101:102], v[101:102], v[103:104]
	v_xor_b32_e32 v104, 0x80000000, v104
.LBB91_356:
	s_andn2_saveexec_b64 s[2:3], s[2:3]
	s_cbranch_execz .LBB91_358
; %bb.357:
	v_div_scale_f64 v[101:102], s[6:7], v[97:98], v[97:98], v[99:100]
	v_rcp_f64_e32 v[103:104], v[101:102]
	v_fma_f64 v[105:106], -v[101:102], v[103:104], 1.0
	v_fma_f64 v[103:104], v[103:104], v[105:106], v[103:104]
	v_div_scale_f64 v[105:106], vcc, v[99:100], v[97:98], v[99:100]
	v_fma_f64 v[107:108], -v[101:102], v[103:104], 1.0
	v_fma_f64 v[103:104], v[103:104], v[107:108], v[103:104]
	v_mul_f64 v[107:108], v[105:106], v[103:104]
	v_fma_f64 v[101:102], -v[101:102], v[107:108], v[105:106]
	v_div_fmas_f64 v[101:102], v[101:102], v[103:104], v[107:108]
	v_div_fixup_f64 v[103:104], v[101:102], v[97:98], v[99:100]
	v_fma_f64 v[97:98], v[99:100], v[103:104], v[97:98]
	v_div_scale_f64 v[99:100], s[6:7], v[97:98], v[97:98], 1.0
	v_div_scale_f64 v[107:108], vcc, 1.0, v[97:98], 1.0
	v_rcp_f64_e32 v[101:102], v[99:100]
	v_fma_f64 v[105:106], -v[99:100], v[101:102], 1.0
	v_fma_f64 v[101:102], v[101:102], v[105:106], v[101:102]
	v_fma_f64 v[105:106], -v[99:100], v[101:102], 1.0
	v_fma_f64 v[101:102], v[101:102], v[105:106], v[101:102]
	v_mul_f64 v[105:106], v[107:108], v[101:102]
	v_fma_f64 v[99:100], -v[99:100], v[105:106], v[107:108]
	v_div_fmas_f64 v[99:100], v[99:100], v[101:102], v[105:106]
	v_div_fixup_f64 v[101:102], v[99:100], v[97:98], 1.0
	v_mul_f64 v[103:104], v[103:104], -v[101:102]
.LBB91_358:
	s_or_b64 exec, exec, s[2:3]
	ds_write2_b64 v127, v[101:102], v[103:104] offset1:1
.LBB91_359:
	s_or_b64 exec, exec, s[4:5]
	s_waitcnt lgkmcnt(0)
	s_barrier
	ds_read2_b64 v[69:72], v127 offset1:1
	v_cmp_lt_u32_e32 vcc, 39, v0
	s_waitcnt lgkmcnt(0)
	buffer_store_dword v69, off, s[20:23], 0 offset:1352 ; 4-byte Folded Spill
	s_nop 0
	buffer_store_dword v70, off, s[20:23], 0 offset:1356 ; 4-byte Folded Spill
	buffer_store_dword v71, off, s[20:23], 0 offset:1360 ; 4-byte Folded Spill
	;; [unrolled: 1-line block ×3, first 2 shown]
	s_and_saveexec_b64 s[2:3], vcc
	s_cbranch_execz .LBB91_361
; %bb.360:
	buffer_load_dword v69, off, s[20:23], 0 offset:1352 ; 4-byte Folded Reload
	buffer_load_dword v70, off, s[20:23], 0 offset:1356 ; 4-byte Folded Reload
	;; [unrolled: 1-line block ×4, first 2 shown]
	ds_read2_b64 v[99:102], v125 offset0:80 offset1:81
	s_waitcnt vmcnt(2)
	v_mul_f64 v[97:98], v[69:70], v[23:24]
	s_waitcnt vmcnt(0)
	v_mul_f64 v[23:24], v[71:72], v[23:24]
	v_fma_f64 v[97:98], v[71:72], v[21:22], v[97:98]
	v_fma_f64 v[21:22], v[69:70], v[21:22], -v[23:24]
	s_waitcnt lgkmcnt(0)
	v_mul_f64 v[23:24], v[101:102], v[97:98]
	v_fma_f64 v[23:24], v[99:100], v[21:22], -v[23:24]
	v_mul_f64 v[99:100], v[99:100], v[97:98]
	v_add_f64 v[17:18], v[17:18], -v[23:24]
	v_fma_f64 v[99:100], v[101:102], v[21:22], v[99:100]
	v_add_f64 v[19:20], v[19:20], -v[99:100]
	ds_read2_b64 v[99:102], v125 offset0:82 offset1:83
	s_waitcnt lgkmcnt(0)
	v_mul_f64 v[23:24], v[101:102], v[97:98]
	v_fma_f64 v[23:24], v[99:100], v[21:22], -v[23:24]
	v_mul_f64 v[99:100], v[99:100], v[97:98]
	v_add_f64 v[13:14], v[13:14], -v[23:24]
	v_fma_f64 v[99:100], v[101:102], v[21:22], v[99:100]
	v_add_f64 v[15:16], v[15:16], -v[99:100]
	ds_read2_b64 v[99:102], v125 offset0:84 offset1:85
	;; [unrolled: 8-line block ×5, first 2 shown]
	s_waitcnt lgkmcnt(0)
	v_mul_f64 v[23:24], v[101:102], v[97:98]
	v_fma_f64 v[23:24], v[99:100], v[21:22], -v[23:24]
	v_mul_f64 v[99:100], v[99:100], v[97:98]
	v_add_f64 v[73:74], v[73:74], -v[23:24]
	v_fma_f64 v[99:100], v[101:102], v[21:22], v[99:100]
	v_mov_b32_e32 v23, v97
	v_mov_b32_e32 v24, v98
	v_add_f64 v[75:76], v[75:76], -v[99:100]
.LBB91_361:
	s_or_b64 exec, exec, s[2:3]
	v_cmp_eq_u32_e32 vcc, 40, v0
	s_waitcnt vmcnt(0)
	s_barrier
	s_and_saveexec_b64 s[4:5], vcc
	s_cbranch_execz .LBB91_368
; %bb.362:
	ds_write2_b64 v127, v[17:18], v[19:20] offset1:1
	ds_write2_b64 v125, v[13:14], v[15:16] offset0:82 offset1:83
	ds_write2_b64 v125, v[9:10], v[11:12] offset0:84 offset1:85
	;; [unrolled: 1-line block ×5, first 2 shown]
	ds_read2_b64 v[97:100], v127 offset1:1
	s_waitcnt lgkmcnt(0)
	v_cmp_neq_f64_e32 vcc, 0, v[97:98]
	v_cmp_neq_f64_e64 s[2:3], 0, v[99:100]
	s_or_b64 s[2:3], vcc, s[2:3]
	s_and_b64 exec, exec, s[2:3]
	s_cbranch_execz .LBB91_368
; %bb.363:
	v_cmp_ngt_f64_e64 s[2:3], |v[97:98]|, |v[99:100]|
                                        ; implicit-def: $vgpr101_vgpr102
	s_and_saveexec_b64 s[6:7], s[2:3]
	s_xor_b64 s[2:3], exec, s[6:7]
                                        ; implicit-def: $vgpr103_vgpr104
	s_cbranch_execz .LBB91_365
; %bb.364:
	v_div_scale_f64 v[101:102], s[6:7], v[99:100], v[99:100], v[97:98]
	v_rcp_f64_e32 v[103:104], v[101:102]
	v_fma_f64 v[105:106], -v[101:102], v[103:104], 1.0
	v_fma_f64 v[103:104], v[103:104], v[105:106], v[103:104]
	v_div_scale_f64 v[105:106], vcc, v[97:98], v[99:100], v[97:98]
	v_fma_f64 v[107:108], -v[101:102], v[103:104], 1.0
	v_fma_f64 v[103:104], v[103:104], v[107:108], v[103:104]
	v_mul_f64 v[107:108], v[105:106], v[103:104]
	v_fma_f64 v[101:102], -v[101:102], v[107:108], v[105:106]
	v_div_fmas_f64 v[101:102], v[101:102], v[103:104], v[107:108]
	v_div_fixup_f64 v[101:102], v[101:102], v[99:100], v[97:98]
	v_fma_f64 v[97:98], v[97:98], v[101:102], v[99:100]
	v_div_scale_f64 v[99:100], s[6:7], v[97:98], v[97:98], 1.0
	v_div_scale_f64 v[107:108], vcc, 1.0, v[97:98], 1.0
	v_rcp_f64_e32 v[103:104], v[99:100]
	v_fma_f64 v[105:106], -v[99:100], v[103:104], 1.0
	v_fma_f64 v[103:104], v[103:104], v[105:106], v[103:104]
	v_fma_f64 v[105:106], -v[99:100], v[103:104], 1.0
	v_fma_f64 v[103:104], v[103:104], v[105:106], v[103:104]
	v_mul_f64 v[105:106], v[107:108], v[103:104]
	v_fma_f64 v[99:100], -v[99:100], v[105:106], v[107:108]
	v_div_fmas_f64 v[99:100], v[99:100], v[103:104], v[105:106]
	v_div_fixup_f64 v[103:104], v[99:100], v[97:98], 1.0
                                        ; implicit-def: $vgpr97_vgpr98
	v_mul_f64 v[101:102], v[101:102], v[103:104]
	v_xor_b32_e32 v104, 0x80000000, v104
.LBB91_365:
	s_andn2_saveexec_b64 s[2:3], s[2:3]
	s_cbranch_execz .LBB91_367
; %bb.366:
	v_div_scale_f64 v[101:102], s[6:7], v[97:98], v[97:98], v[99:100]
	v_rcp_f64_e32 v[103:104], v[101:102]
	v_fma_f64 v[105:106], -v[101:102], v[103:104], 1.0
	v_fma_f64 v[103:104], v[103:104], v[105:106], v[103:104]
	v_div_scale_f64 v[105:106], vcc, v[99:100], v[97:98], v[99:100]
	v_fma_f64 v[107:108], -v[101:102], v[103:104], 1.0
	v_fma_f64 v[103:104], v[103:104], v[107:108], v[103:104]
	v_mul_f64 v[107:108], v[105:106], v[103:104]
	v_fma_f64 v[101:102], -v[101:102], v[107:108], v[105:106]
	v_div_fmas_f64 v[101:102], v[101:102], v[103:104], v[107:108]
	v_div_fixup_f64 v[103:104], v[101:102], v[97:98], v[99:100]
	v_fma_f64 v[97:98], v[99:100], v[103:104], v[97:98]
	v_div_scale_f64 v[99:100], s[6:7], v[97:98], v[97:98], 1.0
	v_div_scale_f64 v[107:108], vcc, 1.0, v[97:98], 1.0
	v_rcp_f64_e32 v[101:102], v[99:100]
	v_fma_f64 v[105:106], -v[99:100], v[101:102], 1.0
	v_fma_f64 v[101:102], v[101:102], v[105:106], v[101:102]
	v_fma_f64 v[105:106], -v[99:100], v[101:102], 1.0
	v_fma_f64 v[101:102], v[101:102], v[105:106], v[101:102]
	v_mul_f64 v[105:106], v[107:108], v[101:102]
	v_fma_f64 v[99:100], -v[99:100], v[105:106], v[107:108]
	v_div_fmas_f64 v[99:100], v[99:100], v[101:102], v[105:106]
	v_div_fixup_f64 v[101:102], v[99:100], v[97:98], 1.0
	v_mul_f64 v[103:104], v[103:104], -v[101:102]
.LBB91_367:
	s_or_b64 exec, exec, s[2:3]
	ds_write2_b64 v127, v[101:102], v[103:104] offset1:1
.LBB91_368:
	s_or_b64 exec, exec, s[4:5]
	s_waitcnt lgkmcnt(0)
	s_barrier
	ds_read2_b64 v[69:72], v127 offset1:1
	v_cmp_lt_u32_e32 vcc, 40, v0
	s_waitcnt lgkmcnt(0)
	buffer_store_dword v69, off, s[20:23], 0 offset:1368 ; 4-byte Folded Spill
	s_nop 0
	buffer_store_dword v70, off, s[20:23], 0 offset:1372 ; 4-byte Folded Spill
	buffer_store_dword v71, off, s[20:23], 0 offset:1376 ; 4-byte Folded Spill
	;; [unrolled: 1-line block ×3, first 2 shown]
	s_and_saveexec_b64 s[2:3], vcc
	s_cbranch_execz .LBB91_370
; %bb.369:
	buffer_load_dword v69, off, s[20:23], 0 offset:1368 ; 4-byte Folded Reload
	buffer_load_dword v70, off, s[20:23], 0 offset:1372 ; 4-byte Folded Reload
	;; [unrolled: 1-line block ×4, first 2 shown]
	s_waitcnt vmcnt(2)
	v_mul_f64 v[97:98], v[69:70], v[19:20]
	s_waitcnt vmcnt(0)
	v_mul_f64 v[19:20], v[71:72], v[19:20]
	v_fma_f64 v[101:102], v[71:72], v[17:18], v[97:98]
	ds_read2_b64 v[97:100], v125 offset0:82 offset1:83
	v_fma_f64 v[17:18], v[69:70], v[17:18], -v[19:20]
	s_waitcnt lgkmcnt(0)
	v_mul_f64 v[19:20], v[99:100], v[101:102]
	v_fma_f64 v[19:20], v[97:98], v[17:18], -v[19:20]
	v_mul_f64 v[97:98], v[97:98], v[101:102]
	v_add_f64 v[13:14], v[13:14], -v[19:20]
	v_fma_f64 v[97:98], v[99:100], v[17:18], v[97:98]
	v_add_f64 v[15:16], v[15:16], -v[97:98]
	ds_read2_b64 v[97:100], v125 offset0:84 offset1:85
	s_waitcnt lgkmcnt(0)
	v_mul_f64 v[19:20], v[99:100], v[101:102]
	v_fma_f64 v[19:20], v[97:98], v[17:18], -v[19:20]
	v_mul_f64 v[97:98], v[97:98], v[101:102]
	v_add_f64 v[9:10], v[9:10], -v[19:20]
	v_fma_f64 v[97:98], v[99:100], v[17:18], v[97:98]
	v_add_f64 v[11:12], v[11:12], -v[97:98]
	ds_read2_b64 v[97:100], v125 offset0:86 offset1:87
	;; [unrolled: 8-line block ×4, first 2 shown]
	s_waitcnt lgkmcnt(0)
	v_mul_f64 v[19:20], v[99:100], v[101:102]
	v_fma_f64 v[19:20], v[97:98], v[17:18], -v[19:20]
	v_mul_f64 v[97:98], v[97:98], v[101:102]
	v_add_f64 v[73:74], v[73:74], -v[19:20]
	v_fma_f64 v[97:98], v[99:100], v[17:18], v[97:98]
	v_mov_b32_e32 v19, v101
	v_mov_b32_e32 v20, v102
	v_add_f64 v[75:76], v[75:76], -v[97:98]
.LBB91_370:
	s_or_b64 exec, exec, s[2:3]
	v_cmp_eq_u32_e32 vcc, 41, v0
	s_waitcnt vmcnt(0)
	s_barrier
	s_and_saveexec_b64 s[4:5], vcc
	s_cbranch_execz .LBB91_377
; %bb.371:
	ds_write2_b64 v127, v[13:14], v[15:16] offset1:1
	ds_write2_b64 v125, v[9:10], v[11:12] offset0:84 offset1:85
	ds_write2_b64 v125, v[5:6], v[7:8] offset0:86 offset1:87
	;; [unrolled: 1-line block ×4, first 2 shown]
	ds_read2_b64 v[97:100], v127 offset1:1
	s_waitcnt lgkmcnt(0)
	v_cmp_neq_f64_e32 vcc, 0, v[97:98]
	v_cmp_neq_f64_e64 s[2:3], 0, v[99:100]
	s_or_b64 s[2:3], vcc, s[2:3]
	s_and_b64 exec, exec, s[2:3]
	s_cbranch_execz .LBB91_377
; %bb.372:
	v_cmp_ngt_f64_e64 s[2:3], |v[97:98]|, |v[99:100]|
                                        ; implicit-def: $vgpr101_vgpr102
	s_and_saveexec_b64 s[6:7], s[2:3]
	s_xor_b64 s[2:3], exec, s[6:7]
                                        ; implicit-def: $vgpr103_vgpr104
	s_cbranch_execz .LBB91_374
; %bb.373:
	v_div_scale_f64 v[101:102], s[6:7], v[99:100], v[99:100], v[97:98]
	v_rcp_f64_e32 v[103:104], v[101:102]
	v_fma_f64 v[105:106], -v[101:102], v[103:104], 1.0
	v_fma_f64 v[103:104], v[103:104], v[105:106], v[103:104]
	v_div_scale_f64 v[105:106], vcc, v[97:98], v[99:100], v[97:98]
	v_fma_f64 v[107:108], -v[101:102], v[103:104], 1.0
	v_fma_f64 v[103:104], v[103:104], v[107:108], v[103:104]
	v_mul_f64 v[107:108], v[105:106], v[103:104]
	v_fma_f64 v[101:102], -v[101:102], v[107:108], v[105:106]
	v_div_fmas_f64 v[101:102], v[101:102], v[103:104], v[107:108]
	v_div_fixup_f64 v[101:102], v[101:102], v[99:100], v[97:98]
	v_fma_f64 v[97:98], v[97:98], v[101:102], v[99:100]
	v_div_scale_f64 v[99:100], s[6:7], v[97:98], v[97:98], 1.0
	v_div_scale_f64 v[107:108], vcc, 1.0, v[97:98], 1.0
	v_rcp_f64_e32 v[103:104], v[99:100]
	v_fma_f64 v[105:106], -v[99:100], v[103:104], 1.0
	v_fma_f64 v[103:104], v[103:104], v[105:106], v[103:104]
	v_fma_f64 v[105:106], -v[99:100], v[103:104], 1.0
	v_fma_f64 v[103:104], v[103:104], v[105:106], v[103:104]
	v_mul_f64 v[105:106], v[107:108], v[103:104]
	v_fma_f64 v[99:100], -v[99:100], v[105:106], v[107:108]
	v_div_fmas_f64 v[99:100], v[99:100], v[103:104], v[105:106]
	v_div_fixup_f64 v[103:104], v[99:100], v[97:98], 1.0
                                        ; implicit-def: $vgpr97_vgpr98
	v_mul_f64 v[101:102], v[101:102], v[103:104]
	v_xor_b32_e32 v104, 0x80000000, v104
.LBB91_374:
	s_andn2_saveexec_b64 s[2:3], s[2:3]
	s_cbranch_execz .LBB91_376
; %bb.375:
	v_div_scale_f64 v[101:102], s[6:7], v[97:98], v[97:98], v[99:100]
	v_rcp_f64_e32 v[103:104], v[101:102]
	v_fma_f64 v[105:106], -v[101:102], v[103:104], 1.0
	v_fma_f64 v[103:104], v[103:104], v[105:106], v[103:104]
	v_div_scale_f64 v[105:106], vcc, v[99:100], v[97:98], v[99:100]
	v_fma_f64 v[107:108], -v[101:102], v[103:104], 1.0
	v_fma_f64 v[103:104], v[103:104], v[107:108], v[103:104]
	v_mul_f64 v[107:108], v[105:106], v[103:104]
	v_fma_f64 v[101:102], -v[101:102], v[107:108], v[105:106]
	v_div_fmas_f64 v[101:102], v[101:102], v[103:104], v[107:108]
	v_div_fixup_f64 v[103:104], v[101:102], v[97:98], v[99:100]
	v_fma_f64 v[97:98], v[99:100], v[103:104], v[97:98]
	v_div_scale_f64 v[99:100], s[6:7], v[97:98], v[97:98], 1.0
	v_div_scale_f64 v[107:108], vcc, 1.0, v[97:98], 1.0
	v_rcp_f64_e32 v[101:102], v[99:100]
	v_fma_f64 v[105:106], -v[99:100], v[101:102], 1.0
	v_fma_f64 v[101:102], v[101:102], v[105:106], v[101:102]
	v_fma_f64 v[105:106], -v[99:100], v[101:102], 1.0
	v_fma_f64 v[101:102], v[101:102], v[105:106], v[101:102]
	v_mul_f64 v[105:106], v[107:108], v[101:102]
	v_fma_f64 v[99:100], -v[99:100], v[105:106], v[107:108]
	v_div_fmas_f64 v[99:100], v[99:100], v[101:102], v[105:106]
	v_div_fixup_f64 v[101:102], v[99:100], v[97:98], 1.0
	v_mul_f64 v[103:104], v[103:104], -v[101:102]
.LBB91_376:
	s_or_b64 exec, exec, s[2:3]
	ds_write2_b64 v127, v[101:102], v[103:104] offset1:1
.LBB91_377:
	s_or_b64 exec, exec, s[4:5]
	s_waitcnt lgkmcnt(0)
	s_barrier
	ds_read2_b64 v[69:72], v127 offset1:1
	v_cmp_lt_u32_e32 vcc, 41, v0
	s_waitcnt lgkmcnt(0)
	buffer_store_dword v69, off, s[20:23], 0 offset:1384 ; 4-byte Folded Spill
	s_nop 0
	buffer_store_dword v70, off, s[20:23], 0 offset:1388 ; 4-byte Folded Spill
	buffer_store_dword v71, off, s[20:23], 0 offset:1392 ; 4-byte Folded Spill
	;; [unrolled: 1-line block ×3, first 2 shown]
	s_and_saveexec_b64 s[2:3], vcc
	s_cbranch_execz .LBB91_379
; %bb.378:
	buffer_load_dword v69, off, s[20:23], 0 offset:1384 ; 4-byte Folded Reload
	buffer_load_dword v70, off, s[20:23], 0 offset:1388 ; 4-byte Folded Reload
	;; [unrolled: 1-line block ×4, first 2 shown]
	s_waitcnt vmcnt(2)
	v_mul_f64 v[97:98], v[69:70], v[15:16]
	s_waitcnt vmcnt(0)
	v_mul_f64 v[15:16], v[71:72], v[15:16]
	v_fma_f64 v[101:102], v[71:72], v[13:14], v[97:98]
	ds_read2_b64 v[97:100], v125 offset0:84 offset1:85
	v_fma_f64 v[13:14], v[69:70], v[13:14], -v[15:16]
	s_waitcnt lgkmcnt(0)
	v_mul_f64 v[15:16], v[99:100], v[101:102]
	v_fma_f64 v[15:16], v[97:98], v[13:14], -v[15:16]
	v_mul_f64 v[97:98], v[97:98], v[101:102]
	v_add_f64 v[9:10], v[9:10], -v[15:16]
	v_fma_f64 v[97:98], v[99:100], v[13:14], v[97:98]
	v_add_f64 v[11:12], v[11:12], -v[97:98]
	ds_read2_b64 v[97:100], v125 offset0:86 offset1:87
	s_waitcnt lgkmcnt(0)
	v_mul_f64 v[15:16], v[99:100], v[101:102]
	v_fma_f64 v[15:16], v[97:98], v[13:14], -v[15:16]
	v_mul_f64 v[97:98], v[97:98], v[101:102]
	v_add_f64 v[5:6], v[5:6], -v[15:16]
	v_fma_f64 v[97:98], v[99:100], v[13:14], v[97:98]
	v_add_f64 v[7:8], v[7:8], -v[97:98]
	ds_read2_b64 v[97:100], v125 offset0:88 offset1:89
	;; [unrolled: 8-line block ×3, first 2 shown]
	s_waitcnt lgkmcnt(0)
	v_mul_f64 v[15:16], v[99:100], v[101:102]
	v_fma_f64 v[15:16], v[97:98], v[13:14], -v[15:16]
	v_mul_f64 v[97:98], v[97:98], v[101:102]
	v_add_f64 v[73:74], v[73:74], -v[15:16]
	v_fma_f64 v[97:98], v[99:100], v[13:14], v[97:98]
	v_mov_b32_e32 v15, v101
	v_mov_b32_e32 v16, v102
	v_add_f64 v[75:76], v[75:76], -v[97:98]
.LBB91_379:
	s_or_b64 exec, exec, s[2:3]
	v_cmp_eq_u32_e32 vcc, 42, v0
	s_waitcnt vmcnt(0)
	s_barrier
	s_and_saveexec_b64 s[4:5], vcc
	s_cbranch_execz .LBB91_386
; %bb.380:
	ds_write2_b64 v127, v[9:10], v[11:12] offset1:1
	ds_write2_b64 v125, v[5:6], v[7:8] offset0:86 offset1:87
	ds_write2_b64 v125, v[1:2], v[3:4] offset0:88 offset1:89
	;; [unrolled: 1-line block ×3, first 2 shown]
	ds_read2_b64 v[97:100], v127 offset1:1
	s_waitcnt lgkmcnt(0)
	v_cmp_neq_f64_e32 vcc, 0, v[97:98]
	v_cmp_neq_f64_e64 s[2:3], 0, v[99:100]
	s_or_b64 s[2:3], vcc, s[2:3]
	s_and_b64 exec, exec, s[2:3]
	s_cbranch_execz .LBB91_386
; %bb.381:
	v_cmp_ngt_f64_e64 s[2:3], |v[97:98]|, |v[99:100]|
                                        ; implicit-def: $vgpr101_vgpr102
	s_and_saveexec_b64 s[6:7], s[2:3]
	s_xor_b64 s[2:3], exec, s[6:7]
                                        ; implicit-def: $vgpr103_vgpr104
	s_cbranch_execz .LBB91_383
; %bb.382:
	v_div_scale_f64 v[101:102], s[6:7], v[99:100], v[99:100], v[97:98]
	v_rcp_f64_e32 v[103:104], v[101:102]
	v_fma_f64 v[105:106], -v[101:102], v[103:104], 1.0
	v_fma_f64 v[103:104], v[103:104], v[105:106], v[103:104]
	v_div_scale_f64 v[105:106], vcc, v[97:98], v[99:100], v[97:98]
	v_fma_f64 v[107:108], -v[101:102], v[103:104], 1.0
	v_fma_f64 v[103:104], v[103:104], v[107:108], v[103:104]
	v_mul_f64 v[107:108], v[105:106], v[103:104]
	v_fma_f64 v[101:102], -v[101:102], v[107:108], v[105:106]
	v_div_fmas_f64 v[101:102], v[101:102], v[103:104], v[107:108]
	v_div_fixup_f64 v[101:102], v[101:102], v[99:100], v[97:98]
	v_fma_f64 v[97:98], v[97:98], v[101:102], v[99:100]
	v_div_scale_f64 v[99:100], s[6:7], v[97:98], v[97:98], 1.0
	v_div_scale_f64 v[107:108], vcc, 1.0, v[97:98], 1.0
	v_rcp_f64_e32 v[103:104], v[99:100]
	v_fma_f64 v[105:106], -v[99:100], v[103:104], 1.0
	v_fma_f64 v[103:104], v[103:104], v[105:106], v[103:104]
	v_fma_f64 v[105:106], -v[99:100], v[103:104], 1.0
	v_fma_f64 v[103:104], v[103:104], v[105:106], v[103:104]
	v_mul_f64 v[105:106], v[107:108], v[103:104]
	v_fma_f64 v[99:100], -v[99:100], v[105:106], v[107:108]
	v_div_fmas_f64 v[99:100], v[99:100], v[103:104], v[105:106]
	v_div_fixup_f64 v[103:104], v[99:100], v[97:98], 1.0
                                        ; implicit-def: $vgpr97_vgpr98
	v_mul_f64 v[101:102], v[101:102], v[103:104]
	v_xor_b32_e32 v104, 0x80000000, v104
.LBB91_383:
	s_andn2_saveexec_b64 s[2:3], s[2:3]
	s_cbranch_execz .LBB91_385
; %bb.384:
	v_div_scale_f64 v[101:102], s[6:7], v[97:98], v[97:98], v[99:100]
	v_rcp_f64_e32 v[103:104], v[101:102]
	v_fma_f64 v[105:106], -v[101:102], v[103:104], 1.0
	v_fma_f64 v[103:104], v[103:104], v[105:106], v[103:104]
	v_div_scale_f64 v[105:106], vcc, v[99:100], v[97:98], v[99:100]
	v_fma_f64 v[107:108], -v[101:102], v[103:104], 1.0
	v_fma_f64 v[103:104], v[103:104], v[107:108], v[103:104]
	v_mul_f64 v[107:108], v[105:106], v[103:104]
	v_fma_f64 v[101:102], -v[101:102], v[107:108], v[105:106]
	v_div_fmas_f64 v[101:102], v[101:102], v[103:104], v[107:108]
	v_div_fixup_f64 v[103:104], v[101:102], v[97:98], v[99:100]
	v_fma_f64 v[97:98], v[99:100], v[103:104], v[97:98]
	v_div_scale_f64 v[99:100], s[6:7], v[97:98], v[97:98], 1.0
	v_div_scale_f64 v[107:108], vcc, 1.0, v[97:98], 1.0
	v_rcp_f64_e32 v[101:102], v[99:100]
	v_fma_f64 v[105:106], -v[99:100], v[101:102], 1.0
	v_fma_f64 v[101:102], v[101:102], v[105:106], v[101:102]
	v_fma_f64 v[105:106], -v[99:100], v[101:102], 1.0
	v_fma_f64 v[101:102], v[101:102], v[105:106], v[101:102]
	v_mul_f64 v[105:106], v[107:108], v[101:102]
	v_fma_f64 v[99:100], -v[99:100], v[105:106], v[107:108]
	v_div_fmas_f64 v[99:100], v[99:100], v[101:102], v[105:106]
	v_div_fixup_f64 v[101:102], v[99:100], v[97:98], 1.0
	v_mul_f64 v[103:104], v[103:104], -v[101:102]
.LBB91_385:
	s_or_b64 exec, exec, s[2:3]
	ds_write2_b64 v127, v[101:102], v[103:104] offset1:1
.LBB91_386:
	s_or_b64 exec, exec, s[4:5]
	s_waitcnt lgkmcnt(0)
	s_barrier
	ds_read2_b64 v[69:72], v127 offset1:1
	v_cmp_lt_u32_e32 vcc, 42, v0
	s_waitcnt lgkmcnt(0)
	buffer_store_dword v69, off, s[20:23], 0 offset:1400 ; 4-byte Folded Spill
	s_nop 0
	buffer_store_dword v70, off, s[20:23], 0 offset:1404 ; 4-byte Folded Spill
	buffer_store_dword v71, off, s[20:23], 0 offset:1408 ; 4-byte Folded Spill
	;; [unrolled: 1-line block ×3, first 2 shown]
	s_and_saveexec_b64 s[2:3], vcc
	s_cbranch_execz .LBB91_388
; %bb.387:
	buffer_load_dword v69, off, s[20:23], 0 offset:1400 ; 4-byte Folded Reload
	buffer_load_dword v70, off, s[20:23], 0 offset:1404 ; 4-byte Folded Reload
	;; [unrolled: 1-line block ×4, first 2 shown]
	s_waitcnt vmcnt(2)
	v_mul_f64 v[97:98], v[69:70], v[11:12]
	s_waitcnt vmcnt(0)
	v_mul_f64 v[11:12], v[71:72], v[11:12]
	v_fma_f64 v[101:102], v[71:72], v[9:10], v[97:98]
	ds_read2_b64 v[97:100], v125 offset0:86 offset1:87
	v_fma_f64 v[9:10], v[69:70], v[9:10], -v[11:12]
	s_waitcnt lgkmcnt(0)
	v_mul_f64 v[11:12], v[99:100], v[101:102]
	v_fma_f64 v[11:12], v[97:98], v[9:10], -v[11:12]
	v_mul_f64 v[97:98], v[97:98], v[101:102]
	v_add_f64 v[5:6], v[5:6], -v[11:12]
	v_fma_f64 v[97:98], v[99:100], v[9:10], v[97:98]
	v_add_f64 v[7:8], v[7:8], -v[97:98]
	ds_read2_b64 v[97:100], v125 offset0:88 offset1:89
	s_waitcnt lgkmcnt(0)
	v_mul_f64 v[11:12], v[99:100], v[101:102]
	v_fma_f64 v[11:12], v[97:98], v[9:10], -v[11:12]
	v_mul_f64 v[97:98], v[97:98], v[101:102]
	v_add_f64 v[1:2], v[1:2], -v[11:12]
	v_fma_f64 v[97:98], v[99:100], v[9:10], v[97:98]
	v_add_f64 v[3:4], v[3:4], -v[97:98]
	ds_read2_b64 v[97:100], v125 offset0:90 offset1:91
	s_waitcnt lgkmcnt(0)
	v_mul_f64 v[11:12], v[99:100], v[101:102]
	v_fma_f64 v[11:12], v[97:98], v[9:10], -v[11:12]
	v_mul_f64 v[97:98], v[97:98], v[101:102]
	v_add_f64 v[73:74], v[73:74], -v[11:12]
	v_fma_f64 v[97:98], v[99:100], v[9:10], v[97:98]
	v_mov_b32_e32 v11, v101
	v_mov_b32_e32 v12, v102
	v_add_f64 v[75:76], v[75:76], -v[97:98]
.LBB91_388:
	s_or_b64 exec, exec, s[2:3]
	v_cmp_eq_u32_e32 vcc, 43, v0
	s_waitcnt vmcnt(0)
	s_barrier
	s_and_saveexec_b64 s[4:5], vcc
	s_cbranch_execz .LBB91_395
; %bb.389:
	ds_write2_b64 v127, v[5:6], v[7:8] offset1:1
	ds_write2_b64 v125, v[1:2], v[3:4] offset0:88 offset1:89
	ds_write2_b64 v125, v[73:74], v[75:76] offset0:90 offset1:91
	ds_read2_b64 v[97:100], v127 offset1:1
	s_waitcnt lgkmcnt(0)
	v_cmp_neq_f64_e32 vcc, 0, v[97:98]
	v_cmp_neq_f64_e64 s[2:3], 0, v[99:100]
	s_or_b64 s[2:3], vcc, s[2:3]
	s_and_b64 exec, exec, s[2:3]
	s_cbranch_execz .LBB91_395
; %bb.390:
	v_cmp_ngt_f64_e64 s[2:3], |v[97:98]|, |v[99:100]|
                                        ; implicit-def: $vgpr101_vgpr102
	s_and_saveexec_b64 s[6:7], s[2:3]
	s_xor_b64 s[2:3], exec, s[6:7]
                                        ; implicit-def: $vgpr103_vgpr104
	s_cbranch_execz .LBB91_392
; %bb.391:
	v_div_scale_f64 v[101:102], s[6:7], v[99:100], v[99:100], v[97:98]
	v_rcp_f64_e32 v[103:104], v[101:102]
	v_fma_f64 v[105:106], -v[101:102], v[103:104], 1.0
	v_fma_f64 v[103:104], v[103:104], v[105:106], v[103:104]
	v_div_scale_f64 v[105:106], vcc, v[97:98], v[99:100], v[97:98]
	v_fma_f64 v[107:108], -v[101:102], v[103:104], 1.0
	v_fma_f64 v[103:104], v[103:104], v[107:108], v[103:104]
	v_mul_f64 v[107:108], v[105:106], v[103:104]
	v_fma_f64 v[101:102], -v[101:102], v[107:108], v[105:106]
	v_div_fmas_f64 v[101:102], v[101:102], v[103:104], v[107:108]
	v_div_fixup_f64 v[101:102], v[101:102], v[99:100], v[97:98]
	v_fma_f64 v[97:98], v[97:98], v[101:102], v[99:100]
	v_div_scale_f64 v[99:100], s[6:7], v[97:98], v[97:98], 1.0
	v_div_scale_f64 v[107:108], vcc, 1.0, v[97:98], 1.0
	v_rcp_f64_e32 v[103:104], v[99:100]
	v_fma_f64 v[105:106], -v[99:100], v[103:104], 1.0
	v_fma_f64 v[103:104], v[103:104], v[105:106], v[103:104]
	v_fma_f64 v[105:106], -v[99:100], v[103:104], 1.0
	v_fma_f64 v[103:104], v[103:104], v[105:106], v[103:104]
	v_mul_f64 v[105:106], v[107:108], v[103:104]
	v_fma_f64 v[99:100], -v[99:100], v[105:106], v[107:108]
	v_div_fmas_f64 v[99:100], v[99:100], v[103:104], v[105:106]
	v_div_fixup_f64 v[103:104], v[99:100], v[97:98], 1.0
                                        ; implicit-def: $vgpr97_vgpr98
	v_mul_f64 v[101:102], v[101:102], v[103:104]
	v_xor_b32_e32 v104, 0x80000000, v104
.LBB91_392:
	s_andn2_saveexec_b64 s[2:3], s[2:3]
	s_cbranch_execz .LBB91_394
; %bb.393:
	v_div_scale_f64 v[101:102], s[6:7], v[97:98], v[97:98], v[99:100]
	v_rcp_f64_e32 v[103:104], v[101:102]
	v_fma_f64 v[105:106], -v[101:102], v[103:104], 1.0
	v_fma_f64 v[103:104], v[103:104], v[105:106], v[103:104]
	v_div_scale_f64 v[105:106], vcc, v[99:100], v[97:98], v[99:100]
	v_fma_f64 v[107:108], -v[101:102], v[103:104], 1.0
	v_fma_f64 v[103:104], v[103:104], v[107:108], v[103:104]
	v_mul_f64 v[107:108], v[105:106], v[103:104]
	v_fma_f64 v[101:102], -v[101:102], v[107:108], v[105:106]
	v_div_fmas_f64 v[101:102], v[101:102], v[103:104], v[107:108]
	v_div_fixup_f64 v[103:104], v[101:102], v[97:98], v[99:100]
	v_fma_f64 v[97:98], v[99:100], v[103:104], v[97:98]
	v_div_scale_f64 v[99:100], s[6:7], v[97:98], v[97:98], 1.0
	v_div_scale_f64 v[107:108], vcc, 1.0, v[97:98], 1.0
	v_rcp_f64_e32 v[101:102], v[99:100]
	v_fma_f64 v[105:106], -v[99:100], v[101:102], 1.0
	v_fma_f64 v[101:102], v[101:102], v[105:106], v[101:102]
	v_fma_f64 v[105:106], -v[99:100], v[101:102], 1.0
	v_fma_f64 v[101:102], v[101:102], v[105:106], v[101:102]
	v_mul_f64 v[105:106], v[107:108], v[101:102]
	v_fma_f64 v[99:100], -v[99:100], v[105:106], v[107:108]
	v_div_fmas_f64 v[99:100], v[99:100], v[101:102], v[105:106]
	v_div_fixup_f64 v[101:102], v[99:100], v[97:98], 1.0
	v_mul_f64 v[103:104], v[103:104], -v[101:102]
.LBB91_394:
	s_or_b64 exec, exec, s[2:3]
	ds_write2_b64 v127, v[101:102], v[103:104] offset1:1
.LBB91_395:
	s_or_b64 exec, exec, s[4:5]
	s_waitcnt lgkmcnt(0)
	s_barrier
	ds_read2_b64 v[69:72], v127 offset1:1
	v_cmp_lt_u32_e32 vcc, 43, v0
	s_and_saveexec_b64 s[2:3], vcc
	s_cbranch_execz .LBB91_397
; %bb.396:
	s_waitcnt lgkmcnt(0)
	v_mul_f64 v[97:98], v[69:70], v[7:8]
	v_mul_f64 v[7:8], v[71:72], v[7:8]
	v_fma_f64 v[105:106], v[71:72], v[5:6], v[97:98]
	ds_read2_b64 v[97:100], v125 offset0:88 offset1:89
	v_fma_f64 v[5:6], v[69:70], v[5:6], -v[7:8]
	s_waitcnt lgkmcnt(0)
	v_mul_f64 v[7:8], v[99:100], v[105:106]
	v_fma_f64 v[7:8], v[97:98], v[5:6], -v[7:8]
	v_mul_f64 v[97:98], v[97:98], v[105:106]
	v_add_f64 v[1:2], v[1:2], -v[7:8]
	v_fma_f64 v[97:98], v[99:100], v[5:6], v[97:98]
	v_add_f64 v[3:4], v[3:4], -v[97:98]
	ds_read2_b64 v[97:100], v125 offset0:90 offset1:91
	s_waitcnt lgkmcnt(0)
	v_mul_f64 v[7:8], v[99:100], v[105:106]
	v_fma_f64 v[7:8], v[97:98], v[5:6], -v[7:8]
	v_mul_f64 v[97:98], v[97:98], v[105:106]
	v_add_f64 v[73:74], v[73:74], -v[7:8]
	v_fma_f64 v[97:98], v[99:100], v[5:6], v[97:98]
	v_mov_b32_e32 v7, v105
	v_mov_b32_e32 v8, v106
	v_add_f64 v[75:76], v[75:76], -v[97:98]
.LBB91_397:
	s_or_b64 exec, exec, s[2:3]
	v_cmp_eq_u32_e32 vcc, 44, v0
	s_waitcnt lgkmcnt(0)
	s_barrier
	s_and_saveexec_b64 s[4:5], vcc
	s_cbranch_execz .LBB91_404
; %bb.398:
	ds_write2_b64 v127, v[1:2], v[3:4] offset1:1
	ds_write2_b64 v125, v[73:74], v[75:76] offset0:90 offset1:91
	ds_read2_b64 v[97:100], v127 offset1:1
	s_waitcnt lgkmcnt(0)
	v_cmp_neq_f64_e32 vcc, 0, v[97:98]
	v_cmp_neq_f64_e64 s[2:3], 0, v[99:100]
	s_or_b64 s[2:3], vcc, s[2:3]
	s_and_b64 exec, exec, s[2:3]
	s_cbranch_execz .LBB91_404
; %bb.399:
	v_cmp_ngt_f64_e64 s[2:3], |v[97:98]|, |v[99:100]|
                                        ; implicit-def: $vgpr105_vgpr106
	s_and_saveexec_b64 s[6:7], s[2:3]
	s_xor_b64 s[2:3], exec, s[6:7]
                                        ; implicit-def: $vgpr107_vgpr108
	s_cbranch_execz .LBB91_401
; %bb.400:
	v_div_scale_f64 v[105:106], s[6:7], v[99:100], v[99:100], v[97:98]
	v_mov_b32_e32 v77, v93
	v_mov_b32_e32 v78, v94
	;; [unrolled: 1-line block ×4, first 2 shown]
	v_div_scale_f64 v[95:96], vcc, v[97:98], v[99:100], v[97:98]
	v_rcp_f64_e32 v[107:108], v[105:106]
	v_fma_f64 v[93:94], -v[105:106], v[107:108], 1.0
	v_fma_f64 v[93:94], v[107:108], v[93:94], v[107:108]
	v_fma_f64 v[107:108], -v[105:106], v[93:94], 1.0
	v_fma_f64 v[93:94], v[93:94], v[107:108], v[93:94]
	v_mul_f64 v[107:108], v[95:96], v[93:94]
	v_fma_f64 v[95:96], -v[105:106], v[107:108], v[95:96]
	v_div_fmas_f64 v[93:94], v[95:96], v[93:94], v[107:108]
	v_div_fixup_f64 v[93:94], v[93:94], v[99:100], v[97:98]
	v_fma_f64 v[95:96], v[97:98], v[93:94], v[99:100]
	v_div_scale_f64 v[97:98], s[6:7], v[95:96], v[95:96], 1.0
	v_div_scale_f64 v[107:108], vcc, 1.0, v[95:96], 1.0
	v_rcp_f64_e32 v[99:100], v[97:98]
	v_fma_f64 v[105:106], -v[97:98], v[99:100], 1.0
	v_fma_f64 v[99:100], v[99:100], v[105:106], v[99:100]
	v_fma_f64 v[105:106], -v[97:98], v[99:100], 1.0
	v_fma_f64 v[99:100], v[99:100], v[105:106], v[99:100]
	v_mul_f64 v[105:106], v[107:108], v[99:100]
	v_fma_f64 v[97:98], -v[97:98], v[105:106], v[107:108]
	v_div_fmas_f64 v[97:98], v[97:98], v[99:100], v[105:106]
	v_div_fixup_f64 v[107:108], v[97:98], v[95:96], 1.0
                                        ; implicit-def: $vgpr97_vgpr98
	v_mul_f64 v[105:106], v[93:94], v[107:108]
	v_mov_b32_e32 v96, v80
	v_mov_b32_e32 v95, v79
	;; [unrolled: 1-line block ×4, first 2 shown]
	v_xor_b32_e32 v108, 0x80000000, v108
.LBB91_401:
	s_andn2_saveexec_b64 s[2:3], s[2:3]
	s_cbranch_execz .LBB91_403
; %bb.402:
	v_mov_b32_e32 v77, v117
	v_mov_b32_e32 v78, v118
	v_mov_b32_e32 v79, v119
	v_mov_b32_e32 v80, v120
	v_mov_b32_e32 v120, v96
	v_mov_b32_e32 v119, v95
	v_mov_b32_e32 v118, v94
	v_mov_b32_e32 v117, v93
	v_div_scale_f64 v[93:94], s[6:7], v[97:98], v[97:98], v[99:100]
	v_rcp_f64_e32 v[95:96], v[93:94]
	v_fma_f64 v[105:106], -v[93:94], v[95:96], 1.0
	v_fma_f64 v[95:96], v[95:96], v[105:106], v[95:96]
	v_div_scale_f64 v[105:106], vcc, v[99:100], v[97:98], v[99:100]
	v_fma_f64 v[107:108], -v[93:94], v[95:96], 1.0
	v_fma_f64 v[95:96], v[95:96], v[107:108], v[95:96]
	v_mul_f64 v[107:108], v[105:106], v[95:96]
	v_fma_f64 v[93:94], -v[93:94], v[107:108], v[105:106]
	v_div_fmas_f64 v[93:94], v[93:94], v[95:96], v[107:108]
	v_div_fixup_f64 v[93:94], v[93:94], v[97:98], v[99:100]
	v_fma_f64 v[95:96], v[99:100], v[93:94], v[97:98]
	v_div_scale_f64 v[97:98], s[6:7], v[95:96], v[95:96], 1.0
	v_div_scale_f64 v[107:108], vcc, 1.0, v[95:96], 1.0
	v_rcp_f64_e32 v[99:100], v[97:98]
	v_fma_f64 v[105:106], -v[97:98], v[99:100], 1.0
	v_fma_f64 v[99:100], v[99:100], v[105:106], v[99:100]
	v_fma_f64 v[105:106], -v[97:98], v[99:100], 1.0
	v_fma_f64 v[99:100], v[99:100], v[105:106], v[99:100]
	v_mul_f64 v[105:106], v[107:108], v[99:100]
	v_fma_f64 v[97:98], -v[97:98], v[105:106], v[107:108]
	v_div_fmas_f64 v[97:98], v[97:98], v[99:100], v[105:106]
	v_div_fixup_f64 v[105:106], v[97:98], v[95:96], 1.0
	v_mul_f64 v[107:108], v[93:94], -v[105:106]
	v_mov_b32_e32 v93, v117
	v_mov_b32_e32 v94, v118
	;; [unrolled: 1-line block ×8, first 2 shown]
.LBB91_403:
	s_or_b64 exec, exec, s[2:3]
	ds_write2_b64 v127, v[105:106], v[107:108] offset1:1
.LBB91_404:
	s_or_b64 exec, exec, s[4:5]
	s_waitcnt lgkmcnt(0)
	s_barrier
	ds_read2_b64 v[97:100], v127 offset1:1
	v_cmp_lt_u32_e32 vcc, 44, v0
	s_and_saveexec_b64 s[2:3], vcc
	s_cbranch_execz .LBB91_406
; %bb.405:
	v_mov_b32_e32 v77, v117
	v_mov_b32_e32 v78, v118
	;; [unrolled: 1-line block ×8, first 2 shown]
	s_waitcnt lgkmcnt(0)
	v_mul_f64 v[93:94], v[97:98], v[3:4]
	v_mul_f64 v[3:4], v[99:100], v[3:4]
	ds_read2_b64 v[105:108], v125 offset0:90 offset1:91
	v_fma_f64 v[93:94], v[99:100], v[1:2], v[93:94]
	v_fma_f64 v[1:2], v[97:98], v[1:2], -v[3:4]
	s_waitcnt lgkmcnt(0)
	v_mul_f64 v[3:4], v[107:108], v[93:94]
	v_mul_f64 v[95:96], v[105:106], v[93:94]
	v_fma_f64 v[3:4], v[105:106], v[1:2], -v[3:4]
	v_fma_f64 v[95:96], v[107:108], v[1:2], v[95:96]
	v_add_f64 v[73:74], v[73:74], -v[3:4]
	v_add_f64 v[75:76], v[75:76], -v[95:96]
	v_mov_b32_e32 v3, v93
	v_mov_b32_e32 v4, v94
	;; [unrolled: 1-line block ×10, first 2 shown]
.LBB91_406:
	s_or_b64 exec, exec, s[2:3]
	s_waitcnt lgkmcnt(0)
	s_barrier
	v_cmp_eq_u32_e32 vcc, 45, v0
	s_mov_b64 s[4:5], exec
	s_and_b64 s[2:3], s[4:5], vcc
	buffer_store_dword v73, off, s[20:23], 0 offset:368 ; 4-byte Folded Spill
	s_nop 0
	buffer_store_dword v74, off, s[20:23], 0 offset:372 ; 4-byte Folded Spill
	buffer_store_dword v75, off, s[20:23], 0 offset:376 ; 4-byte Folded Spill
	;; [unrolled: 1-line block ×3, first 2 shown]
	s_mov_b64 exec, s[2:3]
	s_cbranch_execz .LBB91_413
; %bb.407:
	v_cmp_neq_f64_e32 vcc, 0, v[73:74]
	v_cmp_neq_f64_e64 s[2:3], 0, v[75:76]
	ds_write2_b64 v127, v[73:74], v[75:76] offset1:1
	s_or_b64 s[2:3], vcc, s[2:3]
	s_and_b64 exec, exec, s[2:3]
	s_cbranch_execz .LBB91_413
; %bb.408:
	v_cmp_ngt_f64_e64 s[2:3], |v[73:74]|, |v[75:76]|
                                        ; implicit-def: $vgpr105_vgpr106
	s_and_saveexec_b64 s[6:7], s[2:3]
	s_xor_b64 s[2:3], exec, s[6:7]
                                        ; implicit-def: $vgpr107_vgpr108
	s_cbranch_execz .LBB91_410
; %bb.409:
	v_mov_b32_e32 v77, v93
	v_mov_b32_e32 v78, v94
	;; [unrolled: 1-line block ×4, first 2 shown]
	v_div_scale_f64 v[93:94], s[6:7], v[75:76], v[75:76], v[73:74]
	v_mov_b32_e32 v101, v121
	v_mov_b32_e32 v102, v122
	;; [unrolled: 1-line block ×4, first 2 shown]
	v_rcp_f64_e32 v[95:96], v[93:94]
	v_fma_f64 v[105:106], -v[93:94], v[95:96], 1.0
	v_fma_f64 v[95:96], v[95:96], v[105:106], v[95:96]
	v_div_scale_f64 v[105:106], vcc, v[73:74], v[75:76], v[73:74]
	v_fma_f64 v[107:108], -v[93:94], v[95:96], 1.0
	v_fma_f64 v[95:96], v[95:96], v[107:108], v[95:96]
	v_mul_f64 v[107:108], v[105:106], v[95:96]
	v_fma_f64 v[93:94], -v[93:94], v[107:108], v[105:106]
	v_div_fmas_f64 v[93:94], v[93:94], v[95:96], v[107:108]
	v_div_fixup_f64 v[93:94], v[93:94], v[75:76], v[73:74]
	v_fma_f64 v[95:96], v[73:74], v[93:94], v[75:76]
	v_mov_b32_e32 v73, v117
	v_mov_b32_e32 v74, v118
	;; [unrolled: 1-line block ×7, first 2 shown]
	v_div_scale_f64 v[105:106], s[6:7], v[95:96], v[95:96], 1.0
	v_div_scale_f64 v[89:90], vcc, 1.0, v[95:96], 1.0
	v_mov_b32_e32 v119, v109
	v_mov_b32_e32 v112, v4
	v_mov_b32_e32 v111, v3
	v_mov_b32_e32 v110, v2
	v_mov_b32_e32 v109, v1
	v_mov_b32_e32 v1, v5
	v_mov_b32_e32 v2, v6
	v_mov_b32_e32 v3, v7
	v_mov_b32_e32 v4, v8
	v_mov_b32_e32 v5, v9
	v_mov_b32_e32 v6, v10
	v_mov_b32_e32 v7, v11
	v_rcp_f64_e32 v[107:108], v[105:106]
	v_mov_b32_e32 v8, v12
	v_mov_b32_e32 v9, v13
	;; [unrolled: 1-line block ×15, first 2 shown]
	v_fma_f64 v[125:126], -v[105:106], v[107:108], 1.0
	v_mov_b32_e32 v20, v24
	v_mov_b32_e32 v21, v25
	;; [unrolled: 1-line block ×7, first 2 shown]
	v_fma_f64 v[107:108], v[107:108], v[125:126], v[107:108]
	v_mov_b32_e32 v25, v29
	v_mov_b32_e32 v86, v92
	;; [unrolled: 1-line block ×7, first 2 shown]
	v_fma_f64 v[125:126], -v[105:106], v[107:108], 1.0
	v_mov_b32_e32 v31, v35
	v_mov_b32_e32 v32, v36
	;; [unrolled: 1-line block ×7, first 2 shown]
	v_fma_f64 v[91:92], v[107:108], v[125:126], v[107:108]
	v_mov_b32_e32 v38, v114
	v_mov_b32_e32 v39, v115
	;; [unrolled: 1-line block ×20, first 2 shown]
	v_mul_f64 v[107:108], v[89:90], v[91:92]
	v_mov_b32_e32 v56, v60
	v_mov_b32_e32 v54, v58
	;; [unrolled: 1-line block ×24, first 2 shown]
	v_fma_f64 v[89:90], -v[105:106], v[107:108], v[89:90]
	v_mov_b32_e32 v115, v39
	v_mov_b32_e32 v114, v38
	;; [unrolled: 1-line block ×32, first 2 shown]
	v_div_fmas_f64 v[89:90], v[89:90], v[91:92], v[107:108]
	v_mov_b32_e32 v92, v86
	v_mov_b32_e32 v11, v7
	;; [unrolled: 1-line block ×25, first 2 shown]
	buffer_load_dword v73, off, s[20:23], 0 offset:368 ; 4-byte Folded Reload
	buffer_load_dword v74, off, s[20:23], 0 offset:372 ; 4-byte Folded Reload
	;; [unrolled: 1-line block ×4, first 2 shown]
	v_div_fixup_f64 v[107:108], v[89:90], v[95:96], 1.0
	v_mov_b32_e32 v124, v104
	v_mov_b32_e32 v123, v103
	;; [unrolled: 1-line block ×4, first 2 shown]
	v_mul_f64 v[105:106], v[93:94], v[107:108]
	v_mov_b32_e32 v96, v80
	v_mov_b32_e32 v95, v79
	;; [unrolled: 1-line block ×4, first 2 shown]
	v_xor_b32_e32 v108, 0x80000000, v108
.LBB91_410:
	s_andn2_saveexec_b64 s[2:3], s[2:3]
	s_cbranch_execz .LBB91_412
; %bb.411:
	s_waitcnt vmcnt(0)
	v_div_scale_f64 v[89:90], s[6:7], v[73:74], v[73:74], v[75:76]
	v_mov_b32_e32 v126, v92
	v_mov_b32_e32 v125, v91
	;; [unrolled: 1-line block ×6, first 2 shown]
	v_rcp_f64_e32 v[91:92], v[89:90]
	v_fma_f64 v[93:94], -v[89:90], v[91:92], 1.0
	v_fma_f64 v[91:92], v[91:92], v[93:94], v[91:92]
	v_div_scale_f64 v[93:94], vcc, v[75:76], v[73:74], v[75:76]
	v_fma_f64 v[95:96], -v[89:90], v[91:92], 1.0
	v_fma_f64 v[91:92], v[91:92], v[95:96], v[91:92]
	v_mul_f64 v[95:96], v[93:94], v[91:92]
	v_fma_f64 v[89:90], -v[89:90], v[95:96], v[93:94]
	v_div_fmas_f64 v[89:90], v[89:90], v[91:92], v[95:96]
	v_div_fixup_f64 v[89:90], v[89:90], v[73:74], v[75:76]
	v_fma_f64 v[91:92], v[75:76], v[89:90], v[73:74]
	v_div_scale_f64 v[93:94], s[6:7], v[91:92], v[91:92], 1.0
	v_div_scale_f64 v[107:108], vcc, 1.0, v[91:92], 1.0
	v_rcp_f64_e32 v[95:96], v[93:94]
	v_fma_f64 v[105:106], -v[93:94], v[95:96], 1.0
	v_fma_f64 v[95:96], v[95:96], v[105:106], v[95:96]
	v_fma_f64 v[105:106], -v[93:94], v[95:96], 1.0
	v_fma_f64 v[95:96], v[95:96], v[105:106], v[95:96]
	v_mul_f64 v[105:106], v[107:108], v[95:96]
	v_fma_f64 v[93:94], -v[93:94], v[105:106], v[107:108]
	v_div_fmas_f64 v[93:94], v[93:94], v[95:96], v[105:106]
	v_div_fixup_f64 v[105:106], v[93:94], v[91:92], 1.0
	v_mov_b32_e32 v96, v80
	v_mov_b32_e32 v91, v125
	;; [unrolled: 1-line block ×6, first 2 shown]
	v_mul_f64 v[107:108], v[89:90], -v[105:106]
.LBB91_412:
	s_or_b64 exec, exec, s[2:3]
	ds_write2_b64 v127, v[105:106], v[107:108] offset1:1
.LBB91_413:
	s_or_b64 exec, exec, s[4:5]
	s_waitcnt vmcnt(0) lgkmcnt(0)
	s_barrier
	ds_read2_b64 v[105:108], v127 offset1:1
	s_waitcnt lgkmcnt(0)
	s_barrier
	s_and_saveexec_b64 s[2:3], s[0:1]
	s_cbranch_execz .LBB91_416
; %bb.414:
	buffer_load_dword v73, off, s[20:23], 0 offset:728 ; 4-byte Folded Reload
	buffer_load_dword v74, off, s[20:23], 0 offset:732 ; 4-byte Folded Reload
	;; [unrolled: 1-line block ×4, first 2 shown]
	s_waitcnt vmcnt(2)
	v_cmp_eq_f64_e32 vcc, 0, v[73:74]
	s_waitcnt vmcnt(0)
	v_cmp_eq_f64_e64 s[0:1], 0, v[75:76]
	buffer_load_dword v73, off, s[20:23], 0 offset:744 ; 4-byte Folded Reload
	buffer_load_dword v74, off, s[20:23], 0 offset:748 ; 4-byte Folded Reload
	;; [unrolled: 1-line block ×4, first 2 shown]
	s_and_b64 s[4:5], vcc, s[0:1]
	v_cndmask_b32_e64 v89, 0, 1, s[4:5]
	s_waitcnt vmcnt(2)
	v_cmp_neq_f64_e32 vcc, 0, v[73:74]
	s_waitcnt vmcnt(0)
	v_cmp_neq_f64_e64 s[0:1], 0, v[75:76]
	buffer_load_dword v73, off, s[20:23], 0 offset:760 ; 4-byte Folded Reload
	buffer_load_dword v74, off, s[20:23], 0 offset:764 ; 4-byte Folded Reload
	;; [unrolled: 1-line block ×4, first 2 shown]
	s_or_b64 s[0:1], vcc, s[0:1]
	s_or_b64 vcc, s[0:1], s[4:5]
	v_cndmask_b32_e32 v89, 2, v89, vcc
	s_waitcnt vmcnt(2)
	v_cmp_eq_f64_e32 vcc, 0, v[73:74]
	s_waitcnt vmcnt(0)
	v_cmp_eq_f64_e64 s[0:1], 0, v[75:76]
	buffer_load_dword v73, off, s[20:23], 0 offset:776 ; 4-byte Folded Reload
	buffer_load_dword v74, off, s[20:23], 0 offset:780 ; 4-byte Folded Reload
	buffer_load_dword v75, off, s[20:23], 0 offset:784 ; 4-byte Folded Reload
	buffer_load_dword v76, off, s[20:23], 0 offset:788 ; 4-byte Folded Reload
	s_and_b64 s[0:1], vcc, s[0:1]
	v_cmp_eq_u32_e32 vcc, 0, v89
	s_and_b64 s[0:1], s[0:1], vcc
	v_cndmask_b32_e64 v89, v89, 3, s[0:1]
	s_waitcnt vmcnt(2)
	v_cmp_eq_f64_e32 vcc, 0, v[73:74]
	s_waitcnt vmcnt(0)
	v_cmp_eq_f64_e64 s[0:1], 0, v[75:76]
	buffer_load_dword v73, off, s[20:23], 0 offset:792 ; 4-byte Folded Reload
	buffer_load_dword v74, off, s[20:23], 0 offset:796 ; 4-byte Folded Reload
	buffer_load_dword v75, off, s[20:23], 0 offset:800 ; 4-byte Folded Reload
	buffer_load_dword v76, off, s[20:23], 0 offset:804 ; 4-byte Folded Reload
	s_and_b64 s[0:1], vcc, s[0:1]
	v_cmp_eq_u32_e32 vcc, 0, v89
	s_and_b64 s[0:1], s[0:1], vcc
	v_cndmask_b32_e64 v89, v89, 4, s[0:1]
	;; [unrolled: 12-line block ×40, first 2 shown]
	s_waitcnt vmcnt(2)
	v_cmp_eq_f64_e32 vcc, 0, v[73:74]
	s_waitcnt vmcnt(0)
	v_cmp_eq_f64_e64 s[0:1], 0, v[75:76]
	s_and_b64 s[0:1], vcc, s[0:1]
	v_cmp_eq_u32_e32 vcc, 0, v89
	s_and_b64 s[0:1], s[0:1], vcc
	v_cndmask_b32_e64 v89, v89, 43, s[0:1]
	v_cmp_eq_f64_e32 vcc, 0, v[69:70]
	v_cmp_eq_f64_e64 s[0:1], 0, v[71:72]
	s_and_b64 s[0:1], vcc, s[0:1]
	v_cmp_eq_u32_e32 vcc, 0, v89
	s_and_b64 s[0:1], s[0:1], vcc
	v_cndmask_b32_e64 v89, v89, 44, s[0:1]
	v_cmp_eq_f64_e32 vcc, 0, v[97:98]
	;; [unrolled: 6-line block ×3, first 2 shown]
	v_cmp_eq_f64_e64 s[0:1], 0, v[107:108]
	s_and_b64 s[0:1], vcc, s[0:1]
	v_cmp_eq_u32_e32 vcc, 0, v89
	s_and_b64 s[0:1], s[0:1], vcc
	v_cndmask_b32_e64 v99, v89, 46, s[0:1]
	v_lshlrev_b64 v[89:90], 2, v[87:88]
	v_cmp_ne_u32_e64 s[0:1], 0, v99
	v_add_co_u32_e32 v97, vcc, s10, v89
	v_mov_b32_e32 v89, s11
	v_addc_co_u32_e32 v98, vcc, v89, v90, vcc
	global_load_dword v89, v[97:98], off
	s_waitcnt vmcnt(0)
	v_cmp_eq_u32_e32 vcc, 0, v89
	s_and_b64 s[0:1], vcc, s[0:1]
	s_and_b64 exec, exec, s[0:1]
	s_cbranch_execz .LBB91_416
; %bb.415:
	v_add_u32_e32 v89, s13, v99
	global_store_dword v[97:98], v89, off
.LBB91_416:
	s_or_b64 exec, exec, s[2:3]
	buffer_load_dword v69, off, s[20:23], 0 offset:712 ; 4-byte Folded Reload
	buffer_load_dword v70, off, s[20:23], 0 offset:716 ; 4-byte Folded Reload
	buffer_load_dword v71, off, s[20:23], 0 offset:352 ; 4-byte Folded Reload
	buffer_load_dword v72, off, s[20:23], 0 offset:356 ; 4-byte Folded Reload
	buffer_load_dword v73, off, s[20:23], 0 offset:360 ; 4-byte Folded Reload
	buffer_load_dword v74, off, s[20:23], 0 offset:364 ; 4-byte Folded Reload
	v_cmp_lt_u32_e32 vcc, 45, v0
	s_waitcnt vmcnt(0)
	global_store_dwordx4 v[69:70], v[71:74], off
	buffer_load_dword v69, off, s[20:23], 0 offset:720 ; 4-byte Folded Reload
	s_nop 0
	buffer_load_dword v70, off, s[20:23], 0 offset:724 ; 4-byte Folded Reload
	buffer_load_dword v71, off, s[20:23], 0 offset:336 ; 4-byte Folded Reload
	;; [unrolled: 1-line block ×5, first 2 shown]
	s_waitcnt vmcnt(0)
	global_store_dwordx4 v[69:70], v[71:74], off
	buffer_load_dword v69, off, s[20:23], 0 offset:320 ; 4-byte Folded Reload
	s_nop 0
	buffer_load_dword v70, off, s[20:23], 0 offset:324 ; 4-byte Folded Reload
	buffer_load_dword v71, off, s[20:23], 0 offset:328 ; 4-byte Folded Reload
	;; [unrolled: 1-line block ×3, first 2 shown]
	s_waitcnt vmcnt(0)
	global_store_dwordx4 v[91:92], v[69:72], off
	buffer_load_dword v87, off, s[20:23], 0 offset:384 ; 4-byte Folded Reload
	buffer_load_dword v88, off, s[20:23], 0 offset:388 ; 4-byte Folded Reload
	s_nop 0
	buffer_load_dword v69, off, s[20:23], 0 offset:304 ; 4-byte Folded Reload
	buffer_load_dword v70, off, s[20:23], 0 offset:308 ; 4-byte Folded Reload
	;; [unrolled: 1-line block ×4, first 2 shown]
	s_waitcnt vmcnt(0)
	global_store_dwordx4 v[87:88], v[69:72], off
	buffer_load_dword v69, off, s[20:23], 0 offset:288 ; 4-byte Folded Reload
	s_nop 0
	buffer_load_dword v70, off, s[20:23], 0 offset:292 ; 4-byte Folded Reload
	buffer_load_dword v71, off, s[20:23], 0 offset:296 ; 4-byte Folded Reload
	buffer_load_dword v72, off, s[20:23], 0 offset:300 ; 4-byte Folded Reload
	s_waitcnt vmcnt(0)
	global_store_dwordx4 v[85:86], v[69:72], off
	buffer_load_dword v85, off, s[20:23], 0 offset:392 ; 4-byte Folded Reload
	s_nop 0
	buffer_load_dword v86, off, s[20:23], 0 offset:396 ; 4-byte Folded Reload
	buffer_load_dword v69, off, s[20:23], 0 offset:272 ; 4-byte Folded Reload
	buffer_load_dword v70, off, s[20:23], 0 offset:276 ; 4-byte Folded Reload
	buffer_load_dword v71, off, s[20:23], 0 offset:280 ; 4-byte Folded Reload
	buffer_load_dword v72, off, s[20:23], 0 offset:284 ; 4-byte Folded Reload
	s_waitcnt vmcnt(0)
	global_store_dwordx4 v[85:86], v[69:72], off
	buffer_load_dword v85, off, s[20:23], 0 offset:400 ; 4-byte Folded Reload
	s_nop 0
	buffer_load_dword v86, off, s[20:23], 0 offset:404 ; 4-byte Folded Reload
	buffer_load_dword v69, off, s[20:23], 0 offset:256 ; 4-byte Folded Reload
	;; [unrolled: 9-line block ×4, first 2 shown]
	buffer_load_dword v72, off, s[20:23], 0 offset:380 ; 4-byte Folded Reload
	s_waitcnt vmcnt(0)
	v_mul_f64 v[89:90], v[105:106], v[71:72]
	v_mul_f64 v[91:92], v[107:108], v[71:72]
	v_fma_f64 v[89:90], v[107:108], v[69:70], v[89:90]
	v_fma_f64 v[91:92], v[105:106], v[69:70], -v[91:92]
	v_cndmask_b32_e32 v100, v72, v90, vcc
	v_cndmask_b32_e32 v99, v71, v89, vcc
	;; [unrolled: 1-line block ×4, first 2 shown]
	buffer_load_dword v85, off, s[20:23], 0 offset:416 ; 4-byte Folded Reload
	buffer_load_dword v86, off, s[20:23], 0 offset:420 ; 4-byte Folded Reload
	;; [unrolled: 1-line block ×6, first 2 shown]
	s_waitcnt vmcnt(0)
	global_store_dwordx4 v[85:86], v[69:72], off
	buffer_load_dword v85, off, s[20:23], 0 offset:424 ; 4-byte Folded Reload
	s_nop 0
	buffer_load_dword v86, off, s[20:23], 0 offset:428 ; 4-byte Folded Reload
	buffer_load_dword v69, off, s[20:23], 0 offset:208 ; 4-byte Folded Reload
	buffer_load_dword v70, off, s[20:23], 0 offset:212 ; 4-byte Folded Reload
	buffer_load_dword v71, off, s[20:23], 0 offset:216 ; 4-byte Folded Reload
	buffer_load_dword v72, off, s[20:23], 0 offset:220 ; 4-byte Folded Reload
	s_waitcnt vmcnt(0)
	global_store_dwordx4 v[85:86], v[69:72], off
	buffer_load_dword v85, off, s[20:23], 0 offset:432 ; 4-byte Folded Reload
	s_nop 0
	buffer_load_dword v86, off, s[20:23], 0 offset:436 ; 4-byte Folded Reload
	buffer_load_dword v69, off, s[20:23], 0 offset:192 ; 4-byte Folded Reload
	buffer_load_dword v70, off, s[20:23], 0 offset:196 ; 4-byte Folded Reload
	buffer_load_dword v71, off, s[20:23], 0 offset:200 ; 4-byte Folded Reload
	buffer_load_dword v72, off, s[20:23], 0 offset:204 ; 4-byte Folded Reload
	;; [unrolled: 9-line block ×11, first 2 shown]
	s_waitcnt vmcnt(0)
	global_store_dwordx4 v[85:86], v[69:72], off
	buffer_load_dword v85, off, s[20:23], 0 offset:512 ; 4-byte Folded Reload
	s_nop 0
	buffer_load_dword v86, off, s[20:23], 0 offset:516 ; 4-byte Folded Reload
	s_waitcnt vmcnt(0)
	global_store_dwordx4 v[85:86], v[117:120], off
	buffer_load_dword v85, off, s[20:23], 0 offset:520 ; 4-byte Folded Reload
	s_nop 0
	buffer_load_dword v86, off, s[20:23], 0 offset:524 ; 4-byte Folded Reload
	;; [unrolled: 5-line block ×3, first 2 shown]
	s_waitcnt vmcnt(0)
	global_store_dwordx4 v[85:86], v[109:112], off
	buffer_load_dword v77, off, s[20:23], 0 offset:704 ; 4-byte Folded Reload
	buffer_load_dword v78, off, s[20:23], 0 offset:708 ; 4-byte Folded Reload
	s_waitcnt vmcnt(0)
	global_store_dwordx4 v[77:78], v[113:116], off
	buffer_load_dword v77, off, s[20:23], 0 offset:696 ; 4-byte Folded Reload
	s_nop 0
	buffer_load_dword v78, off, s[20:23], 0 offset:700 ; 4-byte Folded Reload
	s_waitcnt vmcnt(0)
	global_store_dwordx4 v[77:78], v[93:96], off
	buffer_load_dword v83, off, s[20:23], 0 offset:536 ; 4-byte Folded Reload
	buffer_load_dword v84, off, s[20:23], 0 offset:540 ; 4-byte Folded Reload
	s_nop 0
	buffer_load_dword v77, off, s[20:23], 0 offset:32 ; 4-byte Folded Reload
	buffer_load_dword v78, off, s[20:23], 0 offset:36 ; 4-byte Folded Reload
	;; [unrolled: 1-line block ×4, first 2 shown]
	s_waitcnt vmcnt(0)
	global_store_dwordx4 v[83:84], v[77:80], off
	buffer_load_dword v73, off, s[20:23], 0 offset:16 ; 4-byte Folded Reload
	buffer_load_dword v74, off, s[20:23], 0 offset:20 ; 4-byte Folded Reload
	;; [unrolled: 1-line block ×4, first 2 shown]
	s_waitcnt vmcnt(0)
	global_store_dwordx4 v[81:82], v[73:76], off
	buffer_load_dword v73, off, s[20:23], 0 offset:544 ; 4-byte Folded Reload
	s_nop 0
	buffer_load_dword v74, off, s[20:23], 0 offset:548 ; 4-byte Folded Reload
	buffer_load_dword v69, off, s[20:23], 0 ; 4-byte Folded Reload
	buffer_load_dword v70, off, s[20:23], 0 offset:4 ; 4-byte Folded Reload
	buffer_load_dword v71, off, s[20:23], 0 offset:8 ; 4-byte Folded Reload
	;; [unrolled: 1-line block ×3, first 2 shown]
	s_waitcnt vmcnt(0)
	global_store_dwordx4 v[73:74], v[69:72], off
	buffer_load_dword v69, off, s[20:23], 0 offset:552 ; 4-byte Folded Reload
	s_nop 0
	buffer_load_dword v70, off, s[20:23], 0 offset:556 ; 4-byte Folded Reload
	s_waitcnt vmcnt(0)
	global_store_dwordx4 v[69:70], v[65:68], off
	buffer_load_dword v65, off, s[20:23], 0 offset:560 ; 4-byte Folded Reload
	s_nop 0
	buffer_load_dword v66, off, s[20:23], 0 offset:564 ; 4-byte Folded Reload
	;; [unrolled: 5-line block ×18, first 2 shown]
	s_waitcnt vmcnt(0)
	global_store_dwordx4 v[0:1], v[97:100], off
.LBB91_417:
	s_endpgm
	.section	.rodata,"a",@progbits
	.p2align	6, 0x0
	.amdhsa_kernel _ZN9rocsolver6v33100L23getf2_npvt_small_kernelILi46E19rocblas_complex_numIdEiiPS3_EEvT1_T3_lS5_lPT2_S5_S5_
		.amdhsa_group_segment_fixed_size 0
		.amdhsa_private_segment_fixed_size 1420
		.amdhsa_kernarg_size 312
		.amdhsa_user_sgpr_count 6
		.amdhsa_user_sgpr_private_segment_buffer 1
		.amdhsa_user_sgpr_dispatch_ptr 0
		.amdhsa_user_sgpr_queue_ptr 0
		.amdhsa_user_sgpr_kernarg_segment_ptr 1
		.amdhsa_user_sgpr_dispatch_id 0
		.amdhsa_user_sgpr_flat_scratch_init 0
		.amdhsa_user_sgpr_private_segment_size 0
		.amdhsa_uses_dynamic_stack 0
		.amdhsa_system_sgpr_private_segment_wavefront_offset 1
		.amdhsa_system_sgpr_workgroup_id_x 1
		.amdhsa_system_sgpr_workgroup_id_y 1
		.amdhsa_system_sgpr_workgroup_id_z 0
		.amdhsa_system_sgpr_workgroup_info 0
		.amdhsa_system_vgpr_workitem_id 1
		.amdhsa_next_free_vgpr 128
		.amdhsa_next_free_sgpr 24
		.amdhsa_reserve_vcc 1
		.amdhsa_reserve_flat_scratch 0
		.amdhsa_float_round_mode_32 0
		.amdhsa_float_round_mode_16_64 0
		.amdhsa_float_denorm_mode_32 3
		.amdhsa_float_denorm_mode_16_64 3
		.amdhsa_dx10_clamp 1
		.amdhsa_ieee_mode 1
		.amdhsa_fp16_overflow 0
		.amdhsa_exception_fp_ieee_invalid_op 0
		.amdhsa_exception_fp_denorm_src 0
		.amdhsa_exception_fp_ieee_div_zero 0
		.amdhsa_exception_fp_ieee_overflow 0
		.amdhsa_exception_fp_ieee_underflow 0
		.amdhsa_exception_fp_ieee_inexact 0
		.amdhsa_exception_int_div_zero 0
	.end_amdhsa_kernel
	.section	.text._ZN9rocsolver6v33100L23getf2_npvt_small_kernelILi46E19rocblas_complex_numIdEiiPS3_EEvT1_T3_lS5_lPT2_S5_S5_,"axG",@progbits,_ZN9rocsolver6v33100L23getf2_npvt_small_kernelILi46E19rocblas_complex_numIdEiiPS3_EEvT1_T3_lS5_lPT2_S5_S5_,comdat
.Lfunc_end91:
	.size	_ZN9rocsolver6v33100L23getf2_npvt_small_kernelILi46E19rocblas_complex_numIdEiiPS3_EEvT1_T3_lS5_lPT2_S5_S5_, .Lfunc_end91-_ZN9rocsolver6v33100L23getf2_npvt_small_kernelILi46E19rocblas_complex_numIdEiiPS3_EEvT1_T3_lS5_lPT2_S5_S5_
                                        ; -- End function
	.set _ZN9rocsolver6v33100L23getf2_npvt_small_kernelILi46E19rocblas_complex_numIdEiiPS3_EEvT1_T3_lS5_lPT2_S5_S5_.num_vgpr, 128
	.set _ZN9rocsolver6v33100L23getf2_npvt_small_kernelILi46E19rocblas_complex_numIdEiiPS3_EEvT1_T3_lS5_lPT2_S5_S5_.num_agpr, 0
	.set _ZN9rocsolver6v33100L23getf2_npvt_small_kernelILi46E19rocblas_complex_numIdEiiPS3_EEvT1_T3_lS5_lPT2_S5_S5_.numbered_sgpr, 24
	.set _ZN9rocsolver6v33100L23getf2_npvt_small_kernelILi46E19rocblas_complex_numIdEiiPS3_EEvT1_T3_lS5_lPT2_S5_S5_.num_named_barrier, 0
	.set _ZN9rocsolver6v33100L23getf2_npvt_small_kernelILi46E19rocblas_complex_numIdEiiPS3_EEvT1_T3_lS5_lPT2_S5_S5_.private_seg_size, 1420
	.set _ZN9rocsolver6v33100L23getf2_npvt_small_kernelILi46E19rocblas_complex_numIdEiiPS3_EEvT1_T3_lS5_lPT2_S5_S5_.uses_vcc, 1
	.set _ZN9rocsolver6v33100L23getf2_npvt_small_kernelILi46E19rocblas_complex_numIdEiiPS3_EEvT1_T3_lS5_lPT2_S5_S5_.uses_flat_scratch, 0
	.set _ZN9rocsolver6v33100L23getf2_npvt_small_kernelILi46E19rocblas_complex_numIdEiiPS3_EEvT1_T3_lS5_lPT2_S5_S5_.has_dyn_sized_stack, 0
	.set _ZN9rocsolver6v33100L23getf2_npvt_small_kernelILi46E19rocblas_complex_numIdEiiPS3_EEvT1_T3_lS5_lPT2_S5_S5_.has_recursion, 0
	.set _ZN9rocsolver6v33100L23getf2_npvt_small_kernelILi46E19rocblas_complex_numIdEiiPS3_EEvT1_T3_lS5_lPT2_S5_S5_.has_indirect_call, 0
	.section	.AMDGPU.csdata,"",@progbits
; Kernel info:
; codeLenInByte = 143824
; TotalNumSgprs: 28
; NumVgprs: 128
; ScratchSize: 1420
; MemoryBound: 1
; FloatMode: 240
; IeeeMode: 1
; LDSByteSize: 0 bytes/workgroup (compile time only)
; SGPRBlocks: 3
; VGPRBlocks: 31
; NumSGPRsForWavesPerEU: 28
; NumVGPRsForWavesPerEU: 128
; Occupancy: 2
; WaveLimiterHint : 0
; COMPUTE_PGM_RSRC2:SCRATCH_EN: 1
; COMPUTE_PGM_RSRC2:USER_SGPR: 6
; COMPUTE_PGM_RSRC2:TRAP_HANDLER: 0
; COMPUTE_PGM_RSRC2:TGID_X_EN: 1
; COMPUTE_PGM_RSRC2:TGID_Y_EN: 1
; COMPUTE_PGM_RSRC2:TGID_Z_EN: 0
; COMPUTE_PGM_RSRC2:TIDIG_COMP_CNT: 1
	.section	.text._ZN9rocsolver6v33100L18getf2_small_kernelILi47E19rocblas_complex_numIdEiiPS3_EEvT1_T3_lS5_lPS5_llPT2_S5_S5_S7_l,"axG",@progbits,_ZN9rocsolver6v33100L18getf2_small_kernelILi47E19rocblas_complex_numIdEiiPS3_EEvT1_T3_lS5_lPS5_llPT2_S5_S5_S7_l,comdat
	.globl	_ZN9rocsolver6v33100L18getf2_small_kernelILi47E19rocblas_complex_numIdEiiPS3_EEvT1_T3_lS5_lPS5_llPT2_S5_S5_S7_l ; -- Begin function _ZN9rocsolver6v33100L18getf2_small_kernelILi47E19rocblas_complex_numIdEiiPS3_EEvT1_T3_lS5_lPS5_llPT2_S5_S5_S7_l
	.p2align	8
	.type	_ZN9rocsolver6v33100L18getf2_small_kernelILi47E19rocblas_complex_numIdEiiPS3_EEvT1_T3_lS5_lPS5_llPT2_S5_S5_S7_l,@function
_ZN9rocsolver6v33100L18getf2_small_kernelILi47E19rocblas_complex_numIdEiiPS3_EEvT1_T3_lS5_lPS5_llPT2_S5_S5_S7_l: ; @_ZN9rocsolver6v33100L18getf2_small_kernelILi47E19rocblas_complex_numIdEiiPS3_EEvT1_T3_lS5_lPS5_llPT2_S5_S5_S7_l
; %bb.0:
	s_mov_b64 s[26:27], s[2:3]
	s_mov_b64 s[24:25], s[0:1]
	s_load_dword s0, s[4:5], 0x6c
	s_load_dwordx2 s[16:17], s[4:5], 0x48
	s_add_u32 s24, s24, s8
	s_addc_u32 s25, s25, 0
	s_waitcnt lgkmcnt(0)
	s_lshr_b32 s0, s0, 16
	s_mul_i32 s7, s7, s0
	v_add_u32_e32 v6, s7, v1
	v_cmp_gt_i32_e32 vcc, s16, v6
	s_and_saveexec_b64 s[0:1], vcc
	s_cbranch_execnz .LBB92_1
; %bb.989:
	s_getpc_b64 s[28:29]
.Lpost_getpc6:
	s_add_u32 s28, s28, (.LBB92_988-.Lpost_getpc6)&4294967295
	s_addc_u32 s29, s29, (.LBB92_988-.Lpost_getpc6)>>32
	s_setpc_b64 s[28:29]
.LBB92_1:
	s_load_dwordx4 s[0:3], s[4:5], 0x50
	v_mov_b32_e32 v2, 0
	v_ashrrev_i32_e32 v7, 31, v6
	v_mov_b32_e32 v3, 0
	buffer_store_dword v2, off, s[24:27], 0 offset:336 ; 4-byte Folded Spill
	s_nop 0
	buffer_store_dword v3, off, s[24:27], 0 offset:340 ; 4-byte Folded Spill
	s_waitcnt lgkmcnt(0)
	s_cmp_eq_u64 s[0:1], 0
	s_cselect_b64 s[6:7], -1, 0
	s_and_b64 vcc, exec, s[6:7]
	s_cbranch_vccnz .LBB92_3
; %bb.2:
	v_mul_lo_u32 v4, s3, v6
	v_mul_lo_u32 v5, s2, v7
	v_mad_u64_u32 v[2:3], s[2:3], s2, v6, 0
	v_add3_u32 v3, v3, v5, v4
	v_lshlrev_b64 v[2:3], 2, v[2:3]
	v_mov_b32_e32 v4, s1
	v_add_co_u32_e32 v2, vcc, s0, v2
	v_addc_co_u32_e32 v3, vcc, v4, v3, vcc
	buffer_store_dword v2, off, s[24:27], 0 offset:336 ; 4-byte Folded Spill
	s_nop 0
	buffer_store_dword v3, off, s[24:27], 0 offset:340 ; 4-byte Folded Spill
.LBB92_3:
	s_load_dwordx8 s[8:15], s[4:5], 0x20
	s_load_dwordx4 s[20:23], s[4:5], 0x8
	s_load_dword s2, s[4:5], 0x18
	v_mov_b32_e32 v86, v7
	v_mov_b32_e32 v85, v6
	s_waitcnt lgkmcnt(0)
	v_mul_lo_u32 v4, s9, v6
	v_mul_lo_u32 v5, s8, v7
	v_mad_u64_u32 v[2:3], s[0:1], s8, v6, 0
	v_mov_b32_e32 v6, s21
	s_lshl_b64 s[0:1], s[22:23], 4
	v_add3_u32 v3, v3, v5, v4
	v_lshlrev_b64 v[2:3], 4, v[2:3]
	v_mov_b32_e32 v4, s1
	v_add_co_u32_e32 v2, vcc, s20, v2
	v_addc_co_u32_e32 v3, vcc, v6, v3, vcc
	v_add_co_u32_e32 v127, vcc, s0, v2
	s_add_i32 s16, s2, s2
	v_addc_co_u32_e32 v89, vcc, v3, v4, vcc
	v_add_u32_e32 v4, s16, v0
	v_ashrrev_i32_e32 v5, 31, v4
	v_lshlrev_b64 v[2:3], 4, v[4:5]
	v_add_u32_e32 v6, s2, v4
	v_ashrrev_i32_e32 v7, 31, v6
	v_add_co_u32_e32 v2, vcc, v127, v2
	v_lshlrev_b64 v[4:5], 4, v[6:7]
	v_add_u32_e32 v8, s2, v6
	v_addc_co_u32_e32 v3, vcc, v89, v3, vcc
	v_ashrrev_i32_e32 v9, 31, v8
	v_add_co_u32_e32 v4, vcc, v127, v4
	v_lshlrev_b64 v[6:7], 4, v[8:9]
	v_add_u32_e32 v10, s2, v8
	v_addc_co_u32_e32 v5, vcc, v89, v5, vcc
	;; [unrolled: 5-line block ×28, first 2 shown]
	v_ashrrev_i32_e32 v61, 31, v60
	v_add_co_u32_e32 v58, vcc, v127, v58
	v_lshlrev_b64 v[61:62], 4, v[60:61]
	v_addc_co_u32_e32 v59, vcc, v89, v59, vcc
	v_add_u32_e32 v60, s2, v60
	v_add_co_u32_e32 v117, vcc, v127, v61
	v_ashrrev_i32_e32 v61, 31, v60
	v_addc_co_u32_e32 v118, vcc, v89, v62, vcc
	v_lshlrev_b64 v[61:62], 4, v[60:61]
	v_add_u32_e32 v60, s2, v60
	v_add_co_u32_e32 v119, vcc, v127, v61
	v_ashrrev_i32_e32 v61, 31, v60
	v_addc_co_u32_e32 v120, vcc, v89, v62, vcc
	v_lshlrev_b64 v[61:62], 4, v[60:61]
	;; [unrolled: 5-line block ×13, first 2 shown]
	v_add_u32_e32 v60, s2, v60
	s_ashr_i32 s3, s2, 31
	v_add_co_u32_e32 v97, vcc, v127, v61
	v_ashrrev_i32_e32 v61, 31, v60
	s_lshl_b64 s[8:9], s[2:3], 4
	s_load_dword s3, s[4:5], 0x0
	v_addc_co_u32_e32 v98, vcc, v89, v62, vcc
	v_lshlrev_b64 v[61:62], 4, v[60:61]
	v_add_u32_e32 v60, s2, v60
	v_add_co_u32_e32 v99, vcc, v127, v61
	v_ashrrev_i32_e32 v61, 31, v60
	v_lshlrev_b64 v[60:61], 4, v[60:61]
	v_addc_co_u32_e32 v100, vcc, v89, v62, vcc
	s_waitcnt lgkmcnt(0)
	s_max_i32 s0, s3, 47
	v_add_co_u32_e32 v93, vcc, v127, v60
	v_mul_lo_u32 v91, s0, v1
	v_addc_co_u32_e32 v94, vcc, v89, v61, vcc
	v_lshlrev_b32_e32 v64, 4, v0
	v_add_co_u32_e32 v62, vcc, v127, v64
	v_addc_co_u32_e32 v63, vcc, 0, v89, vcc
	v_mov_b32_e32 v61, s9
	v_add_co_u32_e32 v60, vcc, s8, v62
	v_lshl_add_u32 v90, v91, 4, 0
	v_addc_co_u32_e32 v61, vcc, v63, v61, vcc
	v_add_u32_e32 v1, v90, v64
	global_load_dwordx4 v[62:65], v[62:63], off
	s_nop 0
	global_load_dwordx4 v[66:69], v[60:61], off
	s_waitcnt vmcnt(0)
	buffer_store_dword v66, off, s[24:27], 0 offset:360 ; 4-byte Folded Spill
	s_nop 0
	buffer_store_dword v67, off, s[24:27], 0 offset:364 ; 4-byte Folded Spill
	buffer_store_dword v68, off, s[24:27], 0 offset:368 ; 4-byte Folded Spill
	;; [unrolled: 1-line block ×4, first 2 shown]
	s_nop 0
	buffer_store_dword v63, off, s[24:27], 0 offset:380 ; 4-byte Folded Spill
	buffer_store_dword v64, off, s[24:27], 0 offset:384 ; 4-byte Folded Spill
	;; [unrolled: 1-line block ×3, first 2 shown]
	s_load_dwordx2 s[4:5], s[4:5], 0x40
	s_cmp_lt_i32 s3, 2
	ds_write2_b64 v1, v[62:63], v[64:65] offset1:1
	global_load_dwordx4 v[60:63], v[2:3], off
	s_waitcnt vmcnt(0)
	buffer_store_dword v60, off, s[24:27], 0 offset:344 ; 4-byte Folded Spill
	s_nop 0
	buffer_store_dword v61, off, s[24:27], 0 offset:348 ; 4-byte Folded Spill
	buffer_store_dword v62, off, s[24:27], 0 offset:352 ; 4-byte Folded Spill
	buffer_store_dword v63, off, s[24:27], 0 offset:356 ; 4-byte Folded Spill
	global_load_dwordx4 v[1:4], v[4:5], off
	s_waitcnt vmcnt(0)
	buffer_store_dword v1, off, s[24:27], 0 offset:320 ; 4-byte Folded Spill
	s_nop 0
	buffer_store_dword v2, off, s[24:27], 0 offset:324 ; 4-byte Folded Spill
	buffer_store_dword v3, off, s[24:27], 0 offset:328 ; 4-byte Folded Spill
	buffer_store_dword v4, off, s[24:27], 0 offset:332 ; 4-byte Folded Spill
	;; [unrolled: 7-line block ×21, first 2 shown]
	global_load_dwordx4 v[81:84], v[44:45], off
	global_load_dwordx4 v[111:114], v[46:47], off
	s_nop 0
	global_load_dwordx4 v[1:4], v[48:49], off
	s_waitcnt vmcnt(0)
	buffer_store_dword v1, off, s[24:27], 0 ; 4-byte Folded Spill
	s_nop 0
	buffer_store_dword v2, off, s[24:27], 0 offset:4 ; 4-byte Folded Spill
	buffer_store_dword v3, off, s[24:27], 0 offset:8 ; 4-byte Folded Spill
	;; [unrolled: 1-line block ×3, first 2 shown]
	global_load_dwordx4 v[77:80], v[50:51], off
	global_load_dwordx4 v[73:76], v[52:53], off
	;; [unrolled: 1-line block ×5, first 2 shown]
	s_nop 0
	global_load_dwordx4 v[57:60], v[117:118], off
	global_load_dwordx4 v[53:56], v[119:120], off
	;; [unrolled: 1-line block ×16, first 2 shown]
	s_waitcnt vmcnt(0) lgkmcnt(0)
	s_barrier
	ds_read2_b64 v[117:120], v90 offset1:1
	v_lshlrev_b32_e32 v97, 4, v91
	v_mov_b32_e32 v93, 0
	s_cbranch_scc1 .LBB92_6
; %bb.4:
	v_add3_u32 v91, v97, 0, 16
	s_mov_b32 s0, 1
	v_mov_b32_e32 v93, 0
.LBB92_5:                               ; =>This Inner Loop Header: Depth=1
	s_waitcnt lgkmcnt(0)
	v_cmp_gt_f64_e32 vcc, 0, v[117:118]
	v_xor_b32_e32 v92, 0x80000000, v118
	ds_read2_b64 v[98:101], v91 offset1:1
	v_mov_b32_e32 v94, v117
	v_mov_b32_e32 v102, v119
	v_add_u32_e32 v91, 16, v91
	s_waitcnt lgkmcnt(0)
	v_mov_b32_e32 v104, v100
	v_cndmask_b32_e32 v95, v118, v92, vcc
	v_cmp_gt_f64_e32 vcc, 0, v[119:120]
	v_xor_b32_e32 v92, 0x80000000, v120
	v_cndmask_b32_e32 v103, v120, v92, vcc
	v_cmp_gt_f64_e32 vcc, 0, v[98:99]
	v_xor_b32_e32 v92, 0x80000000, v99
	v_add_f64 v[94:95], v[94:95], v[102:103]
	v_mov_b32_e32 v102, v98
	v_cndmask_b32_e32 v103, v99, v92, vcc
	v_cmp_gt_f64_e32 vcc, 0, v[100:101]
	v_xor_b32_e32 v92, 0x80000000, v101
	v_cndmask_b32_e32 v105, v101, v92, vcc
	v_add_f64 v[102:103], v[102:103], v[104:105]
	v_mov_b32_e32 v92, s0
	s_add_i32 s0, s0, 1
	s_cmp_eq_u32 s3, s0
	v_cmp_lt_f64_e32 vcc, v[94:95], v[102:103]
	v_cndmask_b32_e32 v118, v118, v99, vcc
	v_cndmask_b32_e32 v117, v117, v98, vcc
	;; [unrolled: 1-line block ×5, first 2 shown]
	s_cbranch_scc0 .LBB92_5
.LBB92_6:
	s_waitcnt lgkmcnt(0)
	v_cmp_neq_f64_e32 vcc, 0, v[117:118]
	v_cmp_neq_f64_e64 s[0:1], 0, v[119:120]
	v_mov_b32_e32 v116, v86
	v_mov_b32_e32 v115, v85
	;; [unrolled: 1-line block ×7, first 2 shown]
	s_or_b64 s[18:19], vcc, s[0:1]
	v_mov_b32_e32 v98, 1
	s_and_saveexec_b64 s[0:1], s[18:19]
	s_cbranch_execz .LBB92_12
; %bb.7:
	v_cmp_ngt_f64_e64 s[18:19], |v[117:118]|, |v[119:120]|
	s_and_saveexec_b64 s[20:21], s[18:19]
	s_xor_b64 s[18:19], exec, s[20:21]
	s_cbranch_execz .LBB92_9
; %bb.8:
	v_div_scale_f64 v[91:92], s[20:21], v[119:120], v[119:120], v[117:118]
	v_rcp_f64_e32 v[94:95], v[91:92]
	v_fma_f64 v[98:99], -v[91:92], v[94:95], 1.0
	v_fma_f64 v[94:95], v[94:95], v[98:99], v[94:95]
	v_div_scale_f64 v[98:99], vcc, v[117:118], v[119:120], v[117:118]
	v_fma_f64 v[100:101], -v[91:92], v[94:95], 1.0
	v_fma_f64 v[94:95], v[94:95], v[100:101], v[94:95]
	v_mul_f64 v[100:101], v[98:99], v[94:95]
	v_fma_f64 v[91:92], -v[91:92], v[100:101], v[98:99]
	v_div_fmas_f64 v[91:92], v[91:92], v[94:95], v[100:101]
	v_div_fixup_f64 v[91:92], v[91:92], v[119:120], v[117:118]
	v_fma_f64 v[94:95], v[117:118], v[91:92], v[119:120]
	v_div_scale_f64 v[98:99], s[20:21], v[94:95], v[94:95], 1.0
	v_div_scale_f64 v[104:105], vcc, 1.0, v[94:95], 1.0
	v_rcp_f64_e32 v[100:101], v[98:99]
	v_fma_f64 v[102:103], -v[98:99], v[100:101], 1.0
	v_fma_f64 v[100:101], v[100:101], v[102:103], v[100:101]
	v_fma_f64 v[102:103], -v[98:99], v[100:101], 1.0
	v_fma_f64 v[100:101], v[100:101], v[102:103], v[100:101]
	v_mul_f64 v[102:103], v[104:105], v[100:101]
	v_fma_f64 v[98:99], -v[98:99], v[102:103], v[104:105]
	v_div_fmas_f64 v[98:99], v[98:99], v[100:101], v[102:103]
	v_div_fixup_f64 v[119:120], v[98:99], v[94:95], 1.0
	v_mul_f64 v[117:118], v[91:92], v[119:120]
	v_xor_b32_e32 v120, 0x80000000, v120
.LBB92_9:
	s_andn2_saveexec_b64 s[18:19], s[18:19]
	s_cbranch_execz .LBB92_11
; %bb.10:
	v_div_scale_f64 v[91:92], s[20:21], v[117:118], v[117:118], v[119:120]
	v_rcp_f64_e32 v[94:95], v[91:92]
	v_fma_f64 v[98:99], -v[91:92], v[94:95], 1.0
	v_fma_f64 v[94:95], v[94:95], v[98:99], v[94:95]
	v_div_scale_f64 v[98:99], vcc, v[119:120], v[117:118], v[119:120]
	v_fma_f64 v[100:101], -v[91:92], v[94:95], 1.0
	v_fma_f64 v[94:95], v[94:95], v[100:101], v[94:95]
	v_mul_f64 v[100:101], v[98:99], v[94:95]
	v_fma_f64 v[91:92], -v[91:92], v[100:101], v[98:99]
	v_div_fmas_f64 v[91:92], v[91:92], v[94:95], v[100:101]
	v_div_fixup_f64 v[91:92], v[91:92], v[117:118], v[119:120]
	v_fma_f64 v[94:95], v[119:120], v[91:92], v[117:118]
	v_div_scale_f64 v[98:99], s[20:21], v[94:95], v[94:95], 1.0
	v_div_scale_f64 v[104:105], vcc, 1.0, v[94:95], 1.0
	v_rcp_f64_e32 v[100:101], v[98:99]
	v_fma_f64 v[102:103], -v[98:99], v[100:101], 1.0
	v_fma_f64 v[100:101], v[100:101], v[102:103], v[100:101]
	v_fma_f64 v[102:103], -v[98:99], v[100:101], 1.0
	v_fma_f64 v[100:101], v[100:101], v[102:103], v[100:101]
	v_mul_f64 v[102:103], v[104:105], v[100:101]
	v_fma_f64 v[98:99], -v[98:99], v[102:103], v[104:105]
	v_div_fmas_f64 v[98:99], v[98:99], v[100:101], v[102:103]
	v_div_fixup_f64 v[117:118], v[98:99], v[94:95], 1.0
	v_mul_f64 v[119:120], v[91:92], -v[117:118]
.LBB92_11:
	s_or_b64 exec, exec, s[18:19]
	v_mov_b32_e32 v98, 0
	v_mov_b32_e32 v91, 2
.LBB92_12:
	s_or_b64 exec, exec, s[0:1]
	v_cmp_ne_u32_e32 vcc, v0, v93
	s_and_saveexec_b64 s[0:1], vcc
	s_xor_b64 s[0:1], exec, s[0:1]
	s_cbranch_execz .LBB92_18
; %bb.13:
	v_cmp_eq_u32_e32 vcc, 0, v0
	s_and_saveexec_b64 s[18:19], vcc
	s_cbranch_execz .LBB92_17
; %bb.14:
	v_cmp_ne_u32_e32 vcc, 0, v93
	s_xor_b64 s[20:21], s[6:7], -1
	s_and_b64 s[22:23], s[20:21], vcc
	s_and_saveexec_b64 s[20:21], s[22:23]
	s_cbranch_execz .LBB92_16
; %bb.15:
	buffer_load_dword v85, off, s[24:27], 0 offset:336 ; 4-byte Folded Reload
	buffer_load_dword v86, off, s[24:27], 0 offset:340 ; 4-byte Folded Reload
	v_ashrrev_i32_e32 v94, 31, v93
	v_lshlrev_b64 v[94:95], 2, v[93:94]
	s_waitcnt vmcnt(1)
	v_add_co_u32_e32 v94, vcc, v85, v94
	s_waitcnt vmcnt(0)
	v_addc_co_u32_e32 v95, vcc, v86, v95, vcc
	global_load_dword v0, v[94:95], off
	global_load_dword v92, v[85:86], off
	s_waitcnt vmcnt(1)
	global_store_dword v[85:86], v0, off
	v_mov_b32_e32 v88, v84
	v_mov_b32_e32 v87, v83
	;; [unrolled: 1-line block ×4, first 2 shown]
	s_waitcnt vmcnt(1)
	global_store_dword v[94:95], v92, off
.LBB92_16:
	s_or_b64 exec, exec, s[20:21]
	v_mov_b32_e32 v0, v93
.LBB92_17:
	s_or_b64 exec, exec, s[18:19]
.LBB92_18:
	s_or_saveexec_b64 s[0:1], s[0:1]
	v_mov_b32_e32 v92, v0
	s_xor_b64 exec, exec, s[0:1]
	s_cbranch_execz .LBB92_20
; %bb.19:
	buffer_load_dword v81, off, s[24:27], 0 offset:360 ; 4-byte Folded Reload
	buffer_load_dword v82, off, s[24:27], 0 offset:364 ; 4-byte Folded Reload
	;; [unrolled: 1-line block ×4, first 2 shown]
	v_mov_b32_e32 v92, 0
	s_waitcnt vmcnt(0)
	ds_write2_b64 v90, v[81:82], v[83:84] offset0:2 offset1:3
	buffer_load_dword v81, off, s[24:27], 0 offset:344 ; 4-byte Folded Reload
	buffer_load_dword v82, off, s[24:27], 0 offset:348 ; 4-byte Folded Reload
	buffer_load_dword v83, off, s[24:27], 0 offset:352 ; 4-byte Folded Reload
	buffer_load_dword v84, off, s[24:27], 0 offset:356 ; 4-byte Folded Reload
	s_waitcnt vmcnt(0)
	ds_write2_b64 v90, v[81:82], v[83:84] offset0:4 offset1:5
	buffer_load_dword v81, off, s[24:27], 0 offset:320 ; 4-byte Folded Reload
	buffer_load_dword v82, off, s[24:27], 0 offset:324 ; 4-byte Folded Reload
	buffer_load_dword v83, off, s[24:27], 0 offset:328 ; 4-byte Folded Reload
	buffer_load_dword v84, off, s[24:27], 0 offset:332 ; 4-byte Folded Reload
	;; [unrolled: 6-line block ×21, first 2 shown]
	s_waitcnt vmcnt(0)
	ds_write2_b64 v90, v[81:82], v[83:84] offset0:44 offset1:45
	ds_write2_b64 v90, v[85:86], v[87:88] offset0:46 offset1:47
	;; [unrolled: 1-line block ×3, first 2 shown]
	buffer_load_dword v81, off, s[24:27], 0 ; 4-byte Folded Reload
	buffer_load_dword v82, off, s[24:27], 0 offset:4 ; 4-byte Folded Reload
	buffer_load_dword v83, off, s[24:27], 0 offset:8 ; 4-byte Folded Reload
	;; [unrolled: 1-line block ×3, first 2 shown]
	s_waitcnt vmcnt(0)
	ds_write2_b64 v90, v[81:82], v[83:84] offset0:50 offset1:51
	ds_write2_b64 v90, v[77:78], v[79:80] offset0:52 offset1:53
	;; [unrolled: 1-line block ×22, first 2 shown]
.LBB92_20:
	s_or_b64 exec, exec, s[0:1]
	v_cmp_lt_i32_e32 vcc, 0, v92
	s_waitcnt vmcnt(0) lgkmcnt(0)
	s_barrier
	s_and_saveexec_b64 s[0:1], vcc
	s_cbranch_execz .LBB92_22
; %bb.21:
	buffer_load_dword v101, off, s[24:27], 0 offset:376 ; 4-byte Folded Reload
	buffer_load_dword v102, off, s[24:27], 0 offset:380 ; 4-byte Folded Reload
	;; [unrolled: 1-line block ×4, first 2 shown]
	s_waitcnt vmcnt(0)
	v_mul_f64 v[93:94], v[119:120], v[103:104]
	v_fma_f64 v[125:126], v[117:118], v[101:102], -v[93:94]
	v_mul_f64 v[93:94], v[117:118], v[103:104]
	v_fma_f64 v[103:104], v[119:120], v[101:102], v[93:94]
	ds_read2_b64 v[93:96], v90 offset0:2 offset1:3
	buffer_load_dword v81, off, s[24:27], 0 offset:360 ; 4-byte Folded Reload
	buffer_load_dword v82, off, s[24:27], 0 offset:364 ; 4-byte Folded Reload
	buffer_load_dword v83, off, s[24:27], 0 offset:368 ; 4-byte Folded Reload
	buffer_load_dword v84, off, s[24:27], 0 offset:372 ; 4-byte Folded Reload
	s_waitcnt lgkmcnt(0)
	v_mul_f64 v[99:100], v[95:96], v[103:104]
	v_fma_f64 v[99:100], v[93:94], v[125:126], -v[99:100]
	v_mul_f64 v[93:94], v[93:94], v[103:104]
	v_fma_f64 v[93:94], v[95:96], v[125:126], v[93:94]
	s_waitcnt vmcnt(2)
	v_add_f64 v[81:82], v[81:82], -v[99:100]
	s_waitcnt vmcnt(0)
	v_add_f64 v[83:84], v[83:84], -v[93:94]
	buffer_store_dword v81, off, s[24:27], 0 offset:360 ; 4-byte Folded Spill
	s_nop 0
	buffer_store_dword v82, off, s[24:27], 0 offset:364 ; 4-byte Folded Spill
	buffer_store_dword v83, off, s[24:27], 0 offset:368 ; 4-byte Folded Spill
	buffer_store_dword v84, off, s[24:27], 0 offset:372 ; 4-byte Folded Spill
	ds_read2_b64 v[93:96], v90 offset0:4 offset1:5
	buffer_load_dword v81, off, s[24:27], 0 offset:344 ; 4-byte Folded Reload
	buffer_load_dword v82, off, s[24:27], 0 offset:348 ; 4-byte Folded Reload
	buffer_load_dword v83, off, s[24:27], 0 offset:352 ; 4-byte Folded Reload
	buffer_load_dword v84, off, s[24:27], 0 offset:356 ; 4-byte Folded Reload
	s_waitcnt lgkmcnt(0)
	v_mul_f64 v[99:100], v[95:96], v[103:104]
	v_fma_f64 v[99:100], v[93:94], v[125:126], -v[99:100]
	v_mul_f64 v[93:94], v[93:94], v[103:104]
	v_fma_f64 v[93:94], v[95:96], v[125:126], v[93:94]
	s_waitcnt vmcnt(2)
	v_add_f64 v[81:82], v[81:82], -v[99:100]
	s_waitcnt vmcnt(0)
	v_add_f64 v[83:84], v[83:84], -v[93:94]
	buffer_store_dword v81, off, s[24:27], 0 offset:344 ; 4-byte Folded Spill
	s_nop 0
	buffer_store_dword v82, off, s[24:27], 0 offset:348 ; 4-byte Folded Spill
	buffer_store_dword v83, off, s[24:27], 0 offset:352 ; 4-byte Folded Spill
	buffer_store_dword v84, off, s[24:27], 0 offset:356 ; 4-byte Folded Spill
	;; [unrolled: 19-line block ×22, first 2 shown]
	ds_read2_b64 v[93:96], v90 offset0:46 offset1:47
	s_waitcnt lgkmcnt(0)
	v_mul_f64 v[99:100], v[95:96], v[103:104]
	v_fma_f64 v[99:100], v[93:94], v[125:126], -v[99:100]
	v_mul_f64 v[93:94], v[93:94], v[103:104]
	v_add_f64 v[85:86], v[85:86], -v[99:100]
	v_fma_f64 v[93:94], v[95:96], v[125:126], v[93:94]
	v_add_f64 v[87:88], v[87:88], -v[93:94]
	ds_read2_b64 v[93:96], v90 offset0:48 offset1:49
	s_waitcnt lgkmcnt(0)
	v_mul_f64 v[99:100], v[95:96], v[103:104]
	v_fma_f64 v[99:100], v[93:94], v[125:126], -v[99:100]
	v_mul_f64 v[93:94], v[93:94], v[103:104]
	v_add_f64 v[111:112], v[111:112], -v[99:100]
	v_fma_f64 v[93:94], v[95:96], v[125:126], v[93:94]
	v_add_f64 v[113:114], v[113:114], -v[93:94]
	ds_read2_b64 v[93:96], v90 offset0:50 offset1:51
	buffer_load_dword v81, off, s[24:27], 0 ; 4-byte Folded Reload
	buffer_load_dword v82, off, s[24:27], 0 offset:4 ; 4-byte Folded Reload
	buffer_load_dword v83, off, s[24:27], 0 offset:8 ; 4-byte Folded Reload
	;; [unrolled: 1-line block ×3, first 2 shown]
	s_waitcnt lgkmcnt(0)
	v_mul_f64 v[99:100], v[95:96], v[103:104]
	v_fma_f64 v[99:100], v[93:94], v[125:126], -v[99:100]
	v_mul_f64 v[93:94], v[93:94], v[103:104]
	v_fma_f64 v[93:94], v[95:96], v[125:126], v[93:94]
	s_waitcnt vmcnt(2)
	v_add_f64 v[81:82], v[81:82], -v[99:100]
	s_waitcnt vmcnt(0)
	v_add_f64 v[83:84], v[83:84], -v[93:94]
	buffer_store_dword v81, off, s[24:27], 0 ; 4-byte Folded Spill
	s_nop 0
	buffer_store_dword v82, off, s[24:27], 0 offset:4 ; 4-byte Folded Spill
	buffer_store_dword v83, off, s[24:27], 0 offset:8 ; 4-byte Folded Spill
	;; [unrolled: 1-line block ×3, first 2 shown]
	ds_read2_b64 v[93:96], v90 offset0:52 offset1:53
	s_waitcnt lgkmcnt(0)
	v_mul_f64 v[99:100], v[95:96], v[103:104]
	v_fma_f64 v[99:100], v[93:94], v[125:126], -v[99:100]
	v_mul_f64 v[93:94], v[93:94], v[103:104]
	v_add_f64 v[77:78], v[77:78], -v[99:100]
	v_fma_f64 v[93:94], v[95:96], v[125:126], v[93:94]
	v_add_f64 v[79:80], v[79:80], -v[93:94]
	ds_read2_b64 v[93:96], v90 offset0:54 offset1:55
	s_waitcnt lgkmcnt(0)
	v_mul_f64 v[99:100], v[95:96], v[103:104]
	v_fma_f64 v[99:100], v[93:94], v[125:126], -v[99:100]
	v_mul_f64 v[93:94], v[93:94], v[103:104]
	v_add_f64 v[73:74], v[73:74], -v[99:100]
	v_fma_f64 v[93:94], v[95:96], v[125:126], v[93:94]
	v_add_f64 v[75:76], v[75:76], -v[93:94]
	;; [unrolled: 8-line block ×19, first 2 shown]
	ds_read2_b64 v[93:96], v90 offset0:90 offset1:91
	s_waitcnt lgkmcnt(0)
	v_mul_f64 v[99:100], v[95:96], v[103:104]
	v_fma_f64 v[99:100], v[93:94], v[125:126], -v[99:100]
	v_mul_f64 v[93:94], v[93:94], v[103:104]
	v_add_f64 v[1:2], v[1:2], -v[99:100]
	v_fma_f64 v[93:94], v[95:96], v[125:126], v[93:94]
	ds_read2_b64 v[99:102], v90 offset0:92 offset1:93
	s_waitcnt lgkmcnt(0)
	v_mul_f64 v[95:96], v[99:100], v[103:104]
	v_add_f64 v[3:4], v[3:4], -v[93:94]
	v_mul_f64 v[93:94], v[101:102], v[103:104]
	v_fma_f64 v[95:96], v[101:102], v[125:126], v[95:96]
	v_mov_b32_e32 v101, v125
	v_mov_b32_e32 v102, v126
	v_fma_f64 v[93:94], v[99:100], v[125:126], -v[93:94]
	buffer_store_dword v101, off, s[24:27], 0 offset:376 ; 4-byte Folded Spill
	s_nop 0
	buffer_store_dword v102, off, s[24:27], 0 offset:380 ; 4-byte Folded Spill
	buffer_store_dword v103, off, s[24:27], 0 offset:384 ; 4-byte Folded Spill
	;; [unrolled: 1-line block ×3, first 2 shown]
	v_add_f64 v[123:124], v[123:124], -v[95:96]
	v_add_f64 v[121:122], v[121:122], -v[93:94]
.LBB92_22:
	s_or_b64 exec, exec, s[0:1]
	s_waitcnt vmcnt(0)
	s_barrier
	buffer_load_dword v81, off, s[24:27], 0 offset:360 ; 4-byte Folded Reload
	buffer_load_dword v82, off, s[24:27], 0 offset:364 ; 4-byte Folded Reload
	;; [unrolled: 1-line block ×4, first 2 shown]
	v_lshl_add_u32 v93, v92, 4, v90
	s_cmp_lt_i32 s3, 3
	s_waitcnt vmcnt(0)
	ds_write2_b64 v93, v[81:82], v[83:84] offset1:1
	s_waitcnt lgkmcnt(0)
	s_barrier
	ds_read2_b64 v[117:120], v90 offset0:2 offset1:3
	v_mov_b32_e32 v93, 1
	s_cbranch_scc1 .LBB92_25
; %bb.23:
	v_add3_u32 v94, v97, 0, 32
	s_mov_b32 s0, 2
	v_mov_b32_e32 v93, 1
.LBB92_24:                              ; =>This Inner Loop Header: Depth=1
	s_waitcnt lgkmcnt(0)
	v_cmp_gt_f64_e32 vcc, 0, v[117:118]
	v_xor_b32_e32 v95, 0x80000000, v118
	ds_read2_b64 v[99:102], v94 offset1:1
	v_xor_b32_e32 v103, 0x80000000, v120
	v_add_u32_e32 v94, 16, v94
	s_waitcnt lgkmcnt(0)
	v_xor_b32_e32 v105, 0x80000000, v102
	v_cndmask_b32_e32 v96, v118, v95, vcc
	v_cmp_gt_f64_e32 vcc, 0, v[119:120]
	v_mov_b32_e32 v95, v117
	v_cndmask_b32_e32 v104, v120, v103, vcc
	v_cmp_gt_f64_e32 vcc, 0, v[99:100]
	v_mov_b32_e32 v103, v119
	v_add_f64 v[95:96], v[95:96], v[103:104]
	v_xor_b32_e32 v103, 0x80000000, v100
	v_cndmask_b32_e32 v104, v100, v103, vcc
	v_cmp_gt_f64_e32 vcc, 0, v[101:102]
	v_mov_b32_e32 v103, v99
	v_cndmask_b32_e32 v106, v102, v105, vcc
	v_mov_b32_e32 v105, v101
	v_add_f64 v[103:104], v[103:104], v[105:106]
	v_cmp_lt_f64_e32 vcc, v[95:96], v[103:104]
	v_mov_b32_e32 v95, s0
	s_add_i32 s0, s0, 1
	s_cmp_lg_u32 s3, s0
	v_cndmask_b32_e32 v118, v118, v100, vcc
	v_cndmask_b32_e32 v117, v117, v99, vcc
	;; [unrolled: 1-line block ×5, first 2 shown]
	s_cbranch_scc1 .LBB92_24
.LBB92_25:
	s_waitcnt lgkmcnt(0)
	v_cmp_neq_f64_e32 vcc, 0, v[117:118]
	v_cmp_neq_f64_e64 s[0:1], 0, v[119:120]
	s_or_b64 s[18:19], vcc, s[0:1]
	s_and_saveexec_b64 s[0:1], s[18:19]
	s_cbranch_execz .LBB92_31
; %bb.26:
	v_cmp_ngt_f64_e64 s[18:19], |v[117:118]|, |v[119:120]|
	s_and_saveexec_b64 s[20:21], s[18:19]
	s_xor_b64 s[18:19], exec, s[20:21]
	s_cbranch_execz .LBB92_28
; %bb.27:
	v_div_scale_f64 v[94:95], s[20:21], v[119:120], v[119:120], v[117:118]
	v_rcp_f64_e32 v[99:100], v[94:95]
	v_fma_f64 v[101:102], -v[94:95], v[99:100], 1.0
	v_fma_f64 v[99:100], v[99:100], v[101:102], v[99:100]
	v_div_scale_f64 v[101:102], vcc, v[117:118], v[119:120], v[117:118]
	v_fma_f64 v[103:104], -v[94:95], v[99:100], 1.0
	v_fma_f64 v[99:100], v[99:100], v[103:104], v[99:100]
	v_mul_f64 v[103:104], v[101:102], v[99:100]
	v_fma_f64 v[94:95], -v[94:95], v[103:104], v[101:102]
	v_div_fmas_f64 v[94:95], v[94:95], v[99:100], v[103:104]
	v_div_fixup_f64 v[94:95], v[94:95], v[119:120], v[117:118]
	v_fma_f64 v[99:100], v[117:118], v[94:95], v[119:120]
	v_div_scale_f64 v[101:102], s[20:21], v[99:100], v[99:100], 1.0
	v_div_scale_f64 v[107:108], vcc, 1.0, v[99:100], 1.0
	v_rcp_f64_e32 v[103:104], v[101:102]
	v_fma_f64 v[105:106], -v[101:102], v[103:104], 1.0
	v_fma_f64 v[103:104], v[103:104], v[105:106], v[103:104]
	v_fma_f64 v[105:106], -v[101:102], v[103:104], 1.0
	v_fma_f64 v[103:104], v[103:104], v[105:106], v[103:104]
	v_mul_f64 v[105:106], v[107:108], v[103:104]
	v_fma_f64 v[101:102], -v[101:102], v[105:106], v[107:108]
	v_div_fmas_f64 v[101:102], v[101:102], v[103:104], v[105:106]
	v_div_fixup_f64 v[119:120], v[101:102], v[99:100], 1.0
	v_mul_f64 v[117:118], v[94:95], v[119:120]
	v_xor_b32_e32 v120, 0x80000000, v120
.LBB92_28:
	s_andn2_saveexec_b64 s[18:19], s[18:19]
	s_cbranch_execz .LBB92_30
; %bb.29:
	v_div_scale_f64 v[94:95], s[20:21], v[117:118], v[117:118], v[119:120]
	v_rcp_f64_e32 v[99:100], v[94:95]
	v_fma_f64 v[101:102], -v[94:95], v[99:100], 1.0
	v_fma_f64 v[99:100], v[99:100], v[101:102], v[99:100]
	v_div_scale_f64 v[101:102], vcc, v[119:120], v[117:118], v[119:120]
	v_fma_f64 v[103:104], -v[94:95], v[99:100], 1.0
	v_fma_f64 v[99:100], v[99:100], v[103:104], v[99:100]
	v_mul_f64 v[103:104], v[101:102], v[99:100]
	v_fma_f64 v[94:95], -v[94:95], v[103:104], v[101:102]
	v_div_fmas_f64 v[94:95], v[94:95], v[99:100], v[103:104]
	v_div_fixup_f64 v[94:95], v[94:95], v[117:118], v[119:120]
	v_fma_f64 v[99:100], v[119:120], v[94:95], v[117:118]
	v_div_scale_f64 v[101:102], s[20:21], v[99:100], v[99:100], 1.0
	v_div_scale_f64 v[107:108], vcc, 1.0, v[99:100], 1.0
	v_rcp_f64_e32 v[103:104], v[101:102]
	v_fma_f64 v[105:106], -v[101:102], v[103:104], 1.0
	v_fma_f64 v[103:104], v[103:104], v[105:106], v[103:104]
	v_fma_f64 v[105:106], -v[101:102], v[103:104], 1.0
	v_fma_f64 v[103:104], v[103:104], v[105:106], v[103:104]
	v_mul_f64 v[105:106], v[107:108], v[103:104]
	v_fma_f64 v[101:102], -v[101:102], v[105:106], v[107:108]
	v_div_fmas_f64 v[101:102], v[101:102], v[103:104], v[105:106]
	v_div_fixup_f64 v[117:118], v[101:102], v[99:100], 1.0
	v_mul_f64 v[119:120], v[94:95], -v[117:118]
.LBB92_30:
	s_or_b64 exec, exec, s[18:19]
	v_mov_b32_e32 v91, v98
.LBB92_31:
	s_or_b64 exec, exec, s[0:1]
	v_cmp_ne_u32_e32 vcc, v92, v93
	s_and_saveexec_b64 s[0:1], vcc
	s_xor_b64 s[0:1], exec, s[0:1]
	s_cbranch_execz .LBB92_37
; %bb.32:
	v_cmp_eq_u32_e32 vcc, 1, v92
	s_and_saveexec_b64 s[18:19], vcc
	s_cbranch_execz .LBB92_36
; %bb.33:
	v_cmp_ne_u32_e32 vcc, 1, v93
	s_xor_b64 s[20:21], s[6:7], -1
	s_and_b64 s[22:23], s[20:21], vcc
	s_and_saveexec_b64 s[20:21], s[22:23]
	s_cbranch_execz .LBB92_35
; %bb.34:
	v_mov_b32_e32 v81, v85
	v_mov_b32_e32 v82, v86
	;; [unrolled: 1-line block ×4, first 2 shown]
	buffer_load_dword v85, off, s[24:27], 0 offset:336 ; 4-byte Folded Reload
	buffer_load_dword v86, off, s[24:27], 0 offset:340 ; 4-byte Folded Reload
	v_ashrrev_i32_e32 v94, 31, v93
	v_lshlrev_b64 v[94:95], 2, v[93:94]
	s_waitcnt vmcnt(1)
	v_add_co_u32_e32 v94, vcc, v85, v94
	s_waitcnt vmcnt(0)
	v_addc_co_u32_e32 v95, vcc, v86, v95, vcc
	global_load_dword v0, v[94:95], off
	global_load_dword v92, v[85:86], off offset:4
	s_waitcnt vmcnt(1)
	global_store_dword v[85:86], v0, off offset:4
	v_mov_b32_e32 v88, v84
	v_mov_b32_e32 v87, v83
	;; [unrolled: 1-line block ×4, first 2 shown]
	s_waitcnt vmcnt(1)
	global_store_dword v[94:95], v92, off
.LBB92_35:
	s_or_b64 exec, exec, s[20:21]
	v_mov_b32_e32 v92, v93
	v_mov_b32_e32 v0, v93
.LBB92_36:
	s_or_b64 exec, exec, s[18:19]
.LBB92_37:
	s_andn2_saveexec_b64 s[0:1], s[0:1]
	s_cbranch_execz .LBB92_39
; %bb.38:
	buffer_load_dword v81, off, s[24:27], 0 offset:344 ; 4-byte Folded Reload
	buffer_load_dword v82, off, s[24:27], 0 offset:348 ; 4-byte Folded Reload
	;; [unrolled: 1-line block ×4, first 2 shown]
	v_mov_b32_e32 v92, 1
	s_waitcnt vmcnt(0)
	ds_write2_b64 v90, v[81:82], v[83:84] offset0:4 offset1:5
	buffer_load_dword v81, off, s[24:27], 0 offset:320 ; 4-byte Folded Reload
	buffer_load_dword v82, off, s[24:27], 0 offset:324 ; 4-byte Folded Reload
	buffer_load_dword v83, off, s[24:27], 0 offset:328 ; 4-byte Folded Reload
	buffer_load_dword v84, off, s[24:27], 0 offset:332 ; 4-byte Folded Reload
	s_waitcnt vmcnt(0)
	ds_write2_b64 v90, v[81:82], v[83:84] offset0:6 offset1:7
	buffer_load_dword v81, off, s[24:27], 0 offset:304 ; 4-byte Folded Reload
	buffer_load_dword v82, off, s[24:27], 0 offset:308 ; 4-byte Folded Reload
	buffer_load_dword v83, off, s[24:27], 0 offset:312 ; 4-byte Folded Reload
	buffer_load_dword v84, off, s[24:27], 0 offset:316 ; 4-byte Folded Reload
	;; [unrolled: 6-line block ×20, first 2 shown]
	s_waitcnt vmcnt(0)
	ds_write2_b64 v90, v[81:82], v[83:84] offset0:44 offset1:45
	ds_write2_b64 v90, v[85:86], v[87:88] offset0:46 offset1:47
	ds_write2_b64 v90, v[111:112], v[113:114] offset0:48 offset1:49
	buffer_load_dword v81, off, s[24:27], 0 ; 4-byte Folded Reload
	buffer_load_dword v82, off, s[24:27], 0 offset:4 ; 4-byte Folded Reload
	buffer_load_dword v83, off, s[24:27], 0 offset:8 ; 4-byte Folded Reload
	;; [unrolled: 1-line block ×3, first 2 shown]
	s_waitcnt vmcnt(0)
	ds_write2_b64 v90, v[81:82], v[83:84] offset0:50 offset1:51
	ds_write2_b64 v90, v[77:78], v[79:80] offset0:52 offset1:53
	;; [unrolled: 1-line block ×22, first 2 shown]
.LBB92_39:
	s_or_b64 exec, exec, s[0:1]
	v_cmp_lt_i32_e32 vcc, 1, v92
	s_waitcnt vmcnt(0) lgkmcnt(0)
	s_barrier
	s_and_saveexec_b64 s[0:1], vcc
	s_cbranch_execz .LBB92_41
; %bb.40:
	buffer_load_dword v100, off, s[24:27], 0 offset:360 ; 4-byte Folded Reload
	buffer_load_dword v101, off, s[24:27], 0 offset:364 ; 4-byte Folded Reload
	buffer_load_dword v102, off, s[24:27], 0 offset:368 ; 4-byte Folded Reload
	buffer_load_dword v103, off, s[24:27], 0 offset:372 ; 4-byte Folded Reload
	s_waitcnt vmcnt(0)
	v_mul_f64 v[93:94], v[119:120], v[102:103]
	v_fma_f64 v[125:126], v[117:118], v[100:101], -v[93:94]
	v_mul_f64 v[93:94], v[117:118], v[102:103]
	v_fma_f64 v[102:103], v[119:120], v[100:101], v[93:94]
	ds_read2_b64 v[93:96], v90 offset0:4 offset1:5
	buffer_load_dword v81, off, s[24:27], 0 offset:344 ; 4-byte Folded Reload
	buffer_load_dword v82, off, s[24:27], 0 offset:348 ; 4-byte Folded Reload
	buffer_load_dword v83, off, s[24:27], 0 offset:352 ; 4-byte Folded Reload
	buffer_load_dword v84, off, s[24:27], 0 offset:356 ; 4-byte Folded Reload
	s_waitcnt lgkmcnt(0)
	v_mul_f64 v[98:99], v[95:96], v[102:103]
	v_fma_f64 v[98:99], v[93:94], v[125:126], -v[98:99]
	v_mul_f64 v[93:94], v[93:94], v[102:103]
	v_fma_f64 v[93:94], v[95:96], v[125:126], v[93:94]
	s_waitcnt vmcnt(2)
	v_add_f64 v[81:82], v[81:82], -v[98:99]
	s_waitcnt vmcnt(0)
	v_add_f64 v[83:84], v[83:84], -v[93:94]
	buffer_store_dword v81, off, s[24:27], 0 offset:344 ; 4-byte Folded Spill
	s_nop 0
	buffer_store_dword v82, off, s[24:27], 0 offset:348 ; 4-byte Folded Spill
	buffer_store_dword v83, off, s[24:27], 0 offset:352 ; 4-byte Folded Spill
	buffer_store_dword v84, off, s[24:27], 0 offset:356 ; 4-byte Folded Spill
	ds_read2_b64 v[93:96], v90 offset0:6 offset1:7
	buffer_load_dword v81, off, s[24:27], 0 offset:320 ; 4-byte Folded Reload
	buffer_load_dword v82, off, s[24:27], 0 offset:324 ; 4-byte Folded Reload
	buffer_load_dword v83, off, s[24:27], 0 offset:328 ; 4-byte Folded Reload
	buffer_load_dword v84, off, s[24:27], 0 offset:332 ; 4-byte Folded Reload
	s_waitcnt lgkmcnt(0)
	v_mul_f64 v[98:99], v[95:96], v[102:103]
	v_fma_f64 v[98:99], v[93:94], v[125:126], -v[98:99]
	v_mul_f64 v[93:94], v[93:94], v[102:103]
	v_fma_f64 v[93:94], v[95:96], v[125:126], v[93:94]
	s_waitcnt vmcnt(2)
	v_add_f64 v[81:82], v[81:82], -v[98:99]
	s_waitcnt vmcnt(0)
	v_add_f64 v[83:84], v[83:84], -v[93:94]
	buffer_store_dword v81, off, s[24:27], 0 offset:320 ; 4-byte Folded Spill
	s_nop 0
	buffer_store_dword v82, off, s[24:27], 0 offset:324 ; 4-byte Folded Spill
	buffer_store_dword v83, off, s[24:27], 0 offset:328 ; 4-byte Folded Spill
	buffer_store_dword v84, off, s[24:27], 0 offset:332 ; 4-byte Folded Spill
	;; [unrolled: 19-line block ×21, first 2 shown]
	ds_read2_b64 v[93:96], v90 offset0:46 offset1:47
	s_waitcnt lgkmcnt(0)
	v_mul_f64 v[98:99], v[95:96], v[102:103]
	v_fma_f64 v[98:99], v[93:94], v[125:126], -v[98:99]
	v_mul_f64 v[93:94], v[93:94], v[102:103]
	v_add_f64 v[85:86], v[85:86], -v[98:99]
	v_fma_f64 v[93:94], v[95:96], v[125:126], v[93:94]
	v_add_f64 v[87:88], v[87:88], -v[93:94]
	ds_read2_b64 v[93:96], v90 offset0:48 offset1:49
	s_waitcnt lgkmcnt(0)
	v_mul_f64 v[98:99], v[95:96], v[102:103]
	v_fma_f64 v[98:99], v[93:94], v[125:126], -v[98:99]
	v_mul_f64 v[93:94], v[93:94], v[102:103]
	v_add_f64 v[111:112], v[111:112], -v[98:99]
	v_fma_f64 v[93:94], v[95:96], v[125:126], v[93:94]
	v_add_f64 v[113:114], v[113:114], -v[93:94]
	ds_read2_b64 v[93:96], v90 offset0:50 offset1:51
	buffer_load_dword v81, off, s[24:27], 0 ; 4-byte Folded Reload
	buffer_load_dword v82, off, s[24:27], 0 offset:4 ; 4-byte Folded Reload
	buffer_load_dword v83, off, s[24:27], 0 offset:8 ; 4-byte Folded Reload
	;; [unrolled: 1-line block ×3, first 2 shown]
	s_waitcnt lgkmcnt(0)
	v_mul_f64 v[98:99], v[95:96], v[102:103]
	v_fma_f64 v[98:99], v[93:94], v[125:126], -v[98:99]
	v_mul_f64 v[93:94], v[93:94], v[102:103]
	v_fma_f64 v[93:94], v[95:96], v[125:126], v[93:94]
	s_waitcnt vmcnt(2)
	v_add_f64 v[81:82], v[81:82], -v[98:99]
	s_waitcnt vmcnt(0)
	v_add_f64 v[83:84], v[83:84], -v[93:94]
	buffer_store_dword v81, off, s[24:27], 0 ; 4-byte Folded Spill
	s_nop 0
	buffer_store_dword v82, off, s[24:27], 0 offset:4 ; 4-byte Folded Spill
	buffer_store_dword v83, off, s[24:27], 0 offset:8 ; 4-byte Folded Spill
	;; [unrolled: 1-line block ×3, first 2 shown]
	ds_read2_b64 v[93:96], v90 offset0:52 offset1:53
	s_waitcnt lgkmcnt(0)
	v_mul_f64 v[98:99], v[95:96], v[102:103]
	v_fma_f64 v[98:99], v[93:94], v[125:126], -v[98:99]
	v_mul_f64 v[93:94], v[93:94], v[102:103]
	v_add_f64 v[77:78], v[77:78], -v[98:99]
	v_fma_f64 v[93:94], v[95:96], v[125:126], v[93:94]
	v_add_f64 v[79:80], v[79:80], -v[93:94]
	ds_read2_b64 v[93:96], v90 offset0:54 offset1:55
	s_waitcnt lgkmcnt(0)
	v_mul_f64 v[98:99], v[95:96], v[102:103]
	v_fma_f64 v[98:99], v[93:94], v[125:126], -v[98:99]
	v_mul_f64 v[93:94], v[93:94], v[102:103]
	v_add_f64 v[73:74], v[73:74], -v[98:99]
	v_fma_f64 v[93:94], v[95:96], v[125:126], v[93:94]
	v_add_f64 v[75:76], v[75:76], -v[93:94]
	;; [unrolled: 8-line block ×19, first 2 shown]
	ds_read2_b64 v[93:96], v90 offset0:90 offset1:91
	s_waitcnt lgkmcnt(0)
	v_mul_f64 v[98:99], v[95:96], v[102:103]
	v_fma_f64 v[98:99], v[93:94], v[125:126], -v[98:99]
	v_mul_f64 v[93:94], v[93:94], v[102:103]
	v_add_f64 v[1:2], v[1:2], -v[98:99]
	v_fma_f64 v[93:94], v[95:96], v[125:126], v[93:94]
	ds_read2_b64 v[98:101], v90 offset0:92 offset1:93
	s_waitcnt lgkmcnt(0)
	v_mul_f64 v[95:96], v[98:99], v[102:103]
	v_add_f64 v[3:4], v[3:4], -v[93:94]
	v_mul_f64 v[93:94], v[100:101], v[102:103]
	v_fma_f64 v[95:96], v[100:101], v[125:126], v[95:96]
	v_mov_b32_e32 v100, v125
	v_mov_b32_e32 v101, v126
	v_fma_f64 v[93:94], v[98:99], v[125:126], -v[93:94]
	buffer_store_dword v100, off, s[24:27], 0 offset:360 ; 4-byte Folded Spill
	s_nop 0
	buffer_store_dword v101, off, s[24:27], 0 offset:364 ; 4-byte Folded Spill
	buffer_store_dword v102, off, s[24:27], 0 offset:368 ; 4-byte Folded Spill
	;; [unrolled: 1-line block ×3, first 2 shown]
	v_add_f64 v[123:124], v[123:124], -v[95:96]
	v_add_f64 v[121:122], v[121:122], -v[93:94]
.LBB92_41:
	s_or_b64 exec, exec, s[0:1]
	s_waitcnt vmcnt(0)
	s_barrier
	buffer_load_dword v81, off, s[24:27], 0 offset:344 ; 4-byte Folded Reload
	buffer_load_dword v82, off, s[24:27], 0 offset:348 ; 4-byte Folded Reload
	;; [unrolled: 1-line block ×4, first 2 shown]
	v_lshl_add_u32 v93, v92, 4, v90
	s_cmp_lt_i32 s3, 4
	s_waitcnt vmcnt(0)
	ds_write2_b64 v93, v[81:82], v[83:84] offset1:1
	s_waitcnt lgkmcnt(0)
	s_barrier
	ds_read2_b64 v[117:120], v90 offset0:4 offset1:5
	v_mov_b32_e32 v93, 2
	s_cbranch_scc1 .LBB92_44
; %bb.42:
	v_add3_u32 v94, v97, 0, 48
	s_mov_b32 s0, 3
	v_mov_b32_e32 v93, 2
.LBB92_43:                              ; =>This Inner Loop Header: Depth=1
	s_waitcnt lgkmcnt(0)
	v_cmp_gt_f64_e32 vcc, 0, v[117:118]
	v_xor_b32_e32 v95, 0x80000000, v118
	ds_read2_b64 v[98:101], v94 offset1:1
	v_xor_b32_e32 v102, 0x80000000, v120
	v_add_u32_e32 v94, 16, v94
	s_waitcnt lgkmcnt(0)
	v_xor_b32_e32 v104, 0x80000000, v101
	v_cndmask_b32_e32 v96, v118, v95, vcc
	v_cmp_gt_f64_e32 vcc, 0, v[119:120]
	v_mov_b32_e32 v95, v117
	v_cndmask_b32_e32 v103, v120, v102, vcc
	v_cmp_gt_f64_e32 vcc, 0, v[98:99]
	v_mov_b32_e32 v102, v119
	v_add_f64 v[95:96], v[95:96], v[102:103]
	v_xor_b32_e32 v102, 0x80000000, v99
	v_cndmask_b32_e32 v103, v99, v102, vcc
	v_cmp_gt_f64_e32 vcc, 0, v[100:101]
	v_mov_b32_e32 v102, v98
	v_cndmask_b32_e32 v105, v101, v104, vcc
	v_mov_b32_e32 v104, v100
	v_add_f64 v[102:103], v[102:103], v[104:105]
	v_cmp_lt_f64_e32 vcc, v[95:96], v[102:103]
	v_mov_b32_e32 v95, s0
	s_add_i32 s0, s0, 1
	s_cmp_lg_u32 s3, s0
	v_cndmask_b32_e32 v118, v118, v99, vcc
	v_cndmask_b32_e32 v117, v117, v98, vcc
	v_cndmask_b32_e32 v120, v120, v101, vcc
	v_cndmask_b32_e32 v119, v119, v100, vcc
	v_cndmask_b32_e32 v93, v93, v95, vcc
	s_cbranch_scc1 .LBB92_43
.LBB92_44:
	s_waitcnt lgkmcnt(0)
	v_cmp_eq_f64_e32 vcc, 0, v[117:118]
	v_cmp_eq_f64_e64 s[0:1], 0, v[119:120]
	s_and_b64 s[0:1], vcc, s[0:1]
	s_and_saveexec_b64 s[18:19], s[0:1]
	s_xor_b64 s[0:1], exec, s[18:19]
; %bb.45:
	v_cmp_ne_u32_e32 vcc, 0, v91
	v_cndmask_b32_e32 v91, 3, v91, vcc
; %bb.46:
	s_andn2_saveexec_b64 s[0:1], s[0:1]
	s_cbranch_execz .LBB92_52
; %bb.47:
	v_cmp_ngt_f64_e64 s[18:19], |v[117:118]|, |v[119:120]|
	s_and_saveexec_b64 s[20:21], s[18:19]
	s_xor_b64 s[18:19], exec, s[20:21]
	s_cbranch_execz .LBB92_49
; %bb.48:
	v_div_scale_f64 v[94:95], s[20:21], v[119:120], v[119:120], v[117:118]
	v_rcp_f64_e32 v[98:99], v[94:95]
	v_fma_f64 v[100:101], -v[94:95], v[98:99], 1.0
	v_fma_f64 v[98:99], v[98:99], v[100:101], v[98:99]
	v_div_scale_f64 v[100:101], vcc, v[117:118], v[119:120], v[117:118]
	v_fma_f64 v[102:103], -v[94:95], v[98:99], 1.0
	v_fma_f64 v[98:99], v[98:99], v[102:103], v[98:99]
	v_mul_f64 v[102:103], v[100:101], v[98:99]
	v_fma_f64 v[94:95], -v[94:95], v[102:103], v[100:101]
	v_div_fmas_f64 v[94:95], v[94:95], v[98:99], v[102:103]
	v_div_fixup_f64 v[94:95], v[94:95], v[119:120], v[117:118]
	v_fma_f64 v[98:99], v[117:118], v[94:95], v[119:120]
	v_div_scale_f64 v[100:101], s[20:21], v[98:99], v[98:99], 1.0
	v_div_scale_f64 v[106:107], vcc, 1.0, v[98:99], 1.0
	v_rcp_f64_e32 v[102:103], v[100:101]
	v_fma_f64 v[104:105], -v[100:101], v[102:103], 1.0
	v_fma_f64 v[102:103], v[102:103], v[104:105], v[102:103]
	v_fma_f64 v[104:105], -v[100:101], v[102:103], 1.0
	v_fma_f64 v[102:103], v[102:103], v[104:105], v[102:103]
	v_mul_f64 v[104:105], v[106:107], v[102:103]
	v_fma_f64 v[100:101], -v[100:101], v[104:105], v[106:107]
	v_div_fmas_f64 v[100:101], v[100:101], v[102:103], v[104:105]
	v_div_fixup_f64 v[119:120], v[100:101], v[98:99], 1.0
	v_mul_f64 v[117:118], v[94:95], v[119:120]
	v_xor_b32_e32 v120, 0x80000000, v120
.LBB92_49:
	s_andn2_saveexec_b64 s[18:19], s[18:19]
	s_cbranch_execz .LBB92_51
; %bb.50:
	v_div_scale_f64 v[94:95], s[20:21], v[117:118], v[117:118], v[119:120]
	v_rcp_f64_e32 v[98:99], v[94:95]
	v_fma_f64 v[100:101], -v[94:95], v[98:99], 1.0
	v_fma_f64 v[98:99], v[98:99], v[100:101], v[98:99]
	v_div_scale_f64 v[100:101], vcc, v[119:120], v[117:118], v[119:120]
	v_fma_f64 v[102:103], -v[94:95], v[98:99], 1.0
	v_fma_f64 v[98:99], v[98:99], v[102:103], v[98:99]
	v_mul_f64 v[102:103], v[100:101], v[98:99]
	v_fma_f64 v[94:95], -v[94:95], v[102:103], v[100:101]
	v_div_fmas_f64 v[94:95], v[94:95], v[98:99], v[102:103]
	v_div_fixup_f64 v[94:95], v[94:95], v[117:118], v[119:120]
	v_fma_f64 v[98:99], v[119:120], v[94:95], v[117:118]
	v_div_scale_f64 v[100:101], s[20:21], v[98:99], v[98:99], 1.0
	v_div_scale_f64 v[106:107], vcc, 1.0, v[98:99], 1.0
	v_rcp_f64_e32 v[102:103], v[100:101]
	v_fma_f64 v[104:105], -v[100:101], v[102:103], 1.0
	v_fma_f64 v[102:103], v[102:103], v[104:105], v[102:103]
	v_fma_f64 v[104:105], -v[100:101], v[102:103], 1.0
	v_fma_f64 v[102:103], v[102:103], v[104:105], v[102:103]
	v_mul_f64 v[104:105], v[106:107], v[102:103]
	v_fma_f64 v[100:101], -v[100:101], v[104:105], v[106:107]
	v_div_fmas_f64 v[100:101], v[100:101], v[102:103], v[104:105]
	v_div_fixup_f64 v[117:118], v[100:101], v[98:99], 1.0
	v_mul_f64 v[119:120], v[94:95], -v[117:118]
.LBB92_51:
	s_or_b64 exec, exec, s[18:19]
.LBB92_52:
	s_or_b64 exec, exec, s[0:1]
	v_cmp_ne_u32_e32 vcc, v92, v93
	s_and_saveexec_b64 s[0:1], vcc
	s_xor_b64 s[0:1], exec, s[0:1]
	s_cbranch_execz .LBB92_58
; %bb.53:
	v_cmp_eq_u32_e32 vcc, 2, v92
	s_and_saveexec_b64 s[18:19], vcc
	s_cbranch_execz .LBB92_57
; %bb.54:
	v_cmp_ne_u32_e32 vcc, 2, v93
	s_xor_b64 s[20:21], s[6:7], -1
	s_and_b64 s[22:23], s[20:21], vcc
	s_and_saveexec_b64 s[20:21], s[22:23]
	s_cbranch_execz .LBB92_56
; %bb.55:
	v_mov_b32_e32 v81, v85
	v_mov_b32_e32 v82, v86
	;; [unrolled: 1-line block ×4, first 2 shown]
	buffer_load_dword v85, off, s[24:27], 0 offset:336 ; 4-byte Folded Reload
	buffer_load_dword v86, off, s[24:27], 0 offset:340 ; 4-byte Folded Reload
	v_ashrrev_i32_e32 v94, 31, v93
	v_lshlrev_b64 v[94:95], 2, v[93:94]
	s_waitcnt vmcnt(1)
	v_add_co_u32_e32 v94, vcc, v85, v94
	s_waitcnt vmcnt(0)
	v_addc_co_u32_e32 v95, vcc, v86, v95, vcc
	global_load_dword v0, v[94:95], off
	global_load_dword v92, v[85:86], off offset:8
	s_waitcnt vmcnt(1)
	global_store_dword v[85:86], v0, off offset:8
	v_mov_b32_e32 v88, v84
	v_mov_b32_e32 v87, v83
	;; [unrolled: 1-line block ×4, first 2 shown]
	s_waitcnt vmcnt(1)
	global_store_dword v[94:95], v92, off
.LBB92_56:
	s_or_b64 exec, exec, s[20:21]
	v_mov_b32_e32 v92, v93
	v_mov_b32_e32 v0, v93
.LBB92_57:
	s_or_b64 exec, exec, s[18:19]
.LBB92_58:
	s_andn2_saveexec_b64 s[0:1], s[0:1]
	s_cbranch_execz .LBB92_60
; %bb.59:
	buffer_load_dword v81, off, s[24:27], 0 offset:320 ; 4-byte Folded Reload
	buffer_load_dword v82, off, s[24:27], 0 offset:324 ; 4-byte Folded Reload
	;; [unrolled: 1-line block ×4, first 2 shown]
	v_mov_b32_e32 v92, 2
	s_waitcnt vmcnt(0)
	ds_write2_b64 v90, v[81:82], v[83:84] offset0:6 offset1:7
	buffer_load_dword v81, off, s[24:27], 0 offset:304 ; 4-byte Folded Reload
	buffer_load_dword v82, off, s[24:27], 0 offset:308 ; 4-byte Folded Reload
	buffer_load_dword v83, off, s[24:27], 0 offset:312 ; 4-byte Folded Reload
	buffer_load_dword v84, off, s[24:27], 0 offset:316 ; 4-byte Folded Reload
	s_waitcnt vmcnt(0)
	ds_write2_b64 v90, v[81:82], v[83:84] offset0:8 offset1:9
	buffer_load_dword v81, off, s[24:27], 0 offset:288 ; 4-byte Folded Reload
	buffer_load_dword v82, off, s[24:27], 0 offset:292 ; 4-byte Folded Reload
	buffer_load_dword v83, off, s[24:27], 0 offset:296 ; 4-byte Folded Reload
	buffer_load_dword v84, off, s[24:27], 0 offset:300 ; 4-byte Folded Reload
	;; [unrolled: 6-line block ×19, first 2 shown]
	s_waitcnt vmcnt(0)
	ds_write2_b64 v90, v[81:82], v[83:84] offset0:44 offset1:45
	ds_write2_b64 v90, v[85:86], v[87:88] offset0:46 offset1:47
	;; [unrolled: 1-line block ×3, first 2 shown]
	buffer_load_dword v81, off, s[24:27], 0 ; 4-byte Folded Reload
	buffer_load_dword v82, off, s[24:27], 0 offset:4 ; 4-byte Folded Reload
	buffer_load_dword v83, off, s[24:27], 0 offset:8 ; 4-byte Folded Reload
	;; [unrolled: 1-line block ×3, first 2 shown]
	s_waitcnt vmcnt(0)
	ds_write2_b64 v90, v[81:82], v[83:84] offset0:50 offset1:51
	ds_write2_b64 v90, v[77:78], v[79:80] offset0:52 offset1:53
	;; [unrolled: 1-line block ×22, first 2 shown]
.LBB92_60:
	s_or_b64 exec, exec, s[0:1]
	v_cmp_lt_i32_e32 vcc, 2, v92
	s_waitcnt vmcnt(0) lgkmcnt(0)
	s_barrier
	s_and_saveexec_b64 s[0:1], vcc
	s_cbranch_execz .LBB92_62
; %bb.61:
	buffer_load_dword v100, off, s[24:27], 0 offset:344 ; 4-byte Folded Reload
	buffer_load_dword v101, off, s[24:27], 0 offset:348 ; 4-byte Folded Reload
	;; [unrolled: 1-line block ×4, first 2 shown]
	s_waitcnt vmcnt(0)
	v_mul_f64 v[93:94], v[119:120], v[102:103]
	v_fma_f64 v[125:126], v[117:118], v[100:101], -v[93:94]
	v_mul_f64 v[93:94], v[117:118], v[102:103]
	v_fma_f64 v[102:103], v[119:120], v[100:101], v[93:94]
	ds_read2_b64 v[93:96], v90 offset0:6 offset1:7
	buffer_load_dword v81, off, s[24:27], 0 offset:320 ; 4-byte Folded Reload
	buffer_load_dword v82, off, s[24:27], 0 offset:324 ; 4-byte Folded Reload
	buffer_load_dword v83, off, s[24:27], 0 offset:328 ; 4-byte Folded Reload
	buffer_load_dword v84, off, s[24:27], 0 offset:332 ; 4-byte Folded Reload
	s_waitcnt lgkmcnt(0)
	v_mul_f64 v[98:99], v[95:96], v[102:103]
	v_fma_f64 v[98:99], v[93:94], v[125:126], -v[98:99]
	v_mul_f64 v[93:94], v[93:94], v[102:103]
	v_fma_f64 v[93:94], v[95:96], v[125:126], v[93:94]
	s_waitcnt vmcnt(2)
	v_add_f64 v[81:82], v[81:82], -v[98:99]
	s_waitcnt vmcnt(0)
	v_add_f64 v[83:84], v[83:84], -v[93:94]
	buffer_store_dword v81, off, s[24:27], 0 offset:320 ; 4-byte Folded Spill
	s_nop 0
	buffer_store_dword v82, off, s[24:27], 0 offset:324 ; 4-byte Folded Spill
	buffer_store_dword v83, off, s[24:27], 0 offset:328 ; 4-byte Folded Spill
	buffer_store_dword v84, off, s[24:27], 0 offset:332 ; 4-byte Folded Spill
	ds_read2_b64 v[93:96], v90 offset0:8 offset1:9
	buffer_load_dword v81, off, s[24:27], 0 offset:304 ; 4-byte Folded Reload
	buffer_load_dword v82, off, s[24:27], 0 offset:308 ; 4-byte Folded Reload
	buffer_load_dword v83, off, s[24:27], 0 offset:312 ; 4-byte Folded Reload
	buffer_load_dword v84, off, s[24:27], 0 offset:316 ; 4-byte Folded Reload
	s_waitcnt lgkmcnt(0)
	v_mul_f64 v[98:99], v[95:96], v[102:103]
	v_fma_f64 v[98:99], v[93:94], v[125:126], -v[98:99]
	v_mul_f64 v[93:94], v[93:94], v[102:103]
	v_fma_f64 v[93:94], v[95:96], v[125:126], v[93:94]
	s_waitcnt vmcnt(2)
	v_add_f64 v[81:82], v[81:82], -v[98:99]
	s_waitcnt vmcnt(0)
	v_add_f64 v[83:84], v[83:84], -v[93:94]
	buffer_store_dword v81, off, s[24:27], 0 offset:304 ; 4-byte Folded Spill
	s_nop 0
	buffer_store_dword v82, off, s[24:27], 0 offset:308 ; 4-byte Folded Spill
	buffer_store_dword v83, off, s[24:27], 0 offset:312 ; 4-byte Folded Spill
	buffer_store_dword v84, off, s[24:27], 0 offset:316 ; 4-byte Folded Spill
	;; [unrolled: 19-line block ×20, first 2 shown]
	ds_read2_b64 v[93:96], v90 offset0:46 offset1:47
	s_waitcnt lgkmcnt(0)
	v_mul_f64 v[98:99], v[95:96], v[102:103]
	v_fma_f64 v[98:99], v[93:94], v[125:126], -v[98:99]
	v_mul_f64 v[93:94], v[93:94], v[102:103]
	v_add_f64 v[85:86], v[85:86], -v[98:99]
	v_fma_f64 v[93:94], v[95:96], v[125:126], v[93:94]
	v_add_f64 v[87:88], v[87:88], -v[93:94]
	ds_read2_b64 v[93:96], v90 offset0:48 offset1:49
	s_waitcnt lgkmcnt(0)
	v_mul_f64 v[98:99], v[95:96], v[102:103]
	v_fma_f64 v[98:99], v[93:94], v[125:126], -v[98:99]
	v_mul_f64 v[93:94], v[93:94], v[102:103]
	v_add_f64 v[111:112], v[111:112], -v[98:99]
	v_fma_f64 v[93:94], v[95:96], v[125:126], v[93:94]
	v_add_f64 v[113:114], v[113:114], -v[93:94]
	ds_read2_b64 v[93:96], v90 offset0:50 offset1:51
	buffer_load_dword v81, off, s[24:27], 0 ; 4-byte Folded Reload
	buffer_load_dword v82, off, s[24:27], 0 offset:4 ; 4-byte Folded Reload
	buffer_load_dword v83, off, s[24:27], 0 offset:8 ; 4-byte Folded Reload
	;; [unrolled: 1-line block ×3, first 2 shown]
	s_waitcnt lgkmcnt(0)
	v_mul_f64 v[98:99], v[95:96], v[102:103]
	v_fma_f64 v[98:99], v[93:94], v[125:126], -v[98:99]
	v_mul_f64 v[93:94], v[93:94], v[102:103]
	v_fma_f64 v[93:94], v[95:96], v[125:126], v[93:94]
	s_waitcnt vmcnt(2)
	v_add_f64 v[81:82], v[81:82], -v[98:99]
	s_waitcnt vmcnt(0)
	v_add_f64 v[83:84], v[83:84], -v[93:94]
	buffer_store_dword v81, off, s[24:27], 0 ; 4-byte Folded Spill
	s_nop 0
	buffer_store_dword v82, off, s[24:27], 0 offset:4 ; 4-byte Folded Spill
	buffer_store_dword v83, off, s[24:27], 0 offset:8 ; 4-byte Folded Spill
	;; [unrolled: 1-line block ×3, first 2 shown]
	ds_read2_b64 v[93:96], v90 offset0:52 offset1:53
	s_waitcnt lgkmcnt(0)
	v_mul_f64 v[98:99], v[95:96], v[102:103]
	v_fma_f64 v[98:99], v[93:94], v[125:126], -v[98:99]
	v_mul_f64 v[93:94], v[93:94], v[102:103]
	v_add_f64 v[77:78], v[77:78], -v[98:99]
	v_fma_f64 v[93:94], v[95:96], v[125:126], v[93:94]
	v_add_f64 v[79:80], v[79:80], -v[93:94]
	ds_read2_b64 v[93:96], v90 offset0:54 offset1:55
	s_waitcnt lgkmcnt(0)
	v_mul_f64 v[98:99], v[95:96], v[102:103]
	v_fma_f64 v[98:99], v[93:94], v[125:126], -v[98:99]
	v_mul_f64 v[93:94], v[93:94], v[102:103]
	v_add_f64 v[73:74], v[73:74], -v[98:99]
	v_fma_f64 v[93:94], v[95:96], v[125:126], v[93:94]
	v_add_f64 v[75:76], v[75:76], -v[93:94]
	;; [unrolled: 8-line block ×19, first 2 shown]
	ds_read2_b64 v[93:96], v90 offset0:90 offset1:91
	s_waitcnt lgkmcnt(0)
	v_mul_f64 v[98:99], v[95:96], v[102:103]
	v_fma_f64 v[98:99], v[93:94], v[125:126], -v[98:99]
	v_mul_f64 v[93:94], v[93:94], v[102:103]
	v_add_f64 v[1:2], v[1:2], -v[98:99]
	v_fma_f64 v[93:94], v[95:96], v[125:126], v[93:94]
	ds_read2_b64 v[98:101], v90 offset0:92 offset1:93
	s_waitcnt lgkmcnt(0)
	v_mul_f64 v[95:96], v[98:99], v[102:103]
	v_add_f64 v[3:4], v[3:4], -v[93:94]
	v_mul_f64 v[93:94], v[100:101], v[102:103]
	v_fma_f64 v[95:96], v[100:101], v[125:126], v[95:96]
	v_mov_b32_e32 v100, v125
	v_mov_b32_e32 v101, v126
	v_fma_f64 v[93:94], v[98:99], v[125:126], -v[93:94]
	buffer_store_dword v100, off, s[24:27], 0 offset:344 ; 4-byte Folded Spill
	s_nop 0
	buffer_store_dword v101, off, s[24:27], 0 offset:348 ; 4-byte Folded Spill
	buffer_store_dword v102, off, s[24:27], 0 offset:352 ; 4-byte Folded Spill
	buffer_store_dword v103, off, s[24:27], 0 offset:356 ; 4-byte Folded Spill
	v_add_f64 v[123:124], v[123:124], -v[95:96]
	v_add_f64 v[121:122], v[121:122], -v[93:94]
.LBB92_62:
	s_or_b64 exec, exec, s[0:1]
	s_waitcnt vmcnt(0)
	s_barrier
	buffer_load_dword v81, off, s[24:27], 0 offset:320 ; 4-byte Folded Reload
	buffer_load_dword v82, off, s[24:27], 0 offset:324 ; 4-byte Folded Reload
	;; [unrolled: 1-line block ×4, first 2 shown]
	v_lshl_add_u32 v93, v92, 4, v90
	s_mov_b32 s0, 4
	s_cmp_lt_i32 s3, 5
	s_waitcnt vmcnt(0)
	ds_write2_b64 v93, v[81:82], v[83:84] offset1:1
	s_waitcnt lgkmcnt(0)
	s_barrier
	ds_read2_b64 v[117:120], v90 offset0:6 offset1:7
	v_mov_b32_e32 v93, 3
	s_cbranch_scc1 .LBB92_65
; %bb.63:
	v_add3_u32 v94, v97, 0, 64
	v_mov_b32_e32 v93, 3
.LBB92_64:                              ; =>This Inner Loop Header: Depth=1
	s_waitcnt lgkmcnt(0)
	v_cmp_gt_f64_e32 vcc, 0, v[117:118]
	v_xor_b32_e32 v99, 0x80000000, v118
	ds_read2_b64 v[95:98], v94 offset1:1
	v_xor_b32_e32 v101, 0x80000000, v120
	v_add_u32_e32 v94, 16, v94
	s_waitcnt lgkmcnt(0)
	v_xor_b32_e32 v103, 0x80000000, v98
	v_cndmask_b32_e32 v100, v118, v99, vcc
	v_cmp_gt_f64_e32 vcc, 0, v[119:120]
	v_mov_b32_e32 v99, v117
	v_cndmask_b32_e32 v102, v120, v101, vcc
	v_cmp_gt_f64_e32 vcc, 0, v[95:96]
	v_mov_b32_e32 v101, v119
	v_add_f64 v[99:100], v[99:100], v[101:102]
	v_xor_b32_e32 v101, 0x80000000, v96
	v_cndmask_b32_e32 v102, v96, v101, vcc
	v_cmp_gt_f64_e32 vcc, 0, v[97:98]
	v_mov_b32_e32 v101, v95
	v_cndmask_b32_e32 v104, v98, v103, vcc
	v_mov_b32_e32 v103, v97
	v_add_f64 v[101:102], v[101:102], v[103:104]
	v_cmp_lt_f64_e32 vcc, v[99:100], v[101:102]
	v_cndmask_b32_e32 v117, v117, v95, vcc
	v_mov_b32_e32 v95, s0
	s_add_i32 s0, s0, 1
	v_cndmask_b32_e32 v118, v118, v96, vcc
	v_cndmask_b32_e32 v120, v120, v98, vcc
	;; [unrolled: 1-line block ×4, first 2 shown]
	s_cmp_lg_u32 s3, s0
	s_cbranch_scc1 .LBB92_64
.LBB92_65:
	s_waitcnt lgkmcnt(0)
	v_cmp_eq_f64_e32 vcc, 0, v[117:118]
	v_cmp_eq_f64_e64 s[0:1], 0, v[119:120]
	s_and_b64 s[0:1], vcc, s[0:1]
	s_and_saveexec_b64 s[18:19], s[0:1]
	s_xor_b64 s[0:1], exec, s[18:19]
; %bb.66:
	v_cmp_ne_u32_e32 vcc, 0, v91
	v_cndmask_b32_e32 v91, 4, v91, vcc
; %bb.67:
	s_andn2_saveexec_b64 s[0:1], s[0:1]
	s_cbranch_execz .LBB92_73
; %bb.68:
	v_cmp_ngt_f64_e64 s[18:19], |v[117:118]|, |v[119:120]|
	s_and_saveexec_b64 s[20:21], s[18:19]
	s_xor_b64 s[18:19], exec, s[20:21]
	s_cbranch_execz .LBB92_70
; %bb.69:
	v_div_scale_f64 v[94:95], s[20:21], v[119:120], v[119:120], v[117:118]
	v_rcp_f64_e32 v[96:97], v[94:95]
	v_fma_f64 v[98:99], -v[94:95], v[96:97], 1.0
	v_fma_f64 v[96:97], v[96:97], v[98:99], v[96:97]
	v_div_scale_f64 v[98:99], vcc, v[117:118], v[119:120], v[117:118]
	v_fma_f64 v[100:101], -v[94:95], v[96:97], 1.0
	v_fma_f64 v[96:97], v[96:97], v[100:101], v[96:97]
	v_mul_f64 v[100:101], v[98:99], v[96:97]
	v_fma_f64 v[94:95], -v[94:95], v[100:101], v[98:99]
	v_div_fmas_f64 v[94:95], v[94:95], v[96:97], v[100:101]
	v_div_fixup_f64 v[94:95], v[94:95], v[119:120], v[117:118]
	v_fma_f64 v[96:97], v[117:118], v[94:95], v[119:120]
	v_div_scale_f64 v[98:99], s[20:21], v[96:97], v[96:97], 1.0
	v_div_scale_f64 v[104:105], vcc, 1.0, v[96:97], 1.0
	v_rcp_f64_e32 v[100:101], v[98:99]
	v_fma_f64 v[102:103], -v[98:99], v[100:101], 1.0
	v_fma_f64 v[100:101], v[100:101], v[102:103], v[100:101]
	v_fma_f64 v[102:103], -v[98:99], v[100:101], 1.0
	v_fma_f64 v[100:101], v[100:101], v[102:103], v[100:101]
	v_mul_f64 v[102:103], v[104:105], v[100:101]
	v_fma_f64 v[98:99], -v[98:99], v[102:103], v[104:105]
	v_div_fmas_f64 v[98:99], v[98:99], v[100:101], v[102:103]
	v_div_fixup_f64 v[119:120], v[98:99], v[96:97], 1.0
	v_mul_f64 v[117:118], v[94:95], v[119:120]
	v_xor_b32_e32 v120, 0x80000000, v120
.LBB92_70:
	s_andn2_saveexec_b64 s[18:19], s[18:19]
	s_cbranch_execz .LBB92_72
; %bb.71:
	v_div_scale_f64 v[94:95], s[20:21], v[117:118], v[117:118], v[119:120]
	v_rcp_f64_e32 v[96:97], v[94:95]
	v_fma_f64 v[98:99], -v[94:95], v[96:97], 1.0
	v_fma_f64 v[96:97], v[96:97], v[98:99], v[96:97]
	v_div_scale_f64 v[98:99], vcc, v[119:120], v[117:118], v[119:120]
	v_fma_f64 v[100:101], -v[94:95], v[96:97], 1.0
	v_fma_f64 v[96:97], v[96:97], v[100:101], v[96:97]
	v_mul_f64 v[100:101], v[98:99], v[96:97]
	v_fma_f64 v[94:95], -v[94:95], v[100:101], v[98:99]
	v_div_fmas_f64 v[94:95], v[94:95], v[96:97], v[100:101]
	v_div_fixup_f64 v[94:95], v[94:95], v[117:118], v[119:120]
	v_fma_f64 v[96:97], v[119:120], v[94:95], v[117:118]
	v_div_scale_f64 v[98:99], s[20:21], v[96:97], v[96:97], 1.0
	v_div_scale_f64 v[104:105], vcc, 1.0, v[96:97], 1.0
	v_rcp_f64_e32 v[100:101], v[98:99]
	v_fma_f64 v[102:103], -v[98:99], v[100:101], 1.0
	v_fma_f64 v[100:101], v[100:101], v[102:103], v[100:101]
	v_fma_f64 v[102:103], -v[98:99], v[100:101], 1.0
	v_fma_f64 v[100:101], v[100:101], v[102:103], v[100:101]
	v_mul_f64 v[102:103], v[104:105], v[100:101]
	v_fma_f64 v[98:99], -v[98:99], v[102:103], v[104:105]
	v_div_fmas_f64 v[98:99], v[98:99], v[100:101], v[102:103]
	v_div_fixup_f64 v[117:118], v[98:99], v[96:97], 1.0
	v_mul_f64 v[119:120], v[94:95], -v[117:118]
.LBB92_72:
	s_or_b64 exec, exec, s[18:19]
.LBB92_73:
	s_or_b64 exec, exec, s[0:1]
	v_cmp_ne_u32_e32 vcc, v92, v93
	s_and_saveexec_b64 s[0:1], vcc
	s_xor_b64 s[0:1], exec, s[0:1]
	s_cbranch_execz .LBB92_79
; %bb.74:
	v_cmp_eq_u32_e32 vcc, 3, v92
	s_and_saveexec_b64 s[18:19], vcc
	s_cbranch_execz .LBB92_78
; %bb.75:
	v_cmp_ne_u32_e32 vcc, 3, v93
	s_xor_b64 s[20:21], s[6:7], -1
	s_and_b64 s[22:23], s[20:21], vcc
	s_and_saveexec_b64 s[20:21], s[22:23]
	s_cbranch_execz .LBB92_77
; %bb.76:
	v_mov_b32_e32 v81, v85
	v_mov_b32_e32 v82, v86
	;; [unrolled: 1-line block ×4, first 2 shown]
	buffer_load_dword v85, off, s[24:27], 0 offset:336 ; 4-byte Folded Reload
	buffer_load_dword v86, off, s[24:27], 0 offset:340 ; 4-byte Folded Reload
	v_ashrrev_i32_e32 v94, 31, v93
	v_lshlrev_b64 v[94:95], 2, v[93:94]
	s_waitcnt vmcnt(1)
	v_add_co_u32_e32 v94, vcc, v85, v94
	s_waitcnt vmcnt(0)
	v_addc_co_u32_e32 v95, vcc, v86, v95, vcc
	global_load_dword v0, v[94:95], off
	global_load_dword v92, v[85:86], off offset:12
	s_waitcnt vmcnt(1)
	global_store_dword v[85:86], v0, off offset:12
	v_mov_b32_e32 v88, v84
	v_mov_b32_e32 v87, v83
	;; [unrolled: 1-line block ×4, first 2 shown]
	s_waitcnt vmcnt(1)
	global_store_dword v[94:95], v92, off
.LBB92_77:
	s_or_b64 exec, exec, s[20:21]
	v_mov_b32_e32 v92, v93
	v_mov_b32_e32 v0, v93
.LBB92_78:
	s_or_b64 exec, exec, s[18:19]
.LBB92_79:
	s_andn2_saveexec_b64 s[0:1], s[0:1]
	s_cbranch_execz .LBB92_81
; %bb.80:
	buffer_load_dword v81, off, s[24:27], 0 offset:304 ; 4-byte Folded Reload
	buffer_load_dword v82, off, s[24:27], 0 offset:308 ; 4-byte Folded Reload
	;; [unrolled: 1-line block ×4, first 2 shown]
	v_mov_b32_e32 v92, 3
	s_waitcnt vmcnt(0)
	ds_write2_b64 v90, v[81:82], v[83:84] offset0:8 offset1:9
	buffer_load_dword v81, off, s[24:27], 0 offset:288 ; 4-byte Folded Reload
	buffer_load_dword v82, off, s[24:27], 0 offset:292 ; 4-byte Folded Reload
	buffer_load_dword v83, off, s[24:27], 0 offset:296 ; 4-byte Folded Reload
	buffer_load_dword v84, off, s[24:27], 0 offset:300 ; 4-byte Folded Reload
	s_waitcnt vmcnt(0)
	ds_write2_b64 v90, v[81:82], v[83:84] offset0:10 offset1:11
	buffer_load_dword v81, off, s[24:27], 0 offset:272 ; 4-byte Folded Reload
	buffer_load_dword v82, off, s[24:27], 0 offset:276 ; 4-byte Folded Reload
	buffer_load_dword v83, off, s[24:27], 0 offset:280 ; 4-byte Folded Reload
	buffer_load_dword v84, off, s[24:27], 0 offset:284 ; 4-byte Folded Reload
	;; [unrolled: 6-line block ×18, first 2 shown]
	s_waitcnt vmcnt(0)
	ds_write2_b64 v90, v[81:82], v[83:84] offset0:44 offset1:45
	ds_write2_b64 v90, v[85:86], v[87:88] offset0:46 offset1:47
	;; [unrolled: 1-line block ×3, first 2 shown]
	buffer_load_dword v81, off, s[24:27], 0 ; 4-byte Folded Reload
	buffer_load_dword v82, off, s[24:27], 0 offset:4 ; 4-byte Folded Reload
	buffer_load_dword v83, off, s[24:27], 0 offset:8 ; 4-byte Folded Reload
	;; [unrolled: 1-line block ×3, first 2 shown]
	s_waitcnt vmcnt(0)
	ds_write2_b64 v90, v[81:82], v[83:84] offset0:50 offset1:51
	ds_write2_b64 v90, v[77:78], v[79:80] offset0:52 offset1:53
	;; [unrolled: 1-line block ×22, first 2 shown]
.LBB92_81:
	s_or_b64 exec, exec, s[0:1]
	v_cmp_lt_i32_e32 vcc, 3, v92
	s_waitcnt vmcnt(0) lgkmcnt(0)
	s_barrier
	s_and_saveexec_b64 s[0:1], vcc
	s_cbranch_execz .LBB92_83
; %bb.82:
	buffer_load_dword v97, off, s[24:27], 0 offset:320 ; 4-byte Folded Reload
	buffer_load_dword v98, off, s[24:27], 0 offset:324 ; 4-byte Folded Reload
	;; [unrolled: 1-line block ×4, first 2 shown]
	s_waitcnt vmcnt(0)
	v_mul_f64 v[93:94], v[119:120], v[99:100]
	v_fma_f64 v[125:126], v[117:118], v[97:98], -v[93:94]
	v_mul_f64 v[93:94], v[117:118], v[99:100]
	v_fma_f64 v[99:100], v[119:120], v[97:98], v[93:94]
	ds_read2_b64 v[93:96], v90 offset0:8 offset1:9
	buffer_load_dword v81, off, s[24:27], 0 offset:304 ; 4-byte Folded Reload
	buffer_load_dword v82, off, s[24:27], 0 offset:308 ; 4-byte Folded Reload
	buffer_load_dword v83, off, s[24:27], 0 offset:312 ; 4-byte Folded Reload
	buffer_load_dword v84, off, s[24:27], 0 offset:316 ; 4-byte Folded Reload
	s_waitcnt lgkmcnt(0)
	v_mul_f64 v[97:98], v[95:96], v[99:100]
	v_fma_f64 v[97:98], v[93:94], v[125:126], -v[97:98]
	v_mul_f64 v[93:94], v[93:94], v[99:100]
	v_fma_f64 v[93:94], v[95:96], v[125:126], v[93:94]
	s_waitcnt vmcnt(2)
	v_add_f64 v[81:82], v[81:82], -v[97:98]
	s_waitcnt vmcnt(0)
	v_add_f64 v[83:84], v[83:84], -v[93:94]
	buffer_store_dword v81, off, s[24:27], 0 offset:304 ; 4-byte Folded Spill
	s_nop 0
	buffer_store_dword v82, off, s[24:27], 0 offset:308 ; 4-byte Folded Spill
	buffer_store_dword v83, off, s[24:27], 0 offset:312 ; 4-byte Folded Spill
	buffer_store_dword v84, off, s[24:27], 0 offset:316 ; 4-byte Folded Spill
	ds_read2_b64 v[93:96], v90 offset0:10 offset1:11
	buffer_load_dword v81, off, s[24:27], 0 offset:288 ; 4-byte Folded Reload
	buffer_load_dword v82, off, s[24:27], 0 offset:292 ; 4-byte Folded Reload
	buffer_load_dword v83, off, s[24:27], 0 offset:296 ; 4-byte Folded Reload
	buffer_load_dword v84, off, s[24:27], 0 offset:300 ; 4-byte Folded Reload
	s_waitcnt lgkmcnt(0)
	v_mul_f64 v[97:98], v[95:96], v[99:100]
	v_fma_f64 v[97:98], v[93:94], v[125:126], -v[97:98]
	v_mul_f64 v[93:94], v[93:94], v[99:100]
	v_fma_f64 v[93:94], v[95:96], v[125:126], v[93:94]
	s_waitcnt vmcnt(2)
	v_add_f64 v[81:82], v[81:82], -v[97:98]
	s_waitcnt vmcnt(0)
	v_add_f64 v[83:84], v[83:84], -v[93:94]
	buffer_store_dword v81, off, s[24:27], 0 offset:288 ; 4-byte Folded Spill
	s_nop 0
	buffer_store_dword v82, off, s[24:27], 0 offset:292 ; 4-byte Folded Spill
	buffer_store_dword v83, off, s[24:27], 0 offset:296 ; 4-byte Folded Spill
	buffer_store_dword v84, off, s[24:27], 0 offset:300 ; 4-byte Folded Spill
	;; [unrolled: 19-line block ×19, first 2 shown]
	ds_read2_b64 v[93:96], v90 offset0:46 offset1:47
	s_waitcnt lgkmcnt(0)
	v_mul_f64 v[97:98], v[95:96], v[99:100]
	v_fma_f64 v[97:98], v[93:94], v[125:126], -v[97:98]
	v_mul_f64 v[93:94], v[93:94], v[99:100]
	v_add_f64 v[85:86], v[85:86], -v[97:98]
	v_fma_f64 v[93:94], v[95:96], v[125:126], v[93:94]
	v_add_f64 v[87:88], v[87:88], -v[93:94]
	ds_read2_b64 v[93:96], v90 offset0:48 offset1:49
	s_waitcnt lgkmcnt(0)
	v_mul_f64 v[97:98], v[95:96], v[99:100]
	v_fma_f64 v[97:98], v[93:94], v[125:126], -v[97:98]
	v_mul_f64 v[93:94], v[93:94], v[99:100]
	v_add_f64 v[111:112], v[111:112], -v[97:98]
	v_fma_f64 v[93:94], v[95:96], v[125:126], v[93:94]
	v_add_f64 v[113:114], v[113:114], -v[93:94]
	ds_read2_b64 v[93:96], v90 offset0:50 offset1:51
	buffer_load_dword v81, off, s[24:27], 0 ; 4-byte Folded Reload
	buffer_load_dword v82, off, s[24:27], 0 offset:4 ; 4-byte Folded Reload
	buffer_load_dword v83, off, s[24:27], 0 offset:8 ; 4-byte Folded Reload
	;; [unrolled: 1-line block ×3, first 2 shown]
	s_waitcnt lgkmcnt(0)
	v_mul_f64 v[97:98], v[95:96], v[99:100]
	v_fma_f64 v[97:98], v[93:94], v[125:126], -v[97:98]
	v_mul_f64 v[93:94], v[93:94], v[99:100]
	v_fma_f64 v[93:94], v[95:96], v[125:126], v[93:94]
	s_waitcnt vmcnt(2)
	v_add_f64 v[81:82], v[81:82], -v[97:98]
	s_waitcnt vmcnt(0)
	v_add_f64 v[83:84], v[83:84], -v[93:94]
	buffer_store_dword v81, off, s[24:27], 0 ; 4-byte Folded Spill
	s_nop 0
	buffer_store_dword v82, off, s[24:27], 0 offset:4 ; 4-byte Folded Spill
	buffer_store_dword v83, off, s[24:27], 0 offset:8 ; 4-byte Folded Spill
	;; [unrolled: 1-line block ×3, first 2 shown]
	ds_read2_b64 v[93:96], v90 offset0:52 offset1:53
	s_waitcnt lgkmcnt(0)
	v_mul_f64 v[97:98], v[95:96], v[99:100]
	v_fma_f64 v[97:98], v[93:94], v[125:126], -v[97:98]
	v_mul_f64 v[93:94], v[93:94], v[99:100]
	v_add_f64 v[77:78], v[77:78], -v[97:98]
	v_fma_f64 v[93:94], v[95:96], v[125:126], v[93:94]
	v_add_f64 v[79:80], v[79:80], -v[93:94]
	ds_read2_b64 v[93:96], v90 offset0:54 offset1:55
	s_waitcnt lgkmcnt(0)
	v_mul_f64 v[97:98], v[95:96], v[99:100]
	v_fma_f64 v[97:98], v[93:94], v[125:126], -v[97:98]
	v_mul_f64 v[93:94], v[93:94], v[99:100]
	v_add_f64 v[73:74], v[73:74], -v[97:98]
	v_fma_f64 v[93:94], v[95:96], v[125:126], v[93:94]
	v_add_f64 v[75:76], v[75:76], -v[93:94]
	;; [unrolled: 8-line block ×19, first 2 shown]
	ds_read2_b64 v[93:96], v90 offset0:90 offset1:91
	s_waitcnt lgkmcnt(0)
	v_mul_f64 v[97:98], v[95:96], v[99:100]
	v_fma_f64 v[97:98], v[93:94], v[125:126], -v[97:98]
	v_mul_f64 v[93:94], v[93:94], v[99:100]
	v_add_f64 v[1:2], v[1:2], -v[97:98]
	v_fma_f64 v[93:94], v[95:96], v[125:126], v[93:94]
	ds_read2_b64 v[95:98], v90 offset0:92 offset1:93
	v_add_f64 v[3:4], v[3:4], -v[93:94]
	s_waitcnt lgkmcnt(0)
	v_mul_f64 v[93:94], v[97:98], v[99:100]
	v_fma_f64 v[93:94], v[95:96], v[125:126], -v[93:94]
	v_mul_f64 v[95:96], v[95:96], v[99:100]
	v_add_f64 v[121:122], v[121:122], -v[93:94]
	v_fma_f64 v[95:96], v[97:98], v[125:126], v[95:96]
	v_mov_b32_e32 v97, v125
	v_mov_b32_e32 v98, v126
	buffer_store_dword v97, off, s[24:27], 0 offset:320 ; 4-byte Folded Spill
	s_nop 0
	buffer_store_dword v98, off, s[24:27], 0 offset:324 ; 4-byte Folded Spill
	buffer_store_dword v99, off, s[24:27], 0 offset:328 ; 4-byte Folded Spill
	;; [unrolled: 1-line block ×3, first 2 shown]
	v_add_f64 v[123:124], v[123:124], -v[95:96]
.LBB92_83:
	s_or_b64 exec, exec, s[0:1]
	s_waitcnt vmcnt(0)
	s_barrier
	buffer_load_dword v81, off, s[24:27], 0 offset:304 ; 4-byte Folded Reload
	buffer_load_dword v82, off, s[24:27], 0 offset:308 ; 4-byte Folded Reload
	;; [unrolled: 1-line block ×4, first 2 shown]
	v_lshl_add_u32 v93, v92, 4, v90
	s_cmp_lt_i32 s3, 6
	s_waitcnt vmcnt(0)
	ds_write2_b64 v93, v[81:82], v[83:84] offset1:1
	s_waitcnt lgkmcnt(0)
	s_barrier
	ds_read2_b64 v[117:120], v90 offset0:8 offset1:9
	v_mov_b32_e32 v93, 4
	s_cbranch_scc1 .LBB92_86
; %bb.84:
	v_mov_b32_e32 v93, 4
	v_add_u32_e32 v94, 0x50, v90
	s_mov_b32 s0, 5
.LBB92_85:                              ; =>This Inner Loop Header: Depth=1
	s_waitcnt lgkmcnt(0)
	v_cmp_gt_f64_e32 vcc, 0, v[117:118]
	v_xor_b32_e32 v99, 0x80000000, v118
	ds_read2_b64 v[95:98], v94 offset1:1
	v_xor_b32_e32 v101, 0x80000000, v120
	v_add_u32_e32 v94, 16, v94
	s_waitcnt lgkmcnt(0)
	v_xor_b32_e32 v103, 0x80000000, v98
	v_cndmask_b32_e32 v100, v118, v99, vcc
	v_cmp_gt_f64_e32 vcc, 0, v[119:120]
	v_mov_b32_e32 v99, v117
	v_cndmask_b32_e32 v102, v120, v101, vcc
	v_cmp_gt_f64_e32 vcc, 0, v[95:96]
	v_mov_b32_e32 v101, v119
	v_add_f64 v[99:100], v[99:100], v[101:102]
	v_xor_b32_e32 v101, 0x80000000, v96
	v_cndmask_b32_e32 v102, v96, v101, vcc
	v_cmp_gt_f64_e32 vcc, 0, v[97:98]
	v_mov_b32_e32 v101, v95
	v_cndmask_b32_e32 v104, v98, v103, vcc
	v_mov_b32_e32 v103, v97
	v_add_f64 v[101:102], v[101:102], v[103:104]
	v_cmp_lt_f64_e32 vcc, v[99:100], v[101:102]
	v_cndmask_b32_e32 v117, v117, v95, vcc
	v_mov_b32_e32 v95, s0
	s_add_i32 s0, s0, 1
	v_cndmask_b32_e32 v118, v118, v96, vcc
	v_cndmask_b32_e32 v120, v120, v98, vcc
	;; [unrolled: 1-line block ×4, first 2 shown]
	s_cmp_lg_u32 s3, s0
	s_cbranch_scc1 .LBB92_85
.LBB92_86:
	s_waitcnt lgkmcnt(0)
	v_cmp_eq_f64_e32 vcc, 0, v[117:118]
	v_cmp_eq_f64_e64 s[0:1], 0, v[119:120]
	s_and_b64 s[0:1], vcc, s[0:1]
	s_and_saveexec_b64 s[18:19], s[0:1]
	s_xor_b64 s[0:1], exec, s[18:19]
; %bb.87:
	v_cmp_ne_u32_e32 vcc, 0, v91
	v_cndmask_b32_e32 v91, 5, v91, vcc
; %bb.88:
	s_andn2_saveexec_b64 s[0:1], s[0:1]
	s_cbranch_execz .LBB92_94
; %bb.89:
	v_cmp_ngt_f64_e64 s[18:19], |v[117:118]|, |v[119:120]|
	s_and_saveexec_b64 s[20:21], s[18:19]
	s_xor_b64 s[18:19], exec, s[20:21]
	s_cbranch_execz .LBB92_91
; %bb.90:
	v_div_scale_f64 v[94:95], s[20:21], v[119:120], v[119:120], v[117:118]
	v_rcp_f64_e32 v[96:97], v[94:95]
	v_fma_f64 v[98:99], -v[94:95], v[96:97], 1.0
	v_fma_f64 v[96:97], v[96:97], v[98:99], v[96:97]
	v_div_scale_f64 v[98:99], vcc, v[117:118], v[119:120], v[117:118]
	v_fma_f64 v[100:101], -v[94:95], v[96:97], 1.0
	v_fma_f64 v[96:97], v[96:97], v[100:101], v[96:97]
	v_mul_f64 v[100:101], v[98:99], v[96:97]
	v_fma_f64 v[94:95], -v[94:95], v[100:101], v[98:99]
	v_div_fmas_f64 v[94:95], v[94:95], v[96:97], v[100:101]
	v_div_fixup_f64 v[94:95], v[94:95], v[119:120], v[117:118]
	v_fma_f64 v[96:97], v[117:118], v[94:95], v[119:120]
	v_div_scale_f64 v[98:99], s[20:21], v[96:97], v[96:97], 1.0
	v_div_scale_f64 v[104:105], vcc, 1.0, v[96:97], 1.0
	v_rcp_f64_e32 v[100:101], v[98:99]
	v_fma_f64 v[102:103], -v[98:99], v[100:101], 1.0
	v_fma_f64 v[100:101], v[100:101], v[102:103], v[100:101]
	v_fma_f64 v[102:103], -v[98:99], v[100:101], 1.0
	v_fma_f64 v[100:101], v[100:101], v[102:103], v[100:101]
	v_mul_f64 v[102:103], v[104:105], v[100:101]
	v_fma_f64 v[98:99], -v[98:99], v[102:103], v[104:105]
	v_div_fmas_f64 v[98:99], v[98:99], v[100:101], v[102:103]
	v_div_fixup_f64 v[119:120], v[98:99], v[96:97], 1.0
	v_mul_f64 v[117:118], v[94:95], v[119:120]
	v_xor_b32_e32 v120, 0x80000000, v120
.LBB92_91:
	s_andn2_saveexec_b64 s[18:19], s[18:19]
	s_cbranch_execz .LBB92_93
; %bb.92:
	v_div_scale_f64 v[94:95], s[20:21], v[117:118], v[117:118], v[119:120]
	v_rcp_f64_e32 v[96:97], v[94:95]
	v_fma_f64 v[98:99], -v[94:95], v[96:97], 1.0
	v_fma_f64 v[96:97], v[96:97], v[98:99], v[96:97]
	v_div_scale_f64 v[98:99], vcc, v[119:120], v[117:118], v[119:120]
	v_fma_f64 v[100:101], -v[94:95], v[96:97], 1.0
	v_fma_f64 v[96:97], v[96:97], v[100:101], v[96:97]
	v_mul_f64 v[100:101], v[98:99], v[96:97]
	v_fma_f64 v[94:95], -v[94:95], v[100:101], v[98:99]
	v_div_fmas_f64 v[94:95], v[94:95], v[96:97], v[100:101]
	v_div_fixup_f64 v[94:95], v[94:95], v[117:118], v[119:120]
	v_fma_f64 v[96:97], v[119:120], v[94:95], v[117:118]
	v_div_scale_f64 v[98:99], s[20:21], v[96:97], v[96:97], 1.0
	v_div_scale_f64 v[104:105], vcc, 1.0, v[96:97], 1.0
	v_rcp_f64_e32 v[100:101], v[98:99]
	v_fma_f64 v[102:103], -v[98:99], v[100:101], 1.0
	v_fma_f64 v[100:101], v[100:101], v[102:103], v[100:101]
	v_fma_f64 v[102:103], -v[98:99], v[100:101], 1.0
	v_fma_f64 v[100:101], v[100:101], v[102:103], v[100:101]
	v_mul_f64 v[102:103], v[104:105], v[100:101]
	v_fma_f64 v[98:99], -v[98:99], v[102:103], v[104:105]
	v_div_fmas_f64 v[98:99], v[98:99], v[100:101], v[102:103]
	v_div_fixup_f64 v[117:118], v[98:99], v[96:97], 1.0
	v_mul_f64 v[119:120], v[94:95], -v[117:118]
.LBB92_93:
	s_or_b64 exec, exec, s[18:19]
.LBB92_94:
	s_or_b64 exec, exec, s[0:1]
	v_cmp_ne_u32_e32 vcc, v92, v93
	s_and_saveexec_b64 s[0:1], vcc
	s_xor_b64 s[0:1], exec, s[0:1]
	s_cbranch_execz .LBB92_100
; %bb.95:
	v_cmp_eq_u32_e32 vcc, 4, v92
	s_and_saveexec_b64 s[18:19], vcc
	s_cbranch_execz .LBB92_99
; %bb.96:
	v_cmp_ne_u32_e32 vcc, 4, v93
	s_xor_b64 s[20:21], s[6:7], -1
	s_and_b64 s[22:23], s[20:21], vcc
	s_and_saveexec_b64 s[20:21], s[22:23]
	s_cbranch_execz .LBB92_98
; %bb.97:
	v_mov_b32_e32 v81, v85
	v_mov_b32_e32 v82, v86
	;; [unrolled: 1-line block ×4, first 2 shown]
	buffer_load_dword v85, off, s[24:27], 0 offset:336 ; 4-byte Folded Reload
	buffer_load_dword v86, off, s[24:27], 0 offset:340 ; 4-byte Folded Reload
	v_ashrrev_i32_e32 v94, 31, v93
	v_lshlrev_b64 v[94:95], 2, v[93:94]
	s_waitcnt vmcnt(1)
	v_add_co_u32_e32 v94, vcc, v85, v94
	s_waitcnt vmcnt(0)
	v_addc_co_u32_e32 v95, vcc, v86, v95, vcc
	global_load_dword v0, v[94:95], off
	global_load_dword v92, v[85:86], off offset:16
	s_waitcnt vmcnt(1)
	global_store_dword v[85:86], v0, off offset:16
	v_mov_b32_e32 v88, v84
	v_mov_b32_e32 v87, v83
	;; [unrolled: 1-line block ×4, first 2 shown]
	s_waitcnt vmcnt(1)
	global_store_dword v[94:95], v92, off
.LBB92_98:
	s_or_b64 exec, exec, s[20:21]
	v_mov_b32_e32 v92, v93
	v_mov_b32_e32 v0, v93
.LBB92_99:
	s_or_b64 exec, exec, s[18:19]
.LBB92_100:
	s_andn2_saveexec_b64 s[0:1], s[0:1]
	s_cbranch_execz .LBB92_102
; %bb.101:
	buffer_load_dword v81, off, s[24:27], 0 offset:288 ; 4-byte Folded Reload
	buffer_load_dword v82, off, s[24:27], 0 offset:292 ; 4-byte Folded Reload
	;; [unrolled: 1-line block ×4, first 2 shown]
	v_mov_b32_e32 v92, 4
	s_waitcnt vmcnt(0)
	ds_write2_b64 v90, v[81:82], v[83:84] offset0:10 offset1:11
	buffer_load_dword v81, off, s[24:27], 0 offset:272 ; 4-byte Folded Reload
	buffer_load_dword v82, off, s[24:27], 0 offset:276 ; 4-byte Folded Reload
	buffer_load_dword v83, off, s[24:27], 0 offset:280 ; 4-byte Folded Reload
	buffer_load_dword v84, off, s[24:27], 0 offset:284 ; 4-byte Folded Reload
	s_waitcnt vmcnt(0)
	ds_write2_b64 v90, v[81:82], v[83:84] offset0:12 offset1:13
	buffer_load_dword v81, off, s[24:27], 0 offset:256 ; 4-byte Folded Reload
	buffer_load_dword v82, off, s[24:27], 0 offset:260 ; 4-byte Folded Reload
	buffer_load_dword v83, off, s[24:27], 0 offset:264 ; 4-byte Folded Reload
	buffer_load_dword v84, off, s[24:27], 0 offset:268 ; 4-byte Folded Reload
	;; [unrolled: 6-line block ×17, first 2 shown]
	s_waitcnt vmcnt(0)
	ds_write2_b64 v90, v[81:82], v[83:84] offset0:44 offset1:45
	ds_write2_b64 v90, v[85:86], v[87:88] offset0:46 offset1:47
	;; [unrolled: 1-line block ×3, first 2 shown]
	buffer_load_dword v81, off, s[24:27], 0 ; 4-byte Folded Reload
	buffer_load_dword v82, off, s[24:27], 0 offset:4 ; 4-byte Folded Reload
	buffer_load_dword v83, off, s[24:27], 0 offset:8 ; 4-byte Folded Reload
	buffer_load_dword v84, off, s[24:27], 0 offset:12 ; 4-byte Folded Reload
	s_waitcnt vmcnt(0)
	ds_write2_b64 v90, v[81:82], v[83:84] offset0:50 offset1:51
	ds_write2_b64 v90, v[77:78], v[79:80] offset0:52 offset1:53
	;; [unrolled: 1-line block ×22, first 2 shown]
.LBB92_102:
	s_or_b64 exec, exec, s[0:1]
	v_cmp_lt_i32_e32 vcc, 4, v92
	s_waitcnt vmcnt(0) lgkmcnt(0)
	s_barrier
	s_and_saveexec_b64 s[0:1], vcc
	s_cbranch_execz .LBB92_104
; %bb.103:
	buffer_load_dword v97, off, s[24:27], 0 offset:304 ; 4-byte Folded Reload
	buffer_load_dword v98, off, s[24:27], 0 offset:308 ; 4-byte Folded Reload
	buffer_load_dword v99, off, s[24:27], 0 offset:312 ; 4-byte Folded Reload
	buffer_load_dword v100, off, s[24:27], 0 offset:316 ; 4-byte Folded Reload
	s_waitcnt vmcnt(0)
	v_mul_f64 v[93:94], v[119:120], v[99:100]
	v_fma_f64 v[125:126], v[117:118], v[97:98], -v[93:94]
	v_mul_f64 v[93:94], v[117:118], v[99:100]
	v_fma_f64 v[99:100], v[119:120], v[97:98], v[93:94]
	ds_read2_b64 v[93:96], v90 offset0:10 offset1:11
	buffer_load_dword v81, off, s[24:27], 0 offset:288 ; 4-byte Folded Reload
	buffer_load_dword v82, off, s[24:27], 0 offset:292 ; 4-byte Folded Reload
	buffer_load_dword v83, off, s[24:27], 0 offset:296 ; 4-byte Folded Reload
	buffer_load_dword v84, off, s[24:27], 0 offset:300 ; 4-byte Folded Reload
	s_waitcnt lgkmcnt(0)
	v_mul_f64 v[97:98], v[95:96], v[99:100]
	v_fma_f64 v[97:98], v[93:94], v[125:126], -v[97:98]
	v_mul_f64 v[93:94], v[93:94], v[99:100]
	v_fma_f64 v[93:94], v[95:96], v[125:126], v[93:94]
	s_waitcnt vmcnt(2)
	v_add_f64 v[81:82], v[81:82], -v[97:98]
	s_waitcnt vmcnt(0)
	v_add_f64 v[83:84], v[83:84], -v[93:94]
	buffer_store_dword v81, off, s[24:27], 0 offset:288 ; 4-byte Folded Spill
	s_nop 0
	buffer_store_dword v82, off, s[24:27], 0 offset:292 ; 4-byte Folded Spill
	buffer_store_dword v83, off, s[24:27], 0 offset:296 ; 4-byte Folded Spill
	buffer_store_dword v84, off, s[24:27], 0 offset:300 ; 4-byte Folded Spill
	ds_read2_b64 v[93:96], v90 offset0:12 offset1:13
	buffer_load_dword v81, off, s[24:27], 0 offset:272 ; 4-byte Folded Reload
	buffer_load_dword v82, off, s[24:27], 0 offset:276 ; 4-byte Folded Reload
	buffer_load_dword v83, off, s[24:27], 0 offset:280 ; 4-byte Folded Reload
	buffer_load_dword v84, off, s[24:27], 0 offset:284 ; 4-byte Folded Reload
	s_waitcnt lgkmcnt(0)
	v_mul_f64 v[97:98], v[95:96], v[99:100]
	v_fma_f64 v[97:98], v[93:94], v[125:126], -v[97:98]
	v_mul_f64 v[93:94], v[93:94], v[99:100]
	v_fma_f64 v[93:94], v[95:96], v[125:126], v[93:94]
	s_waitcnt vmcnt(2)
	v_add_f64 v[81:82], v[81:82], -v[97:98]
	s_waitcnt vmcnt(0)
	v_add_f64 v[83:84], v[83:84], -v[93:94]
	buffer_store_dword v81, off, s[24:27], 0 offset:272 ; 4-byte Folded Spill
	s_nop 0
	buffer_store_dword v82, off, s[24:27], 0 offset:276 ; 4-byte Folded Spill
	buffer_store_dword v83, off, s[24:27], 0 offset:280 ; 4-byte Folded Spill
	buffer_store_dword v84, off, s[24:27], 0 offset:284 ; 4-byte Folded Spill
	ds_read2_b64 v[93:96], v90 offset0:14 offset1:15
	buffer_load_dword v81, off, s[24:27], 0 offset:256 ; 4-byte Folded Reload
	buffer_load_dword v82, off, s[24:27], 0 offset:260 ; 4-byte Folded Reload
	buffer_load_dword v83, off, s[24:27], 0 offset:264 ; 4-byte Folded Reload
	buffer_load_dword v84, off, s[24:27], 0 offset:268 ; 4-byte Folded Reload
	s_waitcnt lgkmcnt(0)
	v_mul_f64 v[97:98], v[95:96], v[99:100]
	v_fma_f64 v[97:98], v[93:94], v[125:126], -v[97:98]
	v_mul_f64 v[93:94], v[93:94], v[99:100]
	v_fma_f64 v[93:94], v[95:96], v[125:126], v[93:94]
	s_waitcnt vmcnt(2)
	v_add_f64 v[81:82], v[81:82], -v[97:98]
	s_waitcnt vmcnt(0)
	v_add_f64 v[83:84], v[83:84], -v[93:94]
	buffer_store_dword v81, off, s[24:27], 0 offset:256 ; 4-byte Folded Spill
	s_nop 0
	buffer_store_dword v82, off, s[24:27], 0 offset:260 ; 4-byte Folded Spill
	buffer_store_dword v83, off, s[24:27], 0 offset:264 ; 4-byte Folded Spill
	buffer_store_dword v84, off, s[24:27], 0 offset:268 ; 4-byte Folded Spill
	ds_read2_b64 v[93:96], v90 offset0:16 offset1:17
	buffer_load_dword v81, off, s[24:27], 0 offset:240 ; 4-byte Folded Reload
	buffer_load_dword v82, off, s[24:27], 0 offset:244 ; 4-byte Folded Reload
	buffer_load_dword v83, off, s[24:27], 0 offset:248 ; 4-byte Folded Reload
	buffer_load_dword v84, off, s[24:27], 0 offset:252 ; 4-byte Folded Reload
	s_waitcnt lgkmcnt(0)
	v_mul_f64 v[97:98], v[95:96], v[99:100]
	v_fma_f64 v[97:98], v[93:94], v[125:126], -v[97:98]
	v_mul_f64 v[93:94], v[93:94], v[99:100]
	v_fma_f64 v[93:94], v[95:96], v[125:126], v[93:94]
	s_waitcnt vmcnt(2)
	v_add_f64 v[81:82], v[81:82], -v[97:98]
	s_waitcnt vmcnt(0)
	v_add_f64 v[83:84], v[83:84], -v[93:94]
	buffer_store_dword v81, off, s[24:27], 0 offset:240 ; 4-byte Folded Spill
	s_nop 0
	buffer_store_dword v82, off, s[24:27], 0 offset:244 ; 4-byte Folded Spill
	buffer_store_dword v83, off, s[24:27], 0 offset:248 ; 4-byte Folded Spill
	buffer_store_dword v84, off, s[24:27], 0 offset:252 ; 4-byte Folded Spill
	ds_read2_b64 v[93:96], v90 offset0:18 offset1:19
	buffer_load_dword v81, off, s[24:27], 0 offset:224 ; 4-byte Folded Reload
	buffer_load_dword v82, off, s[24:27], 0 offset:228 ; 4-byte Folded Reload
	buffer_load_dword v83, off, s[24:27], 0 offset:232 ; 4-byte Folded Reload
	buffer_load_dword v84, off, s[24:27], 0 offset:236 ; 4-byte Folded Reload
	s_waitcnt lgkmcnt(0)
	v_mul_f64 v[97:98], v[95:96], v[99:100]
	v_fma_f64 v[97:98], v[93:94], v[125:126], -v[97:98]
	v_mul_f64 v[93:94], v[93:94], v[99:100]
	v_fma_f64 v[93:94], v[95:96], v[125:126], v[93:94]
	s_waitcnt vmcnt(2)
	v_add_f64 v[81:82], v[81:82], -v[97:98]
	s_waitcnt vmcnt(0)
	v_add_f64 v[83:84], v[83:84], -v[93:94]
	buffer_store_dword v81, off, s[24:27], 0 offset:224 ; 4-byte Folded Spill
	s_nop 0
	buffer_store_dword v82, off, s[24:27], 0 offset:228 ; 4-byte Folded Spill
	buffer_store_dword v83, off, s[24:27], 0 offset:232 ; 4-byte Folded Spill
	buffer_store_dword v84, off, s[24:27], 0 offset:236 ; 4-byte Folded Spill
	ds_read2_b64 v[93:96], v90 offset0:20 offset1:21
	buffer_load_dword v81, off, s[24:27], 0 offset:208 ; 4-byte Folded Reload
	buffer_load_dword v82, off, s[24:27], 0 offset:212 ; 4-byte Folded Reload
	buffer_load_dword v83, off, s[24:27], 0 offset:216 ; 4-byte Folded Reload
	buffer_load_dword v84, off, s[24:27], 0 offset:220 ; 4-byte Folded Reload
	s_waitcnt lgkmcnt(0)
	v_mul_f64 v[97:98], v[95:96], v[99:100]
	v_fma_f64 v[97:98], v[93:94], v[125:126], -v[97:98]
	v_mul_f64 v[93:94], v[93:94], v[99:100]
	v_fma_f64 v[93:94], v[95:96], v[125:126], v[93:94]
	s_waitcnt vmcnt(2)
	v_add_f64 v[81:82], v[81:82], -v[97:98]
	s_waitcnt vmcnt(0)
	v_add_f64 v[83:84], v[83:84], -v[93:94]
	buffer_store_dword v81, off, s[24:27], 0 offset:208 ; 4-byte Folded Spill
	s_nop 0
	buffer_store_dword v82, off, s[24:27], 0 offset:212 ; 4-byte Folded Spill
	buffer_store_dword v83, off, s[24:27], 0 offset:216 ; 4-byte Folded Spill
	buffer_store_dword v84, off, s[24:27], 0 offset:220 ; 4-byte Folded Spill
	ds_read2_b64 v[93:96], v90 offset0:22 offset1:23
	buffer_load_dword v81, off, s[24:27], 0 offset:192 ; 4-byte Folded Reload
	buffer_load_dword v82, off, s[24:27], 0 offset:196 ; 4-byte Folded Reload
	buffer_load_dword v83, off, s[24:27], 0 offset:200 ; 4-byte Folded Reload
	buffer_load_dword v84, off, s[24:27], 0 offset:204 ; 4-byte Folded Reload
	s_waitcnt lgkmcnt(0)
	v_mul_f64 v[97:98], v[95:96], v[99:100]
	v_fma_f64 v[97:98], v[93:94], v[125:126], -v[97:98]
	v_mul_f64 v[93:94], v[93:94], v[99:100]
	v_fma_f64 v[93:94], v[95:96], v[125:126], v[93:94]
	s_waitcnt vmcnt(2)
	v_add_f64 v[81:82], v[81:82], -v[97:98]
	s_waitcnt vmcnt(0)
	v_add_f64 v[83:84], v[83:84], -v[93:94]
	buffer_store_dword v81, off, s[24:27], 0 offset:192 ; 4-byte Folded Spill
	s_nop 0
	buffer_store_dword v82, off, s[24:27], 0 offset:196 ; 4-byte Folded Spill
	buffer_store_dword v83, off, s[24:27], 0 offset:200 ; 4-byte Folded Spill
	buffer_store_dword v84, off, s[24:27], 0 offset:204 ; 4-byte Folded Spill
	ds_read2_b64 v[93:96], v90 offset0:24 offset1:25
	buffer_load_dword v81, off, s[24:27], 0 offset:176 ; 4-byte Folded Reload
	buffer_load_dword v82, off, s[24:27], 0 offset:180 ; 4-byte Folded Reload
	buffer_load_dword v83, off, s[24:27], 0 offset:184 ; 4-byte Folded Reload
	buffer_load_dword v84, off, s[24:27], 0 offset:188 ; 4-byte Folded Reload
	s_waitcnt lgkmcnt(0)
	v_mul_f64 v[97:98], v[95:96], v[99:100]
	v_fma_f64 v[97:98], v[93:94], v[125:126], -v[97:98]
	v_mul_f64 v[93:94], v[93:94], v[99:100]
	v_fma_f64 v[93:94], v[95:96], v[125:126], v[93:94]
	s_waitcnt vmcnt(2)
	v_add_f64 v[81:82], v[81:82], -v[97:98]
	s_waitcnt vmcnt(0)
	v_add_f64 v[83:84], v[83:84], -v[93:94]
	buffer_store_dword v81, off, s[24:27], 0 offset:176 ; 4-byte Folded Spill
	s_nop 0
	buffer_store_dword v82, off, s[24:27], 0 offset:180 ; 4-byte Folded Spill
	buffer_store_dword v83, off, s[24:27], 0 offset:184 ; 4-byte Folded Spill
	buffer_store_dword v84, off, s[24:27], 0 offset:188 ; 4-byte Folded Spill
	ds_read2_b64 v[93:96], v90 offset0:26 offset1:27
	buffer_load_dword v81, off, s[24:27], 0 offset:160 ; 4-byte Folded Reload
	buffer_load_dword v82, off, s[24:27], 0 offset:164 ; 4-byte Folded Reload
	buffer_load_dword v83, off, s[24:27], 0 offset:168 ; 4-byte Folded Reload
	buffer_load_dword v84, off, s[24:27], 0 offset:172 ; 4-byte Folded Reload
	s_waitcnt lgkmcnt(0)
	v_mul_f64 v[97:98], v[95:96], v[99:100]
	v_fma_f64 v[97:98], v[93:94], v[125:126], -v[97:98]
	v_mul_f64 v[93:94], v[93:94], v[99:100]
	v_fma_f64 v[93:94], v[95:96], v[125:126], v[93:94]
	s_waitcnt vmcnt(2)
	v_add_f64 v[81:82], v[81:82], -v[97:98]
	s_waitcnt vmcnt(0)
	v_add_f64 v[83:84], v[83:84], -v[93:94]
	buffer_store_dword v81, off, s[24:27], 0 offset:160 ; 4-byte Folded Spill
	s_nop 0
	buffer_store_dword v82, off, s[24:27], 0 offset:164 ; 4-byte Folded Spill
	buffer_store_dword v83, off, s[24:27], 0 offset:168 ; 4-byte Folded Spill
	buffer_store_dword v84, off, s[24:27], 0 offset:172 ; 4-byte Folded Spill
	ds_read2_b64 v[93:96], v90 offset0:28 offset1:29
	buffer_load_dword v81, off, s[24:27], 0 offset:144 ; 4-byte Folded Reload
	buffer_load_dword v82, off, s[24:27], 0 offset:148 ; 4-byte Folded Reload
	buffer_load_dword v83, off, s[24:27], 0 offset:152 ; 4-byte Folded Reload
	buffer_load_dword v84, off, s[24:27], 0 offset:156 ; 4-byte Folded Reload
	s_waitcnt lgkmcnt(0)
	v_mul_f64 v[97:98], v[95:96], v[99:100]
	v_fma_f64 v[97:98], v[93:94], v[125:126], -v[97:98]
	v_mul_f64 v[93:94], v[93:94], v[99:100]
	v_fma_f64 v[93:94], v[95:96], v[125:126], v[93:94]
	s_waitcnt vmcnt(2)
	v_add_f64 v[81:82], v[81:82], -v[97:98]
	s_waitcnt vmcnt(0)
	v_add_f64 v[83:84], v[83:84], -v[93:94]
	buffer_store_dword v81, off, s[24:27], 0 offset:144 ; 4-byte Folded Spill
	s_nop 0
	buffer_store_dword v82, off, s[24:27], 0 offset:148 ; 4-byte Folded Spill
	buffer_store_dword v83, off, s[24:27], 0 offset:152 ; 4-byte Folded Spill
	buffer_store_dword v84, off, s[24:27], 0 offset:156 ; 4-byte Folded Spill
	ds_read2_b64 v[93:96], v90 offset0:30 offset1:31
	buffer_load_dword v81, off, s[24:27], 0 offset:128 ; 4-byte Folded Reload
	buffer_load_dword v82, off, s[24:27], 0 offset:132 ; 4-byte Folded Reload
	buffer_load_dword v83, off, s[24:27], 0 offset:136 ; 4-byte Folded Reload
	buffer_load_dword v84, off, s[24:27], 0 offset:140 ; 4-byte Folded Reload
	s_waitcnt lgkmcnt(0)
	v_mul_f64 v[97:98], v[95:96], v[99:100]
	v_fma_f64 v[97:98], v[93:94], v[125:126], -v[97:98]
	v_mul_f64 v[93:94], v[93:94], v[99:100]
	v_fma_f64 v[93:94], v[95:96], v[125:126], v[93:94]
	s_waitcnt vmcnt(2)
	v_add_f64 v[81:82], v[81:82], -v[97:98]
	s_waitcnt vmcnt(0)
	v_add_f64 v[83:84], v[83:84], -v[93:94]
	buffer_store_dword v81, off, s[24:27], 0 offset:128 ; 4-byte Folded Spill
	s_nop 0
	buffer_store_dword v82, off, s[24:27], 0 offset:132 ; 4-byte Folded Spill
	buffer_store_dword v83, off, s[24:27], 0 offset:136 ; 4-byte Folded Spill
	buffer_store_dword v84, off, s[24:27], 0 offset:140 ; 4-byte Folded Spill
	ds_read2_b64 v[93:96], v90 offset0:32 offset1:33
	buffer_load_dword v81, off, s[24:27], 0 offset:112 ; 4-byte Folded Reload
	buffer_load_dword v82, off, s[24:27], 0 offset:116 ; 4-byte Folded Reload
	buffer_load_dword v83, off, s[24:27], 0 offset:120 ; 4-byte Folded Reload
	buffer_load_dword v84, off, s[24:27], 0 offset:124 ; 4-byte Folded Reload
	s_waitcnt lgkmcnt(0)
	v_mul_f64 v[97:98], v[95:96], v[99:100]
	v_fma_f64 v[97:98], v[93:94], v[125:126], -v[97:98]
	v_mul_f64 v[93:94], v[93:94], v[99:100]
	v_fma_f64 v[93:94], v[95:96], v[125:126], v[93:94]
	s_waitcnt vmcnt(2)
	v_add_f64 v[81:82], v[81:82], -v[97:98]
	s_waitcnt vmcnt(0)
	v_add_f64 v[83:84], v[83:84], -v[93:94]
	buffer_store_dword v81, off, s[24:27], 0 offset:112 ; 4-byte Folded Spill
	s_nop 0
	buffer_store_dword v82, off, s[24:27], 0 offset:116 ; 4-byte Folded Spill
	buffer_store_dword v83, off, s[24:27], 0 offset:120 ; 4-byte Folded Spill
	buffer_store_dword v84, off, s[24:27], 0 offset:124 ; 4-byte Folded Spill
	ds_read2_b64 v[93:96], v90 offset0:34 offset1:35
	buffer_load_dword v81, off, s[24:27], 0 offset:96 ; 4-byte Folded Reload
	buffer_load_dword v82, off, s[24:27], 0 offset:100 ; 4-byte Folded Reload
	buffer_load_dword v83, off, s[24:27], 0 offset:104 ; 4-byte Folded Reload
	buffer_load_dword v84, off, s[24:27], 0 offset:108 ; 4-byte Folded Reload
	s_waitcnt lgkmcnt(0)
	v_mul_f64 v[97:98], v[95:96], v[99:100]
	v_fma_f64 v[97:98], v[93:94], v[125:126], -v[97:98]
	v_mul_f64 v[93:94], v[93:94], v[99:100]
	v_fma_f64 v[93:94], v[95:96], v[125:126], v[93:94]
	s_waitcnt vmcnt(2)
	v_add_f64 v[81:82], v[81:82], -v[97:98]
	s_waitcnt vmcnt(0)
	v_add_f64 v[83:84], v[83:84], -v[93:94]
	buffer_store_dword v81, off, s[24:27], 0 offset:96 ; 4-byte Folded Spill
	s_nop 0
	buffer_store_dword v82, off, s[24:27], 0 offset:100 ; 4-byte Folded Spill
	buffer_store_dword v83, off, s[24:27], 0 offset:104 ; 4-byte Folded Spill
	buffer_store_dword v84, off, s[24:27], 0 offset:108 ; 4-byte Folded Spill
	ds_read2_b64 v[93:96], v90 offset0:36 offset1:37
	buffer_load_dword v81, off, s[24:27], 0 offset:80 ; 4-byte Folded Reload
	buffer_load_dword v82, off, s[24:27], 0 offset:84 ; 4-byte Folded Reload
	buffer_load_dword v83, off, s[24:27], 0 offset:88 ; 4-byte Folded Reload
	buffer_load_dword v84, off, s[24:27], 0 offset:92 ; 4-byte Folded Reload
	s_waitcnt lgkmcnt(0)
	v_mul_f64 v[97:98], v[95:96], v[99:100]
	v_fma_f64 v[97:98], v[93:94], v[125:126], -v[97:98]
	v_mul_f64 v[93:94], v[93:94], v[99:100]
	v_fma_f64 v[93:94], v[95:96], v[125:126], v[93:94]
	s_waitcnt vmcnt(2)
	v_add_f64 v[81:82], v[81:82], -v[97:98]
	s_waitcnt vmcnt(0)
	v_add_f64 v[83:84], v[83:84], -v[93:94]
	buffer_store_dword v81, off, s[24:27], 0 offset:80 ; 4-byte Folded Spill
	s_nop 0
	buffer_store_dword v82, off, s[24:27], 0 offset:84 ; 4-byte Folded Spill
	buffer_store_dword v83, off, s[24:27], 0 offset:88 ; 4-byte Folded Spill
	buffer_store_dword v84, off, s[24:27], 0 offset:92 ; 4-byte Folded Spill
	ds_read2_b64 v[93:96], v90 offset0:38 offset1:39
	buffer_load_dword v81, off, s[24:27], 0 offset:64 ; 4-byte Folded Reload
	buffer_load_dword v82, off, s[24:27], 0 offset:68 ; 4-byte Folded Reload
	buffer_load_dword v83, off, s[24:27], 0 offset:72 ; 4-byte Folded Reload
	buffer_load_dword v84, off, s[24:27], 0 offset:76 ; 4-byte Folded Reload
	s_waitcnt lgkmcnt(0)
	v_mul_f64 v[97:98], v[95:96], v[99:100]
	v_fma_f64 v[97:98], v[93:94], v[125:126], -v[97:98]
	v_mul_f64 v[93:94], v[93:94], v[99:100]
	v_fma_f64 v[93:94], v[95:96], v[125:126], v[93:94]
	s_waitcnt vmcnt(2)
	v_add_f64 v[81:82], v[81:82], -v[97:98]
	s_waitcnt vmcnt(0)
	v_add_f64 v[83:84], v[83:84], -v[93:94]
	buffer_store_dword v81, off, s[24:27], 0 offset:64 ; 4-byte Folded Spill
	s_nop 0
	buffer_store_dword v82, off, s[24:27], 0 offset:68 ; 4-byte Folded Spill
	buffer_store_dword v83, off, s[24:27], 0 offset:72 ; 4-byte Folded Spill
	buffer_store_dword v84, off, s[24:27], 0 offset:76 ; 4-byte Folded Spill
	ds_read2_b64 v[93:96], v90 offset0:40 offset1:41
	buffer_load_dword v81, off, s[24:27], 0 offset:48 ; 4-byte Folded Reload
	buffer_load_dword v82, off, s[24:27], 0 offset:52 ; 4-byte Folded Reload
	buffer_load_dword v83, off, s[24:27], 0 offset:56 ; 4-byte Folded Reload
	buffer_load_dword v84, off, s[24:27], 0 offset:60 ; 4-byte Folded Reload
	s_waitcnt lgkmcnt(0)
	v_mul_f64 v[97:98], v[95:96], v[99:100]
	v_fma_f64 v[97:98], v[93:94], v[125:126], -v[97:98]
	v_mul_f64 v[93:94], v[93:94], v[99:100]
	v_fma_f64 v[93:94], v[95:96], v[125:126], v[93:94]
	s_waitcnt vmcnt(2)
	v_add_f64 v[81:82], v[81:82], -v[97:98]
	s_waitcnt vmcnt(0)
	v_add_f64 v[83:84], v[83:84], -v[93:94]
	buffer_store_dword v81, off, s[24:27], 0 offset:48 ; 4-byte Folded Spill
	s_nop 0
	buffer_store_dword v82, off, s[24:27], 0 offset:52 ; 4-byte Folded Spill
	buffer_store_dword v83, off, s[24:27], 0 offset:56 ; 4-byte Folded Spill
	buffer_store_dword v84, off, s[24:27], 0 offset:60 ; 4-byte Folded Spill
	ds_read2_b64 v[93:96], v90 offset0:42 offset1:43
	buffer_load_dword v81, off, s[24:27], 0 offset:32 ; 4-byte Folded Reload
	buffer_load_dword v82, off, s[24:27], 0 offset:36 ; 4-byte Folded Reload
	buffer_load_dword v83, off, s[24:27], 0 offset:40 ; 4-byte Folded Reload
	buffer_load_dword v84, off, s[24:27], 0 offset:44 ; 4-byte Folded Reload
	s_waitcnt lgkmcnt(0)
	v_mul_f64 v[97:98], v[95:96], v[99:100]
	v_fma_f64 v[97:98], v[93:94], v[125:126], -v[97:98]
	v_mul_f64 v[93:94], v[93:94], v[99:100]
	v_fma_f64 v[93:94], v[95:96], v[125:126], v[93:94]
	s_waitcnt vmcnt(2)
	v_add_f64 v[81:82], v[81:82], -v[97:98]
	s_waitcnt vmcnt(0)
	v_add_f64 v[83:84], v[83:84], -v[93:94]
	buffer_store_dword v81, off, s[24:27], 0 offset:32 ; 4-byte Folded Spill
	s_nop 0
	buffer_store_dword v82, off, s[24:27], 0 offset:36 ; 4-byte Folded Spill
	buffer_store_dword v83, off, s[24:27], 0 offset:40 ; 4-byte Folded Spill
	buffer_store_dword v84, off, s[24:27], 0 offset:44 ; 4-byte Folded Spill
	ds_read2_b64 v[93:96], v90 offset0:44 offset1:45
	buffer_load_dword v81, off, s[24:27], 0 offset:16 ; 4-byte Folded Reload
	buffer_load_dword v82, off, s[24:27], 0 offset:20 ; 4-byte Folded Reload
	buffer_load_dword v83, off, s[24:27], 0 offset:24 ; 4-byte Folded Reload
	buffer_load_dword v84, off, s[24:27], 0 offset:28 ; 4-byte Folded Reload
	s_waitcnt lgkmcnt(0)
	v_mul_f64 v[97:98], v[95:96], v[99:100]
	v_fma_f64 v[97:98], v[93:94], v[125:126], -v[97:98]
	v_mul_f64 v[93:94], v[93:94], v[99:100]
	v_fma_f64 v[93:94], v[95:96], v[125:126], v[93:94]
	s_waitcnt vmcnt(2)
	v_add_f64 v[81:82], v[81:82], -v[97:98]
	s_waitcnt vmcnt(0)
	v_add_f64 v[83:84], v[83:84], -v[93:94]
	buffer_store_dword v81, off, s[24:27], 0 offset:16 ; 4-byte Folded Spill
	s_nop 0
	buffer_store_dword v82, off, s[24:27], 0 offset:20 ; 4-byte Folded Spill
	buffer_store_dword v83, off, s[24:27], 0 offset:24 ; 4-byte Folded Spill
	buffer_store_dword v84, off, s[24:27], 0 offset:28 ; 4-byte Folded Spill
	ds_read2_b64 v[93:96], v90 offset0:46 offset1:47
	s_waitcnt lgkmcnt(0)
	v_mul_f64 v[97:98], v[95:96], v[99:100]
	v_fma_f64 v[97:98], v[93:94], v[125:126], -v[97:98]
	v_mul_f64 v[93:94], v[93:94], v[99:100]
	v_add_f64 v[85:86], v[85:86], -v[97:98]
	v_fma_f64 v[93:94], v[95:96], v[125:126], v[93:94]
	v_add_f64 v[87:88], v[87:88], -v[93:94]
	ds_read2_b64 v[93:96], v90 offset0:48 offset1:49
	s_waitcnt lgkmcnt(0)
	v_mul_f64 v[97:98], v[95:96], v[99:100]
	v_fma_f64 v[97:98], v[93:94], v[125:126], -v[97:98]
	v_mul_f64 v[93:94], v[93:94], v[99:100]
	v_add_f64 v[111:112], v[111:112], -v[97:98]
	v_fma_f64 v[93:94], v[95:96], v[125:126], v[93:94]
	v_add_f64 v[113:114], v[113:114], -v[93:94]
	ds_read2_b64 v[93:96], v90 offset0:50 offset1:51
	buffer_load_dword v81, off, s[24:27], 0 ; 4-byte Folded Reload
	buffer_load_dword v82, off, s[24:27], 0 offset:4 ; 4-byte Folded Reload
	buffer_load_dword v83, off, s[24:27], 0 offset:8 ; 4-byte Folded Reload
	buffer_load_dword v84, off, s[24:27], 0 offset:12 ; 4-byte Folded Reload
	s_waitcnt lgkmcnt(0)
	v_mul_f64 v[97:98], v[95:96], v[99:100]
	v_fma_f64 v[97:98], v[93:94], v[125:126], -v[97:98]
	v_mul_f64 v[93:94], v[93:94], v[99:100]
	v_fma_f64 v[93:94], v[95:96], v[125:126], v[93:94]
	s_waitcnt vmcnt(2)
	v_add_f64 v[81:82], v[81:82], -v[97:98]
	s_waitcnt vmcnt(0)
	v_add_f64 v[83:84], v[83:84], -v[93:94]
	buffer_store_dword v81, off, s[24:27], 0 ; 4-byte Folded Spill
	s_nop 0
	buffer_store_dword v82, off, s[24:27], 0 offset:4 ; 4-byte Folded Spill
	buffer_store_dword v83, off, s[24:27], 0 offset:8 ; 4-byte Folded Spill
	;; [unrolled: 1-line block ×3, first 2 shown]
	ds_read2_b64 v[93:96], v90 offset0:52 offset1:53
	s_waitcnt lgkmcnt(0)
	v_mul_f64 v[97:98], v[95:96], v[99:100]
	v_fma_f64 v[97:98], v[93:94], v[125:126], -v[97:98]
	v_mul_f64 v[93:94], v[93:94], v[99:100]
	v_add_f64 v[77:78], v[77:78], -v[97:98]
	v_fma_f64 v[93:94], v[95:96], v[125:126], v[93:94]
	v_add_f64 v[79:80], v[79:80], -v[93:94]
	ds_read2_b64 v[93:96], v90 offset0:54 offset1:55
	s_waitcnt lgkmcnt(0)
	v_mul_f64 v[97:98], v[95:96], v[99:100]
	v_fma_f64 v[97:98], v[93:94], v[125:126], -v[97:98]
	v_mul_f64 v[93:94], v[93:94], v[99:100]
	v_add_f64 v[73:74], v[73:74], -v[97:98]
	v_fma_f64 v[93:94], v[95:96], v[125:126], v[93:94]
	v_add_f64 v[75:76], v[75:76], -v[93:94]
	;; [unrolled: 8-line block ×20, first 2 shown]
	ds_read2_b64 v[93:96], v90 offset0:92 offset1:93
	s_waitcnt lgkmcnt(0)
	v_mul_f64 v[97:98], v[95:96], v[99:100]
	v_fma_f64 v[97:98], v[93:94], v[125:126], -v[97:98]
	v_mul_f64 v[93:94], v[93:94], v[99:100]
	v_add_f64 v[121:122], v[121:122], -v[97:98]
	v_fma_f64 v[93:94], v[95:96], v[125:126], v[93:94]
	v_mov_b32_e32 v97, v125
	v_mov_b32_e32 v98, v126
	buffer_store_dword v97, off, s[24:27], 0 offset:304 ; 4-byte Folded Spill
	s_nop 0
	buffer_store_dword v98, off, s[24:27], 0 offset:308 ; 4-byte Folded Spill
	buffer_store_dword v99, off, s[24:27], 0 offset:312 ; 4-byte Folded Spill
	;; [unrolled: 1-line block ×3, first 2 shown]
	v_add_f64 v[123:124], v[123:124], -v[93:94]
.LBB92_104:
	s_or_b64 exec, exec, s[0:1]
	s_waitcnt vmcnt(0)
	s_barrier
	buffer_load_dword v81, off, s[24:27], 0 offset:288 ; 4-byte Folded Reload
	buffer_load_dword v82, off, s[24:27], 0 offset:292 ; 4-byte Folded Reload
	;; [unrolled: 1-line block ×4, first 2 shown]
	v_lshl_add_u32 v93, v92, 4, v90
	s_cmp_lt_i32 s3, 7
	s_waitcnt vmcnt(0)
	ds_write2_b64 v93, v[81:82], v[83:84] offset1:1
	s_waitcnt lgkmcnt(0)
	s_barrier
	ds_read2_b64 v[117:120], v90 offset0:10 offset1:11
	v_mov_b32_e32 v93, 5
	s_cbranch_scc1 .LBB92_107
; %bb.105:
	v_add_u32_e32 v94, 0x60, v90
	s_mov_b32 s0, 6
	v_mov_b32_e32 v93, 5
.LBB92_106:                             ; =>This Inner Loop Header: Depth=1
	s_waitcnt lgkmcnt(0)
	v_cmp_gt_f64_e32 vcc, 0, v[117:118]
	v_xor_b32_e32 v99, 0x80000000, v118
	ds_read2_b64 v[95:98], v94 offset1:1
	v_xor_b32_e32 v101, 0x80000000, v120
	v_add_u32_e32 v94, 16, v94
	s_waitcnt lgkmcnt(0)
	v_xor_b32_e32 v103, 0x80000000, v98
	v_cndmask_b32_e32 v100, v118, v99, vcc
	v_cmp_gt_f64_e32 vcc, 0, v[119:120]
	v_mov_b32_e32 v99, v117
	v_cndmask_b32_e32 v102, v120, v101, vcc
	v_cmp_gt_f64_e32 vcc, 0, v[95:96]
	v_mov_b32_e32 v101, v119
	v_add_f64 v[99:100], v[99:100], v[101:102]
	v_xor_b32_e32 v101, 0x80000000, v96
	v_cndmask_b32_e32 v102, v96, v101, vcc
	v_cmp_gt_f64_e32 vcc, 0, v[97:98]
	v_mov_b32_e32 v101, v95
	v_cndmask_b32_e32 v104, v98, v103, vcc
	v_mov_b32_e32 v103, v97
	v_add_f64 v[101:102], v[101:102], v[103:104]
	v_cmp_lt_f64_e32 vcc, v[99:100], v[101:102]
	v_cndmask_b32_e32 v117, v117, v95, vcc
	v_mov_b32_e32 v95, s0
	s_add_i32 s0, s0, 1
	v_cndmask_b32_e32 v118, v118, v96, vcc
	v_cndmask_b32_e32 v120, v120, v98, vcc
	;; [unrolled: 1-line block ×4, first 2 shown]
	s_cmp_lg_u32 s3, s0
	s_cbranch_scc1 .LBB92_106
.LBB92_107:
	s_waitcnt lgkmcnt(0)
	v_cmp_eq_f64_e32 vcc, 0, v[117:118]
	v_cmp_eq_f64_e64 s[0:1], 0, v[119:120]
	s_and_b64 s[0:1], vcc, s[0:1]
	s_and_saveexec_b64 s[18:19], s[0:1]
	s_xor_b64 s[0:1], exec, s[18:19]
; %bb.108:
	v_cmp_ne_u32_e32 vcc, 0, v91
	v_cndmask_b32_e32 v91, 6, v91, vcc
; %bb.109:
	s_andn2_saveexec_b64 s[0:1], s[0:1]
	s_cbranch_execz .LBB92_115
; %bb.110:
	v_cmp_ngt_f64_e64 s[18:19], |v[117:118]|, |v[119:120]|
	s_and_saveexec_b64 s[20:21], s[18:19]
	s_xor_b64 s[18:19], exec, s[20:21]
	s_cbranch_execz .LBB92_112
; %bb.111:
	v_div_scale_f64 v[94:95], s[20:21], v[119:120], v[119:120], v[117:118]
	v_rcp_f64_e32 v[96:97], v[94:95]
	v_fma_f64 v[98:99], -v[94:95], v[96:97], 1.0
	v_fma_f64 v[96:97], v[96:97], v[98:99], v[96:97]
	v_div_scale_f64 v[98:99], vcc, v[117:118], v[119:120], v[117:118]
	v_fma_f64 v[100:101], -v[94:95], v[96:97], 1.0
	v_fma_f64 v[96:97], v[96:97], v[100:101], v[96:97]
	v_mul_f64 v[100:101], v[98:99], v[96:97]
	v_fma_f64 v[94:95], -v[94:95], v[100:101], v[98:99]
	v_div_fmas_f64 v[94:95], v[94:95], v[96:97], v[100:101]
	v_div_fixup_f64 v[94:95], v[94:95], v[119:120], v[117:118]
	v_fma_f64 v[96:97], v[117:118], v[94:95], v[119:120]
	v_div_scale_f64 v[98:99], s[20:21], v[96:97], v[96:97], 1.0
	v_div_scale_f64 v[104:105], vcc, 1.0, v[96:97], 1.0
	v_rcp_f64_e32 v[100:101], v[98:99]
	v_fma_f64 v[102:103], -v[98:99], v[100:101], 1.0
	v_fma_f64 v[100:101], v[100:101], v[102:103], v[100:101]
	v_fma_f64 v[102:103], -v[98:99], v[100:101], 1.0
	v_fma_f64 v[100:101], v[100:101], v[102:103], v[100:101]
	v_mul_f64 v[102:103], v[104:105], v[100:101]
	v_fma_f64 v[98:99], -v[98:99], v[102:103], v[104:105]
	v_div_fmas_f64 v[98:99], v[98:99], v[100:101], v[102:103]
	v_div_fixup_f64 v[119:120], v[98:99], v[96:97], 1.0
	v_mul_f64 v[117:118], v[94:95], v[119:120]
	v_xor_b32_e32 v120, 0x80000000, v120
.LBB92_112:
	s_andn2_saveexec_b64 s[18:19], s[18:19]
	s_cbranch_execz .LBB92_114
; %bb.113:
	v_div_scale_f64 v[94:95], s[20:21], v[117:118], v[117:118], v[119:120]
	v_rcp_f64_e32 v[96:97], v[94:95]
	v_fma_f64 v[98:99], -v[94:95], v[96:97], 1.0
	v_fma_f64 v[96:97], v[96:97], v[98:99], v[96:97]
	v_div_scale_f64 v[98:99], vcc, v[119:120], v[117:118], v[119:120]
	v_fma_f64 v[100:101], -v[94:95], v[96:97], 1.0
	v_fma_f64 v[96:97], v[96:97], v[100:101], v[96:97]
	v_mul_f64 v[100:101], v[98:99], v[96:97]
	v_fma_f64 v[94:95], -v[94:95], v[100:101], v[98:99]
	v_div_fmas_f64 v[94:95], v[94:95], v[96:97], v[100:101]
	v_div_fixup_f64 v[94:95], v[94:95], v[117:118], v[119:120]
	v_fma_f64 v[96:97], v[119:120], v[94:95], v[117:118]
	v_div_scale_f64 v[98:99], s[20:21], v[96:97], v[96:97], 1.0
	v_div_scale_f64 v[104:105], vcc, 1.0, v[96:97], 1.0
	v_rcp_f64_e32 v[100:101], v[98:99]
	v_fma_f64 v[102:103], -v[98:99], v[100:101], 1.0
	v_fma_f64 v[100:101], v[100:101], v[102:103], v[100:101]
	v_fma_f64 v[102:103], -v[98:99], v[100:101], 1.0
	v_fma_f64 v[100:101], v[100:101], v[102:103], v[100:101]
	v_mul_f64 v[102:103], v[104:105], v[100:101]
	v_fma_f64 v[98:99], -v[98:99], v[102:103], v[104:105]
	v_div_fmas_f64 v[98:99], v[98:99], v[100:101], v[102:103]
	v_div_fixup_f64 v[117:118], v[98:99], v[96:97], 1.0
	v_mul_f64 v[119:120], v[94:95], -v[117:118]
.LBB92_114:
	s_or_b64 exec, exec, s[18:19]
.LBB92_115:
	s_or_b64 exec, exec, s[0:1]
	v_cmp_ne_u32_e32 vcc, v92, v93
	s_and_saveexec_b64 s[0:1], vcc
	s_xor_b64 s[0:1], exec, s[0:1]
	s_cbranch_execz .LBB92_121
; %bb.116:
	v_cmp_eq_u32_e32 vcc, 5, v92
	s_and_saveexec_b64 s[18:19], vcc
	s_cbranch_execz .LBB92_120
; %bb.117:
	v_cmp_ne_u32_e32 vcc, 5, v93
	s_xor_b64 s[20:21], s[6:7], -1
	s_and_b64 s[22:23], s[20:21], vcc
	s_and_saveexec_b64 s[20:21], s[22:23]
	s_cbranch_execz .LBB92_119
; %bb.118:
	v_mov_b32_e32 v81, v85
	v_mov_b32_e32 v82, v86
	;; [unrolled: 1-line block ×4, first 2 shown]
	buffer_load_dword v85, off, s[24:27], 0 offset:336 ; 4-byte Folded Reload
	buffer_load_dword v86, off, s[24:27], 0 offset:340 ; 4-byte Folded Reload
	v_ashrrev_i32_e32 v94, 31, v93
	v_lshlrev_b64 v[94:95], 2, v[93:94]
	s_waitcnt vmcnt(1)
	v_add_co_u32_e32 v94, vcc, v85, v94
	s_waitcnt vmcnt(0)
	v_addc_co_u32_e32 v95, vcc, v86, v95, vcc
	global_load_dword v0, v[94:95], off
	global_load_dword v92, v[85:86], off offset:20
	s_waitcnt vmcnt(1)
	global_store_dword v[85:86], v0, off offset:20
	v_mov_b32_e32 v88, v84
	v_mov_b32_e32 v87, v83
	;; [unrolled: 1-line block ×4, first 2 shown]
	s_waitcnt vmcnt(1)
	global_store_dword v[94:95], v92, off
.LBB92_119:
	s_or_b64 exec, exec, s[20:21]
	v_mov_b32_e32 v92, v93
	v_mov_b32_e32 v0, v93
.LBB92_120:
	s_or_b64 exec, exec, s[18:19]
.LBB92_121:
	s_andn2_saveexec_b64 s[0:1], s[0:1]
	s_cbranch_execz .LBB92_123
; %bb.122:
	buffer_load_dword v81, off, s[24:27], 0 offset:272 ; 4-byte Folded Reload
	buffer_load_dword v82, off, s[24:27], 0 offset:276 ; 4-byte Folded Reload
	;; [unrolled: 1-line block ×4, first 2 shown]
	v_mov_b32_e32 v92, 5
	s_waitcnt vmcnt(0)
	ds_write2_b64 v90, v[81:82], v[83:84] offset0:12 offset1:13
	buffer_load_dword v81, off, s[24:27], 0 offset:256 ; 4-byte Folded Reload
	buffer_load_dword v82, off, s[24:27], 0 offset:260 ; 4-byte Folded Reload
	buffer_load_dword v83, off, s[24:27], 0 offset:264 ; 4-byte Folded Reload
	buffer_load_dword v84, off, s[24:27], 0 offset:268 ; 4-byte Folded Reload
	s_waitcnt vmcnt(0)
	ds_write2_b64 v90, v[81:82], v[83:84] offset0:14 offset1:15
	buffer_load_dword v81, off, s[24:27], 0 offset:240 ; 4-byte Folded Reload
	buffer_load_dword v82, off, s[24:27], 0 offset:244 ; 4-byte Folded Reload
	buffer_load_dword v83, off, s[24:27], 0 offset:248 ; 4-byte Folded Reload
	buffer_load_dword v84, off, s[24:27], 0 offset:252 ; 4-byte Folded Reload
	s_waitcnt vmcnt(0)
	ds_write2_b64 v90, v[81:82], v[83:84] offset0:16 offset1:17
	buffer_load_dword v81, off, s[24:27], 0 offset:224 ; 4-byte Folded Reload
	buffer_load_dword v82, off, s[24:27], 0 offset:228 ; 4-byte Folded Reload
	buffer_load_dword v83, off, s[24:27], 0 offset:232 ; 4-byte Folded Reload
	buffer_load_dword v84, off, s[24:27], 0 offset:236 ; 4-byte Folded Reload
	s_waitcnt vmcnt(0)
	ds_write2_b64 v90, v[81:82], v[83:84] offset0:18 offset1:19
	buffer_load_dword v81, off, s[24:27], 0 offset:208 ; 4-byte Folded Reload
	buffer_load_dword v82, off, s[24:27], 0 offset:212 ; 4-byte Folded Reload
	buffer_load_dword v83, off, s[24:27], 0 offset:216 ; 4-byte Folded Reload
	buffer_load_dword v84, off, s[24:27], 0 offset:220 ; 4-byte Folded Reload
	s_waitcnt vmcnt(0)
	ds_write2_b64 v90, v[81:82], v[83:84] offset0:20 offset1:21
	buffer_load_dword v81, off, s[24:27], 0 offset:192 ; 4-byte Folded Reload
	buffer_load_dword v82, off, s[24:27], 0 offset:196 ; 4-byte Folded Reload
	buffer_load_dword v83, off, s[24:27], 0 offset:200 ; 4-byte Folded Reload
	buffer_load_dword v84, off, s[24:27], 0 offset:204 ; 4-byte Folded Reload
	s_waitcnt vmcnt(0)
	ds_write2_b64 v90, v[81:82], v[83:84] offset0:22 offset1:23
	buffer_load_dword v81, off, s[24:27], 0 offset:176 ; 4-byte Folded Reload
	buffer_load_dword v82, off, s[24:27], 0 offset:180 ; 4-byte Folded Reload
	buffer_load_dword v83, off, s[24:27], 0 offset:184 ; 4-byte Folded Reload
	buffer_load_dword v84, off, s[24:27], 0 offset:188 ; 4-byte Folded Reload
	s_waitcnt vmcnt(0)
	ds_write2_b64 v90, v[81:82], v[83:84] offset0:24 offset1:25
	buffer_load_dword v81, off, s[24:27], 0 offset:160 ; 4-byte Folded Reload
	buffer_load_dword v82, off, s[24:27], 0 offset:164 ; 4-byte Folded Reload
	buffer_load_dword v83, off, s[24:27], 0 offset:168 ; 4-byte Folded Reload
	buffer_load_dword v84, off, s[24:27], 0 offset:172 ; 4-byte Folded Reload
	s_waitcnt vmcnt(0)
	ds_write2_b64 v90, v[81:82], v[83:84] offset0:26 offset1:27
	buffer_load_dword v81, off, s[24:27], 0 offset:144 ; 4-byte Folded Reload
	buffer_load_dword v82, off, s[24:27], 0 offset:148 ; 4-byte Folded Reload
	buffer_load_dword v83, off, s[24:27], 0 offset:152 ; 4-byte Folded Reload
	buffer_load_dword v84, off, s[24:27], 0 offset:156 ; 4-byte Folded Reload
	s_waitcnt vmcnt(0)
	ds_write2_b64 v90, v[81:82], v[83:84] offset0:28 offset1:29
	buffer_load_dword v81, off, s[24:27], 0 offset:128 ; 4-byte Folded Reload
	buffer_load_dword v82, off, s[24:27], 0 offset:132 ; 4-byte Folded Reload
	buffer_load_dword v83, off, s[24:27], 0 offset:136 ; 4-byte Folded Reload
	buffer_load_dword v84, off, s[24:27], 0 offset:140 ; 4-byte Folded Reload
	s_waitcnt vmcnt(0)
	ds_write2_b64 v90, v[81:82], v[83:84] offset0:30 offset1:31
	buffer_load_dword v81, off, s[24:27], 0 offset:112 ; 4-byte Folded Reload
	buffer_load_dword v82, off, s[24:27], 0 offset:116 ; 4-byte Folded Reload
	buffer_load_dword v83, off, s[24:27], 0 offset:120 ; 4-byte Folded Reload
	buffer_load_dword v84, off, s[24:27], 0 offset:124 ; 4-byte Folded Reload
	s_waitcnt vmcnt(0)
	ds_write2_b64 v90, v[81:82], v[83:84] offset0:32 offset1:33
	buffer_load_dword v81, off, s[24:27], 0 offset:96 ; 4-byte Folded Reload
	buffer_load_dword v82, off, s[24:27], 0 offset:100 ; 4-byte Folded Reload
	buffer_load_dword v83, off, s[24:27], 0 offset:104 ; 4-byte Folded Reload
	buffer_load_dword v84, off, s[24:27], 0 offset:108 ; 4-byte Folded Reload
	s_waitcnt vmcnt(0)
	ds_write2_b64 v90, v[81:82], v[83:84] offset0:34 offset1:35
	buffer_load_dword v81, off, s[24:27], 0 offset:80 ; 4-byte Folded Reload
	buffer_load_dword v82, off, s[24:27], 0 offset:84 ; 4-byte Folded Reload
	buffer_load_dword v83, off, s[24:27], 0 offset:88 ; 4-byte Folded Reload
	buffer_load_dword v84, off, s[24:27], 0 offset:92 ; 4-byte Folded Reload
	s_waitcnt vmcnt(0)
	ds_write2_b64 v90, v[81:82], v[83:84] offset0:36 offset1:37
	buffer_load_dword v81, off, s[24:27], 0 offset:64 ; 4-byte Folded Reload
	buffer_load_dword v82, off, s[24:27], 0 offset:68 ; 4-byte Folded Reload
	buffer_load_dword v83, off, s[24:27], 0 offset:72 ; 4-byte Folded Reload
	buffer_load_dword v84, off, s[24:27], 0 offset:76 ; 4-byte Folded Reload
	s_waitcnt vmcnt(0)
	ds_write2_b64 v90, v[81:82], v[83:84] offset0:38 offset1:39
	buffer_load_dword v81, off, s[24:27], 0 offset:48 ; 4-byte Folded Reload
	buffer_load_dword v82, off, s[24:27], 0 offset:52 ; 4-byte Folded Reload
	buffer_load_dword v83, off, s[24:27], 0 offset:56 ; 4-byte Folded Reload
	buffer_load_dword v84, off, s[24:27], 0 offset:60 ; 4-byte Folded Reload
	s_waitcnt vmcnt(0)
	ds_write2_b64 v90, v[81:82], v[83:84] offset0:40 offset1:41
	buffer_load_dword v81, off, s[24:27], 0 offset:32 ; 4-byte Folded Reload
	buffer_load_dword v82, off, s[24:27], 0 offset:36 ; 4-byte Folded Reload
	buffer_load_dword v83, off, s[24:27], 0 offset:40 ; 4-byte Folded Reload
	buffer_load_dword v84, off, s[24:27], 0 offset:44 ; 4-byte Folded Reload
	s_waitcnt vmcnt(0)
	ds_write2_b64 v90, v[81:82], v[83:84] offset0:42 offset1:43
	buffer_load_dword v81, off, s[24:27], 0 offset:16 ; 4-byte Folded Reload
	buffer_load_dword v82, off, s[24:27], 0 offset:20 ; 4-byte Folded Reload
	buffer_load_dword v83, off, s[24:27], 0 offset:24 ; 4-byte Folded Reload
	buffer_load_dword v84, off, s[24:27], 0 offset:28 ; 4-byte Folded Reload
	s_waitcnt vmcnt(0)
	ds_write2_b64 v90, v[81:82], v[83:84] offset0:44 offset1:45
	ds_write2_b64 v90, v[85:86], v[87:88] offset0:46 offset1:47
	;; [unrolled: 1-line block ×3, first 2 shown]
	buffer_load_dword v81, off, s[24:27], 0 ; 4-byte Folded Reload
	buffer_load_dword v82, off, s[24:27], 0 offset:4 ; 4-byte Folded Reload
	buffer_load_dword v83, off, s[24:27], 0 offset:8 ; 4-byte Folded Reload
	;; [unrolled: 1-line block ×3, first 2 shown]
	s_waitcnt vmcnt(0)
	ds_write2_b64 v90, v[81:82], v[83:84] offset0:50 offset1:51
	ds_write2_b64 v90, v[77:78], v[79:80] offset0:52 offset1:53
	ds_write2_b64 v90, v[73:74], v[75:76] offset0:54 offset1:55
	ds_write2_b64 v90, v[69:70], v[71:72] offset0:56 offset1:57
	ds_write2_b64 v90, v[65:66], v[67:68] offset0:58 offset1:59
	ds_write2_b64 v90, v[61:62], v[63:64] offset0:60 offset1:61
	ds_write2_b64 v90, v[57:58], v[59:60] offset0:62 offset1:63
	ds_write2_b64 v90, v[53:54], v[55:56] offset0:64 offset1:65
	ds_write2_b64 v90, v[49:50], v[51:52] offset0:66 offset1:67
	ds_write2_b64 v90, v[45:46], v[47:48] offset0:68 offset1:69
	ds_write2_b64 v90, v[41:42], v[43:44] offset0:70 offset1:71
	ds_write2_b64 v90, v[37:38], v[39:40] offset0:72 offset1:73
	ds_write2_b64 v90, v[33:34], v[35:36] offset0:74 offset1:75
	ds_write2_b64 v90, v[29:30], v[31:32] offset0:76 offset1:77
	ds_write2_b64 v90, v[25:26], v[27:28] offset0:78 offset1:79
	ds_write2_b64 v90, v[21:22], v[23:24] offset0:80 offset1:81
	ds_write2_b64 v90, v[17:18], v[19:20] offset0:82 offset1:83
	ds_write2_b64 v90, v[13:14], v[15:16] offset0:84 offset1:85
	ds_write2_b64 v90, v[9:10], v[11:12] offset0:86 offset1:87
	ds_write2_b64 v90, v[5:6], v[7:8] offset0:88 offset1:89
	ds_write2_b64 v90, v[1:2], v[3:4] offset0:90 offset1:91
	ds_write2_b64 v90, v[121:122], v[123:124] offset0:92 offset1:93
.LBB92_123:
	s_or_b64 exec, exec, s[0:1]
	v_cmp_lt_i32_e32 vcc, 5, v92
	s_waitcnt vmcnt(0) lgkmcnt(0)
	s_barrier
	s_and_saveexec_b64 s[0:1], vcc
	s_cbranch_execz .LBB92_125
; %bb.124:
	buffer_load_dword v97, off, s[24:27], 0 offset:288 ; 4-byte Folded Reload
	buffer_load_dword v98, off, s[24:27], 0 offset:292 ; 4-byte Folded Reload
	buffer_load_dword v99, off, s[24:27], 0 offset:296 ; 4-byte Folded Reload
	buffer_load_dword v100, off, s[24:27], 0 offset:300 ; 4-byte Folded Reload
	s_waitcnt vmcnt(0)
	v_mul_f64 v[93:94], v[119:120], v[99:100]
	v_fma_f64 v[125:126], v[117:118], v[97:98], -v[93:94]
	v_mul_f64 v[93:94], v[117:118], v[99:100]
	v_fma_f64 v[99:100], v[119:120], v[97:98], v[93:94]
	ds_read2_b64 v[93:96], v90 offset0:12 offset1:13
	buffer_load_dword v81, off, s[24:27], 0 offset:272 ; 4-byte Folded Reload
	buffer_load_dword v82, off, s[24:27], 0 offset:276 ; 4-byte Folded Reload
	buffer_load_dword v83, off, s[24:27], 0 offset:280 ; 4-byte Folded Reload
	buffer_load_dword v84, off, s[24:27], 0 offset:284 ; 4-byte Folded Reload
	s_waitcnt lgkmcnt(0)
	v_mul_f64 v[97:98], v[95:96], v[99:100]
	v_fma_f64 v[97:98], v[93:94], v[125:126], -v[97:98]
	v_mul_f64 v[93:94], v[93:94], v[99:100]
	v_fma_f64 v[93:94], v[95:96], v[125:126], v[93:94]
	s_waitcnt vmcnt(2)
	v_add_f64 v[81:82], v[81:82], -v[97:98]
	s_waitcnt vmcnt(0)
	v_add_f64 v[83:84], v[83:84], -v[93:94]
	buffer_store_dword v81, off, s[24:27], 0 offset:272 ; 4-byte Folded Spill
	s_nop 0
	buffer_store_dword v82, off, s[24:27], 0 offset:276 ; 4-byte Folded Spill
	buffer_store_dword v83, off, s[24:27], 0 offset:280 ; 4-byte Folded Spill
	buffer_store_dword v84, off, s[24:27], 0 offset:284 ; 4-byte Folded Spill
	ds_read2_b64 v[93:96], v90 offset0:14 offset1:15
	buffer_load_dword v81, off, s[24:27], 0 offset:256 ; 4-byte Folded Reload
	buffer_load_dword v82, off, s[24:27], 0 offset:260 ; 4-byte Folded Reload
	buffer_load_dword v83, off, s[24:27], 0 offset:264 ; 4-byte Folded Reload
	buffer_load_dword v84, off, s[24:27], 0 offset:268 ; 4-byte Folded Reload
	s_waitcnt lgkmcnt(0)
	v_mul_f64 v[97:98], v[95:96], v[99:100]
	v_fma_f64 v[97:98], v[93:94], v[125:126], -v[97:98]
	v_mul_f64 v[93:94], v[93:94], v[99:100]
	v_fma_f64 v[93:94], v[95:96], v[125:126], v[93:94]
	s_waitcnt vmcnt(2)
	v_add_f64 v[81:82], v[81:82], -v[97:98]
	s_waitcnt vmcnt(0)
	v_add_f64 v[83:84], v[83:84], -v[93:94]
	buffer_store_dword v81, off, s[24:27], 0 offset:256 ; 4-byte Folded Spill
	s_nop 0
	buffer_store_dword v82, off, s[24:27], 0 offset:260 ; 4-byte Folded Spill
	buffer_store_dword v83, off, s[24:27], 0 offset:264 ; 4-byte Folded Spill
	buffer_store_dword v84, off, s[24:27], 0 offset:268 ; 4-byte Folded Spill
	;; [unrolled: 19-line block ×17, first 2 shown]
	ds_read2_b64 v[93:96], v90 offset0:46 offset1:47
	s_waitcnt lgkmcnt(0)
	v_mul_f64 v[97:98], v[95:96], v[99:100]
	v_fma_f64 v[97:98], v[93:94], v[125:126], -v[97:98]
	v_mul_f64 v[93:94], v[93:94], v[99:100]
	v_add_f64 v[85:86], v[85:86], -v[97:98]
	v_fma_f64 v[93:94], v[95:96], v[125:126], v[93:94]
	v_add_f64 v[87:88], v[87:88], -v[93:94]
	ds_read2_b64 v[93:96], v90 offset0:48 offset1:49
	s_waitcnt lgkmcnt(0)
	v_mul_f64 v[97:98], v[95:96], v[99:100]
	v_fma_f64 v[97:98], v[93:94], v[125:126], -v[97:98]
	v_mul_f64 v[93:94], v[93:94], v[99:100]
	v_add_f64 v[111:112], v[111:112], -v[97:98]
	v_fma_f64 v[93:94], v[95:96], v[125:126], v[93:94]
	v_add_f64 v[113:114], v[113:114], -v[93:94]
	ds_read2_b64 v[93:96], v90 offset0:50 offset1:51
	buffer_load_dword v81, off, s[24:27], 0 ; 4-byte Folded Reload
	buffer_load_dword v82, off, s[24:27], 0 offset:4 ; 4-byte Folded Reload
	buffer_load_dword v83, off, s[24:27], 0 offset:8 ; 4-byte Folded Reload
	;; [unrolled: 1-line block ×3, first 2 shown]
	s_waitcnt lgkmcnt(0)
	v_mul_f64 v[97:98], v[95:96], v[99:100]
	v_fma_f64 v[97:98], v[93:94], v[125:126], -v[97:98]
	v_mul_f64 v[93:94], v[93:94], v[99:100]
	v_fma_f64 v[93:94], v[95:96], v[125:126], v[93:94]
	s_waitcnt vmcnt(2)
	v_add_f64 v[81:82], v[81:82], -v[97:98]
	s_waitcnt vmcnt(0)
	v_add_f64 v[83:84], v[83:84], -v[93:94]
	buffer_store_dword v81, off, s[24:27], 0 ; 4-byte Folded Spill
	s_nop 0
	buffer_store_dword v82, off, s[24:27], 0 offset:4 ; 4-byte Folded Spill
	buffer_store_dword v83, off, s[24:27], 0 offset:8 ; 4-byte Folded Spill
	;; [unrolled: 1-line block ×3, first 2 shown]
	ds_read2_b64 v[93:96], v90 offset0:52 offset1:53
	s_waitcnt lgkmcnt(0)
	v_mul_f64 v[97:98], v[95:96], v[99:100]
	v_fma_f64 v[97:98], v[93:94], v[125:126], -v[97:98]
	v_mul_f64 v[93:94], v[93:94], v[99:100]
	v_add_f64 v[77:78], v[77:78], -v[97:98]
	v_fma_f64 v[93:94], v[95:96], v[125:126], v[93:94]
	v_add_f64 v[79:80], v[79:80], -v[93:94]
	ds_read2_b64 v[93:96], v90 offset0:54 offset1:55
	s_waitcnt lgkmcnt(0)
	v_mul_f64 v[97:98], v[95:96], v[99:100]
	v_fma_f64 v[97:98], v[93:94], v[125:126], -v[97:98]
	v_mul_f64 v[93:94], v[93:94], v[99:100]
	v_add_f64 v[73:74], v[73:74], -v[97:98]
	v_fma_f64 v[93:94], v[95:96], v[125:126], v[93:94]
	v_add_f64 v[75:76], v[75:76], -v[93:94]
	;; [unrolled: 8-line block ×20, first 2 shown]
	ds_read2_b64 v[93:96], v90 offset0:92 offset1:93
	s_waitcnt lgkmcnt(0)
	v_mul_f64 v[97:98], v[95:96], v[99:100]
	v_fma_f64 v[97:98], v[93:94], v[125:126], -v[97:98]
	v_mul_f64 v[93:94], v[93:94], v[99:100]
	v_add_f64 v[121:122], v[121:122], -v[97:98]
	v_fma_f64 v[93:94], v[95:96], v[125:126], v[93:94]
	v_mov_b32_e32 v97, v125
	v_mov_b32_e32 v98, v126
	buffer_store_dword v97, off, s[24:27], 0 offset:288 ; 4-byte Folded Spill
	s_nop 0
	buffer_store_dword v98, off, s[24:27], 0 offset:292 ; 4-byte Folded Spill
	buffer_store_dword v99, off, s[24:27], 0 offset:296 ; 4-byte Folded Spill
	;; [unrolled: 1-line block ×3, first 2 shown]
	v_add_f64 v[123:124], v[123:124], -v[93:94]
.LBB92_125:
	s_or_b64 exec, exec, s[0:1]
	s_waitcnt vmcnt(0)
	s_barrier
	buffer_load_dword v81, off, s[24:27], 0 offset:272 ; 4-byte Folded Reload
	buffer_load_dword v82, off, s[24:27], 0 offset:276 ; 4-byte Folded Reload
	;; [unrolled: 1-line block ×4, first 2 shown]
	v_lshl_add_u32 v93, v92, 4, v90
	s_cmp_lt_i32 s3, 8
	s_waitcnt vmcnt(0)
	ds_write2_b64 v93, v[81:82], v[83:84] offset1:1
	s_waitcnt lgkmcnt(0)
	s_barrier
	ds_read2_b64 v[117:120], v90 offset0:12 offset1:13
	v_mov_b32_e32 v93, 6
	s_cbranch_scc1 .LBB92_128
; %bb.126:
	v_add_u32_e32 v94, 0x70, v90
	s_mov_b32 s0, 7
	v_mov_b32_e32 v93, 6
.LBB92_127:                             ; =>This Inner Loop Header: Depth=1
	s_waitcnt lgkmcnt(0)
	v_cmp_gt_f64_e32 vcc, 0, v[117:118]
	v_xor_b32_e32 v99, 0x80000000, v118
	ds_read2_b64 v[95:98], v94 offset1:1
	v_xor_b32_e32 v101, 0x80000000, v120
	v_add_u32_e32 v94, 16, v94
	s_waitcnt lgkmcnt(0)
	v_xor_b32_e32 v103, 0x80000000, v98
	v_cndmask_b32_e32 v100, v118, v99, vcc
	v_cmp_gt_f64_e32 vcc, 0, v[119:120]
	v_mov_b32_e32 v99, v117
	v_cndmask_b32_e32 v102, v120, v101, vcc
	v_cmp_gt_f64_e32 vcc, 0, v[95:96]
	v_mov_b32_e32 v101, v119
	v_add_f64 v[99:100], v[99:100], v[101:102]
	v_xor_b32_e32 v101, 0x80000000, v96
	v_cndmask_b32_e32 v102, v96, v101, vcc
	v_cmp_gt_f64_e32 vcc, 0, v[97:98]
	v_mov_b32_e32 v101, v95
	v_cndmask_b32_e32 v104, v98, v103, vcc
	v_mov_b32_e32 v103, v97
	v_add_f64 v[101:102], v[101:102], v[103:104]
	v_cmp_lt_f64_e32 vcc, v[99:100], v[101:102]
	v_cndmask_b32_e32 v117, v117, v95, vcc
	v_mov_b32_e32 v95, s0
	s_add_i32 s0, s0, 1
	v_cndmask_b32_e32 v118, v118, v96, vcc
	v_cndmask_b32_e32 v120, v120, v98, vcc
	;; [unrolled: 1-line block ×4, first 2 shown]
	s_cmp_lg_u32 s3, s0
	s_cbranch_scc1 .LBB92_127
.LBB92_128:
	s_waitcnt lgkmcnt(0)
	v_cmp_eq_f64_e32 vcc, 0, v[117:118]
	v_cmp_eq_f64_e64 s[0:1], 0, v[119:120]
	s_and_b64 s[0:1], vcc, s[0:1]
	s_and_saveexec_b64 s[18:19], s[0:1]
	s_xor_b64 s[0:1], exec, s[18:19]
; %bb.129:
	v_cmp_ne_u32_e32 vcc, 0, v91
	v_cndmask_b32_e32 v91, 7, v91, vcc
; %bb.130:
	s_andn2_saveexec_b64 s[0:1], s[0:1]
	s_cbranch_execz .LBB92_136
; %bb.131:
	v_cmp_ngt_f64_e64 s[18:19], |v[117:118]|, |v[119:120]|
	s_and_saveexec_b64 s[20:21], s[18:19]
	s_xor_b64 s[18:19], exec, s[20:21]
	s_cbranch_execz .LBB92_133
; %bb.132:
	v_div_scale_f64 v[94:95], s[20:21], v[119:120], v[119:120], v[117:118]
	v_rcp_f64_e32 v[96:97], v[94:95]
	v_fma_f64 v[98:99], -v[94:95], v[96:97], 1.0
	v_fma_f64 v[96:97], v[96:97], v[98:99], v[96:97]
	v_div_scale_f64 v[98:99], vcc, v[117:118], v[119:120], v[117:118]
	v_fma_f64 v[100:101], -v[94:95], v[96:97], 1.0
	v_fma_f64 v[96:97], v[96:97], v[100:101], v[96:97]
	v_mul_f64 v[100:101], v[98:99], v[96:97]
	v_fma_f64 v[94:95], -v[94:95], v[100:101], v[98:99]
	v_div_fmas_f64 v[94:95], v[94:95], v[96:97], v[100:101]
	v_div_fixup_f64 v[94:95], v[94:95], v[119:120], v[117:118]
	v_fma_f64 v[96:97], v[117:118], v[94:95], v[119:120]
	v_div_scale_f64 v[98:99], s[20:21], v[96:97], v[96:97], 1.0
	v_div_scale_f64 v[104:105], vcc, 1.0, v[96:97], 1.0
	v_rcp_f64_e32 v[100:101], v[98:99]
	v_fma_f64 v[102:103], -v[98:99], v[100:101], 1.0
	v_fma_f64 v[100:101], v[100:101], v[102:103], v[100:101]
	v_fma_f64 v[102:103], -v[98:99], v[100:101], 1.0
	v_fma_f64 v[100:101], v[100:101], v[102:103], v[100:101]
	v_mul_f64 v[102:103], v[104:105], v[100:101]
	v_fma_f64 v[98:99], -v[98:99], v[102:103], v[104:105]
	v_div_fmas_f64 v[98:99], v[98:99], v[100:101], v[102:103]
	v_div_fixup_f64 v[119:120], v[98:99], v[96:97], 1.0
	v_mul_f64 v[117:118], v[94:95], v[119:120]
	v_xor_b32_e32 v120, 0x80000000, v120
.LBB92_133:
	s_andn2_saveexec_b64 s[18:19], s[18:19]
	s_cbranch_execz .LBB92_135
; %bb.134:
	v_div_scale_f64 v[94:95], s[20:21], v[117:118], v[117:118], v[119:120]
	v_rcp_f64_e32 v[96:97], v[94:95]
	v_fma_f64 v[98:99], -v[94:95], v[96:97], 1.0
	v_fma_f64 v[96:97], v[96:97], v[98:99], v[96:97]
	v_div_scale_f64 v[98:99], vcc, v[119:120], v[117:118], v[119:120]
	v_fma_f64 v[100:101], -v[94:95], v[96:97], 1.0
	v_fma_f64 v[96:97], v[96:97], v[100:101], v[96:97]
	v_mul_f64 v[100:101], v[98:99], v[96:97]
	v_fma_f64 v[94:95], -v[94:95], v[100:101], v[98:99]
	v_div_fmas_f64 v[94:95], v[94:95], v[96:97], v[100:101]
	v_div_fixup_f64 v[94:95], v[94:95], v[117:118], v[119:120]
	v_fma_f64 v[96:97], v[119:120], v[94:95], v[117:118]
	v_div_scale_f64 v[98:99], s[20:21], v[96:97], v[96:97], 1.0
	v_div_scale_f64 v[104:105], vcc, 1.0, v[96:97], 1.0
	v_rcp_f64_e32 v[100:101], v[98:99]
	v_fma_f64 v[102:103], -v[98:99], v[100:101], 1.0
	v_fma_f64 v[100:101], v[100:101], v[102:103], v[100:101]
	v_fma_f64 v[102:103], -v[98:99], v[100:101], 1.0
	v_fma_f64 v[100:101], v[100:101], v[102:103], v[100:101]
	v_mul_f64 v[102:103], v[104:105], v[100:101]
	v_fma_f64 v[98:99], -v[98:99], v[102:103], v[104:105]
	v_div_fmas_f64 v[98:99], v[98:99], v[100:101], v[102:103]
	v_div_fixup_f64 v[117:118], v[98:99], v[96:97], 1.0
	v_mul_f64 v[119:120], v[94:95], -v[117:118]
.LBB92_135:
	s_or_b64 exec, exec, s[18:19]
.LBB92_136:
	s_or_b64 exec, exec, s[0:1]
	v_cmp_ne_u32_e32 vcc, v92, v93
	s_and_saveexec_b64 s[0:1], vcc
	s_xor_b64 s[0:1], exec, s[0:1]
	s_cbranch_execz .LBB92_142
; %bb.137:
	v_cmp_eq_u32_e32 vcc, 6, v92
	s_and_saveexec_b64 s[18:19], vcc
	s_cbranch_execz .LBB92_141
; %bb.138:
	v_cmp_ne_u32_e32 vcc, 6, v93
	s_xor_b64 s[20:21], s[6:7], -1
	s_and_b64 s[22:23], s[20:21], vcc
	s_and_saveexec_b64 s[20:21], s[22:23]
	s_cbranch_execz .LBB92_140
; %bb.139:
	v_mov_b32_e32 v81, v85
	v_mov_b32_e32 v82, v86
	;; [unrolled: 1-line block ×4, first 2 shown]
	buffer_load_dword v85, off, s[24:27], 0 offset:336 ; 4-byte Folded Reload
	buffer_load_dword v86, off, s[24:27], 0 offset:340 ; 4-byte Folded Reload
	v_ashrrev_i32_e32 v94, 31, v93
	v_lshlrev_b64 v[94:95], 2, v[93:94]
	s_waitcnt vmcnt(1)
	v_add_co_u32_e32 v94, vcc, v85, v94
	s_waitcnt vmcnt(0)
	v_addc_co_u32_e32 v95, vcc, v86, v95, vcc
	global_load_dword v0, v[94:95], off
	global_load_dword v92, v[85:86], off offset:24
	s_waitcnt vmcnt(1)
	global_store_dword v[85:86], v0, off offset:24
	v_mov_b32_e32 v88, v84
	v_mov_b32_e32 v87, v83
	;; [unrolled: 1-line block ×4, first 2 shown]
	s_waitcnt vmcnt(1)
	global_store_dword v[94:95], v92, off
.LBB92_140:
	s_or_b64 exec, exec, s[20:21]
	v_mov_b32_e32 v92, v93
	v_mov_b32_e32 v0, v93
.LBB92_141:
	s_or_b64 exec, exec, s[18:19]
.LBB92_142:
	s_andn2_saveexec_b64 s[0:1], s[0:1]
	s_cbranch_execz .LBB92_144
; %bb.143:
	buffer_load_dword v81, off, s[24:27], 0 offset:256 ; 4-byte Folded Reload
	buffer_load_dword v82, off, s[24:27], 0 offset:260 ; 4-byte Folded Reload
	;; [unrolled: 1-line block ×4, first 2 shown]
	v_mov_b32_e32 v92, 6
	s_waitcnt vmcnt(0)
	ds_write2_b64 v90, v[81:82], v[83:84] offset0:14 offset1:15
	buffer_load_dword v81, off, s[24:27], 0 offset:240 ; 4-byte Folded Reload
	buffer_load_dword v82, off, s[24:27], 0 offset:244 ; 4-byte Folded Reload
	buffer_load_dword v83, off, s[24:27], 0 offset:248 ; 4-byte Folded Reload
	buffer_load_dword v84, off, s[24:27], 0 offset:252 ; 4-byte Folded Reload
	s_waitcnt vmcnt(0)
	ds_write2_b64 v90, v[81:82], v[83:84] offset0:16 offset1:17
	buffer_load_dword v81, off, s[24:27], 0 offset:224 ; 4-byte Folded Reload
	buffer_load_dword v82, off, s[24:27], 0 offset:228 ; 4-byte Folded Reload
	buffer_load_dword v83, off, s[24:27], 0 offset:232 ; 4-byte Folded Reload
	buffer_load_dword v84, off, s[24:27], 0 offset:236 ; 4-byte Folded Reload
	;; [unrolled: 6-line block ×15, first 2 shown]
	s_waitcnt vmcnt(0)
	ds_write2_b64 v90, v[81:82], v[83:84] offset0:44 offset1:45
	ds_write2_b64 v90, v[85:86], v[87:88] offset0:46 offset1:47
	;; [unrolled: 1-line block ×3, first 2 shown]
	buffer_load_dword v81, off, s[24:27], 0 ; 4-byte Folded Reload
	buffer_load_dword v82, off, s[24:27], 0 offset:4 ; 4-byte Folded Reload
	buffer_load_dword v83, off, s[24:27], 0 offset:8 ; 4-byte Folded Reload
	;; [unrolled: 1-line block ×3, first 2 shown]
	s_waitcnt vmcnt(0)
	ds_write2_b64 v90, v[81:82], v[83:84] offset0:50 offset1:51
	ds_write2_b64 v90, v[77:78], v[79:80] offset0:52 offset1:53
	ds_write2_b64 v90, v[73:74], v[75:76] offset0:54 offset1:55
	ds_write2_b64 v90, v[69:70], v[71:72] offset0:56 offset1:57
	ds_write2_b64 v90, v[65:66], v[67:68] offset0:58 offset1:59
	ds_write2_b64 v90, v[61:62], v[63:64] offset0:60 offset1:61
	ds_write2_b64 v90, v[57:58], v[59:60] offset0:62 offset1:63
	ds_write2_b64 v90, v[53:54], v[55:56] offset0:64 offset1:65
	ds_write2_b64 v90, v[49:50], v[51:52] offset0:66 offset1:67
	ds_write2_b64 v90, v[45:46], v[47:48] offset0:68 offset1:69
	ds_write2_b64 v90, v[41:42], v[43:44] offset0:70 offset1:71
	ds_write2_b64 v90, v[37:38], v[39:40] offset0:72 offset1:73
	ds_write2_b64 v90, v[33:34], v[35:36] offset0:74 offset1:75
	ds_write2_b64 v90, v[29:30], v[31:32] offset0:76 offset1:77
	ds_write2_b64 v90, v[25:26], v[27:28] offset0:78 offset1:79
	ds_write2_b64 v90, v[21:22], v[23:24] offset0:80 offset1:81
	ds_write2_b64 v90, v[17:18], v[19:20] offset0:82 offset1:83
	ds_write2_b64 v90, v[13:14], v[15:16] offset0:84 offset1:85
	ds_write2_b64 v90, v[9:10], v[11:12] offset0:86 offset1:87
	ds_write2_b64 v90, v[5:6], v[7:8] offset0:88 offset1:89
	ds_write2_b64 v90, v[1:2], v[3:4] offset0:90 offset1:91
	ds_write2_b64 v90, v[121:122], v[123:124] offset0:92 offset1:93
.LBB92_144:
	s_or_b64 exec, exec, s[0:1]
	v_cmp_lt_i32_e32 vcc, 6, v92
	s_waitcnt vmcnt(0) lgkmcnt(0)
	s_barrier
	s_and_saveexec_b64 s[0:1], vcc
	s_cbranch_execz .LBB92_146
; %bb.145:
	buffer_load_dword v97, off, s[24:27], 0 offset:272 ; 4-byte Folded Reload
	buffer_load_dword v98, off, s[24:27], 0 offset:276 ; 4-byte Folded Reload
	;; [unrolled: 1-line block ×4, first 2 shown]
	s_waitcnt vmcnt(0)
	v_mul_f64 v[93:94], v[119:120], v[99:100]
	v_fma_f64 v[125:126], v[117:118], v[97:98], -v[93:94]
	v_mul_f64 v[93:94], v[117:118], v[99:100]
	v_fma_f64 v[99:100], v[119:120], v[97:98], v[93:94]
	ds_read2_b64 v[93:96], v90 offset0:14 offset1:15
	buffer_load_dword v81, off, s[24:27], 0 offset:256 ; 4-byte Folded Reload
	buffer_load_dword v82, off, s[24:27], 0 offset:260 ; 4-byte Folded Reload
	buffer_load_dword v83, off, s[24:27], 0 offset:264 ; 4-byte Folded Reload
	buffer_load_dword v84, off, s[24:27], 0 offset:268 ; 4-byte Folded Reload
	s_waitcnt lgkmcnt(0)
	v_mul_f64 v[97:98], v[95:96], v[99:100]
	v_fma_f64 v[97:98], v[93:94], v[125:126], -v[97:98]
	v_mul_f64 v[93:94], v[93:94], v[99:100]
	v_fma_f64 v[93:94], v[95:96], v[125:126], v[93:94]
	s_waitcnt vmcnt(2)
	v_add_f64 v[81:82], v[81:82], -v[97:98]
	s_waitcnt vmcnt(0)
	v_add_f64 v[83:84], v[83:84], -v[93:94]
	buffer_store_dword v81, off, s[24:27], 0 offset:256 ; 4-byte Folded Spill
	s_nop 0
	buffer_store_dword v82, off, s[24:27], 0 offset:260 ; 4-byte Folded Spill
	buffer_store_dword v83, off, s[24:27], 0 offset:264 ; 4-byte Folded Spill
	buffer_store_dword v84, off, s[24:27], 0 offset:268 ; 4-byte Folded Spill
	ds_read2_b64 v[93:96], v90 offset0:16 offset1:17
	buffer_load_dword v81, off, s[24:27], 0 offset:240 ; 4-byte Folded Reload
	buffer_load_dword v82, off, s[24:27], 0 offset:244 ; 4-byte Folded Reload
	buffer_load_dword v83, off, s[24:27], 0 offset:248 ; 4-byte Folded Reload
	buffer_load_dword v84, off, s[24:27], 0 offset:252 ; 4-byte Folded Reload
	s_waitcnt lgkmcnt(0)
	v_mul_f64 v[97:98], v[95:96], v[99:100]
	v_fma_f64 v[97:98], v[93:94], v[125:126], -v[97:98]
	v_mul_f64 v[93:94], v[93:94], v[99:100]
	v_fma_f64 v[93:94], v[95:96], v[125:126], v[93:94]
	s_waitcnt vmcnt(2)
	v_add_f64 v[81:82], v[81:82], -v[97:98]
	s_waitcnt vmcnt(0)
	v_add_f64 v[83:84], v[83:84], -v[93:94]
	buffer_store_dword v81, off, s[24:27], 0 offset:240 ; 4-byte Folded Spill
	s_nop 0
	buffer_store_dword v82, off, s[24:27], 0 offset:244 ; 4-byte Folded Spill
	buffer_store_dword v83, off, s[24:27], 0 offset:248 ; 4-byte Folded Spill
	buffer_store_dword v84, off, s[24:27], 0 offset:252 ; 4-byte Folded Spill
	;; [unrolled: 19-line block ×16, first 2 shown]
	ds_read2_b64 v[93:96], v90 offset0:46 offset1:47
	s_waitcnt lgkmcnt(0)
	v_mul_f64 v[97:98], v[95:96], v[99:100]
	v_fma_f64 v[97:98], v[93:94], v[125:126], -v[97:98]
	v_mul_f64 v[93:94], v[93:94], v[99:100]
	v_add_f64 v[85:86], v[85:86], -v[97:98]
	v_fma_f64 v[93:94], v[95:96], v[125:126], v[93:94]
	v_add_f64 v[87:88], v[87:88], -v[93:94]
	ds_read2_b64 v[93:96], v90 offset0:48 offset1:49
	s_waitcnt lgkmcnt(0)
	v_mul_f64 v[97:98], v[95:96], v[99:100]
	v_fma_f64 v[97:98], v[93:94], v[125:126], -v[97:98]
	v_mul_f64 v[93:94], v[93:94], v[99:100]
	v_add_f64 v[111:112], v[111:112], -v[97:98]
	v_fma_f64 v[93:94], v[95:96], v[125:126], v[93:94]
	v_add_f64 v[113:114], v[113:114], -v[93:94]
	ds_read2_b64 v[93:96], v90 offset0:50 offset1:51
	buffer_load_dword v81, off, s[24:27], 0 ; 4-byte Folded Reload
	buffer_load_dword v82, off, s[24:27], 0 offset:4 ; 4-byte Folded Reload
	buffer_load_dword v83, off, s[24:27], 0 offset:8 ; 4-byte Folded Reload
	buffer_load_dword v84, off, s[24:27], 0 offset:12 ; 4-byte Folded Reload
	s_waitcnt lgkmcnt(0)
	v_mul_f64 v[97:98], v[95:96], v[99:100]
	v_fma_f64 v[97:98], v[93:94], v[125:126], -v[97:98]
	v_mul_f64 v[93:94], v[93:94], v[99:100]
	v_fma_f64 v[93:94], v[95:96], v[125:126], v[93:94]
	s_waitcnt vmcnt(2)
	v_add_f64 v[81:82], v[81:82], -v[97:98]
	s_waitcnt vmcnt(0)
	v_add_f64 v[83:84], v[83:84], -v[93:94]
	buffer_store_dword v81, off, s[24:27], 0 ; 4-byte Folded Spill
	s_nop 0
	buffer_store_dword v82, off, s[24:27], 0 offset:4 ; 4-byte Folded Spill
	buffer_store_dword v83, off, s[24:27], 0 offset:8 ; 4-byte Folded Spill
	;; [unrolled: 1-line block ×3, first 2 shown]
	ds_read2_b64 v[93:96], v90 offset0:52 offset1:53
	s_waitcnt lgkmcnt(0)
	v_mul_f64 v[97:98], v[95:96], v[99:100]
	v_fma_f64 v[97:98], v[93:94], v[125:126], -v[97:98]
	v_mul_f64 v[93:94], v[93:94], v[99:100]
	v_add_f64 v[77:78], v[77:78], -v[97:98]
	v_fma_f64 v[93:94], v[95:96], v[125:126], v[93:94]
	v_add_f64 v[79:80], v[79:80], -v[93:94]
	ds_read2_b64 v[93:96], v90 offset0:54 offset1:55
	s_waitcnt lgkmcnt(0)
	v_mul_f64 v[97:98], v[95:96], v[99:100]
	v_fma_f64 v[97:98], v[93:94], v[125:126], -v[97:98]
	v_mul_f64 v[93:94], v[93:94], v[99:100]
	v_add_f64 v[73:74], v[73:74], -v[97:98]
	v_fma_f64 v[93:94], v[95:96], v[125:126], v[93:94]
	v_add_f64 v[75:76], v[75:76], -v[93:94]
	;; [unrolled: 8-line block ×20, first 2 shown]
	ds_read2_b64 v[93:96], v90 offset0:92 offset1:93
	s_waitcnt lgkmcnt(0)
	v_mul_f64 v[97:98], v[95:96], v[99:100]
	v_fma_f64 v[97:98], v[93:94], v[125:126], -v[97:98]
	v_mul_f64 v[93:94], v[93:94], v[99:100]
	v_add_f64 v[121:122], v[121:122], -v[97:98]
	v_fma_f64 v[93:94], v[95:96], v[125:126], v[93:94]
	v_mov_b32_e32 v97, v125
	v_mov_b32_e32 v98, v126
	buffer_store_dword v97, off, s[24:27], 0 offset:272 ; 4-byte Folded Spill
	s_nop 0
	buffer_store_dword v98, off, s[24:27], 0 offset:276 ; 4-byte Folded Spill
	buffer_store_dword v99, off, s[24:27], 0 offset:280 ; 4-byte Folded Spill
	;; [unrolled: 1-line block ×3, first 2 shown]
	v_add_f64 v[123:124], v[123:124], -v[93:94]
.LBB92_146:
	s_or_b64 exec, exec, s[0:1]
	s_waitcnt vmcnt(0)
	s_barrier
	buffer_load_dword v81, off, s[24:27], 0 offset:256 ; 4-byte Folded Reload
	buffer_load_dword v82, off, s[24:27], 0 offset:260 ; 4-byte Folded Reload
	;; [unrolled: 1-line block ×4, first 2 shown]
	v_lshl_add_u32 v93, v92, 4, v90
	s_cmp_lt_i32 s3, 9
	s_waitcnt vmcnt(0)
	ds_write2_b64 v93, v[81:82], v[83:84] offset1:1
	s_waitcnt lgkmcnt(0)
	s_barrier
	ds_read2_b64 v[117:120], v90 offset0:14 offset1:15
	v_mov_b32_e32 v93, 7
	s_cbranch_scc1 .LBB92_149
; %bb.147:
	v_add_u32_e32 v94, 0x80, v90
	s_mov_b32 s0, 8
	v_mov_b32_e32 v93, 7
.LBB92_148:                             ; =>This Inner Loop Header: Depth=1
	s_waitcnt lgkmcnt(0)
	v_cmp_gt_f64_e32 vcc, 0, v[117:118]
	v_xor_b32_e32 v99, 0x80000000, v118
	ds_read2_b64 v[95:98], v94 offset1:1
	v_xor_b32_e32 v101, 0x80000000, v120
	v_add_u32_e32 v94, 16, v94
	s_waitcnt lgkmcnt(0)
	v_xor_b32_e32 v103, 0x80000000, v98
	v_cndmask_b32_e32 v100, v118, v99, vcc
	v_cmp_gt_f64_e32 vcc, 0, v[119:120]
	v_mov_b32_e32 v99, v117
	v_cndmask_b32_e32 v102, v120, v101, vcc
	v_cmp_gt_f64_e32 vcc, 0, v[95:96]
	v_mov_b32_e32 v101, v119
	v_add_f64 v[99:100], v[99:100], v[101:102]
	v_xor_b32_e32 v101, 0x80000000, v96
	v_cndmask_b32_e32 v102, v96, v101, vcc
	v_cmp_gt_f64_e32 vcc, 0, v[97:98]
	v_mov_b32_e32 v101, v95
	v_cndmask_b32_e32 v104, v98, v103, vcc
	v_mov_b32_e32 v103, v97
	v_add_f64 v[101:102], v[101:102], v[103:104]
	v_cmp_lt_f64_e32 vcc, v[99:100], v[101:102]
	v_cndmask_b32_e32 v117, v117, v95, vcc
	v_mov_b32_e32 v95, s0
	s_add_i32 s0, s0, 1
	v_cndmask_b32_e32 v118, v118, v96, vcc
	v_cndmask_b32_e32 v120, v120, v98, vcc
	;; [unrolled: 1-line block ×4, first 2 shown]
	s_cmp_lg_u32 s3, s0
	s_cbranch_scc1 .LBB92_148
.LBB92_149:
	s_waitcnt lgkmcnt(0)
	v_cmp_eq_f64_e32 vcc, 0, v[117:118]
	v_cmp_eq_f64_e64 s[0:1], 0, v[119:120]
	s_and_b64 s[0:1], vcc, s[0:1]
	s_and_saveexec_b64 s[18:19], s[0:1]
	s_xor_b64 s[0:1], exec, s[18:19]
; %bb.150:
	v_cmp_ne_u32_e32 vcc, 0, v91
	v_cndmask_b32_e32 v91, 8, v91, vcc
; %bb.151:
	s_andn2_saveexec_b64 s[0:1], s[0:1]
	s_cbranch_execz .LBB92_157
; %bb.152:
	v_cmp_ngt_f64_e64 s[18:19], |v[117:118]|, |v[119:120]|
	s_and_saveexec_b64 s[20:21], s[18:19]
	s_xor_b64 s[18:19], exec, s[20:21]
	s_cbranch_execz .LBB92_154
; %bb.153:
	v_div_scale_f64 v[94:95], s[20:21], v[119:120], v[119:120], v[117:118]
	v_rcp_f64_e32 v[96:97], v[94:95]
	v_fma_f64 v[98:99], -v[94:95], v[96:97], 1.0
	v_fma_f64 v[96:97], v[96:97], v[98:99], v[96:97]
	v_div_scale_f64 v[98:99], vcc, v[117:118], v[119:120], v[117:118]
	v_fma_f64 v[100:101], -v[94:95], v[96:97], 1.0
	v_fma_f64 v[96:97], v[96:97], v[100:101], v[96:97]
	v_mul_f64 v[100:101], v[98:99], v[96:97]
	v_fma_f64 v[94:95], -v[94:95], v[100:101], v[98:99]
	v_div_fmas_f64 v[94:95], v[94:95], v[96:97], v[100:101]
	v_div_fixup_f64 v[94:95], v[94:95], v[119:120], v[117:118]
	v_fma_f64 v[96:97], v[117:118], v[94:95], v[119:120]
	v_div_scale_f64 v[98:99], s[20:21], v[96:97], v[96:97], 1.0
	v_div_scale_f64 v[104:105], vcc, 1.0, v[96:97], 1.0
	v_rcp_f64_e32 v[100:101], v[98:99]
	v_fma_f64 v[102:103], -v[98:99], v[100:101], 1.0
	v_fma_f64 v[100:101], v[100:101], v[102:103], v[100:101]
	v_fma_f64 v[102:103], -v[98:99], v[100:101], 1.0
	v_fma_f64 v[100:101], v[100:101], v[102:103], v[100:101]
	v_mul_f64 v[102:103], v[104:105], v[100:101]
	v_fma_f64 v[98:99], -v[98:99], v[102:103], v[104:105]
	v_div_fmas_f64 v[98:99], v[98:99], v[100:101], v[102:103]
	v_div_fixup_f64 v[119:120], v[98:99], v[96:97], 1.0
	v_mul_f64 v[117:118], v[94:95], v[119:120]
	v_xor_b32_e32 v120, 0x80000000, v120
.LBB92_154:
	s_andn2_saveexec_b64 s[18:19], s[18:19]
	s_cbranch_execz .LBB92_156
; %bb.155:
	v_div_scale_f64 v[94:95], s[20:21], v[117:118], v[117:118], v[119:120]
	v_rcp_f64_e32 v[96:97], v[94:95]
	v_fma_f64 v[98:99], -v[94:95], v[96:97], 1.0
	v_fma_f64 v[96:97], v[96:97], v[98:99], v[96:97]
	v_div_scale_f64 v[98:99], vcc, v[119:120], v[117:118], v[119:120]
	v_fma_f64 v[100:101], -v[94:95], v[96:97], 1.0
	v_fma_f64 v[96:97], v[96:97], v[100:101], v[96:97]
	v_mul_f64 v[100:101], v[98:99], v[96:97]
	v_fma_f64 v[94:95], -v[94:95], v[100:101], v[98:99]
	v_div_fmas_f64 v[94:95], v[94:95], v[96:97], v[100:101]
	v_div_fixup_f64 v[94:95], v[94:95], v[117:118], v[119:120]
	v_fma_f64 v[96:97], v[119:120], v[94:95], v[117:118]
	v_div_scale_f64 v[98:99], s[20:21], v[96:97], v[96:97], 1.0
	v_div_scale_f64 v[104:105], vcc, 1.0, v[96:97], 1.0
	v_rcp_f64_e32 v[100:101], v[98:99]
	v_fma_f64 v[102:103], -v[98:99], v[100:101], 1.0
	v_fma_f64 v[100:101], v[100:101], v[102:103], v[100:101]
	v_fma_f64 v[102:103], -v[98:99], v[100:101], 1.0
	v_fma_f64 v[100:101], v[100:101], v[102:103], v[100:101]
	v_mul_f64 v[102:103], v[104:105], v[100:101]
	v_fma_f64 v[98:99], -v[98:99], v[102:103], v[104:105]
	v_div_fmas_f64 v[98:99], v[98:99], v[100:101], v[102:103]
	v_div_fixup_f64 v[117:118], v[98:99], v[96:97], 1.0
	v_mul_f64 v[119:120], v[94:95], -v[117:118]
.LBB92_156:
	s_or_b64 exec, exec, s[18:19]
.LBB92_157:
	s_or_b64 exec, exec, s[0:1]
	v_cmp_ne_u32_e32 vcc, v92, v93
	s_and_saveexec_b64 s[0:1], vcc
	s_xor_b64 s[0:1], exec, s[0:1]
	s_cbranch_execz .LBB92_163
; %bb.158:
	v_cmp_eq_u32_e32 vcc, 7, v92
	s_and_saveexec_b64 s[18:19], vcc
	s_cbranch_execz .LBB92_162
; %bb.159:
	v_cmp_ne_u32_e32 vcc, 7, v93
	s_xor_b64 s[20:21], s[6:7], -1
	s_and_b64 s[22:23], s[20:21], vcc
	s_and_saveexec_b64 s[20:21], s[22:23]
	s_cbranch_execz .LBB92_161
; %bb.160:
	v_mov_b32_e32 v81, v85
	v_mov_b32_e32 v82, v86
	;; [unrolled: 1-line block ×4, first 2 shown]
	buffer_load_dword v85, off, s[24:27], 0 offset:336 ; 4-byte Folded Reload
	buffer_load_dword v86, off, s[24:27], 0 offset:340 ; 4-byte Folded Reload
	v_ashrrev_i32_e32 v94, 31, v93
	v_lshlrev_b64 v[94:95], 2, v[93:94]
	s_waitcnt vmcnt(1)
	v_add_co_u32_e32 v94, vcc, v85, v94
	s_waitcnt vmcnt(0)
	v_addc_co_u32_e32 v95, vcc, v86, v95, vcc
	global_load_dword v0, v[94:95], off
	global_load_dword v92, v[85:86], off offset:28
	s_waitcnt vmcnt(1)
	global_store_dword v[85:86], v0, off offset:28
	v_mov_b32_e32 v88, v84
	v_mov_b32_e32 v87, v83
	;; [unrolled: 1-line block ×4, first 2 shown]
	s_waitcnt vmcnt(1)
	global_store_dword v[94:95], v92, off
.LBB92_161:
	s_or_b64 exec, exec, s[20:21]
	v_mov_b32_e32 v92, v93
	v_mov_b32_e32 v0, v93
.LBB92_162:
	s_or_b64 exec, exec, s[18:19]
.LBB92_163:
	s_andn2_saveexec_b64 s[0:1], s[0:1]
	s_cbranch_execz .LBB92_165
; %bb.164:
	buffer_load_dword v81, off, s[24:27], 0 offset:240 ; 4-byte Folded Reload
	buffer_load_dword v82, off, s[24:27], 0 offset:244 ; 4-byte Folded Reload
	;; [unrolled: 1-line block ×4, first 2 shown]
	v_mov_b32_e32 v92, 7
	s_waitcnt vmcnt(0)
	ds_write2_b64 v90, v[81:82], v[83:84] offset0:16 offset1:17
	buffer_load_dword v81, off, s[24:27], 0 offset:224 ; 4-byte Folded Reload
	buffer_load_dword v82, off, s[24:27], 0 offset:228 ; 4-byte Folded Reload
	buffer_load_dword v83, off, s[24:27], 0 offset:232 ; 4-byte Folded Reload
	buffer_load_dword v84, off, s[24:27], 0 offset:236 ; 4-byte Folded Reload
	s_waitcnt vmcnt(0)
	ds_write2_b64 v90, v[81:82], v[83:84] offset0:18 offset1:19
	buffer_load_dword v81, off, s[24:27], 0 offset:208 ; 4-byte Folded Reload
	buffer_load_dword v82, off, s[24:27], 0 offset:212 ; 4-byte Folded Reload
	buffer_load_dword v83, off, s[24:27], 0 offset:216 ; 4-byte Folded Reload
	buffer_load_dword v84, off, s[24:27], 0 offset:220 ; 4-byte Folded Reload
	;; [unrolled: 6-line block ×14, first 2 shown]
	s_waitcnt vmcnt(0)
	ds_write2_b64 v90, v[81:82], v[83:84] offset0:44 offset1:45
	ds_write2_b64 v90, v[85:86], v[87:88] offset0:46 offset1:47
	;; [unrolled: 1-line block ×3, first 2 shown]
	buffer_load_dword v81, off, s[24:27], 0 ; 4-byte Folded Reload
	buffer_load_dword v82, off, s[24:27], 0 offset:4 ; 4-byte Folded Reload
	buffer_load_dword v83, off, s[24:27], 0 offset:8 ; 4-byte Folded Reload
	buffer_load_dword v84, off, s[24:27], 0 offset:12 ; 4-byte Folded Reload
	s_waitcnt vmcnt(0)
	ds_write2_b64 v90, v[81:82], v[83:84] offset0:50 offset1:51
	ds_write2_b64 v90, v[77:78], v[79:80] offset0:52 offset1:53
	ds_write2_b64 v90, v[73:74], v[75:76] offset0:54 offset1:55
	ds_write2_b64 v90, v[69:70], v[71:72] offset0:56 offset1:57
	ds_write2_b64 v90, v[65:66], v[67:68] offset0:58 offset1:59
	ds_write2_b64 v90, v[61:62], v[63:64] offset0:60 offset1:61
	ds_write2_b64 v90, v[57:58], v[59:60] offset0:62 offset1:63
	ds_write2_b64 v90, v[53:54], v[55:56] offset0:64 offset1:65
	ds_write2_b64 v90, v[49:50], v[51:52] offset0:66 offset1:67
	ds_write2_b64 v90, v[45:46], v[47:48] offset0:68 offset1:69
	ds_write2_b64 v90, v[41:42], v[43:44] offset0:70 offset1:71
	ds_write2_b64 v90, v[37:38], v[39:40] offset0:72 offset1:73
	ds_write2_b64 v90, v[33:34], v[35:36] offset0:74 offset1:75
	ds_write2_b64 v90, v[29:30], v[31:32] offset0:76 offset1:77
	ds_write2_b64 v90, v[25:26], v[27:28] offset0:78 offset1:79
	ds_write2_b64 v90, v[21:22], v[23:24] offset0:80 offset1:81
	ds_write2_b64 v90, v[17:18], v[19:20] offset0:82 offset1:83
	ds_write2_b64 v90, v[13:14], v[15:16] offset0:84 offset1:85
	ds_write2_b64 v90, v[9:10], v[11:12] offset0:86 offset1:87
	ds_write2_b64 v90, v[5:6], v[7:8] offset0:88 offset1:89
	ds_write2_b64 v90, v[1:2], v[3:4] offset0:90 offset1:91
	ds_write2_b64 v90, v[121:122], v[123:124] offset0:92 offset1:93
.LBB92_165:
	s_or_b64 exec, exec, s[0:1]
	v_cmp_lt_i32_e32 vcc, 7, v92
	s_waitcnt vmcnt(0) lgkmcnt(0)
	s_barrier
	s_and_saveexec_b64 s[0:1], vcc
	s_cbranch_execz .LBB92_167
; %bb.166:
	buffer_load_dword v97, off, s[24:27], 0 offset:256 ; 4-byte Folded Reload
	buffer_load_dword v98, off, s[24:27], 0 offset:260 ; 4-byte Folded Reload
	;; [unrolled: 1-line block ×4, first 2 shown]
	s_waitcnt vmcnt(0)
	v_mul_f64 v[93:94], v[119:120], v[99:100]
	v_fma_f64 v[125:126], v[117:118], v[97:98], -v[93:94]
	v_mul_f64 v[93:94], v[117:118], v[99:100]
	v_fma_f64 v[99:100], v[119:120], v[97:98], v[93:94]
	ds_read2_b64 v[93:96], v90 offset0:16 offset1:17
	buffer_load_dword v81, off, s[24:27], 0 offset:240 ; 4-byte Folded Reload
	buffer_load_dword v82, off, s[24:27], 0 offset:244 ; 4-byte Folded Reload
	buffer_load_dword v83, off, s[24:27], 0 offset:248 ; 4-byte Folded Reload
	buffer_load_dword v84, off, s[24:27], 0 offset:252 ; 4-byte Folded Reload
	s_waitcnt lgkmcnt(0)
	v_mul_f64 v[97:98], v[95:96], v[99:100]
	v_fma_f64 v[97:98], v[93:94], v[125:126], -v[97:98]
	v_mul_f64 v[93:94], v[93:94], v[99:100]
	v_fma_f64 v[93:94], v[95:96], v[125:126], v[93:94]
	s_waitcnt vmcnt(2)
	v_add_f64 v[81:82], v[81:82], -v[97:98]
	s_waitcnt vmcnt(0)
	v_add_f64 v[83:84], v[83:84], -v[93:94]
	buffer_store_dword v81, off, s[24:27], 0 offset:240 ; 4-byte Folded Spill
	s_nop 0
	buffer_store_dword v82, off, s[24:27], 0 offset:244 ; 4-byte Folded Spill
	buffer_store_dword v83, off, s[24:27], 0 offset:248 ; 4-byte Folded Spill
	buffer_store_dword v84, off, s[24:27], 0 offset:252 ; 4-byte Folded Spill
	ds_read2_b64 v[93:96], v90 offset0:18 offset1:19
	buffer_load_dword v81, off, s[24:27], 0 offset:224 ; 4-byte Folded Reload
	buffer_load_dword v82, off, s[24:27], 0 offset:228 ; 4-byte Folded Reload
	buffer_load_dword v83, off, s[24:27], 0 offset:232 ; 4-byte Folded Reload
	buffer_load_dword v84, off, s[24:27], 0 offset:236 ; 4-byte Folded Reload
	s_waitcnt lgkmcnt(0)
	v_mul_f64 v[97:98], v[95:96], v[99:100]
	v_fma_f64 v[97:98], v[93:94], v[125:126], -v[97:98]
	v_mul_f64 v[93:94], v[93:94], v[99:100]
	v_fma_f64 v[93:94], v[95:96], v[125:126], v[93:94]
	s_waitcnt vmcnt(2)
	v_add_f64 v[81:82], v[81:82], -v[97:98]
	s_waitcnt vmcnt(0)
	v_add_f64 v[83:84], v[83:84], -v[93:94]
	buffer_store_dword v81, off, s[24:27], 0 offset:224 ; 4-byte Folded Spill
	s_nop 0
	buffer_store_dword v82, off, s[24:27], 0 offset:228 ; 4-byte Folded Spill
	buffer_store_dword v83, off, s[24:27], 0 offset:232 ; 4-byte Folded Spill
	buffer_store_dword v84, off, s[24:27], 0 offset:236 ; 4-byte Folded Spill
	;; [unrolled: 19-line block ×15, first 2 shown]
	ds_read2_b64 v[93:96], v90 offset0:46 offset1:47
	s_waitcnt lgkmcnt(0)
	v_mul_f64 v[97:98], v[95:96], v[99:100]
	v_fma_f64 v[97:98], v[93:94], v[125:126], -v[97:98]
	v_mul_f64 v[93:94], v[93:94], v[99:100]
	v_add_f64 v[85:86], v[85:86], -v[97:98]
	v_fma_f64 v[93:94], v[95:96], v[125:126], v[93:94]
	v_add_f64 v[87:88], v[87:88], -v[93:94]
	ds_read2_b64 v[93:96], v90 offset0:48 offset1:49
	s_waitcnt lgkmcnt(0)
	v_mul_f64 v[97:98], v[95:96], v[99:100]
	v_fma_f64 v[97:98], v[93:94], v[125:126], -v[97:98]
	v_mul_f64 v[93:94], v[93:94], v[99:100]
	v_add_f64 v[111:112], v[111:112], -v[97:98]
	v_fma_f64 v[93:94], v[95:96], v[125:126], v[93:94]
	v_add_f64 v[113:114], v[113:114], -v[93:94]
	ds_read2_b64 v[93:96], v90 offset0:50 offset1:51
	buffer_load_dword v81, off, s[24:27], 0 ; 4-byte Folded Reload
	buffer_load_dword v82, off, s[24:27], 0 offset:4 ; 4-byte Folded Reload
	buffer_load_dword v83, off, s[24:27], 0 offset:8 ; 4-byte Folded Reload
	buffer_load_dword v84, off, s[24:27], 0 offset:12 ; 4-byte Folded Reload
	s_waitcnt lgkmcnt(0)
	v_mul_f64 v[97:98], v[95:96], v[99:100]
	v_fma_f64 v[97:98], v[93:94], v[125:126], -v[97:98]
	v_mul_f64 v[93:94], v[93:94], v[99:100]
	v_fma_f64 v[93:94], v[95:96], v[125:126], v[93:94]
	s_waitcnt vmcnt(2)
	v_add_f64 v[81:82], v[81:82], -v[97:98]
	s_waitcnt vmcnt(0)
	v_add_f64 v[83:84], v[83:84], -v[93:94]
	buffer_store_dword v81, off, s[24:27], 0 ; 4-byte Folded Spill
	s_nop 0
	buffer_store_dword v82, off, s[24:27], 0 offset:4 ; 4-byte Folded Spill
	buffer_store_dword v83, off, s[24:27], 0 offset:8 ; 4-byte Folded Spill
	;; [unrolled: 1-line block ×3, first 2 shown]
	ds_read2_b64 v[93:96], v90 offset0:52 offset1:53
	s_waitcnt lgkmcnt(0)
	v_mul_f64 v[97:98], v[95:96], v[99:100]
	v_fma_f64 v[97:98], v[93:94], v[125:126], -v[97:98]
	v_mul_f64 v[93:94], v[93:94], v[99:100]
	v_add_f64 v[77:78], v[77:78], -v[97:98]
	v_fma_f64 v[93:94], v[95:96], v[125:126], v[93:94]
	v_add_f64 v[79:80], v[79:80], -v[93:94]
	ds_read2_b64 v[93:96], v90 offset0:54 offset1:55
	s_waitcnt lgkmcnt(0)
	v_mul_f64 v[97:98], v[95:96], v[99:100]
	v_fma_f64 v[97:98], v[93:94], v[125:126], -v[97:98]
	v_mul_f64 v[93:94], v[93:94], v[99:100]
	v_add_f64 v[73:74], v[73:74], -v[97:98]
	v_fma_f64 v[93:94], v[95:96], v[125:126], v[93:94]
	v_add_f64 v[75:76], v[75:76], -v[93:94]
	;; [unrolled: 8-line block ×20, first 2 shown]
	ds_read2_b64 v[93:96], v90 offset0:92 offset1:93
	s_waitcnt lgkmcnt(0)
	v_mul_f64 v[97:98], v[95:96], v[99:100]
	v_fma_f64 v[97:98], v[93:94], v[125:126], -v[97:98]
	v_mul_f64 v[93:94], v[93:94], v[99:100]
	v_add_f64 v[121:122], v[121:122], -v[97:98]
	v_fma_f64 v[93:94], v[95:96], v[125:126], v[93:94]
	v_mov_b32_e32 v97, v125
	v_mov_b32_e32 v98, v126
	buffer_store_dword v97, off, s[24:27], 0 offset:256 ; 4-byte Folded Spill
	s_nop 0
	buffer_store_dword v98, off, s[24:27], 0 offset:260 ; 4-byte Folded Spill
	buffer_store_dword v99, off, s[24:27], 0 offset:264 ; 4-byte Folded Spill
	;; [unrolled: 1-line block ×3, first 2 shown]
	v_add_f64 v[123:124], v[123:124], -v[93:94]
.LBB92_167:
	s_or_b64 exec, exec, s[0:1]
	s_waitcnt vmcnt(0)
	s_barrier
	buffer_load_dword v81, off, s[24:27], 0 offset:240 ; 4-byte Folded Reload
	buffer_load_dword v82, off, s[24:27], 0 offset:244 ; 4-byte Folded Reload
	;; [unrolled: 1-line block ×4, first 2 shown]
	v_lshl_add_u32 v93, v92, 4, v90
	s_cmp_lt_i32 s3, 10
	s_waitcnt vmcnt(0)
	ds_write2_b64 v93, v[81:82], v[83:84] offset1:1
	s_waitcnt lgkmcnt(0)
	s_barrier
	ds_read2_b64 v[117:120], v90 offset0:16 offset1:17
	v_mov_b32_e32 v93, 8
	s_cbranch_scc1 .LBB92_170
; %bb.168:
	v_add_u32_e32 v94, 0x90, v90
	s_mov_b32 s0, 9
	v_mov_b32_e32 v93, 8
.LBB92_169:                             ; =>This Inner Loop Header: Depth=1
	s_waitcnt lgkmcnt(0)
	v_cmp_gt_f64_e32 vcc, 0, v[117:118]
	v_xor_b32_e32 v99, 0x80000000, v118
	ds_read2_b64 v[95:98], v94 offset1:1
	v_xor_b32_e32 v101, 0x80000000, v120
	v_add_u32_e32 v94, 16, v94
	s_waitcnt lgkmcnt(0)
	v_xor_b32_e32 v103, 0x80000000, v98
	v_cndmask_b32_e32 v100, v118, v99, vcc
	v_cmp_gt_f64_e32 vcc, 0, v[119:120]
	v_mov_b32_e32 v99, v117
	v_cndmask_b32_e32 v102, v120, v101, vcc
	v_cmp_gt_f64_e32 vcc, 0, v[95:96]
	v_mov_b32_e32 v101, v119
	v_add_f64 v[99:100], v[99:100], v[101:102]
	v_xor_b32_e32 v101, 0x80000000, v96
	v_cndmask_b32_e32 v102, v96, v101, vcc
	v_cmp_gt_f64_e32 vcc, 0, v[97:98]
	v_mov_b32_e32 v101, v95
	v_cndmask_b32_e32 v104, v98, v103, vcc
	v_mov_b32_e32 v103, v97
	v_add_f64 v[101:102], v[101:102], v[103:104]
	v_cmp_lt_f64_e32 vcc, v[99:100], v[101:102]
	v_cndmask_b32_e32 v117, v117, v95, vcc
	v_mov_b32_e32 v95, s0
	s_add_i32 s0, s0, 1
	v_cndmask_b32_e32 v118, v118, v96, vcc
	v_cndmask_b32_e32 v120, v120, v98, vcc
	;; [unrolled: 1-line block ×4, first 2 shown]
	s_cmp_lg_u32 s3, s0
	s_cbranch_scc1 .LBB92_169
.LBB92_170:
	s_waitcnt lgkmcnt(0)
	v_cmp_eq_f64_e32 vcc, 0, v[117:118]
	v_cmp_eq_f64_e64 s[0:1], 0, v[119:120]
	s_and_b64 s[0:1], vcc, s[0:1]
	s_and_saveexec_b64 s[18:19], s[0:1]
	s_xor_b64 s[0:1], exec, s[18:19]
; %bb.171:
	v_cmp_ne_u32_e32 vcc, 0, v91
	v_cndmask_b32_e32 v91, 9, v91, vcc
; %bb.172:
	s_andn2_saveexec_b64 s[0:1], s[0:1]
	s_cbranch_execz .LBB92_178
; %bb.173:
	v_cmp_ngt_f64_e64 s[18:19], |v[117:118]|, |v[119:120]|
	s_and_saveexec_b64 s[20:21], s[18:19]
	s_xor_b64 s[18:19], exec, s[20:21]
	s_cbranch_execz .LBB92_175
; %bb.174:
	v_div_scale_f64 v[94:95], s[20:21], v[119:120], v[119:120], v[117:118]
	v_rcp_f64_e32 v[96:97], v[94:95]
	v_fma_f64 v[98:99], -v[94:95], v[96:97], 1.0
	v_fma_f64 v[96:97], v[96:97], v[98:99], v[96:97]
	v_div_scale_f64 v[98:99], vcc, v[117:118], v[119:120], v[117:118]
	v_fma_f64 v[100:101], -v[94:95], v[96:97], 1.0
	v_fma_f64 v[96:97], v[96:97], v[100:101], v[96:97]
	v_mul_f64 v[100:101], v[98:99], v[96:97]
	v_fma_f64 v[94:95], -v[94:95], v[100:101], v[98:99]
	v_div_fmas_f64 v[94:95], v[94:95], v[96:97], v[100:101]
	v_div_fixup_f64 v[94:95], v[94:95], v[119:120], v[117:118]
	v_fma_f64 v[96:97], v[117:118], v[94:95], v[119:120]
	v_div_scale_f64 v[98:99], s[20:21], v[96:97], v[96:97], 1.0
	v_div_scale_f64 v[104:105], vcc, 1.0, v[96:97], 1.0
	v_rcp_f64_e32 v[100:101], v[98:99]
	v_fma_f64 v[102:103], -v[98:99], v[100:101], 1.0
	v_fma_f64 v[100:101], v[100:101], v[102:103], v[100:101]
	v_fma_f64 v[102:103], -v[98:99], v[100:101], 1.0
	v_fma_f64 v[100:101], v[100:101], v[102:103], v[100:101]
	v_mul_f64 v[102:103], v[104:105], v[100:101]
	v_fma_f64 v[98:99], -v[98:99], v[102:103], v[104:105]
	v_div_fmas_f64 v[98:99], v[98:99], v[100:101], v[102:103]
	v_div_fixup_f64 v[119:120], v[98:99], v[96:97], 1.0
	v_mul_f64 v[117:118], v[94:95], v[119:120]
	v_xor_b32_e32 v120, 0x80000000, v120
.LBB92_175:
	s_andn2_saveexec_b64 s[18:19], s[18:19]
	s_cbranch_execz .LBB92_177
; %bb.176:
	v_div_scale_f64 v[94:95], s[20:21], v[117:118], v[117:118], v[119:120]
	v_rcp_f64_e32 v[96:97], v[94:95]
	v_fma_f64 v[98:99], -v[94:95], v[96:97], 1.0
	v_fma_f64 v[96:97], v[96:97], v[98:99], v[96:97]
	v_div_scale_f64 v[98:99], vcc, v[119:120], v[117:118], v[119:120]
	v_fma_f64 v[100:101], -v[94:95], v[96:97], 1.0
	v_fma_f64 v[96:97], v[96:97], v[100:101], v[96:97]
	v_mul_f64 v[100:101], v[98:99], v[96:97]
	v_fma_f64 v[94:95], -v[94:95], v[100:101], v[98:99]
	v_div_fmas_f64 v[94:95], v[94:95], v[96:97], v[100:101]
	v_div_fixup_f64 v[94:95], v[94:95], v[117:118], v[119:120]
	v_fma_f64 v[96:97], v[119:120], v[94:95], v[117:118]
	v_div_scale_f64 v[98:99], s[20:21], v[96:97], v[96:97], 1.0
	v_div_scale_f64 v[104:105], vcc, 1.0, v[96:97], 1.0
	v_rcp_f64_e32 v[100:101], v[98:99]
	v_fma_f64 v[102:103], -v[98:99], v[100:101], 1.0
	v_fma_f64 v[100:101], v[100:101], v[102:103], v[100:101]
	v_fma_f64 v[102:103], -v[98:99], v[100:101], 1.0
	v_fma_f64 v[100:101], v[100:101], v[102:103], v[100:101]
	v_mul_f64 v[102:103], v[104:105], v[100:101]
	v_fma_f64 v[98:99], -v[98:99], v[102:103], v[104:105]
	v_div_fmas_f64 v[98:99], v[98:99], v[100:101], v[102:103]
	v_div_fixup_f64 v[117:118], v[98:99], v[96:97], 1.0
	v_mul_f64 v[119:120], v[94:95], -v[117:118]
.LBB92_177:
	s_or_b64 exec, exec, s[18:19]
.LBB92_178:
	s_or_b64 exec, exec, s[0:1]
	v_cmp_ne_u32_e32 vcc, v92, v93
	s_and_saveexec_b64 s[0:1], vcc
	s_xor_b64 s[0:1], exec, s[0:1]
	s_cbranch_execz .LBB92_184
; %bb.179:
	v_cmp_eq_u32_e32 vcc, 8, v92
	s_and_saveexec_b64 s[18:19], vcc
	s_cbranch_execz .LBB92_183
; %bb.180:
	v_cmp_ne_u32_e32 vcc, 8, v93
	s_xor_b64 s[20:21], s[6:7], -1
	s_and_b64 s[22:23], s[20:21], vcc
	s_and_saveexec_b64 s[20:21], s[22:23]
	s_cbranch_execz .LBB92_182
; %bb.181:
	v_mov_b32_e32 v81, v85
	v_mov_b32_e32 v82, v86
	;; [unrolled: 1-line block ×4, first 2 shown]
	buffer_load_dword v85, off, s[24:27], 0 offset:336 ; 4-byte Folded Reload
	buffer_load_dword v86, off, s[24:27], 0 offset:340 ; 4-byte Folded Reload
	v_ashrrev_i32_e32 v94, 31, v93
	v_lshlrev_b64 v[94:95], 2, v[93:94]
	s_waitcnt vmcnt(1)
	v_add_co_u32_e32 v94, vcc, v85, v94
	s_waitcnt vmcnt(0)
	v_addc_co_u32_e32 v95, vcc, v86, v95, vcc
	global_load_dword v0, v[94:95], off
	global_load_dword v92, v[85:86], off offset:32
	s_waitcnt vmcnt(1)
	global_store_dword v[85:86], v0, off offset:32
	v_mov_b32_e32 v88, v84
	v_mov_b32_e32 v87, v83
	;; [unrolled: 1-line block ×4, first 2 shown]
	s_waitcnt vmcnt(1)
	global_store_dword v[94:95], v92, off
.LBB92_182:
	s_or_b64 exec, exec, s[20:21]
	v_mov_b32_e32 v92, v93
	v_mov_b32_e32 v0, v93
.LBB92_183:
	s_or_b64 exec, exec, s[18:19]
.LBB92_184:
	s_andn2_saveexec_b64 s[0:1], s[0:1]
	s_cbranch_execz .LBB92_186
; %bb.185:
	buffer_load_dword v81, off, s[24:27], 0 offset:224 ; 4-byte Folded Reload
	buffer_load_dword v82, off, s[24:27], 0 offset:228 ; 4-byte Folded Reload
	;; [unrolled: 1-line block ×4, first 2 shown]
	v_mov_b32_e32 v92, 8
	s_waitcnt vmcnt(0)
	ds_write2_b64 v90, v[81:82], v[83:84] offset0:18 offset1:19
	buffer_load_dword v81, off, s[24:27], 0 offset:208 ; 4-byte Folded Reload
	buffer_load_dword v82, off, s[24:27], 0 offset:212 ; 4-byte Folded Reload
	buffer_load_dword v83, off, s[24:27], 0 offset:216 ; 4-byte Folded Reload
	buffer_load_dword v84, off, s[24:27], 0 offset:220 ; 4-byte Folded Reload
	s_waitcnt vmcnt(0)
	ds_write2_b64 v90, v[81:82], v[83:84] offset0:20 offset1:21
	buffer_load_dword v81, off, s[24:27], 0 offset:192 ; 4-byte Folded Reload
	buffer_load_dword v82, off, s[24:27], 0 offset:196 ; 4-byte Folded Reload
	buffer_load_dword v83, off, s[24:27], 0 offset:200 ; 4-byte Folded Reload
	buffer_load_dword v84, off, s[24:27], 0 offset:204 ; 4-byte Folded Reload
	;; [unrolled: 6-line block ×13, first 2 shown]
	s_waitcnt vmcnt(0)
	ds_write2_b64 v90, v[81:82], v[83:84] offset0:44 offset1:45
	ds_write2_b64 v90, v[85:86], v[87:88] offset0:46 offset1:47
	;; [unrolled: 1-line block ×3, first 2 shown]
	buffer_load_dword v81, off, s[24:27], 0 ; 4-byte Folded Reload
	buffer_load_dword v82, off, s[24:27], 0 offset:4 ; 4-byte Folded Reload
	buffer_load_dword v83, off, s[24:27], 0 offset:8 ; 4-byte Folded Reload
	;; [unrolled: 1-line block ×3, first 2 shown]
	s_waitcnt vmcnt(0)
	ds_write2_b64 v90, v[81:82], v[83:84] offset0:50 offset1:51
	ds_write2_b64 v90, v[77:78], v[79:80] offset0:52 offset1:53
	;; [unrolled: 1-line block ×22, first 2 shown]
.LBB92_186:
	s_or_b64 exec, exec, s[0:1]
	v_cmp_lt_i32_e32 vcc, 8, v92
	s_waitcnt vmcnt(0) lgkmcnt(0)
	s_barrier
	s_and_saveexec_b64 s[0:1], vcc
	s_cbranch_execz .LBB92_188
; %bb.187:
	buffer_load_dword v97, off, s[24:27], 0 offset:240 ; 4-byte Folded Reload
	buffer_load_dword v98, off, s[24:27], 0 offset:244 ; 4-byte Folded Reload
	;; [unrolled: 1-line block ×4, first 2 shown]
	s_waitcnt vmcnt(0)
	v_mul_f64 v[93:94], v[119:120], v[99:100]
	v_fma_f64 v[125:126], v[117:118], v[97:98], -v[93:94]
	v_mul_f64 v[93:94], v[117:118], v[99:100]
	v_fma_f64 v[99:100], v[119:120], v[97:98], v[93:94]
	ds_read2_b64 v[93:96], v90 offset0:18 offset1:19
	buffer_load_dword v81, off, s[24:27], 0 offset:224 ; 4-byte Folded Reload
	buffer_load_dword v82, off, s[24:27], 0 offset:228 ; 4-byte Folded Reload
	buffer_load_dword v83, off, s[24:27], 0 offset:232 ; 4-byte Folded Reload
	buffer_load_dword v84, off, s[24:27], 0 offset:236 ; 4-byte Folded Reload
	s_waitcnt lgkmcnt(0)
	v_mul_f64 v[97:98], v[95:96], v[99:100]
	v_fma_f64 v[97:98], v[93:94], v[125:126], -v[97:98]
	v_mul_f64 v[93:94], v[93:94], v[99:100]
	v_fma_f64 v[93:94], v[95:96], v[125:126], v[93:94]
	s_waitcnt vmcnt(2)
	v_add_f64 v[81:82], v[81:82], -v[97:98]
	s_waitcnt vmcnt(0)
	v_add_f64 v[83:84], v[83:84], -v[93:94]
	buffer_store_dword v81, off, s[24:27], 0 offset:224 ; 4-byte Folded Spill
	s_nop 0
	buffer_store_dword v82, off, s[24:27], 0 offset:228 ; 4-byte Folded Spill
	buffer_store_dword v83, off, s[24:27], 0 offset:232 ; 4-byte Folded Spill
	buffer_store_dword v84, off, s[24:27], 0 offset:236 ; 4-byte Folded Spill
	ds_read2_b64 v[93:96], v90 offset0:20 offset1:21
	buffer_load_dword v81, off, s[24:27], 0 offset:208 ; 4-byte Folded Reload
	buffer_load_dword v82, off, s[24:27], 0 offset:212 ; 4-byte Folded Reload
	buffer_load_dword v83, off, s[24:27], 0 offset:216 ; 4-byte Folded Reload
	buffer_load_dword v84, off, s[24:27], 0 offset:220 ; 4-byte Folded Reload
	s_waitcnt lgkmcnt(0)
	v_mul_f64 v[97:98], v[95:96], v[99:100]
	v_fma_f64 v[97:98], v[93:94], v[125:126], -v[97:98]
	v_mul_f64 v[93:94], v[93:94], v[99:100]
	v_fma_f64 v[93:94], v[95:96], v[125:126], v[93:94]
	s_waitcnt vmcnt(2)
	v_add_f64 v[81:82], v[81:82], -v[97:98]
	s_waitcnt vmcnt(0)
	v_add_f64 v[83:84], v[83:84], -v[93:94]
	buffer_store_dword v81, off, s[24:27], 0 offset:208 ; 4-byte Folded Spill
	s_nop 0
	buffer_store_dword v82, off, s[24:27], 0 offset:212 ; 4-byte Folded Spill
	buffer_store_dword v83, off, s[24:27], 0 offset:216 ; 4-byte Folded Spill
	buffer_store_dword v84, off, s[24:27], 0 offset:220 ; 4-byte Folded Spill
	;; [unrolled: 19-line block ×14, first 2 shown]
	ds_read2_b64 v[93:96], v90 offset0:46 offset1:47
	s_waitcnt lgkmcnt(0)
	v_mul_f64 v[97:98], v[95:96], v[99:100]
	v_fma_f64 v[97:98], v[93:94], v[125:126], -v[97:98]
	v_mul_f64 v[93:94], v[93:94], v[99:100]
	v_add_f64 v[85:86], v[85:86], -v[97:98]
	v_fma_f64 v[93:94], v[95:96], v[125:126], v[93:94]
	v_add_f64 v[87:88], v[87:88], -v[93:94]
	ds_read2_b64 v[93:96], v90 offset0:48 offset1:49
	s_waitcnt lgkmcnt(0)
	v_mul_f64 v[97:98], v[95:96], v[99:100]
	v_fma_f64 v[97:98], v[93:94], v[125:126], -v[97:98]
	v_mul_f64 v[93:94], v[93:94], v[99:100]
	v_add_f64 v[111:112], v[111:112], -v[97:98]
	v_fma_f64 v[93:94], v[95:96], v[125:126], v[93:94]
	v_add_f64 v[113:114], v[113:114], -v[93:94]
	ds_read2_b64 v[93:96], v90 offset0:50 offset1:51
	buffer_load_dword v81, off, s[24:27], 0 ; 4-byte Folded Reload
	buffer_load_dword v82, off, s[24:27], 0 offset:4 ; 4-byte Folded Reload
	buffer_load_dword v83, off, s[24:27], 0 offset:8 ; 4-byte Folded Reload
	buffer_load_dword v84, off, s[24:27], 0 offset:12 ; 4-byte Folded Reload
	s_waitcnt lgkmcnt(0)
	v_mul_f64 v[97:98], v[95:96], v[99:100]
	v_fma_f64 v[97:98], v[93:94], v[125:126], -v[97:98]
	v_mul_f64 v[93:94], v[93:94], v[99:100]
	v_fma_f64 v[93:94], v[95:96], v[125:126], v[93:94]
	s_waitcnt vmcnt(2)
	v_add_f64 v[81:82], v[81:82], -v[97:98]
	s_waitcnt vmcnt(0)
	v_add_f64 v[83:84], v[83:84], -v[93:94]
	buffer_store_dword v81, off, s[24:27], 0 ; 4-byte Folded Spill
	s_nop 0
	buffer_store_dword v82, off, s[24:27], 0 offset:4 ; 4-byte Folded Spill
	buffer_store_dword v83, off, s[24:27], 0 offset:8 ; 4-byte Folded Spill
	;; [unrolled: 1-line block ×3, first 2 shown]
	ds_read2_b64 v[93:96], v90 offset0:52 offset1:53
	s_waitcnt lgkmcnt(0)
	v_mul_f64 v[97:98], v[95:96], v[99:100]
	v_fma_f64 v[97:98], v[93:94], v[125:126], -v[97:98]
	v_mul_f64 v[93:94], v[93:94], v[99:100]
	v_add_f64 v[77:78], v[77:78], -v[97:98]
	v_fma_f64 v[93:94], v[95:96], v[125:126], v[93:94]
	v_add_f64 v[79:80], v[79:80], -v[93:94]
	ds_read2_b64 v[93:96], v90 offset0:54 offset1:55
	s_waitcnt lgkmcnt(0)
	v_mul_f64 v[97:98], v[95:96], v[99:100]
	v_fma_f64 v[97:98], v[93:94], v[125:126], -v[97:98]
	v_mul_f64 v[93:94], v[93:94], v[99:100]
	v_add_f64 v[73:74], v[73:74], -v[97:98]
	v_fma_f64 v[93:94], v[95:96], v[125:126], v[93:94]
	v_add_f64 v[75:76], v[75:76], -v[93:94]
	;; [unrolled: 8-line block ×20, first 2 shown]
	ds_read2_b64 v[93:96], v90 offset0:92 offset1:93
	s_waitcnt lgkmcnt(0)
	v_mul_f64 v[97:98], v[95:96], v[99:100]
	v_fma_f64 v[97:98], v[93:94], v[125:126], -v[97:98]
	v_mul_f64 v[93:94], v[93:94], v[99:100]
	v_add_f64 v[121:122], v[121:122], -v[97:98]
	v_fma_f64 v[93:94], v[95:96], v[125:126], v[93:94]
	v_mov_b32_e32 v97, v125
	v_mov_b32_e32 v98, v126
	buffer_store_dword v97, off, s[24:27], 0 offset:240 ; 4-byte Folded Spill
	s_nop 0
	buffer_store_dword v98, off, s[24:27], 0 offset:244 ; 4-byte Folded Spill
	buffer_store_dword v99, off, s[24:27], 0 offset:248 ; 4-byte Folded Spill
	;; [unrolled: 1-line block ×3, first 2 shown]
	v_add_f64 v[123:124], v[123:124], -v[93:94]
.LBB92_188:
	s_or_b64 exec, exec, s[0:1]
	s_waitcnt vmcnt(0)
	s_barrier
	buffer_load_dword v81, off, s[24:27], 0 offset:224 ; 4-byte Folded Reload
	buffer_load_dword v82, off, s[24:27], 0 offset:228 ; 4-byte Folded Reload
	;; [unrolled: 1-line block ×4, first 2 shown]
	v_lshl_add_u32 v93, v92, 4, v90
	s_cmp_lt_i32 s3, 11
	s_waitcnt vmcnt(0)
	ds_write2_b64 v93, v[81:82], v[83:84] offset1:1
	s_waitcnt lgkmcnt(0)
	s_barrier
	ds_read2_b64 v[117:120], v90 offset0:18 offset1:19
	v_mov_b32_e32 v93, 9
	s_cbranch_scc1 .LBB92_191
; %bb.189:
	v_add_u32_e32 v94, 0xa0, v90
	s_mov_b32 s0, 10
	v_mov_b32_e32 v93, 9
.LBB92_190:                             ; =>This Inner Loop Header: Depth=1
	s_waitcnt lgkmcnt(0)
	v_cmp_gt_f64_e32 vcc, 0, v[117:118]
	v_xor_b32_e32 v99, 0x80000000, v118
	ds_read2_b64 v[95:98], v94 offset1:1
	v_xor_b32_e32 v101, 0x80000000, v120
	v_add_u32_e32 v94, 16, v94
	s_waitcnt lgkmcnt(0)
	v_xor_b32_e32 v103, 0x80000000, v98
	v_cndmask_b32_e32 v100, v118, v99, vcc
	v_cmp_gt_f64_e32 vcc, 0, v[119:120]
	v_mov_b32_e32 v99, v117
	v_cndmask_b32_e32 v102, v120, v101, vcc
	v_cmp_gt_f64_e32 vcc, 0, v[95:96]
	v_mov_b32_e32 v101, v119
	v_add_f64 v[99:100], v[99:100], v[101:102]
	v_xor_b32_e32 v101, 0x80000000, v96
	v_cndmask_b32_e32 v102, v96, v101, vcc
	v_cmp_gt_f64_e32 vcc, 0, v[97:98]
	v_mov_b32_e32 v101, v95
	v_cndmask_b32_e32 v104, v98, v103, vcc
	v_mov_b32_e32 v103, v97
	v_add_f64 v[101:102], v[101:102], v[103:104]
	v_cmp_lt_f64_e32 vcc, v[99:100], v[101:102]
	v_cndmask_b32_e32 v117, v117, v95, vcc
	v_mov_b32_e32 v95, s0
	s_add_i32 s0, s0, 1
	v_cndmask_b32_e32 v118, v118, v96, vcc
	v_cndmask_b32_e32 v120, v120, v98, vcc
	;; [unrolled: 1-line block ×4, first 2 shown]
	s_cmp_lg_u32 s3, s0
	s_cbranch_scc1 .LBB92_190
.LBB92_191:
	s_waitcnt lgkmcnt(0)
	v_cmp_eq_f64_e32 vcc, 0, v[117:118]
	v_cmp_eq_f64_e64 s[0:1], 0, v[119:120]
	s_and_b64 s[0:1], vcc, s[0:1]
	s_and_saveexec_b64 s[18:19], s[0:1]
	s_xor_b64 s[0:1], exec, s[18:19]
; %bb.192:
	v_cmp_ne_u32_e32 vcc, 0, v91
	v_cndmask_b32_e32 v91, 10, v91, vcc
; %bb.193:
	s_andn2_saveexec_b64 s[0:1], s[0:1]
	s_cbranch_execz .LBB92_199
; %bb.194:
	v_cmp_ngt_f64_e64 s[18:19], |v[117:118]|, |v[119:120]|
	s_and_saveexec_b64 s[20:21], s[18:19]
	s_xor_b64 s[18:19], exec, s[20:21]
	s_cbranch_execz .LBB92_196
; %bb.195:
	v_div_scale_f64 v[94:95], s[20:21], v[119:120], v[119:120], v[117:118]
	v_rcp_f64_e32 v[96:97], v[94:95]
	v_fma_f64 v[98:99], -v[94:95], v[96:97], 1.0
	v_fma_f64 v[96:97], v[96:97], v[98:99], v[96:97]
	v_div_scale_f64 v[98:99], vcc, v[117:118], v[119:120], v[117:118]
	v_fma_f64 v[100:101], -v[94:95], v[96:97], 1.0
	v_fma_f64 v[96:97], v[96:97], v[100:101], v[96:97]
	v_mul_f64 v[100:101], v[98:99], v[96:97]
	v_fma_f64 v[94:95], -v[94:95], v[100:101], v[98:99]
	v_div_fmas_f64 v[94:95], v[94:95], v[96:97], v[100:101]
	v_div_fixup_f64 v[94:95], v[94:95], v[119:120], v[117:118]
	v_fma_f64 v[96:97], v[117:118], v[94:95], v[119:120]
	v_div_scale_f64 v[98:99], s[20:21], v[96:97], v[96:97], 1.0
	v_div_scale_f64 v[104:105], vcc, 1.0, v[96:97], 1.0
	v_rcp_f64_e32 v[100:101], v[98:99]
	v_fma_f64 v[102:103], -v[98:99], v[100:101], 1.0
	v_fma_f64 v[100:101], v[100:101], v[102:103], v[100:101]
	v_fma_f64 v[102:103], -v[98:99], v[100:101], 1.0
	v_fma_f64 v[100:101], v[100:101], v[102:103], v[100:101]
	v_mul_f64 v[102:103], v[104:105], v[100:101]
	v_fma_f64 v[98:99], -v[98:99], v[102:103], v[104:105]
	v_div_fmas_f64 v[98:99], v[98:99], v[100:101], v[102:103]
	v_div_fixup_f64 v[119:120], v[98:99], v[96:97], 1.0
	v_mul_f64 v[117:118], v[94:95], v[119:120]
	v_xor_b32_e32 v120, 0x80000000, v120
.LBB92_196:
	s_andn2_saveexec_b64 s[18:19], s[18:19]
	s_cbranch_execz .LBB92_198
; %bb.197:
	v_div_scale_f64 v[94:95], s[20:21], v[117:118], v[117:118], v[119:120]
	v_rcp_f64_e32 v[96:97], v[94:95]
	v_fma_f64 v[98:99], -v[94:95], v[96:97], 1.0
	v_fma_f64 v[96:97], v[96:97], v[98:99], v[96:97]
	v_div_scale_f64 v[98:99], vcc, v[119:120], v[117:118], v[119:120]
	v_fma_f64 v[100:101], -v[94:95], v[96:97], 1.0
	v_fma_f64 v[96:97], v[96:97], v[100:101], v[96:97]
	v_mul_f64 v[100:101], v[98:99], v[96:97]
	v_fma_f64 v[94:95], -v[94:95], v[100:101], v[98:99]
	v_div_fmas_f64 v[94:95], v[94:95], v[96:97], v[100:101]
	v_div_fixup_f64 v[94:95], v[94:95], v[117:118], v[119:120]
	v_fma_f64 v[96:97], v[119:120], v[94:95], v[117:118]
	v_div_scale_f64 v[98:99], s[20:21], v[96:97], v[96:97], 1.0
	v_div_scale_f64 v[104:105], vcc, 1.0, v[96:97], 1.0
	v_rcp_f64_e32 v[100:101], v[98:99]
	v_fma_f64 v[102:103], -v[98:99], v[100:101], 1.0
	v_fma_f64 v[100:101], v[100:101], v[102:103], v[100:101]
	v_fma_f64 v[102:103], -v[98:99], v[100:101], 1.0
	v_fma_f64 v[100:101], v[100:101], v[102:103], v[100:101]
	v_mul_f64 v[102:103], v[104:105], v[100:101]
	v_fma_f64 v[98:99], -v[98:99], v[102:103], v[104:105]
	v_div_fmas_f64 v[98:99], v[98:99], v[100:101], v[102:103]
	v_div_fixup_f64 v[117:118], v[98:99], v[96:97], 1.0
	v_mul_f64 v[119:120], v[94:95], -v[117:118]
.LBB92_198:
	s_or_b64 exec, exec, s[18:19]
.LBB92_199:
	s_or_b64 exec, exec, s[0:1]
	v_cmp_ne_u32_e32 vcc, v92, v93
	s_and_saveexec_b64 s[0:1], vcc
	s_xor_b64 s[0:1], exec, s[0:1]
	s_cbranch_execz .LBB92_205
; %bb.200:
	v_cmp_eq_u32_e32 vcc, 9, v92
	s_and_saveexec_b64 s[18:19], vcc
	s_cbranch_execz .LBB92_204
; %bb.201:
	v_cmp_ne_u32_e32 vcc, 9, v93
	s_xor_b64 s[20:21], s[6:7], -1
	s_and_b64 s[22:23], s[20:21], vcc
	s_and_saveexec_b64 s[20:21], s[22:23]
	s_cbranch_execz .LBB92_203
; %bb.202:
	v_mov_b32_e32 v81, v85
	v_mov_b32_e32 v82, v86
	;; [unrolled: 1-line block ×4, first 2 shown]
	buffer_load_dword v85, off, s[24:27], 0 offset:336 ; 4-byte Folded Reload
	buffer_load_dword v86, off, s[24:27], 0 offset:340 ; 4-byte Folded Reload
	v_ashrrev_i32_e32 v94, 31, v93
	v_lshlrev_b64 v[94:95], 2, v[93:94]
	s_waitcnt vmcnt(1)
	v_add_co_u32_e32 v94, vcc, v85, v94
	s_waitcnt vmcnt(0)
	v_addc_co_u32_e32 v95, vcc, v86, v95, vcc
	global_load_dword v0, v[94:95], off
	global_load_dword v92, v[85:86], off offset:36
	s_waitcnt vmcnt(1)
	global_store_dword v[85:86], v0, off offset:36
	v_mov_b32_e32 v88, v84
	v_mov_b32_e32 v87, v83
	;; [unrolled: 1-line block ×4, first 2 shown]
	s_waitcnt vmcnt(1)
	global_store_dword v[94:95], v92, off
.LBB92_203:
	s_or_b64 exec, exec, s[20:21]
	v_mov_b32_e32 v92, v93
	v_mov_b32_e32 v0, v93
.LBB92_204:
	s_or_b64 exec, exec, s[18:19]
.LBB92_205:
	s_andn2_saveexec_b64 s[0:1], s[0:1]
	s_cbranch_execz .LBB92_207
; %bb.206:
	buffer_load_dword v81, off, s[24:27], 0 offset:208 ; 4-byte Folded Reload
	buffer_load_dword v82, off, s[24:27], 0 offset:212 ; 4-byte Folded Reload
	;; [unrolled: 1-line block ×4, first 2 shown]
	v_mov_b32_e32 v92, 9
	s_waitcnt vmcnt(0)
	ds_write2_b64 v90, v[81:82], v[83:84] offset0:20 offset1:21
	buffer_load_dword v81, off, s[24:27], 0 offset:192 ; 4-byte Folded Reload
	buffer_load_dword v82, off, s[24:27], 0 offset:196 ; 4-byte Folded Reload
	buffer_load_dword v83, off, s[24:27], 0 offset:200 ; 4-byte Folded Reload
	buffer_load_dword v84, off, s[24:27], 0 offset:204 ; 4-byte Folded Reload
	s_waitcnt vmcnt(0)
	ds_write2_b64 v90, v[81:82], v[83:84] offset0:22 offset1:23
	buffer_load_dword v81, off, s[24:27], 0 offset:176 ; 4-byte Folded Reload
	buffer_load_dword v82, off, s[24:27], 0 offset:180 ; 4-byte Folded Reload
	buffer_load_dword v83, off, s[24:27], 0 offset:184 ; 4-byte Folded Reload
	buffer_load_dword v84, off, s[24:27], 0 offset:188 ; 4-byte Folded Reload
	;; [unrolled: 6-line block ×12, first 2 shown]
	s_waitcnt vmcnt(0)
	ds_write2_b64 v90, v[81:82], v[83:84] offset0:44 offset1:45
	ds_write2_b64 v90, v[85:86], v[87:88] offset0:46 offset1:47
	;; [unrolled: 1-line block ×3, first 2 shown]
	buffer_load_dword v81, off, s[24:27], 0 ; 4-byte Folded Reload
	buffer_load_dword v82, off, s[24:27], 0 offset:4 ; 4-byte Folded Reload
	buffer_load_dword v83, off, s[24:27], 0 offset:8 ; 4-byte Folded Reload
	;; [unrolled: 1-line block ×3, first 2 shown]
	s_waitcnt vmcnt(0)
	ds_write2_b64 v90, v[81:82], v[83:84] offset0:50 offset1:51
	ds_write2_b64 v90, v[77:78], v[79:80] offset0:52 offset1:53
	;; [unrolled: 1-line block ×22, first 2 shown]
.LBB92_207:
	s_or_b64 exec, exec, s[0:1]
	v_cmp_lt_i32_e32 vcc, 9, v92
	s_waitcnt vmcnt(0) lgkmcnt(0)
	s_barrier
	s_and_saveexec_b64 s[0:1], vcc
	s_cbranch_execz .LBB92_209
; %bb.208:
	buffer_load_dword v97, off, s[24:27], 0 offset:224 ; 4-byte Folded Reload
	buffer_load_dword v98, off, s[24:27], 0 offset:228 ; 4-byte Folded Reload
	;; [unrolled: 1-line block ×4, first 2 shown]
	s_waitcnt vmcnt(0)
	v_mul_f64 v[93:94], v[119:120], v[99:100]
	v_fma_f64 v[125:126], v[117:118], v[97:98], -v[93:94]
	v_mul_f64 v[93:94], v[117:118], v[99:100]
	v_fma_f64 v[99:100], v[119:120], v[97:98], v[93:94]
	ds_read2_b64 v[93:96], v90 offset0:20 offset1:21
	buffer_load_dword v81, off, s[24:27], 0 offset:208 ; 4-byte Folded Reload
	buffer_load_dword v82, off, s[24:27], 0 offset:212 ; 4-byte Folded Reload
	buffer_load_dword v83, off, s[24:27], 0 offset:216 ; 4-byte Folded Reload
	buffer_load_dword v84, off, s[24:27], 0 offset:220 ; 4-byte Folded Reload
	s_waitcnt lgkmcnt(0)
	v_mul_f64 v[97:98], v[95:96], v[99:100]
	v_fma_f64 v[97:98], v[93:94], v[125:126], -v[97:98]
	v_mul_f64 v[93:94], v[93:94], v[99:100]
	v_fma_f64 v[93:94], v[95:96], v[125:126], v[93:94]
	s_waitcnt vmcnt(2)
	v_add_f64 v[81:82], v[81:82], -v[97:98]
	s_waitcnt vmcnt(0)
	v_add_f64 v[83:84], v[83:84], -v[93:94]
	buffer_store_dword v81, off, s[24:27], 0 offset:208 ; 4-byte Folded Spill
	s_nop 0
	buffer_store_dword v82, off, s[24:27], 0 offset:212 ; 4-byte Folded Spill
	buffer_store_dword v83, off, s[24:27], 0 offset:216 ; 4-byte Folded Spill
	buffer_store_dword v84, off, s[24:27], 0 offset:220 ; 4-byte Folded Spill
	ds_read2_b64 v[93:96], v90 offset0:22 offset1:23
	buffer_load_dword v81, off, s[24:27], 0 offset:192 ; 4-byte Folded Reload
	buffer_load_dword v82, off, s[24:27], 0 offset:196 ; 4-byte Folded Reload
	buffer_load_dword v83, off, s[24:27], 0 offset:200 ; 4-byte Folded Reload
	buffer_load_dword v84, off, s[24:27], 0 offset:204 ; 4-byte Folded Reload
	s_waitcnt lgkmcnt(0)
	v_mul_f64 v[97:98], v[95:96], v[99:100]
	v_fma_f64 v[97:98], v[93:94], v[125:126], -v[97:98]
	v_mul_f64 v[93:94], v[93:94], v[99:100]
	v_fma_f64 v[93:94], v[95:96], v[125:126], v[93:94]
	s_waitcnt vmcnt(2)
	v_add_f64 v[81:82], v[81:82], -v[97:98]
	s_waitcnt vmcnt(0)
	v_add_f64 v[83:84], v[83:84], -v[93:94]
	buffer_store_dword v81, off, s[24:27], 0 offset:192 ; 4-byte Folded Spill
	s_nop 0
	buffer_store_dword v82, off, s[24:27], 0 offset:196 ; 4-byte Folded Spill
	buffer_store_dword v83, off, s[24:27], 0 offset:200 ; 4-byte Folded Spill
	buffer_store_dword v84, off, s[24:27], 0 offset:204 ; 4-byte Folded Spill
	ds_read2_b64 v[93:96], v90 offset0:24 offset1:25
	buffer_load_dword v81, off, s[24:27], 0 offset:176 ; 4-byte Folded Reload
	buffer_load_dword v82, off, s[24:27], 0 offset:180 ; 4-byte Folded Reload
	buffer_load_dword v83, off, s[24:27], 0 offset:184 ; 4-byte Folded Reload
	buffer_load_dword v84, off, s[24:27], 0 offset:188 ; 4-byte Folded Reload
	s_waitcnt lgkmcnt(0)
	v_mul_f64 v[97:98], v[95:96], v[99:100]
	v_fma_f64 v[97:98], v[93:94], v[125:126], -v[97:98]
	v_mul_f64 v[93:94], v[93:94], v[99:100]
	v_fma_f64 v[93:94], v[95:96], v[125:126], v[93:94]
	s_waitcnt vmcnt(2)
	v_add_f64 v[81:82], v[81:82], -v[97:98]
	s_waitcnt vmcnt(0)
	v_add_f64 v[83:84], v[83:84], -v[93:94]
	buffer_store_dword v81, off, s[24:27], 0 offset:176 ; 4-byte Folded Spill
	s_nop 0
	buffer_store_dword v82, off, s[24:27], 0 offset:180 ; 4-byte Folded Spill
	buffer_store_dword v83, off, s[24:27], 0 offset:184 ; 4-byte Folded Spill
	buffer_store_dword v84, off, s[24:27], 0 offset:188 ; 4-byte Folded Spill
	ds_read2_b64 v[93:96], v90 offset0:26 offset1:27
	buffer_load_dword v81, off, s[24:27], 0 offset:160 ; 4-byte Folded Reload
	buffer_load_dword v82, off, s[24:27], 0 offset:164 ; 4-byte Folded Reload
	buffer_load_dword v83, off, s[24:27], 0 offset:168 ; 4-byte Folded Reload
	buffer_load_dword v84, off, s[24:27], 0 offset:172 ; 4-byte Folded Reload
	s_waitcnt lgkmcnt(0)
	v_mul_f64 v[97:98], v[95:96], v[99:100]
	v_fma_f64 v[97:98], v[93:94], v[125:126], -v[97:98]
	v_mul_f64 v[93:94], v[93:94], v[99:100]
	v_fma_f64 v[93:94], v[95:96], v[125:126], v[93:94]
	s_waitcnt vmcnt(2)
	v_add_f64 v[81:82], v[81:82], -v[97:98]
	s_waitcnt vmcnt(0)
	v_add_f64 v[83:84], v[83:84], -v[93:94]
	buffer_store_dword v81, off, s[24:27], 0 offset:160 ; 4-byte Folded Spill
	s_nop 0
	buffer_store_dword v82, off, s[24:27], 0 offset:164 ; 4-byte Folded Spill
	buffer_store_dword v83, off, s[24:27], 0 offset:168 ; 4-byte Folded Spill
	buffer_store_dword v84, off, s[24:27], 0 offset:172 ; 4-byte Folded Spill
	ds_read2_b64 v[93:96], v90 offset0:28 offset1:29
	buffer_load_dword v81, off, s[24:27], 0 offset:144 ; 4-byte Folded Reload
	buffer_load_dword v82, off, s[24:27], 0 offset:148 ; 4-byte Folded Reload
	buffer_load_dword v83, off, s[24:27], 0 offset:152 ; 4-byte Folded Reload
	buffer_load_dword v84, off, s[24:27], 0 offset:156 ; 4-byte Folded Reload
	s_waitcnt lgkmcnt(0)
	v_mul_f64 v[97:98], v[95:96], v[99:100]
	v_fma_f64 v[97:98], v[93:94], v[125:126], -v[97:98]
	v_mul_f64 v[93:94], v[93:94], v[99:100]
	v_fma_f64 v[93:94], v[95:96], v[125:126], v[93:94]
	s_waitcnt vmcnt(2)
	v_add_f64 v[81:82], v[81:82], -v[97:98]
	s_waitcnt vmcnt(0)
	v_add_f64 v[83:84], v[83:84], -v[93:94]
	buffer_store_dword v81, off, s[24:27], 0 offset:144 ; 4-byte Folded Spill
	s_nop 0
	buffer_store_dword v82, off, s[24:27], 0 offset:148 ; 4-byte Folded Spill
	buffer_store_dword v83, off, s[24:27], 0 offset:152 ; 4-byte Folded Spill
	buffer_store_dword v84, off, s[24:27], 0 offset:156 ; 4-byte Folded Spill
	ds_read2_b64 v[93:96], v90 offset0:30 offset1:31
	buffer_load_dword v81, off, s[24:27], 0 offset:128 ; 4-byte Folded Reload
	buffer_load_dword v82, off, s[24:27], 0 offset:132 ; 4-byte Folded Reload
	buffer_load_dword v83, off, s[24:27], 0 offset:136 ; 4-byte Folded Reload
	buffer_load_dword v84, off, s[24:27], 0 offset:140 ; 4-byte Folded Reload
	s_waitcnt lgkmcnt(0)
	v_mul_f64 v[97:98], v[95:96], v[99:100]
	v_fma_f64 v[97:98], v[93:94], v[125:126], -v[97:98]
	v_mul_f64 v[93:94], v[93:94], v[99:100]
	v_fma_f64 v[93:94], v[95:96], v[125:126], v[93:94]
	s_waitcnt vmcnt(2)
	v_add_f64 v[81:82], v[81:82], -v[97:98]
	s_waitcnt vmcnt(0)
	v_add_f64 v[83:84], v[83:84], -v[93:94]
	buffer_store_dword v81, off, s[24:27], 0 offset:128 ; 4-byte Folded Spill
	s_nop 0
	buffer_store_dword v82, off, s[24:27], 0 offset:132 ; 4-byte Folded Spill
	buffer_store_dword v83, off, s[24:27], 0 offset:136 ; 4-byte Folded Spill
	buffer_store_dword v84, off, s[24:27], 0 offset:140 ; 4-byte Folded Spill
	ds_read2_b64 v[93:96], v90 offset0:32 offset1:33
	buffer_load_dword v81, off, s[24:27], 0 offset:112 ; 4-byte Folded Reload
	buffer_load_dword v82, off, s[24:27], 0 offset:116 ; 4-byte Folded Reload
	buffer_load_dword v83, off, s[24:27], 0 offset:120 ; 4-byte Folded Reload
	buffer_load_dword v84, off, s[24:27], 0 offset:124 ; 4-byte Folded Reload
	s_waitcnt lgkmcnt(0)
	v_mul_f64 v[97:98], v[95:96], v[99:100]
	v_fma_f64 v[97:98], v[93:94], v[125:126], -v[97:98]
	v_mul_f64 v[93:94], v[93:94], v[99:100]
	v_fma_f64 v[93:94], v[95:96], v[125:126], v[93:94]
	s_waitcnt vmcnt(2)
	v_add_f64 v[81:82], v[81:82], -v[97:98]
	s_waitcnt vmcnt(0)
	v_add_f64 v[83:84], v[83:84], -v[93:94]
	buffer_store_dword v81, off, s[24:27], 0 offset:112 ; 4-byte Folded Spill
	s_nop 0
	buffer_store_dword v82, off, s[24:27], 0 offset:116 ; 4-byte Folded Spill
	buffer_store_dword v83, off, s[24:27], 0 offset:120 ; 4-byte Folded Spill
	buffer_store_dword v84, off, s[24:27], 0 offset:124 ; 4-byte Folded Spill
	ds_read2_b64 v[93:96], v90 offset0:34 offset1:35
	buffer_load_dword v81, off, s[24:27], 0 offset:96 ; 4-byte Folded Reload
	buffer_load_dword v82, off, s[24:27], 0 offset:100 ; 4-byte Folded Reload
	buffer_load_dword v83, off, s[24:27], 0 offset:104 ; 4-byte Folded Reload
	buffer_load_dword v84, off, s[24:27], 0 offset:108 ; 4-byte Folded Reload
	s_waitcnt lgkmcnt(0)
	v_mul_f64 v[97:98], v[95:96], v[99:100]
	v_fma_f64 v[97:98], v[93:94], v[125:126], -v[97:98]
	v_mul_f64 v[93:94], v[93:94], v[99:100]
	v_fma_f64 v[93:94], v[95:96], v[125:126], v[93:94]
	s_waitcnt vmcnt(2)
	v_add_f64 v[81:82], v[81:82], -v[97:98]
	s_waitcnt vmcnt(0)
	v_add_f64 v[83:84], v[83:84], -v[93:94]
	buffer_store_dword v81, off, s[24:27], 0 offset:96 ; 4-byte Folded Spill
	s_nop 0
	buffer_store_dword v82, off, s[24:27], 0 offset:100 ; 4-byte Folded Spill
	buffer_store_dword v83, off, s[24:27], 0 offset:104 ; 4-byte Folded Spill
	buffer_store_dword v84, off, s[24:27], 0 offset:108 ; 4-byte Folded Spill
	ds_read2_b64 v[93:96], v90 offset0:36 offset1:37
	buffer_load_dword v81, off, s[24:27], 0 offset:80 ; 4-byte Folded Reload
	buffer_load_dword v82, off, s[24:27], 0 offset:84 ; 4-byte Folded Reload
	buffer_load_dword v83, off, s[24:27], 0 offset:88 ; 4-byte Folded Reload
	buffer_load_dword v84, off, s[24:27], 0 offset:92 ; 4-byte Folded Reload
	s_waitcnt lgkmcnt(0)
	v_mul_f64 v[97:98], v[95:96], v[99:100]
	v_fma_f64 v[97:98], v[93:94], v[125:126], -v[97:98]
	v_mul_f64 v[93:94], v[93:94], v[99:100]
	v_fma_f64 v[93:94], v[95:96], v[125:126], v[93:94]
	s_waitcnt vmcnt(2)
	v_add_f64 v[81:82], v[81:82], -v[97:98]
	s_waitcnt vmcnt(0)
	v_add_f64 v[83:84], v[83:84], -v[93:94]
	buffer_store_dword v81, off, s[24:27], 0 offset:80 ; 4-byte Folded Spill
	s_nop 0
	buffer_store_dword v82, off, s[24:27], 0 offset:84 ; 4-byte Folded Spill
	buffer_store_dword v83, off, s[24:27], 0 offset:88 ; 4-byte Folded Spill
	buffer_store_dword v84, off, s[24:27], 0 offset:92 ; 4-byte Folded Spill
	ds_read2_b64 v[93:96], v90 offset0:38 offset1:39
	buffer_load_dword v81, off, s[24:27], 0 offset:64 ; 4-byte Folded Reload
	buffer_load_dword v82, off, s[24:27], 0 offset:68 ; 4-byte Folded Reload
	buffer_load_dword v83, off, s[24:27], 0 offset:72 ; 4-byte Folded Reload
	buffer_load_dword v84, off, s[24:27], 0 offset:76 ; 4-byte Folded Reload
	s_waitcnt lgkmcnt(0)
	v_mul_f64 v[97:98], v[95:96], v[99:100]
	v_fma_f64 v[97:98], v[93:94], v[125:126], -v[97:98]
	v_mul_f64 v[93:94], v[93:94], v[99:100]
	v_fma_f64 v[93:94], v[95:96], v[125:126], v[93:94]
	s_waitcnt vmcnt(2)
	v_add_f64 v[81:82], v[81:82], -v[97:98]
	s_waitcnt vmcnt(0)
	v_add_f64 v[83:84], v[83:84], -v[93:94]
	buffer_store_dword v81, off, s[24:27], 0 offset:64 ; 4-byte Folded Spill
	s_nop 0
	buffer_store_dword v82, off, s[24:27], 0 offset:68 ; 4-byte Folded Spill
	buffer_store_dword v83, off, s[24:27], 0 offset:72 ; 4-byte Folded Spill
	buffer_store_dword v84, off, s[24:27], 0 offset:76 ; 4-byte Folded Spill
	ds_read2_b64 v[93:96], v90 offset0:40 offset1:41
	buffer_load_dword v81, off, s[24:27], 0 offset:48 ; 4-byte Folded Reload
	buffer_load_dword v82, off, s[24:27], 0 offset:52 ; 4-byte Folded Reload
	buffer_load_dword v83, off, s[24:27], 0 offset:56 ; 4-byte Folded Reload
	buffer_load_dword v84, off, s[24:27], 0 offset:60 ; 4-byte Folded Reload
	s_waitcnt lgkmcnt(0)
	v_mul_f64 v[97:98], v[95:96], v[99:100]
	v_fma_f64 v[97:98], v[93:94], v[125:126], -v[97:98]
	v_mul_f64 v[93:94], v[93:94], v[99:100]
	v_fma_f64 v[93:94], v[95:96], v[125:126], v[93:94]
	s_waitcnt vmcnt(2)
	v_add_f64 v[81:82], v[81:82], -v[97:98]
	s_waitcnt vmcnt(0)
	v_add_f64 v[83:84], v[83:84], -v[93:94]
	buffer_store_dword v81, off, s[24:27], 0 offset:48 ; 4-byte Folded Spill
	s_nop 0
	buffer_store_dword v82, off, s[24:27], 0 offset:52 ; 4-byte Folded Spill
	buffer_store_dword v83, off, s[24:27], 0 offset:56 ; 4-byte Folded Spill
	buffer_store_dword v84, off, s[24:27], 0 offset:60 ; 4-byte Folded Spill
	ds_read2_b64 v[93:96], v90 offset0:42 offset1:43
	buffer_load_dword v81, off, s[24:27], 0 offset:32 ; 4-byte Folded Reload
	buffer_load_dword v82, off, s[24:27], 0 offset:36 ; 4-byte Folded Reload
	buffer_load_dword v83, off, s[24:27], 0 offset:40 ; 4-byte Folded Reload
	buffer_load_dword v84, off, s[24:27], 0 offset:44 ; 4-byte Folded Reload
	s_waitcnt lgkmcnt(0)
	v_mul_f64 v[97:98], v[95:96], v[99:100]
	v_fma_f64 v[97:98], v[93:94], v[125:126], -v[97:98]
	v_mul_f64 v[93:94], v[93:94], v[99:100]
	v_fma_f64 v[93:94], v[95:96], v[125:126], v[93:94]
	s_waitcnt vmcnt(2)
	v_add_f64 v[81:82], v[81:82], -v[97:98]
	s_waitcnt vmcnt(0)
	v_add_f64 v[83:84], v[83:84], -v[93:94]
	buffer_store_dword v81, off, s[24:27], 0 offset:32 ; 4-byte Folded Spill
	s_nop 0
	buffer_store_dword v82, off, s[24:27], 0 offset:36 ; 4-byte Folded Spill
	buffer_store_dword v83, off, s[24:27], 0 offset:40 ; 4-byte Folded Spill
	buffer_store_dword v84, off, s[24:27], 0 offset:44 ; 4-byte Folded Spill
	ds_read2_b64 v[93:96], v90 offset0:44 offset1:45
	buffer_load_dword v81, off, s[24:27], 0 offset:16 ; 4-byte Folded Reload
	buffer_load_dword v82, off, s[24:27], 0 offset:20 ; 4-byte Folded Reload
	buffer_load_dword v83, off, s[24:27], 0 offset:24 ; 4-byte Folded Reload
	buffer_load_dword v84, off, s[24:27], 0 offset:28 ; 4-byte Folded Reload
	s_waitcnt lgkmcnt(0)
	v_mul_f64 v[97:98], v[95:96], v[99:100]
	v_fma_f64 v[97:98], v[93:94], v[125:126], -v[97:98]
	v_mul_f64 v[93:94], v[93:94], v[99:100]
	v_fma_f64 v[93:94], v[95:96], v[125:126], v[93:94]
	s_waitcnt vmcnt(2)
	v_add_f64 v[81:82], v[81:82], -v[97:98]
	s_waitcnt vmcnt(0)
	v_add_f64 v[83:84], v[83:84], -v[93:94]
	buffer_store_dword v81, off, s[24:27], 0 offset:16 ; 4-byte Folded Spill
	s_nop 0
	buffer_store_dword v82, off, s[24:27], 0 offset:20 ; 4-byte Folded Spill
	buffer_store_dword v83, off, s[24:27], 0 offset:24 ; 4-byte Folded Spill
	buffer_store_dword v84, off, s[24:27], 0 offset:28 ; 4-byte Folded Spill
	ds_read2_b64 v[93:96], v90 offset0:46 offset1:47
	s_waitcnt lgkmcnt(0)
	v_mul_f64 v[97:98], v[95:96], v[99:100]
	v_fma_f64 v[97:98], v[93:94], v[125:126], -v[97:98]
	v_mul_f64 v[93:94], v[93:94], v[99:100]
	v_add_f64 v[85:86], v[85:86], -v[97:98]
	v_fma_f64 v[93:94], v[95:96], v[125:126], v[93:94]
	v_add_f64 v[87:88], v[87:88], -v[93:94]
	ds_read2_b64 v[93:96], v90 offset0:48 offset1:49
	s_waitcnt lgkmcnt(0)
	v_mul_f64 v[97:98], v[95:96], v[99:100]
	v_fma_f64 v[97:98], v[93:94], v[125:126], -v[97:98]
	v_mul_f64 v[93:94], v[93:94], v[99:100]
	v_add_f64 v[111:112], v[111:112], -v[97:98]
	v_fma_f64 v[93:94], v[95:96], v[125:126], v[93:94]
	v_add_f64 v[113:114], v[113:114], -v[93:94]
	ds_read2_b64 v[93:96], v90 offset0:50 offset1:51
	buffer_load_dword v81, off, s[24:27], 0 ; 4-byte Folded Reload
	buffer_load_dword v82, off, s[24:27], 0 offset:4 ; 4-byte Folded Reload
	buffer_load_dword v83, off, s[24:27], 0 offset:8 ; 4-byte Folded Reload
	;; [unrolled: 1-line block ×3, first 2 shown]
	s_waitcnt lgkmcnt(0)
	v_mul_f64 v[97:98], v[95:96], v[99:100]
	v_fma_f64 v[97:98], v[93:94], v[125:126], -v[97:98]
	v_mul_f64 v[93:94], v[93:94], v[99:100]
	v_fma_f64 v[93:94], v[95:96], v[125:126], v[93:94]
	s_waitcnt vmcnt(2)
	v_add_f64 v[81:82], v[81:82], -v[97:98]
	s_waitcnt vmcnt(0)
	v_add_f64 v[83:84], v[83:84], -v[93:94]
	buffer_store_dword v81, off, s[24:27], 0 ; 4-byte Folded Spill
	s_nop 0
	buffer_store_dword v82, off, s[24:27], 0 offset:4 ; 4-byte Folded Spill
	buffer_store_dword v83, off, s[24:27], 0 offset:8 ; 4-byte Folded Spill
	;; [unrolled: 1-line block ×3, first 2 shown]
	ds_read2_b64 v[93:96], v90 offset0:52 offset1:53
	s_waitcnt lgkmcnt(0)
	v_mul_f64 v[97:98], v[95:96], v[99:100]
	v_fma_f64 v[97:98], v[93:94], v[125:126], -v[97:98]
	v_mul_f64 v[93:94], v[93:94], v[99:100]
	v_add_f64 v[77:78], v[77:78], -v[97:98]
	v_fma_f64 v[93:94], v[95:96], v[125:126], v[93:94]
	v_add_f64 v[79:80], v[79:80], -v[93:94]
	ds_read2_b64 v[93:96], v90 offset0:54 offset1:55
	s_waitcnt lgkmcnt(0)
	v_mul_f64 v[97:98], v[95:96], v[99:100]
	v_fma_f64 v[97:98], v[93:94], v[125:126], -v[97:98]
	v_mul_f64 v[93:94], v[93:94], v[99:100]
	v_add_f64 v[73:74], v[73:74], -v[97:98]
	v_fma_f64 v[93:94], v[95:96], v[125:126], v[93:94]
	v_add_f64 v[75:76], v[75:76], -v[93:94]
	;; [unrolled: 8-line block ×20, first 2 shown]
	ds_read2_b64 v[93:96], v90 offset0:92 offset1:93
	s_waitcnt lgkmcnt(0)
	v_mul_f64 v[97:98], v[95:96], v[99:100]
	v_fma_f64 v[97:98], v[93:94], v[125:126], -v[97:98]
	v_mul_f64 v[93:94], v[93:94], v[99:100]
	v_add_f64 v[121:122], v[121:122], -v[97:98]
	v_fma_f64 v[93:94], v[95:96], v[125:126], v[93:94]
	v_mov_b32_e32 v97, v125
	v_mov_b32_e32 v98, v126
	buffer_store_dword v97, off, s[24:27], 0 offset:224 ; 4-byte Folded Spill
	s_nop 0
	buffer_store_dword v98, off, s[24:27], 0 offset:228 ; 4-byte Folded Spill
	buffer_store_dword v99, off, s[24:27], 0 offset:232 ; 4-byte Folded Spill
	;; [unrolled: 1-line block ×3, first 2 shown]
	v_add_f64 v[123:124], v[123:124], -v[93:94]
.LBB92_209:
	s_or_b64 exec, exec, s[0:1]
	s_waitcnt vmcnt(0)
	s_barrier
	buffer_load_dword v81, off, s[24:27], 0 offset:208 ; 4-byte Folded Reload
	buffer_load_dword v82, off, s[24:27], 0 offset:212 ; 4-byte Folded Reload
	;; [unrolled: 1-line block ×4, first 2 shown]
	v_lshl_add_u32 v93, v92, 4, v90
	s_cmp_lt_i32 s3, 12
	s_waitcnt vmcnt(0)
	ds_write2_b64 v93, v[81:82], v[83:84] offset1:1
	s_waitcnt lgkmcnt(0)
	s_barrier
	ds_read2_b64 v[117:120], v90 offset0:20 offset1:21
	v_mov_b32_e32 v93, 10
	s_cbranch_scc1 .LBB92_212
; %bb.210:
	v_add_u32_e32 v94, 0xb0, v90
	s_mov_b32 s0, 11
	v_mov_b32_e32 v93, 10
.LBB92_211:                             ; =>This Inner Loop Header: Depth=1
	s_waitcnt lgkmcnt(0)
	v_cmp_gt_f64_e32 vcc, 0, v[117:118]
	v_xor_b32_e32 v99, 0x80000000, v118
	ds_read2_b64 v[95:98], v94 offset1:1
	v_xor_b32_e32 v101, 0x80000000, v120
	v_add_u32_e32 v94, 16, v94
	s_waitcnt lgkmcnt(0)
	v_xor_b32_e32 v103, 0x80000000, v98
	v_cndmask_b32_e32 v100, v118, v99, vcc
	v_cmp_gt_f64_e32 vcc, 0, v[119:120]
	v_mov_b32_e32 v99, v117
	v_cndmask_b32_e32 v102, v120, v101, vcc
	v_cmp_gt_f64_e32 vcc, 0, v[95:96]
	v_mov_b32_e32 v101, v119
	v_add_f64 v[99:100], v[99:100], v[101:102]
	v_xor_b32_e32 v101, 0x80000000, v96
	v_cndmask_b32_e32 v102, v96, v101, vcc
	v_cmp_gt_f64_e32 vcc, 0, v[97:98]
	v_mov_b32_e32 v101, v95
	v_cndmask_b32_e32 v104, v98, v103, vcc
	v_mov_b32_e32 v103, v97
	v_add_f64 v[101:102], v[101:102], v[103:104]
	v_cmp_lt_f64_e32 vcc, v[99:100], v[101:102]
	v_cndmask_b32_e32 v117, v117, v95, vcc
	v_mov_b32_e32 v95, s0
	s_add_i32 s0, s0, 1
	v_cndmask_b32_e32 v118, v118, v96, vcc
	v_cndmask_b32_e32 v120, v120, v98, vcc
	;; [unrolled: 1-line block ×4, first 2 shown]
	s_cmp_lg_u32 s3, s0
	s_cbranch_scc1 .LBB92_211
.LBB92_212:
	s_waitcnt lgkmcnt(0)
	v_cmp_eq_f64_e32 vcc, 0, v[117:118]
	v_cmp_eq_f64_e64 s[0:1], 0, v[119:120]
	s_and_b64 s[0:1], vcc, s[0:1]
	s_and_saveexec_b64 s[18:19], s[0:1]
	s_xor_b64 s[0:1], exec, s[18:19]
; %bb.213:
	v_cmp_ne_u32_e32 vcc, 0, v91
	v_cndmask_b32_e32 v91, 11, v91, vcc
; %bb.214:
	s_andn2_saveexec_b64 s[0:1], s[0:1]
	s_cbranch_execz .LBB92_220
; %bb.215:
	v_cmp_ngt_f64_e64 s[18:19], |v[117:118]|, |v[119:120]|
	s_and_saveexec_b64 s[20:21], s[18:19]
	s_xor_b64 s[18:19], exec, s[20:21]
	s_cbranch_execz .LBB92_217
; %bb.216:
	v_div_scale_f64 v[94:95], s[20:21], v[119:120], v[119:120], v[117:118]
	v_rcp_f64_e32 v[96:97], v[94:95]
	v_fma_f64 v[98:99], -v[94:95], v[96:97], 1.0
	v_fma_f64 v[96:97], v[96:97], v[98:99], v[96:97]
	v_div_scale_f64 v[98:99], vcc, v[117:118], v[119:120], v[117:118]
	v_fma_f64 v[100:101], -v[94:95], v[96:97], 1.0
	v_fma_f64 v[96:97], v[96:97], v[100:101], v[96:97]
	v_mul_f64 v[100:101], v[98:99], v[96:97]
	v_fma_f64 v[94:95], -v[94:95], v[100:101], v[98:99]
	v_div_fmas_f64 v[94:95], v[94:95], v[96:97], v[100:101]
	v_div_fixup_f64 v[94:95], v[94:95], v[119:120], v[117:118]
	v_fma_f64 v[96:97], v[117:118], v[94:95], v[119:120]
	v_div_scale_f64 v[98:99], s[20:21], v[96:97], v[96:97], 1.0
	v_div_scale_f64 v[104:105], vcc, 1.0, v[96:97], 1.0
	v_rcp_f64_e32 v[100:101], v[98:99]
	v_fma_f64 v[102:103], -v[98:99], v[100:101], 1.0
	v_fma_f64 v[100:101], v[100:101], v[102:103], v[100:101]
	v_fma_f64 v[102:103], -v[98:99], v[100:101], 1.0
	v_fma_f64 v[100:101], v[100:101], v[102:103], v[100:101]
	v_mul_f64 v[102:103], v[104:105], v[100:101]
	v_fma_f64 v[98:99], -v[98:99], v[102:103], v[104:105]
	v_div_fmas_f64 v[98:99], v[98:99], v[100:101], v[102:103]
	v_div_fixup_f64 v[119:120], v[98:99], v[96:97], 1.0
	v_mul_f64 v[117:118], v[94:95], v[119:120]
	v_xor_b32_e32 v120, 0x80000000, v120
.LBB92_217:
	s_andn2_saveexec_b64 s[18:19], s[18:19]
	s_cbranch_execz .LBB92_219
; %bb.218:
	v_div_scale_f64 v[94:95], s[20:21], v[117:118], v[117:118], v[119:120]
	v_rcp_f64_e32 v[96:97], v[94:95]
	v_fma_f64 v[98:99], -v[94:95], v[96:97], 1.0
	v_fma_f64 v[96:97], v[96:97], v[98:99], v[96:97]
	v_div_scale_f64 v[98:99], vcc, v[119:120], v[117:118], v[119:120]
	v_fma_f64 v[100:101], -v[94:95], v[96:97], 1.0
	v_fma_f64 v[96:97], v[96:97], v[100:101], v[96:97]
	v_mul_f64 v[100:101], v[98:99], v[96:97]
	v_fma_f64 v[94:95], -v[94:95], v[100:101], v[98:99]
	v_div_fmas_f64 v[94:95], v[94:95], v[96:97], v[100:101]
	v_div_fixup_f64 v[94:95], v[94:95], v[117:118], v[119:120]
	v_fma_f64 v[96:97], v[119:120], v[94:95], v[117:118]
	v_div_scale_f64 v[98:99], s[20:21], v[96:97], v[96:97], 1.0
	v_div_scale_f64 v[104:105], vcc, 1.0, v[96:97], 1.0
	v_rcp_f64_e32 v[100:101], v[98:99]
	v_fma_f64 v[102:103], -v[98:99], v[100:101], 1.0
	v_fma_f64 v[100:101], v[100:101], v[102:103], v[100:101]
	v_fma_f64 v[102:103], -v[98:99], v[100:101], 1.0
	v_fma_f64 v[100:101], v[100:101], v[102:103], v[100:101]
	v_mul_f64 v[102:103], v[104:105], v[100:101]
	v_fma_f64 v[98:99], -v[98:99], v[102:103], v[104:105]
	v_div_fmas_f64 v[98:99], v[98:99], v[100:101], v[102:103]
	v_div_fixup_f64 v[117:118], v[98:99], v[96:97], 1.0
	v_mul_f64 v[119:120], v[94:95], -v[117:118]
.LBB92_219:
	s_or_b64 exec, exec, s[18:19]
.LBB92_220:
	s_or_b64 exec, exec, s[0:1]
	v_cmp_ne_u32_e32 vcc, v92, v93
	s_and_saveexec_b64 s[0:1], vcc
	s_xor_b64 s[0:1], exec, s[0:1]
	s_cbranch_execz .LBB92_226
; %bb.221:
	v_cmp_eq_u32_e32 vcc, 10, v92
	s_and_saveexec_b64 s[18:19], vcc
	s_cbranch_execz .LBB92_225
; %bb.222:
	v_cmp_ne_u32_e32 vcc, 10, v93
	s_xor_b64 s[20:21], s[6:7], -1
	s_and_b64 s[22:23], s[20:21], vcc
	s_and_saveexec_b64 s[20:21], s[22:23]
	s_cbranch_execz .LBB92_224
; %bb.223:
	v_mov_b32_e32 v81, v85
	v_mov_b32_e32 v82, v86
	;; [unrolled: 1-line block ×4, first 2 shown]
	buffer_load_dword v85, off, s[24:27], 0 offset:336 ; 4-byte Folded Reload
	buffer_load_dword v86, off, s[24:27], 0 offset:340 ; 4-byte Folded Reload
	v_ashrrev_i32_e32 v94, 31, v93
	v_lshlrev_b64 v[94:95], 2, v[93:94]
	s_waitcnt vmcnt(1)
	v_add_co_u32_e32 v94, vcc, v85, v94
	s_waitcnt vmcnt(0)
	v_addc_co_u32_e32 v95, vcc, v86, v95, vcc
	global_load_dword v0, v[94:95], off
	global_load_dword v92, v[85:86], off offset:40
	s_waitcnt vmcnt(1)
	global_store_dword v[85:86], v0, off offset:40
	v_mov_b32_e32 v88, v84
	v_mov_b32_e32 v87, v83
	;; [unrolled: 1-line block ×4, first 2 shown]
	s_waitcnt vmcnt(1)
	global_store_dword v[94:95], v92, off
.LBB92_224:
	s_or_b64 exec, exec, s[20:21]
	v_mov_b32_e32 v92, v93
	v_mov_b32_e32 v0, v93
.LBB92_225:
	s_or_b64 exec, exec, s[18:19]
.LBB92_226:
	s_andn2_saveexec_b64 s[0:1], s[0:1]
	s_cbranch_execz .LBB92_228
; %bb.227:
	buffer_load_dword v81, off, s[24:27], 0 offset:192 ; 4-byte Folded Reload
	buffer_load_dword v82, off, s[24:27], 0 offset:196 ; 4-byte Folded Reload
	;; [unrolled: 1-line block ×4, first 2 shown]
	v_mov_b32_e32 v92, 10
	s_waitcnt vmcnt(0)
	ds_write2_b64 v90, v[81:82], v[83:84] offset0:22 offset1:23
	buffer_load_dword v81, off, s[24:27], 0 offset:176 ; 4-byte Folded Reload
	buffer_load_dword v82, off, s[24:27], 0 offset:180 ; 4-byte Folded Reload
	buffer_load_dword v83, off, s[24:27], 0 offset:184 ; 4-byte Folded Reload
	buffer_load_dword v84, off, s[24:27], 0 offset:188 ; 4-byte Folded Reload
	s_waitcnt vmcnt(0)
	ds_write2_b64 v90, v[81:82], v[83:84] offset0:24 offset1:25
	buffer_load_dword v81, off, s[24:27], 0 offset:160 ; 4-byte Folded Reload
	buffer_load_dword v82, off, s[24:27], 0 offset:164 ; 4-byte Folded Reload
	buffer_load_dword v83, off, s[24:27], 0 offset:168 ; 4-byte Folded Reload
	buffer_load_dword v84, off, s[24:27], 0 offset:172 ; 4-byte Folded Reload
	;; [unrolled: 6-line block ×11, first 2 shown]
	s_waitcnt vmcnt(0)
	ds_write2_b64 v90, v[81:82], v[83:84] offset0:44 offset1:45
	ds_write2_b64 v90, v[85:86], v[87:88] offset0:46 offset1:47
	;; [unrolled: 1-line block ×3, first 2 shown]
	buffer_load_dword v81, off, s[24:27], 0 ; 4-byte Folded Reload
	buffer_load_dword v82, off, s[24:27], 0 offset:4 ; 4-byte Folded Reload
	buffer_load_dword v83, off, s[24:27], 0 offset:8 ; 4-byte Folded Reload
	;; [unrolled: 1-line block ×3, first 2 shown]
	s_waitcnt vmcnt(0)
	ds_write2_b64 v90, v[81:82], v[83:84] offset0:50 offset1:51
	ds_write2_b64 v90, v[77:78], v[79:80] offset0:52 offset1:53
	;; [unrolled: 1-line block ×22, first 2 shown]
.LBB92_228:
	s_or_b64 exec, exec, s[0:1]
	v_cmp_lt_i32_e32 vcc, 10, v92
	s_waitcnt vmcnt(0) lgkmcnt(0)
	s_barrier
	s_and_saveexec_b64 s[0:1], vcc
	s_cbranch_execz .LBB92_230
; %bb.229:
	buffer_load_dword v97, off, s[24:27], 0 offset:208 ; 4-byte Folded Reload
	buffer_load_dword v98, off, s[24:27], 0 offset:212 ; 4-byte Folded Reload
	;; [unrolled: 1-line block ×4, first 2 shown]
	s_waitcnt vmcnt(0)
	v_mul_f64 v[93:94], v[119:120], v[99:100]
	v_fma_f64 v[125:126], v[117:118], v[97:98], -v[93:94]
	v_mul_f64 v[93:94], v[117:118], v[99:100]
	v_fma_f64 v[99:100], v[119:120], v[97:98], v[93:94]
	ds_read2_b64 v[93:96], v90 offset0:22 offset1:23
	buffer_load_dword v81, off, s[24:27], 0 offset:192 ; 4-byte Folded Reload
	buffer_load_dword v82, off, s[24:27], 0 offset:196 ; 4-byte Folded Reload
	buffer_load_dword v83, off, s[24:27], 0 offset:200 ; 4-byte Folded Reload
	buffer_load_dword v84, off, s[24:27], 0 offset:204 ; 4-byte Folded Reload
	s_waitcnt lgkmcnt(0)
	v_mul_f64 v[97:98], v[95:96], v[99:100]
	v_fma_f64 v[97:98], v[93:94], v[125:126], -v[97:98]
	v_mul_f64 v[93:94], v[93:94], v[99:100]
	v_fma_f64 v[93:94], v[95:96], v[125:126], v[93:94]
	s_waitcnt vmcnt(2)
	v_add_f64 v[81:82], v[81:82], -v[97:98]
	s_waitcnt vmcnt(0)
	v_add_f64 v[83:84], v[83:84], -v[93:94]
	buffer_store_dword v81, off, s[24:27], 0 offset:192 ; 4-byte Folded Spill
	s_nop 0
	buffer_store_dword v82, off, s[24:27], 0 offset:196 ; 4-byte Folded Spill
	buffer_store_dword v83, off, s[24:27], 0 offset:200 ; 4-byte Folded Spill
	buffer_store_dword v84, off, s[24:27], 0 offset:204 ; 4-byte Folded Spill
	ds_read2_b64 v[93:96], v90 offset0:24 offset1:25
	buffer_load_dword v81, off, s[24:27], 0 offset:176 ; 4-byte Folded Reload
	buffer_load_dword v82, off, s[24:27], 0 offset:180 ; 4-byte Folded Reload
	buffer_load_dword v83, off, s[24:27], 0 offset:184 ; 4-byte Folded Reload
	buffer_load_dword v84, off, s[24:27], 0 offset:188 ; 4-byte Folded Reload
	s_waitcnt lgkmcnt(0)
	v_mul_f64 v[97:98], v[95:96], v[99:100]
	v_fma_f64 v[97:98], v[93:94], v[125:126], -v[97:98]
	v_mul_f64 v[93:94], v[93:94], v[99:100]
	v_fma_f64 v[93:94], v[95:96], v[125:126], v[93:94]
	s_waitcnt vmcnt(2)
	v_add_f64 v[81:82], v[81:82], -v[97:98]
	s_waitcnt vmcnt(0)
	v_add_f64 v[83:84], v[83:84], -v[93:94]
	buffer_store_dword v81, off, s[24:27], 0 offset:176 ; 4-byte Folded Spill
	s_nop 0
	buffer_store_dword v82, off, s[24:27], 0 offset:180 ; 4-byte Folded Spill
	buffer_store_dword v83, off, s[24:27], 0 offset:184 ; 4-byte Folded Spill
	buffer_store_dword v84, off, s[24:27], 0 offset:188 ; 4-byte Folded Spill
	;; [unrolled: 19-line block ×12, first 2 shown]
	ds_read2_b64 v[93:96], v90 offset0:46 offset1:47
	s_waitcnt lgkmcnt(0)
	v_mul_f64 v[97:98], v[95:96], v[99:100]
	v_fma_f64 v[97:98], v[93:94], v[125:126], -v[97:98]
	v_mul_f64 v[93:94], v[93:94], v[99:100]
	v_add_f64 v[85:86], v[85:86], -v[97:98]
	v_fma_f64 v[93:94], v[95:96], v[125:126], v[93:94]
	v_add_f64 v[87:88], v[87:88], -v[93:94]
	ds_read2_b64 v[93:96], v90 offset0:48 offset1:49
	s_waitcnt lgkmcnt(0)
	v_mul_f64 v[97:98], v[95:96], v[99:100]
	v_fma_f64 v[97:98], v[93:94], v[125:126], -v[97:98]
	v_mul_f64 v[93:94], v[93:94], v[99:100]
	v_add_f64 v[111:112], v[111:112], -v[97:98]
	v_fma_f64 v[93:94], v[95:96], v[125:126], v[93:94]
	v_add_f64 v[113:114], v[113:114], -v[93:94]
	ds_read2_b64 v[93:96], v90 offset0:50 offset1:51
	buffer_load_dword v81, off, s[24:27], 0 ; 4-byte Folded Reload
	buffer_load_dword v82, off, s[24:27], 0 offset:4 ; 4-byte Folded Reload
	buffer_load_dword v83, off, s[24:27], 0 offset:8 ; 4-byte Folded Reload
	;; [unrolled: 1-line block ×3, first 2 shown]
	s_waitcnt lgkmcnt(0)
	v_mul_f64 v[97:98], v[95:96], v[99:100]
	v_fma_f64 v[97:98], v[93:94], v[125:126], -v[97:98]
	v_mul_f64 v[93:94], v[93:94], v[99:100]
	v_fma_f64 v[93:94], v[95:96], v[125:126], v[93:94]
	s_waitcnt vmcnt(2)
	v_add_f64 v[81:82], v[81:82], -v[97:98]
	s_waitcnt vmcnt(0)
	v_add_f64 v[83:84], v[83:84], -v[93:94]
	buffer_store_dword v81, off, s[24:27], 0 ; 4-byte Folded Spill
	s_nop 0
	buffer_store_dword v82, off, s[24:27], 0 offset:4 ; 4-byte Folded Spill
	buffer_store_dword v83, off, s[24:27], 0 offset:8 ; 4-byte Folded Spill
	buffer_store_dword v84, off, s[24:27], 0 offset:12 ; 4-byte Folded Spill
	ds_read2_b64 v[93:96], v90 offset0:52 offset1:53
	s_waitcnt lgkmcnt(0)
	v_mul_f64 v[97:98], v[95:96], v[99:100]
	v_fma_f64 v[97:98], v[93:94], v[125:126], -v[97:98]
	v_mul_f64 v[93:94], v[93:94], v[99:100]
	v_add_f64 v[77:78], v[77:78], -v[97:98]
	v_fma_f64 v[93:94], v[95:96], v[125:126], v[93:94]
	v_add_f64 v[79:80], v[79:80], -v[93:94]
	ds_read2_b64 v[93:96], v90 offset0:54 offset1:55
	s_waitcnt lgkmcnt(0)
	v_mul_f64 v[97:98], v[95:96], v[99:100]
	v_fma_f64 v[97:98], v[93:94], v[125:126], -v[97:98]
	v_mul_f64 v[93:94], v[93:94], v[99:100]
	v_add_f64 v[73:74], v[73:74], -v[97:98]
	v_fma_f64 v[93:94], v[95:96], v[125:126], v[93:94]
	v_add_f64 v[75:76], v[75:76], -v[93:94]
	;; [unrolled: 8-line block ×20, first 2 shown]
	ds_read2_b64 v[93:96], v90 offset0:92 offset1:93
	s_waitcnt lgkmcnt(0)
	v_mul_f64 v[97:98], v[95:96], v[99:100]
	v_fma_f64 v[97:98], v[93:94], v[125:126], -v[97:98]
	v_mul_f64 v[93:94], v[93:94], v[99:100]
	v_add_f64 v[121:122], v[121:122], -v[97:98]
	v_fma_f64 v[93:94], v[95:96], v[125:126], v[93:94]
	v_mov_b32_e32 v97, v125
	v_mov_b32_e32 v98, v126
	buffer_store_dword v97, off, s[24:27], 0 offset:208 ; 4-byte Folded Spill
	s_nop 0
	buffer_store_dword v98, off, s[24:27], 0 offset:212 ; 4-byte Folded Spill
	buffer_store_dword v99, off, s[24:27], 0 offset:216 ; 4-byte Folded Spill
	;; [unrolled: 1-line block ×3, first 2 shown]
	v_add_f64 v[123:124], v[123:124], -v[93:94]
.LBB92_230:
	s_or_b64 exec, exec, s[0:1]
	s_waitcnt vmcnt(0)
	s_barrier
	buffer_load_dword v81, off, s[24:27], 0 offset:192 ; 4-byte Folded Reload
	buffer_load_dword v82, off, s[24:27], 0 offset:196 ; 4-byte Folded Reload
	;; [unrolled: 1-line block ×4, first 2 shown]
	v_lshl_add_u32 v93, v92, 4, v90
	s_cmp_lt_i32 s3, 13
	s_waitcnt vmcnt(0)
	ds_write2_b64 v93, v[81:82], v[83:84] offset1:1
	s_waitcnt lgkmcnt(0)
	s_barrier
	ds_read2_b64 v[117:120], v90 offset0:22 offset1:23
	v_mov_b32_e32 v93, 11
	s_cbranch_scc1 .LBB92_233
; %bb.231:
	v_add_u32_e32 v94, 0xc0, v90
	s_mov_b32 s0, 12
	v_mov_b32_e32 v93, 11
.LBB92_232:                             ; =>This Inner Loop Header: Depth=1
	s_waitcnt lgkmcnt(0)
	v_cmp_gt_f64_e32 vcc, 0, v[117:118]
	v_xor_b32_e32 v99, 0x80000000, v118
	ds_read2_b64 v[95:98], v94 offset1:1
	v_xor_b32_e32 v101, 0x80000000, v120
	v_add_u32_e32 v94, 16, v94
	s_waitcnt lgkmcnt(0)
	v_xor_b32_e32 v103, 0x80000000, v98
	v_cndmask_b32_e32 v100, v118, v99, vcc
	v_cmp_gt_f64_e32 vcc, 0, v[119:120]
	v_mov_b32_e32 v99, v117
	v_cndmask_b32_e32 v102, v120, v101, vcc
	v_cmp_gt_f64_e32 vcc, 0, v[95:96]
	v_mov_b32_e32 v101, v119
	v_add_f64 v[99:100], v[99:100], v[101:102]
	v_xor_b32_e32 v101, 0x80000000, v96
	v_cndmask_b32_e32 v102, v96, v101, vcc
	v_cmp_gt_f64_e32 vcc, 0, v[97:98]
	v_mov_b32_e32 v101, v95
	v_cndmask_b32_e32 v104, v98, v103, vcc
	v_mov_b32_e32 v103, v97
	v_add_f64 v[101:102], v[101:102], v[103:104]
	v_cmp_lt_f64_e32 vcc, v[99:100], v[101:102]
	v_cndmask_b32_e32 v117, v117, v95, vcc
	v_mov_b32_e32 v95, s0
	s_add_i32 s0, s0, 1
	v_cndmask_b32_e32 v118, v118, v96, vcc
	v_cndmask_b32_e32 v120, v120, v98, vcc
	;; [unrolled: 1-line block ×4, first 2 shown]
	s_cmp_lg_u32 s3, s0
	s_cbranch_scc1 .LBB92_232
.LBB92_233:
	s_waitcnt lgkmcnt(0)
	v_cmp_eq_f64_e32 vcc, 0, v[117:118]
	v_cmp_eq_f64_e64 s[0:1], 0, v[119:120]
	s_and_b64 s[0:1], vcc, s[0:1]
	s_and_saveexec_b64 s[18:19], s[0:1]
	s_xor_b64 s[0:1], exec, s[18:19]
; %bb.234:
	v_cmp_ne_u32_e32 vcc, 0, v91
	v_cndmask_b32_e32 v91, 12, v91, vcc
; %bb.235:
	s_andn2_saveexec_b64 s[0:1], s[0:1]
	s_cbranch_execz .LBB92_241
; %bb.236:
	v_cmp_ngt_f64_e64 s[18:19], |v[117:118]|, |v[119:120]|
	s_and_saveexec_b64 s[20:21], s[18:19]
	s_xor_b64 s[18:19], exec, s[20:21]
	s_cbranch_execz .LBB92_238
; %bb.237:
	v_div_scale_f64 v[94:95], s[20:21], v[119:120], v[119:120], v[117:118]
	v_rcp_f64_e32 v[96:97], v[94:95]
	v_fma_f64 v[98:99], -v[94:95], v[96:97], 1.0
	v_fma_f64 v[96:97], v[96:97], v[98:99], v[96:97]
	v_div_scale_f64 v[98:99], vcc, v[117:118], v[119:120], v[117:118]
	v_fma_f64 v[100:101], -v[94:95], v[96:97], 1.0
	v_fma_f64 v[96:97], v[96:97], v[100:101], v[96:97]
	v_mul_f64 v[100:101], v[98:99], v[96:97]
	v_fma_f64 v[94:95], -v[94:95], v[100:101], v[98:99]
	v_div_fmas_f64 v[94:95], v[94:95], v[96:97], v[100:101]
	v_div_fixup_f64 v[94:95], v[94:95], v[119:120], v[117:118]
	v_fma_f64 v[96:97], v[117:118], v[94:95], v[119:120]
	v_div_scale_f64 v[98:99], s[20:21], v[96:97], v[96:97], 1.0
	v_div_scale_f64 v[104:105], vcc, 1.0, v[96:97], 1.0
	v_rcp_f64_e32 v[100:101], v[98:99]
	v_fma_f64 v[102:103], -v[98:99], v[100:101], 1.0
	v_fma_f64 v[100:101], v[100:101], v[102:103], v[100:101]
	v_fma_f64 v[102:103], -v[98:99], v[100:101], 1.0
	v_fma_f64 v[100:101], v[100:101], v[102:103], v[100:101]
	v_mul_f64 v[102:103], v[104:105], v[100:101]
	v_fma_f64 v[98:99], -v[98:99], v[102:103], v[104:105]
	v_div_fmas_f64 v[98:99], v[98:99], v[100:101], v[102:103]
	v_div_fixup_f64 v[119:120], v[98:99], v[96:97], 1.0
	v_mul_f64 v[117:118], v[94:95], v[119:120]
	v_xor_b32_e32 v120, 0x80000000, v120
.LBB92_238:
	s_andn2_saveexec_b64 s[18:19], s[18:19]
	s_cbranch_execz .LBB92_240
; %bb.239:
	v_div_scale_f64 v[94:95], s[20:21], v[117:118], v[117:118], v[119:120]
	v_rcp_f64_e32 v[96:97], v[94:95]
	v_fma_f64 v[98:99], -v[94:95], v[96:97], 1.0
	v_fma_f64 v[96:97], v[96:97], v[98:99], v[96:97]
	v_div_scale_f64 v[98:99], vcc, v[119:120], v[117:118], v[119:120]
	v_fma_f64 v[100:101], -v[94:95], v[96:97], 1.0
	v_fma_f64 v[96:97], v[96:97], v[100:101], v[96:97]
	v_mul_f64 v[100:101], v[98:99], v[96:97]
	v_fma_f64 v[94:95], -v[94:95], v[100:101], v[98:99]
	v_div_fmas_f64 v[94:95], v[94:95], v[96:97], v[100:101]
	v_div_fixup_f64 v[94:95], v[94:95], v[117:118], v[119:120]
	v_fma_f64 v[96:97], v[119:120], v[94:95], v[117:118]
	v_div_scale_f64 v[98:99], s[20:21], v[96:97], v[96:97], 1.0
	v_div_scale_f64 v[104:105], vcc, 1.0, v[96:97], 1.0
	v_rcp_f64_e32 v[100:101], v[98:99]
	v_fma_f64 v[102:103], -v[98:99], v[100:101], 1.0
	v_fma_f64 v[100:101], v[100:101], v[102:103], v[100:101]
	v_fma_f64 v[102:103], -v[98:99], v[100:101], 1.0
	v_fma_f64 v[100:101], v[100:101], v[102:103], v[100:101]
	v_mul_f64 v[102:103], v[104:105], v[100:101]
	v_fma_f64 v[98:99], -v[98:99], v[102:103], v[104:105]
	v_div_fmas_f64 v[98:99], v[98:99], v[100:101], v[102:103]
	v_div_fixup_f64 v[117:118], v[98:99], v[96:97], 1.0
	v_mul_f64 v[119:120], v[94:95], -v[117:118]
.LBB92_240:
	s_or_b64 exec, exec, s[18:19]
.LBB92_241:
	s_or_b64 exec, exec, s[0:1]
	v_cmp_ne_u32_e32 vcc, v92, v93
	s_and_saveexec_b64 s[0:1], vcc
	s_xor_b64 s[0:1], exec, s[0:1]
	s_cbranch_execz .LBB92_247
; %bb.242:
	v_cmp_eq_u32_e32 vcc, 11, v92
	s_and_saveexec_b64 s[18:19], vcc
	s_cbranch_execz .LBB92_246
; %bb.243:
	v_cmp_ne_u32_e32 vcc, 11, v93
	s_xor_b64 s[20:21], s[6:7], -1
	s_and_b64 s[22:23], s[20:21], vcc
	s_and_saveexec_b64 s[20:21], s[22:23]
	s_cbranch_execz .LBB92_245
; %bb.244:
	v_mov_b32_e32 v81, v85
	v_mov_b32_e32 v82, v86
	;; [unrolled: 1-line block ×4, first 2 shown]
	buffer_load_dword v85, off, s[24:27], 0 offset:336 ; 4-byte Folded Reload
	buffer_load_dword v86, off, s[24:27], 0 offset:340 ; 4-byte Folded Reload
	v_ashrrev_i32_e32 v94, 31, v93
	v_lshlrev_b64 v[94:95], 2, v[93:94]
	s_waitcnt vmcnt(1)
	v_add_co_u32_e32 v94, vcc, v85, v94
	s_waitcnt vmcnt(0)
	v_addc_co_u32_e32 v95, vcc, v86, v95, vcc
	global_load_dword v0, v[94:95], off
	global_load_dword v92, v[85:86], off offset:44
	s_waitcnt vmcnt(1)
	global_store_dword v[85:86], v0, off offset:44
	v_mov_b32_e32 v88, v84
	v_mov_b32_e32 v87, v83
	;; [unrolled: 1-line block ×4, first 2 shown]
	s_waitcnt vmcnt(1)
	global_store_dword v[94:95], v92, off
.LBB92_245:
	s_or_b64 exec, exec, s[20:21]
	v_mov_b32_e32 v92, v93
	v_mov_b32_e32 v0, v93
.LBB92_246:
	s_or_b64 exec, exec, s[18:19]
.LBB92_247:
	s_andn2_saveexec_b64 s[0:1], s[0:1]
	s_cbranch_execz .LBB92_249
; %bb.248:
	buffer_load_dword v81, off, s[24:27], 0 offset:176 ; 4-byte Folded Reload
	buffer_load_dword v82, off, s[24:27], 0 offset:180 ; 4-byte Folded Reload
	;; [unrolled: 1-line block ×4, first 2 shown]
	v_mov_b32_e32 v92, 11
	s_waitcnt vmcnt(0)
	ds_write2_b64 v90, v[81:82], v[83:84] offset0:24 offset1:25
	buffer_load_dword v81, off, s[24:27], 0 offset:160 ; 4-byte Folded Reload
	buffer_load_dword v82, off, s[24:27], 0 offset:164 ; 4-byte Folded Reload
	buffer_load_dword v83, off, s[24:27], 0 offset:168 ; 4-byte Folded Reload
	buffer_load_dword v84, off, s[24:27], 0 offset:172 ; 4-byte Folded Reload
	s_waitcnt vmcnt(0)
	ds_write2_b64 v90, v[81:82], v[83:84] offset0:26 offset1:27
	buffer_load_dword v81, off, s[24:27], 0 offset:144 ; 4-byte Folded Reload
	buffer_load_dword v82, off, s[24:27], 0 offset:148 ; 4-byte Folded Reload
	buffer_load_dword v83, off, s[24:27], 0 offset:152 ; 4-byte Folded Reload
	buffer_load_dword v84, off, s[24:27], 0 offset:156 ; 4-byte Folded Reload
	;; [unrolled: 6-line block ×10, first 2 shown]
	s_waitcnt vmcnt(0)
	ds_write2_b64 v90, v[81:82], v[83:84] offset0:44 offset1:45
	ds_write2_b64 v90, v[85:86], v[87:88] offset0:46 offset1:47
	ds_write2_b64 v90, v[111:112], v[113:114] offset0:48 offset1:49
	buffer_load_dword v81, off, s[24:27], 0 ; 4-byte Folded Reload
	buffer_load_dword v82, off, s[24:27], 0 offset:4 ; 4-byte Folded Reload
	buffer_load_dword v83, off, s[24:27], 0 offset:8 ; 4-byte Folded Reload
	;; [unrolled: 1-line block ×3, first 2 shown]
	s_waitcnt vmcnt(0)
	ds_write2_b64 v90, v[81:82], v[83:84] offset0:50 offset1:51
	ds_write2_b64 v90, v[77:78], v[79:80] offset0:52 offset1:53
	;; [unrolled: 1-line block ×22, first 2 shown]
.LBB92_249:
	s_or_b64 exec, exec, s[0:1]
	v_cmp_lt_i32_e32 vcc, 11, v92
	s_waitcnt vmcnt(0) lgkmcnt(0)
	s_barrier
	s_and_saveexec_b64 s[0:1], vcc
	s_cbranch_execz .LBB92_251
; %bb.250:
	buffer_load_dword v97, off, s[24:27], 0 offset:192 ; 4-byte Folded Reload
	buffer_load_dword v98, off, s[24:27], 0 offset:196 ; 4-byte Folded Reload
	;; [unrolled: 1-line block ×4, first 2 shown]
	s_waitcnt vmcnt(0)
	v_mul_f64 v[93:94], v[119:120], v[99:100]
	v_fma_f64 v[125:126], v[117:118], v[97:98], -v[93:94]
	v_mul_f64 v[93:94], v[117:118], v[99:100]
	v_fma_f64 v[99:100], v[119:120], v[97:98], v[93:94]
	ds_read2_b64 v[93:96], v90 offset0:24 offset1:25
	buffer_load_dword v81, off, s[24:27], 0 offset:176 ; 4-byte Folded Reload
	buffer_load_dword v82, off, s[24:27], 0 offset:180 ; 4-byte Folded Reload
	buffer_load_dword v83, off, s[24:27], 0 offset:184 ; 4-byte Folded Reload
	buffer_load_dword v84, off, s[24:27], 0 offset:188 ; 4-byte Folded Reload
	s_waitcnt lgkmcnt(0)
	v_mul_f64 v[97:98], v[95:96], v[99:100]
	v_fma_f64 v[97:98], v[93:94], v[125:126], -v[97:98]
	v_mul_f64 v[93:94], v[93:94], v[99:100]
	v_fma_f64 v[93:94], v[95:96], v[125:126], v[93:94]
	s_waitcnt vmcnt(2)
	v_add_f64 v[81:82], v[81:82], -v[97:98]
	s_waitcnt vmcnt(0)
	v_add_f64 v[83:84], v[83:84], -v[93:94]
	buffer_store_dword v81, off, s[24:27], 0 offset:176 ; 4-byte Folded Spill
	s_nop 0
	buffer_store_dword v82, off, s[24:27], 0 offset:180 ; 4-byte Folded Spill
	buffer_store_dword v83, off, s[24:27], 0 offset:184 ; 4-byte Folded Spill
	buffer_store_dword v84, off, s[24:27], 0 offset:188 ; 4-byte Folded Spill
	ds_read2_b64 v[93:96], v90 offset0:26 offset1:27
	buffer_load_dword v81, off, s[24:27], 0 offset:160 ; 4-byte Folded Reload
	buffer_load_dword v82, off, s[24:27], 0 offset:164 ; 4-byte Folded Reload
	buffer_load_dword v83, off, s[24:27], 0 offset:168 ; 4-byte Folded Reload
	buffer_load_dword v84, off, s[24:27], 0 offset:172 ; 4-byte Folded Reload
	s_waitcnt lgkmcnt(0)
	v_mul_f64 v[97:98], v[95:96], v[99:100]
	v_fma_f64 v[97:98], v[93:94], v[125:126], -v[97:98]
	v_mul_f64 v[93:94], v[93:94], v[99:100]
	v_fma_f64 v[93:94], v[95:96], v[125:126], v[93:94]
	s_waitcnt vmcnt(2)
	v_add_f64 v[81:82], v[81:82], -v[97:98]
	s_waitcnt vmcnt(0)
	v_add_f64 v[83:84], v[83:84], -v[93:94]
	buffer_store_dword v81, off, s[24:27], 0 offset:160 ; 4-byte Folded Spill
	s_nop 0
	buffer_store_dword v82, off, s[24:27], 0 offset:164 ; 4-byte Folded Spill
	buffer_store_dword v83, off, s[24:27], 0 offset:168 ; 4-byte Folded Spill
	buffer_store_dword v84, off, s[24:27], 0 offset:172 ; 4-byte Folded Spill
	ds_read2_b64 v[93:96], v90 offset0:28 offset1:29
	buffer_load_dword v81, off, s[24:27], 0 offset:144 ; 4-byte Folded Reload
	buffer_load_dword v82, off, s[24:27], 0 offset:148 ; 4-byte Folded Reload
	buffer_load_dword v83, off, s[24:27], 0 offset:152 ; 4-byte Folded Reload
	buffer_load_dword v84, off, s[24:27], 0 offset:156 ; 4-byte Folded Reload
	s_waitcnt lgkmcnt(0)
	v_mul_f64 v[97:98], v[95:96], v[99:100]
	v_fma_f64 v[97:98], v[93:94], v[125:126], -v[97:98]
	v_mul_f64 v[93:94], v[93:94], v[99:100]
	v_fma_f64 v[93:94], v[95:96], v[125:126], v[93:94]
	s_waitcnt vmcnt(2)
	v_add_f64 v[81:82], v[81:82], -v[97:98]
	s_waitcnt vmcnt(0)
	v_add_f64 v[83:84], v[83:84], -v[93:94]
	buffer_store_dword v81, off, s[24:27], 0 offset:144 ; 4-byte Folded Spill
	s_nop 0
	buffer_store_dword v82, off, s[24:27], 0 offset:148 ; 4-byte Folded Spill
	buffer_store_dword v83, off, s[24:27], 0 offset:152 ; 4-byte Folded Spill
	buffer_store_dword v84, off, s[24:27], 0 offset:156 ; 4-byte Folded Spill
	ds_read2_b64 v[93:96], v90 offset0:30 offset1:31
	buffer_load_dword v81, off, s[24:27], 0 offset:128 ; 4-byte Folded Reload
	buffer_load_dword v82, off, s[24:27], 0 offset:132 ; 4-byte Folded Reload
	buffer_load_dword v83, off, s[24:27], 0 offset:136 ; 4-byte Folded Reload
	buffer_load_dword v84, off, s[24:27], 0 offset:140 ; 4-byte Folded Reload
	s_waitcnt lgkmcnt(0)
	v_mul_f64 v[97:98], v[95:96], v[99:100]
	v_fma_f64 v[97:98], v[93:94], v[125:126], -v[97:98]
	v_mul_f64 v[93:94], v[93:94], v[99:100]
	v_fma_f64 v[93:94], v[95:96], v[125:126], v[93:94]
	s_waitcnt vmcnt(2)
	v_add_f64 v[81:82], v[81:82], -v[97:98]
	s_waitcnt vmcnt(0)
	v_add_f64 v[83:84], v[83:84], -v[93:94]
	buffer_store_dword v81, off, s[24:27], 0 offset:128 ; 4-byte Folded Spill
	s_nop 0
	buffer_store_dword v82, off, s[24:27], 0 offset:132 ; 4-byte Folded Spill
	buffer_store_dword v83, off, s[24:27], 0 offset:136 ; 4-byte Folded Spill
	buffer_store_dword v84, off, s[24:27], 0 offset:140 ; 4-byte Folded Spill
	ds_read2_b64 v[93:96], v90 offset0:32 offset1:33
	buffer_load_dword v81, off, s[24:27], 0 offset:112 ; 4-byte Folded Reload
	buffer_load_dword v82, off, s[24:27], 0 offset:116 ; 4-byte Folded Reload
	buffer_load_dword v83, off, s[24:27], 0 offset:120 ; 4-byte Folded Reload
	buffer_load_dword v84, off, s[24:27], 0 offset:124 ; 4-byte Folded Reload
	s_waitcnt lgkmcnt(0)
	v_mul_f64 v[97:98], v[95:96], v[99:100]
	v_fma_f64 v[97:98], v[93:94], v[125:126], -v[97:98]
	v_mul_f64 v[93:94], v[93:94], v[99:100]
	v_fma_f64 v[93:94], v[95:96], v[125:126], v[93:94]
	s_waitcnt vmcnt(2)
	v_add_f64 v[81:82], v[81:82], -v[97:98]
	s_waitcnt vmcnt(0)
	v_add_f64 v[83:84], v[83:84], -v[93:94]
	buffer_store_dword v81, off, s[24:27], 0 offset:112 ; 4-byte Folded Spill
	s_nop 0
	buffer_store_dword v82, off, s[24:27], 0 offset:116 ; 4-byte Folded Spill
	buffer_store_dword v83, off, s[24:27], 0 offset:120 ; 4-byte Folded Spill
	buffer_store_dword v84, off, s[24:27], 0 offset:124 ; 4-byte Folded Spill
	ds_read2_b64 v[93:96], v90 offset0:34 offset1:35
	buffer_load_dword v81, off, s[24:27], 0 offset:96 ; 4-byte Folded Reload
	buffer_load_dword v82, off, s[24:27], 0 offset:100 ; 4-byte Folded Reload
	buffer_load_dword v83, off, s[24:27], 0 offset:104 ; 4-byte Folded Reload
	buffer_load_dword v84, off, s[24:27], 0 offset:108 ; 4-byte Folded Reload
	s_waitcnt lgkmcnt(0)
	v_mul_f64 v[97:98], v[95:96], v[99:100]
	v_fma_f64 v[97:98], v[93:94], v[125:126], -v[97:98]
	v_mul_f64 v[93:94], v[93:94], v[99:100]
	v_fma_f64 v[93:94], v[95:96], v[125:126], v[93:94]
	s_waitcnt vmcnt(2)
	v_add_f64 v[81:82], v[81:82], -v[97:98]
	s_waitcnt vmcnt(0)
	v_add_f64 v[83:84], v[83:84], -v[93:94]
	buffer_store_dword v81, off, s[24:27], 0 offset:96 ; 4-byte Folded Spill
	s_nop 0
	buffer_store_dword v82, off, s[24:27], 0 offset:100 ; 4-byte Folded Spill
	buffer_store_dword v83, off, s[24:27], 0 offset:104 ; 4-byte Folded Spill
	buffer_store_dword v84, off, s[24:27], 0 offset:108 ; 4-byte Folded Spill
	ds_read2_b64 v[93:96], v90 offset0:36 offset1:37
	buffer_load_dword v81, off, s[24:27], 0 offset:80 ; 4-byte Folded Reload
	buffer_load_dword v82, off, s[24:27], 0 offset:84 ; 4-byte Folded Reload
	buffer_load_dword v83, off, s[24:27], 0 offset:88 ; 4-byte Folded Reload
	buffer_load_dword v84, off, s[24:27], 0 offset:92 ; 4-byte Folded Reload
	s_waitcnt lgkmcnt(0)
	v_mul_f64 v[97:98], v[95:96], v[99:100]
	v_fma_f64 v[97:98], v[93:94], v[125:126], -v[97:98]
	v_mul_f64 v[93:94], v[93:94], v[99:100]
	v_fma_f64 v[93:94], v[95:96], v[125:126], v[93:94]
	s_waitcnt vmcnt(2)
	v_add_f64 v[81:82], v[81:82], -v[97:98]
	s_waitcnt vmcnt(0)
	v_add_f64 v[83:84], v[83:84], -v[93:94]
	buffer_store_dword v81, off, s[24:27], 0 offset:80 ; 4-byte Folded Spill
	s_nop 0
	buffer_store_dword v82, off, s[24:27], 0 offset:84 ; 4-byte Folded Spill
	buffer_store_dword v83, off, s[24:27], 0 offset:88 ; 4-byte Folded Spill
	buffer_store_dword v84, off, s[24:27], 0 offset:92 ; 4-byte Folded Spill
	ds_read2_b64 v[93:96], v90 offset0:38 offset1:39
	buffer_load_dword v81, off, s[24:27], 0 offset:64 ; 4-byte Folded Reload
	buffer_load_dword v82, off, s[24:27], 0 offset:68 ; 4-byte Folded Reload
	buffer_load_dword v83, off, s[24:27], 0 offset:72 ; 4-byte Folded Reload
	buffer_load_dword v84, off, s[24:27], 0 offset:76 ; 4-byte Folded Reload
	s_waitcnt lgkmcnt(0)
	v_mul_f64 v[97:98], v[95:96], v[99:100]
	v_fma_f64 v[97:98], v[93:94], v[125:126], -v[97:98]
	v_mul_f64 v[93:94], v[93:94], v[99:100]
	v_fma_f64 v[93:94], v[95:96], v[125:126], v[93:94]
	s_waitcnt vmcnt(2)
	v_add_f64 v[81:82], v[81:82], -v[97:98]
	s_waitcnt vmcnt(0)
	v_add_f64 v[83:84], v[83:84], -v[93:94]
	buffer_store_dword v81, off, s[24:27], 0 offset:64 ; 4-byte Folded Spill
	s_nop 0
	buffer_store_dword v82, off, s[24:27], 0 offset:68 ; 4-byte Folded Spill
	buffer_store_dword v83, off, s[24:27], 0 offset:72 ; 4-byte Folded Spill
	buffer_store_dword v84, off, s[24:27], 0 offset:76 ; 4-byte Folded Spill
	ds_read2_b64 v[93:96], v90 offset0:40 offset1:41
	buffer_load_dword v81, off, s[24:27], 0 offset:48 ; 4-byte Folded Reload
	buffer_load_dword v82, off, s[24:27], 0 offset:52 ; 4-byte Folded Reload
	buffer_load_dword v83, off, s[24:27], 0 offset:56 ; 4-byte Folded Reload
	buffer_load_dword v84, off, s[24:27], 0 offset:60 ; 4-byte Folded Reload
	s_waitcnt lgkmcnt(0)
	v_mul_f64 v[97:98], v[95:96], v[99:100]
	v_fma_f64 v[97:98], v[93:94], v[125:126], -v[97:98]
	v_mul_f64 v[93:94], v[93:94], v[99:100]
	v_fma_f64 v[93:94], v[95:96], v[125:126], v[93:94]
	s_waitcnt vmcnt(2)
	v_add_f64 v[81:82], v[81:82], -v[97:98]
	s_waitcnt vmcnt(0)
	v_add_f64 v[83:84], v[83:84], -v[93:94]
	buffer_store_dword v81, off, s[24:27], 0 offset:48 ; 4-byte Folded Spill
	s_nop 0
	buffer_store_dword v82, off, s[24:27], 0 offset:52 ; 4-byte Folded Spill
	buffer_store_dword v83, off, s[24:27], 0 offset:56 ; 4-byte Folded Spill
	buffer_store_dword v84, off, s[24:27], 0 offset:60 ; 4-byte Folded Spill
	ds_read2_b64 v[93:96], v90 offset0:42 offset1:43
	buffer_load_dword v81, off, s[24:27], 0 offset:32 ; 4-byte Folded Reload
	buffer_load_dword v82, off, s[24:27], 0 offset:36 ; 4-byte Folded Reload
	buffer_load_dword v83, off, s[24:27], 0 offset:40 ; 4-byte Folded Reload
	buffer_load_dword v84, off, s[24:27], 0 offset:44 ; 4-byte Folded Reload
	s_waitcnt lgkmcnt(0)
	v_mul_f64 v[97:98], v[95:96], v[99:100]
	v_fma_f64 v[97:98], v[93:94], v[125:126], -v[97:98]
	v_mul_f64 v[93:94], v[93:94], v[99:100]
	v_fma_f64 v[93:94], v[95:96], v[125:126], v[93:94]
	s_waitcnt vmcnt(2)
	v_add_f64 v[81:82], v[81:82], -v[97:98]
	s_waitcnt vmcnt(0)
	v_add_f64 v[83:84], v[83:84], -v[93:94]
	buffer_store_dword v81, off, s[24:27], 0 offset:32 ; 4-byte Folded Spill
	s_nop 0
	buffer_store_dword v82, off, s[24:27], 0 offset:36 ; 4-byte Folded Spill
	buffer_store_dword v83, off, s[24:27], 0 offset:40 ; 4-byte Folded Spill
	buffer_store_dword v84, off, s[24:27], 0 offset:44 ; 4-byte Folded Spill
	ds_read2_b64 v[93:96], v90 offset0:44 offset1:45
	buffer_load_dword v81, off, s[24:27], 0 offset:16 ; 4-byte Folded Reload
	buffer_load_dword v82, off, s[24:27], 0 offset:20 ; 4-byte Folded Reload
	buffer_load_dword v83, off, s[24:27], 0 offset:24 ; 4-byte Folded Reload
	buffer_load_dword v84, off, s[24:27], 0 offset:28 ; 4-byte Folded Reload
	s_waitcnt lgkmcnt(0)
	v_mul_f64 v[97:98], v[95:96], v[99:100]
	v_fma_f64 v[97:98], v[93:94], v[125:126], -v[97:98]
	v_mul_f64 v[93:94], v[93:94], v[99:100]
	v_fma_f64 v[93:94], v[95:96], v[125:126], v[93:94]
	s_waitcnt vmcnt(2)
	v_add_f64 v[81:82], v[81:82], -v[97:98]
	s_waitcnt vmcnt(0)
	v_add_f64 v[83:84], v[83:84], -v[93:94]
	buffer_store_dword v81, off, s[24:27], 0 offset:16 ; 4-byte Folded Spill
	s_nop 0
	buffer_store_dword v82, off, s[24:27], 0 offset:20 ; 4-byte Folded Spill
	buffer_store_dword v83, off, s[24:27], 0 offset:24 ; 4-byte Folded Spill
	buffer_store_dword v84, off, s[24:27], 0 offset:28 ; 4-byte Folded Spill
	ds_read2_b64 v[93:96], v90 offset0:46 offset1:47
	s_waitcnt lgkmcnt(0)
	v_mul_f64 v[97:98], v[95:96], v[99:100]
	v_fma_f64 v[97:98], v[93:94], v[125:126], -v[97:98]
	v_mul_f64 v[93:94], v[93:94], v[99:100]
	v_add_f64 v[85:86], v[85:86], -v[97:98]
	v_fma_f64 v[93:94], v[95:96], v[125:126], v[93:94]
	v_add_f64 v[87:88], v[87:88], -v[93:94]
	ds_read2_b64 v[93:96], v90 offset0:48 offset1:49
	s_waitcnt lgkmcnt(0)
	v_mul_f64 v[97:98], v[95:96], v[99:100]
	v_fma_f64 v[97:98], v[93:94], v[125:126], -v[97:98]
	v_mul_f64 v[93:94], v[93:94], v[99:100]
	v_add_f64 v[111:112], v[111:112], -v[97:98]
	v_fma_f64 v[93:94], v[95:96], v[125:126], v[93:94]
	v_add_f64 v[113:114], v[113:114], -v[93:94]
	ds_read2_b64 v[93:96], v90 offset0:50 offset1:51
	buffer_load_dword v81, off, s[24:27], 0 ; 4-byte Folded Reload
	buffer_load_dword v82, off, s[24:27], 0 offset:4 ; 4-byte Folded Reload
	buffer_load_dword v83, off, s[24:27], 0 offset:8 ; 4-byte Folded Reload
	;; [unrolled: 1-line block ×3, first 2 shown]
	s_waitcnt lgkmcnt(0)
	v_mul_f64 v[97:98], v[95:96], v[99:100]
	v_fma_f64 v[97:98], v[93:94], v[125:126], -v[97:98]
	v_mul_f64 v[93:94], v[93:94], v[99:100]
	v_fma_f64 v[93:94], v[95:96], v[125:126], v[93:94]
	s_waitcnt vmcnt(2)
	v_add_f64 v[81:82], v[81:82], -v[97:98]
	s_waitcnt vmcnt(0)
	v_add_f64 v[83:84], v[83:84], -v[93:94]
	buffer_store_dword v81, off, s[24:27], 0 ; 4-byte Folded Spill
	s_nop 0
	buffer_store_dword v82, off, s[24:27], 0 offset:4 ; 4-byte Folded Spill
	buffer_store_dword v83, off, s[24:27], 0 offset:8 ; 4-byte Folded Spill
	;; [unrolled: 1-line block ×3, first 2 shown]
	ds_read2_b64 v[93:96], v90 offset0:52 offset1:53
	s_waitcnt lgkmcnt(0)
	v_mul_f64 v[97:98], v[95:96], v[99:100]
	v_fma_f64 v[97:98], v[93:94], v[125:126], -v[97:98]
	v_mul_f64 v[93:94], v[93:94], v[99:100]
	v_add_f64 v[77:78], v[77:78], -v[97:98]
	v_fma_f64 v[93:94], v[95:96], v[125:126], v[93:94]
	v_add_f64 v[79:80], v[79:80], -v[93:94]
	ds_read2_b64 v[93:96], v90 offset0:54 offset1:55
	s_waitcnt lgkmcnt(0)
	v_mul_f64 v[97:98], v[95:96], v[99:100]
	v_fma_f64 v[97:98], v[93:94], v[125:126], -v[97:98]
	v_mul_f64 v[93:94], v[93:94], v[99:100]
	v_add_f64 v[73:74], v[73:74], -v[97:98]
	v_fma_f64 v[93:94], v[95:96], v[125:126], v[93:94]
	v_add_f64 v[75:76], v[75:76], -v[93:94]
	;; [unrolled: 8-line block ×20, first 2 shown]
	ds_read2_b64 v[93:96], v90 offset0:92 offset1:93
	s_waitcnt lgkmcnt(0)
	v_mul_f64 v[97:98], v[95:96], v[99:100]
	v_fma_f64 v[97:98], v[93:94], v[125:126], -v[97:98]
	v_mul_f64 v[93:94], v[93:94], v[99:100]
	v_add_f64 v[121:122], v[121:122], -v[97:98]
	v_fma_f64 v[93:94], v[95:96], v[125:126], v[93:94]
	v_mov_b32_e32 v97, v125
	v_mov_b32_e32 v98, v126
	buffer_store_dword v97, off, s[24:27], 0 offset:192 ; 4-byte Folded Spill
	s_nop 0
	buffer_store_dword v98, off, s[24:27], 0 offset:196 ; 4-byte Folded Spill
	buffer_store_dword v99, off, s[24:27], 0 offset:200 ; 4-byte Folded Spill
	;; [unrolled: 1-line block ×3, first 2 shown]
	v_add_f64 v[123:124], v[123:124], -v[93:94]
.LBB92_251:
	s_or_b64 exec, exec, s[0:1]
	s_waitcnt vmcnt(0)
	s_barrier
	buffer_load_dword v81, off, s[24:27], 0 offset:176 ; 4-byte Folded Reload
	buffer_load_dword v82, off, s[24:27], 0 offset:180 ; 4-byte Folded Reload
	;; [unrolled: 1-line block ×4, first 2 shown]
	v_lshl_add_u32 v93, v92, 4, v90
	s_cmp_lt_i32 s3, 14
	s_waitcnt vmcnt(0)
	ds_write2_b64 v93, v[81:82], v[83:84] offset1:1
	s_waitcnt lgkmcnt(0)
	s_barrier
	ds_read2_b64 v[117:120], v90 offset0:24 offset1:25
	v_mov_b32_e32 v93, 12
	s_cbranch_scc1 .LBB92_254
; %bb.252:
	v_add_u32_e32 v94, 0xd0, v90
	s_mov_b32 s0, 13
	v_mov_b32_e32 v93, 12
.LBB92_253:                             ; =>This Inner Loop Header: Depth=1
	s_waitcnt lgkmcnt(0)
	v_cmp_gt_f64_e32 vcc, 0, v[117:118]
	v_xor_b32_e32 v99, 0x80000000, v118
	ds_read2_b64 v[95:98], v94 offset1:1
	v_xor_b32_e32 v101, 0x80000000, v120
	v_add_u32_e32 v94, 16, v94
	s_waitcnt lgkmcnt(0)
	v_xor_b32_e32 v103, 0x80000000, v98
	v_cndmask_b32_e32 v100, v118, v99, vcc
	v_cmp_gt_f64_e32 vcc, 0, v[119:120]
	v_mov_b32_e32 v99, v117
	v_cndmask_b32_e32 v102, v120, v101, vcc
	v_cmp_gt_f64_e32 vcc, 0, v[95:96]
	v_mov_b32_e32 v101, v119
	v_add_f64 v[99:100], v[99:100], v[101:102]
	v_xor_b32_e32 v101, 0x80000000, v96
	v_cndmask_b32_e32 v102, v96, v101, vcc
	v_cmp_gt_f64_e32 vcc, 0, v[97:98]
	v_mov_b32_e32 v101, v95
	v_cndmask_b32_e32 v104, v98, v103, vcc
	v_mov_b32_e32 v103, v97
	v_add_f64 v[101:102], v[101:102], v[103:104]
	v_cmp_lt_f64_e32 vcc, v[99:100], v[101:102]
	v_cndmask_b32_e32 v117, v117, v95, vcc
	v_mov_b32_e32 v95, s0
	s_add_i32 s0, s0, 1
	v_cndmask_b32_e32 v118, v118, v96, vcc
	v_cndmask_b32_e32 v120, v120, v98, vcc
	;; [unrolled: 1-line block ×4, first 2 shown]
	s_cmp_lg_u32 s3, s0
	s_cbranch_scc1 .LBB92_253
.LBB92_254:
	s_waitcnt lgkmcnt(0)
	v_cmp_eq_f64_e32 vcc, 0, v[117:118]
	v_cmp_eq_f64_e64 s[0:1], 0, v[119:120]
	s_and_b64 s[0:1], vcc, s[0:1]
	s_and_saveexec_b64 s[18:19], s[0:1]
	s_xor_b64 s[0:1], exec, s[18:19]
; %bb.255:
	v_cmp_ne_u32_e32 vcc, 0, v91
	v_cndmask_b32_e32 v91, 13, v91, vcc
; %bb.256:
	s_andn2_saveexec_b64 s[0:1], s[0:1]
	s_cbranch_execz .LBB92_262
; %bb.257:
	v_cmp_ngt_f64_e64 s[18:19], |v[117:118]|, |v[119:120]|
	s_and_saveexec_b64 s[20:21], s[18:19]
	s_xor_b64 s[18:19], exec, s[20:21]
	s_cbranch_execz .LBB92_259
; %bb.258:
	v_div_scale_f64 v[94:95], s[20:21], v[119:120], v[119:120], v[117:118]
	v_rcp_f64_e32 v[96:97], v[94:95]
	v_fma_f64 v[98:99], -v[94:95], v[96:97], 1.0
	v_fma_f64 v[96:97], v[96:97], v[98:99], v[96:97]
	v_div_scale_f64 v[98:99], vcc, v[117:118], v[119:120], v[117:118]
	v_fma_f64 v[100:101], -v[94:95], v[96:97], 1.0
	v_fma_f64 v[96:97], v[96:97], v[100:101], v[96:97]
	v_mul_f64 v[100:101], v[98:99], v[96:97]
	v_fma_f64 v[94:95], -v[94:95], v[100:101], v[98:99]
	v_div_fmas_f64 v[94:95], v[94:95], v[96:97], v[100:101]
	v_div_fixup_f64 v[94:95], v[94:95], v[119:120], v[117:118]
	v_fma_f64 v[96:97], v[117:118], v[94:95], v[119:120]
	v_div_scale_f64 v[98:99], s[20:21], v[96:97], v[96:97], 1.0
	v_div_scale_f64 v[104:105], vcc, 1.0, v[96:97], 1.0
	v_rcp_f64_e32 v[100:101], v[98:99]
	v_fma_f64 v[102:103], -v[98:99], v[100:101], 1.0
	v_fma_f64 v[100:101], v[100:101], v[102:103], v[100:101]
	v_fma_f64 v[102:103], -v[98:99], v[100:101], 1.0
	v_fma_f64 v[100:101], v[100:101], v[102:103], v[100:101]
	v_mul_f64 v[102:103], v[104:105], v[100:101]
	v_fma_f64 v[98:99], -v[98:99], v[102:103], v[104:105]
	v_div_fmas_f64 v[98:99], v[98:99], v[100:101], v[102:103]
	v_div_fixup_f64 v[119:120], v[98:99], v[96:97], 1.0
	v_mul_f64 v[117:118], v[94:95], v[119:120]
	v_xor_b32_e32 v120, 0x80000000, v120
.LBB92_259:
	s_andn2_saveexec_b64 s[18:19], s[18:19]
	s_cbranch_execz .LBB92_261
; %bb.260:
	v_div_scale_f64 v[94:95], s[20:21], v[117:118], v[117:118], v[119:120]
	v_rcp_f64_e32 v[96:97], v[94:95]
	v_fma_f64 v[98:99], -v[94:95], v[96:97], 1.0
	v_fma_f64 v[96:97], v[96:97], v[98:99], v[96:97]
	v_div_scale_f64 v[98:99], vcc, v[119:120], v[117:118], v[119:120]
	v_fma_f64 v[100:101], -v[94:95], v[96:97], 1.0
	v_fma_f64 v[96:97], v[96:97], v[100:101], v[96:97]
	v_mul_f64 v[100:101], v[98:99], v[96:97]
	v_fma_f64 v[94:95], -v[94:95], v[100:101], v[98:99]
	v_div_fmas_f64 v[94:95], v[94:95], v[96:97], v[100:101]
	v_div_fixup_f64 v[94:95], v[94:95], v[117:118], v[119:120]
	v_fma_f64 v[96:97], v[119:120], v[94:95], v[117:118]
	v_div_scale_f64 v[98:99], s[20:21], v[96:97], v[96:97], 1.0
	v_div_scale_f64 v[104:105], vcc, 1.0, v[96:97], 1.0
	v_rcp_f64_e32 v[100:101], v[98:99]
	v_fma_f64 v[102:103], -v[98:99], v[100:101], 1.0
	v_fma_f64 v[100:101], v[100:101], v[102:103], v[100:101]
	v_fma_f64 v[102:103], -v[98:99], v[100:101], 1.0
	v_fma_f64 v[100:101], v[100:101], v[102:103], v[100:101]
	v_mul_f64 v[102:103], v[104:105], v[100:101]
	v_fma_f64 v[98:99], -v[98:99], v[102:103], v[104:105]
	v_div_fmas_f64 v[98:99], v[98:99], v[100:101], v[102:103]
	v_div_fixup_f64 v[117:118], v[98:99], v[96:97], 1.0
	v_mul_f64 v[119:120], v[94:95], -v[117:118]
.LBB92_261:
	s_or_b64 exec, exec, s[18:19]
.LBB92_262:
	s_or_b64 exec, exec, s[0:1]
	v_cmp_ne_u32_e32 vcc, v92, v93
	s_and_saveexec_b64 s[0:1], vcc
	s_xor_b64 s[0:1], exec, s[0:1]
	s_cbranch_execz .LBB92_268
; %bb.263:
	v_cmp_eq_u32_e32 vcc, 12, v92
	s_and_saveexec_b64 s[18:19], vcc
	s_cbranch_execz .LBB92_267
; %bb.264:
	v_cmp_ne_u32_e32 vcc, 12, v93
	s_xor_b64 s[20:21], s[6:7], -1
	s_and_b64 s[22:23], s[20:21], vcc
	s_and_saveexec_b64 s[20:21], s[22:23]
	s_cbranch_execz .LBB92_266
; %bb.265:
	v_mov_b32_e32 v81, v85
	v_mov_b32_e32 v82, v86
	;; [unrolled: 1-line block ×4, first 2 shown]
	buffer_load_dword v85, off, s[24:27], 0 offset:336 ; 4-byte Folded Reload
	buffer_load_dword v86, off, s[24:27], 0 offset:340 ; 4-byte Folded Reload
	v_ashrrev_i32_e32 v94, 31, v93
	v_lshlrev_b64 v[94:95], 2, v[93:94]
	s_waitcnt vmcnt(1)
	v_add_co_u32_e32 v94, vcc, v85, v94
	s_waitcnt vmcnt(0)
	v_addc_co_u32_e32 v95, vcc, v86, v95, vcc
	global_load_dword v0, v[94:95], off
	global_load_dword v92, v[85:86], off offset:48
	s_waitcnt vmcnt(1)
	global_store_dword v[85:86], v0, off offset:48
	v_mov_b32_e32 v88, v84
	v_mov_b32_e32 v87, v83
	;; [unrolled: 1-line block ×4, first 2 shown]
	s_waitcnt vmcnt(1)
	global_store_dword v[94:95], v92, off
.LBB92_266:
	s_or_b64 exec, exec, s[20:21]
	v_mov_b32_e32 v92, v93
	v_mov_b32_e32 v0, v93
.LBB92_267:
	s_or_b64 exec, exec, s[18:19]
.LBB92_268:
	s_andn2_saveexec_b64 s[0:1], s[0:1]
	s_cbranch_execz .LBB92_270
; %bb.269:
	buffer_load_dword v81, off, s[24:27], 0 offset:160 ; 4-byte Folded Reload
	buffer_load_dword v82, off, s[24:27], 0 offset:164 ; 4-byte Folded Reload
	buffer_load_dword v83, off, s[24:27], 0 offset:168 ; 4-byte Folded Reload
	buffer_load_dword v84, off, s[24:27], 0 offset:172 ; 4-byte Folded Reload
	v_mov_b32_e32 v92, 12
	s_waitcnt vmcnt(0)
	ds_write2_b64 v90, v[81:82], v[83:84] offset0:26 offset1:27
	buffer_load_dword v81, off, s[24:27], 0 offset:144 ; 4-byte Folded Reload
	buffer_load_dword v82, off, s[24:27], 0 offset:148 ; 4-byte Folded Reload
	buffer_load_dword v83, off, s[24:27], 0 offset:152 ; 4-byte Folded Reload
	buffer_load_dword v84, off, s[24:27], 0 offset:156 ; 4-byte Folded Reload
	s_waitcnt vmcnt(0)
	ds_write2_b64 v90, v[81:82], v[83:84] offset0:28 offset1:29
	buffer_load_dword v81, off, s[24:27], 0 offset:128 ; 4-byte Folded Reload
	buffer_load_dword v82, off, s[24:27], 0 offset:132 ; 4-byte Folded Reload
	buffer_load_dword v83, off, s[24:27], 0 offset:136 ; 4-byte Folded Reload
	buffer_load_dword v84, off, s[24:27], 0 offset:140 ; 4-byte Folded Reload
	;; [unrolled: 6-line block ×9, first 2 shown]
	s_waitcnt vmcnt(0)
	ds_write2_b64 v90, v[81:82], v[83:84] offset0:44 offset1:45
	ds_write2_b64 v90, v[85:86], v[87:88] offset0:46 offset1:47
	;; [unrolled: 1-line block ×3, first 2 shown]
	buffer_load_dword v81, off, s[24:27], 0 ; 4-byte Folded Reload
	buffer_load_dword v82, off, s[24:27], 0 offset:4 ; 4-byte Folded Reload
	buffer_load_dword v83, off, s[24:27], 0 offset:8 ; 4-byte Folded Reload
	;; [unrolled: 1-line block ×3, first 2 shown]
	s_waitcnt vmcnt(0)
	ds_write2_b64 v90, v[81:82], v[83:84] offset0:50 offset1:51
	ds_write2_b64 v90, v[77:78], v[79:80] offset0:52 offset1:53
	;; [unrolled: 1-line block ×22, first 2 shown]
.LBB92_270:
	s_or_b64 exec, exec, s[0:1]
	v_cmp_lt_i32_e32 vcc, 12, v92
	s_waitcnt vmcnt(0) lgkmcnt(0)
	s_barrier
	s_and_saveexec_b64 s[0:1], vcc
	s_cbranch_execz .LBB92_272
; %bb.271:
	buffer_load_dword v97, off, s[24:27], 0 offset:176 ; 4-byte Folded Reload
	buffer_load_dword v98, off, s[24:27], 0 offset:180 ; 4-byte Folded Reload
	;; [unrolled: 1-line block ×4, first 2 shown]
	s_waitcnt vmcnt(0)
	v_mul_f64 v[93:94], v[119:120], v[99:100]
	v_fma_f64 v[125:126], v[117:118], v[97:98], -v[93:94]
	v_mul_f64 v[93:94], v[117:118], v[99:100]
	v_fma_f64 v[99:100], v[119:120], v[97:98], v[93:94]
	ds_read2_b64 v[93:96], v90 offset0:26 offset1:27
	buffer_load_dword v81, off, s[24:27], 0 offset:160 ; 4-byte Folded Reload
	buffer_load_dword v82, off, s[24:27], 0 offset:164 ; 4-byte Folded Reload
	buffer_load_dword v83, off, s[24:27], 0 offset:168 ; 4-byte Folded Reload
	buffer_load_dword v84, off, s[24:27], 0 offset:172 ; 4-byte Folded Reload
	s_waitcnt lgkmcnt(0)
	v_mul_f64 v[97:98], v[95:96], v[99:100]
	v_fma_f64 v[97:98], v[93:94], v[125:126], -v[97:98]
	v_mul_f64 v[93:94], v[93:94], v[99:100]
	v_fma_f64 v[93:94], v[95:96], v[125:126], v[93:94]
	s_waitcnt vmcnt(2)
	v_add_f64 v[81:82], v[81:82], -v[97:98]
	s_waitcnt vmcnt(0)
	v_add_f64 v[83:84], v[83:84], -v[93:94]
	buffer_store_dword v81, off, s[24:27], 0 offset:160 ; 4-byte Folded Spill
	s_nop 0
	buffer_store_dword v82, off, s[24:27], 0 offset:164 ; 4-byte Folded Spill
	buffer_store_dword v83, off, s[24:27], 0 offset:168 ; 4-byte Folded Spill
	buffer_store_dword v84, off, s[24:27], 0 offset:172 ; 4-byte Folded Spill
	ds_read2_b64 v[93:96], v90 offset0:28 offset1:29
	buffer_load_dword v81, off, s[24:27], 0 offset:144 ; 4-byte Folded Reload
	buffer_load_dword v82, off, s[24:27], 0 offset:148 ; 4-byte Folded Reload
	buffer_load_dword v83, off, s[24:27], 0 offset:152 ; 4-byte Folded Reload
	buffer_load_dword v84, off, s[24:27], 0 offset:156 ; 4-byte Folded Reload
	s_waitcnt lgkmcnt(0)
	v_mul_f64 v[97:98], v[95:96], v[99:100]
	v_fma_f64 v[97:98], v[93:94], v[125:126], -v[97:98]
	v_mul_f64 v[93:94], v[93:94], v[99:100]
	v_fma_f64 v[93:94], v[95:96], v[125:126], v[93:94]
	s_waitcnt vmcnt(2)
	v_add_f64 v[81:82], v[81:82], -v[97:98]
	s_waitcnt vmcnt(0)
	v_add_f64 v[83:84], v[83:84], -v[93:94]
	buffer_store_dword v81, off, s[24:27], 0 offset:144 ; 4-byte Folded Spill
	s_nop 0
	buffer_store_dword v82, off, s[24:27], 0 offset:148 ; 4-byte Folded Spill
	buffer_store_dword v83, off, s[24:27], 0 offset:152 ; 4-byte Folded Spill
	buffer_store_dword v84, off, s[24:27], 0 offset:156 ; 4-byte Folded Spill
	;; [unrolled: 19-line block ×10, first 2 shown]
	ds_read2_b64 v[93:96], v90 offset0:46 offset1:47
	s_waitcnt lgkmcnt(0)
	v_mul_f64 v[97:98], v[95:96], v[99:100]
	v_fma_f64 v[97:98], v[93:94], v[125:126], -v[97:98]
	v_mul_f64 v[93:94], v[93:94], v[99:100]
	v_add_f64 v[85:86], v[85:86], -v[97:98]
	v_fma_f64 v[93:94], v[95:96], v[125:126], v[93:94]
	v_add_f64 v[87:88], v[87:88], -v[93:94]
	ds_read2_b64 v[93:96], v90 offset0:48 offset1:49
	s_waitcnt lgkmcnt(0)
	v_mul_f64 v[97:98], v[95:96], v[99:100]
	v_fma_f64 v[97:98], v[93:94], v[125:126], -v[97:98]
	v_mul_f64 v[93:94], v[93:94], v[99:100]
	v_add_f64 v[111:112], v[111:112], -v[97:98]
	v_fma_f64 v[93:94], v[95:96], v[125:126], v[93:94]
	v_add_f64 v[113:114], v[113:114], -v[93:94]
	ds_read2_b64 v[93:96], v90 offset0:50 offset1:51
	buffer_load_dword v81, off, s[24:27], 0 ; 4-byte Folded Reload
	buffer_load_dword v82, off, s[24:27], 0 offset:4 ; 4-byte Folded Reload
	buffer_load_dword v83, off, s[24:27], 0 offset:8 ; 4-byte Folded Reload
	;; [unrolled: 1-line block ×3, first 2 shown]
	s_waitcnt lgkmcnt(0)
	v_mul_f64 v[97:98], v[95:96], v[99:100]
	v_fma_f64 v[97:98], v[93:94], v[125:126], -v[97:98]
	v_mul_f64 v[93:94], v[93:94], v[99:100]
	v_fma_f64 v[93:94], v[95:96], v[125:126], v[93:94]
	s_waitcnt vmcnt(2)
	v_add_f64 v[81:82], v[81:82], -v[97:98]
	s_waitcnt vmcnt(0)
	v_add_f64 v[83:84], v[83:84], -v[93:94]
	buffer_store_dword v81, off, s[24:27], 0 ; 4-byte Folded Spill
	s_nop 0
	buffer_store_dword v82, off, s[24:27], 0 offset:4 ; 4-byte Folded Spill
	buffer_store_dword v83, off, s[24:27], 0 offset:8 ; 4-byte Folded Spill
	;; [unrolled: 1-line block ×3, first 2 shown]
	ds_read2_b64 v[93:96], v90 offset0:52 offset1:53
	s_waitcnt lgkmcnt(0)
	v_mul_f64 v[97:98], v[95:96], v[99:100]
	v_fma_f64 v[97:98], v[93:94], v[125:126], -v[97:98]
	v_mul_f64 v[93:94], v[93:94], v[99:100]
	v_add_f64 v[77:78], v[77:78], -v[97:98]
	v_fma_f64 v[93:94], v[95:96], v[125:126], v[93:94]
	v_add_f64 v[79:80], v[79:80], -v[93:94]
	ds_read2_b64 v[93:96], v90 offset0:54 offset1:55
	s_waitcnt lgkmcnt(0)
	v_mul_f64 v[97:98], v[95:96], v[99:100]
	v_fma_f64 v[97:98], v[93:94], v[125:126], -v[97:98]
	v_mul_f64 v[93:94], v[93:94], v[99:100]
	v_add_f64 v[73:74], v[73:74], -v[97:98]
	v_fma_f64 v[93:94], v[95:96], v[125:126], v[93:94]
	v_add_f64 v[75:76], v[75:76], -v[93:94]
	;; [unrolled: 8-line block ×20, first 2 shown]
	ds_read2_b64 v[93:96], v90 offset0:92 offset1:93
	s_waitcnt lgkmcnt(0)
	v_mul_f64 v[97:98], v[95:96], v[99:100]
	v_fma_f64 v[97:98], v[93:94], v[125:126], -v[97:98]
	v_mul_f64 v[93:94], v[93:94], v[99:100]
	v_add_f64 v[121:122], v[121:122], -v[97:98]
	v_fma_f64 v[93:94], v[95:96], v[125:126], v[93:94]
	v_mov_b32_e32 v97, v125
	v_mov_b32_e32 v98, v126
	buffer_store_dword v97, off, s[24:27], 0 offset:176 ; 4-byte Folded Spill
	s_nop 0
	buffer_store_dword v98, off, s[24:27], 0 offset:180 ; 4-byte Folded Spill
	buffer_store_dword v99, off, s[24:27], 0 offset:184 ; 4-byte Folded Spill
	;; [unrolled: 1-line block ×3, first 2 shown]
	v_add_f64 v[123:124], v[123:124], -v[93:94]
.LBB92_272:
	s_or_b64 exec, exec, s[0:1]
	s_waitcnt vmcnt(0)
	s_barrier
	buffer_load_dword v81, off, s[24:27], 0 offset:160 ; 4-byte Folded Reload
	buffer_load_dword v82, off, s[24:27], 0 offset:164 ; 4-byte Folded Reload
	;; [unrolled: 1-line block ×4, first 2 shown]
	v_lshl_add_u32 v93, v92, 4, v90
	s_cmp_lt_i32 s3, 15
	s_waitcnt vmcnt(0)
	ds_write2_b64 v93, v[81:82], v[83:84] offset1:1
	s_waitcnt lgkmcnt(0)
	s_barrier
	ds_read2_b64 v[117:120], v90 offset0:26 offset1:27
	v_mov_b32_e32 v93, 13
	s_cbranch_scc1 .LBB92_275
; %bb.273:
	v_add_u32_e32 v94, 0xe0, v90
	s_mov_b32 s0, 14
	v_mov_b32_e32 v93, 13
.LBB92_274:                             ; =>This Inner Loop Header: Depth=1
	s_waitcnt lgkmcnt(0)
	v_cmp_gt_f64_e32 vcc, 0, v[117:118]
	v_xor_b32_e32 v99, 0x80000000, v118
	ds_read2_b64 v[95:98], v94 offset1:1
	v_xor_b32_e32 v101, 0x80000000, v120
	v_add_u32_e32 v94, 16, v94
	s_waitcnt lgkmcnt(0)
	v_xor_b32_e32 v103, 0x80000000, v98
	v_cndmask_b32_e32 v100, v118, v99, vcc
	v_cmp_gt_f64_e32 vcc, 0, v[119:120]
	v_mov_b32_e32 v99, v117
	v_cndmask_b32_e32 v102, v120, v101, vcc
	v_cmp_gt_f64_e32 vcc, 0, v[95:96]
	v_mov_b32_e32 v101, v119
	v_add_f64 v[99:100], v[99:100], v[101:102]
	v_xor_b32_e32 v101, 0x80000000, v96
	v_cndmask_b32_e32 v102, v96, v101, vcc
	v_cmp_gt_f64_e32 vcc, 0, v[97:98]
	v_mov_b32_e32 v101, v95
	v_cndmask_b32_e32 v104, v98, v103, vcc
	v_mov_b32_e32 v103, v97
	v_add_f64 v[101:102], v[101:102], v[103:104]
	v_cmp_lt_f64_e32 vcc, v[99:100], v[101:102]
	v_cndmask_b32_e32 v117, v117, v95, vcc
	v_mov_b32_e32 v95, s0
	s_add_i32 s0, s0, 1
	v_cndmask_b32_e32 v118, v118, v96, vcc
	v_cndmask_b32_e32 v120, v120, v98, vcc
	;; [unrolled: 1-line block ×4, first 2 shown]
	s_cmp_lg_u32 s3, s0
	s_cbranch_scc1 .LBB92_274
.LBB92_275:
	s_waitcnt lgkmcnt(0)
	v_cmp_eq_f64_e32 vcc, 0, v[117:118]
	v_cmp_eq_f64_e64 s[0:1], 0, v[119:120]
	s_and_b64 s[0:1], vcc, s[0:1]
	s_and_saveexec_b64 s[18:19], s[0:1]
	s_xor_b64 s[0:1], exec, s[18:19]
; %bb.276:
	v_cmp_ne_u32_e32 vcc, 0, v91
	v_cndmask_b32_e32 v91, 14, v91, vcc
; %bb.277:
	s_andn2_saveexec_b64 s[0:1], s[0:1]
	s_cbranch_execz .LBB92_283
; %bb.278:
	v_cmp_ngt_f64_e64 s[18:19], |v[117:118]|, |v[119:120]|
	s_and_saveexec_b64 s[20:21], s[18:19]
	s_xor_b64 s[18:19], exec, s[20:21]
	s_cbranch_execz .LBB92_280
; %bb.279:
	v_div_scale_f64 v[94:95], s[20:21], v[119:120], v[119:120], v[117:118]
	v_rcp_f64_e32 v[96:97], v[94:95]
	v_fma_f64 v[98:99], -v[94:95], v[96:97], 1.0
	v_fma_f64 v[96:97], v[96:97], v[98:99], v[96:97]
	v_div_scale_f64 v[98:99], vcc, v[117:118], v[119:120], v[117:118]
	v_fma_f64 v[100:101], -v[94:95], v[96:97], 1.0
	v_fma_f64 v[96:97], v[96:97], v[100:101], v[96:97]
	v_mul_f64 v[100:101], v[98:99], v[96:97]
	v_fma_f64 v[94:95], -v[94:95], v[100:101], v[98:99]
	v_div_fmas_f64 v[94:95], v[94:95], v[96:97], v[100:101]
	v_div_fixup_f64 v[94:95], v[94:95], v[119:120], v[117:118]
	v_fma_f64 v[96:97], v[117:118], v[94:95], v[119:120]
	v_div_scale_f64 v[98:99], s[20:21], v[96:97], v[96:97], 1.0
	v_div_scale_f64 v[104:105], vcc, 1.0, v[96:97], 1.0
	v_rcp_f64_e32 v[100:101], v[98:99]
	v_fma_f64 v[102:103], -v[98:99], v[100:101], 1.0
	v_fma_f64 v[100:101], v[100:101], v[102:103], v[100:101]
	v_fma_f64 v[102:103], -v[98:99], v[100:101], 1.0
	v_fma_f64 v[100:101], v[100:101], v[102:103], v[100:101]
	v_mul_f64 v[102:103], v[104:105], v[100:101]
	v_fma_f64 v[98:99], -v[98:99], v[102:103], v[104:105]
	v_div_fmas_f64 v[98:99], v[98:99], v[100:101], v[102:103]
	v_div_fixup_f64 v[119:120], v[98:99], v[96:97], 1.0
	v_mul_f64 v[117:118], v[94:95], v[119:120]
	v_xor_b32_e32 v120, 0x80000000, v120
.LBB92_280:
	s_andn2_saveexec_b64 s[18:19], s[18:19]
	s_cbranch_execz .LBB92_282
; %bb.281:
	v_div_scale_f64 v[94:95], s[20:21], v[117:118], v[117:118], v[119:120]
	v_rcp_f64_e32 v[96:97], v[94:95]
	v_fma_f64 v[98:99], -v[94:95], v[96:97], 1.0
	v_fma_f64 v[96:97], v[96:97], v[98:99], v[96:97]
	v_div_scale_f64 v[98:99], vcc, v[119:120], v[117:118], v[119:120]
	v_fma_f64 v[100:101], -v[94:95], v[96:97], 1.0
	v_fma_f64 v[96:97], v[96:97], v[100:101], v[96:97]
	v_mul_f64 v[100:101], v[98:99], v[96:97]
	v_fma_f64 v[94:95], -v[94:95], v[100:101], v[98:99]
	v_div_fmas_f64 v[94:95], v[94:95], v[96:97], v[100:101]
	v_div_fixup_f64 v[94:95], v[94:95], v[117:118], v[119:120]
	v_fma_f64 v[96:97], v[119:120], v[94:95], v[117:118]
	v_div_scale_f64 v[98:99], s[20:21], v[96:97], v[96:97], 1.0
	v_div_scale_f64 v[104:105], vcc, 1.0, v[96:97], 1.0
	v_rcp_f64_e32 v[100:101], v[98:99]
	v_fma_f64 v[102:103], -v[98:99], v[100:101], 1.0
	v_fma_f64 v[100:101], v[100:101], v[102:103], v[100:101]
	v_fma_f64 v[102:103], -v[98:99], v[100:101], 1.0
	v_fma_f64 v[100:101], v[100:101], v[102:103], v[100:101]
	v_mul_f64 v[102:103], v[104:105], v[100:101]
	v_fma_f64 v[98:99], -v[98:99], v[102:103], v[104:105]
	v_div_fmas_f64 v[98:99], v[98:99], v[100:101], v[102:103]
	v_div_fixup_f64 v[117:118], v[98:99], v[96:97], 1.0
	v_mul_f64 v[119:120], v[94:95], -v[117:118]
.LBB92_282:
	s_or_b64 exec, exec, s[18:19]
.LBB92_283:
	s_or_b64 exec, exec, s[0:1]
	v_cmp_ne_u32_e32 vcc, v92, v93
	s_and_saveexec_b64 s[0:1], vcc
	s_xor_b64 s[0:1], exec, s[0:1]
	s_cbranch_execz .LBB92_289
; %bb.284:
	v_cmp_eq_u32_e32 vcc, 13, v92
	s_and_saveexec_b64 s[18:19], vcc
	s_cbranch_execz .LBB92_288
; %bb.285:
	v_cmp_ne_u32_e32 vcc, 13, v93
	s_xor_b64 s[20:21], s[6:7], -1
	s_and_b64 s[22:23], s[20:21], vcc
	s_and_saveexec_b64 s[20:21], s[22:23]
	s_cbranch_execz .LBB92_287
; %bb.286:
	v_mov_b32_e32 v81, v85
	v_mov_b32_e32 v82, v86
	;; [unrolled: 1-line block ×4, first 2 shown]
	buffer_load_dword v85, off, s[24:27], 0 offset:336 ; 4-byte Folded Reload
	buffer_load_dword v86, off, s[24:27], 0 offset:340 ; 4-byte Folded Reload
	v_ashrrev_i32_e32 v94, 31, v93
	v_lshlrev_b64 v[94:95], 2, v[93:94]
	s_waitcnt vmcnt(1)
	v_add_co_u32_e32 v94, vcc, v85, v94
	s_waitcnt vmcnt(0)
	v_addc_co_u32_e32 v95, vcc, v86, v95, vcc
	global_load_dword v0, v[94:95], off
	global_load_dword v92, v[85:86], off offset:52
	s_waitcnt vmcnt(1)
	global_store_dword v[85:86], v0, off offset:52
	v_mov_b32_e32 v88, v84
	v_mov_b32_e32 v87, v83
	;; [unrolled: 1-line block ×4, first 2 shown]
	s_waitcnt vmcnt(1)
	global_store_dword v[94:95], v92, off
.LBB92_287:
	s_or_b64 exec, exec, s[20:21]
	v_mov_b32_e32 v92, v93
	v_mov_b32_e32 v0, v93
.LBB92_288:
	s_or_b64 exec, exec, s[18:19]
.LBB92_289:
	s_andn2_saveexec_b64 s[0:1], s[0:1]
	s_cbranch_execz .LBB92_291
; %bb.290:
	buffer_load_dword v81, off, s[24:27], 0 offset:144 ; 4-byte Folded Reload
	buffer_load_dword v82, off, s[24:27], 0 offset:148 ; 4-byte Folded Reload
	;; [unrolled: 1-line block ×4, first 2 shown]
	v_mov_b32_e32 v92, 13
	s_waitcnt vmcnt(0)
	ds_write2_b64 v90, v[81:82], v[83:84] offset0:28 offset1:29
	buffer_load_dword v81, off, s[24:27], 0 offset:128 ; 4-byte Folded Reload
	buffer_load_dword v82, off, s[24:27], 0 offset:132 ; 4-byte Folded Reload
	buffer_load_dword v83, off, s[24:27], 0 offset:136 ; 4-byte Folded Reload
	buffer_load_dword v84, off, s[24:27], 0 offset:140 ; 4-byte Folded Reload
	s_waitcnt vmcnt(0)
	ds_write2_b64 v90, v[81:82], v[83:84] offset0:30 offset1:31
	buffer_load_dword v81, off, s[24:27], 0 offset:112 ; 4-byte Folded Reload
	buffer_load_dword v82, off, s[24:27], 0 offset:116 ; 4-byte Folded Reload
	buffer_load_dword v83, off, s[24:27], 0 offset:120 ; 4-byte Folded Reload
	buffer_load_dword v84, off, s[24:27], 0 offset:124 ; 4-byte Folded Reload
	;; [unrolled: 6-line block ×8, first 2 shown]
	s_waitcnt vmcnt(0)
	ds_write2_b64 v90, v[81:82], v[83:84] offset0:44 offset1:45
	ds_write2_b64 v90, v[85:86], v[87:88] offset0:46 offset1:47
	;; [unrolled: 1-line block ×3, first 2 shown]
	buffer_load_dword v81, off, s[24:27], 0 ; 4-byte Folded Reload
	buffer_load_dword v82, off, s[24:27], 0 offset:4 ; 4-byte Folded Reload
	buffer_load_dword v83, off, s[24:27], 0 offset:8 ; 4-byte Folded Reload
	;; [unrolled: 1-line block ×3, first 2 shown]
	s_waitcnt vmcnt(0)
	ds_write2_b64 v90, v[81:82], v[83:84] offset0:50 offset1:51
	ds_write2_b64 v90, v[77:78], v[79:80] offset0:52 offset1:53
	;; [unrolled: 1-line block ×22, first 2 shown]
.LBB92_291:
	s_or_b64 exec, exec, s[0:1]
	v_cmp_lt_i32_e32 vcc, 13, v92
	s_waitcnt vmcnt(0) lgkmcnt(0)
	s_barrier
	s_and_saveexec_b64 s[0:1], vcc
	s_cbranch_execz .LBB92_293
; %bb.292:
	buffer_load_dword v97, off, s[24:27], 0 offset:160 ; 4-byte Folded Reload
	buffer_load_dword v98, off, s[24:27], 0 offset:164 ; 4-byte Folded Reload
	;; [unrolled: 1-line block ×4, first 2 shown]
	s_waitcnt vmcnt(0)
	v_mul_f64 v[93:94], v[119:120], v[99:100]
	v_fma_f64 v[125:126], v[117:118], v[97:98], -v[93:94]
	v_mul_f64 v[93:94], v[117:118], v[99:100]
	v_fma_f64 v[99:100], v[119:120], v[97:98], v[93:94]
	ds_read2_b64 v[93:96], v90 offset0:28 offset1:29
	buffer_load_dword v81, off, s[24:27], 0 offset:144 ; 4-byte Folded Reload
	buffer_load_dword v82, off, s[24:27], 0 offset:148 ; 4-byte Folded Reload
	buffer_load_dword v83, off, s[24:27], 0 offset:152 ; 4-byte Folded Reload
	buffer_load_dword v84, off, s[24:27], 0 offset:156 ; 4-byte Folded Reload
	s_waitcnt lgkmcnt(0)
	v_mul_f64 v[97:98], v[95:96], v[99:100]
	v_fma_f64 v[97:98], v[93:94], v[125:126], -v[97:98]
	v_mul_f64 v[93:94], v[93:94], v[99:100]
	v_fma_f64 v[93:94], v[95:96], v[125:126], v[93:94]
	s_waitcnt vmcnt(2)
	v_add_f64 v[81:82], v[81:82], -v[97:98]
	s_waitcnt vmcnt(0)
	v_add_f64 v[83:84], v[83:84], -v[93:94]
	buffer_store_dword v81, off, s[24:27], 0 offset:144 ; 4-byte Folded Spill
	s_nop 0
	buffer_store_dword v82, off, s[24:27], 0 offset:148 ; 4-byte Folded Spill
	buffer_store_dword v83, off, s[24:27], 0 offset:152 ; 4-byte Folded Spill
	buffer_store_dword v84, off, s[24:27], 0 offset:156 ; 4-byte Folded Spill
	ds_read2_b64 v[93:96], v90 offset0:30 offset1:31
	buffer_load_dword v81, off, s[24:27], 0 offset:128 ; 4-byte Folded Reload
	buffer_load_dword v82, off, s[24:27], 0 offset:132 ; 4-byte Folded Reload
	buffer_load_dword v83, off, s[24:27], 0 offset:136 ; 4-byte Folded Reload
	buffer_load_dword v84, off, s[24:27], 0 offset:140 ; 4-byte Folded Reload
	s_waitcnt lgkmcnt(0)
	v_mul_f64 v[97:98], v[95:96], v[99:100]
	v_fma_f64 v[97:98], v[93:94], v[125:126], -v[97:98]
	v_mul_f64 v[93:94], v[93:94], v[99:100]
	v_fma_f64 v[93:94], v[95:96], v[125:126], v[93:94]
	s_waitcnt vmcnt(2)
	v_add_f64 v[81:82], v[81:82], -v[97:98]
	s_waitcnt vmcnt(0)
	v_add_f64 v[83:84], v[83:84], -v[93:94]
	buffer_store_dword v81, off, s[24:27], 0 offset:128 ; 4-byte Folded Spill
	s_nop 0
	buffer_store_dword v82, off, s[24:27], 0 offset:132 ; 4-byte Folded Spill
	buffer_store_dword v83, off, s[24:27], 0 offset:136 ; 4-byte Folded Spill
	buffer_store_dword v84, off, s[24:27], 0 offset:140 ; 4-byte Folded Spill
	ds_read2_b64 v[93:96], v90 offset0:32 offset1:33
	buffer_load_dword v81, off, s[24:27], 0 offset:112 ; 4-byte Folded Reload
	buffer_load_dword v82, off, s[24:27], 0 offset:116 ; 4-byte Folded Reload
	buffer_load_dword v83, off, s[24:27], 0 offset:120 ; 4-byte Folded Reload
	buffer_load_dword v84, off, s[24:27], 0 offset:124 ; 4-byte Folded Reload
	s_waitcnt lgkmcnt(0)
	v_mul_f64 v[97:98], v[95:96], v[99:100]
	v_fma_f64 v[97:98], v[93:94], v[125:126], -v[97:98]
	v_mul_f64 v[93:94], v[93:94], v[99:100]
	v_fma_f64 v[93:94], v[95:96], v[125:126], v[93:94]
	s_waitcnt vmcnt(2)
	v_add_f64 v[81:82], v[81:82], -v[97:98]
	s_waitcnt vmcnt(0)
	v_add_f64 v[83:84], v[83:84], -v[93:94]
	buffer_store_dword v81, off, s[24:27], 0 offset:112 ; 4-byte Folded Spill
	s_nop 0
	buffer_store_dword v82, off, s[24:27], 0 offset:116 ; 4-byte Folded Spill
	buffer_store_dword v83, off, s[24:27], 0 offset:120 ; 4-byte Folded Spill
	buffer_store_dword v84, off, s[24:27], 0 offset:124 ; 4-byte Folded Spill
	ds_read2_b64 v[93:96], v90 offset0:34 offset1:35
	buffer_load_dword v81, off, s[24:27], 0 offset:96 ; 4-byte Folded Reload
	buffer_load_dword v82, off, s[24:27], 0 offset:100 ; 4-byte Folded Reload
	buffer_load_dword v83, off, s[24:27], 0 offset:104 ; 4-byte Folded Reload
	buffer_load_dword v84, off, s[24:27], 0 offset:108 ; 4-byte Folded Reload
	s_waitcnt lgkmcnt(0)
	v_mul_f64 v[97:98], v[95:96], v[99:100]
	v_fma_f64 v[97:98], v[93:94], v[125:126], -v[97:98]
	v_mul_f64 v[93:94], v[93:94], v[99:100]
	v_fma_f64 v[93:94], v[95:96], v[125:126], v[93:94]
	s_waitcnt vmcnt(2)
	v_add_f64 v[81:82], v[81:82], -v[97:98]
	s_waitcnt vmcnt(0)
	v_add_f64 v[83:84], v[83:84], -v[93:94]
	buffer_store_dword v81, off, s[24:27], 0 offset:96 ; 4-byte Folded Spill
	s_nop 0
	buffer_store_dword v82, off, s[24:27], 0 offset:100 ; 4-byte Folded Spill
	buffer_store_dword v83, off, s[24:27], 0 offset:104 ; 4-byte Folded Spill
	buffer_store_dword v84, off, s[24:27], 0 offset:108 ; 4-byte Folded Spill
	ds_read2_b64 v[93:96], v90 offset0:36 offset1:37
	buffer_load_dword v81, off, s[24:27], 0 offset:80 ; 4-byte Folded Reload
	buffer_load_dword v82, off, s[24:27], 0 offset:84 ; 4-byte Folded Reload
	buffer_load_dword v83, off, s[24:27], 0 offset:88 ; 4-byte Folded Reload
	buffer_load_dword v84, off, s[24:27], 0 offset:92 ; 4-byte Folded Reload
	s_waitcnt lgkmcnt(0)
	v_mul_f64 v[97:98], v[95:96], v[99:100]
	v_fma_f64 v[97:98], v[93:94], v[125:126], -v[97:98]
	v_mul_f64 v[93:94], v[93:94], v[99:100]
	v_fma_f64 v[93:94], v[95:96], v[125:126], v[93:94]
	s_waitcnt vmcnt(2)
	v_add_f64 v[81:82], v[81:82], -v[97:98]
	s_waitcnt vmcnt(0)
	v_add_f64 v[83:84], v[83:84], -v[93:94]
	buffer_store_dword v81, off, s[24:27], 0 offset:80 ; 4-byte Folded Spill
	s_nop 0
	buffer_store_dword v82, off, s[24:27], 0 offset:84 ; 4-byte Folded Spill
	buffer_store_dword v83, off, s[24:27], 0 offset:88 ; 4-byte Folded Spill
	buffer_store_dword v84, off, s[24:27], 0 offset:92 ; 4-byte Folded Spill
	ds_read2_b64 v[93:96], v90 offset0:38 offset1:39
	buffer_load_dword v81, off, s[24:27], 0 offset:64 ; 4-byte Folded Reload
	buffer_load_dword v82, off, s[24:27], 0 offset:68 ; 4-byte Folded Reload
	buffer_load_dword v83, off, s[24:27], 0 offset:72 ; 4-byte Folded Reload
	buffer_load_dword v84, off, s[24:27], 0 offset:76 ; 4-byte Folded Reload
	s_waitcnt lgkmcnt(0)
	v_mul_f64 v[97:98], v[95:96], v[99:100]
	v_fma_f64 v[97:98], v[93:94], v[125:126], -v[97:98]
	v_mul_f64 v[93:94], v[93:94], v[99:100]
	v_fma_f64 v[93:94], v[95:96], v[125:126], v[93:94]
	s_waitcnt vmcnt(2)
	v_add_f64 v[81:82], v[81:82], -v[97:98]
	s_waitcnt vmcnt(0)
	v_add_f64 v[83:84], v[83:84], -v[93:94]
	buffer_store_dword v81, off, s[24:27], 0 offset:64 ; 4-byte Folded Spill
	s_nop 0
	buffer_store_dword v82, off, s[24:27], 0 offset:68 ; 4-byte Folded Spill
	buffer_store_dword v83, off, s[24:27], 0 offset:72 ; 4-byte Folded Spill
	buffer_store_dword v84, off, s[24:27], 0 offset:76 ; 4-byte Folded Spill
	ds_read2_b64 v[93:96], v90 offset0:40 offset1:41
	buffer_load_dword v81, off, s[24:27], 0 offset:48 ; 4-byte Folded Reload
	buffer_load_dword v82, off, s[24:27], 0 offset:52 ; 4-byte Folded Reload
	buffer_load_dword v83, off, s[24:27], 0 offset:56 ; 4-byte Folded Reload
	buffer_load_dword v84, off, s[24:27], 0 offset:60 ; 4-byte Folded Reload
	s_waitcnt lgkmcnt(0)
	v_mul_f64 v[97:98], v[95:96], v[99:100]
	v_fma_f64 v[97:98], v[93:94], v[125:126], -v[97:98]
	v_mul_f64 v[93:94], v[93:94], v[99:100]
	v_fma_f64 v[93:94], v[95:96], v[125:126], v[93:94]
	s_waitcnt vmcnt(2)
	v_add_f64 v[81:82], v[81:82], -v[97:98]
	s_waitcnt vmcnt(0)
	v_add_f64 v[83:84], v[83:84], -v[93:94]
	buffer_store_dword v81, off, s[24:27], 0 offset:48 ; 4-byte Folded Spill
	s_nop 0
	buffer_store_dword v82, off, s[24:27], 0 offset:52 ; 4-byte Folded Spill
	buffer_store_dword v83, off, s[24:27], 0 offset:56 ; 4-byte Folded Spill
	buffer_store_dword v84, off, s[24:27], 0 offset:60 ; 4-byte Folded Spill
	ds_read2_b64 v[93:96], v90 offset0:42 offset1:43
	buffer_load_dword v81, off, s[24:27], 0 offset:32 ; 4-byte Folded Reload
	buffer_load_dword v82, off, s[24:27], 0 offset:36 ; 4-byte Folded Reload
	buffer_load_dword v83, off, s[24:27], 0 offset:40 ; 4-byte Folded Reload
	buffer_load_dword v84, off, s[24:27], 0 offset:44 ; 4-byte Folded Reload
	s_waitcnt lgkmcnt(0)
	v_mul_f64 v[97:98], v[95:96], v[99:100]
	v_fma_f64 v[97:98], v[93:94], v[125:126], -v[97:98]
	v_mul_f64 v[93:94], v[93:94], v[99:100]
	v_fma_f64 v[93:94], v[95:96], v[125:126], v[93:94]
	s_waitcnt vmcnt(2)
	v_add_f64 v[81:82], v[81:82], -v[97:98]
	s_waitcnt vmcnt(0)
	v_add_f64 v[83:84], v[83:84], -v[93:94]
	buffer_store_dword v81, off, s[24:27], 0 offset:32 ; 4-byte Folded Spill
	s_nop 0
	buffer_store_dword v82, off, s[24:27], 0 offset:36 ; 4-byte Folded Spill
	buffer_store_dword v83, off, s[24:27], 0 offset:40 ; 4-byte Folded Spill
	buffer_store_dword v84, off, s[24:27], 0 offset:44 ; 4-byte Folded Spill
	ds_read2_b64 v[93:96], v90 offset0:44 offset1:45
	buffer_load_dword v81, off, s[24:27], 0 offset:16 ; 4-byte Folded Reload
	buffer_load_dword v82, off, s[24:27], 0 offset:20 ; 4-byte Folded Reload
	buffer_load_dword v83, off, s[24:27], 0 offset:24 ; 4-byte Folded Reload
	buffer_load_dword v84, off, s[24:27], 0 offset:28 ; 4-byte Folded Reload
	s_waitcnt lgkmcnt(0)
	v_mul_f64 v[97:98], v[95:96], v[99:100]
	v_fma_f64 v[97:98], v[93:94], v[125:126], -v[97:98]
	v_mul_f64 v[93:94], v[93:94], v[99:100]
	v_fma_f64 v[93:94], v[95:96], v[125:126], v[93:94]
	s_waitcnt vmcnt(2)
	v_add_f64 v[81:82], v[81:82], -v[97:98]
	s_waitcnt vmcnt(0)
	v_add_f64 v[83:84], v[83:84], -v[93:94]
	buffer_store_dword v81, off, s[24:27], 0 offset:16 ; 4-byte Folded Spill
	s_nop 0
	buffer_store_dword v82, off, s[24:27], 0 offset:20 ; 4-byte Folded Spill
	buffer_store_dword v83, off, s[24:27], 0 offset:24 ; 4-byte Folded Spill
	buffer_store_dword v84, off, s[24:27], 0 offset:28 ; 4-byte Folded Spill
	ds_read2_b64 v[93:96], v90 offset0:46 offset1:47
	s_waitcnt lgkmcnt(0)
	v_mul_f64 v[97:98], v[95:96], v[99:100]
	v_fma_f64 v[97:98], v[93:94], v[125:126], -v[97:98]
	v_mul_f64 v[93:94], v[93:94], v[99:100]
	v_add_f64 v[85:86], v[85:86], -v[97:98]
	v_fma_f64 v[93:94], v[95:96], v[125:126], v[93:94]
	v_add_f64 v[87:88], v[87:88], -v[93:94]
	ds_read2_b64 v[93:96], v90 offset0:48 offset1:49
	s_waitcnt lgkmcnt(0)
	v_mul_f64 v[97:98], v[95:96], v[99:100]
	v_fma_f64 v[97:98], v[93:94], v[125:126], -v[97:98]
	v_mul_f64 v[93:94], v[93:94], v[99:100]
	v_add_f64 v[111:112], v[111:112], -v[97:98]
	v_fma_f64 v[93:94], v[95:96], v[125:126], v[93:94]
	v_add_f64 v[113:114], v[113:114], -v[93:94]
	ds_read2_b64 v[93:96], v90 offset0:50 offset1:51
	buffer_load_dword v81, off, s[24:27], 0 ; 4-byte Folded Reload
	buffer_load_dword v82, off, s[24:27], 0 offset:4 ; 4-byte Folded Reload
	buffer_load_dword v83, off, s[24:27], 0 offset:8 ; 4-byte Folded Reload
	;; [unrolled: 1-line block ×3, first 2 shown]
	s_waitcnt lgkmcnt(0)
	v_mul_f64 v[97:98], v[95:96], v[99:100]
	v_fma_f64 v[97:98], v[93:94], v[125:126], -v[97:98]
	v_mul_f64 v[93:94], v[93:94], v[99:100]
	v_fma_f64 v[93:94], v[95:96], v[125:126], v[93:94]
	s_waitcnt vmcnt(2)
	v_add_f64 v[81:82], v[81:82], -v[97:98]
	s_waitcnt vmcnt(0)
	v_add_f64 v[83:84], v[83:84], -v[93:94]
	buffer_store_dword v81, off, s[24:27], 0 ; 4-byte Folded Spill
	s_nop 0
	buffer_store_dword v82, off, s[24:27], 0 offset:4 ; 4-byte Folded Spill
	buffer_store_dword v83, off, s[24:27], 0 offset:8 ; 4-byte Folded Spill
	;; [unrolled: 1-line block ×3, first 2 shown]
	ds_read2_b64 v[93:96], v90 offset0:52 offset1:53
	s_waitcnt lgkmcnt(0)
	v_mul_f64 v[97:98], v[95:96], v[99:100]
	v_fma_f64 v[97:98], v[93:94], v[125:126], -v[97:98]
	v_mul_f64 v[93:94], v[93:94], v[99:100]
	v_add_f64 v[77:78], v[77:78], -v[97:98]
	v_fma_f64 v[93:94], v[95:96], v[125:126], v[93:94]
	v_add_f64 v[79:80], v[79:80], -v[93:94]
	ds_read2_b64 v[93:96], v90 offset0:54 offset1:55
	s_waitcnt lgkmcnt(0)
	v_mul_f64 v[97:98], v[95:96], v[99:100]
	v_fma_f64 v[97:98], v[93:94], v[125:126], -v[97:98]
	v_mul_f64 v[93:94], v[93:94], v[99:100]
	v_add_f64 v[73:74], v[73:74], -v[97:98]
	v_fma_f64 v[93:94], v[95:96], v[125:126], v[93:94]
	v_add_f64 v[75:76], v[75:76], -v[93:94]
	;; [unrolled: 8-line block ×20, first 2 shown]
	ds_read2_b64 v[93:96], v90 offset0:92 offset1:93
	s_waitcnt lgkmcnt(0)
	v_mul_f64 v[97:98], v[95:96], v[99:100]
	v_fma_f64 v[97:98], v[93:94], v[125:126], -v[97:98]
	v_mul_f64 v[93:94], v[93:94], v[99:100]
	v_add_f64 v[121:122], v[121:122], -v[97:98]
	v_fma_f64 v[93:94], v[95:96], v[125:126], v[93:94]
	v_mov_b32_e32 v97, v125
	v_mov_b32_e32 v98, v126
	buffer_store_dword v97, off, s[24:27], 0 offset:160 ; 4-byte Folded Spill
	s_nop 0
	buffer_store_dword v98, off, s[24:27], 0 offset:164 ; 4-byte Folded Spill
	buffer_store_dword v99, off, s[24:27], 0 offset:168 ; 4-byte Folded Spill
	;; [unrolled: 1-line block ×3, first 2 shown]
	v_add_f64 v[123:124], v[123:124], -v[93:94]
.LBB92_293:
	s_or_b64 exec, exec, s[0:1]
	s_waitcnt vmcnt(0)
	s_barrier
	buffer_load_dword v81, off, s[24:27], 0 offset:144 ; 4-byte Folded Reload
	buffer_load_dword v82, off, s[24:27], 0 offset:148 ; 4-byte Folded Reload
	;; [unrolled: 1-line block ×4, first 2 shown]
	v_lshl_add_u32 v93, v92, 4, v90
	s_cmp_lt_i32 s3, 16
	s_waitcnt vmcnt(0)
	ds_write2_b64 v93, v[81:82], v[83:84] offset1:1
	s_waitcnt lgkmcnt(0)
	s_barrier
	ds_read2_b64 v[117:120], v90 offset0:28 offset1:29
	v_mov_b32_e32 v93, 14
	s_cbranch_scc1 .LBB92_296
; %bb.294:
	v_add_u32_e32 v94, 0xf0, v90
	s_mov_b32 s0, 15
	v_mov_b32_e32 v93, 14
.LBB92_295:                             ; =>This Inner Loop Header: Depth=1
	s_waitcnt lgkmcnt(0)
	v_cmp_gt_f64_e32 vcc, 0, v[117:118]
	v_xor_b32_e32 v99, 0x80000000, v118
	ds_read2_b64 v[95:98], v94 offset1:1
	v_xor_b32_e32 v101, 0x80000000, v120
	v_add_u32_e32 v94, 16, v94
	s_waitcnt lgkmcnt(0)
	v_xor_b32_e32 v103, 0x80000000, v98
	v_cndmask_b32_e32 v100, v118, v99, vcc
	v_cmp_gt_f64_e32 vcc, 0, v[119:120]
	v_mov_b32_e32 v99, v117
	v_cndmask_b32_e32 v102, v120, v101, vcc
	v_cmp_gt_f64_e32 vcc, 0, v[95:96]
	v_mov_b32_e32 v101, v119
	v_add_f64 v[99:100], v[99:100], v[101:102]
	v_xor_b32_e32 v101, 0x80000000, v96
	v_cndmask_b32_e32 v102, v96, v101, vcc
	v_cmp_gt_f64_e32 vcc, 0, v[97:98]
	v_mov_b32_e32 v101, v95
	v_cndmask_b32_e32 v104, v98, v103, vcc
	v_mov_b32_e32 v103, v97
	v_add_f64 v[101:102], v[101:102], v[103:104]
	v_cmp_lt_f64_e32 vcc, v[99:100], v[101:102]
	v_cndmask_b32_e32 v117, v117, v95, vcc
	v_mov_b32_e32 v95, s0
	s_add_i32 s0, s0, 1
	v_cndmask_b32_e32 v118, v118, v96, vcc
	v_cndmask_b32_e32 v120, v120, v98, vcc
	;; [unrolled: 1-line block ×4, first 2 shown]
	s_cmp_lg_u32 s3, s0
	s_cbranch_scc1 .LBB92_295
.LBB92_296:
	s_waitcnt lgkmcnt(0)
	v_cmp_eq_f64_e32 vcc, 0, v[117:118]
	v_cmp_eq_f64_e64 s[0:1], 0, v[119:120]
	s_and_b64 s[0:1], vcc, s[0:1]
	s_and_saveexec_b64 s[18:19], s[0:1]
	s_xor_b64 s[0:1], exec, s[18:19]
; %bb.297:
	v_cmp_ne_u32_e32 vcc, 0, v91
	v_cndmask_b32_e32 v91, 15, v91, vcc
; %bb.298:
	s_andn2_saveexec_b64 s[0:1], s[0:1]
	s_cbranch_execz .LBB92_304
; %bb.299:
	v_cmp_ngt_f64_e64 s[18:19], |v[117:118]|, |v[119:120]|
	s_and_saveexec_b64 s[20:21], s[18:19]
	s_xor_b64 s[18:19], exec, s[20:21]
	s_cbranch_execz .LBB92_301
; %bb.300:
	v_div_scale_f64 v[94:95], s[20:21], v[119:120], v[119:120], v[117:118]
	v_rcp_f64_e32 v[96:97], v[94:95]
	v_fma_f64 v[98:99], -v[94:95], v[96:97], 1.0
	v_fma_f64 v[96:97], v[96:97], v[98:99], v[96:97]
	v_div_scale_f64 v[98:99], vcc, v[117:118], v[119:120], v[117:118]
	v_fma_f64 v[100:101], -v[94:95], v[96:97], 1.0
	v_fma_f64 v[96:97], v[96:97], v[100:101], v[96:97]
	v_mul_f64 v[100:101], v[98:99], v[96:97]
	v_fma_f64 v[94:95], -v[94:95], v[100:101], v[98:99]
	v_div_fmas_f64 v[94:95], v[94:95], v[96:97], v[100:101]
	v_div_fixup_f64 v[94:95], v[94:95], v[119:120], v[117:118]
	v_fma_f64 v[96:97], v[117:118], v[94:95], v[119:120]
	v_div_scale_f64 v[98:99], s[20:21], v[96:97], v[96:97], 1.0
	v_div_scale_f64 v[104:105], vcc, 1.0, v[96:97], 1.0
	v_rcp_f64_e32 v[100:101], v[98:99]
	v_fma_f64 v[102:103], -v[98:99], v[100:101], 1.0
	v_fma_f64 v[100:101], v[100:101], v[102:103], v[100:101]
	v_fma_f64 v[102:103], -v[98:99], v[100:101], 1.0
	v_fma_f64 v[100:101], v[100:101], v[102:103], v[100:101]
	v_mul_f64 v[102:103], v[104:105], v[100:101]
	v_fma_f64 v[98:99], -v[98:99], v[102:103], v[104:105]
	v_div_fmas_f64 v[98:99], v[98:99], v[100:101], v[102:103]
	v_div_fixup_f64 v[119:120], v[98:99], v[96:97], 1.0
	v_mul_f64 v[117:118], v[94:95], v[119:120]
	v_xor_b32_e32 v120, 0x80000000, v120
.LBB92_301:
	s_andn2_saveexec_b64 s[18:19], s[18:19]
	s_cbranch_execz .LBB92_303
; %bb.302:
	v_div_scale_f64 v[94:95], s[20:21], v[117:118], v[117:118], v[119:120]
	v_rcp_f64_e32 v[96:97], v[94:95]
	v_fma_f64 v[98:99], -v[94:95], v[96:97], 1.0
	v_fma_f64 v[96:97], v[96:97], v[98:99], v[96:97]
	v_div_scale_f64 v[98:99], vcc, v[119:120], v[117:118], v[119:120]
	v_fma_f64 v[100:101], -v[94:95], v[96:97], 1.0
	v_fma_f64 v[96:97], v[96:97], v[100:101], v[96:97]
	v_mul_f64 v[100:101], v[98:99], v[96:97]
	v_fma_f64 v[94:95], -v[94:95], v[100:101], v[98:99]
	v_div_fmas_f64 v[94:95], v[94:95], v[96:97], v[100:101]
	v_div_fixup_f64 v[94:95], v[94:95], v[117:118], v[119:120]
	v_fma_f64 v[96:97], v[119:120], v[94:95], v[117:118]
	v_div_scale_f64 v[98:99], s[20:21], v[96:97], v[96:97], 1.0
	v_div_scale_f64 v[104:105], vcc, 1.0, v[96:97], 1.0
	v_rcp_f64_e32 v[100:101], v[98:99]
	v_fma_f64 v[102:103], -v[98:99], v[100:101], 1.0
	v_fma_f64 v[100:101], v[100:101], v[102:103], v[100:101]
	v_fma_f64 v[102:103], -v[98:99], v[100:101], 1.0
	v_fma_f64 v[100:101], v[100:101], v[102:103], v[100:101]
	v_mul_f64 v[102:103], v[104:105], v[100:101]
	v_fma_f64 v[98:99], -v[98:99], v[102:103], v[104:105]
	v_div_fmas_f64 v[98:99], v[98:99], v[100:101], v[102:103]
	v_div_fixup_f64 v[117:118], v[98:99], v[96:97], 1.0
	v_mul_f64 v[119:120], v[94:95], -v[117:118]
.LBB92_303:
	s_or_b64 exec, exec, s[18:19]
.LBB92_304:
	s_or_b64 exec, exec, s[0:1]
	v_cmp_ne_u32_e32 vcc, v92, v93
	s_and_saveexec_b64 s[0:1], vcc
	s_xor_b64 s[0:1], exec, s[0:1]
	s_cbranch_execz .LBB92_310
; %bb.305:
	v_cmp_eq_u32_e32 vcc, 14, v92
	s_and_saveexec_b64 s[18:19], vcc
	s_cbranch_execz .LBB92_309
; %bb.306:
	v_cmp_ne_u32_e32 vcc, 14, v93
	s_xor_b64 s[20:21], s[6:7], -1
	s_and_b64 s[22:23], s[20:21], vcc
	s_and_saveexec_b64 s[20:21], s[22:23]
	s_cbranch_execz .LBB92_308
; %bb.307:
	v_mov_b32_e32 v81, v85
	v_mov_b32_e32 v82, v86
	;; [unrolled: 1-line block ×4, first 2 shown]
	buffer_load_dword v85, off, s[24:27], 0 offset:336 ; 4-byte Folded Reload
	buffer_load_dword v86, off, s[24:27], 0 offset:340 ; 4-byte Folded Reload
	v_ashrrev_i32_e32 v94, 31, v93
	v_lshlrev_b64 v[94:95], 2, v[93:94]
	s_waitcnt vmcnt(1)
	v_add_co_u32_e32 v94, vcc, v85, v94
	s_waitcnt vmcnt(0)
	v_addc_co_u32_e32 v95, vcc, v86, v95, vcc
	global_load_dword v0, v[94:95], off
	global_load_dword v92, v[85:86], off offset:56
	s_waitcnt vmcnt(1)
	global_store_dword v[85:86], v0, off offset:56
	v_mov_b32_e32 v88, v84
	v_mov_b32_e32 v87, v83
	;; [unrolled: 1-line block ×4, first 2 shown]
	s_waitcnt vmcnt(1)
	global_store_dword v[94:95], v92, off
.LBB92_308:
	s_or_b64 exec, exec, s[20:21]
	v_mov_b32_e32 v92, v93
	v_mov_b32_e32 v0, v93
.LBB92_309:
	s_or_b64 exec, exec, s[18:19]
.LBB92_310:
	s_andn2_saveexec_b64 s[0:1], s[0:1]
	s_cbranch_execz .LBB92_312
; %bb.311:
	buffer_load_dword v81, off, s[24:27], 0 offset:128 ; 4-byte Folded Reload
	buffer_load_dword v82, off, s[24:27], 0 offset:132 ; 4-byte Folded Reload
	;; [unrolled: 1-line block ×4, first 2 shown]
	v_mov_b32_e32 v92, 14
	s_waitcnt vmcnt(0)
	ds_write2_b64 v90, v[81:82], v[83:84] offset0:30 offset1:31
	buffer_load_dword v81, off, s[24:27], 0 offset:112 ; 4-byte Folded Reload
	buffer_load_dword v82, off, s[24:27], 0 offset:116 ; 4-byte Folded Reload
	buffer_load_dword v83, off, s[24:27], 0 offset:120 ; 4-byte Folded Reload
	buffer_load_dword v84, off, s[24:27], 0 offset:124 ; 4-byte Folded Reload
	s_waitcnt vmcnt(0)
	ds_write2_b64 v90, v[81:82], v[83:84] offset0:32 offset1:33
	buffer_load_dword v81, off, s[24:27], 0 offset:96 ; 4-byte Folded Reload
	buffer_load_dword v82, off, s[24:27], 0 offset:100 ; 4-byte Folded Reload
	buffer_load_dword v83, off, s[24:27], 0 offset:104 ; 4-byte Folded Reload
	buffer_load_dword v84, off, s[24:27], 0 offset:108 ; 4-byte Folded Reload
	;; [unrolled: 6-line block ×7, first 2 shown]
	s_waitcnt vmcnt(0)
	ds_write2_b64 v90, v[81:82], v[83:84] offset0:44 offset1:45
	ds_write2_b64 v90, v[85:86], v[87:88] offset0:46 offset1:47
	;; [unrolled: 1-line block ×3, first 2 shown]
	buffer_load_dword v81, off, s[24:27], 0 ; 4-byte Folded Reload
	buffer_load_dword v82, off, s[24:27], 0 offset:4 ; 4-byte Folded Reload
	buffer_load_dword v83, off, s[24:27], 0 offset:8 ; 4-byte Folded Reload
	buffer_load_dword v84, off, s[24:27], 0 offset:12 ; 4-byte Folded Reload
	s_waitcnt vmcnt(0)
	ds_write2_b64 v90, v[81:82], v[83:84] offset0:50 offset1:51
	ds_write2_b64 v90, v[77:78], v[79:80] offset0:52 offset1:53
	;; [unrolled: 1-line block ×22, first 2 shown]
.LBB92_312:
	s_or_b64 exec, exec, s[0:1]
	v_cmp_lt_i32_e32 vcc, 14, v92
	s_waitcnt vmcnt(0) lgkmcnt(0)
	s_barrier
	s_and_saveexec_b64 s[0:1], vcc
	s_cbranch_execz .LBB92_314
; %bb.313:
	buffer_load_dword v97, off, s[24:27], 0 offset:144 ; 4-byte Folded Reload
	buffer_load_dword v98, off, s[24:27], 0 offset:148 ; 4-byte Folded Reload
	;; [unrolled: 1-line block ×4, first 2 shown]
	s_waitcnt vmcnt(0)
	v_mul_f64 v[93:94], v[119:120], v[99:100]
	v_fma_f64 v[125:126], v[117:118], v[97:98], -v[93:94]
	v_mul_f64 v[93:94], v[117:118], v[99:100]
	v_fma_f64 v[99:100], v[119:120], v[97:98], v[93:94]
	ds_read2_b64 v[93:96], v90 offset0:30 offset1:31
	buffer_load_dword v81, off, s[24:27], 0 offset:128 ; 4-byte Folded Reload
	buffer_load_dword v82, off, s[24:27], 0 offset:132 ; 4-byte Folded Reload
	buffer_load_dword v83, off, s[24:27], 0 offset:136 ; 4-byte Folded Reload
	buffer_load_dword v84, off, s[24:27], 0 offset:140 ; 4-byte Folded Reload
	s_waitcnt lgkmcnt(0)
	v_mul_f64 v[97:98], v[95:96], v[99:100]
	v_fma_f64 v[97:98], v[93:94], v[125:126], -v[97:98]
	v_mul_f64 v[93:94], v[93:94], v[99:100]
	v_fma_f64 v[93:94], v[95:96], v[125:126], v[93:94]
	s_waitcnt vmcnt(2)
	v_add_f64 v[81:82], v[81:82], -v[97:98]
	s_waitcnt vmcnt(0)
	v_add_f64 v[83:84], v[83:84], -v[93:94]
	buffer_store_dword v81, off, s[24:27], 0 offset:128 ; 4-byte Folded Spill
	s_nop 0
	buffer_store_dword v82, off, s[24:27], 0 offset:132 ; 4-byte Folded Spill
	buffer_store_dword v83, off, s[24:27], 0 offset:136 ; 4-byte Folded Spill
	buffer_store_dword v84, off, s[24:27], 0 offset:140 ; 4-byte Folded Spill
	ds_read2_b64 v[93:96], v90 offset0:32 offset1:33
	buffer_load_dword v81, off, s[24:27], 0 offset:112 ; 4-byte Folded Reload
	buffer_load_dword v82, off, s[24:27], 0 offset:116 ; 4-byte Folded Reload
	buffer_load_dword v83, off, s[24:27], 0 offset:120 ; 4-byte Folded Reload
	buffer_load_dword v84, off, s[24:27], 0 offset:124 ; 4-byte Folded Reload
	s_waitcnt lgkmcnt(0)
	v_mul_f64 v[97:98], v[95:96], v[99:100]
	v_fma_f64 v[97:98], v[93:94], v[125:126], -v[97:98]
	v_mul_f64 v[93:94], v[93:94], v[99:100]
	v_fma_f64 v[93:94], v[95:96], v[125:126], v[93:94]
	s_waitcnt vmcnt(2)
	v_add_f64 v[81:82], v[81:82], -v[97:98]
	s_waitcnt vmcnt(0)
	v_add_f64 v[83:84], v[83:84], -v[93:94]
	buffer_store_dword v81, off, s[24:27], 0 offset:112 ; 4-byte Folded Spill
	s_nop 0
	buffer_store_dword v82, off, s[24:27], 0 offset:116 ; 4-byte Folded Spill
	buffer_store_dword v83, off, s[24:27], 0 offset:120 ; 4-byte Folded Spill
	buffer_store_dword v84, off, s[24:27], 0 offset:124 ; 4-byte Folded Spill
	ds_read2_b64 v[93:96], v90 offset0:34 offset1:35
	buffer_load_dword v81, off, s[24:27], 0 offset:96 ; 4-byte Folded Reload
	buffer_load_dword v82, off, s[24:27], 0 offset:100 ; 4-byte Folded Reload
	buffer_load_dword v83, off, s[24:27], 0 offset:104 ; 4-byte Folded Reload
	buffer_load_dword v84, off, s[24:27], 0 offset:108 ; 4-byte Folded Reload
	s_waitcnt lgkmcnt(0)
	v_mul_f64 v[97:98], v[95:96], v[99:100]
	v_fma_f64 v[97:98], v[93:94], v[125:126], -v[97:98]
	v_mul_f64 v[93:94], v[93:94], v[99:100]
	v_fma_f64 v[93:94], v[95:96], v[125:126], v[93:94]
	s_waitcnt vmcnt(2)
	v_add_f64 v[81:82], v[81:82], -v[97:98]
	s_waitcnt vmcnt(0)
	v_add_f64 v[83:84], v[83:84], -v[93:94]
	buffer_store_dword v81, off, s[24:27], 0 offset:96 ; 4-byte Folded Spill
	s_nop 0
	buffer_store_dword v82, off, s[24:27], 0 offset:100 ; 4-byte Folded Spill
	buffer_store_dword v83, off, s[24:27], 0 offset:104 ; 4-byte Folded Spill
	buffer_store_dword v84, off, s[24:27], 0 offset:108 ; 4-byte Folded Spill
	ds_read2_b64 v[93:96], v90 offset0:36 offset1:37
	buffer_load_dword v81, off, s[24:27], 0 offset:80 ; 4-byte Folded Reload
	buffer_load_dword v82, off, s[24:27], 0 offset:84 ; 4-byte Folded Reload
	buffer_load_dword v83, off, s[24:27], 0 offset:88 ; 4-byte Folded Reload
	buffer_load_dword v84, off, s[24:27], 0 offset:92 ; 4-byte Folded Reload
	s_waitcnt lgkmcnt(0)
	v_mul_f64 v[97:98], v[95:96], v[99:100]
	v_fma_f64 v[97:98], v[93:94], v[125:126], -v[97:98]
	v_mul_f64 v[93:94], v[93:94], v[99:100]
	v_fma_f64 v[93:94], v[95:96], v[125:126], v[93:94]
	s_waitcnt vmcnt(2)
	v_add_f64 v[81:82], v[81:82], -v[97:98]
	s_waitcnt vmcnt(0)
	v_add_f64 v[83:84], v[83:84], -v[93:94]
	buffer_store_dword v81, off, s[24:27], 0 offset:80 ; 4-byte Folded Spill
	s_nop 0
	buffer_store_dword v82, off, s[24:27], 0 offset:84 ; 4-byte Folded Spill
	buffer_store_dword v83, off, s[24:27], 0 offset:88 ; 4-byte Folded Spill
	buffer_store_dword v84, off, s[24:27], 0 offset:92 ; 4-byte Folded Spill
	ds_read2_b64 v[93:96], v90 offset0:38 offset1:39
	buffer_load_dword v81, off, s[24:27], 0 offset:64 ; 4-byte Folded Reload
	buffer_load_dword v82, off, s[24:27], 0 offset:68 ; 4-byte Folded Reload
	buffer_load_dword v83, off, s[24:27], 0 offset:72 ; 4-byte Folded Reload
	buffer_load_dword v84, off, s[24:27], 0 offset:76 ; 4-byte Folded Reload
	s_waitcnt lgkmcnt(0)
	v_mul_f64 v[97:98], v[95:96], v[99:100]
	v_fma_f64 v[97:98], v[93:94], v[125:126], -v[97:98]
	v_mul_f64 v[93:94], v[93:94], v[99:100]
	v_fma_f64 v[93:94], v[95:96], v[125:126], v[93:94]
	s_waitcnt vmcnt(2)
	v_add_f64 v[81:82], v[81:82], -v[97:98]
	s_waitcnt vmcnt(0)
	v_add_f64 v[83:84], v[83:84], -v[93:94]
	buffer_store_dword v81, off, s[24:27], 0 offset:64 ; 4-byte Folded Spill
	s_nop 0
	buffer_store_dword v82, off, s[24:27], 0 offset:68 ; 4-byte Folded Spill
	buffer_store_dword v83, off, s[24:27], 0 offset:72 ; 4-byte Folded Spill
	buffer_store_dword v84, off, s[24:27], 0 offset:76 ; 4-byte Folded Spill
	ds_read2_b64 v[93:96], v90 offset0:40 offset1:41
	buffer_load_dword v81, off, s[24:27], 0 offset:48 ; 4-byte Folded Reload
	buffer_load_dword v82, off, s[24:27], 0 offset:52 ; 4-byte Folded Reload
	buffer_load_dword v83, off, s[24:27], 0 offset:56 ; 4-byte Folded Reload
	buffer_load_dword v84, off, s[24:27], 0 offset:60 ; 4-byte Folded Reload
	s_waitcnt lgkmcnt(0)
	v_mul_f64 v[97:98], v[95:96], v[99:100]
	v_fma_f64 v[97:98], v[93:94], v[125:126], -v[97:98]
	v_mul_f64 v[93:94], v[93:94], v[99:100]
	v_fma_f64 v[93:94], v[95:96], v[125:126], v[93:94]
	s_waitcnt vmcnt(2)
	v_add_f64 v[81:82], v[81:82], -v[97:98]
	s_waitcnt vmcnt(0)
	v_add_f64 v[83:84], v[83:84], -v[93:94]
	buffer_store_dword v81, off, s[24:27], 0 offset:48 ; 4-byte Folded Spill
	s_nop 0
	buffer_store_dword v82, off, s[24:27], 0 offset:52 ; 4-byte Folded Spill
	buffer_store_dword v83, off, s[24:27], 0 offset:56 ; 4-byte Folded Spill
	buffer_store_dword v84, off, s[24:27], 0 offset:60 ; 4-byte Folded Spill
	ds_read2_b64 v[93:96], v90 offset0:42 offset1:43
	buffer_load_dword v81, off, s[24:27], 0 offset:32 ; 4-byte Folded Reload
	buffer_load_dword v82, off, s[24:27], 0 offset:36 ; 4-byte Folded Reload
	buffer_load_dword v83, off, s[24:27], 0 offset:40 ; 4-byte Folded Reload
	buffer_load_dword v84, off, s[24:27], 0 offset:44 ; 4-byte Folded Reload
	s_waitcnt lgkmcnt(0)
	v_mul_f64 v[97:98], v[95:96], v[99:100]
	v_fma_f64 v[97:98], v[93:94], v[125:126], -v[97:98]
	v_mul_f64 v[93:94], v[93:94], v[99:100]
	v_fma_f64 v[93:94], v[95:96], v[125:126], v[93:94]
	s_waitcnt vmcnt(2)
	v_add_f64 v[81:82], v[81:82], -v[97:98]
	s_waitcnt vmcnt(0)
	v_add_f64 v[83:84], v[83:84], -v[93:94]
	buffer_store_dword v81, off, s[24:27], 0 offset:32 ; 4-byte Folded Spill
	s_nop 0
	buffer_store_dword v82, off, s[24:27], 0 offset:36 ; 4-byte Folded Spill
	buffer_store_dword v83, off, s[24:27], 0 offset:40 ; 4-byte Folded Spill
	buffer_store_dword v84, off, s[24:27], 0 offset:44 ; 4-byte Folded Spill
	ds_read2_b64 v[93:96], v90 offset0:44 offset1:45
	buffer_load_dword v81, off, s[24:27], 0 offset:16 ; 4-byte Folded Reload
	buffer_load_dword v82, off, s[24:27], 0 offset:20 ; 4-byte Folded Reload
	buffer_load_dword v83, off, s[24:27], 0 offset:24 ; 4-byte Folded Reload
	buffer_load_dword v84, off, s[24:27], 0 offset:28 ; 4-byte Folded Reload
	s_waitcnt lgkmcnt(0)
	v_mul_f64 v[97:98], v[95:96], v[99:100]
	v_fma_f64 v[97:98], v[93:94], v[125:126], -v[97:98]
	v_mul_f64 v[93:94], v[93:94], v[99:100]
	v_fma_f64 v[93:94], v[95:96], v[125:126], v[93:94]
	s_waitcnt vmcnt(2)
	v_add_f64 v[81:82], v[81:82], -v[97:98]
	s_waitcnt vmcnt(0)
	v_add_f64 v[83:84], v[83:84], -v[93:94]
	buffer_store_dword v81, off, s[24:27], 0 offset:16 ; 4-byte Folded Spill
	s_nop 0
	buffer_store_dword v82, off, s[24:27], 0 offset:20 ; 4-byte Folded Spill
	buffer_store_dword v83, off, s[24:27], 0 offset:24 ; 4-byte Folded Spill
	buffer_store_dword v84, off, s[24:27], 0 offset:28 ; 4-byte Folded Spill
	ds_read2_b64 v[93:96], v90 offset0:46 offset1:47
	s_waitcnt lgkmcnt(0)
	v_mul_f64 v[97:98], v[95:96], v[99:100]
	v_fma_f64 v[97:98], v[93:94], v[125:126], -v[97:98]
	v_mul_f64 v[93:94], v[93:94], v[99:100]
	v_add_f64 v[85:86], v[85:86], -v[97:98]
	v_fma_f64 v[93:94], v[95:96], v[125:126], v[93:94]
	v_add_f64 v[87:88], v[87:88], -v[93:94]
	ds_read2_b64 v[93:96], v90 offset0:48 offset1:49
	s_waitcnt lgkmcnt(0)
	v_mul_f64 v[97:98], v[95:96], v[99:100]
	v_fma_f64 v[97:98], v[93:94], v[125:126], -v[97:98]
	v_mul_f64 v[93:94], v[93:94], v[99:100]
	v_add_f64 v[111:112], v[111:112], -v[97:98]
	v_fma_f64 v[93:94], v[95:96], v[125:126], v[93:94]
	v_add_f64 v[113:114], v[113:114], -v[93:94]
	ds_read2_b64 v[93:96], v90 offset0:50 offset1:51
	buffer_load_dword v81, off, s[24:27], 0 ; 4-byte Folded Reload
	buffer_load_dword v82, off, s[24:27], 0 offset:4 ; 4-byte Folded Reload
	buffer_load_dword v83, off, s[24:27], 0 offset:8 ; 4-byte Folded Reload
	;; [unrolled: 1-line block ×3, first 2 shown]
	s_waitcnt lgkmcnt(0)
	v_mul_f64 v[97:98], v[95:96], v[99:100]
	v_fma_f64 v[97:98], v[93:94], v[125:126], -v[97:98]
	v_mul_f64 v[93:94], v[93:94], v[99:100]
	v_fma_f64 v[93:94], v[95:96], v[125:126], v[93:94]
	s_waitcnt vmcnt(2)
	v_add_f64 v[81:82], v[81:82], -v[97:98]
	s_waitcnt vmcnt(0)
	v_add_f64 v[83:84], v[83:84], -v[93:94]
	buffer_store_dword v81, off, s[24:27], 0 ; 4-byte Folded Spill
	s_nop 0
	buffer_store_dword v82, off, s[24:27], 0 offset:4 ; 4-byte Folded Spill
	buffer_store_dword v83, off, s[24:27], 0 offset:8 ; 4-byte Folded Spill
	;; [unrolled: 1-line block ×3, first 2 shown]
	ds_read2_b64 v[93:96], v90 offset0:52 offset1:53
	s_waitcnt lgkmcnt(0)
	v_mul_f64 v[97:98], v[95:96], v[99:100]
	v_fma_f64 v[97:98], v[93:94], v[125:126], -v[97:98]
	v_mul_f64 v[93:94], v[93:94], v[99:100]
	v_add_f64 v[77:78], v[77:78], -v[97:98]
	v_fma_f64 v[93:94], v[95:96], v[125:126], v[93:94]
	v_add_f64 v[79:80], v[79:80], -v[93:94]
	ds_read2_b64 v[93:96], v90 offset0:54 offset1:55
	s_waitcnt lgkmcnt(0)
	v_mul_f64 v[97:98], v[95:96], v[99:100]
	v_fma_f64 v[97:98], v[93:94], v[125:126], -v[97:98]
	v_mul_f64 v[93:94], v[93:94], v[99:100]
	v_add_f64 v[73:74], v[73:74], -v[97:98]
	v_fma_f64 v[93:94], v[95:96], v[125:126], v[93:94]
	v_add_f64 v[75:76], v[75:76], -v[93:94]
	;; [unrolled: 8-line block ×20, first 2 shown]
	ds_read2_b64 v[93:96], v90 offset0:92 offset1:93
	s_waitcnt lgkmcnt(0)
	v_mul_f64 v[97:98], v[95:96], v[99:100]
	v_fma_f64 v[97:98], v[93:94], v[125:126], -v[97:98]
	v_mul_f64 v[93:94], v[93:94], v[99:100]
	v_add_f64 v[121:122], v[121:122], -v[97:98]
	v_fma_f64 v[93:94], v[95:96], v[125:126], v[93:94]
	v_mov_b32_e32 v97, v125
	v_mov_b32_e32 v98, v126
	buffer_store_dword v97, off, s[24:27], 0 offset:144 ; 4-byte Folded Spill
	s_nop 0
	buffer_store_dword v98, off, s[24:27], 0 offset:148 ; 4-byte Folded Spill
	buffer_store_dword v99, off, s[24:27], 0 offset:152 ; 4-byte Folded Spill
	;; [unrolled: 1-line block ×3, first 2 shown]
	v_add_f64 v[123:124], v[123:124], -v[93:94]
.LBB92_314:
	s_or_b64 exec, exec, s[0:1]
	s_waitcnt vmcnt(0)
	s_barrier
	buffer_load_dword v81, off, s[24:27], 0 offset:128 ; 4-byte Folded Reload
	buffer_load_dword v82, off, s[24:27], 0 offset:132 ; 4-byte Folded Reload
	buffer_load_dword v83, off, s[24:27], 0 offset:136 ; 4-byte Folded Reload
	buffer_load_dword v84, off, s[24:27], 0 offset:140 ; 4-byte Folded Reload
	v_lshl_add_u32 v93, v92, 4, v90
	s_cmp_lt_i32 s3, 17
	s_waitcnt vmcnt(0)
	ds_write2_b64 v93, v[81:82], v[83:84] offset1:1
	s_waitcnt lgkmcnt(0)
	s_barrier
	ds_read2_b64 v[117:120], v90 offset0:30 offset1:31
	v_mov_b32_e32 v93, 15
	s_cbranch_scc1 .LBB92_317
; %bb.315:
	v_add_u32_e32 v94, 0x100, v90
	s_mov_b32 s0, 16
	v_mov_b32_e32 v93, 15
.LBB92_316:                             ; =>This Inner Loop Header: Depth=1
	s_waitcnt lgkmcnt(0)
	v_cmp_gt_f64_e32 vcc, 0, v[117:118]
	v_xor_b32_e32 v99, 0x80000000, v118
	ds_read2_b64 v[95:98], v94 offset1:1
	v_xor_b32_e32 v101, 0x80000000, v120
	v_add_u32_e32 v94, 16, v94
	s_waitcnt lgkmcnt(0)
	v_xor_b32_e32 v103, 0x80000000, v98
	v_cndmask_b32_e32 v100, v118, v99, vcc
	v_cmp_gt_f64_e32 vcc, 0, v[119:120]
	v_mov_b32_e32 v99, v117
	v_cndmask_b32_e32 v102, v120, v101, vcc
	v_cmp_gt_f64_e32 vcc, 0, v[95:96]
	v_mov_b32_e32 v101, v119
	v_add_f64 v[99:100], v[99:100], v[101:102]
	v_xor_b32_e32 v101, 0x80000000, v96
	v_cndmask_b32_e32 v102, v96, v101, vcc
	v_cmp_gt_f64_e32 vcc, 0, v[97:98]
	v_mov_b32_e32 v101, v95
	v_cndmask_b32_e32 v104, v98, v103, vcc
	v_mov_b32_e32 v103, v97
	v_add_f64 v[101:102], v[101:102], v[103:104]
	v_cmp_lt_f64_e32 vcc, v[99:100], v[101:102]
	v_cndmask_b32_e32 v117, v117, v95, vcc
	v_mov_b32_e32 v95, s0
	s_add_i32 s0, s0, 1
	v_cndmask_b32_e32 v118, v118, v96, vcc
	v_cndmask_b32_e32 v120, v120, v98, vcc
	;; [unrolled: 1-line block ×4, first 2 shown]
	s_cmp_lg_u32 s3, s0
	s_cbranch_scc1 .LBB92_316
.LBB92_317:
	s_waitcnt lgkmcnt(0)
	v_cmp_eq_f64_e32 vcc, 0, v[117:118]
	v_cmp_eq_f64_e64 s[0:1], 0, v[119:120]
	s_and_b64 s[0:1], vcc, s[0:1]
	s_and_saveexec_b64 s[18:19], s[0:1]
	s_xor_b64 s[0:1], exec, s[18:19]
; %bb.318:
	v_cmp_ne_u32_e32 vcc, 0, v91
	v_cndmask_b32_e32 v91, 16, v91, vcc
; %bb.319:
	s_andn2_saveexec_b64 s[0:1], s[0:1]
	s_cbranch_execz .LBB92_325
; %bb.320:
	v_cmp_ngt_f64_e64 s[18:19], |v[117:118]|, |v[119:120]|
	s_and_saveexec_b64 s[20:21], s[18:19]
	s_xor_b64 s[18:19], exec, s[20:21]
	s_cbranch_execz .LBB92_322
; %bb.321:
	v_div_scale_f64 v[94:95], s[20:21], v[119:120], v[119:120], v[117:118]
	v_rcp_f64_e32 v[96:97], v[94:95]
	v_fma_f64 v[98:99], -v[94:95], v[96:97], 1.0
	v_fma_f64 v[96:97], v[96:97], v[98:99], v[96:97]
	v_div_scale_f64 v[98:99], vcc, v[117:118], v[119:120], v[117:118]
	v_fma_f64 v[100:101], -v[94:95], v[96:97], 1.0
	v_fma_f64 v[96:97], v[96:97], v[100:101], v[96:97]
	v_mul_f64 v[100:101], v[98:99], v[96:97]
	v_fma_f64 v[94:95], -v[94:95], v[100:101], v[98:99]
	v_div_fmas_f64 v[94:95], v[94:95], v[96:97], v[100:101]
	v_div_fixup_f64 v[94:95], v[94:95], v[119:120], v[117:118]
	v_fma_f64 v[96:97], v[117:118], v[94:95], v[119:120]
	v_div_scale_f64 v[98:99], s[20:21], v[96:97], v[96:97], 1.0
	v_div_scale_f64 v[104:105], vcc, 1.0, v[96:97], 1.0
	v_rcp_f64_e32 v[100:101], v[98:99]
	v_fma_f64 v[102:103], -v[98:99], v[100:101], 1.0
	v_fma_f64 v[100:101], v[100:101], v[102:103], v[100:101]
	v_fma_f64 v[102:103], -v[98:99], v[100:101], 1.0
	v_fma_f64 v[100:101], v[100:101], v[102:103], v[100:101]
	v_mul_f64 v[102:103], v[104:105], v[100:101]
	v_fma_f64 v[98:99], -v[98:99], v[102:103], v[104:105]
	v_div_fmas_f64 v[98:99], v[98:99], v[100:101], v[102:103]
	v_div_fixup_f64 v[119:120], v[98:99], v[96:97], 1.0
	v_mul_f64 v[117:118], v[94:95], v[119:120]
	v_xor_b32_e32 v120, 0x80000000, v120
.LBB92_322:
	s_andn2_saveexec_b64 s[18:19], s[18:19]
	s_cbranch_execz .LBB92_324
; %bb.323:
	v_div_scale_f64 v[94:95], s[20:21], v[117:118], v[117:118], v[119:120]
	v_rcp_f64_e32 v[96:97], v[94:95]
	v_fma_f64 v[98:99], -v[94:95], v[96:97], 1.0
	v_fma_f64 v[96:97], v[96:97], v[98:99], v[96:97]
	v_div_scale_f64 v[98:99], vcc, v[119:120], v[117:118], v[119:120]
	v_fma_f64 v[100:101], -v[94:95], v[96:97], 1.0
	v_fma_f64 v[96:97], v[96:97], v[100:101], v[96:97]
	v_mul_f64 v[100:101], v[98:99], v[96:97]
	v_fma_f64 v[94:95], -v[94:95], v[100:101], v[98:99]
	v_div_fmas_f64 v[94:95], v[94:95], v[96:97], v[100:101]
	v_div_fixup_f64 v[94:95], v[94:95], v[117:118], v[119:120]
	v_fma_f64 v[96:97], v[119:120], v[94:95], v[117:118]
	v_div_scale_f64 v[98:99], s[20:21], v[96:97], v[96:97], 1.0
	v_div_scale_f64 v[104:105], vcc, 1.0, v[96:97], 1.0
	v_rcp_f64_e32 v[100:101], v[98:99]
	v_fma_f64 v[102:103], -v[98:99], v[100:101], 1.0
	v_fma_f64 v[100:101], v[100:101], v[102:103], v[100:101]
	v_fma_f64 v[102:103], -v[98:99], v[100:101], 1.0
	v_fma_f64 v[100:101], v[100:101], v[102:103], v[100:101]
	v_mul_f64 v[102:103], v[104:105], v[100:101]
	v_fma_f64 v[98:99], -v[98:99], v[102:103], v[104:105]
	v_div_fmas_f64 v[98:99], v[98:99], v[100:101], v[102:103]
	v_div_fixup_f64 v[117:118], v[98:99], v[96:97], 1.0
	v_mul_f64 v[119:120], v[94:95], -v[117:118]
.LBB92_324:
	s_or_b64 exec, exec, s[18:19]
.LBB92_325:
	s_or_b64 exec, exec, s[0:1]
	v_cmp_ne_u32_e32 vcc, v92, v93
	s_and_saveexec_b64 s[0:1], vcc
	s_xor_b64 s[0:1], exec, s[0:1]
	s_cbranch_execz .LBB92_331
; %bb.326:
	v_cmp_eq_u32_e32 vcc, 15, v92
	s_and_saveexec_b64 s[18:19], vcc
	s_cbranch_execz .LBB92_330
; %bb.327:
	v_cmp_ne_u32_e32 vcc, 15, v93
	s_xor_b64 s[20:21], s[6:7], -1
	s_and_b64 s[22:23], s[20:21], vcc
	s_and_saveexec_b64 s[20:21], s[22:23]
	s_cbranch_execz .LBB92_329
; %bb.328:
	v_mov_b32_e32 v81, v85
	v_mov_b32_e32 v82, v86
	;; [unrolled: 1-line block ×4, first 2 shown]
	buffer_load_dword v85, off, s[24:27], 0 offset:336 ; 4-byte Folded Reload
	buffer_load_dword v86, off, s[24:27], 0 offset:340 ; 4-byte Folded Reload
	v_ashrrev_i32_e32 v94, 31, v93
	v_lshlrev_b64 v[94:95], 2, v[93:94]
	s_waitcnt vmcnt(1)
	v_add_co_u32_e32 v94, vcc, v85, v94
	s_waitcnt vmcnt(0)
	v_addc_co_u32_e32 v95, vcc, v86, v95, vcc
	global_load_dword v0, v[94:95], off
	global_load_dword v92, v[85:86], off offset:60
	s_waitcnt vmcnt(1)
	global_store_dword v[85:86], v0, off offset:60
	v_mov_b32_e32 v88, v84
	v_mov_b32_e32 v87, v83
	;; [unrolled: 1-line block ×4, first 2 shown]
	s_waitcnt vmcnt(1)
	global_store_dword v[94:95], v92, off
.LBB92_329:
	s_or_b64 exec, exec, s[20:21]
	v_mov_b32_e32 v92, v93
	v_mov_b32_e32 v0, v93
.LBB92_330:
	s_or_b64 exec, exec, s[18:19]
.LBB92_331:
	s_andn2_saveexec_b64 s[0:1], s[0:1]
	s_cbranch_execz .LBB92_333
; %bb.332:
	buffer_load_dword v81, off, s[24:27], 0 offset:112 ; 4-byte Folded Reload
	buffer_load_dword v82, off, s[24:27], 0 offset:116 ; 4-byte Folded Reload
	;; [unrolled: 1-line block ×4, first 2 shown]
	v_mov_b32_e32 v92, 15
	s_waitcnt vmcnt(0)
	ds_write2_b64 v90, v[81:82], v[83:84] offset0:32 offset1:33
	buffer_load_dword v81, off, s[24:27], 0 offset:96 ; 4-byte Folded Reload
	buffer_load_dword v82, off, s[24:27], 0 offset:100 ; 4-byte Folded Reload
	buffer_load_dword v83, off, s[24:27], 0 offset:104 ; 4-byte Folded Reload
	buffer_load_dword v84, off, s[24:27], 0 offset:108 ; 4-byte Folded Reload
	s_waitcnt vmcnt(0)
	ds_write2_b64 v90, v[81:82], v[83:84] offset0:34 offset1:35
	buffer_load_dword v81, off, s[24:27], 0 offset:80 ; 4-byte Folded Reload
	buffer_load_dword v82, off, s[24:27], 0 offset:84 ; 4-byte Folded Reload
	buffer_load_dword v83, off, s[24:27], 0 offset:88 ; 4-byte Folded Reload
	buffer_load_dword v84, off, s[24:27], 0 offset:92 ; 4-byte Folded Reload
	;; [unrolled: 6-line block ×6, first 2 shown]
	s_waitcnt vmcnt(0)
	ds_write2_b64 v90, v[81:82], v[83:84] offset0:44 offset1:45
	ds_write2_b64 v90, v[85:86], v[87:88] offset0:46 offset1:47
	;; [unrolled: 1-line block ×3, first 2 shown]
	buffer_load_dword v81, off, s[24:27], 0 ; 4-byte Folded Reload
	buffer_load_dword v82, off, s[24:27], 0 offset:4 ; 4-byte Folded Reload
	buffer_load_dword v83, off, s[24:27], 0 offset:8 ; 4-byte Folded Reload
	buffer_load_dword v84, off, s[24:27], 0 offset:12 ; 4-byte Folded Reload
	s_waitcnt vmcnt(0)
	ds_write2_b64 v90, v[81:82], v[83:84] offset0:50 offset1:51
	ds_write2_b64 v90, v[77:78], v[79:80] offset0:52 offset1:53
	ds_write2_b64 v90, v[73:74], v[75:76] offset0:54 offset1:55
	ds_write2_b64 v90, v[69:70], v[71:72] offset0:56 offset1:57
	ds_write2_b64 v90, v[65:66], v[67:68] offset0:58 offset1:59
	ds_write2_b64 v90, v[61:62], v[63:64] offset0:60 offset1:61
	ds_write2_b64 v90, v[57:58], v[59:60] offset0:62 offset1:63
	ds_write2_b64 v90, v[53:54], v[55:56] offset0:64 offset1:65
	ds_write2_b64 v90, v[49:50], v[51:52] offset0:66 offset1:67
	ds_write2_b64 v90, v[45:46], v[47:48] offset0:68 offset1:69
	ds_write2_b64 v90, v[41:42], v[43:44] offset0:70 offset1:71
	ds_write2_b64 v90, v[37:38], v[39:40] offset0:72 offset1:73
	ds_write2_b64 v90, v[33:34], v[35:36] offset0:74 offset1:75
	ds_write2_b64 v90, v[29:30], v[31:32] offset0:76 offset1:77
	ds_write2_b64 v90, v[25:26], v[27:28] offset0:78 offset1:79
	ds_write2_b64 v90, v[21:22], v[23:24] offset0:80 offset1:81
	ds_write2_b64 v90, v[17:18], v[19:20] offset0:82 offset1:83
	ds_write2_b64 v90, v[13:14], v[15:16] offset0:84 offset1:85
	ds_write2_b64 v90, v[9:10], v[11:12] offset0:86 offset1:87
	ds_write2_b64 v90, v[5:6], v[7:8] offset0:88 offset1:89
	ds_write2_b64 v90, v[1:2], v[3:4] offset0:90 offset1:91
	ds_write2_b64 v90, v[121:122], v[123:124] offset0:92 offset1:93
.LBB92_333:
	s_or_b64 exec, exec, s[0:1]
	v_cmp_lt_i32_e32 vcc, 15, v92
	s_waitcnt vmcnt(0) lgkmcnt(0)
	s_barrier
	s_and_saveexec_b64 s[0:1], vcc
	s_cbranch_execz .LBB92_335
; %bb.334:
	buffer_load_dword v97, off, s[24:27], 0 offset:128 ; 4-byte Folded Reload
	buffer_load_dword v98, off, s[24:27], 0 offset:132 ; 4-byte Folded Reload
	;; [unrolled: 1-line block ×4, first 2 shown]
	s_waitcnt vmcnt(0)
	v_mul_f64 v[93:94], v[119:120], v[99:100]
	v_fma_f64 v[125:126], v[117:118], v[97:98], -v[93:94]
	v_mul_f64 v[93:94], v[117:118], v[99:100]
	v_fma_f64 v[99:100], v[119:120], v[97:98], v[93:94]
	ds_read2_b64 v[93:96], v90 offset0:32 offset1:33
	buffer_load_dword v81, off, s[24:27], 0 offset:112 ; 4-byte Folded Reload
	buffer_load_dword v82, off, s[24:27], 0 offset:116 ; 4-byte Folded Reload
	buffer_load_dword v83, off, s[24:27], 0 offset:120 ; 4-byte Folded Reload
	buffer_load_dword v84, off, s[24:27], 0 offset:124 ; 4-byte Folded Reload
	s_waitcnt lgkmcnt(0)
	v_mul_f64 v[97:98], v[95:96], v[99:100]
	v_fma_f64 v[97:98], v[93:94], v[125:126], -v[97:98]
	v_mul_f64 v[93:94], v[93:94], v[99:100]
	v_fma_f64 v[93:94], v[95:96], v[125:126], v[93:94]
	s_waitcnt vmcnt(2)
	v_add_f64 v[81:82], v[81:82], -v[97:98]
	s_waitcnt vmcnt(0)
	v_add_f64 v[83:84], v[83:84], -v[93:94]
	buffer_store_dword v81, off, s[24:27], 0 offset:112 ; 4-byte Folded Spill
	s_nop 0
	buffer_store_dword v82, off, s[24:27], 0 offset:116 ; 4-byte Folded Spill
	buffer_store_dword v83, off, s[24:27], 0 offset:120 ; 4-byte Folded Spill
	buffer_store_dword v84, off, s[24:27], 0 offset:124 ; 4-byte Folded Spill
	ds_read2_b64 v[93:96], v90 offset0:34 offset1:35
	buffer_load_dword v81, off, s[24:27], 0 offset:96 ; 4-byte Folded Reload
	buffer_load_dword v82, off, s[24:27], 0 offset:100 ; 4-byte Folded Reload
	buffer_load_dword v83, off, s[24:27], 0 offset:104 ; 4-byte Folded Reload
	buffer_load_dword v84, off, s[24:27], 0 offset:108 ; 4-byte Folded Reload
	s_waitcnt lgkmcnt(0)
	v_mul_f64 v[97:98], v[95:96], v[99:100]
	v_fma_f64 v[97:98], v[93:94], v[125:126], -v[97:98]
	v_mul_f64 v[93:94], v[93:94], v[99:100]
	v_fma_f64 v[93:94], v[95:96], v[125:126], v[93:94]
	s_waitcnt vmcnt(2)
	v_add_f64 v[81:82], v[81:82], -v[97:98]
	s_waitcnt vmcnt(0)
	v_add_f64 v[83:84], v[83:84], -v[93:94]
	buffer_store_dword v81, off, s[24:27], 0 offset:96 ; 4-byte Folded Spill
	s_nop 0
	buffer_store_dword v82, off, s[24:27], 0 offset:100 ; 4-byte Folded Spill
	buffer_store_dword v83, off, s[24:27], 0 offset:104 ; 4-byte Folded Spill
	buffer_store_dword v84, off, s[24:27], 0 offset:108 ; 4-byte Folded Spill
	;; [unrolled: 19-line block ×7, first 2 shown]
	ds_read2_b64 v[93:96], v90 offset0:46 offset1:47
	s_waitcnt lgkmcnt(0)
	v_mul_f64 v[97:98], v[95:96], v[99:100]
	v_fma_f64 v[97:98], v[93:94], v[125:126], -v[97:98]
	v_mul_f64 v[93:94], v[93:94], v[99:100]
	v_add_f64 v[85:86], v[85:86], -v[97:98]
	v_fma_f64 v[93:94], v[95:96], v[125:126], v[93:94]
	v_add_f64 v[87:88], v[87:88], -v[93:94]
	ds_read2_b64 v[93:96], v90 offset0:48 offset1:49
	s_waitcnt lgkmcnt(0)
	v_mul_f64 v[97:98], v[95:96], v[99:100]
	v_fma_f64 v[97:98], v[93:94], v[125:126], -v[97:98]
	v_mul_f64 v[93:94], v[93:94], v[99:100]
	v_add_f64 v[111:112], v[111:112], -v[97:98]
	v_fma_f64 v[93:94], v[95:96], v[125:126], v[93:94]
	v_add_f64 v[113:114], v[113:114], -v[93:94]
	ds_read2_b64 v[93:96], v90 offset0:50 offset1:51
	buffer_load_dword v81, off, s[24:27], 0 ; 4-byte Folded Reload
	buffer_load_dword v82, off, s[24:27], 0 offset:4 ; 4-byte Folded Reload
	buffer_load_dword v83, off, s[24:27], 0 offset:8 ; 4-byte Folded Reload
	;; [unrolled: 1-line block ×3, first 2 shown]
	s_waitcnt lgkmcnt(0)
	v_mul_f64 v[97:98], v[95:96], v[99:100]
	v_fma_f64 v[97:98], v[93:94], v[125:126], -v[97:98]
	v_mul_f64 v[93:94], v[93:94], v[99:100]
	v_fma_f64 v[93:94], v[95:96], v[125:126], v[93:94]
	s_waitcnt vmcnt(2)
	v_add_f64 v[81:82], v[81:82], -v[97:98]
	s_waitcnt vmcnt(0)
	v_add_f64 v[83:84], v[83:84], -v[93:94]
	buffer_store_dword v81, off, s[24:27], 0 ; 4-byte Folded Spill
	s_nop 0
	buffer_store_dword v82, off, s[24:27], 0 offset:4 ; 4-byte Folded Spill
	buffer_store_dword v83, off, s[24:27], 0 offset:8 ; 4-byte Folded Spill
	;; [unrolled: 1-line block ×3, first 2 shown]
	ds_read2_b64 v[93:96], v90 offset0:52 offset1:53
	s_waitcnt lgkmcnt(0)
	v_mul_f64 v[97:98], v[95:96], v[99:100]
	v_fma_f64 v[97:98], v[93:94], v[125:126], -v[97:98]
	v_mul_f64 v[93:94], v[93:94], v[99:100]
	v_add_f64 v[77:78], v[77:78], -v[97:98]
	v_fma_f64 v[93:94], v[95:96], v[125:126], v[93:94]
	v_add_f64 v[79:80], v[79:80], -v[93:94]
	ds_read2_b64 v[93:96], v90 offset0:54 offset1:55
	s_waitcnt lgkmcnt(0)
	v_mul_f64 v[97:98], v[95:96], v[99:100]
	v_fma_f64 v[97:98], v[93:94], v[125:126], -v[97:98]
	v_mul_f64 v[93:94], v[93:94], v[99:100]
	v_add_f64 v[73:74], v[73:74], -v[97:98]
	v_fma_f64 v[93:94], v[95:96], v[125:126], v[93:94]
	v_add_f64 v[75:76], v[75:76], -v[93:94]
	;; [unrolled: 8-line block ×20, first 2 shown]
	ds_read2_b64 v[93:96], v90 offset0:92 offset1:93
	s_waitcnt lgkmcnt(0)
	v_mul_f64 v[97:98], v[95:96], v[99:100]
	v_fma_f64 v[97:98], v[93:94], v[125:126], -v[97:98]
	v_mul_f64 v[93:94], v[93:94], v[99:100]
	v_add_f64 v[121:122], v[121:122], -v[97:98]
	v_fma_f64 v[93:94], v[95:96], v[125:126], v[93:94]
	v_mov_b32_e32 v97, v125
	v_mov_b32_e32 v98, v126
	buffer_store_dword v97, off, s[24:27], 0 offset:128 ; 4-byte Folded Spill
	s_nop 0
	buffer_store_dword v98, off, s[24:27], 0 offset:132 ; 4-byte Folded Spill
	buffer_store_dword v99, off, s[24:27], 0 offset:136 ; 4-byte Folded Spill
	;; [unrolled: 1-line block ×3, first 2 shown]
	v_add_f64 v[123:124], v[123:124], -v[93:94]
.LBB92_335:
	s_or_b64 exec, exec, s[0:1]
	s_waitcnt vmcnt(0)
	s_barrier
	buffer_load_dword v81, off, s[24:27], 0 offset:112 ; 4-byte Folded Reload
	buffer_load_dword v82, off, s[24:27], 0 offset:116 ; 4-byte Folded Reload
	;; [unrolled: 1-line block ×4, first 2 shown]
	v_lshl_add_u32 v93, v92, 4, v90
	s_cmp_lt_i32 s3, 18
	s_waitcnt vmcnt(0)
	ds_write2_b64 v93, v[81:82], v[83:84] offset1:1
	s_waitcnt lgkmcnt(0)
	s_barrier
	ds_read2_b64 v[117:120], v90 offset0:32 offset1:33
	v_mov_b32_e32 v93, 16
	s_cbranch_scc1 .LBB92_338
; %bb.336:
	v_add_u32_e32 v94, 0x110, v90
	s_mov_b32 s0, 17
	v_mov_b32_e32 v93, 16
.LBB92_337:                             ; =>This Inner Loop Header: Depth=1
	s_waitcnt lgkmcnt(0)
	v_cmp_gt_f64_e32 vcc, 0, v[117:118]
	v_xor_b32_e32 v99, 0x80000000, v118
	ds_read2_b64 v[95:98], v94 offset1:1
	v_xor_b32_e32 v101, 0x80000000, v120
	v_add_u32_e32 v94, 16, v94
	s_waitcnt lgkmcnt(0)
	v_xor_b32_e32 v103, 0x80000000, v98
	v_cndmask_b32_e32 v100, v118, v99, vcc
	v_cmp_gt_f64_e32 vcc, 0, v[119:120]
	v_mov_b32_e32 v99, v117
	v_cndmask_b32_e32 v102, v120, v101, vcc
	v_cmp_gt_f64_e32 vcc, 0, v[95:96]
	v_mov_b32_e32 v101, v119
	v_add_f64 v[99:100], v[99:100], v[101:102]
	v_xor_b32_e32 v101, 0x80000000, v96
	v_cndmask_b32_e32 v102, v96, v101, vcc
	v_cmp_gt_f64_e32 vcc, 0, v[97:98]
	v_mov_b32_e32 v101, v95
	v_cndmask_b32_e32 v104, v98, v103, vcc
	v_mov_b32_e32 v103, v97
	v_add_f64 v[101:102], v[101:102], v[103:104]
	v_cmp_lt_f64_e32 vcc, v[99:100], v[101:102]
	v_cndmask_b32_e32 v117, v117, v95, vcc
	v_mov_b32_e32 v95, s0
	s_add_i32 s0, s0, 1
	v_cndmask_b32_e32 v118, v118, v96, vcc
	v_cndmask_b32_e32 v120, v120, v98, vcc
	;; [unrolled: 1-line block ×4, first 2 shown]
	s_cmp_lg_u32 s3, s0
	s_cbranch_scc1 .LBB92_337
.LBB92_338:
	s_waitcnt lgkmcnt(0)
	v_cmp_eq_f64_e32 vcc, 0, v[117:118]
	v_cmp_eq_f64_e64 s[0:1], 0, v[119:120]
	s_and_b64 s[0:1], vcc, s[0:1]
	s_and_saveexec_b64 s[18:19], s[0:1]
	s_xor_b64 s[0:1], exec, s[18:19]
; %bb.339:
	v_cmp_ne_u32_e32 vcc, 0, v91
	v_cndmask_b32_e32 v91, 17, v91, vcc
; %bb.340:
	s_andn2_saveexec_b64 s[0:1], s[0:1]
	s_cbranch_execz .LBB92_346
; %bb.341:
	v_cmp_ngt_f64_e64 s[18:19], |v[117:118]|, |v[119:120]|
	s_and_saveexec_b64 s[20:21], s[18:19]
	s_xor_b64 s[18:19], exec, s[20:21]
	s_cbranch_execz .LBB92_343
; %bb.342:
	v_div_scale_f64 v[94:95], s[20:21], v[119:120], v[119:120], v[117:118]
	v_rcp_f64_e32 v[96:97], v[94:95]
	v_fma_f64 v[98:99], -v[94:95], v[96:97], 1.0
	v_fma_f64 v[96:97], v[96:97], v[98:99], v[96:97]
	v_div_scale_f64 v[98:99], vcc, v[117:118], v[119:120], v[117:118]
	v_fma_f64 v[100:101], -v[94:95], v[96:97], 1.0
	v_fma_f64 v[96:97], v[96:97], v[100:101], v[96:97]
	v_mul_f64 v[100:101], v[98:99], v[96:97]
	v_fma_f64 v[94:95], -v[94:95], v[100:101], v[98:99]
	v_div_fmas_f64 v[94:95], v[94:95], v[96:97], v[100:101]
	v_div_fixup_f64 v[94:95], v[94:95], v[119:120], v[117:118]
	v_fma_f64 v[96:97], v[117:118], v[94:95], v[119:120]
	v_div_scale_f64 v[98:99], s[20:21], v[96:97], v[96:97], 1.0
	v_div_scale_f64 v[104:105], vcc, 1.0, v[96:97], 1.0
	v_rcp_f64_e32 v[100:101], v[98:99]
	v_fma_f64 v[102:103], -v[98:99], v[100:101], 1.0
	v_fma_f64 v[100:101], v[100:101], v[102:103], v[100:101]
	v_fma_f64 v[102:103], -v[98:99], v[100:101], 1.0
	v_fma_f64 v[100:101], v[100:101], v[102:103], v[100:101]
	v_mul_f64 v[102:103], v[104:105], v[100:101]
	v_fma_f64 v[98:99], -v[98:99], v[102:103], v[104:105]
	v_div_fmas_f64 v[98:99], v[98:99], v[100:101], v[102:103]
	v_div_fixup_f64 v[119:120], v[98:99], v[96:97], 1.0
	v_mul_f64 v[117:118], v[94:95], v[119:120]
	v_xor_b32_e32 v120, 0x80000000, v120
.LBB92_343:
	s_andn2_saveexec_b64 s[18:19], s[18:19]
	s_cbranch_execz .LBB92_345
; %bb.344:
	v_div_scale_f64 v[94:95], s[20:21], v[117:118], v[117:118], v[119:120]
	v_rcp_f64_e32 v[96:97], v[94:95]
	v_fma_f64 v[98:99], -v[94:95], v[96:97], 1.0
	v_fma_f64 v[96:97], v[96:97], v[98:99], v[96:97]
	v_div_scale_f64 v[98:99], vcc, v[119:120], v[117:118], v[119:120]
	v_fma_f64 v[100:101], -v[94:95], v[96:97], 1.0
	v_fma_f64 v[96:97], v[96:97], v[100:101], v[96:97]
	v_mul_f64 v[100:101], v[98:99], v[96:97]
	v_fma_f64 v[94:95], -v[94:95], v[100:101], v[98:99]
	v_div_fmas_f64 v[94:95], v[94:95], v[96:97], v[100:101]
	v_div_fixup_f64 v[94:95], v[94:95], v[117:118], v[119:120]
	v_fma_f64 v[96:97], v[119:120], v[94:95], v[117:118]
	v_div_scale_f64 v[98:99], s[20:21], v[96:97], v[96:97], 1.0
	v_div_scale_f64 v[104:105], vcc, 1.0, v[96:97], 1.0
	v_rcp_f64_e32 v[100:101], v[98:99]
	v_fma_f64 v[102:103], -v[98:99], v[100:101], 1.0
	v_fma_f64 v[100:101], v[100:101], v[102:103], v[100:101]
	v_fma_f64 v[102:103], -v[98:99], v[100:101], 1.0
	v_fma_f64 v[100:101], v[100:101], v[102:103], v[100:101]
	v_mul_f64 v[102:103], v[104:105], v[100:101]
	v_fma_f64 v[98:99], -v[98:99], v[102:103], v[104:105]
	v_div_fmas_f64 v[98:99], v[98:99], v[100:101], v[102:103]
	v_div_fixup_f64 v[117:118], v[98:99], v[96:97], 1.0
	v_mul_f64 v[119:120], v[94:95], -v[117:118]
.LBB92_345:
	s_or_b64 exec, exec, s[18:19]
.LBB92_346:
	s_or_b64 exec, exec, s[0:1]
	v_cmp_ne_u32_e32 vcc, v92, v93
	s_and_saveexec_b64 s[0:1], vcc
	s_xor_b64 s[0:1], exec, s[0:1]
	s_cbranch_execz .LBB92_352
; %bb.347:
	v_cmp_eq_u32_e32 vcc, 16, v92
	s_and_saveexec_b64 s[18:19], vcc
	s_cbranch_execz .LBB92_351
; %bb.348:
	v_cmp_ne_u32_e32 vcc, 16, v93
	s_xor_b64 s[20:21], s[6:7], -1
	s_and_b64 s[22:23], s[20:21], vcc
	s_and_saveexec_b64 s[20:21], s[22:23]
	s_cbranch_execz .LBB92_350
; %bb.349:
	v_mov_b32_e32 v81, v85
	v_mov_b32_e32 v82, v86
	;; [unrolled: 1-line block ×4, first 2 shown]
	buffer_load_dword v85, off, s[24:27], 0 offset:336 ; 4-byte Folded Reload
	buffer_load_dword v86, off, s[24:27], 0 offset:340 ; 4-byte Folded Reload
	v_ashrrev_i32_e32 v94, 31, v93
	v_lshlrev_b64 v[94:95], 2, v[93:94]
	s_waitcnt vmcnt(1)
	v_add_co_u32_e32 v94, vcc, v85, v94
	s_waitcnt vmcnt(0)
	v_addc_co_u32_e32 v95, vcc, v86, v95, vcc
	global_load_dword v0, v[94:95], off
	global_load_dword v92, v[85:86], off offset:64
	s_waitcnt vmcnt(1)
	global_store_dword v[85:86], v0, off offset:64
	v_mov_b32_e32 v88, v84
	v_mov_b32_e32 v87, v83
	;; [unrolled: 1-line block ×4, first 2 shown]
	s_waitcnt vmcnt(1)
	global_store_dword v[94:95], v92, off
.LBB92_350:
	s_or_b64 exec, exec, s[20:21]
	v_mov_b32_e32 v92, v93
	v_mov_b32_e32 v0, v93
.LBB92_351:
	s_or_b64 exec, exec, s[18:19]
.LBB92_352:
	s_andn2_saveexec_b64 s[0:1], s[0:1]
	s_cbranch_execz .LBB92_354
; %bb.353:
	buffer_load_dword v81, off, s[24:27], 0 offset:96 ; 4-byte Folded Reload
	buffer_load_dword v82, off, s[24:27], 0 offset:100 ; 4-byte Folded Reload
	;; [unrolled: 1-line block ×4, first 2 shown]
	v_mov_b32_e32 v92, 16
	s_waitcnt vmcnt(0)
	ds_write2_b64 v90, v[81:82], v[83:84] offset0:34 offset1:35
	buffer_load_dword v81, off, s[24:27], 0 offset:80 ; 4-byte Folded Reload
	buffer_load_dword v82, off, s[24:27], 0 offset:84 ; 4-byte Folded Reload
	buffer_load_dword v83, off, s[24:27], 0 offset:88 ; 4-byte Folded Reload
	buffer_load_dword v84, off, s[24:27], 0 offset:92 ; 4-byte Folded Reload
	s_waitcnt vmcnt(0)
	ds_write2_b64 v90, v[81:82], v[83:84] offset0:36 offset1:37
	buffer_load_dword v81, off, s[24:27], 0 offset:64 ; 4-byte Folded Reload
	buffer_load_dword v82, off, s[24:27], 0 offset:68 ; 4-byte Folded Reload
	buffer_load_dword v83, off, s[24:27], 0 offset:72 ; 4-byte Folded Reload
	buffer_load_dword v84, off, s[24:27], 0 offset:76 ; 4-byte Folded Reload
	;; [unrolled: 6-line block ×5, first 2 shown]
	s_waitcnt vmcnt(0)
	ds_write2_b64 v90, v[81:82], v[83:84] offset0:44 offset1:45
	ds_write2_b64 v90, v[85:86], v[87:88] offset0:46 offset1:47
	;; [unrolled: 1-line block ×3, first 2 shown]
	buffer_load_dword v81, off, s[24:27], 0 ; 4-byte Folded Reload
	buffer_load_dword v82, off, s[24:27], 0 offset:4 ; 4-byte Folded Reload
	buffer_load_dword v83, off, s[24:27], 0 offset:8 ; 4-byte Folded Reload
	;; [unrolled: 1-line block ×3, first 2 shown]
	s_waitcnt vmcnt(0)
	ds_write2_b64 v90, v[81:82], v[83:84] offset0:50 offset1:51
	ds_write2_b64 v90, v[77:78], v[79:80] offset0:52 offset1:53
	;; [unrolled: 1-line block ×22, first 2 shown]
.LBB92_354:
	s_or_b64 exec, exec, s[0:1]
	v_cmp_lt_i32_e32 vcc, 16, v92
	s_waitcnt vmcnt(0) lgkmcnt(0)
	s_barrier
	s_and_saveexec_b64 s[0:1], vcc
	s_cbranch_execz .LBB92_356
; %bb.355:
	buffer_load_dword v97, off, s[24:27], 0 offset:112 ; 4-byte Folded Reload
	buffer_load_dword v98, off, s[24:27], 0 offset:116 ; 4-byte Folded Reload
	;; [unrolled: 1-line block ×4, first 2 shown]
	s_waitcnt vmcnt(0)
	v_mul_f64 v[93:94], v[119:120], v[99:100]
	v_fma_f64 v[125:126], v[117:118], v[97:98], -v[93:94]
	v_mul_f64 v[93:94], v[117:118], v[99:100]
	v_fma_f64 v[99:100], v[119:120], v[97:98], v[93:94]
	ds_read2_b64 v[93:96], v90 offset0:34 offset1:35
	buffer_load_dword v81, off, s[24:27], 0 offset:96 ; 4-byte Folded Reload
	buffer_load_dword v82, off, s[24:27], 0 offset:100 ; 4-byte Folded Reload
	buffer_load_dword v83, off, s[24:27], 0 offset:104 ; 4-byte Folded Reload
	buffer_load_dword v84, off, s[24:27], 0 offset:108 ; 4-byte Folded Reload
	s_waitcnt lgkmcnt(0)
	v_mul_f64 v[97:98], v[95:96], v[99:100]
	v_fma_f64 v[97:98], v[93:94], v[125:126], -v[97:98]
	v_mul_f64 v[93:94], v[93:94], v[99:100]
	v_fma_f64 v[93:94], v[95:96], v[125:126], v[93:94]
	s_waitcnt vmcnt(2)
	v_add_f64 v[81:82], v[81:82], -v[97:98]
	s_waitcnt vmcnt(0)
	v_add_f64 v[83:84], v[83:84], -v[93:94]
	buffer_store_dword v81, off, s[24:27], 0 offset:96 ; 4-byte Folded Spill
	s_nop 0
	buffer_store_dword v82, off, s[24:27], 0 offset:100 ; 4-byte Folded Spill
	buffer_store_dword v83, off, s[24:27], 0 offset:104 ; 4-byte Folded Spill
	buffer_store_dword v84, off, s[24:27], 0 offset:108 ; 4-byte Folded Spill
	ds_read2_b64 v[93:96], v90 offset0:36 offset1:37
	buffer_load_dword v81, off, s[24:27], 0 offset:80 ; 4-byte Folded Reload
	buffer_load_dword v82, off, s[24:27], 0 offset:84 ; 4-byte Folded Reload
	buffer_load_dword v83, off, s[24:27], 0 offset:88 ; 4-byte Folded Reload
	buffer_load_dword v84, off, s[24:27], 0 offset:92 ; 4-byte Folded Reload
	s_waitcnt lgkmcnt(0)
	v_mul_f64 v[97:98], v[95:96], v[99:100]
	v_fma_f64 v[97:98], v[93:94], v[125:126], -v[97:98]
	v_mul_f64 v[93:94], v[93:94], v[99:100]
	v_fma_f64 v[93:94], v[95:96], v[125:126], v[93:94]
	s_waitcnt vmcnt(2)
	v_add_f64 v[81:82], v[81:82], -v[97:98]
	s_waitcnt vmcnt(0)
	v_add_f64 v[83:84], v[83:84], -v[93:94]
	buffer_store_dword v81, off, s[24:27], 0 offset:80 ; 4-byte Folded Spill
	s_nop 0
	buffer_store_dword v82, off, s[24:27], 0 offset:84 ; 4-byte Folded Spill
	buffer_store_dword v83, off, s[24:27], 0 offset:88 ; 4-byte Folded Spill
	buffer_store_dword v84, off, s[24:27], 0 offset:92 ; 4-byte Folded Spill
	;; [unrolled: 19-line block ×6, first 2 shown]
	ds_read2_b64 v[93:96], v90 offset0:46 offset1:47
	s_waitcnt lgkmcnt(0)
	v_mul_f64 v[97:98], v[95:96], v[99:100]
	v_fma_f64 v[97:98], v[93:94], v[125:126], -v[97:98]
	v_mul_f64 v[93:94], v[93:94], v[99:100]
	v_add_f64 v[85:86], v[85:86], -v[97:98]
	v_fma_f64 v[93:94], v[95:96], v[125:126], v[93:94]
	v_add_f64 v[87:88], v[87:88], -v[93:94]
	ds_read2_b64 v[93:96], v90 offset0:48 offset1:49
	s_waitcnt lgkmcnt(0)
	v_mul_f64 v[97:98], v[95:96], v[99:100]
	v_fma_f64 v[97:98], v[93:94], v[125:126], -v[97:98]
	v_mul_f64 v[93:94], v[93:94], v[99:100]
	v_add_f64 v[111:112], v[111:112], -v[97:98]
	v_fma_f64 v[93:94], v[95:96], v[125:126], v[93:94]
	v_add_f64 v[113:114], v[113:114], -v[93:94]
	ds_read2_b64 v[93:96], v90 offset0:50 offset1:51
	buffer_load_dword v81, off, s[24:27], 0 ; 4-byte Folded Reload
	buffer_load_dword v82, off, s[24:27], 0 offset:4 ; 4-byte Folded Reload
	buffer_load_dword v83, off, s[24:27], 0 offset:8 ; 4-byte Folded Reload
	;; [unrolled: 1-line block ×3, first 2 shown]
	s_waitcnt lgkmcnt(0)
	v_mul_f64 v[97:98], v[95:96], v[99:100]
	v_fma_f64 v[97:98], v[93:94], v[125:126], -v[97:98]
	v_mul_f64 v[93:94], v[93:94], v[99:100]
	v_fma_f64 v[93:94], v[95:96], v[125:126], v[93:94]
	s_waitcnt vmcnt(2)
	v_add_f64 v[81:82], v[81:82], -v[97:98]
	s_waitcnt vmcnt(0)
	v_add_f64 v[83:84], v[83:84], -v[93:94]
	buffer_store_dword v81, off, s[24:27], 0 ; 4-byte Folded Spill
	s_nop 0
	buffer_store_dword v82, off, s[24:27], 0 offset:4 ; 4-byte Folded Spill
	buffer_store_dword v83, off, s[24:27], 0 offset:8 ; 4-byte Folded Spill
	;; [unrolled: 1-line block ×3, first 2 shown]
	ds_read2_b64 v[93:96], v90 offset0:52 offset1:53
	s_waitcnt lgkmcnt(0)
	v_mul_f64 v[97:98], v[95:96], v[99:100]
	v_fma_f64 v[97:98], v[93:94], v[125:126], -v[97:98]
	v_mul_f64 v[93:94], v[93:94], v[99:100]
	v_add_f64 v[77:78], v[77:78], -v[97:98]
	v_fma_f64 v[93:94], v[95:96], v[125:126], v[93:94]
	v_add_f64 v[79:80], v[79:80], -v[93:94]
	ds_read2_b64 v[93:96], v90 offset0:54 offset1:55
	s_waitcnt lgkmcnt(0)
	v_mul_f64 v[97:98], v[95:96], v[99:100]
	v_fma_f64 v[97:98], v[93:94], v[125:126], -v[97:98]
	v_mul_f64 v[93:94], v[93:94], v[99:100]
	v_add_f64 v[73:74], v[73:74], -v[97:98]
	v_fma_f64 v[93:94], v[95:96], v[125:126], v[93:94]
	v_add_f64 v[75:76], v[75:76], -v[93:94]
	;; [unrolled: 8-line block ×20, first 2 shown]
	ds_read2_b64 v[93:96], v90 offset0:92 offset1:93
	s_waitcnt lgkmcnt(0)
	v_mul_f64 v[97:98], v[95:96], v[99:100]
	v_fma_f64 v[97:98], v[93:94], v[125:126], -v[97:98]
	v_mul_f64 v[93:94], v[93:94], v[99:100]
	v_add_f64 v[121:122], v[121:122], -v[97:98]
	v_fma_f64 v[93:94], v[95:96], v[125:126], v[93:94]
	v_mov_b32_e32 v97, v125
	v_mov_b32_e32 v98, v126
	buffer_store_dword v97, off, s[24:27], 0 offset:112 ; 4-byte Folded Spill
	s_nop 0
	buffer_store_dword v98, off, s[24:27], 0 offset:116 ; 4-byte Folded Spill
	buffer_store_dword v99, off, s[24:27], 0 offset:120 ; 4-byte Folded Spill
	;; [unrolled: 1-line block ×3, first 2 shown]
	v_add_f64 v[123:124], v[123:124], -v[93:94]
.LBB92_356:
	s_or_b64 exec, exec, s[0:1]
	s_waitcnt vmcnt(0)
	s_barrier
	buffer_load_dword v81, off, s[24:27], 0 offset:96 ; 4-byte Folded Reload
	buffer_load_dword v82, off, s[24:27], 0 offset:100 ; 4-byte Folded Reload
	;; [unrolled: 1-line block ×4, first 2 shown]
	v_lshl_add_u32 v93, v92, 4, v90
	s_cmp_lt_i32 s3, 19
	s_waitcnt vmcnt(0)
	ds_write2_b64 v93, v[81:82], v[83:84] offset1:1
	s_waitcnt lgkmcnt(0)
	s_barrier
	ds_read2_b64 v[117:120], v90 offset0:34 offset1:35
	v_mov_b32_e32 v93, 17
	s_cbranch_scc1 .LBB92_359
; %bb.357:
	v_add_u32_e32 v94, 0x120, v90
	s_mov_b32 s0, 18
	v_mov_b32_e32 v93, 17
.LBB92_358:                             ; =>This Inner Loop Header: Depth=1
	s_waitcnt lgkmcnt(0)
	v_cmp_gt_f64_e32 vcc, 0, v[117:118]
	v_xor_b32_e32 v99, 0x80000000, v118
	ds_read2_b64 v[95:98], v94 offset1:1
	v_xor_b32_e32 v101, 0x80000000, v120
	v_add_u32_e32 v94, 16, v94
	s_waitcnt lgkmcnt(0)
	v_xor_b32_e32 v103, 0x80000000, v98
	v_cndmask_b32_e32 v100, v118, v99, vcc
	v_cmp_gt_f64_e32 vcc, 0, v[119:120]
	v_mov_b32_e32 v99, v117
	v_cndmask_b32_e32 v102, v120, v101, vcc
	v_cmp_gt_f64_e32 vcc, 0, v[95:96]
	v_mov_b32_e32 v101, v119
	v_add_f64 v[99:100], v[99:100], v[101:102]
	v_xor_b32_e32 v101, 0x80000000, v96
	v_cndmask_b32_e32 v102, v96, v101, vcc
	v_cmp_gt_f64_e32 vcc, 0, v[97:98]
	v_mov_b32_e32 v101, v95
	v_cndmask_b32_e32 v104, v98, v103, vcc
	v_mov_b32_e32 v103, v97
	v_add_f64 v[101:102], v[101:102], v[103:104]
	v_cmp_lt_f64_e32 vcc, v[99:100], v[101:102]
	v_cndmask_b32_e32 v117, v117, v95, vcc
	v_mov_b32_e32 v95, s0
	s_add_i32 s0, s0, 1
	v_cndmask_b32_e32 v118, v118, v96, vcc
	v_cndmask_b32_e32 v120, v120, v98, vcc
	;; [unrolled: 1-line block ×4, first 2 shown]
	s_cmp_lg_u32 s3, s0
	s_cbranch_scc1 .LBB92_358
.LBB92_359:
	s_waitcnt lgkmcnt(0)
	v_cmp_eq_f64_e32 vcc, 0, v[117:118]
	v_cmp_eq_f64_e64 s[0:1], 0, v[119:120]
	s_and_b64 s[0:1], vcc, s[0:1]
	s_and_saveexec_b64 s[18:19], s[0:1]
	s_xor_b64 s[0:1], exec, s[18:19]
; %bb.360:
	v_cmp_ne_u32_e32 vcc, 0, v91
	v_cndmask_b32_e32 v91, 18, v91, vcc
; %bb.361:
	s_andn2_saveexec_b64 s[0:1], s[0:1]
	s_cbranch_execz .LBB92_367
; %bb.362:
	v_cmp_ngt_f64_e64 s[18:19], |v[117:118]|, |v[119:120]|
	s_and_saveexec_b64 s[20:21], s[18:19]
	s_xor_b64 s[18:19], exec, s[20:21]
	s_cbranch_execz .LBB92_364
; %bb.363:
	v_div_scale_f64 v[94:95], s[20:21], v[119:120], v[119:120], v[117:118]
	v_rcp_f64_e32 v[96:97], v[94:95]
	v_fma_f64 v[98:99], -v[94:95], v[96:97], 1.0
	v_fma_f64 v[96:97], v[96:97], v[98:99], v[96:97]
	v_div_scale_f64 v[98:99], vcc, v[117:118], v[119:120], v[117:118]
	v_fma_f64 v[100:101], -v[94:95], v[96:97], 1.0
	v_fma_f64 v[96:97], v[96:97], v[100:101], v[96:97]
	v_mul_f64 v[100:101], v[98:99], v[96:97]
	v_fma_f64 v[94:95], -v[94:95], v[100:101], v[98:99]
	v_div_fmas_f64 v[94:95], v[94:95], v[96:97], v[100:101]
	v_div_fixup_f64 v[94:95], v[94:95], v[119:120], v[117:118]
	v_fma_f64 v[96:97], v[117:118], v[94:95], v[119:120]
	v_div_scale_f64 v[98:99], s[20:21], v[96:97], v[96:97], 1.0
	v_div_scale_f64 v[104:105], vcc, 1.0, v[96:97], 1.0
	v_rcp_f64_e32 v[100:101], v[98:99]
	v_fma_f64 v[102:103], -v[98:99], v[100:101], 1.0
	v_fma_f64 v[100:101], v[100:101], v[102:103], v[100:101]
	v_fma_f64 v[102:103], -v[98:99], v[100:101], 1.0
	v_fma_f64 v[100:101], v[100:101], v[102:103], v[100:101]
	v_mul_f64 v[102:103], v[104:105], v[100:101]
	v_fma_f64 v[98:99], -v[98:99], v[102:103], v[104:105]
	v_div_fmas_f64 v[98:99], v[98:99], v[100:101], v[102:103]
	v_div_fixup_f64 v[119:120], v[98:99], v[96:97], 1.0
	v_mul_f64 v[117:118], v[94:95], v[119:120]
	v_xor_b32_e32 v120, 0x80000000, v120
.LBB92_364:
	s_andn2_saveexec_b64 s[18:19], s[18:19]
	s_cbranch_execz .LBB92_366
; %bb.365:
	v_div_scale_f64 v[94:95], s[20:21], v[117:118], v[117:118], v[119:120]
	v_rcp_f64_e32 v[96:97], v[94:95]
	v_fma_f64 v[98:99], -v[94:95], v[96:97], 1.0
	v_fma_f64 v[96:97], v[96:97], v[98:99], v[96:97]
	v_div_scale_f64 v[98:99], vcc, v[119:120], v[117:118], v[119:120]
	v_fma_f64 v[100:101], -v[94:95], v[96:97], 1.0
	v_fma_f64 v[96:97], v[96:97], v[100:101], v[96:97]
	v_mul_f64 v[100:101], v[98:99], v[96:97]
	v_fma_f64 v[94:95], -v[94:95], v[100:101], v[98:99]
	v_div_fmas_f64 v[94:95], v[94:95], v[96:97], v[100:101]
	v_div_fixup_f64 v[94:95], v[94:95], v[117:118], v[119:120]
	v_fma_f64 v[96:97], v[119:120], v[94:95], v[117:118]
	v_div_scale_f64 v[98:99], s[20:21], v[96:97], v[96:97], 1.0
	v_div_scale_f64 v[104:105], vcc, 1.0, v[96:97], 1.0
	v_rcp_f64_e32 v[100:101], v[98:99]
	v_fma_f64 v[102:103], -v[98:99], v[100:101], 1.0
	v_fma_f64 v[100:101], v[100:101], v[102:103], v[100:101]
	v_fma_f64 v[102:103], -v[98:99], v[100:101], 1.0
	v_fma_f64 v[100:101], v[100:101], v[102:103], v[100:101]
	v_mul_f64 v[102:103], v[104:105], v[100:101]
	v_fma_f64 v[98:99], -v[98:99], v[102:103], v[104:105]
	v_div_fmas_f64 v[98:99], v[98:99], v[100:101], v[102:103]
	v_div_fixup_f64 v[117:118], v[98:99], v[96:97], 1.0
	v_mul_f64 v[119:120], v[94:95], -v[117:118]
.LBB92_366:
	s_or_b64 exec, exec, s[18:19]
.LBB92_367:
	s_or_b64 exec, exec, s[0:1]
	v_cmp_ne_u32_e32 vcc, v92, v93
	s_and_saveexec_b64 s[0:1], vcc
	s_xor_b64 s[0:1], exec, s[0:1]
	s_cbranch_execz .LBB92_373
; %bb.368:
	v_cmp_eq_u32_e32 vcc, 17, v92
	s_and_saveexec_b64 s[18:19], vcc
	s_cbranch_execz .LBB92_372
; %bb.369:
	v_cmp_ne_u32_e32 vcc, 17, v93
	s_xor_b64 s[20:21], s[6:7], -1
	s_and_b64 s[22:23], s[20:21], vcc
	s_and_saveexec_b64 s[20:21], s[22:23]
	s_cbranch_execz .LBB92_371
; %bb.370:
	v_mov_b32_e32 v81, v85
	v_mov_b32_e32 v82, v86
	;; [unrolled: 1-line block ×4, first 2 shown]
	buffer_load_dword v85, off, s[24:27], 0 offset:336 ; 4-byte Folded Reload
	buffer_load_dword v86, off, s[24:27], 0 offset:340 ; 4-byte Folded Reload
	v_ashrrev_i32_e32 v94, 31, v93
	v_lshlrev_b64 v[94:95], 2, v[93:94]
	s_waitcnt vmcnt(1)
	v_add_co_u32_e32 v94, vcc, v85, v94
	s_waitcnt vmcnt(0)
	v_addc_co_u32_e32 v95, vcc, v86, v95, vcc
	global_load_dword v0, v[94:95], off
	global_load_dword v92, v[85:86], off offset:68
	s_waitcnt vmcnt(1)
	global_store_dword v[85:86], v0, off offset:68
	v_mov_b32_e32 v88, v84
	v_mov_b32_e32 v87, v83
	;; [unrolled: 1-line block ×4, first 2 shown]
	s_waitcnt vmcnt(1)
	global_store_dword v[94:95], v92, off
.LBB92_371:
	s_or_b64 exec, exec, s[20:21]
	v_mov_b32_e32 v92, v93
	v_mov_b32_e32 v0, v93
.LBB92_372:
	s_or_b64 exec, exec, s[18:19]
.LBB92_373:
	s_andn2_saveexec_b64 s[0:1], s[0:1]
	s_cbranch_execz .LBB92_375
; %bb.374:
	buffer_load_dword v81, off, s[24:27], 0 offset:80 ; 4-byte Folded Reload
	buffer_load_dword v82, off, s[24:27], 0 offset:84 ; 4-byte Folded Reload
	;; [unrolled: 1-line block ×4, first 2 shown]
	v_mov_b32_e32 v92, 17
	s_waitcnt vmcnt(0)
	ds_write2_b64 v90, v[81:82], v[83:84] offset0:36 offset1:37
	buffer_load_dword v81, off, s[24:27], 0 offset:64 ; 4-byte Folded Reload
	buffer_load_dword v82, off, s[24:27], 0 offset:68 ; 4-byte Folded Reload
	buffer_load_dword v83, off, s[24:27], 0 offset:72 ; 4-byte Folded Reload
	buffer_load_dword v84, off, s[24:27], 0 offset:76 ; 4-byte Folded Reload
	s_waitcnt vmcnt(0)
	ds_write2_b64 v90, v[81:82], v[83:84] offset0:38 offset1:39
	buffer_load_dword v81, off, s[24:27], 0 offset:48 ; 4-byte Folded Reload
	buffer_load_dword v82, off, s[24:27], 0 offset:52 ; 4-byte Folded Reload
	buffer_load_dword v83, off, s[24:27], 0 offset:56 ; 4-byte Folded Reload
	buffer_load_dword v84, off, s[24:27], 0 offset:60 ; 4-byte Folded Reload
	;; [unrolled: 6-line block ×4, first 2 shown]
	s_waitcnt vmcnt(0)
	ds_write2_b64 v90, v[81:82], v[83:84] offset0:44 offset1:45
	ds_write2_b64 v90, v[85:86], v[87:88] offset0:46 offset1:47
	;; [unrolled: 1-line block ×3, first 2 shown]
	buffer_load_dword v81, off, s[24:27], 0 ; 4-byte Folded Reload
	buffer_load_dword v82, off, s[24:27], 0 offset:4 ; 4-byte Folded Reload
	buffer_load_dword v83, off, s[24:27], 0 offset:8 ; 4-byte Folded Reload
	;; [unrolled: 1-line block ×3, first 2 shown]
	s_waitcnt vmcnt(0)
	ds_write2_b64 v90, v[81:82], v[83:84] offset0:50 offset1:51
	ds_write2_b64 v90, v[77:78], v[79:80] offset0:52 offset1:53
	;; [unrolled: 1-line block ×22, first 2 shown]
.LBB92_375:
	s_or_b64 exec, exec, s[0:1]
	v_cmp_lt_i32_e32 vcc, 17, v92
	s_waitcnt vmcnt(0) lgkmcnt(0)
	s_barrier
	s_and_saveexec_b64 s[0:1], vcc
	s_cbranch_execz .LBB92_377
; %bb.376:
	buffer_load_dword v97, off, s[24:27], 0 offset:96 ; 4-byte Folded Reload
	buffer_load_dword v98, off, s[24:27], 0 offset:100 ; 4-byte Folded Reload
	;; [unrolled: 1-line block ×4, first 2 shown]
	s_waitcnt vmcnt(0)
	v_mul_f64 v[93:94], v[119:120], v[99:100]
	v_fma_f64 v[101:102], v[117:118], v[97:98], -v[93:94]
	v_mul_f64 v[93:94], v[117:118], v[99:100]
	v_fma_f64 v[99:100], v[119:120], v[97:98], v[93:94]
	ds_read2_b64 v[93:96], v90 offset0:36 offset1:37
	buffer_load_dword v81, off, s[24:27], 0 offset:80 ; 4-byte Folded Reload
	buffer_load_dword v82, off, s[24:27], 0 offset:84 ; 4-byte Folded Reload
	buffer_load_dword v83, off, s[24:27], 0 offset:88 ; 4-byte Folded Reload
	buffer_load_dword v84, off, s[24:27], 0 offset:92 ; 4-byte Folded Reload
	s_waitcnt lgkmcnt(0)
	v_mul_f64 v[97:98], v[95:96], v[99:100]
	v_fma_f64 v[97:98], v[93:94], v[101:102], -v[97:98]
	v_mul_f64 v[93:94], v[93:94], v[99:100]
	v_fma_f64 v[93:94], v[95:96], v[101:102], v[93:94]
	s_waitcnt vmcnt(2)
	v_add_f64 v[81:82], v[81:82], -v[97:98]
	s_waitcnt vmcnt(0)
	v_add_f64 v[83:84], v[83:84], -v[93:94]
	buffer_store_dword v81, off, s[24:27], 0 offset:80 ; 4-byte Folded Spill
	s_nop 0
	buffer_store_dword v82, off, s[24:27], 0 offset:84 ; 4-byte Folded Spill
	buffer_store_dword v83, off, s[24:27], 0 offset:88 ; 4-byte Folded Spill
	buffer_store_dword v84, off, s[24:27], 0 offset:92 ; 4-byte Folded Spill
	ds_read2_b64 v[93:96], v90 offset0:38 offset1:39
	buffer_load_dword v81, off, s[24:27], 0 offset:64 ; 4-byte Folded Reload
	buffer_load_dword v82, off, s[24:27], 0 offset:68 ; 4-byte Folded Reload
	buffer_load_dword v83, off, s[24:27], 0 offset:72 ; 4-byte Folded Reload
	buffer_load_dword v84, off, s[24:27], 0 offset:76 ; 4-byte Folded Reload
	s_waitcnt lgkmcnt(0)
	v_mul_f64 v[97:98], v[95:96], v[99:100]
	v_fma_f64 v[97:98], v[93:94], v[101:102], -v[97:98]
	v_mul_f64 v[93:94], v[93:94], v[99:100]
	v_fma_f64 v[93:94], v[95:96], v[101:102], v[93:94]
	s_waitcnt vmcnt(2)
	v_add_f64 v[81:82], v[81:82], -v[97:98]
	s_waitcnt vmcnt(0)
	v_add_f64 v[83:84], v[83:84], -v[93:94]
	buffer_store_dword v81, off, s[24:27], 0 offset:64 ; 4-byte Folded Spill
	s_nop 0
	buffer_store_dword v82, off, s[24:27], 0 offset:68 ; 4-byte Folded Spill
	buffer_store_dword v83, off, s[24:27], 0 offset:72 ; 4-byte Folded Spill
	buffer_store_dword v84, off, s[24:27], 0 offset:76 ; 4-byte Folded Spill
	;; [unrolled: 19-line block ×5, first 2 shown]
	ds_read2_b64 v[93:96], v90 offset0:46 offset1:47
	s_waitcnt lgkmcnt(0)
	v_mul_f64 v[97:98], v[95:96], v[99:100]
	v_fma_f64 v[97:98], v[93:94], v[101:102], -v[97:98]
	v_mul_f64 v[93:94], v[93:94], v[99:100]
	v_add_f64 v[85:86], v[85:86], -v[97:98]
	v_fma_f64 v[93:94], v[95:96], v[101:102], v[93:94]
	v_add_f64 v[87:88], v[87:88], -v[93:94]
	ds_read2_b64 v[93:96], v90 offset0:48 offset1:49
	s_waitcnt lgkmcnt(0)
	v_mul_f64 v[97:98], v[95:96], v[99:100]
	v_fma_f64 v[97:98], v[93:94], v[101:102], -v[97:98]
	v_mul_f64 v[93:94], v[93:94], v[99:100]
	v_add_f64 v[111:112], v[111:112], -v[97:98]
	v_fma_f64 v[93:94], v[95:96], v[101:102], v[93:94]
	v_add_f64 v[113:114], v[113:114], -v[93:94]
	ds_read2_b64 v[93:96], v90 offset0:50 offset1:51
	buffer_load_dword v81, off, s[24:27], 0 ; 4-byte Folded Reload
	buffer_load_dword v82, off, s[24:27], 0 offset:4 ; 4-byte Folded Reload
	buffer_load_dword v83, off, s[24:27], 0 offset:8 ; 4-byte Folded Reload
	;; [unrolled: 1-line block ×3, first 2 shown]
	s_waitcnt lgkmcnt(0)
	v_mul_f64 v[97:98], v[95:96], v[99:100]
	v_fma_f64 v[97:98], v[93:94], v[101:102], -v[97:98]
	v_mul_f64 v[93:94], v[93:94], v[99:100]
	v_fma_f64 v[93:94], v[95:96], v[101:102], v[93:94]
	s_waitcnt vmcnt(2)
	v_add_f64 v[81:82], v[81:82], -v[97:98]
	s_waitcnt vmcnt(0)
	v_add_f64 v[83:84], v[83:84], -v[93:94]
	buffer_store_dword v81, off, s[24:27], 0 ; 4-byte Folded Spill
	s_nop 0
	buffer_store_dword v82, off, s[24:27], 0 offset:4 ; 4-byte Folded Spill
	buffer_store_dword v83, off, s[24:27], 0 offset:8 ; 4-byte Folded Spill
	;; [unrolled: 1-line block ×3, first 2 shown]
	ds_read2_b64 v[93:96], v90 offset0:52 offset1:53
	s_waitcnt lgkmcnt(0)
	v_mul_f64 v[97:98], v[95:96], v[99:100]
	v_fma_f64 v[97:98], v[93:94], v[101:102], -v[97:98]
	v_mul_f64 v[93:94], v[93:94], v[99:100]
	v_add_f64 v[77:78], v[77:78], -v[97:98]
	v_fma_f64 v[93:94], v[95:96], v[101:102], v[93:94]
	v_add_f64 v[79:80], v[79:80], -v[93:94]
	ds_read2_b64 v[93:96], v90 offset0:54 offset1:55
	s_waitcnt lgkmcnt(0)
	v_mul_f64 v[97:98], v[95:96], v[99:100]
	v_fma_f64 v[97:98], v[93:94], v[101:102], -v[97:98]
	v_mul_f64 v[93:94], v[93:94], v[99:100]
	v_add_f64 v[73:74], v[73:74], -v[97:98]
	v_fma_f64 v[93:94], v[95:96], v[101:102], v[93:94]
	v_add_f64 v[75:76], v[75:76], -v[93:94]
	ds_read2_b64 v[93:96], v90 offset0:56 offset1:57
	s_waitcnt lgkmcnt(0)
	v_mul_f64 v[97:98], v[95:96], v[99:100]
	v_fma_f64 v[97:98], v[93:94], v[101:102], -v[97:98]
	v_mul_f64 v[93:94], v[93:94], v[99:100]
	v_add_f64 v[69:70], v[69:70], -v[97:98]
	v_fma_f64 v[93:94], v[95:96], v[101:102], v[93:94]
	v_add_f64 v[71:72], v[71:72], -v[93:94]
	ds_read2_b64 v[93:96], v90 offset0:58 offset1:59
	s_waitcnt lgkmcnt(0)
	v_mul_f64 v[97:98], v[95:96], v[99:100]
	v_fma_f64 v[97:98], v[93:94], v[101:102], -v[97:98]
	v_mul_f64 v[93:94], v[93:94], v[99:100]
	v_add_f64 v[65:66], v[65:66], -v[97:98]
	v_fma_f64 v[93:94], v[95:96], v[101:102], v[93:94]
	v_add_f64 v[67:68], v[67:68], -v[93:94]
	ds_read2_b64 v[93:96], v90 offset0:60 offset1:61
	s_waitcnt lgkmcnt(0)
	v_mul_f64 v[97:98], v[95:96], v[99:100]
	v_fma_f64 v[97:98], v[93:94], v[101:102], -v[97:98]
	v_mul_f64 v[93:94], v[93:94], v[99:100]
	v_add_f64 v[61:62], v[61:62], -v[97:98]
	v_fma_f64 v[93:94], v[95:96], v[101:102], v[93:94]
	v_add_f64 v[63:64], v[63:64], -v[93:94]
	ds_read2_b64 v[93:96], v90 offset0:62 offset1:63
	s_waitcnt lgkmcnt(0)
	v_mul_f64 v[97:98], v[95:96], v[99:100]
	v_fma_f64 v[97:98], v[93:94], v[101:102], -v[97:98]
	v_mul_f64 v[93:94], v[93:94], v[99:100]
	v_add_f64 v[57:58], v[57:58], -v[97:98]
	v_fma_f64 v[93:94], v[95:96], v[101:102], v[93:94]
	v_add_f64 v[59:60], v[59:60], -v[93:94]
	ds_read2_b64 v[93:96], v90 offset0:64 offset1:65
	s_waitcnt lgkmcnt(0)
	v_mul_f64 v[97:98], v[95:96], v[99:100]
	v_fma_f64 v[97:98], v[93:94], v[101:102], -v[97:98]
	v_mul_f64 v[93:94], v[93:94], v[99:100]
	v_add_f64 v[53:54], v[53:54], -v[97:98]
	v_fma_f64 v[93:94], v[95:96], v[101:102], v[93:94]
	v_add_f64 v[55:56], v[55:56], -v[93:94]
	ds_read2_b64 v[93:96], v90 offset0:66 offset1:67
	s_waitcnt lgkmcnt(0)
	v_mul_f64 v[97:98], v[95:96], v[99:100]
	v_fma_f64 v[97:98], v[93:94], v[101:102], -v[97:98]
	v_mul_f64 v[93:94], v[93:94], v[99:100]
	v_add_f64 v[49:50], v[49:50], -v[97:98]
	v_fma_f64 v[93:94], v[95:96], v[101:102], v[93:94]
	v_add_f64 v[51:52], v[51:52], -v[93:94]
	ds_read2_b64 v[93:96], v90 offset0:68 offset1:69
	s_waitcnt lgkmcnt(0)
	v_mul_f64 v[97:98], v[95:96], v[99:100]
	v_fma_f64 v[97:98], v[93:94], v[101:102], -v[97:98]
	v_mul_f64 v[93:94], v[93:94], v[99:100]
	v_add_f64 v[45:46], v[45:46], -v[97:98]
	v_fma_f64 v[93:94], v[95:96], v[101:102], v[93:94]
	v_add_f64 v[47:48], v[47:48], -v[93:94]
	ds_read2_b64 v[93:96], v90 offset0:70 offset1:71
	s_waitcnt lgkmcnt(0)
	v_mul_f64 v[97:98], v[95:96], v[99:100]
	v_fma_f64 v[97:98], v[93:94], v[101:102], -v[97:98]
	v_mul_f64 v[93:94], v[93:94], v[99:100]
	v_add_f64 v[41:42], v[41:42], -v[97:98]
	v_fma_f64 v[93:94], v[95:96], v[101:102], v[93:94]
	v_add_f64 v[43:44], v[43:44], -v[93:94]
	ds_read2_b64 v[93:96], v90 offset0:72 offset1:73
	s_waitcnt lgkmcnt(0)
	v_mul_f64 v[97:98], v[95:96], v[99:100]
	v_fma_f64 v[97:98], v[93:94], v[101:102], -v[97:98]
	v_mul_f64 v[93:94], v[93:94], v[99:100]
	v_add_f64 v[37:38], v[37:38], -v[97:98]
	v_fma_f64 v[93:94], v[95:96], v[101:102], v[93:94]
	v_add_f64 v[39:40], v[39:40], -v[93:94]
	ds_read2_b64 v[93:96], v90 offset0:74 offset1:75
	s_waitcnt lgkmcnt(0)
	v_mul_f64 v[97:98], v[95:96], v[99:100]
	v_fma_f64 v[97:98], v[93:94], v[101:102], -v[97:98]
	v_mul_f64 v[93:94], v[93:94], v[99:100]
	v_add_f64 v[33:34], v[33:34], -v[97:98]
	v_fma_f64 v[93:94], v[95:96], v[101:102], v[93:94]
	v_add_f64 v[35:36], v[35:36], -v[93:94]
	ds_read2_b64 v[93:96], v90 offset0:76 offset1:77
	s_waitcnt lgkmcnt(0)
	v_mul_f64 v[97:98], v[95:96], v[99:100]
	v_fma_f64 v[97:98], v[93:94], v[101:102], -v[97:98]
	v_mul_f64 v[93:94], v[93:94], v[99:100]
	v_add_f64 v[29:30], v[29:30], -v[97:98]
	v_fma_f64 v[93:94], v[95:96], v[101:102], v[93:94]
	v_add_f64 v[31:32], v[31:32], -v[93:94]
	ds_read2_b64 v[93:96], v90 offset0:78 offset1:79
	s_waitcnt lgkmcnt(0)
	v_mul_f64 v[97:98], v[95:96], v[99:100]
	v_fma_f64 v[97:98], v[93:94], v[101:102], -v[97:98]
	v_mul_f64 v[93:94], v[93:94], v[99:100]
	v_add_f64 v[25:26], v[25:26], -v[97:98]
	v_fma_f64 v[93:94], v[95:96], v[101:102], v[93:94]
	v_add_f64 v[27:28], v[27:28], -v[93:94]
	ds_read2_b64 v[93:96], v90 offset0:80 offset1:81
	s_waitcnt lgkmcnt(0)
	v_mul_f64 v[97:98], v[95:96], v[99:100]
	v_fma_f64 v[97:98], v[93:94], v[101:102], -v[97:98]
	v_mul_f64 v[93:94], v[93:94], v[99:100]
	v_add_f64 v[21:22], v[21:22], -v[97:98]
	v_fma_f64 v[93:94], v[95:96], v[101:102], v[93:94]
	v_add_f64 v[23:24], v[23:24], -v[93:94]
	ds_read2_b64 v[93:96], v90 offset0:82 offset1:83
	s_waitcnt lgkmcnt(0)
	v_mul_f64 v[97:98], v[95:96], v[99:100]
	v_fma_f64 v[97:98], v[93:94], v[101:102], -v[97:98]
	v_mul_f64 v[93:94], v[93:94], v[99:100]
	v_add_f64 v[17:18], v[17:18], -v[97:98]
	v_fma_f64 v[93:94], v[95:96], v[101:102], v[93:94]
	v_add_f64 v[19:20], v[19:20], -v[93:94]
	ds_read2_b64 v[93:96], v90 offset0:84 offset1:85
	s_waitcnt lgkmcnt(0)
	v_mul_f64 v[97:98], v[95:96], v[99:100]
	v_fma_f64 v[97:98], v[93:94], v[101:102], -v[97:98]
	v_mul_f64 v[93:94], v[93:94], v[99:100]
	v_add_f64 v[13:14], v[13:14], -v[97:98]
	v_fma_f64 v[93:94], v[95:96], v[101:102], v[93:94]
	v_add_f64 v[15:16], v[15:16], -v[93:94]
	ds_read2_b64 v[93:96], v90 offset0:86 offset1:87
	s_waitcnt lgkmcnt(0)
	v_mul_f64 v[97:98], v[95:96], v[99:100]
	v_fma_f64 v[97:98], v[93:94], v[101:102], -v[97:98]
	v_mul_f64 v[93:94], v[93:94], v[99:100]
	v_add_f64 v[9:10], v[9:10], -v[97:98]
	v_fma_f64 v[93:94], v[95:96], v[101:102], v[93:94]
	v_add_f64 v[11:12], v[11:12], -v[93:94]
	ds_read2_b64 v[93:96], v90 offset0:88 offset1:89
	s_waitcnt lgkmcnt(0)
	v_mul_f64 v[97:98], v[95:96], v[99:100]
	v_fma_f64 v[97:98], v[93:94], v[101:102], -v[97:98]
	v_mul_f64 v[93:94], v[93:94], v[99:100]
	v_add_f64 v[5:6], v[5:6], -v[97:98]
	v_fma_f64 v[93:94], v[95:96], v[101:102], v[93:94]
	v_add_f64 v[7:8], v[7:8], -v[93:94]
	ds_read2_b64 v[93:96], v90 offset0:90 offset1:91
	s_waitcnt lgkmcnt(0)
	v_mul_f64 v[97:98], v[95:96], v[99:100]
	v_fma_f64 v[97:98], v[93:94], v[101:102], -v[97:98]
	v_mul_f64 v[93:94], v[93:94], v[99:100]
	v_add_f64 v[1:2], v[1:2], -v[97:98]
	v_fma_f64 v[93:94], v[95:96], v[101:102], v[93:94]
	v_add_f64 v[3:4], v[3:4], -v[93:94]
	ds_read2_b64 v[93:96], v90 offset0:92 offset1:93
	s_waitcnt lgkmcnt(0)
	v_mul_f64 v[97:98], v[95:96], v[99:100]
	v_fma_f64 v[97:98], v[93:94], v[101:102], -v[97:98]
	v_mul_f64 v[93:94], v[93:94], v[99:100]
	v_add_f64 v[121:122], v[121:122], -v[97:98]
	v_fma_f64 v[93:94], v[95:96], v[101:102], v[93:94]
	v_mov_b32_e32 v97, v101
	v_mov_b32_e32 v98, v102
	buffer_store_dword v97, off, s[24:27], 0 offset:96 ; 4-byte Folded Spill
	s_nop 0
	buffer_store_dword v98, off, s[24:27], 0 offset:100 ; 4-byte Folded Spill
	buffer_store_dword v99, off, s[24:27], 0 offset:104 ; 4-byte Folded Spill
	;; [unrolled: 1-line block ×3, first 2 shown]
	v_add_f64 v[123:124], v[123:124], -v[93:94]
.LBB92_377:
	s_or_b64 exec, exec, s[0:1]
	s_waitcnt vmcnt(0)
	s_barrier
	buffer_load_dword v81, off, s[24:27], 0 offset:80 ; 4-byte Folded Reload
	buffer_load_dword v82, off, s[24:27], 0 offset:84 ; 4-byte Folded Reload
	;; [unrolled: 1-line block ×4, first 2 shown]
	v_lshl_add_u32 v93, v92, 4, v90
	s_cmp_lt_i32 s3, 20
	s_waitcnt vmcnt(0)
	ds_write2_b64 v93, v[81:82], v[83:84] offset1:1
	s_waitcnt lgkmcnt(0)
	s_barrier
	ds_read2_b64 v[117:120], v90 offset0:36 offset1:37
	v_mov_b32_e32 v93, 18
	s_cbranch_scc1 .LBB92_380
; %bb.378:
	v_add_u32_e32 v94, 0x130, v90
	s_mov_b32 s0, 19
	v_mov_b32_e32 v93, 18
.LBB92_379:                             ; =>This Inner Loop Header: Depth=1
	s_waitcnt lgkmcnt(0)
	v_cmp_gt_f64_e32 vcc, 0, v[117:118]
	v_xor_b32_e32 v99, 0x80000000, v118
	ds_read2_b64 v[95:98], v94 offset1:1
	v_xor_b32_e32 v101, 0x80000000, v120
	v_add_u32_e32 v94, 16, v94
	s_waitcnt lgkmcnt(0)
	v_xor_b32_e32 v103, 0x80000000, v98
	v_cndmask_b32_e32 v100, v118, v99, vcc
	v_cmp_gt_f64_e32 vcc, 0, v[119:120]
	v_mov_b32_e32 v99, v117
	v_cndmask_b32_e32 v102, v120, v101, vcc
	v_cmp_gt_f64_e32 vcc, 0, v[95:96]
	v_mov_b32_e32 v101, v119
	v_add_f64 v[99:100], v[99:100], v[101:102]
	v_xor_b32_e32 v101, 0x80000000, v96
	v_cndmask_b32_e32 v102, v96, v101, vcc
	v_cmp_gt_f64_e32 vcc, 0, v[97:98]
	v_mov_b32_e32 v101, v95
	v_cndmask_b32_e32 v104, v98, v103, vcc
	v_mov_b32_e32 v103, v97
	v_add_f64 v[101:102], v[101:102], v[103:104]
	v_cmp_lt_f64_e32 vcc, v[99:100], v[101:102]
	v_cndmask_b32_e32 v117, v117, v95, vcc
	v_mov_b32_e32 v95, s0
	s_add_i32 s0, s0, 1
	v_cndmask_b32_e32 v118, v118, v96, vcc
	v_cndmask_b32_e32 v120, v120, v98, vcc
	;; [unrolled: 1-line block ×4, first 2 shown]
	s_cmp_lg_u32 s3, s0
	s_cbranch_scc1 .LBB92_379
.LBB92_380:
	s_waitcnt lgkmcnt(0)
	v_cmp_eq_f64_e32 vcc, 0, v[117:118]
	v_cmp_eq_f64_e64 s[0:1], 0, v[119:120]
	s_and_b64 s[0:1], vcc, s[0:1]
	s_and_saveexec_b64 s[18:19], s[0:1]
	s_xor_b64 s[0:1], exec, s[18:19]
; %bb.381:
	v_cmp_ne_u32_e32 vcc, 0, v91
	v_cndmask_b32_e32 v91, 19, v91, vcc
; %bb.382:
	s_andn2_saveexec_b64 s[0:1], s[0:1]
	s_cbranch_execz .LBB92_388
; %bb.383:
	v_cmp_ngt_f64_e64 s[18:19], |v[117:118]|, |v[119:120]|
	s_and_saveexec_b64 s[20:21], s[18:19]
	s_xor_b64 s[18:19], exec, s[20:21]
	s_cbranch_execz .LBB92_385
; %bb.384:
	v_div_scale_f64 v[94:95], s[20:21], v[119:120], v[119:120], v[117:118]
	v_rcp_f64_e32 v[96:97], v[94:95]
	v_fma_f64 v[98:99], -v[94:95], v[96:97], 1.0
	v_fma_f64 v[96:97], v[96:97], v[98:99], v[96:97]
	v_div_scale_f64 v[98:99], vcc, v[117:118], v[119:120], v[117:118]
	v_fma_f64 v[100:101], -v[94:95], v[96:97], 1.0
	v_fma_f64 v[96:97], v[96:97], v[100:101], v[96:97]
	v_mul_f64 v[100:101], v[98:99], v[96:97]
	v_fma_f64 v[94:95], -v[94:95], v[100:101], v[98:99]
	v_div_fmas_f64 v[94:95], v[94:95], v[96:97], v[100:101]
	v_div_fixup_f64 v[94:95], v[94:95], v[119:120], v[117:118]
	v_fma_f64 v[96:97], v[117:118], v[94:95], v[119:120]
	v_div_scale_f64 v[98:99], s[20:21], v[96:97], v[96:97], 1.0
	v_div_scale_f64 v[104:105], vcc, 1.0, v[96:97], 1.0
	v_rcp_f64_e32 v[100:101], v[98:99]
	v_fma_f64 v[102:103], -v[98:99], v[100:101], 1.0
	v_fma_f64 v[100:101], v[100:101], v[102:103], v[100:101]
	v_fma_f64 v[102:103], -v[98:99], v[100:101], 1.0
	v_fma_f64 v[100:101], v[100:101], v[102:103], v[100:101]
	v_mul_f64 v[102:103], v[104:105], v[100:101]
	v_fma_f64 v[98:99], -v[98:99], v[102:103], v[104:105]
	v_div_fmas_f64 v[98:99], v[98:99], v[100:101], v[102:103]
	v_div_fixup_f64 v[119:120], v[98:99], v[96:97], 1.0
	v_mul_f64 v[117:118], v[94:95], v[119:120]
	v_xor_b32_e32 v120, 0x80000000, v120
.LBB92_385:
	s_andn2_saveexec_b64 s[18:19], s[18:19]
	s_cbranch_execz .LBB92_387
; %bb.386:
	v_div_scale_f64 v[94:95], s[20:21], v[117:118], v[117:118], v[119:120]
	v_rcp_f64_e32 v[96:97], v[94:95]
	v_fma_f64 v[98:99], -v[94:95], v[96:97], 1.0
	v_fma_f64 v[96:97], v[96:97], v[98:99], v[96:97]
	v_div_scale_f64 v[98:99], vcc, v[119:120], v[117:118], v[119:120]
	v_fma_f64 v[100:101], -v[94:95], v[96:97], 1.0
	v_fma_f64 v[96:97], v[96:97], v[100:101], v[96:97]
	v_mul_f64 v[100:101], v[98:99], v[96:97]
	v_fma_f64 v[94:95], -v[94:95], v[100:101], v[98:99]
	v_div_fmas_f64 v[94:95], v[94:95], v[96:97], v[100:101]
	v_div_fixup_f64 v[94:95], v[94:95], v[117:118], v[119:120]
	v_fma_f64 v[96:97], v[119:120], v[94:95], v[117:118]
	v_div_scale_f64 v[98:99], s[20:21], v[96:97], v[96:97], 1.0
	v_div_scale_f64 v[104:105], vcc, 1.0, v[96:97], 1.0
	v_rcp_f64_e32 v[100:101], v[98:99]
	v_fma_f64 v[102:103], -v[98:99], v[100:101], 1.0
	v_fma_f64 v[100:101], v[100:101], v[102:103], v[100:101]
	v_fma_f64 v[102:103], -v[98:99], v[100:101], 1.0
	v_fma_f64 v[100:101], v[100:101], v[102:103], v[100:101]
	v_mul_f64 v[102:103], v[104:105], v[100:101]
	v_fma_f64 v[98:99], -v[98:99], v[102:103], v[104:105]
	v_div_fmas_f64 v[98:99], v[98:99], v[100:101], v[102:103]
	v_div_fixup_f64 v[117:118], v[98:99], v[96:97], 1.0
	v_mul_f64 v[119:120], v[94:95], -v[117:118]
.LBB92_387:
	s_or_b64 exec, exec, s[18:19]
.LBB92_388:
	s_or_b64 exec, exec, s[0:1]
	v_cmp_ne_u32_e32 vcc, v92, v93
	s_and_saveexec_b64 s[0:1], vcc
	s_xor_b64 s[0:1], exec, s[0:1]
	s_cbranch_execz .LBB92_394
; %bb.389:
	v_cmp_eq_u32_e32 vcc, 18, v92
	s_and_saveexec_b64 s[18:19], vcc
	s_cbranch_execz .LBB92_393
; %bb.390:
	v_cmp_ne_u32_e32 vcc, 18, v93
	s_xor_b64 s[20:21], s[6:7], -1
	s_and_b64 s[22:23], s[20:21], vcc
	s_and_saveexec_b64 s[20:21], s[22:23]
	s_cbranch_execz .LBB92_392
; %bb.391:
	v_mov_b32_e32 v81, v85
	v_mov_b32_e32 v82, v86
	;; [unrolled: 1-line block ×4, first 2 shown]
	buffer_load_dword v85, off, s[24:27], 0 offset:336 ; 4-byte Folded Reload
	buffer_load_dword v86, off, s[24:27], 0 offset:340 ; 4-byte Folded Reload
	v_ashrrev_i32_e32 v94, 31, v93
	v_lshlrev_b64 v[94:95], 2, v[93:94]
	s_waitcnt vmcnt(1)
	v_add_co_u32_e32 v94, vcc, v85, v94
	s_waitcnt vmcnt(0)
	v_addc_co_u32_e32 v95, vcc, v86, v95, vcc
	global_load_dword v0, v[94:95], off
	global_load_dword v92, v[85:86], off offset:72
	s_waitcnt vmcnt(1)
	global_store_dword v[85:86], v0, off offset:72
	v_mov_b32_e32 v88, v84
	v_mov_b32_e32 v87, v83
	;; [unrolled: 1-line block ×4, first 2 shown]
	s_waitcnt vmcnt(1)
	global_store_dword v[94:95], v92, off
.LBB92_392:
	s_or_b64 exec, exec, s[20:21]
	v_mov_b32_e32 v92, v93
	v_mov_b32_e32 v0, v93
.LBB92_393:
	s_or_b64 exec, exec, s[18:19]
.LBB92_394:
	s_andn2_saveexec_b64 s[0:1], s[0:1]
	s_cbranch_execz .LBB92_396
; %bb.395:
	buffer_load_dword v81, off, s[24:27], 0 offset:64 ; 4-byte Folded Reload
	buffer_load_dword v82, off, s[24:27], 0 offset:68 ; 4-byte Folded Reload
	;; [unrolled: 1-line block ×4, first 2 shown]
	v_mov_b32_e32 v92, 18
	s_waitcnt vmcnt(0)
	ds_write2_b64 v90, v[81:82], v[83:84] offset0:38 offset1:39
	buffer_load_dword v81, off, s[24:27], 0 offset:48 ; 4-byte Folded Reload
	buffer_load_dword v82, off, s[24:27], 0 offset:52 ; 4-byte Folded Reload
	buffer_load_dword v83, off, s[24:27], 0 offset:56 ; 4-byte Folded Reload
	buffer_load_dword v84, off, s[24:27], 0 offset:60 ; 4-byte Folded Reload
	s_waitcnt vmcnt(0)
	ds_write2_b64 v90, v[81:82], v[83:84] offset0:40 offset1:41
	buffer_load_dword v81, off, s[24:27], 0 offset:32 ; 4-byte Folded Reload
	buffer_load_dword v82, off, s[24:27], 0 offset:36 ; 4-byte Folded Reload
	buffer_load_dword v83, off, s[24:27], 0 offset:40 ; 4-byte Folded Reload
	buffer_load_dword v84, off, s[24:27], 0 offset:44 ; 4-byte Folded Reload
	;; [unrolled: 6-line block ×3, first 2 shown]
	s_waitcnt vmcnt(0)
	ds_write2_b64 v90, v[81:82], v[83:84] offset0:44 offset1:45
	ds_write2_b64 v90, v[85:86], v[87:88] offset0:46 offset1:47
	;; [unrolled: 1-line block ×3, first 2 shown]
	buffer_load_dword v81, off, s[24:27], 0 ; 4-byte Folded Reload
	buffer_load_dword v82, off, s[24:27], 0 offset:4 ; 4-byte Folded Reload
	buffer_load_dword v83, off, s[24:27], 0 offset:8 ; 4-byte Folded Reload
	;; [unrolled: 1-line block ×3, first 2 shown]
	s_waitcnt vmcnt(0)
	ds_write2_b64 v90, v[81:82], v[83:84] offset0:50 offset1:51
	ds_write2_b64 v90, v[77:78], v[79:80] offset0:52 offset1:53
	;; [unrolled: 1-line block ×22, first 2 shown]
.LBB92_396:
	s_or_b64 exec, exec, s[0:1]
	v_cmp_lt_i32_e32 vcc, 18, v92
	s_waitcnt vmcnt(0) lgkmcnt(0)
	s_barrier
	s_and_saveexec_b64 s[0:1], vcc
	s_cbranch_execz .LBB92_398
; %bb.397:
	buffer_load_dword v99, off, s[24:27], 0 offset:80 ; 4-byte Folded Reload
	buffer_load_dword v100, off, s[24:27], 0 offset:84 ; 4-byte Folded Reload
	;; [unrolled: 1-line block ×4, first 2 shown]
	s_waitcnt vmcnt(0)
	v_mul_f64 v[95:96], v[117:118], v[101:102]
	v_mul_f64 v[93:94], v[119:120], v[101:102]
	v_fma_f64 v[101:102], v[119:120], v[99:100], v[95:96]
	ds_read2_b64 v[95:98], v90 offset0:38 offset1:39
	buffer_load_dword v81, off, s[24:27], 0 offset:64 ; 4-byte Folded Reload
	buffer_load_dword v82, off, s[24:27], 0 offset:68 ; 4-byte Folded Reload
	;; [unrolled: 1-line block ×4, first 2 shown]
	v_fma_f64 v[93:94], v[117:118], v[99:100], -v[93:94]
	s_waitcnt lgkmcnt(0)
	v_mul_f64 v[99:100], v[97:98], v[101:102]
	v_fma_f64 v[99:100], v[95:96], v[93:94], -v[99:100]
	v_mul_f64 v[95:96], v[95:96], v[101:102]
	v_fma_f64 v[95:96], v[97:98], v[93:94], v[95:96]
	s_waitcnt vmcnt(2)
	v_add_f64 v[81:82], v[81:82], -v[99:100]
	s_waitcnt vmcnt(0)
	v_add_f64 v[83:84], v[83:84], -v[95:96]
	buffer_store_dword v81, off, s[24:27], 0 offset:64 ; 4-byte Folded Spill
	s_nop 0
	buffer_store_dword v82, off, s[24:27], 0 offset:68 ; 4-byte Folded Spill
	buffer_store_dword v83, off, s[24:27], 0 offset:72 ; 4-byte Folded Spill
	buffer_store_dword v84, off, s[24:27], 0 offset:76 ; 4-byte Folded Spill
	ds_read2_b64 v[95:98], v90 offset0:40 offset1:41
	buffer_load_dword v81, off, s[24:27], 0 offset:48 ; 4-byte Folded Reload
	buffer_load_dword v82, off, s[24:27], 0 offset:52 ; 4-byte Folded Reload
	buffer_load_dword v83, off, s[24:27], 0 offset:56 ; 4-byte Folded Reload
	buffer_load_dword v84, off, s[24:27], 0 offset:60 ; 4-byte Folded Reload
	s_waitcnt lgkmcnt(0)
	v_mul_f64 v[99:100], v[97:98], v[101:102]
	v_fma_f64 v[99:100], v[95:96], v[93:94], -v[99:100]
	v_mul_f64 v[95:96], v[95:96], v[101:102]
	v_fma_f64 v[95:96], v[97:98], v[93:94], v[95:96]
	s_waitcnt vmcnt(2)
	v_add_f64 v[81:82], v[81:82], -v[99:100]
	s_waitcnt vmcnt(0)
	v_add_f64 v[83:84], v[83:84], -v[95:96]
	buffer_store_dword v81, off, s[24:27], 0 offset:48 ; 4-byte Folded Spill
	s_nop 0
	buffer_store_dword v82, off, s[24:27], 0 offset:52 ; 4-byte Folded Spill
	buffer_store_dword v83, off, s[24:27], 0 offset:56 ; 4-byte Folded Spill
	buffer_store_dword v84, off, s[24:27], 0 offset:60 ; 4-byte Folded Spill
	ds_read2_b64 v[95:98], v90 offset0:42 offset1:43
	buffer_load_dword v81, off, s[24:27], 0 offset:32 ; 4-byte Folded Reload
	buffer_load_dword v82, off, s[24:27], 0 offset:36 ; 4-byte Folded Reload
	buffer_load_dword v83, off, s[24:27], 0 offset:40 ; 4-byte Folded Reload
	buffer_load_dword v84, off, s[24:27], 0 offset:44 ; 4-byte Folded Reload
	;; [unrolled: 19-line block ×3, first 2 shown]
	s_waitcnt lgkmcnt(0)
	v_mul_f64 v[99:100], v[97:98], v[101:102]
	v_fma_f64 v[99:100], v[95:96], v[93:94], -v[99:100]
	v_mul_f64 v[95:96], v[95:96], v[101:102]
	v_fma_f64 v[95:96], v[97:98], v[93:94], v[95:96]
	s_waitcnt vmcnt(2)
	v_add_f64 v[81:82], v[81:82], -v[99:100]
	s_waitcnt vmcnt(0)
	v_add_f64 v[83:84], v[83:84], -v[95:96]
	buffer_store_dword v81, off, s[24:27], 0 offset:16 ; 4-byte Folded Spill
	s_nop 0
	buffer_store_dword v82, off, s[24:27], 0 offset:20 ; 4-byte Folded Spill
	buffer_store_dword v83, off, s[24:27], 0 offset:24 ; 4-byte Folded Spill
	;; [unrolled: 1-line block ×3, first 2 shown]
	ds_read2_b64 v[95:98], v90 offset0:46 offset1:47
	s_waitcnt lgkmcnt(0)
	v_mul_f64 v[99:100], v[97:98], v[101:102]
	v_fma_f64 v[99:100], v[95:96], v[93:94], -v[99:100]
	v_mul_f64 v[95:96], v[95:96], v[101:102]
	v_add_f64 v[85:86], v[85:86], -v[99:100]
	v_fma_f64 v[95:96], v[97:98], v[93:94], v[95:96]
	v_add_f64 v[87:88], v[87:88], -v[95:96]
	ds_read2_b64 v[95:98], v90 offset0:48 offset1:49
	s_waitcnt lgkmcnt(0)
	v_mul_f64 v[99:100], v[97:98], v[101:102]
	v_fma_f64 v[99:100], v[95:96], v[93:94], -v[99:100]
	v_mul_f64 v[95:96], v[95:96], v[101:102]
	v_add_f64 v[111:112], v[111:112], -v[99:100]
	v_fma_f64 v[95:96], v[97:98], v[93:94], v[95:96]
	v_add_f64 v[113:114], v[113:114], -v[95:96]
	ds_read2_b64 v[95:98], v90 offset0:50 offset1:51
	buffer_load_dword v81, off, s[24:27], 0 ; 4-byte Folded Reload
	buffer_load_dword v82, off, s[24:27], 0 offset:4 ; 4-byte Folded Reload
	buffer_load_dword v83, off, s[24:27], 0 offset:8 ; 4-byte Folded Reload
	;; [unrolled: 1-line block ×3, first 2 shown]
	s_waitcnt lgkmcnt(0)
	v_mul_f64 v[99:100], v[97:98], v[101:102]
	v_fma_f64 v[99:100], v[95:96], v[93:94], -v[99:100]
	v_mul_f64 v[95:96], v[95:96], v[101:102]
	v_fma_f64 v[95:96], v[97:98], v[93:94], v[95:96]
	s_waitcnt vmcnt(2)
	v_add_f64 v[81:82], v[81:82], -v[99:100]
	s_waitcnt vmcnt(0)
	v_add_f64 v[83:84], v[83:84], -v[95:96]
	buffer_store_dword v81, off, s[24:27], 0 ; 4-byte Folded Spill
	s_nop 0
	buffer_store_dword v82, off, s[24:27], 0 offset:4 ; 4-byte Folded Spill
	buffer_store_dword v83, off, s[24:27], 0 offset:8 ; 4-byte Folded Spill
	buffer_store_dword v84, off, s[24:27], 0 offset:12 ; 4-byte Folded Spill
	ds_read2_b64 v[95:98], v90 offset0:52 offset1:53
	s_waitcnt lgkmcnt(0)
	v_mul_f64 v[99:100], v[97:98], v[101:102]
	v_fma_f64 v[99:100], v[95:96], v[93:94], -v[99:100]
	v_mul_f64 v[95:96], v[95:96], v[101:102]
	v_add_f64 v[77:78], v[77:78], -v[99:100]
	v_fma_f64 v[95:96], v[97:98], v[93:94], v[95:96]
	v_add_f64 v[79:80], v[79:80], -v[95:96]
	ds_read2_b64 v[95:98], v90 offset0:54 offset1:55
	s_waitcnt lgkmcnt(0)
	v_mul_f64 v[99:100], v[97:98], v[101:102]
	v_fma_f64 v[99:100], v[95:96], v[93:94], -v[99:100]
	v_mul_f64 v[95:96], v[95:96], v[101:102]
	v_add_f64 v[73:74], v[73:74], -v[99:100]
	v_fma_f64 v[95:96], v[97:98], v[93:94], v[95:96]
	v_add_f64 v[75:76], v[75:76], -v[95:96]
	ds_read2_b64 v[95:98], v90 offset0:56 offset1:57
	s_waitcnt lgkmcnt(0)
	v_mul_f64 v[99:100], v[97:98], v[101:102]
	v_fma_f64 v[99:100], v[95:96], v[93:94], -v[99:100]
	v_mul_f64 v[95:96], v[95:96], v[101:102]
	v_add_f64 v[69:70], v[69:70], -v[99:100]
	v_fma_f64 v[95:96], v[97:98], v[93:94], v[95:96]
	v_add_f64 v[71:72], v[71:72], -v[95:96]
	ds_read2_b64 v[95:98], v90 offset0:58 offset1:59
	s_waitcnt lgkmcnt(0)
	v_mul_f64 v[99:100], v[97:98], v[101:102]
	v_fma_f64 v[99:100], v[95:96], v[93:94], -v[99:100]
	v_mul_f64 v[95:96], v[95:96], v[101:102]
	v_add_f64 v[65:66], v[65:66], -v[99:100]
	v_fma_f64 v[95:96], v[97:98], v[93:94], v[95:96]
	v_add_f64 v[67:68], v[67:68], -v[95:96]
	ds_read2_b64 v[95:98], v90 offset0:60 offset1:61
	s_waitcnt lgkmcnt(0)
	v_mul_f64 v[99:100], v[97:98], v[101:102]
	v_fma_f64 v[99:100], v[95:96], v[93:94], -v[99:100]
	v_mul_f64 v[95:96], v[95:96], v[101:102]
	v_add_f64 v[61:62], v[61:62], -v[99:100]
	v_fma_f64 v[95:96], v[97:98], v[93:94], v[95:96]
	v_add_f64 v[63:64], v[63:64], -v[95:96]
	ds_read2_b64 v[95:98], v90 offset0:62 offset1:63
	s_waitcnt lgkmcnt(0)
	v_mul_f64 v[99:100], v[97:98], v[101:102]
	v_fma_f64 v[99:100], v[95:96], v[93:94], -v[99:100]
	v_mul_f64 v[95:96], v[95:96], v[101:102]
	v_add_f64 v[57:58], v[57:58], -v[99:100]
	v_fma_f64 v[95:96], v[97:98], v[93:94], v[95:96]
	v_add_f64 v[59:60], v[59:60], -v[95:96]
	ds_read2_b64 v[95:98], v90 offset0:64 offset1:65
	s_waitcnt lgkmcnt(0)
	v_mul_f64 v[99:100], v[97:98], v[101:102]
	v_fma_f64 v[99:100], v[95:96], v[93:94], -v[99:100]
	v_mul_f64 v[95:96], v[95:96], v[101:102]
	v_add_f64 v[53:54], v[53:54], -v[99:100]
	v_fma_f64 v[95:96], v[97:98], v[93:94], v[95:96]
	v_add_f64 v[55:56], v[55:56], -v[95:96]
	ds_read2_b64 v[95:98], v90 offset0:66 offset1:67
	s_waitcnt lgkmcnt(0)
	v_mul_f64 v[99:100], v[97:98], v[101:102]
	v_fma_f64 v[99:100], v[95:96], v[93:94], -v[99:100]
	v_mul_f64 v[95:96], v[95:96], v[101:102]
	v_add_f64 v[49:50], v[49:50], -v[99:100]
	v_fma_f64 v[95:96], v[97:98], v[93:94], v[95:96]
	v_add_f64 v[51:52], v[51:52], -v[95:96]
	ds_read2_b64 v[95:98], v90 offset0:68 offset1:69
	s_waitcnt lgkmcnt(0)
	v_mul_f64 v[99:100], v[97:98], v[101:102]
	v_fma_f64 v[99:100], v[95:96], v[93:94], -v[99:100]
	v_mul_f64 v[95:96], v[95:96], v[101:102]
	v_add_f64 v[45:46], v[45:46], -v[99:100]
	v_fma_f64 v[95:96], v[97:98], v[93:94], v[95:96]
	v_add_f64 v[47:48], v[47:48], -v[95:96]
	ds_read2_b64 v[95:98], v90 offset0:70 offset1:71
	s_waitcnt lgkmcnt(0)
	v_mul_f64 v[99:100], v[97:98], v[101:102]
	v_fma_f64 v[99:100], v[95:96], v[93:94], -v[99:100]
	v_mul_f64 v[95:96], v[95:96], v[101:102]
	v_add_f64 v[41:42], v[41:42], -v[99:100]
	v_fma_f64 v[95:96], v[97:98], v[93:94], v[95:96]
	v_add_f64 v[43:44], v[43:44], -v[95:96]
	ds_read2_b64 v[95:98], v90 offset0:72 offset1:73
	s_waitcnt lgkmcnt(0)
	v_mul_f64 v[99:100], v[97:98], v[101:102]
	v_fma_f64 v[99:100], v[95:96], v[93:94], -v[99:100]
	v_mul_f64 v[95:96], v[95:96], v[101:102]
	v_add_f64 v[37:38], v[37:38], -v[99:100]
	v_fma_f64 v[95:96], v[97:98], v[93:94], v[95:96]
	v_add_f64 v[39:40], v[39:40], -v[95:96]
	ds_read2_b64 v[95:98], v90 offset0:74 offset1:75
	s_waitcnt lgkmcnt(0)
	v_mul_f64 v[99:100], v[97:98], v[101:102]
	v_fma_f64 v[99:100], v[95:96], v[93:94], -v[99:100]
	v_mul_f64 v[95:96], v[95:96], v[101:102]
	v_add_f64 v[33:34], v[33:34], -v[99:100]
	v_fma_f64 v[95:96], v[97:98], v[93:94], v[95:96]
	v_add_f64 v[35:36], v[35:36], -v[95:96]
	ds_read2_b64 v[95:98], v90 offset0:76 offset1:77
	s_waitcnt lgkmcnt(0)
	v_mul_f64 v[99:100], v[97:98], v[101:102]
	v_fma_f64 v[99:100], v[95:96], v[93:94], -v[99:100]
	v_mul_f64 v[95:96], v[95:96], v[101:102]
	v_add_f64 v[29:30], v[29:30], -v[99:100]
	v_fma_f64 v[95:96], v[97:98], v[93:94], v[95:96]
	v_add_f64 v[31:32], v[31:32], -v[95:96]
	ds_read2_b64 v[95:98], v90 offset0:78 offset1:79
	s_waitcnt lgkmcnt(0)
	v_mul_f64 v[99:100], v[97:98], v[101:102]
	v_fma_f64 v[99:100], v[95:96], v[93:94], -v[99:100]
	v_mul_f64 v[95:96], v[95:96], v[101:102]
	v_add_f64 v[25:26], v[25:26], -v[99:100]
	v_fma_f64 v[95:96], v[97:98], v[93:94], v[95:96]
	v_add_f64 v[27:28], v[27:28], -v[95:96]
	ds_read2_b64 v[95:98], v90 offset0:80 offset1:81
	s_waitcnt lgkmcnt(0)
	v_mul_f64 v[99:100], v[97:98], v[101:102]
	v_fma_f64 v[99:100], v[95:96], v[93:94], -v[99:100]
	v_mul_f64 v[95:96], v[95:96], v[101:102]
	v_add_f64 v[21:22], v[21:22], -v[99:100]
	v_fma_f64 v[95:96], v[97:98], v[93:94], v[95:96]
	v_add_f64 v[23:24], v[23:24], -v[95:96]
	ds_read2_b64 v[95:98], v90 offset0:82 offset1:83
	s_waitcnt lgkmcnt(0)
	v_mul_f64 v[99:100], v[97:98], v[101:102]
	v_fma_f64 v[99:100], v[95:96], v[93:94], -v[99:100]
	v_mul_f64 v[95:96], v[95:96], v[101:102]
	v_add_f64 v[17:18], v[17:18], -v[99:100]
	v_fma_f64 v[95:96], v[97:98], v[93:94], v[95:96]
	v_add_f64 v[19:20], v[19:20], -v[95:96]
	ds_read2_b64 v[95:98], v90 offset0:84 offset1:85
	s_waitcnt lgkmcnt(0)
	v_mul_f64 v[99:100], v[97:98], v[101:102]
	v_fma_f64 v[99:100], v[95:96], v[93:94], -v[99:100]
	v_mul_f64 v[95:96], v[95:96], v[101:102]
	v_add_f64 v[13:14], v[13:14], -v[99:100]
	v_fma_f64 v[95:96], v[97:98], v[93:94], v[95:96]
	v_add_f64 v[15:16], v[15:16], -v[95:96]
	ds_read2_b64 v[95:98], v90 offset0:86 offset1:87
	s_waitcnt lgkmcnt(0)
	v_mul_f64 v[99:100], v[97:98], v[101:102]
	v_fma_f64 v[99:100], v[95:96], v[93:94], -v[99:100]
	v_mul_f64 v[95:96], v[95:96], v[101:102]
	v_add_f64 v[9:10], v[9:10], -v[99:100]
	v_fma_f64 v[95:96], v[97:98], v[93:94], v[95:96]
	v_add_f64 v[11:12], v[11:12], -v[95:96]
	ds_read2_b64 v[95:98], v90 offset0:88 offset1:89
	s_waitcnt lgkmcnt(0)
	v_mul_f64 v[99:100], v[97:98], v[101:102]
	v_fma_f64 v[99:100], v[95:96], v[93:94], -v[99:100]
	v_mul_f64 v[95:96], v[95:96], v[101:102]
	v_add_f64 v[5:6], v[5:6], -v[99:100]
	v_fma_f64 v[95:96], v[97:98], v[93:94], v[95:96]
	v_add_f64 v[7:8], v[7:8], -v[95:96]
	ds_read2_b64 v[95:98], v90 offset0:90 offset1:91
	s_waitcnt lgkmcnt(0)
	v_mul_f64 v[99:100], v[97:98], v[101:102]
	v_fma_f64 v[99:100], v[95:96], v[93:94], -v[99:100]
	v_mul_f64 v[95:96], v[95:96], v[101:102]
	v_add_f64 v[1:2], v[1:2], -v[99:100]
	v_fma_f64 v[95:96], v[97:98], v[93:94], v[95:96]
	v_add_f64 v[3:4], v[3:4], -v[95:96]
	ds_read2_b64 v[95:98], v90 offset0:92 offset1:93
	s_waitcnt lgkmcnt(0)
	v_mul_f64 v[99:100], v[97:98], v[101:102]
	v_fma_f64 v[99:100], v[95:96], v[93:94], -v[99:100]
	v_mul_f64 v[95:96], v[95:96], v[101:102]
	v_add_f64 v[121:122], v[121:122], -v[99:100]
	v_fma_f64 v[95:96], v[97:98], v[93:94], v[95:96]
	v_mov_b32_e32 v100, v94
	v_mov_b32_e32 v99, v93
	buffer_store_dword v99, off, s[24:27], 0 offset:80 ; 4-byte Folded Spill
	s_nop 0
	buffer_store_dword v100, off, s[24:27], 0 offset:84 ; 4-byte Folded Spill
	buffer_store_dword v101, off, s[24:27], 0 offset:88 ; 4-byte Folded Spill
	;; [unrolled: 1-line block ×3, first 2 shown]
	v_add_f64 v[123:124], v[123:124], -v[95:96]
.LBB92_398:
	s_or_b64 exec, exec, s[0:1]
	s_waitcnt vmcnt(0)
	s_barrier
	buffer_load_dword v81, off, s[24:27], 0 offset:64 ; 4-byte Folded Reload
	buffer_load_dword v82, off, s[24:27], 0 offset:68 ; 4-byte Folded Reload
	;; [unrolled: 1-line block ×4, first 2 shown]
	v_lshl_add_u32 v93, v92, 4, v90
	s_cmp_lt_i32 s3, 21
	s_waitcnt vmcnt(0)
	ds_write2_b64 v93, v[81:82], v[83:84] offset1:1
	s_waitcnt lgkmcnt(0)
	s_barrier
	ds_read2_b64 v[117:120], v90 offset0:38 offset1:39
	v_mov_b32_e32 v93, 19
	s_cbranch_scc1 .LBB92_401
; %bb.399:
	v_add_u32_e32 v94, 0x140, v90
	s_mov_b32 s0, 20
	v_mov_b32_e32 v93, 19
.LBB92_400:                             ; =>This Inner Loop Header: Depth=1
	s_waitcnt lgkmcnt(0)
	v_cmp_gt_f64_e32 vcc, 0, v[117:118]
	v_xor_b32_e32 v99, 0x80000000, v118
	ds_read2_b64 v[95:98], v94 offset1:1
	v_xor_b32_e32 v101, 0x80000000, v120
	v_add_u32_e32 v94, 16, v94
	s_waitcnt lgkmcnt(0)
	v_xor_b32_e32 v103, 0x80000000, v98
	v_cndmask_b32_e32 v100, v118, v99, vcc
	v_cmp_gt_f64_e32 vcc, 0, v[119:120]
	v_mov_b32_e32 v99, v117
	v_cndmask_b32_e32 v102, v120, v101, vcc
	v_cmp_gt_f64_e32 vcc, 0, v[95:96]
	v_mov_b32_e32 v101, v119
	v_add_f64 v[99:100], v[99:100], v[101:102]
	v_xor_b32_e32 v101, 0x80000000, v96
	v_cndmask_b32_e32 v102, v96, v101, vcc
	v_cmp_gt_f64_e32 vcc, 0, v[97:98]
	v_mov_b32_e32 v101, v95
	v_cndmask_b32_e32 v104, v98, v103, vcc
	v_mov_b32_e32 v103, v97
	v_add_f64 v[101:102], v[101:102], v[103:104]
	v_cmp_lt_f64_e32 vcc, v[99:100], v[101:102]
	v_cndmask_b32_e32 v117, v117, v95, vcc
	v_mov_b32_e32 v95, s0
	s_add_i32 s0, s0, 1
	v_cndmask_b32_e32 v118, v118, v96, vcc
	v_cndmask_b32_e32 v120, v120, v98, vcc
	;; [unrolled: 1-line block ×4, first 2 shown]
	s_cmp_lg_u32 s3, s0
	s_cbranch_scc1 .LBB92_400
.LBB92_401:
	s_waitcnt lgkmcnt(0)
	v_cmp_eq_f64_e32 vcc, 0, v[117:118]
	v_cmp_eq_f64_e64 s[0:1], 0, v[119:120]
	s_and_b64 s[0:1], vcc, s[0:1]
	s_and_saveexec_b64 s[18:19], s[0:1]
	s_xor_b64 s[0:1], exec, s[18:19]
; %bb.402:
	v_cmp_ne_u32_e32 vcc, 0, v91
	v_cndmask_b32_e32 v91, 20, v91, vcc
; %bb.403:
	s_andn2_saveexec_b64 s[0:1], s[0:1]
	s_cbranch_execz .LBB92_409
; %bb.404:
	v_cmp_ngt_f64_e64 s[18:19], |v[117:118]|, |v[119:120]|
	s_and_saveexec_b64 s[20:21], s[18:19]
	s_xor_b64 s[18:19], exec, s[20:21]
	s_cbranch_execz .LBB92_406
; %bb.405:
	v_div_scale_f64 v[94:95], s[20:21], v[119:120], v[119:120], v[117:118]
	v_rcp_f64_e32 v[96:97], v[94:95]
	v_fma_f64 v[98:99], -v[94:95], v[96:97], 1.0
	v_fma_f64 v[96:97], v[96:97], v[98:99], v[96:97]
	v_div_scale_f64 v[98:99], vcc, v[117:118], v[119:120], v[117:118]
	v_fma_f64 v[100:101], -v[94:95], v[96:97], 1.0
	v_fma_f64 v[96:97], v[96:97], v[100:101], v[96:97]
	v_mul_f64 v[100:101], v[98:99], v[96:97]
	v_fma_f64 v[94:95], -v[94:95], v[100:101], v[98:99]
	v_div_fmas_f64 v[94:95], v[94:95], v[96:97], v[100:101]
	v_div_fixup_f64 v[94:95], v[94:95], v[119:120], v[117:118]
	v_fma_f64 v[96:97], v[117:118], v[94:95], v[119:120]
	v_div_scale_f64 v[98:99], s[20:21], v[96:97], v[96:97], 1.0
	v_div_scale_f64 v[104:105], vcc, 1.0, v[96:97], 1.0
	v_rcp_f64_e32 v[100:101], v[98:99]
	v_fma_f64 v[102:103], -v[98:99], v[100:101], 1.0
	v_fma_f64 v[100:101], v[100:101], v[102:103], v[100:101]
	v_fma_f64 v[102:103], -v[98:99], v[100:101], 1.0
	v_fma_f64 v[100:101], v[100:101], v[102:103], v[100:101]
	v_mul_f64 v[102:103], v[104:105], v[100:101]
	v_fma_f64 v[98:99], -v[98:99], v[102:103], v[104:105]
	v_div_fmas_f64 v[98:99], v[98:99], v[100:101], v[102:103]
	v_div_fixup_f64 v[119:120], v[98:99], v[96:97], 1.0
	v_mul_f64 v[117:118], v[94:95], v[119:120]
	v_xor_b32_e32 v120, 0x80000000, v120
.LBB92_406:
	s_andn2_saveexec_b64 s[18:19], s[18:19]
	s_cbranch_execz .LBB92_408
; %bb.407:
	v_div_scale_f64 v[94:95], s[20:21], v[117:118], v[117:118], v[119:120]
	v_rcp_f64_e32 v[96:97], v[94:95]
	v_fma_f64 v[98:99], -v[94:95], v[96:97], 1.0
	v_fma_f64 v[96:97], v[96:97], v[98:99], v[96:97]
	v_div_scale_f64 v[98:99], vcc, v[119:120], v[117:118], v[119:120]
	v_fma_f64 v[100:101], -v[94:95], v[96:97], 1.0
	v_fma_f64 v[96:97], v[96:97], v[100:101], v[96:97]
	v_mul_f64 v[100:101], v[98:99], v[96:97]
	v_fma_f64 v[94:95], -v[94:95], v[100:101], v[98:99]
	v_div_fmas_f64 v[94:95], v[94:95], v[96:97], v[100:101]
	v_div_fixup_f64 v[94:95], v[94:95], v[117:118], v[119:120]
	v_fma_f64 v[96:97], v[119:120], v[94:95], v[117:118]
	v_div_scale_f64 v[98:99], s[20:21], v[96:97], v[96:97], 1.0
	v_div_scale_f64 v[104:105], vcc, 1.0, v[96:97], 1.0
	v_rcp_f64_e32 v[100:101], v[98:99]
	v_fma_f64 v[102:103], -v[98:99], v[100:101], 1.0
	v_fma_f64 v[100:101], v[100:101], v[102:103], v[100:101]
	v_fma_f64 v[102:103], -v[98:99], v[100:101], 1.0
	v_fma_f64 v[100:101], v[100:101], v[102:103], v[100:101]
	v_mul_f64 v[102:103], v[104:105], v[100:101]
	v_fma_f64 v[98:99], -v[98:99], v[102:103], v[104:105]
	v_div_fmas_f64 v[98:99], v[98:99], v[100:101], v[102:103]
	v_div_fixup_f64 v[117:118], v[98:99], v[96:97], 1.0
	v_mul_f64 v[119:120], v[94:95], -v[117:118]
.LBB92_408:
	s_or_b64 exec, exec, s[18:19]
.LBB92_409:
	s_or_b64 exec, exec, s[0:1]
	v_cmp_ne_u32_e32 vcc, v92, v93
	s_and_saveexec_b64 s[0:1], vcc
	s_xor_b64 s[0:1], exec, s[0:1]
	s_cbranch_execz .LBB92_415
; %bb.410:
	v_cmp_eq_u32_e32 vcc, 19, v92
	s_and_saveexec_b64 s[18:19], vcc
	s_cbranch_execz .LBB92_414
; %bb.411:
	v_cmp_ne_u32_e32 vcc, 19, v93
	s_xor_b64 s[20:21], s[6:7], -1
	s_and_b64 s[22:23], s[20:21], vcc
	s_and_saveexec_b64 s[20:21], s[22:23]
	s_cbranch_execz .LBB92_413
; %bb.412:
	v_mov_b32_e32 v81, v85
	v_mov_b32_e32 v82, v86
	;; [unrolled: 1-line block ×4, first 2 shown]
	buffer_load_dword v85, off, s[24:27], 0 offset:336 ; 4-byte Folded Reload
	buffer_load_dword v86, off, s[24:27], 0 offset:340 ; 4-byte Folded Reload
	v_ashrrev_i32_e32 v94, 31, v93
	v_lshlrev_b64 v[94:95], 2, v[93:94]
	s_waitcnt vmcnt(1)
	v_add_co_u32_e32 v94, vcc, v85, v94
	s_waitcnt vmcnt(0)
	v_addc_co_u32_e32 v95, vcc, v86, v95, vcc
	global_load_dword v0, v[94:95], off
	global_load_dword v92, v[85:86], off offset:76
	s_waitcnt vmcnt(1)
	global_store_dword v[85:86], v0, off offset:76
	v_mov_b32_e32 v88, v84
	v_mov_b32_e32 v87, v83
	;; [unrolled: 1-line block ×4, first 2 shown]
	s_waitcnt vmcnt(1)
	global_store_dword v[94:95], v92, off
.LBB92_413:
	s_or_b64 exec, exec, s[20:21]
	v_mov_b32_e32 v92, v93
	v_mov_b32_e32 v0, v93
.LBB92_414:
	s_or_b64 exec, exec, s[18:19]
.LBB92_415:
	s_andn2_saveexec_b64 s[0:1], s[0:1]
	s_cbranch_execz .LBB92_417
; %bb.416:
	buffer_load_dword v81, off, s[24:27], 0 offset:48 ; 4-byte Folded Reload
	buffer_load_dword v82, off, s[24:27], 0 offset:52 ; 4-byte Folded Reload
	;; [unrolled: 1-line block ×4, first 2 shown]
	v_mov_b32_e32 v92, 19
	s_waitcnt vmcnt(0)
	ds_write2_b64 v90, v[81:82], v[83:84] offset0:40 offset1:41
	buffer_load_dword v81, off, s[24:27], 0 offset:32 ; 4-byte Folded Reload
	buffer_load_dword v82, off, s[24:27], 0 offset:36 ; 4-byte Folded Reload
	;; [unrolled: 1-line block ×4, first 2 shown]
	s_waitcnt vmcnt(0)
	ds_write2_b64 v90, v[81:82], v[83:84] offset0:42 offset1:43
	buffer_load_dword v81, off, s[24:27], 0 offset:16 ; 4-byte Folded Reload
	buffer_load_dword v82, off, s[24:27], 0 offset:20 ; 4-byte Folded Reload
	;; [unrolled: 1-line block ×4, first 2 shown]
	s_waitcnt vmcnt(0)
	ds_write2_b64 v90, v[81:82], v[83:84] offset0:44 offset1:45
	ds_write2_b64 v90, v[85:86], v[87:88] offset0:46 offset1:47
	;; [unrolled: 1-line block ×3, first 2 shown]
	buffer_load_dword v81, off, s[24:27], 0 ; 4-byte Folded Reload
	buffer_load_dword v82, off, s[24:27], 0 offset:4 ; 4-byte Folded Reload
	buffer_load_dword v83, off, s[24:27], 0 offset:8 ; 4-byte Folded Reload
	;; [unrolled: 1-line block ×3, first 2 shown]
	s_waitcnt vmcnt(0)
	ds_write2_b64 v90, v[81:82], v[83:84] offset0:50 offset1:51
	ds_write2_b64 v90, v[77:78], v[79:80] offset0:52 offset1:53
	;; [unrolled: 1-line block ×22, first 2 shown]
.LBB92_417:
	s_or_b64 exec, exec, s[0:1]
	v_cmp_lt_i32_e32 vcc, 19, v92
	s_waitcnt vmcnt(0) lgkmcnt(0)
	s_barrier
	s_and_saveexec_b64 s[0:1], vcc
	s_cbranch_execz .LBB92_419
; %bb.418:
	buffer_load_dword v99, off, s[24:27], 0 offset:64 ; 4-byte Folded Reload
	buffer_load_dword v100, off, s[24:27], 0 offset:68 ; 4-byte Folded Reload
	;; [unrolled: 1-line block ×4, first 2 shown]
	s_waitcnt vmcnt(0)
	v_mul_f64 v[95:96], v[117:118], v[101:102]
	v_mul_f64 v[93:94], v[119:120], v[101:102]
	v_fma_f64 v[101:102], v[119:120], v[99:100], v[95:96]
	ds_read2_b64 v[95:98], v90 offset0:40 offset1:41
	buffer_load_dword v81, off, s[24:27], 0 offset:48 ; 4-byte Folded Reload
	buffer_load_dword v82, off, s[24:27], 0 offset:52 ; 4-byte Folded Reload
	;; [unrolled: 1-line block ×4, first 2 shown]
	v_fma_f64 v[93:94], v[117:118], v[99:100], -v[93:94]
	s_waitcnt lgkmcnt(0)
	v_mul_f64 v[99:100], v[97:98], v[101:102]
	v_fma_f64 v[99:100], v[95:96], v[93:94], -v[99:100]
	v_mul_f64 v[95:96], v[95:96], v[101:102]
	v_fma_f64 v[95:96], v[97:98], v[93:94], v[95:96]
	s_waitcnt vmcnt(2)
	v_add_f64 v[81:82], v[81:82], -v[99:100]
	s_waitcnt vmcnt(0)
	v_add_f64 v[83:84], v[83:84], -v[95:96]
	buffer_store_dword v81, off, s[24:27], 0 offset:48 ; 4-byte Folded Spill
	s_nop 0
	buffer_store_dword v82, off, s[24:27], 0 offset:52 ; 4-byte Folded Spill
	buffer_store_dword v83, off, s[24:27], 0 offset:56 ; 4-byte Folded Spill
	;; [unrolled: 1-line block ×3, first 2 shown]
	ds_read2_b64 v[95:98], v90 offset0:42 offset1:43
	buffer_load_dword v81, off, s[24:27], 0 offset:32 ; 4-byte Folded Reload
	buffer_load_dword v82, off, s[24:27], 0 offset:36 ; 4-byte Folded Reload
	;; [unrolled: 1-line block ×4, first 2 shown]
	s_waitcnt lgkmcnt(0)
	v_mul_f64 v[99:100], v[97:98], v[101:102]
	v_fma_f64 v[99:100], v[95:96], v[93:94], -v[99:100]
	v_mul_f64 v[95:96], v[95:96], v[101:102]
	v_fma_f64 v[95:96], v[97:98], v[93:94], v[95:96]
	s_waitcnt vmcnt(2)
	v_add_f64 v[81:82], v[81:82], -v[99:100]
	s_waitcnt vmcnt(0)
	v_add_f64 v[83:84], v[83:84], -v[95:96]
	buffer_store_dword v81, off, s[24:27], 0 offset:32 ; 4-byte Folded Spill
	s_nop 0
	buffer_store_dword v82, off, s[24:27], 0 offset:36 ; 4-byte Folded Spill
	buffer_store_dword v83, off, s[24:27], 0 offset:40 ; 4-byte Folded Spill
	;; [unrolled: 1-line block ×3, first 2 shown]
	ds_read2_b64 v[95:98], v90 offset0:44 offset1:45
	buffer_load_dword v81, off, s[24:27], 0 offset:16 ; 4-byte Folded Reload
	buffer_load_dword v82, off, s[24:27], 0 offset:20 ; 4-byte Folded Reload
	buffer_load_dword v83, off, s[24:27], 0 offset:24 ; 4-byte Folded Reload
	buffer_load_dword v84, off, s[24:27], 0 offset:28 ; 4-byte Folded Reload
	s_waitcnt lgkmcnt(0)
	v_mul_f64 v[99:100], v[97:98], v[101:102]
	v_fma_f64 v[99:100], v[95:96], v[93:94], -v[99:100]
	v_mul_f64 v[95:96], v[95:96], v[101:102]
	v_fma_f64 v[95:96], v[97:98], v[93:94], v[95:96]
	s_waitcnt vmcnt(2)
	v_add_f64 v[81:82], v[81:82], -v[99:100]
	s_waitcnt vmcnt(0)
	v_add_f64 v[83:84], v[83:84], -v[95:96]
	buffer_store_dword v81, off, s[24:27], 0 offset:16 ; 4-byte Folded Spill
	s_nop 0
	buffer_store_dword v82, off, s[24:27], 0 offset:20 ; 4-byte Folded Spill
	buffer_store_dword v83, off, s[24:27], 0 offset:24 ; 4-byte Folded Spill
	;; [unrolled: 1-line block ×3, first 2 shown]
	ds_read2_b64 v[95:98], v90 offset0:46 offset1:47
	s_waitcnt lgkmcnt(0)
	v_mul_f64 v[99:100], v[97:98], v[101:102]
	v_fma_f64 v[99:100], v[95:96], v[93:94], -v[99:100]
	v_mul_f64 v[95:96], v[95:96], v[101:102]
	v_add_f64 v[85:86], v[85:86], -v[99:100]
	v_fma_f64 v[95:96], v[97:98], v[93:94], v[95:96]
	v_add_f64 v[87:88], v[87:88], -v[95:96]
	ds_read2_b64 v[95:98], v90 offset0:48 offset1:49
	s_waitcnt lgkmcnt(0)
	v_mul_f64 v[99:100], v[97:98], v[101:102]
	v_fma_f64 v[99:100], v[95:96], v[93:94], -v[99:100]
	v_mul_f64 v[95:96], v[95:96], v[101:102]
	v_add_f64 v[111:112], v[111:112], -v[99:100]
	v_fma_f64 v[95:96], v[97:98], v[93:94], v[95:96]
	v_add_f64 v[113:114], v[113:114], -v[95:96]
	ds_read2_b64 v[95:98], v90 offset0:50 offset1:51
	buffer_load_dword v81, off, s[24:27], 0 ; 4-byte Folded Reload
	buffer_load_dword v82, off, s[24:27], 0 offset:4 ; 4-byte Folded Reload
	buffer_load_dword v83, off, s[24:27], 0 offset:8 ; 4-byte Folded Reload
	;; [unrolled: 1-line block ×3, first 2 shown]
	s_waitcnt lgkmcnt(0)
	v_mul_f64 v[99:100], v[97:98], v[101:102]
	v_fma_f64 v[99:100], v[95:96], v[93:94], -v[99:100]
	v_mul_f64 v[95:96], v[95:96], v[101:102]
	v_fma_f64 v[95:96], v[97:98], v[93:94], v[95:96]
	s_waitcnt vmcnt(2)
	v_add_f64 v[81:82], v[81:82], -v[99:100]
	s_waitcnt vmcnt(0)
	v_add_f64 v[83:84], v[83:84], -v[95:96]
	buffer_store_dword v81, off, s[24:27], 0 ; 4-byte Folded Spill
	s_nop 0
	buffer_store_dword v82, off, s[24:27], 0 offset:4 ; 4-byte Folded Spill
	buffer_store_dword v83, off, s[24:27], 0 offset:8 ; 4-byte Folded Spill
	;; [unrolled: 1-line block ×3, first 2 shown]
	ds_read2_b64 v[95:98], v90 offset0:52 offset1:53
	s_waitcnt lgkmcnt(0)
	v_mul_f64 v[99:100], v[97:98], v[101:102]
	v_fma_f64 v[99:100], v[95:96], v[93:94], -v[99:100]
	v_mul_f64 v[95:96], v[95:96], v[101:102]
	v_add_f64 v[77:78], v[77:78], -v[99:100]
	v_fma_f64 v[95:96], v[97:98], v[93:94], v[95:96]
	v_add_f64 v[79:80], v[79:80], -v[95:96]
	ds_read2_b64 v[95:98], v90 offset0:54 offset1:55
	s_waitcnt lgkmcnt(0)
	v_mul_f64 v[99:100], v[97:98], v[101:102]
	v_fma_f64 v[99:100], v[95:96], v[93:94], -v[99:100]
	v_mul_f64 v[95:96], v[95:96], v[101:102]
	v_add_f64 v[73:74], v[73:74], -v[99:100]
	v_fma_f64 v[95:96], v[97:98], v[93:94], v[95:96]
	v_add_f64 v[75:76], v[75:76], -v[95:96]
	;; [unrolled: 8-line block ×20, first 2 shown]
	ds_read2_b64 v[95:98], v90 offset0:92 offset1:93
	s_waitcnt lgkmcnt(0)
	v_mul_f64 v[99:100], v[97:98], v[101:102]
	v_fma_f64 v[99:100], v[95:96], v[93:94], -v[99:100]
	v_mul_f64 v[95:96], v[95:96], v[101:102]
	v_add_f64 v[121:122], v[121:122], -v[99:100]
	v_fma_f64 v[95:96], v[97:98], v[93:94], v[95:96]
	v_mov_b32_e32 v100, v94
	v_mov_b32_e32 v99, v93
	buffer_store_dword v99, off, s[24:27], 0 offset:64 ; 4-byte Folded Spill
	s_nop 0
	buffer_store_dword v100, off, s[24:27], 0 offset:68 ; 4-byte Folded Spill
	buffer_store_dword v101, off, s[24:27], 0 offset:72 ; 4-byte Folded Spill
	;; [unrolled: 1-line block ×3, first 2 shown]
	v_add_f64 v[123:124], v[123:124], -v[95:96]
.LBB92_419:
	s_or_b64 exec, exec, s[0:1]
	s_waitcnt vmcnt(0)
	s_barrier
	buffer_load_dword v81, off, s[24:27], 0 offset:48 ; 4-byte Folded Reload
	buffer_load_dword v82, off, s[24:27], 0 offset:52 ; 4-byte Folded Reload
	;; [unrolled: 1-line block ×4, first 2 shown]
	v_lshl_add_u32 v93, v92, 4, v90
	s_cmp_lt_i32 s3, 22
	s_waitcnt vmcnt(0)
	ds_write2_b64 v93, v[81:82], v[83:84] offset1:1
	s_waitcnt lgkmcnt(0)
	s_barrier
	ds_read2_b64 v[117:120], v90 offset0:40 offset1:41
	v_mov_b32_e32 v93, 20
	s_cbranch_scc1 .LBB92_422
; %bb.420:
	v_add_u32_e32 v94, 0x150, v90
	s_mov_b32 s0, 21
	v_mov_b32_e32 v93, 20
.LBB92_421:                             ; =>This Inner Loop Header: Depth=1
	s_waitcnt lgkmcnt(0)
	v_cmp_gt_f64_e32 vcc, 0, v[117:118]
	v_xor_b32_e32 v99, 0x80000000, v118
	ds_read2_b64 v[95:98], v94 offset1:1
	v_xor_b32_e32 v101, 0x80000000, v120
	v_add_u32_e32 v94, 16, v94
	s_waitcnt lgkmcnt(0)
	v_xor_b32_e32 v103, 0x80000000, v98
	v_cndmask_b32_e32 v100, v118, v99, vcc
	v_cmp_gt_f64_e32 vcc, 0, v[119:120]
	v_mov_b32_e32 v99, v117
	v_cndmask_b32_e32 v102, v120, v101, vcc
	v_cmp_gt_f64_e32 vcc, 0, v[95:96]
	v_mov_b32_e32 v101, v119
	v_add_f64 v[99:100], v[99:100], v[101:102]
	v_xor_b32_e32 v101, 0x80000000, v96
	v_cndmask_b32_e32 v102, v96, v101, vcc
	v_cmp_gt_f64_e32 vcc, 0, v[97:98]
	v_mov_b32_e32 v101, v95
	v_cndmask_b32_e32 v104, v98, v103, vcc
	v_mov_b32_e32 v103, v97
	v_add_f64 v[101:102], v[101:102], v[103:104]
	v_cmp_lt_f64_e32 vcc, v[99:100], v[101:102]
	v_cndmask_b32_e32 v117, v117, v95, vcc
	v_mov_b32_e32 v95, s0
	s_add_i32 s0, s0, 1
	v_cndmask_b32_e32 v118, v118, v96, vcc
	v_cndmask_b32_e32 v120, v120, v98, vcc
	;; [unrolled: 1-line block ×4, first 2 shown]
	s_cmp_lg_u32 s3, s0
	s_cbranch_scc1 .LBB92_421
.LBB92_422:
	s_waitcnt lgkmcnt(0)
	v_cmp_eq_f64_e32 vcc, 0, v[117:118]
	v_cmp_eq_f64_e64 s[0:1], 0, v[119:120]
	s_and_b64 s[0:1], vcc, s[0:1]
	s_and_saveexec_b64 s[18:19], s[0:1]
	s_xor_b64 s[0:1], exec, s[18:19]
; %bb.423:
	v_cmp_ne_u32_e32 vcc, 0, v91
	v_cndmask_b32_e32 v91, 21, v91, vcc
; %bb.424:
	s_andn2_saveexec_b64 s[0:1], s[0:1]
	s_cbranch_execz .LBB92_430
; %bb.425:
	v_cmp_ngt_f64_e64 s[18:19], |v[117:118]|, |v[119:120]|
	s_and_saveexec_b64 s[20:21], s[18:19]
	s_xor_b64 s[18:19], exec, s[20:21]
	s_cbranch_execz .LBB92_427
; %bb.426:
	v_div_scale_f64 v[94:95], s[20:21], v[119:120], v[119:120], v[117:118]
	v_rcp_f64_e32 v[96:97], v[94:95]
	v_fma_f64 v[98:99], -v[94:95], v[96:97], 1.0
	v_fma_f64 v[96:97], v[96:97], v[98:99], v[96:97]
	v_div_scale_f64 v[98:99], vcc, v[117:118], v[119:120], v[117:118]
	v_fma_f64 v[100:101], -v[94:95], v[96:97], 1.0
	v_fma_f64 v[96:97], v[96:97], v[100:101], v[96:97]
	v_mul_f64 v[100:101], v[98:99], v[96:97]
	v_fma_f64 v[94:95], -v[94:95], v[100:101], v[98:99]
	v_div_fmas_f64 v[94:95], v[94:95], v[96:97], v[100:101]
	v_div_fixup_f64 v[94:95], v[94:95], v[119:120], v[117:118]
	v_fma_f64 v[96:97], v[117:118], v[94:95], v[119:120]
	v_div_scale_f64 v[98:99], s[20:21], v[96:97], v[96:97], 1.0
	v_div_scale_f64 v[104:105], vcc, 1.0, v[96:97], 1.0
	v_rcp_f64_e32 v[100:101], v[98:99]
	v_fma_f64 v[102:103], -v[98:99], v[100:101], 1.0
	v_fma_f64 v[100:101], v[100:101], v[102:103], v[100:101]
	v_fma_f64 v[102:103], -v[98:99], v[100:101], 1.0
	v_fma_f64 v[100:101], v[100:101], v[102:103], v[100:101]
	v_mul_f64 v[102:103], v[104:105], v[100:101]
	v_fma_f64 v[98:99], -v[98:99], v[102:103], v[104:105]
	v_div_fmas_f64 v[98:99], v[98:99], v[100:101], v[102:103]
	v_div_fixup_f64 v[119:120], v[98:99], v[96:97], 1.0
	v_mul_f64 v[117:118], v[94:95], v[119:120]
	v_xor_b32_e32 v120, 0x80000000, v120
.LBB92_427:
	s_andn2_saveexec_b64 s[18:19], s[18:19]
	s_cbranch_execz .LBB92_429
; %bb.428:
	v_div_scale_f64 v[94:95], s[20:21], v[117:118], v[117:118], v[119:120]
	v_rcp_f64_e32 v[96:97], v[94:95]
	v_fma_f64 v[98:99], -v[94:95], v[96:97], 1.0
	v_fma_f64 v[96:97], v[96:97], v[98:99], v[96:97]
	v_div_scale_f64 v[98:99], vcc, v[119:120], v[117:118], v[119:120]
	v_fma_f64 v[100:101], -v[94:95], v[96:97], 1.0
	v_fma_f64 v[96:97], v[96:97], v[100:101], v[96:97]
	v_mul_f64 v[100:101], v[98:99], v[96:97]
	v_fma_f64 v[94:95], -v[94:95], v[100:101], v[98:99]
	v_div_fmas_f64 v[94:95], v[94:95], v[96:97], v[100:101]
	v_div_fixup_f64 v[94:95], v[94:95], v[117:118], v[119:120]
	v_fma_f64 v[96:97], v[119:120], v[94:95], v[117:118]
	v_div_scale_f64 v[98:99], s[20:21], v[96:97], v[96:97], 1.0
	v_div_scale_f64 v[104:105], vcc, 1.0, v[96:97], 1.0
	v_rcp_f64_e32 v[100:101], v[98:99]
	v_fma_f64 v[102:103], -v[98:99], v[100:101], 1.0
	v_fma_f64 v[100:101], v[100:101], v[102:103], v[100:101]
	v_fma_f64 v[102:103], -v[98:99], v[100:101], 1.0
	v_fma_f64 v[100:101], v[100:101], v[102:103], v[100:101]
	v_mul_f64 v[102:103], v[104:105], v[100:101]
	v_fma_f64 v[98:99], -v[98:99], v[102:103], v[104:105]
	v_div_fmas_f64 v[98:99], v[98:99], v[100:101], v[102:103]
	v_div_fixup_f64 v[117:118], v[98:99], v[96:97], 1.0
	v_mul_f64 v[119:120], v[94:95], -v[117:118]
.LBB92_429:
	s_or_b64 exec, exec, s[18:19]
.LBB92_430:
	s_or_b64 exec, exec, s[0:1]
	v_cmp_ne_u32_e32 vcc, v92, v93
	s_and_saveexec_b64 s[0:1], vcc
	s_xor_b64 s[0:1], exec, s[0:1]
	s_cbranch_execz .LBB92_436
; %bb.431:
	v_cmp_eq_u32_e32 vcc, 20, v92
	s_and_saveexec_b64 s[18:19], vcc
	s_cbranch_execz .LBB92_435
; %bb.432:
	v_cmp_ne_u32_e32 vcc, 20, v93
	s_xor_b64 s[20:21], s[6:7], -1
	s_and_b64 s[22:23], s[20:21], vcc
	s_and_saveexec_b64 s[20:21], s[22:23]
	s_cbranch_execz .LBB92_434
; %bb.433:
	v_mov_b32_e32 v81, v85
	v_mov_b32_e32 v82, v86
	v_mov_b32_e32 v83, v87
	v_mov_b32_e32 v84, v88
	buffer_load_dword v85, off, s[24:27], 0 offset:336 ; 4-byte Folded Reload
	buffer_load_dword v86, off, s[24:27], 0 offset:340 ; 4-byte Folded Reload
	v_ashrrev_i32_e32 v94, 31, v93
	v_lshlrev_b64 v[94:95], 2, v[93:94]
	s_waitcnt vmcnt(1)
	v_add_co_u32_e32 v94, vcc, v85, v94
	s_waitcnt vmcnt(0)
	v_addc_co_u32_e32 v95, vcc, v86, v95, vcc
	global_load_dword v0, v[94:95], off
	global_load_dword v92, v[85:86], off offset:80
	s_waitcnt vmcnt(1)
	global_store_dword v[85:86], v0, off offset:80
	v_mov_b32_e32 v88, v84
	v_mov_b32_e32 v87, v83
	;; [unrolled: 1-line block ×4, first 2 shown]
	s_waitcnt vmcnt(1)
	global_store_dword v[94:95], v92, off
.LBB92_434:
	s_or_b64 exec, exec, s[20:21]
	v_mov_b32_e32 v92, v93
	v_mov_b32_e32 v0, v93
.LBB92_435:
	s_or_b64 exec, exec, s[18:19]
.LBB92_436:
	s_andn2_saveexec_b64 s[0:1], s[0:1]
	s_cbranch_execz .LBB92_438
; %bb.437:
	buffer_load_dword v81, off, s[24:27], 0 offset:32 ; 4-byte Folded Reload
	buffer_load_dword v82, off, s[24:27], 0 offset:36 ; 4-byte Folded Reload
	;; [unrolled: 1-line block ×4, first 2 shown]
	v_mov_b32_e32 v92, 20
	s_waitcnt vmcnt(0)
	ds_write2_b64 v90, v[81:82], v[83:84] offset0:42 offset1:43
	buffer_load_dword v81, off, s[24:27], 0 offset:16 ; 4-byte Folded Reload
	buffer_load_dword v82, off, s[24:27], 0 offset:20 ; 4-byte Folded Reload
	;; [unrolled: 1-line block ×4, first 2 shown]
	s_waitcnt vmcnt(0)
	ds_write2_b64 v90, v[81:82], v[83:84] offset0:44 offset1:45
	ds_write2_b64 v90, v[85:86], v[87:88] offset0:46 offset1:47
	;; [unrolled: 1-line block ×3, first 2 shown]
	buffer_load_dword v81, off, s[24:27], 0 ; 4-byte Folded Reload
	buffer_load_dword v82, off, s[24:27], 0 offset:4 ; 4-byte Folded Reload
	buffer_load_dword v83, off, s[24:27], 0 offset:8 ; 4-byte Folded Reload
	;; [unrolled: 1-line block ×3, first 2 shown]
	s_waitcnt vmcnt(0)
	ds_write2_b64 v90, v[81:82], v[83:84] offset0:50 offset1:51
	ds_write2_b64 v90, v[77:78], v[79:80] offset0:52 offset1:53
	;; [unrolled: 1-line block ×22, first 2 shown]
.LBB92_438:
	s_or_b64 exec, exec, s[0:1]
	v_cmp_lt_i32_e32 vcc, 20, v92
	s_waitcnt vmcnt(0) lgkmcnt(0)
	s_barrier
	s_and_saveexec_b64 s[0:1], vcc
	s_cbranch_execz .LBB92_440
; %bb.439:
	buffer_load_dword v99, off, s[24:27], 0 offset:48 ; 4-byte Folded Reload
	buffer_load_dword v100, off, s[24:27], 0 offset:52 ; 4-byte Folded Reload
	;; [unrolled: 1-line block ×4, first 2 shown]
	s_waitcnt vmcnt(0)
	v_mul_f64 v[95:96], v[117:118], v[101:102]
	v_mul_f64 v[93:94], v[119:120], v[101:102]
	v_fma_f64 v[101:102], v[119:120], v[99:100], v[95:96]
	ds_read2_b64 v[95:98], v90 offset0:42 offset1:43
	buffer_load_dword v81, off, s[24:27], 0 offset:32 ; 4-byte Folded Reload
	buffer_load_dword v82, off, s[24:27], 0 offset:36 ; 4-byte Folded Reload
	;; [unrolled: 1-line block ×4, first 2 shown]
	v_fma_f64 v[93:94], v[117:118], v[99:100], -v[93:94]
	s_waitcnt lgkmcnt(0)
	v_mul_f64 v[99:100], v[97:98], v[101:102]
	v_fma_f64 v[99:100], v[95:96], v[93:94], -v[99:100]
	v_mul_f64 v[95:96], v[95:96], v[101:102]
	v_fma_f64 v[95:96], v[97:98], v[93:94], v[95:96]
	s_waitcnt vmcnt(2)
	v_add_f64 v[81:82], v[81:82], -v[99:100]
	s_waitcnt vmcnt(0)
	v_add_f64 v[83:84], v[83:84], -v[95:96]
	buffer_store_dword v81, off, s[24:27], 0 offset:32 ; 4-byte Folded Spill
	s_nop 0
	buffer_store_dword v82, off, s[24:27], 0 offset:36 ; 4-byte Folded Spill
	buffer_store_dword v83, off, s[24:27], 0 offset:40 ; 4-byte Folded Spill
	;; [unrolled: 1-line block ×3, first 2 shown]
	ds_read2_b64 v[95:98], v90 offset0:44 offset1:45
	buffer_load_dword v81, off, s[24:27], 0 offset:16 ; 4-byte Folded Reload
	buffer_load_dword v82, off, s[24:27], 0 offset:20 ; 4-byte Folded Reload
	buffer_load_dword v83, off, s[24:27], 0 offset:24 ; 4-byte Folded Reload
	buffer_load_dword v84, off, s[24:27], 0 offset:28 ; 4-byte Folded Reload
	s_waitcnt lgkmcnt(0)
	v_mul_f64 v[99:100], v[97:98], v[101:102]
	v_fma_f64 v[99:100], v[95:96], v[93:94], -v[99:100]
	v_mul_f64 v[95:96], v[95:96], v[101:102]
	v_fma_f64 v[95:96], v[97:98], v[93:94], v[95:96]
	s_waitcnt vmcnt(2)
	v_add_f64 v[81:82], v[81:82], -v[99:100]
	s_waitcnt vmcnt(0)
	v_add_f64 v[83:84], v[83:84], -v[95:96]
	buffer_store_dword v81, off, s[24:27], 0 offset:16 ; 4-byte Folded Spill
	s_nop 0
	buffer_store_dword v82, off, s[24:27], 0 offset:20 ; 4-byte Folded Spill
	buffer_store_dword v83, off, s[24:27], 0 offset:24 ; 4-byte Folded Spill
	buffer_store_dword v84, off, s[24:27], 0 offset:28 ; 4-byte Folded Spill
	ds_read2_b64 v[95:98], v90 offset0:46 offset1:47
	s_waitcnt lgkmcnt(0)
	v_mul_f64 v[99:100], v[97:98], v[101:102]
	v_fma_f64 v[99:100], v[95:96], v[93:94], -v[99:100]
	v_mul_f64 v[95:96], v[95:96], v[101:102]
	v_add_f64 v[85:86], v[85:86], -v[99:100]
	v_fma_f64 v[95:96], v[97:98], v[93:94], v[95:96]
	v_add_f64 v[87:88], v[87:88], -v[95:96]
	ds_read2_b64 v[95:98], v90 offset0:48 offset1:49
	s_waitcnt lgkmcnt(0)
	v_mul_f64 v[99:100], v[97:98], v[101:102]
	v_fma_f64 v[99:100], v[95:96], v[93:94], -v[99:100]
	v_mul_f64 v[95:96], v[95:96], v[101:102]
	v_add_f64 v[111:112], v[111:112], -v[99:100]
	v_fma_f64 v[95:96], v[97:98], v[93:94], v[95:96]
	v_add_f64 v[113:114], v[113:114], -v[95:96]
	ds_read2_b64 v[95:98], v90 offset0:50 offset1:51
	buffer_load_dword v81, off, s[24:27], 0 ; 4-byte Folded Reload
	buffer_load_dword v82, off, s[24:27], 0 offset:4 ; 4-byte Folded Reload
	buffer_load_dword v83, off, s[24:27], 0 offset:8 ; 4-byte Folded Reload
	;; [unrolled: 1-line block ×3, first 2 shown]
	s_waitcnt lgkmcnt(0)
	v_mul_f64 v[99:100], v[97:98], v[101:102]
	v_fma_f64 v[99:100], v[95:96], v[93:94], -v[99:100]
	v_mul_f64 v[95:96], v[95:96], v[101:102]
	v_fma_f64 v[95:96], v[97:98], v[93:94], v[95:96]
	s_waitcnt vmcnt(2)
	v_add_f64 v[81:82], v[81:82], -v[99:100]
	s_waitcnt vmcnt(0)
	v_add_f64 v[83:84], v[83:84], -v[95:96]
	buffer_store_dword v81, off, s[24:27], 0 ; 4-byte Folded Spill
	s_nop 0
	buffer_store_dword v82, off, s[24:27], 0 offset:4 ; 4-byte Folded Spill
	buffer_store_dword v83, off, s[24:27], 0 offset:8 ; 4-byte Folded Spill
	;; [unrolled: 1-line block ×3, first 2 shown]
	ds_read2_b64 v[95:98], v90 offset0:52 offset1:53
	s_waitcnt lgkmcnt(0)
	v_mul_f64 v[99:100], v[97:98], v[101:102]
	v_fma_f64 v[99:100], v[95:96], v[93:94], -v[99:100]
	v_mul_f64 v[95:96], v[95:96], v[101:102]
	v_add_f64 v[77:78], v[77:78], -v[99:100]
	v_fma_f64 v[95:96], v[97:98], v[93:94], v[95:96]
	v_add_f64 v[79:80], v[79:80], -v[95:96]
	ds_read2_b64 v[95:98], v90 offset0:54 offset1:55
	s_waitcnt lgkmcnt(0)
	v_mul_f64 v[99:100], v[97:98], v[101:102]
	v_fma_f64 v[99:100], v[95:96], v[93:94], -v[99:100]
	v_mul_f64 v[95:96], v[95:96], v[101:102]
	v_add_f64 v[73:74], v[73:74], -v[99:100]
	v_fma_f64 v[95:96], v[97:98], v[93:94], v[95:96]
	v_add_f64 v[75:76], v[75:76], -v[95:96]
	ds_read2_b64 v[95:98], v90 offset0:56 offset1:57
	s_waitcnt lgkmcnt(0)
	v_mul_f64 v[99:100], v[97:98], v[101:102]
	v_fma_f64 v[99:100], v[95:96], v[93:94], -v[99:100]
	v_mul_f64 v[95:96], v[95:96], v[101:102]
	v_add_f64 v[69:70], v[69:70], -v[99:100]
	v_fma_f64 v[95:96], v[97:98], v[93:94], v[95:96]
	v_add_f64 v[71:72], v[71:72], -v[95:96]
	ds_read2_b64 v[95:98], v90 offset0:58 offset1:59
	s_waitcnt lgkmcnt(0)
	v_mul_f64 v[99:100], v[97:98], v[101:102]
	v_fma_f64 v[99:100], v[95:96], v[93:94], -v[99:100]
	v_mul_f64 v[95:96], v[95:96], v[101:102]
	v_add_f64 v[65:66], v[65:66], -v[99:100]
	v_fma_f64 v[95:96], v[97:98], v[93:94], v[95:96]
	v_add_f64 v[67:68], v[67:68], -v[95:96]
	ds_read2_b64 v[95:98], v90 offset0:60 offset1:61
	s_waitcnt lgkmcnt(0)
	v_mul_f64 v[99:100], v[97:98], v[101:102]
	v_fma_f64 v[99:100], v[95:96], v[93:94], -v[99:100]
	v_mul_f64 v[95:96], v[95:96], v[101:102]
	v_add_f64 v[61:62], v[61:62], -v[99:100]
	v_fma_f64 v[95:96], v[97:98], v[93:94], v[95:96]
	v_add_f64 v[63:64], v[63:64], -v[95:96]
	ds_read2_b64 v[95:98], v90 offset0:62 offset1:63
	s_waitcnt lgkmcnt(0)
	v_mul_f64 v[99:100], v[97:98], v[101:102]
	v_fma_f64 v[99:100], v[95:96], v[93:94], -v[99:100]
	v_mul_f64 v[95:96], v[95:96], v[101:102]
	v_add_f64 v[57:58], v[57:58], -v[99:100]
	v_fma_f64 v[95:96], v[97:98], v[93:94], v[95:96]
	v_add_f64 v[59:60], v[59:60], -v[95:96]
	ds_read2_b64 v[95:98], v90 offset0:64 offset1:65
	s_waitcnt lgkmcnt(0)
	v_mul_f64 v[99:100], v[97:98], v[101:102]
	v_fma_f64 v[99:100], v[95:96], v[93:94], -v[99:100]
	v_mul_f64 v[95:96], v[95:96], v[101:102]
	v_add_f64 v[53:54], v[53:54], -v[99:100]
	v_fma_f64 v[95:96], v[97:98], v[93:94], v[95:96]
	v_add_f64 v[55:56], v[55:56], -v[95:96]
	ds_read2_b64 v[95:98], v90 offset0:66 offset1:67
	s_waitcnt lgkmcnt(0)
	v_mul_f64 v[99:100], v[97:98], v[101:102]
	v_fma_f64 v[99:100], v[95:96], v[93:94], -v[99:100]
	v_mul_f64 v[95:96], v[95:96], v[101:102]
	v_add_f64 v[49:50], v[49:50], -v[99:100]
	v_fma_f64 v[95:96], v[97:98], v[93:94], v[95:96]
	v_add_f64 v[51:52], v[51:52], -v[95:96]
	ds_read2_b64 v[95:98], v90 offset0:68 offset1:69
	s_waitcnt lgkmcnt(0)
	v_mul_f64 v[99:100], v[97:98], v[101:102]
	v_fma_f64 v[99:100], v[95:96], v[93:94], -v[99:100]
	v_mul_f64 v[95:96], v[95:96], v[101:102]
	v_add_f64 v[45:46], v[45:46], -v[99:100]
	v_fma_f64 v[95:96], v[97:98], v[93:94], v[95:96]
	v_add_f64 v[47:48], v[47:48], -v[95:96]
	ds_read2_b64 v[95:98], v90 offset0:70 offset1:71
	s_waitcnt lgkmcnt(0)
	v_mul_f64 v[99:100], v[97:98], v[101:102]
	v_fma_f64 v[99:100], v[95:96], v[93:94], -v[99:100]
	v_mul_f64 v[95:96], v[95:96], v[101:102]
	v_add_f64 v[41:42], v[41:42], -v[99:100]
	v_fma_f64 v[95:96], v[97:98], v[93:94], v[95:96]
	v_add_f64 v[43:44], v[43:44], -v[95:96]
	ds_read2_b64 v[95:98], v90 offset0:72 offset1:73
	s_waitcnt lgkmcnt(0)
	v_mul_f64 v[99:100], v[97:98], v[101:102]
	v_fma_f64 v[99:100], v[95:96], v[93:94], -v[99:100]
	v_mul_f64 v[95:96], v[95:96], v[101:102]
	v_add_f64 v[37:38], v[37:38], -v[99:100]
	v_fma_f64 v[95:96], v[97:98], v[93:94], v[95:96]
	v_add_f64 v[39:40], v[39:40], -v[95:96]
	ds_read2_b64 v[95:98], v90 offset0:74 offset1:75
	s_waitcnt lgkmcnt(0)
	v_mul_f64 v[99:100], v[97:98], v[101:102]
	v_fma_f64 v[99:100], v[95:96], v[93:94], -v[99:100]
	v_mul_f64 v[95:96], v[95:96], v[101:102]
	v_add_f64 v[33:34], v[33:34], -v[99:100]
	v_fma_f64 v[95:96], v[97:98], v[93:94], v[95:96]
	v_add_f64 v[35:36], v[35:36], -v[95:96]
	ds_read2_b64 v[95:98], v90 offset0:76 offset1:77
	s_waitcnt lgkmcnt(0)
	v_mul_f64 v[99:100], v[97:98], v[101:102]
	v_fma_f64 v[99:100], v[95:96], v[93:94], -v[99:100]
	v_mul_f64 v[95:96], v[95:96], v[101:102]
	v_add_f64 v[29:30], v[29:30], -v[99:100]
	v_fma_f64 v[95:96], v[97:98], v[93:94], v[95:96]
	v_add_f64 v[31:32], v[31:32], -v[95:96]
	ds_read2_b64 v[95:98], v90 offset0:78 offset1:79
	s_waitcnt lgkmcnt(0)
	v_mul_f64 v[99:100], v[97:98], v[101:102]
	v_fma_f64 v[99:100], v[95:96], v[93:94], -v[99:100]
	v_mul_f64 v[95:96], v[95:96], v[101:102]
	v_add_f64 v[25:26], v[25:26], -v[99:100]
	v_fma_f64 v[95:96], v[97:98], v[93:94], v[95:96]
	v_add_f64 v[27:28], v[27:28], -v[95:96]
	ds_read2_b64 v[95:98], v90 offset0:80 offset1:81
	s_waitcnt lgkmcnt(0)
	v_mul_f64 v[99:100], v[97:98], v[101:102]
	v_fma_f64 v[99:100], v[95:96], v[93:94], -v[99:100]
	v_mul_f64 v[95:96], v[95:96], v[101:102]
	v_add_f64 v[21:22], v[21:22], -v[99:100]
	v_fma_f64 v[95:96], v[97:98], v[93:94], v[95:96]
	v_add_f64 v[23:24], v[23:24], -v[95:96]
	ds_read2_b64 v[95:98], v90 offset0:82 offset1:83
	s_waitcnt lgkmcnt(0)
	v_mul_f64 v[99:100], v[97:98], v[101:102]
	v_fma_f64 v[99:100], v[95:96], v[93:94], -v[99:100]
	v_mul_f64 v[95:96], v[95:96], v[101:102]
	v_add_f64 v[17:18], v[17:18], -v[99:100]
	v_fma_f64 v[95:96], v[97:98], v[93:94], v[95:96]
	v_add_f64 v[19:20], v[19:20], -v[95:96]
	ds_read2_b64 v[95:98], v90 offset0:84 offset1:85
	s_waitcnt lgkmcnt(0)
	v_mul_f64 v[99:100], v[97:98], v[101:102]
	v_fma_f64 v[99:100], v[95:96], v[93:94], -v[99:100]
	v_mul_f64 v[95:96], v[95:96], v[101:102]
	v_add_f64 v[13:14], v[13:14], -v[99:100]
	v_fma_f64 v[95:96], v[97:98], v[93:94], v[95:96]
	v_add_f64 v[15:16], v[15:16], -v[95:96]
	ds_read2_b64 v[95:98], v90 offset0:86 offset1:87
	s_waitcnt lgkmcnt(0)
	v_mul_f64 v[99:100], v[97:98], v[101:102]
	v_fma_f64 v[99:100], v[95:96], v[93:94], -v[99:100]
	v_mul_f64 v[95:96], v[95:96], v[101:102]
	v_add_f64 v[9:10], v[9:10], -v[99:100]
	v_fma_f64 v[95:96], v[97:98], v[93:94], v[95:96]
	v_add_f64 v[11:12], v[11:12], -v[95:96]
	ds_read2_b64 v[95:98], v90 offset0:88 offset1:89
	s_waitcnt lgkmcnt(0)
	v_mul_f64 v[99:100], v[97:98], v[101:102]
	v_fma_f64 v[99:100], v[95:96], v[93:94], -v[99:100]
	v_mul_f64 v[95:96], v[95:96], v[101:102]
	v_add_f64 v[5:6], v[5:6], -v[99:100]
	v_fma_f64 v[95:96], v[97:98], v[93:94], v[95:96]
	v_add_f64 v[7:8], v[7:8], -v[95:96]
	ds_read2_b64 v[95:98], v90 offset0:90 offset1:91
	s_waitcnt lgkmcnt(0)
	v_mul_f64 v[99:100], v[97:98], v[101:102]
	v_fma_f64 v[99:100], v[95:96], v[93:94], -v[99:100]
	v_mul_f64 v[95:96], v[95:96], v[101:102]
	v_add_f64 v[1:2], v[1:2], -v[99:100]
	v_fma_f64 v[95:96], v[97:98], v[93:94], v[95:96]
	v_add_f64 v[3:4], v[3:4], -v[95:96]
	ds_read2_b64 v[95:98], v90 offset0:92 offset1:93
	s_waitcnt lgkmcnt(0)
	v_mul_f64 v[99:100], v[97:98], v[101:102]
	v_fma_f64 v[99:100], v[95:96], v[93:94], -v[99:100]
	v_mul_f64 v[95:96], v[95:96], v[101:102]
	v_add_f64 v[121:122], v[121:122], -v[99:100]
	v_fma_f64 v[95:96], v[97:98], v[93:94], v[95:96]
	v_mov_b32_e32 v100, v94
	v_mov_b32_e32 v99, v93
	buffer_store_dword v99, off, s[24:27], 0 offset:48 ; 4-byte Folded Spill
	s_nop 0
	buffer_store_dword v100, off, s[24:27], 0 offset:52 ; 4-byte Folded Spill
	buffer_store_dword v101, off, s[24:27], 0 offset:56 ; 4-byte Folded Spill
	;; [unrolled: 1-line block ×3, first 2 shown]
	v_add_f64 v[123:124], v[123:124], -v[95:96]
.LBB92_440:
	s_or_b64 exec, exec, s[0:1]
	s_waitcnt vmcnt(0)
	s_barrier
	buffer_load_dword v81, off, s[24:27], 0 offset:32 ; 4-byte Folded Reload
	buffer_load_dword v82, off, s[24:27], 0 offset:36 ; 4-byte Folded Reload
	;; [unrolled: 1-line block ×4, first 2 shown]
	v_lshl_add_u32 v93, v92, 4, v90
	s_cmp_lt_i32 s3, 23
	s_waitcnt vmcnt(0)
	ds_write2_b64 v93, v[81:82], v[83:84] offset1:1
	s_waitcnt lgkmcnt(0)
	s_barrier
	ds_read2_b64 v[117:120], v90 offset0:42 offset1:43
	v_mov_b32_e32 v93, 21
	s_cbranch_scc1 .LBB92_443
; %bb.441:
	v_add_u32_e32 v94, 0x160, v90
	s_mov_b32 s0, 22
	v_mov_b32_e32 v93, 21
.LBB92_442:                             ; =>This Inner Loop Header: Depth=1
	s_waitcnt lgkmcnt(0)
	v_cmp_gt_f64_e32 vcc, 0, v[117:118]
	v_xor_b32_e32 v99, 0x80000000, v118
	ds_read2_b64 v[95:98], v94 offset1:1
	v_xor_b32_e32 v101, 0x80000000, v120
	v_add_u32_e32 v94, 16, v94
	s_waitcnt lgkmcnt(0)
	v_xor_b32_e32 v103, 0x80000000, v98
	v_cndmask_b32_e32 v100, v118, v99, vcc
	v_cmp_gt_f64_e32 vcc, 0, v[119:120]
	v_mov_b32_e32 v99, v117
	v_cndmask_b32_e32 v102, v120, v101, vcc
	v_cmp_gt_f64_e32 vcc, 0, v[95:96]
	v_mov_b32_e32 v101, v119
	v_add_f64 v[99:100], v[99:100], v[101:102]
	v_xor_b32_e32 v101, 0x80000000, v96
	v_cndmask_b32_e32 v102, v96, v101, vcc
	v_cmp_gt_f64_e32 vcc, 0, v[97:98]
	v_mov_b32_e32 v101, v95
	v_cndmask_b32_e32 v104, v98, v103, vcc
	v_mov_b32_e32 v103, v97
	v_add_f64 v[101:102], v[101:102], v[103:104]
	v_cmp_lt_f64_e32 vcc, v[99:100], v[101:102]
	v_cndmask_b32_e32 v117, v117, v95, vcc
	v_mov_b32_e32 v95, s0
	s_add_i32 s0, s0, 1
	v_cndmask_b32_e32 v118, v118, v96, vcc
	v_cndmask_b32_e32 v120, v120, v98, vcc
	;; [unrolled: 1-line block ×4, first 2 shown]
	s_cmp_lg_u32 s3, s0
	s_cbranch_scc1 .LBB92_442
.LBB92_443:
	s_waitcnt lgkmcnt(0)
	v_cmp_eq_f64_e32 vcc, 0, v[117:118]
	v_cmp_eq_f64_e64 s[0:1], 0, v[119:120]
	s_and_b64 s[0:1], vcc, s[0:1]
	s_and_saveexec_b64 s[18:19], s[0:1]
	s_xor_b64 s[0:1], exec, s[18:19]
; %bb.444:
	v_cmp_ne_u32_e32 vcc, 0, v91
	v_cndmask_b32_e32 v91, 22, v91, vcc
; %bb.445:
	s_andn2_saveexec_b64 s[0:1], s[0:1]
	s_cbranch_execz .LBB92_451
; %bb.446:
	v_cmp_ngt_f64_e64 s[18:19], |v[117:118]|, |v[119:120]|
	s_and_saveexec_b64 s[20:21], s[18:19]
	s_xor_b64 s[18:19], exec, s[20:21]
	s_cbranch_execz .LBB92_448
; %bb.447:
	v_div_scale_f64 v[94:95], s[20:21], v[119:120], v[119:120], v[117:118]
	v_rcp_f64_e32 v[96:97], v[94:95]
	v_fma_f64 v[98:99], -v[94:95], v[96:97], 1.0
	v_fma_f64 v[96:97], v[96:97], v[98:99], v[96:97]
	v_div_scale_f64 v[98:99], vcc, v[117:118], v[119:120], v[117:118]
	v_fma_f64 v[100:101], -v[94:95], v[96:97], 1.0
	v_fma_f64 v[96:97], v[96:97], v[100:101], v[96:97]
	v_mul_f64 v[100:101], v[98:99], v[96:97]
	v_fma_f64 v[94:95], -v[94:95], v[100:101], v[98:99]
	v_div_fmas_f64 v[94:95], v[94:95], v[96:97], v[100:101]
	v_div_fixup_f64 v[94:95], v[94:95], v[119:120], v[117:118]
	v_fma_f64 v[96:97], v[117:118], v[94:95], v[119:120]
	v_div_scale_f64 v[98:99], s[20:21], v[96:97], v[96:97], 1.0
	v_div_scale_f64 v[104:105], vcc, 1.0, v[96:97], 1.0
	v_rcp_f64_e32 v[100:101], v[98:99]
	v_fma_f64 v[102:103], -v[98:99], v[100:101], 1.0
	v_fma_f64 v[100:101], v[100:101], v[102:103], v[100:101]
	v_fma_f64 v[102:103], -v[98:99], v[100:101], 1.0
	v_fma_f64 v[100:101], v[100:101], v[102:103], v[100:101]
	v_mul_f64 v[102:103], v[104:105], v[100:101]
	v_fma_f64 v[98:99], -v[98:99], v[102:103], v[104:105]
	v_div_fmas_f64 v[98:99], v[98:99], v[100:101], v[102:103]
	v_div_fixup_f64 v[119:120], v[98:99], v[96:97], 1.0
	v_mul_f64 v[117:118], v[94:95], v[119:120]
	v_xor_b32_e32 v120, 0x80000000, v120
.LBB92_448:
	s_andn2_saveexec_b64 s[18:19], s[18:19]
	s_cbranch_execz .LBB92_450
; %bb.449:
	v_div_scale_f64 v[94:95], s[20:21], v[117:118], v[117:118], v[119:120]
	v_rcp_f64_e32 v[96:97], v[94:95]
	v_fma_f64 v[98:99], -v[94:95], v[96:97], 1.0
	v_fma_f64 v[96:97], v[96:97], v[98:99], v[96:97]
	v_div_scale_f64 v[98:99], vcc, v[119:120], v[117:118], v[119:120]
	v_fma_f64 v[100:101], -v[94:95], v[96:97], 1.0
	v_fma_f64 v[96:97], v[96:97], v[100:101], v[96:97]
	v_mul_f64 v[100:101], v[98:99], v[96:97]
	v_fma_f64 v[94:95], -v[94:95], v[100:101], v[98:99]
	v_div_fmas_f64 v[94:95], v[94:95], v[96:97], v[100:101]
	v_div_fixup_f64 v[94:95], v[94:95], v[117:118], v[119:120]
	v_fma_f64 v[96:97], v[119:120], v[94:95], v[117:118]
	v_div_scale_f64 v[98:99], s[20:21], v[96:97], v[96:97], 1.0
	v_div_scale_f64 v[104:105], vcc, 1.0, v[96:97], 1.0
	v_rcp_f64_e32 v[100:101], v[98:99]
	v_fma_f64 v[102:103], -v[98:99], v[100:101], 1.0
	v_fma_f64 v[100:101], v[100:101], v[102:103], v[100:101]
	v_fma_f64 v[102:103], -v[98:99], v[100:101], 1.0
	v_fma_f64 v[100:101], v[100:101], v[102:103], v[100:101]
	v_mul_f64 v[102:103], v[104:105], v[100:101]
	v_fma_f64 v[98:99], -v[98:99], v[102:103], v[104:105]
	v_div_fmas_f64 v[98:99], v[98:99], v[100:101], v[102:103]
	v_div_fixup_f64 v[117:118], v[98:99], v[96:97], 1.0
	v_mul_f64 v[119:120], v[94:95], -v[117:118]
.LBB92_450:
	s_or_b64 exec, exec, s[18:19]
.LBB92_451:
	s_or_b64 exec, exec, s[0:1]
	v_cmp_ne_u32_e32 vcc, v92, v93
	s_and_saveexec_b64 s[0:1], vcc
	s_xor_b64 s[0:1], exec, s[0:1]
	s_cbranch_execz .LBB92_457
; %bb.452:
	v_cmp_eq_u32_e32 vcc, 21, v92
	s_and_saveexec_b64 s[18:19], vcc
	s_cbranch_execz .LBB92_456
; %bb.453:
	v_cmp_ne_u32_e32 vcc, 21, v93
	s_xor_b64 s[20:21], s[6:7], -1
	s_and_b64 s[22:23], s[20:21], vcc
	s_and_saveexec_b64 s[20:21], s[22:23]
	s_cbranch_execz .LBB92_455
; %bb.454:
	v_mov_b32_e32 v81, v85
	v_mov_b32_e32 v82, v86
	;; [unrolled: 1-line block ×4, first 2 shown]
	buffer_load_dword v85, off, s[24:27], 0 offset:336 ; 4-byte Folded Reload
	buffer_load_dword v86, off, s[24:27], 0 offset:340 ; 4-byte Folded Reload
	v_ashrrev_i32_e32 v94, 31, v93
	v_lshlrev_b64 v[94:95], 2, v[93:94]
	s_waitcnt vmcnt(1)
	v_add_co_u32_e32 v94, vcc, v85, v94
	s_waitcnt vmcnt(0)
	v_addc_co_u32_e32 v95, vcc, v86, v95, vcc
	global_load_dword v0, v[94:95], off
	global_load_dword v92, v[85:86], off offset:84
	s_waitcnt vmcnt(1)
	global_store_dword v[85:86], v0, off offset:84
	v_mov_b32_e32 v88, v84
	v_mov_b32_e32 v87, v83
	;; [unrolled: 1-line block ×4, first 2 shown]
	s_waitcnt vmcnt(1)
	global_store_dword v[94:95], v92, off
.LBB92_455:
	s_or_b64 exec, exec, s[20:21]
	v_mov_b32_e32 v92, v93
	v_mov_b32_e32 v0, v93
.LBB92_456:
	s_or_b64 exec, exec, s[18:19]
.LBB92_457:
	s_andn2_saveexec_b64 s[0:1], s[0:1]
	s_cbranch_execz .LBB92_459
; %bb.458:
	buffer_load_dword v81, off, s[24:27], 0 offset:16 ; 4-byte Folded Reload
	buffer_load_dword v82, off, s[24:27], 0 offset:20 ; 4-byte Folded Reload
	;; [unrolled: 1-line block ×4, first 2 shown]
	v_mov_b32_e32 v92, 21
	s_waitcnt vmcnt(0)
	ds_write2_b64 v90, v[81:82], v[83:84] offset0:44 offset1:45
	ds_write2_b64 v90, v[85:86], v[87:88] offset0:46 offset1:47
	ds_write2_b64 v90, v[111:112], v[113:114] offset0:48 offset1:49
	buffer_load_dword v81, off, s[24:27], 0 ; 4-byte Folded Reload
	buffer_load_dword v82, off, s[24:27], 0 offset:4 ; 4-byte Folded Reload
	buffer_load_dword v83, off, s[24:27], 0 offset:8 ; 4-byte Folded Reload
	;; [unrolled: 1-line block ×3, first 2 shown]
	s_waitcnt vmcnt(0)
	ds_write2_b64 v90, v[81:82], v[83:84] offset0:50 offset1:51
	ds_write2_b64 v90, v[77:78], v[79:80] offset0:52 offset1:53
	;; [unrolled: 1-line block ×22, first 2 shown]
.LBB92_459:
	s_or_b64 exec, exec, s[0:1]
	v_cmp_lt_i32_e32 vcc, 21, v92
	s_waitcnt vmcnt(0) lgkmcnt(0)
	s_barrier
	s_and_saveexec_b64 s[0:1], vcc
	s_cbranch_execz .LBB92_461
; %bb.460:
	buffer_load_dword v99, off, s[24:27], 0 offset:32 ; 4-byte Folded Reload
	buffer_load_dword v100, off, s[24:27], 0 offset:36 ; 4-byte Folded Reload
	buffer_load_dword v101, off, s[24:27], 0 offset:40 ; 4-byte Folded Reload
	buffer_load_dword v102, off, s[24:27], 0 offset:44 ; 4-byte Folded Reload
	s_waitcnt vmcnt(0)
	v_mul_f64 v[95:96], v[117:118], v[101:102]
	v_mul_f64 v[93:94], v[119:120], v[101:102]
	v_fma_f64 v[101:102], v[119:120], v[99:100], v[95:96]
	ds_read2_b64 v[95:98], v90 offset0:44 offset1:45
	buffer_load_dword v81, off, s[24:27], 0 offset:16 ; 4-byte Folded Reload
	buffer_load_dword v82, off, s[24:27], 0 offset:20 ; 4-byte Folded Reload
	;; [unrolled: 1-line block ×4, first 2 shown]
	v_fma_f64 v[93:94], v[117:118], v[99:100], -v[93:94]
	s_waitcnt lgkmcnt(0)
	v_mul_f64 v[99:100], v[97:98], v[101:102]
	v_fma_f64 v[99:100], v[95:96], v[93:94], -v[99:100]
	v_mul_f64 v[95:96], v[95:96], v[101:102]
	v_fma_f64 v[95:96], v[97:98], v[93:94], v[95:96]
	s_waitcnt vmcnt(2)
	v_add_f64 v[81:82], v[81:82], -v[99:100]
	s_waitcnt vmcnt(0)
	v_add_f64 v[83:84], v[83:84], -v[95:96]
	buffer_store_dword v81, off, s[24:27], 0 offset:16 ; 4-byte Folded Spill
	s_nop 0
	buffer_store_dword v82, off, s[24:27], 0 offset:20 ; 4-byte Folded Spill
	buffer_store_dword v83, off, s[24:27], 0 offset:24 ; 4-byte Folded Spill
	;; [unrolled: 1-line block ×3, first 2 shown]
	ds_read2_b64 v[95:98], v90 offset0:46 offset1:47
	s_waitcnt lgkmcnt(0)
	v_mul_f64 v[99:100], v[97:98], v[101:102]
	v_fma_f64 v[99:100], v[95:96], v[93:94], -v[99:100]
	v_mul_f64 v[95:96], v[95:96], v[101:102]
	v_add_f64 v[85:86], v[85:86], -v[99:100]
	v_fma_f64 v[95:96], v[97:98], v[93:94], v[95:96]
	v_add_f64 v[87:88], v[87:88], -v[95:96]
	ds_read2_b64 v[95:98], v90 offset0:48 offset1:49
	s_waitcnt lgkmcnt(0)
	v_mul_f64 v[99:100], v[97:98], v[101:102]
	v_fma_f64 v[99:100], v[95:96], v[93:94], -v[99:100]
	v_mul_f64 v[95:96], v[95:96], v[101:102]
	v_add_f64 v[111:112], v[111:112], -v[99:100]
	v_fma_f64 v[95:96], v[97:98], v[93:94], v[95:96]
	v_add_f64 v[113:114], v[113:114], -v[95:96]
	ds_read2_b64 v[95:98], v90 offset0:50 offset1:51
	buffer_load_dword v81, off, s[24:27], 0 ; 4-byte Folded Reload
	buffer_load_dword v82, off, s[24:27], 0 offset:4 ; 4-byte Folded Reload
	buffer_load_dword v83, off, s[24:27], 0 offset:8 ; 4-byte Folded Reload
	;; [unrolled: 1-line block ×3, first 2 shown]
	s_waitcnt lgkmcnt(0)
	v_mul_f64 v[99:100], v[97:98], v[101:102]
	v_fma_f64 v[99:100], v[95:96], v[93:94], -v[99:100]
	v_mul_f64 v[95:96], v[95:96], v[101:102]
	v_fma_f64 v[95:96], v[97:98], v[93:94], v[95:96]
	s_waitcnt vmcnt(2)
	v_add_f64 v[81:82], v[81:82], -v[99:100]
	s_waitcnt vmcnt(0)
	v_add_f64 v[83:84], v[83:84], -v[95:96]
	buffer_store_dword v81, off, s[24:27], 0 ; 4-byte Folded Spill
	s_nop 0
	buffer_store_dword v82, off, s[24:27], 0 offset:4 ; 4-byte Folded Spill
	buffer_store_dword v83, off, s[24:27], 0 offset:8 ; 4-byte Folded Spill
	buffer_store_dword v84, off, s[24:27], 0 offset:12 ; 4-byte Folded Spill
	ds_read2_b64 v[95:98], v90 offset0:52 offset1:53
	s_waitcnt lgkmcnt(0)
	v_mul_f64 v[99:100], v[97:98], v[101:102]
	v_fma_f64 v[99:100], v[95:96], v[93:94], -v[99:100]
	v_mul_f64 v[95:96], v[95:96], v[101:102]
	v_add_f64 v[77:78], v[77:78], -v[99:100]
	v_fma_f64 v[95:96], v[97:98], v[93:94], v[95:96]
	v_add_f64 v[79:80], v[79:80], -v[95:96]
	ds_read2_b64 v[95:98], v90 offset0:54 offset1:55
	s_waitcnt lgkmcnt(0)
	v_mul_f64 v[99:100], v[97:98], v[101:102]
	v_fma_f64 v[99:100], v[95:96], v[93:94], -v[99:100]
	v_mul_f64 v[95:96], v[95:96], v[101:102]
	v_add_f64 v[73:74], v[73:74], -v[99:100]
	v_fma_f64 v[95:96], v[97:98], v[93:94], v[95:96]
	v_add_f64 v[75:76], v[75:76], -v[95:96]
	;; [unrolled: 8-line block ×20, first 2 shown]
	ds_read2_b64 v[95:98], v90 offset0:92 offset1:93
	s_waitcnt lgkmcnt(0)
	v_mul_f64 v[99:100], v[97:98], v[101:102]
	v_fma_f64 v[99:100], v[95:96], v[93:94], -v[99:100]
	v_mul_f64 v[95:96], v[95:96], v[101:102]
	v_add_f64 v[121:122], v[121:122], -v[99:100]
	v_fma_f64 v[95:96], v[97:98], v[93:94], v[95:96]
	v_mov_b32_e32 v100, v94
	v_mov_b32_e32 v99, v93
	buffer_store_dword v99, off, s[24:27], 0 offset:32 ; 4-byte Folded Spill
	s_nop 0
	buffer_store_dword v100, off, s[24:27], 0 offset:36 ; 4-byte Folded Spill
	buffer_store_dword v101, off, s[24:27], 0 offset:40 ; 4-byte Folded Spill
	;; [unrolled: 1-line block ×3, first 2 shown]
	v_add_f64 v[123:124], v[123:124], -v[95:96]
.LBB92_461:
	s_or_b64 exec, exec, s[0:1]
	s_waitcnt vmcnt(0)
	s_barrier
	buffer_load_dword v81, off, s[24:27], 0 offset:16 ; 4-byte Folded Reload
	buffer_load_dword v82, off, s[24:27], 0 offset:20 ; 4-byte Folded Reload
	;; [unrolled: 1-line block ×4, first 2 shown]
	v_lshl_add_u32 v93, v92, 4, v90
	s_cmp_lt_i32 s3, 24
	s_waitcnt vmcnt(0)
	ds_write2_b64 v93, v[81:82], v[83:84] offset1:1
	s_waitcnt lgkmcnt(0)
	s_barrier
	ds_read2_b64 v[117:120], v90 offset0:44 offset1:45
	v_mov_b32_e32 v93, 22
	s_cbranch_scc1 .LBB92_464
; %bb.462:
	v_add_u32_e32 v94, 0x170, v90
	s_mov_b32 s0, 23
	v_mov_b32_e32 v93, 22
.LBB92_463:                             ; =>This Inner Loop Header: Depth=1
	s_waitcnt lgkmcnt(0)
	v_cmp_gt_f64_e32 vcc, 0, v[117:118]
	v_xor_b32_e32 v99, 0x80000000, v118
	ds_read2_b64 v[95:98], v94 offset1:1
	v_xor_b32_e32 v101, 0x80000000, v120
	v_add_u32_e32 v94, 16, v94
	s_waitcnt lgkmcnt(0)
	v_xor_b32_e32 v103, 0x80000000, v98
	v_cndmask_b32_e32 v100, v118, v99, vcc
	v_cmp_gt_f64_e32 vcc, 0, v[119:120]
	v_mov_b32_e32 v99, v117
	v_cndmask_b32_e32 v102, v120, v101, vcc
	v_cmp_gt_f64_e32 vcc, 0, v[95:96]
	v_mov_b32_e32 v101, v119
	v_add_f64 v[99:100], v[99:100], v[101:102]
	v_xor_b32_e32 v101, 0x80000000, v96
	v_cndmask_b32_e32 v102, v96, v101, vcc
	v_cmp_gt_f64_e32 vcc, 0, v[97:98]
	v_mov_b32_e32 v101, v95
	v_cndmask_b32_e32 v104, v98, v103, vcc
	v_mov_b32_e32 v103, v97
	v_add_f64 v[101:102], v[101:102], v[103:104]
	v_cmp_lt_f64_e32 vcc, v[99:100], v[101:102]
	v_cndmask_b32_e32 v117, v117, v95, vcc
	v_mov_b32_e32 v95, s0
	s_add_i32 s0, s0, 1
	v_cndmask_b32_e32 v118, v118, v96, vcc
	v_cndmask_b32_e32 v120, v120, v98, vcc
	;; [unrolled: 1-line block ×4, first 2 shown]
	s_cmp_lg_u32 s3, s0
	s_cbranch_scc1 .LBB92_463
.LBB92_464:
	s_waitcnt lgkmcnt(0)
	v_cmp_eq_f64_e32 vcc, 0, v[117:118]
	v_cmp_eq_f64_e64 s[0:1], 0, v[119:120]
	s_and_b64 s[0:1], vcc, s[0:1]
	s_and_saveexec_b64 s[18:19], s[0:1]
	s_xor_b64 s[0:1], exec, s[18:19]
; %bb.465:
	v_cmp_ne_u32_e32 vcc, 0, v91
	v_cndmask_b32_e32 v91, 23, v91, vcc
; %bb.466:
	s_andn2_saveexec_b64 s[0:1], s[0:1]
	s_cbranch_execz .LBB92_472
; %bb.467:
	v_cmp_ngt_f64_e64 s[18:19], |v[117:118]|, |v[119:120]|
	s_and_saveexec_b64 s[20:21], s[18:19]
	s_xor_b64 s[18:19], exec, s[20:21]
	s_cbranch_execz .LBB92_469
; %bb.468:
	v_div_scale_f64 v[94:95], s[20:21], v[119:120], v[119:120], v[117:118]
	v_rcp_f64_e32 v[96:97], v[94:95]
	v_fma_f64 v[98:99], -v[94:95], v[96:97], 1.0
	v_fma_f64 v[96:97], v[96:97], v[98:99], v[96:97]
	v_div_scale_f64 v[98:99], vcc, v[117:118], v[119:120], v[117:118]
	v_fma_f64 v[100:101], -v[94:95], v[96:97], 1.0
	v_fma_f64 v[96:97], v[96:97], v[100:101], v[96:97]
	v_mul_f64 v[100:101], v[98:99], v[96:97]
	v_fma_f64 v[94:95], -v[94:95], v[100:101], v[98:99]
	v_div_fmas_f64 v[94:95], v[94:95], v[96:97], v[100:101]
	v_div_fixup_f64 v[94:95], v[94:95], v[119:120], v[117:118]
	v_fma_f64 v[96:97], v[117:118], v[94:95], v[119:120]
	v_div_scale_f64 v[98:99], s[20:21], v[96:97], v[96:97], 1.0
	v_div_scale_f64 v[104:105], vcc, 1.0, v[96:97], 1.0
	v_rcp_f64_e32 v[100:101], v[98:99]
	v_fma_f64 v[102:103], -v[98:99], v[100:101], 1.0
	v_fma_f64 v[100:101], v[100:101], v[102:103], v[100:101]
	v_fma_f64 v[102:103], -v[98:99], v[100:101], 1.0
	v_fma_f64 v[100:101], v[100:101], v[102:103], v[100:101]
	v_mul_f64 v[102:103], v[104:105], v[100:101]
	v_fma_f64 v[98:99], -v[98:99], v[102:103], v[104:105]
	v_div_fmas_f64 v[98:99], v[98:99], v[100:101], v[102:103]
	v_div_fixup_f64 v[119:120], v[98:99], v[96:97], 1.0
	v_mul_f64 v[117:118], v[94:95], v[119:120]
	v_xor_b32_e32 v120, 0x80000000, v120
.LBB92_469:
	s_andn2_saveexec_b64 s[18:19], s[18:19]
	s_cbranch_execz .LBB92_471
; %bb.470:
	v_div_scale_f64 v[94:95], s[20:21], v[117:118], v[117:118], v[119:120]
	v_rcp_f64_e32 v[96:97], v[94:95]
	v_fma_f64 v[98:99], -v[94:95], v[96:97], 1.0
	v_fma_f64 v[96:97], v[96:97], v[98:99], v[96:97]
	v_div_scale_f64 v[98:99], vcc, v[119:120], v[117:118], v[119:120]
	v_fma_f64 v[100:101], -v[94:95], v[96:97], 1.0
	v_fma_f64 v[96:97], v[96:97], v[100:101], v[96:97]
	v_mul_f64 v[100:101], v[98:99], v[96:97]
	v_fma_f64 v[94:95], -v[94:95], v[100:101], v[98:99]
	v_div_fmas_f64 v[94:95], v[94:95], v[96:97], v[100:101]
	v_div_fixup_f64 v[94:95], v[94:95], v[117:118], v[119:120]
	v_fma_f64 v[96:97], v[119:120], v[94:95], v[117:118]
	v_div_scale_f64 v[98:99], s[20:21], v[96:97], v[96:97], 1.0
	v_div_scale_f64 v[104:105], vcc, 1.0, v[96:97], 1.0
	v_rcp_f64_e32 v[100:101], v[98:99]
	v_fma_f64 v[102:103], -v[98:99], v[100:101], 1.0
	v_fma_f64 v[100:101], v[100:101], v[102:103], v[100:101]
	v_fma_f64 v[102:103], -v[98:99], v[100:101], 1.0
	v_fma_f64 v[100:101], v[100:101], v[102:103], v[100:101]
	v_mul_f64 v[102:103], v[104:105], v[100:101]
	v_fma_f64 v[98:99], -v[98:99], v[102:103], v[104:105]
	v_div_fmas_f64 v[98:99], v[98:99], v[100:101], v[102:103]
	v_div_fixup_f64 v[117:118], v[98:99], v[96:97], 1.0
	v_mul_f64 v[119:120], v[94:95], -v[117:118]
.LBB92_471:
	s_or_b64 exec, exec, s[18:19]
.LBB92_472:
	s_or_b64 exec, exec, s[0:1]
	v_cmp_ne_u32_e32 vcc, v92, v93
	s_and_saveexec_b64 s[0:1], vcc
	s_xor_b64 s[0:1], exec, s[0:1]
	s_cbranch_execz .LBB92_478
; %bb.473:
	v_cmp_eq_u32_e32 vcc, 22, v92
	s_and_saveexec_b64 s[18:19], vcc
	s_cbranch_execz .LBB92_477
; %bb.474:
	v_cmp_ne_u32_e32 vcc, 22, v93
	s_xor_b64 s[20:21], s[6:7], -1
	s_and_b64 s[22:23], s[20:21], vcc
	s_and_saveexec_b64 s[20:21], s[22:23]
	s_cbranch_execz .LBB92_476
; %bb.475:
	v_mov_b32_e32 v81, v85
	v_mov_b32_e32 v82, v86
	;; [unrolled: 1-line block ×4, first 2 shown]
	buffer_load_dword v85, off, s[24:27], 0 offset:336 ; 4-byte Folded Reload
	buffer_load_dword v86, off, s[24:27], 0 offset:340 ; 4-byte Folded Reload
	v_ashrrev_i32_e32 v94, 31, v93
	v_lshlrev_b64 v[94:95], 2, v[93:94]
	s_waitcnt vmcnt(1)
	v_add_co_u32_e32 v94, vcc, v85, v94
	s_waitcnt vmcnt(0)
	v_addc_co_u32_e32 v95, vcc, v86, v95, vcc
	global_load_dword v0, v[94:95], off
	global_load_dword v92, v[85:86], off offset:88
	s_waitcnt vmcnt(1)
	global_store_dword v[85:86], v0, off offset:88
	v_mov_b32_e32 v88, v84
	v_mov_b32_e32 v87, v83
	;; [unrolled: 1-line block ×4, first 2 shown]
	s_waitcnt vmcnt(1)
	global_store_dword v[94:95], v92, off
.LBB92_476:
	s_or_b64 exec, exec, s[20:21]
	v_mov_b32_e32 v92, v93
	v_mov_b32_e32 v0, v93
.LBB92_477:
	s_or_b64 exec, exec, s[18:19]
.LBB92_478:
	s_andn2_saveexec_b64 s[0:1], s[0:1]
	s_cbranch_execz .LBB92_480
; %bb.479:
	ds_write2_b64 v90, v[85:86], v[87:88] offset0:46 offset1:47
	ds_write2_b64 v90, v[111:112], v[113:114] offset0:48 offset1:49
	buffer_load_dword v81, off, s[24:27], 0 ; 4-byte Folded Reload
	buffer_load_dword v82, off, s[24:27], 0 offset:4 ; 4-byte Folded Reload
	buffer_load_dword v83, off, s[24:27], 0 offset:8 ; 4-byte Folded Reload
	;; [unrolled: 1-line block ×3, first 2 shown]
	v_mov_b32_e32 v92, 22
	s_waitcnt vmcnt(0)
	ds_write2_b64 v90, v[81:82], v[83:84] offset0:50 offset1:51
	ds_write2_b64 v90, v[77:78], v[79:80] offset0:52 offset1:53
	;; [unrolled: 1-line block ×22, first 2 shown]
.LBB92_480:
	s_or_b64 exec, exec, s[0:1]
	v_cmp_lt_i32_e32 vcc, 22, v92
	s_waitcnt vmcnt(0) lgkmcnt(0)
	s_barrier
	s_and_saveexec_b64 s[0:1], vcc
	s_cbranch_execz .LBB92_482
; %bb.481:
	buffer_load_dword v99, off, s[24:27], 0 offset:16 ; 4-byte Folded Reload
	buffer_load_dword v100, off, s[24:27], 0 offset:20 ; 4-byte Folded Reload
	;; [unrolled: 1-line block ×4, first 2 shown]
	s_waitcnt vmcnt(0)
	v_mul_f64 v[95:96], v[117:118], v[101:102]
	v_mul_f64 v[93:94], v[119:120], v[101:102]
	v_fma_f64 v[101:102], v[119:120], v[99:100], v[95:96]
	ds_read2_b64 v[95:98], v90 offset0:46 offset1:47
	v_fma_f64 v[93:94], v[117:118], v[99:100], -v[93:94]
	s_waitcnt lgkmcnt(0)
	v_mul_f64 v[99:100], v[97:98], v[101:102]
	v_fma_f64 v[99:100], v[95:96], v[93:94], -v[99:100]
	v_mul_f64 v[95:96], v[95:96], v[101:102]
	v_add_f64 v[85:86], v[85:86], -v[99:100]
	v_fma_f64 v[95:96], v[97:98], v[93:94], v[95:96]
	v_add_f64 v[87:88], v[87:88], -v[95:96]
	ds_read2_b64 v[95:98], v90 offset0:48 offset1:49
	s_waitcnt lgkmcnt(0)
	v_mul_f64 v[99:100], v[97:98], v[101:102]
	v_fma_f64 v[99:100], v[95:96], v[93:94], -v[99:100]
	v_mul_f64 v[95:96], v[95:96], v[101:102]
	v_add_f64 v[111:112], v[111:112], -v[99:100]
	v_fma_f64 v[95:96], v[97:98], v[93:94], v[95:96]
	v_add_f64 v[113:114], v[113:114], -v[95:96]
	ds_read2_b64 v[95:98], v90 offset0:50 offset1:51
	buffer_load_dword v81, off, s[24:27], 0 ; 4-byte Folded Reload
	buffer_load_dword v82, off, s[24:27], 0 offset:4 ; 4-byte Folded Reload
	buffer_load_dword v83, off, s[24:27], 0 offset:8 ; 4-byte Folded Reload
	;; [unrolled: 1-line block ×3, first 2 shown]
	s_waitcnt lgkmcnt(0)
	v_mul_f64 v[99:100], v[97:98], v[101:102]
	v_fma_f64 v[99:100], v[95:96], v[93:94], -v[99:100]
	v_mul_f64 v[95:96], v[95:96], v[101:102]
	v_fma_f64 v[95:96], v[97:98], v[93:94], v[95:96]
	s_waitcnt vmcnt(2)
	v_add_f64 v[81:82], v[81:82], -v[99:100]
	s_waitcnt vmcnt(0)
	v_add_f64 v[83:84], v[83:84], -v[95:96]
	buffer_store_dword v81, off, s[24:27], 0 ; 4-byte Folded Spill
	s_nop 0
	buffer_store_dword v82, off, s[24:27], 0 offset:4 ; 4-byte Folded Spill
	buffer_store_dword v83, off, s[24:27], 0 offset:8 ; 4-byte Folded Spill
	buffer_store_dword v84, off, s[24:27], 0 offset:12 ; 4-byte Folded Spill
	ds_read2_b64 v[95:98], v90 offset0:52 offset1:53
	s_waitcnt lgkmcnt(0)
	v_mul_f64 v[99:100], v[97:98], v[101:102]
	v_fma_f64 v[99:100], v[95:96], v[93:94], -v[99:100]
	v_mul_f64 v[95:96], v[95:96], v[101:102]
	v_add_f64 v[77:78], v[77:78], -v[99:100]
	v_fma_f64 v[95:96], v[97:98], v[93:94], v[95:96]
	v_add_f64 v[79:80], v[79:80], -v[95:96]
	ds_read2_b64 v[95:98], v90 offset0:54 offset1:55
	s_waitcnt lgkmcnt(0)
	v_mul_f64 v[99:100], v[97:98], v[101:102]
	v_fma_f64 v[99:100], v[95:96], v[93:94], -v[99:100]
	v_mul_f64 v[95:96], v[95:96], v[101:102]
	v_add_f64 v[73:74], v[73:74], -v[99:100]
	v_fma_f64 v[95:96], v[97:98], v[93:94], v[95:96]
	v_add_f64 v[75:76], v[75:76], -v[95:96]
	;; [unrolled: 8-line block ×20, first 2 shown]
	ds_read2_b64 v[95:98], v90 offset0:92 offset1:93
	s_waitcnt lgkmcnt(0)
	v_mul_f64 v[99:100], v[97:98], v[101:102]
	v_fma_f64 v[99:100], v[95:96], v[93:94], -v[99:100]
	v_mul_f64 v[95:96], v[95:96], v[101:102]
	v_add_f64 v[121:122], v[121:122], -v[99:100]
	v_fma_f64 v[95:96], v[97:98], v[93:94], v[95:96]
	v_mov_b32_e32 v100, v94
	v_mov_b32_e32 v99, v93
	buffer_store_dword v99, off, s[24:27], 0 offset:16 ; 4-byte Folded Spill
	s_nop 0
	buffer_store_dword v100, off, s[24:27], 0 offset:20 ; 4-byte Folded Spill
	buffer_store_dword v101, off, s[24:27], 0 offset:24 ; 4-byte Folded Spill
	;; [unrolled: 1-line block ×3, first 2 shown]
	v_add_f64 v[123:124], v[123:124], -v[95:96]
.LBB92_482:
	s_or_b64 exec, exec, s[0:1]
	v_lshl_add_u32 v93, v92, 4, v90
	s_waitcnt vmcnt(0)
	s_barrier
	ds_write2_b64 v93, v[85:86], v[87:88] offset1:1
	s_waitcnt lgkmcnt(0)
	s_barrier
	ds_read2_b64 v[117:120], v90 offset0:46 offset1:47
	s_cmp_lt_i32 s3, 25
	v_mov_b32_e32 v93, 23
	s_cbranch_scc1 .LBB92_485
; %bb.483:
	v_add_u32_e32 v94, 0x180, v90
	s_mov_b32 s0, 24
	v_mov_b32_e32 v93, 23
.LBB92_484:                             ; =>This Inner Loop Header: Depth=1
	s_waitcnt lgkmcnt(0)
	v_cmp_gt_f64_e32 vcc, 0, v[117:118]
	v_xor_b32_e32 v99, 0x80000000, v118
	ds_read2_b64 v[95:98], v94 offset1:1
	v_xor_b32_e32 v101, 0x80000000, v120
	v_add_u32_e32 v94, 16, v94
	s_waitcnt lgkmcnt(0)
	v_xor_b32_e32 v103, 0x80000000, v98
	v_cndmask_b32_e32 v100, v118, v99, vcc
	v_cmp_gt_f64_e32 vcc, 0, v[119:120]
	v_mov_b32_e32 v99, v117
	v_cndmask_b32_e32 v102, v120, v101, vcc
	v_cmp_gt_f64_e32 vcc, 0, v[95:96]
	v_mov_b32_e32 v101, v119
	v_add_f64 v[99:100], v[99:100], v[101:102]
	v_xor_b32_e32 v101, 0x80000000, v96
	v_cndmask_b32_e32 v102, v96, v101, vcc
	v_cmp_gt_f64_e32 vcc, 0, v[97:98]
	v_mov_b32_e32 v101, v95
	v_cndmask_b32_e32 v104, v98, v103, vcc
	v_mov_b32_e32 v103, v97
	v_add_f64 v[101:102], v[101:102], v[103:104]
	v_cmp_lt_f64_e32 vcc, v[99:100], v[101:102]
	v_cndmask_b32_e32 v117, v117, v95, vcc
	v_mov_b32_e32 v95, s0
	s_add_i32 s0, s0, 1
	v_cndmask_b32_e32 v118, v118, v96, vcc
	v_cndmask_b32_e32 v120, v120, v98, vcc
	;; [unrolled: 1-line block ×4, first 2 shown]
	s_cmp_lg_u32 s3, s0
	s_cbranch_scc1 .LBB92_484
.LBB92_485:
	s_waitcnt lgkmcnt(0)
	v_cmp_eq_f64_e32 vcc, 0, v[117:118]
	v_cmp_eq_f64_e64 s[0:1], 0, v[119:120]
	s_and_b64 s[0:1], vcc, s[0:1]
	s_and_saveexec_b64 s[18:19], s[0:1]
	s_xor_b64 s[0:1], exec, s[18:19]
; %bb.486:
	v_cmp_ne_u32_e32 vcc, 0, v91
	v_cndmask_b32_e32 v91, 24, v91, vcc
; %bb.487:
	s_andn2_saveexec_b64 s[0:1], s[0:1]
	s_cbranch_execz .LBB92_493
; %bb.488:
	v_cmp_ngt_f64_e64 s[18:19], |v[117:118]|, |v[119:120]|
	s_and_saveexec_b64 s[20:21], s[18:19]
	s_xor_b64 s[18:19], exec, s[20:21]
	s_cbranch_execz .LBB92_490
; %bb.489:
	v_div_scale_f64 v[94:95], s[20:21], v[119:120], v[119:120], v[117:118]
	v_rcp_f64_e32 v[96:97], v[94:95]
	v_fma_f64 v[98:99], -v[94:95], v[96:97], 1.0
	v_fma_f64 v[96:97], v[96:97], v[98:99], v[96:97]
	v_div_scale_f64 v[98:99], vcc, v[117:118], v[119:120], v[117:118]
	v_fma_f64 v[100:101], -v[94:95], v[96:97], 1.0
	v_fma_f64 v[96:97], v[96:97], v[100:101], v[96:97]
	v_mul_f64 v[100:101], v[98:99], v[96:97]
	v_fma_f64 v[94:95], -v[94:95], v[100:101], v[98:99]
	v_div_fmas_f64 v[94:95], v[94:95], v[96:97], v[100:101]
	v_div_fixup_f64 v[94:95], v[94:95], v[119:120], v[117:118]
	v_fma_f64 v[96:97], v[117:118], v[94:95], v[119:120]
	v_div_scale_f64 v[98:99], s[20:21], v[96:97], v[96:97], 1.0
	v_div_scale_f64 v[104:105], vcc, 1.0, v[96:97], 1.0
	v_rcp_f64_e32 v[100:101], v[98:99]
	v_fma_f64 v[102:103], -v[98:99], v[100:101], 1.0
	v_fma_f64 v[100:101], v[100:101], v[102:103], v[100:101]
	v_fma_f64 v[102:103], -v[98:99], v[100:101], 1.0
	v_fma_f64 v[100:101], v[100:101], v[102:103], v[100:101]
	v_mul_f64 v[102:103], v[104:105], v[100:101]
	v_fma_f64 v[98:99], -v[98:99], v[102:103], v[104:105]
	v_div_fmas_f64 v[98:99], v[98:99], v[100:101], v[102:103]
	v_div_fixup_f64 v[119:120], v[98:99], v[96:97], 1.0
	v_mul_f64 v[117:118], v[94:95], v[119:120]
	v_xor_b32_e32 v120, 0x80000000, v120
.LBB92_490:
	s_andn2_saveexec_b64 s[18:19], s[18:19]
	s_cbranch_execz .LBB92_492
; %bb.491:
	v_div_scale_f64 v[94:95], s[20:21], v[117:118], v[117:118], v[119:120]
	v_rcp_f64_e32 v[96:97], v[94:95]
	v_fma_f64 v[98:99], -v[94:95], v[96:97], 1.0
	v_fma_f64 v[96:97], v[96:97], v[98:99], v[96:97]
	v_div_scale_f64 v[98:99], vcc, v[119:120], v[117:118], v[119:120]
	v_fma_f64 v[100:101], -v[94:95], v[96:97], 1.0
	v_fma_f64 v[96:97], v[96:97], v[100:101], v[96:97]
	v_mul_f64 v[100:101], v[98:99], v[96:97]
	v_fma_f64 v[94:95], -v[94:95], v[100:101], v[98:99]
	v_div_fmas_f64 v[94:95], v[94:95], v[96:97], v[100:101]
	v_div_fixup_f64 v[94:95], v[94:95], v[117:118], v[119:120]
	v_fma_f64 v[96:97], v[119:120], v[94:95], v[117:118]
	v_div_scale_f64 v[98:99], s[20:21], v[96:97], v[96:97], 1.0
	v_div_scale_f64 v[104:105], vcc, 1.0, v[96:97], 1.0
	v_rcp_f64_e32 v[100:101], v[98:99]
	v_fma_f64 v[102:103], -v[98:99], v[100:101], 1.0
	v_fma_f64 v[100:101], v[100:101], v[102:103], v[100:101]
	v_fma_f64 v[102:103], -v[98:99], v[100:101], 1.0
	v_fma_f64 v[100:101], v[100:101], v[102:103], v[100:101]
	v_mul_f64 v[102:103], v[104:105], v[100:101]
	v_fma_f64 v[98:99], -v[98:99], v[102:103], v[104:105]
	v_div_fmas_f64 v[98:99], v[98:99], v[100:101], v[102:103]
	v_div_fixup_f64 v[117:118], v[98:99], v[96:97], 1.0
	v_mul_f64 v[119:120], v[94:95], -v[117:118]
.LBB92_492:
	s_or_b64 exec, exec, s[18:19]
.LBB92_493:
	s_or_b64 exec, exec, s[0:1]
	v_cmp_ne_u32_e32 vcc, v92, v93
	s_and_saveexec_b64 s[0:1], vcc
	s_xor_b64 s[0:1], exec, s[0:1]
	s_cbranch_execz .LBB92_499
; %bb.494:
	v_cmp_eq_u32_e32 vcc, 23, v92
	s_and_saveexec_b64 s[18:19], vcc
	s_cbranch_execz .LBB92_498
; %bb.495:
	v_cmp_ne_u32_e32 vcc, 23, v93
	s_xor_b64 s[20:21], s[6:7], -1
	s_and_b64 s[22:23], s[20:21], vcc
	s_and_saveexec_b64 s[20:21], s[22:23]
	s_cbranch_execz .LBB92_497
; %bb.496:
	v_mov_b32_e32 v81, v85
	v_mov_b32_e32 v82, v86
	;; [unrolled: 1-line block ×4, first 2 shown]
	buffer_load_dword v85, off, s[24:27], 0 offset:336 ; 4-byte Folded Reload
	buffer_load_dword v86, off, s[24:27], 0 offset:340 ; 4-byte Folded Reload
	v_ashrrev_i32_e32 v94, 31, v93
	v_lshlrev_b64 v[94:95], 2, v[93:94]
	s_waitcnt vmcnt(1)
	v_add_co_u32_e32 v94, vcc, v85, v94
	s_waitcnt vmcnt(0)
	v_addc_co_u32_e32 v95, vcc, v86, v95, vcc
	global_load_dword v0, v[94:95], off
	global_load_dword v92, v[85:86], off offset:92
	s_waitcnt vmcnt(1)
	global_store_dword v[85:86], v0, off offset:92
	v_mov_b32_e32 v88, v84
	v_mov_b32_e32 v87, v83
	;; [unrolled: 1-line block ×4, first 2 shown]
	s_waitcnt vmcnt(1)
	global_store_dword v[94:95], v92, off
.LBB92_497:
	s_or_b64 exec, exec, s[20:21]
	v_mov_b32_e32 v92, v93
	v_mov_b32_e32 v0, v93
.LBB92_498:
	s_or_b64 exec, exec, s[18:19]
.LBB92_499:
	s_andn2_saveexec_b64 s[0:1], s[0:1]
	s_cbranch_execz .LBB92_501
; %bb.500:
	ds_write2_b64 v90, v[111:112], v[113:114] offset0:48 offset1:49
	buffer_load_dword v81, off, s[24:27], 0 ; 4-byte Folded Reload
	buffer_load_dword v82, off, s[24:27], 0 offset:4 ; 4-byte Folded Reload
	buffer_load_dword v83, off, s[24:27], 0 offset:8 ; 4-byte Folded Reload
	;; [unrolled: 1-line block ×3, first 2 shown]
	v_mov_b32_e32 v92, 23
	s_waitcnt vmcnt(0)
	ds_write2_b64 v90, v[81:82], v[83:84] offset0:50 offset1:51
	ds_write2_b64 v90, v[77:78], v[79:80] offset0:52 offset1:53
	;; [unrolled: 1-line block ×22, first 2 shown]
.LBB92_501:
	s_or_b64 exec, exec, s[0:1]
	v_cmp_lt_i32_e32 vcc, 23, v92
	s_waitcnt vmcnt(0) lgkmcnt(0)
	s_barrier
	s_and_saveexec_b64 s[0:1], vcc
	s_cbranch_execz .LBB92_503
; %bb.502:
	v_mul_f64 v[95:96], v[117:118], v[87:88]
	v_mul_f64 v[93:94], v[119:120], v[87:88]
	v_fma_f64 v[87:88], v[119:120], v[85:86], v[95:96]
	ds_read2_b64 v[95:98], v90 offset0:48 offset1:49
	v_fma_f64 v[93:94], v[117:118], v[85:86], -v[93:94]
	s_waitcnt lgkmcnt(0)
	v_mul_f64 v[99:100], v[97:98], v[87:88]
	v_mov_b32_e32 v85, v93
	v_mov_b32_e32 v86, v94
	v_fma_f64 v[99:100], v[95:96], v[93:94], -v[99:100]
	v_mul_f64 v[95:96], v[95:96], v[87:88]
	v_add_f64 v[111:112], v[111:112], -v[99:100]
	v_fma_f64 v[95:96], v[97:98], v[93:94], v[95:96]
	v_add_f64 v[113:114], v[113:114], -v[95:96]
	ds_read2_b64 v[95:98], v90 offset0:50 offset1:51
	buffer_load_dword v81, off, s[24:27], 0 ; 4-byte Folded Reload
	buffer_load_dword v82, off, s[24:27], 0 offset:4 ; 4-byte Folded Reload
	buffer_load_dword v83, off, s[24:27], 0 offset:8 ; 4-byte Folded Reload
	;; [unrolled: 1-line block ×3, first 2 shown]
	s_waitcnt lgkmcnt(0)
	v_mul_f64 v[99:100], v[97:98], v[87:88]
	v_fma_f64 v[99:100], v[95:96], v[93:94], -v[99:100]
	v_mul_f64 v[95:96], v[95:96], v[87:88]
	v_fma_f64 v[95:96], v[97:98], v[93:94], v[95:96]
	s_waitcnt vmcnt(2)
	v_add_f64 v[81:82], v[81:82], -v[99:100]
	s_waitcnt vmcnt(0)
	v_add_f64 v[83:84], v[83:84], -v[95:96]
	buffer_store_dword v81, off, s[24:27], 0 ; 4-byte Folded Spill
	s_nop 0
	buffer_store_dword v82, off, s[24:27], 0 offset:4 ; 4-byte Folded Spill
	buffer_store_dword v83, off, s[24:27], 0 offset:8 ; 4-byte Folded Spill
	;; [unrolled: 1-line block ×3, first 2 shown]
	ds_read2_b64 v[95:98], v90 offset0:52 offset1:53
	s_waitcnt lgkmcnt(0)
	v_mul_f64 v[99:100], v[97:98], v[87:88]
	v_fma_f64 v[99:100], v[95:96], v[93:94], -v[99:100]
	v_mul_f64 v[95:96], v[95:96], v[87:88]
	v_add_f64 v[77:78], v[77:78], -v[99:100]
	v_fma_f64 v[95:96], v[97:98], v[93:94], v[95:96]
	v_add_f64 v[79:80], v[79:80], -v[95:96]
	ds_read2_b64 v[95:98], v90 offset0:54 offset1:55
	s_waitcnt lgkmcnt(0)
	v_mul_f64 v[99:100], v[97:98], v[87:88]
	v_fma_f64 v[99:100], v[95:96], v[93:94], -v[99:100]
	v_mul_f64 v[95:96], v[95:96], v[87:88]
	v_add_f64 v[73:74], v[73:74], -v[99:100]
	v_fma_f64 v[95:96], v[97:98], v[93:94], v[95:96]
	v_add_f64 v[75:76], v[75:76], -v[95:96]
	;; [unrolled: 8-line block ×21, first 2 shown]
.LBB92_503:
	s_or_b64 exec, exec, s[0:1]
	v_lshl_add_u32 v93, v92, 4, v90
	s_waitcnt vmcnt(0)
	s_barrier
	ds_write2_b64 v93, v[111:112], v[113:114] offset1:1
	s_waitcnt lgkmcnt(0)
	s_barrier
	ds_read2_b64 v[117:120], v90 offset0:48 offset1:49
	s_cmp_lt_i32 s3, 26
	v_mov_b32_e32 v93, 24
	s_cbranch_scc1 .LBB92_506
; %bb.504:
	v_add_u32_e32 v94, 0x190, v90
	s_mov_b32 s0, 25
	v_mov_b32_e32 v93, 24
.LBB92_505:                             ; =>This Inner Loop Header: Depth=1
	s_waitcnt lgkmcnt(0)
	v_cmp_gt_f64_e32 vcc, 0, v[117:118]
	v_xor_b32_e32 v99, 0x80000000, v118
	ds_read2_b64 v[95:98], v94 offset1:1
	v_xor_b32_e32 v101, 0x80000000, v120
	v_add_u32_e32 v94, 16, v94
	s_waitcnt lgkmcnt(0)
	v_xor_b32_e32 v103, 0x80000000, v98
	v_cndmask_b32_e32 v100, v118, v99, vcc
	v_cmp_gt_f64_e32 vcc, 0, v[119:120]
	v_mov_b32_e32 v99, v117
	v_cndmask_b32_e32 v102, v120, v101, vcc
	v_cmp_gt_f64_e32 vcc, 0, v[95:96]
	v_mov_b32_e32 v101, v119
	v_add_f64 v[99:100], v[99:100], v[101:102]
	v_xor_b32_e32 v101, 0x80000000, v96
	v_cndmask_b32_e32 v102, v96, v101, vcc
	v_cmp_gt_f64_e32 vcc, 0, v[97:98]
	v_mov_b32_e32 v101, v95
	v_cndmask_b32_e32 v104, v98, v103, vcc
	v_mov_b32_e32 v103, v97
	v_add_f64 v[101:102], v[101:102], v[103:104]
	v_cmp_lt_f64_e32 vcc, v[99:100], v[101:102]
	v_cndmask_b32_e32 v117, v117, v95, vcc
	v_mov_b32_e32 v95, s0
	s_add_i32 s0, s0, 1
	v_cndmask_b32_e32 v118, v118, v96, vcc
	v_cndmask_b32_e32 v120, v120, v98, vcc
	;; [unrolled: 1-line block ×4, first 2 shown]
	s_cmp_lg_u32 s3, s0
	s_cbranch_scc1 .LBB92_505
.LBB92_506:
	s_waitcnt lgkmcnt(0)
	v_cmp_eq_f64_e32 vcc, 0, v[117:118]
	v_cmp_eq_f64_e64 s[0:1], 0, v[119:120]
	s_and_b64 s[0:1], vcc, s[0:1]
	s_and_saveexec_b64 s[18:19], s[0:1]
	s_xor_b64 s[0:1], exec, s[18:19]
; %bb.507:
	v_cmp_ne_u32_e32 vcc, 0, v91
	v_cndmask_b32_e32 v91, 25, v91, vcc
; %bb.508:
	s_andn2_saveexec_b64 s[0:1], s[0:1]
	s_cbranch_execz .LBB92_514
; %bb.509:
	v_cmp_ngt_f64_e64 s[18:19], |v[117:118]|, |v[119:120]|
	s_and_saveexec_b64 s[20:21], s[18:19]
	s_xor_b64 s[18:19], exec, s[20:21]
	s_cbranch_execz .LBB92_511
; %bb.510:
	v_div_scale_f64 v[94:95], s[20:21], v[119:120], v[119:120], v[117:118]
	v_rcp_f64_e32 v[96:97], v[94:95]
	v_fma_f64 v[98:99], -v[94:95], v[96:97], 1.0
	v_fma_f64 v[96:97], v[96:97], v[98:99], v[96:97]
	v_div_scale_f64 v[98:99], vcc, v[117:118], v[119:120], v[117:118]
	v_fma_f64 v[100:101], -v[94:95], v[96:97], 1.0
	v_fma_f64 v[96:97], v[96:97], v[100:101], v[96:97]
	v_mul_f64 v[100:101], v[98:99], v[96:97]
	v_fma_f64 v[94:95], -v[94:95], v[100:101], v[98:99]
	v_div_fmas_f64 v[94:95], v[94:95], v[96:97], v[100:101]
	v_div_fixup_f64 v[94:95], v[94:95], v[119:120], v[117:118]
	v_fma_f64 v[96:97], v[117:118], v[94:95], v[119:120]
	v_div_scale_f64 v[98:99], s[20:21], v[96:97], v[96:97], 1.0
	v_div_scale_f64 v[104:105], vcc, 1.0, v[96:97], 1.0
	v_rcp_f64_e32 v[100:101], v[98:99]
	v_fma_f64 v[102:103], -v[98:99], v[100:101], 1.0
	v_fma_f64 v[100:101], v[100:101], v[102:103], v[100:101]
	v_fma_f64 v[102:103], -v[98:99], v[100:101], 1.0
	v_fma_f64 v[100:101], v[100:101], v[102:103], v[100:101]
	v_mul_f64 v[102:103], v[104:105], v[100:101]
	v_fma_f64 v[98:99], -v[98:99], v[102:103], v[104:105]
	v_div_fmas_f64 v[98:99], v[98:99], v[100:101], v[102:103]
	v_div_fixup_f64 v[119:120], v[98:99], v[96:97], 1.0
	v_mul_f64 v[117:118], v[94:95], v[119:120]
	v_xor_b32_e32 v120, 0x80000000, v120
.LBB92_511:
	s_andn2_saveexec_b64 s[18:19], s[18:19]
	s_cbranch_execz .LBB92_513
; %bb.512:
	v_div_scale_f64 v[94:95], s[20:21], v[117:118], v[117:118], v[119:120]
	v_rcp_f64_e32 v[96:97], v[94:95]
	v_fma_f64 v[98:99], -v[94:95], v[96:97], 1.0
	v_fma_f64 v[96:97], v[96:97], v[98:99], v[96:97]
	v_div_scale_f64 v[98:99], vcc, v[119:120], v[117:118], v[119:120]
	v_fma_f64 v[100:101], -v[94:95], v[96:97], 1.0
	v_fma_f64 v[96:97], v[96:97], v[100:101], v[96:97]
	v_mul_f64 v[100:101], v[98:99], v[96:97]
	v_fma_f64 v[94:95], -v[94:95], v[100:101], v[98:99]
	v_div_fmas_f64 v[94:95], v[94:95], v[96:97], v[100:101]
	v_div_fixup_f64 v[94:95], v[94:95], v[117:118], v[119:120]
	v_fma_f64 v[96:97], v[119:120], v[94:95], v[117:118]
	v_div_scale_f64 v[98:99], s[20:21], v[96:97], v[96:97], 1.0
	v_div_scale_f64 v[104:105], vcc, 1.0, v[96:97], 1.0
	v_rcp_f64_e32 v[100:101], v[98:99]
	v_fma_f64 v[102:103], -v[98:99], v[100:101], 1.0
	v_fma_f64 v[100:101], v[100:101], v[102:103], v[100:101]
	v_fma_f64 v[102:103], -v[98:99], v[100:101], 1.0
	v_fma_f64 v[100:101], v[100:101], v[102:103], v[100:101]
	v_mul_f64 v[102:103], v[104:105], v[100:101]
	v_fma_f64 v[98:99], -v[98:99], v[102:103], v[104:105]
	v_div_fmas_f64 v[98:99], v[98:99], v[100:101], v[102:103]
	v_div_fixup_f64 v[117:118], v[98:99], v[96:97], 1.0
	v_mul_f64 v[119:120], v[94:95], -v[117:118]
.LBB92_513:
	s_or_b64 exec, exec, s[18:19]
.LBB92_514:
	s_or_b64 exec, exec, s[0:1]
	v_cmp_ne_u32_e32 vcc, v92, v93
	s_mov_b64 s[0:1], exec
	s_and_b64 s[18:19], s[0:1], vcc
	v_mov_b32_e32 v109, v88
	s_xor_b64 s[0:1], s[18:19], s[0:1]
	v_mov_b32_e32 v108, v87
	v_mov_b32_e32 v107, v86
	;; [unrolled: 1-line block ×3, first 2 shown]
	s_mov_b64 exec, s[18:19]
	s_cbranch_execz .LBB92_520
; %bb.515:
	v_cmp_eq_u32_e32 vcc, 24, v92
	s_and_saveexec_b64 s[18:19], vcc
	s_cbranch_execz .LBB92_519
; %bb.516:
	v_cmp_ne_u32_e32 vcc, 24, v93
	s_xor_b64 s[20:21], s[6:7], -1
	s_and_b64 s[22:23], s[20:21], vcc
	s_and_saveexec_b64 s[20:21], s[22:23]
	s_cbranch_execz .LBB92_518
; %bb.517:
	buffer_load_dword v85, off, s[24:27], 0 offset:336 ; 4-byte Folded Reload
	buffer_load_dword v86, off, s[24:27], 0 offset:340 ; 4-byte Folded Reload
	v_ashrrev_i32_e32 v94, 31, v93
	v_lshlrev_b64 v[94:95], 2, v[93:94]
	s_waitcnt vmcnt(1)
	v_add_co_u32_e32 v94, vcc, v85, v94
	s_waitcnt vmcnt(0)
	v_addc_co_u32_e32 v95, vcc, v86, v95, vcc
	global_load_dword v0, v[94:95], off
	global_load_dword v92, v[85:86], off offset:96
	s_waitcnt vmcnt(1)
	global_store_dword v[85:86], v0, off offset:96
	v_mov_b32_e32 v85, v106
	v_mov_b32_e32 v86, v107
	;; [unrolled: 1-line block ×4, first 2 shown]
	s_waitcnt vmcnt(1)
	global_store_dword v[94:95], v92, off
.LBB92_518:
	s_or_b64 exec, exec, s[20:21]
	v_mov_b32_e32 v92, v93
	v_mov_b32_e32 v0, v93
.LBB92_519:
	s_or_b64 exec, exec, s[18:19]
.LBB92_520:
	s_andn2_saveexec_b64 s[0:1], s[0:1]
	s_cbranch_execz .LBB92_522
; %bb.521:
	buffer_load_dword v81, off, s[24:27], 0 ; 4-byte Folded Reload
	buffer_load_dword v82, off, s[24:27], 0 offset:4 ; 4-byte Folded Reload
	buffer_load_dword v83, off, s[24:27], 0 offset:8 ; 4-byte Folded Reload
	;; [unrolled: 1-line block ×3, first 2 shown]
	v_mov_b32_e32 v92, 24
	s_waitcnt vmcnt(0)
	ds_write2_b64 v90, v[81:82], v[83:84] offset0:50 offset1:51
	ds_write2_b64 v90, v[77:78], v[79:80] offset0:52 offset1:53
	;; [unrolled: 1-line block ×22, first 2 shown]
.LBB92_522:
	s_or_b64 exec, exec, s[0:1]
	v_cmp_lt_i32_e32 vcc, 24, v92
	s_waitcnt vmcnt(0) lgkmcnt(0)
	s_barrier
	s_and_saveexec_b64 s[0:1], vcc
	s_cbranch_execz .LBB92_524
; %bb.523:
	v_mul_f64 v[93:94], v[119:120], v[113:114]
	v_mul_f64 v[87:88], v[117:118], v[113:114]
	v_fma_f64 v[125:126], v[117:118], v[111:112], -v[93:94]
	ds_read2_b64 v[93:96], v90 offset0:50 offset1:51
	buffer_load_dword v81, off, s[24:27], 0 ; 4-byte Folded Reload
	buffer_load_dword v82, off, s[24:27], 0 offset:4 ; 4-byte Folded Reload
	buffer_load_dword v83, off, s[24:27], 0 offset:8 ; 4-byte Folded Reload
	;; [unrolled: 1-line block ×3, first 2 shown]
	v_fma_f64 v[113:114], v[119:120], v[111:112], v[87:88]
	v_mov_b32_e32 v111, v125
	v_mov_b32_e32 v112, v126
	s_waitcnt lgkmcnt(0)
	v_mul_f64 v[85:86], v[95:96], v[113:114]
	v_fma_f64 v[85:86], v[93:94], v[125:126], -v[85:86]
	v_mul_f64 v[93:94], v[93:94], v[113:114]
	v_fma_f64 v[93:94], v[95:96], v[125:126], v[93:94]
	s_waitcnt vmcnt(2)
	v_add_f64 v[81:82], v[81:82], -v[85:86]
	s_waitcnt vmcnt(0)
	v_add_f64 v[83:84], v[83:84], -v[93:94]
	buffer_store_dword v81, off, s[24:27], 0 ; 4-byte Folded Spill
	s_nop 0
	buffer_store_dword v82, off, s[24:27], 0 offset:4 ; 4-byte Folded Spill
	buffer_store_dword v83, off, s[24:27], 0 offset:8 ; 4-byte Folded Spill
	;; [unrolled: 1-line block ×3, first 2 shown]
	ds_read2_b64 v[93:96], v90 offset0:52 offset1:53
	s_waitcnt lgkmcnt(0)
	v_mul_f64 v[85:86], v[95:96], v[113:114]
	v_fma_f64 v[85:86], v[93:94], v[125:126], -v[85:86]
	v_mul_f64 v[93:94], v[93:94], v[113:114]
	v_add_f64 v[77:78], v[77:78], -v[85:86]
	v_fma_f64 v[93:94], v[95:96], v[125:126], v[93:94]
	v_add_f64 v[79:80], v[79:80], -v[93:94]
	ds_read2_b64 v[93:96], v90 offset0:54 offset1:55
	s_waitcnt lgkmcnt(0)
	v_mul_f64 v[85:86], v[95:96], v[113:114]
	v_fma_f64 v[85:86], v[93:94], v[125:126], -v[85:86]
	v_mul_f64 v[93:94], v[93:94], v[113:114]
	v_add_f64 v[73:74], v[73:74], -v[85:86]
	v_fma_f64 v[93:94], v[95:96], v[125:126], v[93:94]
	v_add_f64 v[75:76], v[75:76], -v[93:94]
	;; [unrolled: 8-line block ×20, first 2 shown]
	ds_read2_b64 v[93:96], v90 offset0:92 offset1:93
	s_waitcnt lgkmcnt(0)
	v_mul_f64 v[85:86], v[95:96], v[113:114]
	v_fma_f64 v[85:86], v[93:94], v[125:126], -v[85:86]
	v_mul_f64 v[93:94], v[93:94], v[113:114]
	v_add_f64 v[121:122], v[121:122], -v[85:86]
	v_fma_f64 v[93:94], v[95:96], v[125:126], v[93:94]
	v_mov_b32_e32 v85, v106
	v_mov_b32_e32 v86, v107
	;; [unrolled: 1-line block ×4, first 2 shown]
	v_add_f64 v[123:124], v[123:124], -v[93:94]
.LBB92_524:
	s_or_b64 exec, exec, s[0:1]
	s_waitcnt vmcnt(0)
	s_barrier
	buffer_load_dword v81, off, s[24:27], 0 ; 4-byte Folded Reload
	buffer_load_dword v82, off, s[24:27], 0 offset:4 ; 4-byte Folded Reload
	buffer_load_dword v83, off, s[24:27], 0 offset:8 ; 4-byte Folded Reload
	;; [unrolled: 1-line block ×3, first 2 shown]
	v_lshl_add_u32 v93, v92, 4, v90
	s_cmp_lt_i32 s3, 27
	s_waitcnt vmcnt(0)
	ds_write2_b64 v93, v[81:82], v[83:84] offset1:1
	s_waitcnt lgkmcnt(0)
	s_barrier
	ds_read2_b64 v[117:120], v90 offset0:50 offset1:51
	v_mov_b32_e32 v93, 25
	s_cbranch_scc1 .LBB92_527
; %bb.525:
	v_add_u32_e32 v94, 0x1a0, v90
	s_mov_b32 s0, 26
	v_mov_b32_e32 v93, 25
.LBB92_526:                             ; =>This Inner Loop Header: Depth=1
	s_waitcnt lgkmcnt(0)
	v_cmp_gt_f64_e32 vcc, 0, v[117:118]
	v_xor_b32_e32 v99, 0x80000000, v118
	ds_read2_b64 v[95:98], v94 offset1:1
	v_xor_b32_e32 v101, 0x80000000, v120
	v_add_u32_e32 v94, 16, v94
	s_waitcnt lgkmcnt(0)
	v_xor_b32_e32 v103, 0x80000000, v98
	v_cndmask_b32_e32 v100, v118, v99, vcc
	v_cmp_gt_f64_e32 vcc, 0, v[119:120]
	v_mov_b32_e32 v99, v117
	v_cndmask_b32_e32 v102, v120, v101, vcc
	v_cmp_gt_f64_e32 vcc, 0, v[95:96]
	v_mov_b32_e32 v101, v119
	v_add_f64 v[99:100], v[99:100], v[101:102]
	v_xor_b32_e32 v101, 0x80000000, v96
	v_cndmask_b32_e32 v102, v96, v101, vcc
	v_cmp_gt_f64_e32 vcc, 0, v[97:98]
	v_mov_b32_e32 v101, v95
	v_cndmask_b32_e32 v104, v98, v103, vcc
	v_mov_b32_e32 v103, v97
	v_add_f64 v[101:102], v[101:102], v[103:104]
	v_cmp_lt_f64_e32 vcc, v[99:100], v[101:102]
	v_cndmask_b32_e32 v117, v117, v95, vcc
	v_mov_b32_e32 v95, s0
	s_add_i32 s0, s0, 1
	v_cndmask_b32_e32 v118, v118, v96, vcc
	v_cndmask_b32_e32 v120, v120, v98, vcc
	;; [unrolled: 1-line block ×4, first 2 shown]
	s_cmp_lg_u32 s3, s0
	s_cbranch_scc1 .LBB92_526
.LBB92_527:
	s_waitcnt lgkmcnt(0)
	v_cmp_eq_f64_e32 vcc, 0, v[117:118]
	v_cmp_eq_f64_e64 s[0:1], 0, v[119:120]
	s_and_b64 s[0:1], vcc, s[0:1]
	s_and_saveexec_b64 s[18:19], s[0:1]
	s_xor_b64 s[0:1], exec, s[18:19]
; %bb.528:
	v_cmp_ne_u32_e32 vcc, 0, v91
	v_cndmask_b32_e32 v91, 26, v91, vcc
; %bb.529:
	s_andn2_saveexec_b64 s[0:1], s[0:1]
	s_cbranch_execz .LBB92_535
; %bb.530:
	v_cmp_ngt_f64_e64 s[18:19], |v[117:118]|, |v[119:120]|
	s_and_saveexec_b64 s[20:21], s[18:19]
	s_xor_b64 s[18:19], exec, s[20:21]
	s_cbranch_execz .LBB92_532
; %bb.531:
	v_div_scale_f64 v[94:95], s[20:21], v[119:120], v[119:120], v[117:118]
	v_rcp_f64_e32 v[96:97], v[94:95]
	v_fma_f64 v[98:99], -v[94:95], v[96:97], 1.0
	v_fma_f64 v[96:97], v[96:97], v[98:99], v[96:97]
	v_div_scale_f64 v[98:99], vcc, v[117:118], v[119:120], v[117:118]
	v_fma_f64 v[100:101], -v[94:95], v[96:97], 1.0
	v_fma_f64 v[96:97], v[96:97], v[100:101], v[96:97]
	v_mul_f64 v[100:101], v[98:99], v[96:97]
	v_fma_f64 v[94:95], -v[94:95], v[100:101], v[98:99]
	v_div_fmas_f64 v[94:95], v[94:95], v[96:97], v[100:101]
	v_div_fixup_f64 v[94:95], v[94:95], v[119:120], v[117:118]
	v_fma_f64 v[96:97], v[117:118], v[94:95], v[119:120]
	v_div_scale_f64 v[98:99], s[20:21], v[96:97], v[96:97], 1.0
	v_div_scale_f64 v[104:105], vcc, 1.0, v[96:97], 1.0
	v_rcp_f64_e32 v[100:101], v[98:99]
	v_fma_f64 v[102:103], -v[98:99], v[100:101], 1.0
	v_fma_f64 v[100:101], v[100:101], v[102:103], v[100:101]
	v_fma_f64 v[102:103], -v[98:99], v[100:101], 1.0
	v_fma_f64 v[100:101], v[100:101], v[102:103], v[100:101]
	v_mul_f64 v[102:103], v[104:105], v[100:101]
	v_fma_f64 v[98:99], -v[98:99], v[102:103], v[104:105]
	v_div_fmas_f64 v[98:99], v[98:99], v[100:101], v[102:103]
	v_div_fixup_f64 v[119:120], v[98:99], v[96:97], 1.0
	v_mul_f64 v[117:118], v[94:95], v[119:120]
	v_xor_b32_e32 v120, 0x80000000, v120
.LBB92_532:
	s_andn2_saveexec_b64 s[18:19], s[18:19]
	s_cbranch_execz .LBB92_534
; %bb.533:
	v_div_scale_f64 v[94:95], s[20:21], v[117:118], v[117:118], v[119:120]
	v_rcp_f64_e32 v[96:97], v[94:95]
	v_fma_f64 v[98:99], -v[94:95], v[96:97], 1.0
	v_fma_f64 v[96:97], v[96:97], v[98:99], v[96:97]
	v_div_scale_f64 v[98:99], vcc, v[119:120], v[117:118], v[119:120]
	v_fma_f64 v[100:101], -v[94:95], v[96:97], 1.0
	v_fma_f64 v[96:97], v[96:97], v[100:101], v[96:97]
	v_mul_f64 v[100:101], v[98:99], v[96:97]
	v_fma_f64 v[94:95], -v[94:95], v[100:101], v[98:99]
	v_div_fmas_f64 v[94:95], v[94:95], v[96:97], v[100:101]
	v_div_fixup_f64 v[94:95], v[94:95], v[117:118], v[119:120]
	v_fma_f64 v[96:97], v[119:120], v[94:95], v[117:118]
	v_div_scale_f64 v[98:99], s[20:21], v[96:97], v[96:97], 1.0
	v_div_scale_f64 v[104:105], vcc, 1.0, v[96:97], 1.0
	v_rcp_f64_e32 v[100:101], v[98:99]
	v_fma_f64 v[102:103], -v[98:99], v[100:101], 1.0
	v_fma_f64 v[100:101], v[100:101], v[102:103], v[100:101]
	v_fma_f64 v[102:103], -v[98:99], v[100:101], 1.0
	v_fma_f64 v[100:101], v[100:101], v[102:103], v[100:101]
	v_mul_f64 v[102:103], v[104:105], v[100:101]
	v_fma_f64 v[98:99], -v[98:99], v[102:103], v[104:105]
	v_div_fmas_f64 v[98:99], v[98:99], v[100:101], v[102:103]
	v_div_fixup_f64 v[117:118], v[98:99], v[96:97], 1.0
	v_mul_f64 v[119:120], v[94:95], -v[117:118]
.LBB92_534:
	s_or_b64 exec, exec, s[18:19]
.LBB92_535:
	s_or_b64 exec, exec, s[0:1]
	v_cmp_ne_u32_e32 vcc, v92, v93
	s_and_saveexec_b64 s[0:1], vcc
	s_xor_b64 s[0:1], exec, s[0:1]
	s_cbranch_execz .LBB92_541
; %bb.536:
	v_cmp_eq_u32_e32 vcc, 25, v92
	s_and_saveexec_b64 s[18:19], vcc
	s_cbranch_execz .LBB92_540
; %bb.537:
	v_cmp_ne_u32_e32 vcc, 25, v93
	s_xor_b64 s[20:21], s[6:7], -1
	s_and_b64 s[22:23], s[20:21], vcc
	s_and_saveexec_b64 s[20:21], s[22:23]
	s_cbranch_execz .LBB92_539
; %bb.538:
	buffer_load_dword v85, off, s[24:27], 0 offset:336 ; 4-byte Folded Reload
	buffer_load_dword v86, off, s[24:27], 0 offset:340 ; 4-byte Folded Reload
	v_ashrrev_i32_e32 v94, 31, v93
	v_lshlrev_b64 v[94:95], 2, v[93:94]
	s_waitcnt vmcnt(1)
	v_add_co_u32_e32 v94, vcc, v85, v94
	s_waitcnt vmcnt(0)
	v_addc_co_u32_e32 v95, vcc, v86, v95, vcc
	global_load_dword v0, v[94:95], off
	global_load_dword v92, v[85:86], off offset:100
	s_waitcnt vmcnt(1)
	global_store_dword v[85:86], v0, off offset:100
	v_mov_b32_e32 v85, v106
	v_mov_b32_e32 v86, v107
	;; [unrolled: 1-line block ×4, first 2 shown]
	s_waitcnt vmcnt(1)
	global_store_dword v[94:95], v92, off
.LBB92_539:
	s_or_b64 exec, exec, s[20:21]
	v_mov_b32_e32 v92, v93
	v_mov_b32_e32 v0, v93
.LBB92_540:
	s_or_b64 exec, exec, s[18:19]
.LBB92_541:
	s_andn2_saveexec_b64 s[0:1], s[0:1]
	s_cbranch_execz .LBB92_543
; %bb.542:
	v_mov_b32_e32 v92, 25
	ds_write2_b64 v90, v[77:78], v[79:80] offset0:52 offset1:53
	ds_write2_b64 v90, v[73:74], v[75:76] offset0:54 offset1:55
	;; [unrolled: 1-line block ×21, first 2 shown]
.LBB92_543:
	s_or_b64 exec, exec, s[0:1]
	v_cmp_lt_i32_e32 vcc, 25, v92
	s_waitcnt vmcnt(0) lgkmcnt(0)
	s_barrier
	s_and_saveexec_b64 s[0:1], vcc
	s_cbranch_execz .LBB92_545
; %bb.544:
	buffer_load_dword v81, off, s[24:27], 0 ; 4-byte Folded Reload
	buffer_load_dword v82, off, s[24:27], 0 offset:4 ; 4-byte Folded Reload
	buffer_load_dword v83, off, s[24:27], 0 offset:8 ; 4-byte Folded Reload
	buffer_load_dword v84, off, s[24:27], 0 offset:12 ; 4-byte Folded Reload
	v_mov_b32_e32 v97, v111
	v_mov_b32_e32 v98, v112
	v_mov_b32_e32 v99, v113
	v_mov_b32_e32 v100, v114
	s_waitcnt vmcnt(0)
	v_mul_f64 v[93:94], v[119:120], v[83:84]
	v_mul_f64 v[83:84], v[117:118], v[83:84]
	v_fma_f64 v[113:114], v[117:118], v[81:82], -v[93:94]
	v_fma_f64 v[83:84], v[119:120], v[81:82], v[83:84]
	ds_read2_b64 v[93:96], v90 offset0:52 offset1:53
	s_waitcnt lgkmcnt(0)
	v_mul_f64 v[81:82], v[95:96], v[83:84]
	v_fma_f64 v[81:82], v[93:94], v[113:114], -v[81:82]
	v_mul_f64 v[93:94], v[93:94], v[83:84]
	v_add_f64 v[77:78], v[77:78], -v[81:82]
	v_fma_f64 v[93:94], v[95:96], v[113:114], v[93:94]
	v_add_f64 v[79:80], v[79:80], -v[93:94]
	ds_read2_b64 v[93:96], v90 offset0:54 offset1:55
	s_waitcnt lgkmcnt(0)
	v_mul_f64 v[81:82], v[95:96], v[83:84]
	v_fma_f64 v[81:82], v[93:94], v[113:114], -v[81:82]
	v_mul_f64 v[93:94], v[93:94], v[83:84]
	v_add_f64 v[73:74], v[73:74], -v[81:82]
	v_fma_f64 v[93:94], v[95:96], v[113:114], v[93:94]
	v_add_f64 v[75:76], v[75:76], -v[93:94]
	;; [unrolled: 8-line block ×20, first 2 shown]
	ds_read2_b64 v[93:96], v90 offset0:92 offset1:93
	s_waitcnt lgkmcnt(0)
	v_mul_f64 v[81:82], v[95:96], v[83:84]
	v_fma_f64 v[81:82], v[93:94], v[113:114], -v[81:82]
	v_mul_f64 v[93:94], v[93:94], v[83:84]
	v_add_f64 v[121:122], v[121:122], -v[81:82]
	v_fma_f64 v[93:94], v[95:96], v[113:114], v[93:94]
	v_mov_b32_e32 v81, v113
	v_mov_b32_e32 v82, v114
	;; [unrolled: 1-line block ×6, first 2 shown]
	buffer_store_dword v81, off, s[24:27], 0 ; 4-byte Folded Spill
	s_nop 0
	buffer_store_dword v82, off, s[24:27], 0 offset:4 ; 4-byte Folded Spill
	buffer_store_dword v83, off, s[24:27], 0 offset:8 ; 4-byte Folded Spill
	buffer_store_dword v84, off, s[24:27], 0 offset:12 ; 4-byte Folded Spill
	v_add_f64 v[123:124], v[123:124], -v[93:94]
.LBB92_545:
	s_or_b64 exec, exec, s[0:1]
	v_lshl_add_u32 v93, v92, 4, v90
	s_waitcnt vmcnt(0)
	s_barrier
	ds_write2_b64 v93, v[77:78], v[79:80] offset1:1
	s_waitcnt lgkmcnt(0)
	s_barrier
	ds_read2_b64 v[117:120], v90 offset0:52 offset1:53
	s_cmp_lt_i32 s3, 28
	v_mov_b32_e32 v93, 26
	s_cbranch_scc1 .LBB92_548
; %bb.546:
	v_add_u32_e32 v94, 0x1b0, v90
	s_mov_b32 s0, 27
	v_mov_b32_e32 v93, 26
.LBB92_547:                             ; =>This Inner Loop Header: Depth=1
	s_waitcnt lgkmcnt(0)
	v_cmp_gt_f64_e32 vcc, 0, v[117:118]
	v_xor_b32_e32 v99, 0x80000000, v118
	ds_read2_b64 v[95:98], v94 offset1:1
	v_xor_b32_e32 v101, 0x80000000, v120
	v_add_u32_e32 v94, 16, v94
	s_waitcnt lgkmcnt(0)
	v_xor_b32_e32 v103, 0x80000000, v98
	v_cndmask_b32_e32 v100, v118, v99, vcc
	v_cmp_gt_f64_e32 vcc, 0, v[119:120]
	v_mov_b32_e32 v99, v117
	v_cndmask_b32_e32 v102, v120, v101, vcc
	v_cmp_gt_f64_e32 vcc, 0, v[95:96]
	v_mov_b32_e32 v101, v119
	v_add_f64 v[99:100], v[99:100], v[101:102]
	v_xor_b32_e32 v101, 0x80000000, v96
	v_cndmask_b32_e32 v102, v96, v101, vcc
	v_cmp_gt_f64_e32 vcc, 0, v[97:98]
	v_mov_b32_e32 v101, v95
	v_cndmask_b32_e32 v104, v98, v103, vcc
	v_mov_b32_e32 v103, v97
	v_add_f64 v[101:102], v[101:102], v[103:104]
	v_cmp_lt_f64_e32 vcc, v[99:100], v[101:102]
	v_cndmask_b32_e32 v117, v117, v95, vcc
	v_mov_b32_e32 v95, s0
	s_add_i32 s0, s0, 1
	v_cndmask_b32_e32 v118, v118, v96, vcc
	v_cndmask_b32_e32 v120, v120, v98, vcc
	;; [unrolled: 1-line block ×4, first 2 shown]
	s_cmp_lg_u32 s3, s0
	s_cbranch_scc1 .LBB92_547
.LBB92_548:
	s_waitcnt lgkmcnt(0)
	v_cmp_eq_f64_e32 vcc, 0, v[117:118]
	v_cmp_eq_f64_e64 s[0:1], 0, v[119:120]
	s_and_b64 s[0:1], vcc, s[0:1]
	s_and_saveexec_b64 s[18:19], s[0:1]
	s_xor_b64 s[0:1], exec, s[18:19]
; %bb.549:
	v_cmp_ne_u32_e32 vcc, 0, v91
	v_cndmask_b32_e32 v91, 27, v91, vcc
; %bb.550:
	s_andn2_saveexec_b64 s[0:1], s[0:1]
	s_cbranch_execz .LBB92_556
; %bb.551:
	v_cmp_ngt_f64_e64 s[18:19], |v[117:118]|, |v[119:120]|
	s_and_saveexec_b64 s[20:21], s[18:19]
	s_xor_b64 s[18:19], exec, s[20:21]
	s_cbranch_execz .LBB92_553
; %bb.552:
	v_div_scale_f64 v[94:95], s[20:21], v[119:120], v[119:120], v[117:118]
	v_rcp_f64_e32 v[96:97], v[94:95]
	v_fma_f64 v[98:99], -v[94:95], v[96:97], 1.0
	v_fma_f64 v[96:97], v[96:97], v[98:99], v[96:97]
	v_div_scale_f64 v[98:99], vcc, v[117:118], v[119:120], v[117:118]
	v_fma_f64 v[100:101], -v[94:95], v[96:97], 1.0
	v_fma_f64 v[96:97], v[96:97], v[100:101], v[96:97]
	v_mul_f64 v[100:101], v[98:99], v[96:97]
	v_fma_f64 v[94:95], -v[94:95], v[100:101], v[98:99]
	v_div_fmas_f64 v[94:95], v[94:95], v[96:97], v[100:101]
	v_div_fixup_f64 v[94:95], v[94:95], v[119:120], v[117:118]
	v_fma_f64 v[96:97], v[117:118], v[94:95], v[119:120]
	v_div_scale_f64 v[98:99], s[20:21], v[96:97], v[96:97], 1.0
	v_div_scale_f64 v[104:105], vcc, 1.0, v[96:97], 1.0
	v_rcp_f64_e32 v[100:101], v[98:99]
	v_fma_f64 v[102:103], -v[98:99], v[100:101], 1.0
	v_fma_f64 v[100:101], v[100:101], v[102:103], v[100:101]
	v_fma_f64 v[102:103], -v[98:99], v[100:101], 1.0
	v_fma_f64 v[100:101], v[100:101], v[102:103], v[100:101]
	v_mul_f64 v[102:103], v[104:105], v[100:101]
	v_fma_f64 v[98:99], -v[98:99], v[102:103], v[104:105]
	v_div_fmas_f64 v[98:99], v[98:99], v[100:101], v[102:103]
	v_div_fixup_f64 v[119:120], v[98:99], v[96:97], 1.0
	v_mul_f64 v[117:118], v[94:95], v[119:120]
	v_xor_b32_e32 v120, 0x80000000, v120
.LBB92_553:
	s_andn2_saveexec_b64 s[18:19], s[18:19]
	s_cbranch_execz .LBB92_555
; %bb.554:
	v_div_scale_f64 v[94:95], s[20:21], v[117:118], v[117:118], v[119:120]
	v_rcp_f64_e32 v[96:97], v[94:95]
	v_fma_f64 v[98:99], -v[94:95], v[96:97], 1.0
	v_fma_f64 v[96:97], v[96:97], v[98:99], v[96:97]
	v_div_scale_f64 v[98:99], vcc, v[119:120], v[117:118], v[119:120]
	v_fma_f64 v[100:101], -v[94:95], v[96:97], 1.0
	v_fma_f64 v[96:97], v[96:97], v[100:101], v[96:97]
	v_mul_f64 v[100:101], v[98:99], v[96:97]
	v_fma_f64 v[94:95], -v[94:95], v[100:101], v[98:99]
	v_div_fmas_f64 v[94:95], v[94:95], v[96:97], v[100:101]
	v_div_fixup_f64 v[94:95], v[94:95], v[117:118], v[119:120]
	v_fma_f64 v[96:97], v[119:120], v[94:95], v[117:118]
	v_div_scale_f64 v[98:99], s[20:21], v[96:97], v[96:97], 1.0
	v_div_scale_f64 v[104:105], vcc, 1.0, v[96:97], 1.0
	v_rcp_f64_e32 v[100:101], v[98:99]
	v_fma_f64 v[102:103], -v[98:99], v[100:101], 1.0
	v_fma_f64 v[100:101], v[100:101], v[102:103], v[100:101]
	v_fma_f64 v[102:103], -v[98:99], v[100:101], 1.0
	v_fma_f64 v[100:101], v[100:101], v[102:103], v[100:101]
	v_mul_f64 v[102:103], v[104:105], v[100:101]
	v_fma_f64 v[98:99], -v[98:99], v[102:103], v[104:105]
	v_div_fmas_f64 v[98:99], v[98:99], v[100:101], v[102:103]
	v_div_fixup_f64 v[117:118], v[98:99], v[96:97], 1.0
	v_mul_f64 v[119:120], v[94:95], -v[117:118]
.LBB92_555:
	s_or_b64 exec, exec, s[18:19]
.LBB92_556:
	s_or_b64 exec, exec, s[0:1]
	v_cmp_ne_u32_e32 vcc, v92, v93
	s_and_saveexec_b64 s[0:1], vcc
	s_xor_b64 s[0:1], exec, s[0:1]
	s_cbranch_execz .LBB92_562
; %bb.557:
	v_cmp_eq_u32_e32 vcc, 26, v92
	s_and_saveexec_b64 s[18:19], vcc
	s_cbranch_execz .LBB92_561
; %bb.558:
	v_cmp_ne_u32_e32 vcc, 26, v93
	s_xor_b64 s[20:21], s[6:7], -1
	s_and_b64 s[22:23], s[20:21], vcc
	s_and_saveexec_b64 s[20:21], s[22:23]
	s_cbranch_execz .LBB92_560
; %bb.559:
	buffer_load_dword v85, off, s[24:27], 0 offset:336 ; 4-byte Folded Reload
	buffer_load_dword v86, off, s[24:27], 0 offset:340 ; 4-byte Folded Reload
	v_ashrrev_i32_e32 v94, 31, v93
	v_lshlrev_b64 v[94:95], 2, v[93:94]
	s_waitcnt vmcnt(1)
	v_add_co_u32_e32 v94, vcc, v85, v94
	s_waitcnt vmcnt(0)
	v_addc_co_u32_e32 v95, vcc, v86, v95, vcc
	global_load_dword v0, v[94:95], off
	global_load_dword v92, v[85:86], off offset:104
	s_waitcnt vmcnt(1)
	global_store_dword v[85:86], v0, off offset:104
	v_mov_b32_e32 v85, v106
	v_mov_b32_e32 v86, v107
	;; [unrolled: 1-line block ×4, first 2 shown]
	s_waitcnt vmcnt(1)
	global_store_dword v[94:95], v92, off
.LBB92_560:
	s_or_b64 exec, exec, s[20:21]
	v_mov_b32_e32 v92, v93
	v_mov_b32_e32 v0, v93
.LBB92_561:
	s_or_b64 exec, exec, s[18:19]
.LBB92_562:
	s_andn2_saveexec_b64 s[0:1], s[0:1]
	s_cbranch_execz .LBB92_564
; %bb.563:
	v_mov_b32_e32 v92, 26
	ds_write2_b64 v90, v[73:74], v[75:76] offset0:54 offset1:55
	ds_write2_b64 v90, v[69:70], v[71:72] offset0:56 offset1:57
	;; [unrolled: 1-line block ×20, first 2 shown]
.LBB92_564:
	s_or_b64 exec, exec, s[0:1]
	v_cmp_lt_i32_e32 vcc, 26, v92
	s_waitcnt vmcnt(0) lgkmcnt(0)
	s_barrier
	s_and_saveexec_b64 s[0:1], vcc
	s_cbranch_execz .LBB92_566
; %bb.565:
	v_mul_f64 v[93:94], v[119:120], v[79:80]
	v_mul_f64 v[79:80], v[117:118], v[79:80]
	ds_read2_b64 v[95:98], v90 offset0:54 offset1:55
	v_fma_f64 v[93:94], v[117:118], v[77:78], -v[93:94]
	v_fma_f64 v[79:80], v[119:120], v[77:78], v[79:80]
	s_waitcnt lgkmcnt(0)
	v_mul_f64 v[77:78], v[97:98], v[79:80]
	v_fma_f64 v[77:78], v[95:96], v[93:94], -v[77:78]
	v_mul_f64 v[95:96], v[95:96], v[79:80]
	v_add_f64 v[73:74], v[73:74], -v[77:78]
	v_fma_f64 v[95:96], v[97:98], v[93:94], v[95:96]
	v_add_f64 v[75:76], v[75:76], -v[95:96]
	ds_read2_b64 v[95:98], v90 offset0:56 offset1:57
	s_waitcnt lgkmcnt(0)
	v_mul_f64 v[77:78], v[97:98], v[79:80]
	v_fma_f64 v[77:78], v[95:96], v[93:94], -v[77:78]
	v_mul_f64 v[95:96], v[95:96], v[79:80]
	v_add_f64 v[69:70], v[69:70], -v[77:78]
	v_fma_f64 v[95:96], v[97:98], v[93:94], v[95:96]
	v_add_f64 v[71:72], v[71:72], -v[95:96]
	ds_read2_b64 v[95:98], v90 offset0:58 offset1:59
	;; [unrolled: 8-line block ×19, first 2 shown]
	s_waitcnt lgkmcnt(0)
	v_mul_f64 v[77:78], v[97:98], v[79:80]
	v_fma_f64 v[77:78], v[95:96], v[93:94], -v[77:78]
	v_mul_f64 v[95:96], v[95:96], v[79:80]
	v_add_f64 v[121:122], v[121:122], -v[77:78]
	v_fma_f64 v[95:96], v[97:98], v[93:94], v[95:96]
	v_mov_b32_e32 v77, v93
	v_mov_b32_e32 v78, v94
	v_add_f64 v[123:124], v[123:124], -v[95:96]
.LBB92_566:
	s_or_b64 exec, exec, s[0:1]
	v_lshl_add_u32 v93, v92, 4, v90
	s_barrier
	ds_write2_b64 v93, v[73:74], v[75:76] offset1:1
	s_waitcnt lgkmcnt(0)
	s_barrier
	ds_read2_b64 v[117:120], v90 offset0:54 offset1:55
	s_cmp_lt_i32 s3, 29
	v_mov_b32_e32 v93, 27
	s_cbranch_scc1 .LBB92_569
; %bb.567:
	v_add_u32_e32 v94, 0x1c0, v90
	s_mov_b32 s0, 28
	v_mov_b32_e32 v93, 27
.LBB92_568:                             ; =>This Inner Loop Header: Depth=1
	s_waitcnt lgkmcnt(0)
	v_cmp_gt_f64_e32 vcc, 0, v[117:118]
	v_xor_b32_e32 v99, 0x80000000, v118
	ds_read2_b64 v[95:98], v94 offset1:1
	v_xor_b32_e32 v101, 0x80000000, v120
	v_add_u32_e32 v94, 16, v94
	s_waitcnt lgkmcnt(0)
	v_xor_b32_e32 v103, 0x80000000, v98
	v_cndmask_b32_e32 v100, v118, v99, vcc
	v_cmp_gt_f64_e32 vcc, 0, v[119:120]
	v_mov_b32_e32 v99, v117
	v_cndmask_b32_e32 v102, v120, v101, vcc
	v_cmp_gt_f64_e32 vcc, 0, v[95:96]
	v_mov_b32_e32 v101, v119
	v_add_f64 v[99:100], v[99:100], v[101:102]
	v_xor_b32_e32 v101, 0x80000000, v96
	v_cndmask_b32_e32 v102, v96, v101, vcc
	v_cmp_gt_f64_e32 vcc, 0, v[97:98]
	v_mov_b32_e32 v101, v95
	v_cndmask_b32_e32 v104, v98, v103, vcc
	v_mov_b32_e32 v103, v97
	v_add_f64 v[101:102], v[101:102], v[103:104]
	v_cmp_lt_f64_e32 vcc, v[99:100], v[101:102]
	v_cndmask_b32_e32 v117, v117, v95, vcc
	v_mov_b32_e32 v95, s0
	s_add_i32 s0, s0, 1
	v_cndmask_b32_e32 v118, v118, v96, vcc
	v_cndmask_b32_e32 v120, v120, v98, vcc
	;; [unrolled: 1-line block ×4, first 2 shown]
	s_cmp_lg_u32 s3, s0
	s_cbranch_scc1 .LBB92_568
.LBB92_569:
	s_waitcnt lgkmcnt(0)
	v_cmp_eq_f64_e32 vcc, 0, v[117:118]
	v_cmp_eq_f64_e64 s[0:1], 0, v[119:120]
	s_and_b64 s[0:1], vcc, s[0:1]
	s_and_saveexec_b64 s[18:19], s[0:1]
	s_xor_b64 s[0:1], exec, s[18:19]
; %bb.570:
	v_cmp_ne_u32_e32 vcc, 0, v91
	v_cndmask_b32_e32 v91, 28, v91, vcc
; %bb.571:
	s_andn2_saveexec_b64 s[0:1], s[0:1]
	s_cbranch_execz .LBB92_577
; %bb.572:
	v_cmp_ngt_f64_e64 s[18:19], |v[117:118]|, |v[119:120]|
	s_and_saveexec_b64 s[20:21], s[18:19]
	s_xor_b64 s[18:19], exec, s[20:21]
	s_cbranch_execz .LBB92_574
; %bb.573:
	v_div_scale_f64 v[94:95], s[20:21], v[119:120], v[119:120], v[117:118]
	v_rcp_f64_e32 v[96:97], v[94:95]
	v_fma_f64 v[98:99], -v[94:95], v[96:97], 1.0
	v_fma_f64 v[96:97], v[96:97], v[98:99], v[96:97]
	v_div_scale_f64 v[98:99], vcc, v[117:118], v[119:120], v[117:118]
	v_fma_f64 v[100:101], -v[94:95], v[96:97], 1.0
	v_fma_f64 v[96:97], v[96:97], v[100:101], v[96:97]
	v_mul_f64 v[100:101], v[98:99], v[96:97]
	v_fma_f64 v[94:95], -v[94:95], v[100:101], v[98:99]
	v_div_fmas_f64 v[94:95], v[94:95], v[96:97], v[100:101]
	v_div_fixup_f64 v[94:95], v[94:95], v[119:120], v[117:118]
	v_fma_f64 v[96:97], v[117:118], v[94:95], v[119:120]
	v_div_scale_f64 v[98:99], s[20:21], v[96:97], v[96:97], 1.0
	v_div_scale_f64 v[104:105], vcc, 1.0, v[96:97], 1.0
	v_rcp_f64_e32 v[100:101], v[98:99]
	v_fma_f64 v[102:103], -v[98:99], v[100:101], 1.0
	v_fma_f64 v[100:101], v[100:101], v[102:103], v[100:101]
	v_fma_f64 v[102:103], -v[98:99], v[100:101], 1.0
	v_fma_f64 v[100:101], v[100:101], v[102:103], v[100:101]
	v_mul_f64 v[102:103], v[104:105], v[100:101]
	v_fma_f64 v[98:99], -v[98:99], v[102:103], v[104:105]
	v_div_fmas_f64 v[98:99], v[98:99], v[100:101], v[102:103]
	v_div_fixup_f64 v[119:120], v[98:99], v[96:97], 1.0
	v_mul_f64 v[117:118], v[94:95], v[119:120]
	v_xor_b32_e32 v120, 0x80000000, v120
.LBB92_574:
	s_andn2_saveexec_b64 s[18:19], s[18:19]
	s_cbranch_execz .LBB92_576
; %bb.575:
	v_div_scale_f64 v[94:95], s[20:21], v[117:118], v[117:118], v[119:120]
	v_rcp_f64_e32 v[96:97], v[94:95]
	v_fma_f64 v[98:99], -v[94:95], v[96:97], 1.0
	v_fma_f64 v[96:97], v[96:97], v[98:99], v[96:97]
	v_div_scale_f64 v[98:99], vcc, v[119:120], v[117:118], v[119:120]
	v_fma_f64 v[100:101], -v[94:95], v[96:97], 1.0
	v_fma_f64 v[96:97], v[96:97], v[100:101], v[96:97]
	v_mul_f64 v[100:101], v[98:99], v[96:97]
	v_fma_f64 v[94:95], -v[94:95], v[100:101], v[98:99]
	v_div_fmas_f64 v[94:95], v[94:95], v[96:97], v[100:101]
	v_div_fixup_f64 v[94:95], v[94:95], v[117:118], v[119:120]
	v_fma_f64 v[96:97], v[119:120], v[94:95], v[117:118]
	v_div_scale_f64 v[98:99], s[20:21], v[96:97], v[96:97], 1.0
	v_div_scale_f64 v[104:105], vcc, 1.0, v[96:97], 1.0
	v_rcp_f64_e32 v[100:101], v[98:99]
	v_fma_f64 v[102:103], -v[98:99], v[100:101], 1.0
	v_fma_f64 v[100:101], v[100:101], v[102:103], v[100:101]
	v_fma_f64 v[102:103], -v[98:99], v[100:101], 1.0
	v_fma_f64 v[100:101], v[100:101], v[102:103], v[100:101]
	v_mul_f64 v[102:103], v[104:105], v[100:101]
	v_fma_f64 v[98:99], -v[98:99], v[102:103], v[104:105]
	v_div_fmas_f64 v[98:99], v[98:99], v[100:101], v[102:103]
	v_div_fixup_f64 v[117:118], v[98:99], v[96:97], 1.0
	v_mul_f64 v[119:120], v[94:95], -v[117:118]
.LBB92_576:
	s_or_b64 exec, exec, s[18:19]
.LBB92_577:
	s_or_b64 exec, exec, s[0:1]
	v_cmp_ne_u32_e32 vcc, v92, v93
	s_and_saveexec_b64 s[0:1], vcc
	s_xor_b64 s[0:1], exec, s[0:1]
	s_cbranch_execz .LBB92_583
; %bb.578:
	v_cmp_eq_u32_e32 vcc, 27, v92
	s_and_saveexec_b64 s[18:19], vcc
	s_cbranch_execz .LBB92_582
; %bb.579:
	v_cmp_ne_u32_e32 vcc, 27, v93
	s_xor_b64 s[20:21], s[6:7], -1
	s_and_b64 s[22:23], s[20:21], vcc
	s_and_saveexec_b64 s[20:21], s[22:23]
	s_cbranch_execz .LBB92_581
; %bb.580:
	buffer_load_dword v85, off, s[24:27], 0 offset:336 ; 4-byte Folded Reload
	buffer_load_dword v86, off, s[24:27], 0 offset:340 ; 4-byte Folded Reload
	v_ashrrev_i32_e32 v94, 31, v93
	v_lshlrev_b64 v[94:95], 2, v[93:94]
	s_waitcnt vmcnt(1)
	v_add_co_u32_e32 v94, vcc, v85, v94
	s_waitcnt vmcnt(0)
	v_addc_co_u32_e32 v95, vcc, v86, v95, vcc
	global_load_dword v0, v[94:95], off
	global_load_dword v92, v[85:86], off offset:108
	s_waitcnt vmcnt(1)
	global_store_dword v[85:86], v0, off offset:108
	v_mov_b32_e32 v85, v106
	v_mov_b32_e32 v86, v107
	v_mov_b32_e32 v87, v108
	v_mov_b32_e32 v88, v109
	s_waitcnt vmcnt(1)
	global_store_dword v[94:95], v92, off
.LBB92_581:
	s_or_b64 exec, exec, s[20:21]
	v_mov_b32_e32 v92, v93
	v_mov_b32_e32 v0, v93
.LBB92_582:
	s_or_b64 exec, exec, s[18:19]
.LBB92_583:
	s_andn2_saveexec_b64 s[0:1], s[0:1]
	s_cbranch_execz .LBB92_585
; %bb.584:
	v_mov_b32_e32 v92, 27
	ds_write2_b64 v90, v[69:70], v[71:72] offset0:56 offset1:57
	ds_write2_b64 v90, v[65:66], v[67:68] offset0:58 offset1:59
	;; [unrolled: 1-line block ×19, first 2 shown]
.LBB92_585:
	s_or_b64 exec, exec, s[0:1]
	v_cmp_lt_i32_e32 vcc, 27, v92
	s_waitcnt vmcnt(0) lgkmcnt(0)
	s_barrier
	s_and_saveexec_b64 s[0:1], vcc
	s_cbranch_execz .LBB92_587
; %bb.586:
	v_mul_f64 v[93:94], v[119:120], v[75:76]
	v_mul_f64 v[75:76], v[117:118], v[75:76]
	ds_read2_b64 v[95:98], v90 offset0:56 offset1:57
	v_fma_f64 v[93:94], v[117:118], v[73:74], -v[93:94]
	v_fma_f64 v[75:76], v[119:120], v[73:74], v[75:76]
	s_waitcnt lgkmcnt(0)
	v_mul_f64 v[73:74], v[97:98], v[75:76]
	v_fma_f64 v[73:74], v[95:96], v[93:94], -v[73:74]
	v_mul_f64 v[95:96], v[95:96], v[75:76]
	v_add_f64 v[69:70], v[69:70], -v[73:74]
	v_fma_f64 v[95:96], v[97:98], v[93:94], v[95:96]
	v_add_f64 v[71:72], v[71:72], -v[95:96]
	ds_read2_b64 v[95:98], v90 offset0:58 offset1:59
	s_waitcnt lgkmcnt(0)
	v_mul_f64 v[73:74], v[97:98], v[75:76]
	v_fma_f64 v[73:74], v[95:96], v[93:94], -v[73:74]
	v_mul_f64 v[95:96], v[95:96], v[75:76]
	v_add_f64 v[65:66], v[65:66], -v[73:74]
	v_fma_f64 v[95:96], v[97:98], v[93:94], v[95:96]
	v_add_f64 v[67:68], v[67:68], -v[95:96]
	ds_read2_b64 v[95:98], v90 offset0:60 offset1:61
	;; [unrolled: 8-line block ×18, first 2 shown]
	s_waitcnt lgkmcnt(0)
	v_mul_f64 v[73:74], v[97:98], v[75:76]
	v_fma_f64 v[73:74], v[95:96], v[93:94], -v[73:74]
	v_mul_f64 v[95:96], v[95:96], v[75:76]
	v_add_f64 v[121:122], v[121:122], -v[73:74]
	v_fma_f64 v[95:96], v[97:98], v[93:94], v[95:96]
	v_mov_b32_e32 v73, v93
	v_mov_b32_e32 v74, v94
	v_add_f64 v[123:124], v[123:124], -v[95:96]
.LBB92_587:
	s_or_b64 exec, exec, s[0:1]
	v_lshl_add_u32 v93, v92, 4, v90
	s_barrier
	ds_write2_b64 v93, v[69:70], v[71:72] offset1:1
	s_waitcnt lgkmcnt(0)
	s_barrier
	ds_read2_b64 v[117:120], v90 offset0:56 offset1:57
	s_cmp_lt_i32 s3, 30
	v_mov_b32_e32 v93, 28
	s_cbranch_scc1 .LBB92_590
; %bb.588:
	v_add_u32_e32 v94, 0x1d0, v90
	s_mov_b32 s0, 29
	v_mov_b32_e32 v93, 28
.LBB92_589:                             ; =>This Inner Loop Header: Depth=1
	s_waitcnt lgkmcnt(0)
	v_cmp_gt_f64_e32 vcc, 0, v[117:118]
	v_xor_b32_e32 v99, 0x80000000, v118
	ds_read2_b64 v[95:98], v94 offset1:1
	v_xor_b32_e32 v101, 0x80000000, v120
	v_add_u32_e32 v94, 16, v94
	s_waitcnt lgkmcnt(0)
	v_xor_b32_e32 v103, 0x80000000, v98
	v_cndmask_b32_e32 v100, v118, v99, vcc
	v_cmp_gt_f64_e32 vcc, 0, v[119:120]
	v_mov_b32_e32 v99, v117
	v_cndmask_b32_e32 v102, v120, v101, vcc
	v_cmp_gt_f64_e32 vcc, 0, v[95:96]
	v_mov_b32_e32 v101, v119
	v_add_f64 v[99:100], v[99:100], v[101:102]
	v_xor_b32_e32 v101, 0x80000000, v96
	v_cndmask_b32_e32 v102, v96, v101, vcc
	v_cmp_gt_f64_e32 vcc, 0, v[97:98]
	v_mov_b32_e32 v101, v95
	v_cndmask_b32_e32 v104, v98, v103, vcc
	v_mov_b32_e32 v103, v97
	v_add_f64 v[101:102], v[101:102], v[103:104]
	v_cmp_lt_f64_e32 vcc, v[99:100], v[101:102]
	v_cndmask_b32_e32 v117, v117, v95, vcc
	v_mov_b32_e32 v95, s0
	s_add_i32 s0, s0, 1
	v_cndmask_b32_e32 v118, v118, v96, vcc
	v_cndmask_b32_e32 v120, v120, v98, vcc
	;; [unrolled: 1-line block ×4, first 2 shown]
	s_cmp_lg_u32 s3, s0
	s_cbranch_scc1 .LBB92_589
.LBB92_590:
	s_waitcnt lgkmcnt(0)
	v_cmp_eq_f64_e32 vcc, 0, v[117:118]
	v_cmp_eq_f64_e64 s[0:1], 0, v[119:120]
	s_and_b64 s[0:1], vcc, s[0:1]
	s_and_saveexec_b64 s[18:19], s[0:1]
	s_xor_b64 s[0:1], exec, s[18:19]
; %bb.591:
	v_cmp_ne_u32_e32 vcc, 0, v91
	v_cndmask_b32_e32 v91, 29, v91, vcc
; %bb.592:
	s_andn2_saveexec_b64 s[0:1], s[0:1]
	s_cbranch_execz .LBB92_598
; %bb.593:
	v_cmp_ngt_f64_e64 s[18:19], |v[117:118]|, |v[119:120]|
	s_and_saveexec_b64 s[20:21], s[18:19]
	s_xor_b64 s[18:19], exec, s[20:21]
	s_cbranch_execz .LBB92_595
; %bb.594:
	v_div_scale_f64 v[94:95], s[20:21], v[119:120], v[119:120], v[117:118]
	v_rcp_f64_e32 v[96:97], v[94:95]
	v_fma_f64 v[98:99], -v[94:95], v[96:97], 1.0
	v_fma_f64 v[96:97], v[96:97], v[98:99], v[96:97]
	v_div_scale_f64 v[98:99], vcc, v[117:118], v[119:120], v[117:118]
	v_fma_f64 v[100:101], -v[94:95], v[96:97], 1.0
	v_fma_f64 v[96:97], v[96:97], v[100:101], v[96:97]
	v_mul_f64 v[100:101], v[98:99], v[96:97]
	v_fma_f64 v[94:95], -v[94:95], v[100:101], v[98:99]
	v_div_fmas_f64 v[94:95], v[94:95], v[96:97], v[100:101]
	v_div_fixup_f64 v[94:95], v[94:95], v[119:120], v[117:118]
	v_fma_f64 v[96:97], v[117:118], v[94:95], v[119:120]
	v_div_scale_f64 v[98:99], s[20:21], v[96:97], v[96:97], 1.0
	v_div_scale_f64 v[104:105], vcc, 1.0, v[96:97], 1.0
	v_rcp_f64_e32 v[100:101], v[98:99]
	v_fma_f64 v[102:103], -v[98:99], v[100:101], 1.0
	v_fma_f64 v[100:101], v[100:101], v[102:103], v[100:101]
	v_fma_f64 v[102:103], -v[98:99], v[100:101], 1.0
	v_fma_f64 v[100:101], v[100:101], v[102:103], v[100:101]
	v_mul_f64 v[102:103], v[104:105], v[100:101]
	v_fma_f64 v[98:99], -v[98:99], v[102:103], v[104:105]
	v_div_fmas_f64 v[98:99], v[98:99], v[100:101], v[102:103]
	v_div_fixup_f64 v[119:120], v[98:99], v[96:97], 1.0
	v_mul_f64 v[117:118], v[94:95], v[119:120]
	v_xor_b32_e32 v120, 0x80000000, v120
.LBB92_595:
	s_andn2_saveexec_b64 s[18:19], s[18:19]
	s_cbranch_execz .LBB92_597
; %bb.596:
	v_div_scale_f64 v[94:95], s[20:21], v[117:118], v[117:118], v[119:120]
	v_rcp_f64_e32 v[96:97], v[94:95]
	v_fma_f64 v[98:99], -v[94:95], v[96:97], 1.0
	v_fma_f64 v[96:97], v[96:97], v[98:99], v[96:97]
	v_div_scale_f64 v[98:99], vcc, v[119:120], v[117:118], v[119:120]
	v_fma_f64 v[100:101], -v[94:95], v[96:97], 1.0
	v_fma_f64 v[96:97], v[96:97], v[100:101], v[96:97]
	v_mul_f64 v[100:101], v[98:99], v[96:97]
	v_fma_f64 v[94:95], -v[94:95], v[100:101], v[98:99]
	v_div_fmas_f64 v[94:95], v[94:95], v[96:97], v[100:101]
	v_div_fixup_f64 v[94:95], v[94:95], v[117:118], v[119:120]
	v_fma_f64 v[96:97], v[119:120], v[94:95], v[117:118]
	v_div_scale_f64 v[98:99], s[20:21], v[96:97], v[96:97], 1.0
	v_div_scale_f64 v[104:105], vcc, 1.0, v[96:97], 1.0
	v_rcp_f64_e32 v[100:101], v[98:99]
	v_fma_f64 v[102:103], -v[98:99], v[100:101], 1.0
	v_fma_f64 v[100:101], v[100:101], v[102:103], v[100:101]
	v_fma_f64 v[102:103], -v[98:99], v[100:101], 1.0
	v_fma_f64 v[100:101], v[100:101], v[102:103], v[100:101]
	v_mul_f64 v[102:103], v[104:105], v[100:101]
	v_fma_f64 v[98:99], -v[98:99], v[102:103], v[104:105]
	v_div_fmas_f64 v[98:99], v[98:99], v[100:101], v[102:103]
	v_div_fixup_f64 v[117:118], v[98:99], v[96:97], 1.0
	v_mul_f64 v[119:120], v[94:95], -v[117:118]
.LBB92_597:
	s_or_b64 exec, exec, s[18:19]
.LBB92_598:
	s_or_b64 exec, exec, s[0:1]
	v_cmp_ne_u32_e32 vcc, v92, v93
	s_and_saveexec_b64 s[0:1], vcc
	s_xor_b64 s[0:1], exec, s[0:1]
	s_cbranch_execz .LBB92_604
; %bb.599:
	v_cmp_eq_u32_e32 vcc, 28, v92
	s_and_saveexec_b64 s[18:19], vcc
	s_cbranch_execz .LBB92_603
; %bb.600:
	v_cmp_ne_u32_e32 vcc, 28, v93
	s_xor_b64 s[20:21], s[6:7], -1
	s_and_b64 s[22:23], s[20:21], vcc
	s_and_saveexec_b64 s[20:21], s[22:23]
	s_cbranch_execz .LBB92_602
; %bb.601:
	buffer_load_dword v85, off, s[24:27], 0 offset:336 ; 4-byte Folded Reload
	buffer_load_dword v86, off, s[24:27], 0 offset:340 ; 4-byte Folded Reload
	v_ashrrev_i32_e32 v94, 31, v93
	v_lshlrev_b64 v[94:95], 2, v[93:94]
	s_waitcnt vmcnt(1)
	v_add_co_u32_e32 v94, vcc, v85, v94
	s_waitcnt vmcnt(0)
	v_addc_co_u32_e32 v95, vcc, v86, v95, vcc
	global_load_dword v0, v[94:95], off
	global_load_dword v92, v[85:86], off offset:112
	s_waitcnt vmcnt(1)
	global_store_dword v[85:86], v0, off offset:112
	v_mov_b32_e32 v85, v106
	v_mov_b32_e32 v86, v107
	;; [unrolled: 1-line block ×4, first 2 shown]
	s_waitcnt vmcnt(1)
	global_store_dword v[94:95], v92, off
.LBB92_602:
	s_or_b64 exec, exec, s[20:21]
	v_mov_b32_e32 v92, v93
	v_mov_b32_e32 v0, v93
.LBB92_603:
	s_or_b64 exec, exec, s[18:19]
.LBB92_604:
	s_andn2_saveexec_b64 s[0:1], s[0:1]
	s_cbranch_execz .LBB92_606
; %bb.605:
	v_mov_b32_e32 v92, 28
	ds_write2_b64 v90, v[65:66], v[67:68] offset0:58 offset1:59
	ds_write2_b64 v90, v[61:62], v[63:64] offset0:60 offset1:61
	;; [unrolled: 1-line block ×18, first 2 shown]
.LBB92_606:
	s_or_b64 exec, exec, s[0:1]
	v_cmp_lt_i32_e32 vcc, 28, v92
	s_waitcnt vmcnt(0) lgkmcnt(0)
	s_barrier
	s_and_saveexec_b64 s[0:1], vcc
	s_cbranch_execz .LBB92_608
; %bb.607:
	v_mul_f64 v[93:94], v[119:120], v[71:72]
	v_mul_f64 v[71:72], v[117:118], v[71:72]
	ds_read2_b64 v[95:98], v90 offset0:58 offset1:59
	v_fma_f64 v[93:94], v[117:118], v[69:70], -v[93:94]
	v_fma_f64 v[71:72], v[119:120], v[69:70], v[71:72]
	s_waitcnt lgkmcnt(0)
	v_mul_f64 v[69:70], v[97:98], v[71:72]
	v_fma_f64 v[69:70], v[95:96], v[93:94], -v[69:70]
	v_mul_f64 v[95:96], v[95:96], v[71:72]
	v_add_f64 v[65:66], v[65:66], -v[69:70]
	v_fma_f64 v[95:96], v[97:98], v[93:94], v[95:96]
	v_add_f64 v[67:68], v[67:68], -v[95:96]
	ds_read2_b64 v[95:98], v90 offset0:60 offset1:61
	s_waitcnt lgkmcnt(0)
	v_mul_f64 v[69:70], v[97:98], v[71:72]
	v_fma_f64 v[69:70], v[95:96], v[93:94], -v[69:70]
	v_mul_f64 v[95:96], v[95:96], v[71:72]
	v_add_f64 v[61:62], v[61:62], -v[69:70]
	v_fma_f64 v[95:96], v[97:98], v[93:94], v[95:96]
	v_add_f64 v[63:64], v[63:64], -v[95:96]
	ds_read2_b64 v[95:98], v90 offset0:62 offset1:63
	;; [unrolled: 8-line block ×17, first 2 shown]
	s_waitcnt lgkmcnt(0)
	v_mul_f64 v[69:70], v[97:98], v[71:72]
	v_fma_f64 v[69:70], v[95:96], v[93:94], -v[69:70]
	v_mul_f64 v[95:96], v[95:96], v[71:72]
	v_add_f64 v[121:122], v[121:122], -v[69:70]
	v_fma_f64 v[95:96], v[97:98], v[93:94], v[95:96]
	v_mov_b32_e32 v69, v93
	v_mov_b32_e32 v70, v94
	v_add_f64 v[123:124], v[123:124], -v[95:96]
.LBB92_608:
	s_or_b64 exec, exec, s[0:1]
	v_lshl_add_u32 v93, v92, 4, v90
	s_barrier
	ds_write2_b64 v93, v[65:66], v[67:68] offset1:1
	s_waitcnt lgkmcnt(0)
	s_barrier
	ds_read2_b64 v[117:120], v90 offset0:58 offset1:59
	s_cmp_lt_i32 s3, 31
	v_mov_b32_e32 v93, 29
	s_cbranch_scc1 .LBB92_611
; %bb.609:
	v_add_u32_e32 v94, 0x1e0, v90
	s_mov_b32 s0, 30
	v_mov_b32_e32 v93, 29
.LBB92_610:                             ; =>This Inner Loop Header: Depth=1
	s_waitcnt lgkmcnt(0)
	v_cmp_gt_f64_e32 vcc, 0, v[117:118]
	v_xor_b32_e32 v99, 0x80000000, v118
	ds_read2_b64 v[95:98], v94 offset1:1
	v_xor_b32_e32 v101, 0x80000000, v120
	v_add_u32_e32 v94, 16, v94
	s_waitcnt lgkmcnt(0)
	v_xor_b32_e32 v103, 0x80000000, v98
	v_cndmask_b32_e32 v100, v118, v99, vcc
	v_cmp_gt_f64_e32 vcc, 0, v[119:120]
	v_mov_b32_e32 v99, v117
	v_cndmask_b32_e32 v102, v120, v101, vcc
	v_cmp_gt_f64_e32 vcc, 0, v[95:96]
	v_mov_b32_e32 v101, v119
	v_add_f64 v[99:100], v[99:100], v[101:102]
	v_xor_b32_e32 v101, 0x80000000, v96
	v_cndmask_b32_e32 v102, v96, v101, vcc
	v_cmp_gt_f64_e32 vcc, 0, v[97:98]
	v_mov_b32_e32 v101, v95
	v_cndmask_b32_e32 v104, v98, v103, vcc
	v_mov_b32_e32 v103, v97
	v_add_f64 v[101:102], v[101:102], v[103:104]
	v_cmp_lt_f64_e32 vcc, v[99:100], v[101:102]
	v_cndmask_b32_e32 v117, v117, v95, vcc
	v_mov_b32_e32 v95, s0
	s_add_i32 s0, s0, 1
	v_cndmask_b32_e32 v118, v118, v96, vcc
	v_cndmask_b32_e32 v120, v120, v98, vcc
	;; [unrolled: 1-line block ×4, first 2 shown]
	s_cmp_lg_u32 s3, s0
	s_cbranch_scc1 .LBB92_610
.LBB92_611:
	s_waitcnt lgkmcnt(0)
	v_cmp_eq_f64_e32 vcc, 0, v[117:118]
	v_cmp_eq_f64_e64 s[0:1], 0, v[119:120]
	s_and_b64 s[0:1], vcc, s[0:1]
	s_and_saveexec_b64 s[18:19], s[0:1]
	s_xor_b64 s[0:1], exec, s[18:19]
; %bb.612:
	v_cmp_ne_u32_e32 vcc, 0, v91
	v_cndmask_b32_e32 v91, 30, v91, vcc
; %bb.613:
	s_andn2_saveexec_b64 s[0:1], s[0:1]
	s_cbranch_execz .LBB92_619
; %bb.614:
	v_cmp_ngt_f64_e64 s[18:19], |v[117:118]|, |v[119:120]|
	s_and_saveexec_b64 s[20:21], s[18:19]
	s_xor_b64 s[18:19], exec, s[20:21]
	s_cbranch_execz .LBB92_616
; %bb.615:
	v_div_scale_f64 v[94:95], s[20:21], v[119:120], v[119:120], v[117:118]
	v_rcp_f64_e32 v[96:97], v[94:95]
	v_fma_f64 v[98:99], -v[94:95], v[96:97], 1.0
	v_fma_f64 v[96:97], v[96:97], v[98:99], v[96:97]
	v_div_scale_f64 v[98:99], vcc, v[117:118], v[119:120], v[117:118]
	v_fma_f64 v[100:101], -v[94:95], v[96:97], 1.0
	v_fma_f64 v[96:97], v[96:97], v[100:101], v[96:97]
	v_mul_f64 v[100:101], v[98:99], v[96:97]
	v_fma_f64 v[94:95], -v[94:95], v[100:101], v[98:99]
	v_div_fmas_f64 v[94:95], v[94:95], v[96:97], v[100:101]
	v_div_fixup_f64 v[94:95], v[94:95], v[119:120], v[117:118]
	v_fma_f64 v[96:97], v[117:118], v[94:95], v[119:120]
	v_div_scale_f64 v[98:99], s[20:21], v[96:97], v[96:97], 1.0
	v_div_scale_f64 v[104:105], vcc, 1.0, v[96:97], 1.0
	v_rcp_f64_e32 v[100:101], v[98:99]
	v_fma_f64 v[102:103], -v[98:99], v[100:101], 1.0
	v_fma_f64 v[100:101], v[100:101], v[102:103], v[100:101]
	v_fma_f64 v[102:103], -v[98:99], v[100:101], 1.0
	v_fma_f64 v[100:101], v[100:101], v[102:103], v[100:101]
	v_mul_f64 v[102:103], v[104:105], v[100:101]
	v_fma_f64 v[98:99], -v[98:99], v[102:103], v[104:105]
	v_div_fmas_f64 v[98:99], v[98:99], v[100:101], v[102:103]
	v_div_fixup_f64 v[119:120], v[98:99], v[96:97], 1.0
	v_mul_f64 v[117:118], v[94:95], v[119:120]
	v_xor_b32_e32 v120, 0x80000000, v120
.LBB92_616:
	s_andn2_saveexec_b64 s[18:19], s[18:19]
	s_cbranch_execz .LBB92_618
; %bb.617:
	v_div_scale_f64 v[94:95], s[20:21], v[117:118], v[117:118], v[119:120]
	v_rcp_f64_e32 v[96:97], v[94:95]
	v_fma_f64 v[98:99], -v[94:95], v[96:97], 1.0
	v_fma_f64 v[96:97], v[96:97], v[98:99], v[96:97]
	v_div_scale_f64 v[98:99], vcc, v[119:120], v[117:118], v[119:120]
	v_fma_f64 v[100:101], -v[94:95], v[96:97], 1.0
	v_fma_f64 v[96:97], v[96:97], v[100:101], v[96:97]
	v_mul_f64 v[100:101], v[98:99], v[96:97]
	v_fma_f64 v[94:95], -v[94:95], v[100:101], v[98:99]
	v_div_fmas_f64 v[94:95], v[94:95], v[96:97], v[100:101]
	v_div_fixup_f64 v[94:95], v[94:95], v[117:118], v[119:120]
	v_fma_f64 v[96:97], v[119:120], v[94:95], v[117:118]
	v_div_scale_f64 v[98:99], s[20:21], v[96:97], v[96:97], 1.0
	v_div_scale_f64 v[104:105], vcc, 1.0, v[96:97], 1.0
	v_rcp_f64_e32 v[100:101], v[98:99]
	v_fma_f64 v[102:103], -v[98:99], v[100:101], 1.0
	v_fma_f64 v[100:101], v[100:101], v[102:103], v[100:101]
	v_fma_f64 v[102:103], -v[98:99], v[100:101], 1.0
	v_fma_f64 v[100:101], v[100:101], v[102:103], v[100:101]
	v_mul_f64 v[102:103], v[104:105], v[100:101]
	v_fma_f64 v[98:99], -v[98:99], v[102:103], v[104:105]
	v_div_fmas_f64 v[98:99], v[98:99], v[100:101], v[102:103]
	v_div_fixup_f64 v[117:118], v[98:99], v[96:97], 1.0
	v_mul_f64 v[119:120], v[94:95], -v[117:118]
.LBB92_618:
	s_or_b64 exec, exec, s[18:19]
.LBB92_619:
	s_or_b64 exec, exec, s[0:1]
	v_cmp_ne_u32_e32 vcc, v92, v93
	s_and_saveexec_b64 s[0:1], vcc
	s_xor_b64 s[0:1], exec, s[0:1]
	s_cbranch_execz .LBB92_625
; %bb.620:
	v_cmp_eq_u32_e32 vcc, 29, v92
	s_and_saveexec_b64 s[18:19], vcc
	s_cbranch_execz .LBB92_624
; %bb.621:
	v_cmp_ne_u32_e32 vcc, 29, v93
	s_xor_b64 s[20:21], s[6:7], -1
	s_and_b64 s[22:23], s[20:21], vcc
	s_and_saveexec_b64 s[20:21], s[22:23]
	s_cbranch_execz .LBB92_623
; %bb.622:
	buffer_load_dword v85, off, s[24:27], 0 offset:336 ; 4-byte Folded Reload
	buffer_load_dword v86, off, s[24:27], 0 offset:340 ; 4-byte Folded Reload
	v_ashrrev_i32_e32 v94, 31, v93
	v_lshlrev_b64 v[94:95], 2, v[93:94]
	s_waitcnt vmcnt(1)
	v_add_co_u32_e32 v94, vcc, v85, v94
	s_waitcnt vmcnt(0)
	v_addc_co_u32_e32 v95, vcc, v86, v95, vcc
	global_load_dword v0, v[94:95], off
	global_load_dword v92, v[85:86], off offset:116
	s_waitcnt vmcnt(1)
	global_store_dword v[85:86], v0, off offset:116
	v_mov_b32_e32 v85, v106
	v_mov_b32_e32 v86, v107
	;; [unrolled: 1-line block ×4, first 2 shown]
	s_waitcnt vmcnt(1)
	global_store_dword v[94:95], v92, off
.LBB92_623:
	s_or_b64 exec, exec, s[20:21]
	v_mov_b32_e32 v92, v93
	v_mov_b32_e32 v0, v93
.LBB92_624:
	s_or_b64 exec, exec, s[18:19]
.LBB92_625:
	s_andn2_saveexec_b64 s[0:1], s[0:1]
	s_cbranch_execz .LBB92_627
; %bb.626:
	v_mov_b32_e32 v92, 29
	ds_write2_b64 v90, v[61:62], v[63:64] offset0:60 offset1:61
	ds_write2_b64 v90, v[57:58], v[59:60] offset0:62 offset1:63
	;; [unrolled: 1-line block ×17, first 2 shown]
.LBB92_627:
	s_or_b64 exec, exec, s[0:1]
	v_cmp_lt_i32_e32 vcc, 29, v92
	s_waitcnt vmcnt(0) lgkmcnt(0)
	s_barrier
	s_and_saveexec_b64 s[0:1], vcc
	s_cbranch_execz .LBB92_629
; %bb.628:
	v_mul_f64 v[93:94], v[119:120], v[67:68]
	v_mul_f64 v[67:68], v[117:118], v[67:68]
	ds_read2_b64 v[95:98], v90 offset0:60 offset1:61
	v_fma_f64 v[93:94], v[117:118], v[65:66], -v[93:94]
	v_fma_f64 v[67:68], v[119:120], v[65:66], v[67:68]
	s_waitcnt lgkmcnt(0)
	v_mul_f64 v[65:66], v[97:98], v[67:68]
	v_fma_f64 v[65:66], v[95:96], v[93:94], -v[65:66]
	v_mul_f64 v[95:96], v[95:96], v[67:68]
	v_add_f64 v[61:62], v[61:62], -v[65:66]
	v_fma_f64 v[95:96], v[97:98], v[93:94], v[95:96]
	v_add_f64 v[63:64], v[63:64], -v[95:96]
	ds_read2_b64 v[95:98], v90 offset0:62 offset1:63
	s_waitcnt lgkmcnt(0)
	v_mul_f64 v[65:66], v[97:98], v[67:68]
	v_fma_f64 v[65:66], v[95:96], v[93:94], -v[65:66]
	v_mul_f64 v[95:96], v[95:96], v[67:68]
	v_add_f64 v[57:58], v[57:58], -v[65:66]
	v_fma_f64 v[95:96], v[97:98], v[93:94], v[95:96]
	v_add_f64 v[59:60], v[59:60], -v[95:96]
	ds_read2_b64 v[95:98], v90 offset0:64 offset1:65
	s_waitcnt lgkmcnt(0)
	v_mul_f64 v[65:66], v[97:98], v[67:68]
	v_fma_f64 v[65:66], v[95:96], v[93:94], -v[65:66]
	v_mul_f64 v[95:96], v[95:96], v[67:68]
	v_add_f64 v[53:54], v[53:54], -v[65:66]
	v_fma_f64 v[95:96], v[97:98], v[93:94], v[95:96]
	v_add_f64 v[55:56], v[55:56], -v[95:96]
	ds_read2_b64 v[95:98], v90 offset0:66 offset1:67
	s_waitcnt lgkmcnt(0)
	v_mul_f64 v[65:66], v[97:98], v[67:68]
	v_fma_f64 v[65:66], v[95:96], v[93:94], -v[65:66]
	v_mul_f64 v[95:96], v[95:96], v[67:68]
	v_add_f64 v[49:50], v[49:50], -v[65:66]
	v_fma_f64 v[95:96], v[97:98], v[93:94], v[95:96]
	v_add_f64 v[51:52], v[51:52], -v[95:96]
	ds_read2_b64 v[95:98], v90 offset0:68 offset1:69
	s_waitcnt lgkmcnt(0)
	v_mul_f64 v[65:66], v[97:98], v[67:68]
	v_fma_f64 v[65:66], v[95:96], v[93:94], -v[65:66]
	v_mul_f64 v[95:96], v[95:96], v[67:68]
	v_add_f64 v[45:46], v[45:46], -v[65:66]
	v_fma_f64 v[95:96], v[97:98], v[93:94], v[95:96]
	v_add_f64 v[47:48], v[47:48], -v[95:96]
	ds_read2_b64 v[95:98], v90 offset0:70 offset1:71
	s_waitcnt lgkmcnt(0)
	v_mul_f64 v[65:66], v[97:98], v[67:68]
	v_fma_f64 v[65:66], v[95:96], v[93:94], -v[65:66]
	v_mul_f64 v[95:96], v[95:96], v[67:68]
	v_add_f64 v[41:42], v[41:42], -v[65:66]
	v_fma_f64 v[95:96], v[97:98], v[93:94], v[95:96]
	v_add_f64 v[43:44], v[43:44], -v[95:96]
	ds_read2_b64 v[95:98], v90 offset0:72 offset1:73
	s_waitcnt lgkmcnt(0)
	v_mul_f64 v[65:66], v[97:98], v[67:68]
	v_fma_f64 v[65:66], v[95:96], v[93:94], -v[65:66]
	v_mul_f64 v[95:96], v[95:96], v[67:68]
	v_add_f64 v[37:38], v[37:38], -v[65:66]
	v_fma_f64 v[95:96], v[97:98], v[93:94], v[95:96]
	v_add_f64 v[39:40], v[39:40], -v[95:96]
	ds_read2_b64 v[95:98], v90 offset0:74 offset1:75
	s_waitcnt lgkmcnt(0)
	v_mul_f64 v[65:66], v[97:98], v[67:68]
	v_fma_f64 v[65:66], v[95:96], v[93:94], -v[65:66]
	v_mul_f64 v[95:96], v[95:96], v[67:68]
	v_add_f64 v[33:34], v[33:34], -v[65:66]
	v_fma_f64 v[95:96], v[97:98], v[93:94], v[95:96]
	v_add_f64 v[35:36], v[35:36], -v[95:96]
	ds_read2_b64 v[95:98], v90 offset0:76 offset1:77
	s_waitcnt lgkmcnt(0)
	v_mul_f64 v[65:66], v[97:98], v[67:68]
	v_fma_f64 v[65:66], v[95:96], v[93:94], -v[65:66]
	v_mul_f64 v[95:96], v[95:96], v[67:68]
	v_add_f64 v[29:30], v[29:30], -v[65:66]
	v_fma_f64 v[95:96], v[97:98], v[93:94], v[95:96]
	v_add_f64 v[31:32], v[31:32], -v[95:96]
	ds_read2_b64 v[95:98], v90 offset0:78 offset1:79
	s_waitcnt lgkmcnt(0)
	v_mul_f64 v[65:66], v[97:98], v[67:68]
	v_fma_f64 v[65:66], v[95:96], v[93:94], -v[65:66]
	v_mul_f64 v[95:96], v[95:96], v[67:68]
	v_add_f64 v[25:26], v[25:26], -v[65:66]
	v_fma_f64 v[95:96], v[97:98], v[93:94], v[95:96]
	v_add_f64 v[27:28], v[27:28], -v[95:96]
	ds_read2_b64 v[95:98], v90 offset0:80 offset1:81
	s_waitcnt lgkmcnt(0)
	v_mul_f64 v[65:66], v[97:98], v[67:68]
	v_fma_f64 v[65:66], v[95:96], v[93:94], -v[65:66]
	v_mul_f64 v[95:96], v[95:96], v[67:68]
	v_add_f64 v[21:22], v[21:22], -v[65:66]
	v_fma_f64 v[95:96], v[97:98], v[93:94], v[95:96]
	v_add_f64 v[23:24], v[23:24], -v[95:96]
	ds_read2_b64 v[95:98], v90 offset0:82 offset1:83
	s_waitcnt lgkmcnt(0)
	v_mul_f64 v[65:66], v[97:98], v[67:68]
	v_fma_f64 v[65:66], v[95:96], v[93:94], -v[65:66]
	v_mul_f64 v[95:96], v[95:96], v[67:68]
	v_add_f64 v[17:18], v[17:18], -v[65:66]
	v_fma_f64 v[95:96], v[97:98], v[93:94], v[95:96]
	v_add_f64 v[19:20], v[19:20], -v[95:96]
	ds_read2_b64 v[95:98], v90 offset0:84 offset1:85
	s_waitcnt lgkmcnt(0)
	v_mul_f64 v[65:66], v[97:98], v[67:68]
	v_fma_f64 v[65:66], v[95:96], v[93:94], -v[65:66]
	v_mul_f64 v[95:96], v[95:96], v[67:68]
	v_add_f64 v[13:14], v[13:14], -v[65:66]
	v_fma_f64 v[95:96], v[97:98], v[93:94], v[95:96]
	v_add_f64 v[15:16], v[15:16], -v[95:96]
	ds_read2_b64 v[95:98], v90 offset0:86 offset1:87
	s_waitcnt lgkmcnt(0)
	v_mul_f64 v[65:66], v[97:98], v[67:68]
	v_fma_f64 v[65:66], v[95:96], v[93:94], -v[65:66]
	v_mul_f64 v[95:96], v[95:96], v[67:68]
	v_add_f64 v[9:10], v[9:10], -v[65:66]
	v_fma_f64 v[95:96], v[97:98], v[93:94], v[95:96]
	v_add_f64 v[11:12], v[11:12], -v[95:96]
	ds_read2_b64 v[95:98], v90 offset0:88 offset1:89
	s_waitcnt lgkmcnt(0)
	v_mul_f64 v[65:66], v[97:98], v[67:68]
	v_fma_f64 v[65:66], v[95:96], v[93:94], -v[65:66]
	v_mul_f64 v[95:96], v[95:96], v[67:68]
	v_add_f64 v[5:6], v[5:6], -v[65:66]
	v_fma_f64 v[95:96], v[97:98], v[93:94], v[95:96]
	v_add_f64 v[7:8], v[7:8], -v[95:96]
	ds_read2_b64 v[95:98], v90 offset0:90 offset1:91
	s_waitcnt lgkmcnt(0)
	v_mul_f64 v[65:66], v[97:98], v[67:68]
	v_fma_f64 v[65:66], v[95:96], v[93:94], -v[65:66]
	v_mul_f64 v[95:96], v[95:96], v[67:68]
	v_add_f64 v[1:2], v[1:2], -v[65:66]
	v_fma_f64 v[95:96], v[97:98], v[93:94], v[95:96]
	v_add_f64 v[3:4], v[3:4], -v[95:96]
	ds_read2_b64 v[95:98], v90 offset0:92 offset1:93
	s_waitcnt lgkmcnt(0)
	v_mul_f64 v[65:66], v[97:98], v[67:68]
	v_fma_f64 v[65:66], v[95:96], v[93:94], -v[65:66]
	v_mul_f64 v[95:96], v[95:96], v[67:68]
	v_add_f64 v[121:122], v[121:122], -v[65:66]
	v_fma_f64 v[95:96], v[97:98], v[93:94], v[95:96]
	v_mov_b32_e32 v65, v93
	v_mov_b32_e32 v66, v94
	v_add_f64 v[123:124], v[123:124], -v[95:96]
.LBB92_629:
	s_or_b64 exec, exec, s[0:1]
	v_lshl_add_u32 v93, v92, 4, v90
	s_barrier
	ds_write2_b64 v93, v[61:62], v[63:64] offset1:1
	s_waitcnt lgkmcnt(0)
	s_barrier
	ds_read2_b64 v[117:120], v90 offset0:60 offset1:61
	s_cmp_lt_i32 s3, 32
	v_mov_b32_e32 v93, 30
	s_cbranch_scc1 .LBB92_632
; %bb.630:
	v_add_u32_e32 v94, 0x1f0, v90
	s_mov_b32 s0, 31
	v_mov_b32_e32 v93, 30
.LBB92_631:                             ; =>This Inner Loop Header: Depth=1
	s_waitcnt lgkmcnt(0)
	v_cmp_gt_f64_e32 vcc, 0, v[117:118]
	v_xor_b32_e32 v99, 0x80000000, v118
	ds_read2_b64 v[95:98], v94 offset1:1
	v_xor_b32_e32 v101, 0x80000000, v120
	v_add_u32_e32 v94, 16, v94
	s_waitcnt lgkmcnt(0)
	v_xor_b32_e32 v103, 0x80000000, v98
	v_cndmask_b32_e32 v100, v118, v99, vcc
	v_cmp_gt_f64_e32 vcc, 0, v[119:120]
	v_mov_b32_e32 v99, v117
	v_cndmask_b32_e32 v102, v120, v101, vcc
	v_cmp_gt_f64_e32 vcc, 0, v[95:96]
	v_mov_b32_e32 v101, v119
	v_add_f64 v[99:100], v[99:100], v[101:102]
	v_xor_b32_e32 v101, 0x80000000, v96
	v_cndmask_b32_e32 v102, v96, v101, vcc
	v_cmp_gt_f64_e32 vcc, 0, v[97:98]
	v_mov_b32_e32 v101, v95
	v_cndmask_b32_e32 v104, v98, v103, vcc
	v_mov_b32_e32 v103, v97
	v_add_f64 v[101:102], v[101:102], v[103:104]
	v_cmp_lt_f64_e32 vcc, v[99:100], v[101:102]
	v_cndmask_b32_e32 v117, v117, v95, vcc
	v_mov_b32_e32 v95, s0
	s_add_i32 s0, s0, 1
	v_cndmask_b32_e32 v118, v118, v96, vcc
	v_cndmask_b32_e32 v120, v120, v98, vcc
	;; [unrolled: 1-line block ×4, first 2 shown]
	s_cmp_lg_u32 s3, s0
	s_cbranch_scc1 .LBB92_631
.LBB92_632:
	s_waitcnt lgkmcnt(0)
	v_cmp_eq_f64_e32 vcc, 0, v[117:118]
	v_cmp_eq_f64_e64 s[0:1], 0, v[119:120]
	s_and_b64 s[0:1], vcc, s[0:1]
	s_and_saveexec_b64 s[18:19], s[0:1]
	s_xor_b64 s[0:1], exec, s[18:19]
; %bb.633:
	v_cmp_ne_u32_e32 vcc, 0, v91
	v_cndmask_b32_e32 v91, 31, v91, vcc
; %bb.634:
	s_andn2_saveexec_b64 s[0:1], s[0:1]
	s_cbranch_execz .LBB92_640
; %bb.635:
	v_cmp_ngt_f64_e64 s[18:19], |v[117:118]|, |v[119:120]|
	s_and_saveexec_b64 s[20:21], s[18:19]
	s_xor_b64 s[18:19], exec, s[20:21]
	s_cbranch_execz .LBB92_637
; %bb.636:
	v_div_scale_f64 v[94:95], s[20:21], v[119:120], v[119:120], v[117:118]
	v_rcp_f64_e32 v[96:97], v[94:95]
	v_fma_f64 v[98:99], -v[94:95], v[96:97], 1.0
	v_fma_f64 v[96:97], v[96:97], v[98:99], v[96:97]
	v_div_scale_f64 v[98:99], vcc, v[117:118], v[119:120], v[117:118]
	v_fma_f64 v[100:101], -v[94:95], v[96:97], 1.0
	v_fma_f64 v[96:97], v[96:97], v[100:101], v[96:97]
	v_mul_f64 v[100:101], v[98:99], v[96:97]
	v_fma_f64 v[94:95], -v[94:95], v[100:101], v[98:99]
	v_div_fmas_f64 v[94:95], v[94:95], v[96:97], v[100:101]
	v_div_fixup_f64 v[94:95], v[94:95], v[119:120], v[117:118]
	v_fma_f64 v[96:97], v[117:118], v[94:95], v[119:120]
	v_div_scale_f64 v[98:99], s[20:21], v[96:97], v[96:97], 1.0
	v_div_scale_f64 v[104:105], vcc, 1.0, v[96:97], 1.0
	v_rcp_f64_e32 v[100:101], v[98:99]
	v_fma_f64 v[102:103], -v[98:99], v[100:101], 1.0
	v_fma_f64 v[100:101], v[100:101], v[102:103], v[100:101]
	v_fma_f64 v[102:103], -v[98:99], v[100:101], 1.0
	v_fma_f64 v[100:101], v[100:101], v[102:103], v[100:101]
	v_mul_f64 v[102:103], v[104:105], v[100:101]
	v_fma_f64 v[98:99], -v[98:99], v[102:103], v[104:105]
	v_div_fmas_f64 v[98:99], v[98:99], v[100:101], v[102:103]
	v_div_fixup_f64 v[119:120], v[98:99], v[96:97], 1.0
	v_mul_f64 v[117:118], v[94:95], v[119:120]
	v_xor_b32_e32 v120, 0x80000000, v120
.LBB92_637:
	s_andn2_saveexec_b64 s[18:19], s[18:19]
	s_cbranch_execz .LBB92_639
; %bb.638:
	v_div_scale_f64 v[94:95], s[20:21], v[117:118], v[117:118], v[119:120]
	v_rcp_f64_e32 v[96:97], v[94:95]
	v_fma_f64 v[98:99], -v[94:95], v[96:97], 1.0
	v_fma_f64 v[96:97], v[96:97], v[98:99], v[96:97]
	v_div_scale_f64 v[98:99], vcc, v[119:120], v[117:118], v[119:120]
	v_fma_f64 v[100:101], -v[94:95], v[96:97], 1.0
	v_fma_f64 v[96:97], v[96:97], v[100:101], v[96:97]
	v_mul_f64 v[100:101], v[98:99], v[96:97]
	v_fma_f64 v[94:95], -v[94:95], v[100:101], v[98:99]
	v_div_fmas_f64 v[94:95], v[94:95], v[96:97], v[100:101]
	v_div_fixup_f64 v[94:95], v[94:95], v[117:118], v[119:120]
	v_fma_f64 v[96:97], v[119:120], v[94:95], v[117:118]
	v_div_scale_f64 v[98:99], s[20:21], v[96:97], v[96:97], 1.0
	v_div_scale_f64 v[104:105], vcc, 1.0, v[96:97], 1.0
	v_rcp_f64_e32 v[100:101], v[98:99]
	v_fma_f64 v[102:103], -v[98:99], v[100:101], 1.0
	v_fma_f64 v[100:101], v[100:101], v[102:103], v[100:101]
	v_fma_f64 v[102:103], -v[98:99], v[100:101], 1.0
	v_fma_f64 v[100:101], v[100:101], v[102:103], v[100:101]
	v_mul_f64 v[102:103], v[104:105], v[100:101]
	v_fma_f64 v[98:99], -v[98:99], v[102:103], v[104:105]
	v_div_fmas_f64 v[98:99], v[98:99], v[100:101], v[102:103]
	v_div_fixup_f64 v[117:118], v[98:99], v[96:97], 1.0
	v_mul_f64 v[119:120], v[94:95], -v[117:118]
.LBB92_639:
	s_or_b64 exec, exec, s[18:19]
.LBB92_640:
	s_or_b64 exec, exec, s[0:1]
	v_cmp_ne_u32_e32 vcc, v92, v93
	s_and_saveexec_b64 s[0:1], vcc
	s_xor_b64 s[0:1], exec, s[0:1]
	s_cbranch_execz .LBB92_646
; %bb.641:
	v_cmp_eq_u32_e32 vcc, 30, v92
	s_and_saveexec_b64 s[18:19], vcc
	s_cbranch_execz .LBB92_645
; %bb.642:
	v_cmp_ne_u32_e32 vcc, 30, v93
	s_xor_b64 s[20:21], s[6:7], -1
	s_and_b64 s[22:23], s[20:21], vcc
	s_and_saveexec_b64 s[20:21], s[22:23]
	s_cbranch_execz .LBB92_644
; %bb.643:
	buffer_load_dword v85, off, s[24:27], 0 offset:336 ; 4-byte Folded Reload
	buffer_load_dword v86, off, s[24:27], 0 offset:340 ; 4-byte Folded Reload
	v_ashrrev_i32_e32 v94, 31, v93
	v_lshlrev_b64 v[94:95], 2, v[93:94]
	s_waitcnt vmcnt(1)
	v_add_co_u32_e32 v94, vcc, v85, v94
	s_waitcnt vmcnt(0)
	v_addc_co_u32_e32 v95, vcc, v86, v95, vcc
	global_load_dword v0, v[94:95], off
	global_load_dword v92, v[85:86], off offset:120
	s_waitcnt vmcnt(1)
	global_store_dword v[85:86], v0, off offset:120
	v_mov_b32_e32 v85, v106
	v_mov_b32_e32 v86, v107
	;; [unrolled: 1-line block ×4, first 2 shown]
	s_waitcnt vmcnt(1)
	global_store_dword v[94:95], v92, off
.LBB92_644:
	s_or_b64 exec, exec, s[20:21]
	v_mov_b32_e32 v92, v93
	v_mov_b32_e32 v0, v93
.LBB92_645:
	s_or_b64 exec, exec, s[18:19]
.LBB92_646:
	s_andn2_saveexec_b64 s[0:1], s[0:1]
	s_cbranch_execz .LBB92_648
; %bb.647:
	v_mov_b32_e32 v92, 30
	ds_write2_b64 v90, v[57:58], v[59:60] offset0:62 offset1:63
	ds_write2_b64 v90, v[53:54], v[55:56] offset0:64 offset1:65
	;; [unrolled: 1-line block ×16, first 2 shown]
.LBB92_648:
	s_or_b64 exec, exec, s[0:1]
	v_cmp_lt_i32_e32 vcc, 30, v92
	s_waitcnt vmcnt(0) lgkmcnt(0)
	s_barrier
	s_and_saveexec_b64 s[0:1], vcc
	s_cbranch_execz .LBB92_650
; %bb.649:
	v_mul_f64 v[93:94], v[117:118], v[63:64]
	v_mul_f64 v[63:64], v[119:120], v[63:64]
	ds_read2_b64 v[95:98], v90 offset0:62 offset1:63
	v_fma_f64 v[93:94], v[119:120], v[61:62], v[93:94]
	v_fma_f64 v[61:62], v[117:118], v[61:62], -v[63:64]
	s_waitcnt lgkmcnt(0)
	v_mul_f64 v[63:64], v[97:98], v[93:94]
	v_fma_f64 v[63:64], v[95:96], v[61:62], -v[63:64]
	v_mul_f64 v[95:96], v[95:96], v[93:94]
	v_add_f64 v[57:58], v[57:58], -v[63:64]
	v_fma_f64 v[95:96], v[97:98], v[61:62], v[95:96]
	v_add_f64 v[59:60], v[59:60], -v[95:96]
	ds_read2_b64 v[95:98], v90 offset0:64 offset1:65
	s_waitcnt lgkmcnt(0)
	v_mul_f64 v[63:64], v[97:98], v[93:94]
	v_fma_f64 v[63:64], v[95:96], v[61:62], -v[63:64]
	v_mul_f64 v[95:96], v[95:96], v[93:94]
	v_add_f64 v[53:54], v[53:54], -v[63:64]
	v_fma_f64 v[95:96], v[97:98], v[61:62], v[95:96]
	v_add_f64 v[55:56], v[55:56], -v[95:96]
	ds_read2_b64 v[95:98], v90 offset0:66 offset1:67
	;; [unrolled: 8-line block ×15, first 2 shown]
	s_waitcnt lgkmcnt(0)
	v_mul_f64 v[63:64], v[97:98], v[93:94]
	v_fma_f64 v[63:64], v[95:96], v[61:62], -v[63:64]
	v_mul_f64 v[95:96], v[95:96], v[93:94]
	v_add_f64 v[121:122], v[121:122], -v[63:64]
	v_fma_f64 v[95:96], v[97:98], v[61:62], v[95:96]
	v_mov_b32_e32 v63, v93
	v_mov_b32_e32 v64, v94
	v_add_f64 v[123:124], v[123:124], -v[95:96]
.LBB92_650:
	s_or_b64 exec, exec, s[0:1]
	v_lshl_add_u32 v93, v92, 4, v90
	s_barrier
	ds_write2_b64 v93, v[57:58], v[59:60] offset1:1
	s_waitcnt lgkmcnt(0)
	s_barrier
	ds_read2_b64 v[117:120], v90 offset0:62 offset1:63
	s_cmp_lt_i32 s3, 33
	v_mov_b32_e32 v93, 31
	s_cbranch_scc1 .LBB92_653
; %bb.651:
	v_add_u32_e32 v94, 0x200, v90
	s_mov_b32 s0, 32
	v_mov_b32_e32 v93, 31
.LBB92_652:                             ; =>This Inner Loop Header: Depth=1
	s_waitcnt lgkmcnt(0)
	v_cmp_gt_f64_e32 vcc, 0, v[117:118]
	v_xor_b32_e32 v99, 0x80000000, v118
	ds_read2_b64 v[95:98], v94 offset1:1
	v_xor_b32_e32 v101, 0x80000000, v120
	v_add_u32_e32 v94, 16, v94
	s_waitcnt lgkmcnt(0)
	v_xor_b32_e32 v103, 0x80000000, v98
	v_cndmask_b32_e32 v100, v118, v99, vcc
	v_cmp_gt_f64_e32 vcc, 0, v[119:120]
	v_mov_b32_e32 v99, v117
	v_cndmask_b32_e32 v102, v120, v101, vcc
	v_cmp_gt_f64_e32 vcc, 0, v[95:96]
	v_mov_b32_e32 v101, v119
	v_add_f64 v[99:100], v[99:100], v[101:102]
	v_xor_b32_e32 v101, 0x80000000, v96
	v_cndmask_b32_e32 v102, v96, v101, vcc
	v_cmp_gt_f64_e32 vcc, 0, v[97:98]
	v_mov_b32_e32 v101, v95
	v_cndmask_b32_e32 v104, v98, v103, vcc
	v_mov_b32_e32 v103, v97
	v_add_f64 v[101:102], v[101:102], v[103:104]
	v_cmp_lt_f64_e32 vcc, v[99:100], v[101:102]
	v_cndmask_b32_e32 v117, v117, v95, vcc
	v_mov_b32_e32 v95, s0
	s_add_i32 s0, s0, 1
	v_cndmask_b32_e32 v118, v118, v96, vcc
	v_cndmask_b32_e32 v120, v120, v98, vcc
	;; [unrolled: 1-line block ×4, first 2 shown]
	s_cmp_lg_u32 s3, s0
	s_cbranch_scc1 .LBB92_652
.LBB92_653:
	s_waitcnt lgkmcnt(0)
	v_cmp_eq_f64_e32 vcc, 0, v[117:118]
	v_cmp_eq_f64_e64 s[0:1], 0, v[119:120]
	s_and_b64 s[0:1], vcc, s[0:1]
	s_and_saveexec_b64 s[18:19], s[0:1]
	s_xor_b64 s[0:1], exec, s[18:19]
; %bb.654:
	v_cmp_ne_u32_e32 vcc, 0, v91
	v_cndmask_b32_e32 v91, 32, v91, vcc
; %bb.655:
	s_andn2_saveexec_b64 s[0:1], s[0:1]
	s_cbranch_execz .LBB92_661
; %bb.656:
	v_cmp_ngt_f64_e64 s[18:19], |v[117:118]|, |v[119:120]|
	s_and_saveexec_b64 s[20:21], s[18:19]
	s_xor_b64 s[18:19], exec, s[20:21]
	s_cbranch_execz .LBB92_658
; %bb.657:
	v_div_scale_f64 v[94:95], s[20:21], v[119:120], v[119:120], v[117:118]
	v_rcp_f64_e32 v[96:97], v[94:95]
	v_fma_f64 v[98:99], -v[94:95], v[96:97], 1.0
	v_fma_f64 v[96:97], v[96:97], v[98:99], v[96:97]
	v_div_scale_f64 v[98:99], vcc, v[117:118], v[119:120], v[117:118]
	v_fma_f64 v[100:101], -v[94:95], v[96:97], 1.0
	v_fma_f64 v[96:97], v[96:97], v[100:101], v[96:97]
	v_mul_f64 v[100:101], v[98:99], v[96:97]
	v_fma_f64 v[94:95], -v[94:95], v[100:101], v[98:99]
	v_div_fmas_f64 v[94:95], v[94:95], v[96:97], v[100:101]
	v_div_fixup_f64 v[94:95], v[94:95], v[119:120], v[117:118]
	v_fma_f64 v[96:97], v[117:118], v[94:95], v[119:120]
	v_div_scale_f64 v[98:99], s[20:21], v[96:97], v[96:97], 1.0
	v_div_scale_f64 v[104:105], vcc, 1.0, v[96:97], 1.0
	v_rcp_f64_e32 v[100:101], v[98:99]
	v_fma_f64 v[102:103], -v[98:99], v[100:101], 1.0
	v_fma_f64 v[100:101], v[100:101], v[102:103], v[100:101]
	v_fma_f64 v[102:103], -v[98:99], v[100:101], 1.0
	v_fma_f64 v[100:101], v[100:101], v[102:103], v[100:101]
	v_mul_f64 v[102:103], v[104:105], v[100:101]
	v_fma_f64 v[98:99], -v[98:99], v[102:103], v[104:105]
	v_div_fmas_f64 v[98:99], v[98:99], v[100:101], v[102:103]
	v_div_fixup_f64 v[119:120], v[98:99], v[96:97], 1.0
	v_mul_f64 v[117:118], v[94:95], v[119:120]
	v_xor_b32_e32 v120, 0x80000000, v120
.LBB92_658:
	s_andn2_saveexec_b64 s[18:19], s[18:19]
	s_cbranch_execz .LBB92_660
; %bb.659:
	v_div_scale_f64 v[94:95], s[20:21], v[117:118], v[117:118], v[119:120]
	v_rcp_f64_e32 v[96:97], v[94:95]
	v_fma_f64 v[98:99], -v[94:95], v[96:97], 1.0
	v_fma_f64 v[96:97], v[96:97], v[98:99], v[96:97]
	v_div_scale_f64 v[98:99], vcc, v[119:120], v[117:118], v[119:120]
	v_fma_f64 v[100:101], -v[94:95], v[96:97], 1.0
	v_fma_f64 v[96:97], v[96:97], v[100:101], v[96:97]
	v_mul_f64 v[100:101], v[98:99], v[96:97]
	v_fma_f64 v[94:95], -v[94:95], v[100:101], v[98:99]
	v_div_fmas_f64 v[94:95], v[94:95], v[96:97], v[100:101]
	v_div_fixup_f64 v[94:95], v[94:95], v[117:118], v[119:120]
	v_fma_f64 v[96:97], v[119:120], v[94:95], v[117:118]
	v_div_scale_f64 v[98:99], s[20:21], v[96:97], v[96:97], 1.0
	v_div_scale_f64 v[104:105], vcc, 1.0, v[96:97], 1.0
	v_rcp_f64_e32 v[100:101], v[98:99]
	v_fma_f64 v[102:103], -v[98:99], v[100:101], 1.0
	v_fma_f64 v[100:101], v[100:101], v[102:103], v[100:101]
	v_fma_f64 v[102:103], -v[98:99], v[100:101], 1.0
	v_fma_f64 v[100:101], v[100:101], v[102:103], v[100:101]
	v_mul_f64 v[102:103], v[104:105], v[100:101]
	v_fma_f64 v[98:99], -v[98:99], v[102:103], v[104:105]
	v_div_fmas_f64 v[98:99], v[98:99], v[100:101], v[102:103]
	v_div_fixup_f64 v[117:118], v[98:99], v[96:97], 1.0
	v_mul_f64 v[119:120], v[94:95], -v[117:118]
.LBB92_660:
	s_or_b64 exec, exec, s[18:19]
.LBB92_661:
	s_or_b64 exec, exec, s[0:1]
	v_cmp_ne_u32_e32 vcc, v92, v93
	s_and_saveexec_b64 s[0:1], vcc
	s_xor_b64 s[0:1], exec, s[0:1]
	s_cbranch_execz .LBB92_667
; %bb.662:
	v_cmp_eq_u32_e32 vcc, 31, v92
	s_and_saveexec_b64 s[18:19], vcc
	s_cbranch_execz .LBB92_666
; %bb.663:
	v_cmp_ne_u32_e32 vcc, 31, v93
	s_xor_b64 s[20:21], s[6:7], -1
	s_and_b64 s[22:23], s[20:21], vcc
	s_and_saveexec_b64 s[20:21], s[22:23]
	s_cbranch_execz .LBB92_665
; %bb.664:
	buffer_load_dword v85, off, s[24:27], 0 offset:336 ; 4-byte Folded Reload
	buffer_load_dword v86, off, s[24:27], 0 offset:340 ; 4-byte Folded Reload
	v_ashrrev_i32_e32 v94, 31, v93
	v_lshlrev_b64 v[94:95], 2, v[93:94]
	s_waitcnt vmcnt(1)
	v_add_co_u32_e32 v94, vcc, v85, v94
	s_waitcnt vmcnt(0)
	v_addc_co_u32_e32 v95, vcc, v86, v95, vcc
	global_load_dword v0, v[94:95], off
	global_load_dword v92, v[85:86], off offset:124
	s_waitcnt vmcnt(1)
	global_store_dword v[85:86], v0, off offset:124
	v_mov_b32_e32 v85, v106
	v_mov_b32_e32 v86, v107
	;; [unrolled: 1-line block ×4, first 2 shown]
	s_waitcnt vmcnt(1)
	global_store_dword v[94:95], v92, off
.LBB92_665:
	s_or_b64 exec, exec, s[20:21]
	v_mov_b32_e32 v92, v93
	v_mov_b32_e32 v0, v93
.LBB92_666:
	s_or_b64 exec, exec, s[18:19]
.LBB92_667:
	s_andn2_saveexec_b64 s[0:1], s[0:1]
	s_cbranch_execz .LBB92_669
; %bb.668:
	v_mov_b32_e32 v92, 31
	ds_write2_b64 v90, v[53:54], v[55:56] offset0:64 offset1:65
	ds_write2_b64 v90, v[49:50], v[51:52] offset0:66 offset1:67
	;; [unrolled: 1-line block ×15, first 2 shown]
.LBB92_669:
	s_or_b64 exec, exec, s[0:1]
	v_cmp_lt_i32_e32 vcc, 31, v92
	s_waitcnt vmcnt(0) lgkmcnt(0)
	s_barrier
	s_and_saveexec_b64 s[0:1], vcc
	s_cbranch_execz .LBB92_671
; %bb.670:
	v_mul_f64 v[93:94], v[117:118], v[59:60]
	v_mul_f64 v[59:60], v[119:120], v[59:60]
	ds_read2_b64 v[95:98], v90 offset0:64 offset1:65
	v_fma_f64 v[93:94], v[119:120], v[57:58], v[93:94]
	v_fma_f64 v[57:58], v[117:118], v[57:58], -v[59:60]
	s_waitcnt lgkmcnt(0)
	v_mul_f64 v[59:60], v[97:98], v[93:94]
	v_fma_f64 v[59:60], v[95:96], v[57:58], -v[59:60]
	v_mul_f64 v[95:96], v[95:96], v[93:94]
	v_add_f64 v[53:54], v[53:54], -v[59:60]
	v_fma_f64 v[95:96], v[97:98], v[57:58], v[95:96]
	v_add_f64 v[55:56], v[55:56], -v[95:96]
	ds_read2_b64 v[95:98], v90 offset0:66 offset1:67
	s_waitcnt lgkmcnt(0)
	v_mul_f64 v[59:60], v[97:98], v[93:94]
	v_fma_f64 v[59:60], v[95:96], v[57:58], -v[59:60]
	v_mul_f64 v[95:96], v[95:96], v[93:94]
	v_add_f64 v[49:50], v[49:50], -v[59:60]
	v_fma_f64 v[95:96], v[97:98], v[57:58], v[95:96]
	v_add_f64 v[51:52], v[51:52], -v[95:96]
	ds_read2_b64 v[95:98], v90 offset0:68 offset1:69
	;; [unrolled: 8-line block ×14, first 2 shown]
	s_waitcnt lgkmcnt(0)
	v_mul_f64 v[59:60], v[97:98], v[93:94]
	v_fma_f64 v[59:60], v[95:96], v[57:58], -v[59:60]
	v_mul_f64 v[95:96], v[95:96], v[93:94]
	v_add_f64 v[121:122], v[121:122], -v[59:60]
	v_fma_f64 v[95:96], v[97:98], v[57:58], v[95:96]
	v_mov_b32_e32 v59, v93
	v_mov_b32_e32 v60, v94
	v_add_f64 v[123:124], v[123:124], -v[95:96]
.LBB92_671:
	s_or_b64 exec, exec, s[0:1]
	v_lshl_add_u32 v93, v92, 4, v90
	s_barrier
	ds_write2_b64 v93, v[53:54], v[55:56] offset1:1
	s_waitcnt lgkmcnt(0)
	s_barrier
	ds_read2_b64 v[117:120], v90 offset0:64 offset1:65
	s_cmp_lt_i32 s3, 34
	v_mov_b32_e32 v93, 32
	s_cbranch_scc1 .LBB92_674
; %bb.672:
	v_add_u32_e32 v94, 0x210, v90
	s_mov_b32 s0, 33
	v_mov_b32_e32 v93, 32
.LBB92_673:                             ; =>This Inner Loop Header: Depth=1
	s_waitcnt lgkmcnt(0)
	v_cmp_gt_f64_e32 vcc, 0, v[117:118]
	v_xor_b32_e32 v99, 0x80000000, v118
	ds_read2_b64 v[95:98], v94 offset1:1
	v_xor_b32_e32 v101, 0x80000000, v120
	v_add_u32_e32 v94, 16, v94
	s_waitcnt lgkmcnt(0)
	v_xor_b32_e32 v103, 0x80000000, v98
	v_cndmask_b32_e32 v100, v118, v99, vcc
	v_cmp_gt_f64_e32 vcc, 0, v[119:120]
	v_mov_b32_e32 v99, v117
	v_cndmask_b32_e32 v102, v120, v101, vcc
	v_cmp_gt_f64_e32 vcc, 0, v[95:96]
	v_mov_b32_e32 v101, v119
	v_add_f64 v[99:100], v[99:100], v[101:102]
	v_xor_b32_e32 v101, 0x80000000, v96
	v_cndmask_b32_e32 v102, v96, v101, vcc
	v_cmp_gt_f64_e32 vcc, 0, v[97:98]
	v_mov_b32_e32 v101, v95
	v_cndmask_b32_e32 v104, v98, v103, vcc
	v_mov_b32_e32 v103, v97
	v_add_f64 v[101:102], v[101:102], v[103:104]
	v_cmp_lt_f64_e32 vcc, v[99:100], v[101:102]
	v_cndmask_b32_e32 v117, v117, v95, vcc
	v_mov_b32_e32 v95, s0
	s_add_i32 s0, s0, 1
	v_cndmask_b32_e32 v118, v118, v96, vcc
	v_cndmask_b32_e32 v120, v120, v98, vcc
	;; [unrolled: 1-line block ×4, first 2 shown]
	s_cmp_lg_u32 s3, s0
	s_cbranch_scc1 .LBB92_673
.LBB92_674:
	s_waitcnt lgkmcnt(0)
	v_cmp_eq_f64_e32 vcc, 0, v[117:118]
	v_cmp_eq_f64_e64 s[0:1], 0, v[119:120]
	s_and_b64 s[0:1], vcc, s[0:1]
	s_and_saveexec_b64 s[18:19], s[0:1]
	s_xor_b64 s[0:1], exec, s[18:19]
; %bb.675:
	v_cmp_ne_u32_e32 vcc, 0, v91
	v_cndmask_b32_e32 v91, 33, v91, vcc
; %bb.676:
	s_andn2_saveexec_b64 s[0:1], s[0:1]
	s_cbranch_execz .LBB92_682
; %bb.677:
	v_cmp_ngt_f64_e64 s[18:19], |v[117:118]|, |v[119:120]|
	s_and_saveexec_b64 s[20:21], s[18:19]
	s_xor_b64 s[18:19], exec, s[20:21]
	s_cbranch_execz .LBB92_679
; %bb.678:
	v_div_scale_f64 v[94:95], s[20:21], v[119:120], v[119:120], v[117:118]
	v_rcp_f64_e32 v[96:97], v[94:95]
	v_fma_f64 v[98:99], -v[94:95], v[96:97], 1.0
	v_fma_f64 v[96:97], v[96:97], v[98:99], v[96:97]
	v_div_scale_f64 v[98:99], vcc, v[117:118], v[119:120], v[117:118]
	v_fma_f64 v[100:101], -v[94:95], v[96:97], 1.0
	v_fma_f64 v[96:97], v[96:97], v[100:101], v[96:97]
	v_mul_f64 v[100:101], v[98:99], v[96:97]
	v_fma_f64 v[94:95], -v[94:95], v[100:101], v[98:99]
	v_div_fmas_f64 v[94:95], v[94:95], v[96:97], v[100:101]
	v_div_fixup_f64 v[94:95], v[94:95], v[119:120], v[117:118]
	v_fma_f64 v[96:97], v[117:118], v[94:95], v[119:120]
	v_div_scale_f64 v[98:99], s[20:21], v[96:97], v[96:97], 1.0
	v_div_scale_f64 v[104:105], vcc, 1.0, v[96:97], 1.0
	v_rcp_f64_e32 v[100:101], v[98:99]
	v_fma_f64 v[102:103], -v[98:99], v[100:101], 1.0
	v_fma_f64 v[100:101], v[100:101], v[102:103], v[100:101]
	v_fma_f64 v[102:103], -v[98:99], v[100:101], 1.0
	v_fma_f64 v[100:101], v[100:101], v[102:103], v[100:101]
	v_mul_f64 v[102:103], v[104:105], v[100:101]
	v_fma_f64 v[98:99], -v[98:99], v[102:103], v[104:105]
	v_div_fmas_f64 v[98:99], v[98:99], v[100:101], v[102:103]
	v_div_fixup_f64 v[119:120], v[98:99], v[96:97], 1.0
	v_mul_f64 v[117:118], v[94:95], v[119:120]
	v_xor_b32_e32 v120, 0x80000000, v120
.LBB92_679:
	s_andn2_saveexec_b64 s[18:19], s[18:19]
	s_cbranch_execz .LBB92_681
; %bb.680:
	v_div_scale_f64 v[94:95], s[20:21], v[117:118], v[117:118], v[119:120]
	v_rcp_f64_e32 v[96:97], v[94:95]
	v_fma_f64 v[98:99], -v[94:95], v[96:97], 1.0
	v_fma_f64 v[96:97], v[96:97], v[98:99], v[96:97]
	v_div_scale_f64 v[98:99], vcc, v[119:120], v[117:118], v[119:120]
	v_fma_f64 v[100:101], -v[94:95], v[96:97], 1.0
	v_fma_f64 v[96:97], v[96:97], v[100:101], v[96:97]
	v_mul_f64 v[100:101], v[98:99], v[96:97]
	v_fma_f64 v[94:95], -v[94:95], v[100:101], v[98:99]
	v_div_fmas_f64 v[94:95], v[94:95], v[96:97], v[100:101]
	v_div_fixup_f64 v[94:95], v[94:95], v[117:118], v[119:120]
	v_fma_f64 v[96:97], v[119:120], v[94:95], v[117:118]
	v_div_scale_f64 v[98:99], s[20:21], v[96:97], v[96:97], 1.0
	v_div_scale_f64 v[104:105], vcc, 1.0, v[96:97], 1.0
	v_rcp_f64_e32 v[100:101], v[98:99]
	v_fma_f64 v[102:103], -v[98:99], v[100:101], 1.0
	v_fma_f64 v[100:101], v[100:101], v[102:103], v[100:101]
	v_fma_f64 v[102:103], -v[98:99], v[100:101], 1.0
	v_fma_f64 v[100:101], v[100:101], v[102:103], v[100:101]
	v_mul_f64 v[102:103], v[104:105], v[100:101]
	v_fma_f64 v[98:99], -v[98:99], v[102:103], v[104:105]
	v_div_fmas_f64 v[98:99], v[98:99], v[100:101], v[102:103]
	v_div_fixup_f64 v[117:118], v[98:99], v[96:97], 1.0
	v_mul_f64 v[119:120], v[94:95], -v[117:118]
.LBB92_681:
	s_or_b64 exec, exec, s[18:19]
.LBB92_682:
	s_or_b64 exec, exec, s[0:1]
	v_cmp_ne_u32_e32 vcc, v92, v93
	s_and_saveexec_b64 s[0:1], vcc
	s_xor_b64 s[0:1], exec, s[0:1]
	s_cbranch_execz .LBB92_688
; %bb.683:
	v_cmp_eq_u32_e32 vcc, 32, v92
	s_and_saveexec_b64 s[18:19], vcc
	s_cbranch_execz .LBB92_687
; %bb.684:
	v_cmp_ne_u32_e32 vcc, 32, v93
	s_xor_b64 s[20:21], s[6:7], -1
	s_and_b64 s[22:23], s[20:21], vcc
	s_and_saveexec_b64 s[20:21], s[22:23]
	s_cbranch_execz .LBB92_686
; %bb.685:
	buffer_load_dword v85, off, s[24:27], 0 offset:336 ; 4-byte Folded Reload
	buffer_load_dword v86, off, s[24:27], 0 offset:340 ; 4-byte Folded Reload
	v_ashrrev_i32_e32 v94, 31, v93
	v_lshlrev_b64 v[94:95], 2, v[93:94]
	s_waitcnt vmcnt(1)
	v_add_co_u32_e32 v94, vcc, v85, v94
	s_waitcnt vmcnt(0)
	v_addc_co_u32_e32 v95, vcc, v86, v95, vcc
	global_load_dword v0, v[94:95], off
	global_load_dword v92, v[85:86], off offset:128
	s_waitcnt vmcnt(1)
	global_store_dword v[85:86], v0, off offset:128
	v_mov_b32_e32 v85, v106
	v_mov_b32_e32 v86, v107
	;; [unrolled: 1-line block ×4, first 2 shown]
	s_waitcnt vmcnt(1)
	global_store_dword v[94:95], v92, off
.LBB92_686:
	s_or_b64 exec, exec, s[20:21]
	v_mov_b32_e32 v92, v93
	v_mov_b32_e32 v0, v93
.LBB92_687:
	s_or_b64 exec, exec, s[18:19]
.LBB92_688:
	s_andn2_saveexec_b64 s[0:1], s[0:1]
	s_cbranch_execz .LBB92_690
; %bb.689:
	v_mov_b32_e32 v92, 32
	ds_write2_b64 v90, v[49:50], v[51:52] offset0:66 offset1:67
	ds_write2_b64 v90, v[45:46], v[47:48] offset0:68 offset1:69
	;; [unrolled: 1-line block ×14, first 2 shown]
.LBB92_690:
	s_or_b64 exec, exec, s[0:1]
	v_cmp_lt_i32_e32 vcc, 32, v92
	s_waitcnt vmcnt(0) lgkmcnt(0)
	s_barrier
	s_and_saveexec_b64 s[0:1], vcc
	s_cbranch_execz .LBB92_692
; %bb.691:
	v_mul_f64 v[93:94], v[117:118], v[55:56]
	v_mul_f64 v[55:56], v[119:120], v[55:56]
	ds_read2_b64 v[95:98], v90 offset0:66 offset1:67
	v_fma_f64 v[93:94], v[119:120], v[53:54], v[93:94]
	v_fma_f64 v[53:54], v[117:118], v[53:54], -v[55:56]
	s_waitcnt lgkmcnt(0)
	v_mul_f64 v[55:56], v[97:98], v[93:94]
	v_fma_f64 v[55:56], v[95:96], v[53:54], -v[55:56]
	v_mul_f64 v[95:96], v[95:96], v[93:94]
	v_add_f64 v[49:50], v[49:50], -v[55:56]
	v_fma_f64 v[95:96], v[97:98], v[53:54], v[95:96]
	v_add_f64 v[51:52], v[51:52], -v[95:96]
	ds_read2_b64 v[95:98], v90 offset0:68 offset1:69
	s_waitcnt lgkmcnt(0)
	v_mul_f64 v[55:56], v[97:98], v[93:94]
	v_fma_f64 v[55:56], v[95:96], v[53:54], -v[55:56]
	v_mul_f64 v[95:96], v[95:96], v[93:94]
	v_add_f64 v[45:46], v[45:46], -v[55:56]
	v_fma_f64 v[95:96], v[97:98], v[53:54], v[95:96]
	v_add_f64 v[47:48], v[47:48], -v[95:96]
	ds_read2_b64 v[95:98], v90 offset0:70 offset1:71
	;; [unrolled: 8-line block ×13, first 2 shown]
	s_waitcnt lgkmcnt(0)
	v_mul_f64 v[55:56], v[97:98], v[93:94]
	v_fma_f64 v[55:56], v[95:96], v[53:54], -v[55:56]
	v_mul_f64 v[95:96], v[95:96], v[93:94]
	v_add_f64 v[121:122], v[121:122], -v[55:56]
	v_fma_f64 v[95:96], v[97:98], v[53:54], v[95:96]
	v_mov_b32_e32 v55, v93
	v_mov_b32_e32 v56, v94
	v_add_f64 v[123:124], v[123:124], -v[95:96]
.LBB92_692:
	s_or_b64 exec, exec, s[0:1]
	v_lshl_add_u32 v93, v92, 4, v90
	s_barrier
	ds_write2_b64 v93, v[49:50], v[51:52] offset1:1
	s_waitcnt lgkmcnt(0)
	s_barrier
	ds_read2_b64 v[117:120], v90 offset0:66 offset1:67
	s_cmp_lt_i32 s3, 35
	v_mov_b32_e32 v93, 33
	s_cbranch_scc1 .LBB92_695
; %bb.693:
	v_add_u32_e32 v94, 0x220, v90
	s_mov_b32 s0, 34
	v_mov_b32_e32 v93, 33
.LBB92_694:                             ; =>This Inner Loop Header: Depth=1
	s_waitcnt lgkmcnt(0)
	v_cmp_gt_f64_e32 vcc, 0, v[117:118]
	v_xor_b32_e32 v99, 0x80000000, v118
	ds_read2_b64 v[95:98], v94 offset1:1
	v_xor_b32_e32 v101, 0x80000000, v120
	v_add_u32_e32 v94, 16, v94
	s_waitcnt lgkmcnt(0)
	v_xor_b32_e32 v103, 0x80000000, v98
	v_cndmask_b32_e32 v100, v118, v99, vcc
	v_cmp_gt_f64_e32 vcc, 0, v[119:120]
	v_mov_b32_e32 v99, v117
	v_cndmask_b32_e32 v102, v120, v101, vcc
	v_cmp_gt_f64_e32 vcc, 0, v[95:96]
	v_mov_b32_e32 v101, v119
	v_add_f64 v[99:100], v[99:100], v[101:102]
	v_xor_b32_e32 v101, 0x80000000, v96
	v_cndmask_b32_e32 v102, v96, v101, vcc
	v_cmp_gt_f64_e32 vcc, 0, v[97:98]
	v_mov_b32_e32 v101, v95
	v_cndmask_b32_e32 v104, v98, v103, vcc
	v_mov_b32_e32 v103, v97
	v_add_f64 v[101:102], v[101:102], v[103:104]
	v_cmp_lt_f64_e32 vcc, v[99:100], v[101:102]
	v_cndmask_b32_e32 v117, v117, v95, vcc
	v_mov_b32_e32 v95, s0
	s_add_i32 s0, s0, 1
	v_cndmask_b32_e32 v118, v118, v96, vcc
	v_cndmask_b32_e32 v120, v120, v98, vcc
	v_cndmask_b32_e32 v119, v119, v97, vcc
	v_cndmask_b32_e32 v93, v93, v95, vcc
	s_cmp_lg_u32 s3, s0
	s_cbranch_scc1 .LBB92_694
.LBB92_695:
	s_waitcnt lgkmcnt(0)
	v_cmp_eq_f64_e32 vcc, 0, v[117:118]
	v_cmp_eq_f64_e64 s[0:1], 0, v[119:120]
	s_and_b64 s[0:1], vcc, s[0:1]
	s_and_saveexec_b64 s[18:19], s[0:1]
	s_xor_b64 s[0:1], exec, s[18:19]
; %bb.696:
	v_cmp_ne_u32_e32 vcc, 0, v91
	v_cndmask_b32_e32 v91, 34, v91, vcc
; %bb.697:
	s_andn2_saveexec_b64 s[0:1], s[0:1]
	s_cbranch_execz .LBB92_703
; %bb.698:
	v_cmp_ngt_f64_e64 s[18:19], |v[117:118]|, |v[119:120]|
	s_and_saveexec_b64 s[20:21], s[18:19]
	s_xor_b64 s[18:19], exec, s[20:21]
	s_cbranch_execz .LBB92_700
; %bb.699:
	v_div_scale_f64 v[94:95], s[20:21], v[119:120], v[119:120], v[117:118]
	v_rcp_f64_e32 v[96:97], v[94:95]
	v_fma_f64 v[98:99], -v[94:95], v[96:97], 1.0
	v_fma_f64 v[96:97], v[96:97], v[98:99], v[96:97]
	v_div_scale_f64 v[98:99], vcc, v[117:118], v[119:120], v[117:118]
	v_fma_f64 v[100:101], -v[94:95], v[96:97], 1.0
	v_fma_f64 v[96:97], v[96:97], v[100:101], v[96:97]
	v_mul_f64 v[100:101], v[98:99], v[96:97]
	v_fma_f64 v[94:95], -v[94:95], v[100:101], v[98:99]
	v_div_fmas_f64 v[94:95], v[94:95], v[96:97], v[100:101]
	v_div_fixup_f64 v[94:95], v[94:95], v[119:120], v[117:118]
	v_fma_f64 v[96:97], v[117:118], v[94:95], v[119:120]
	v_div_scale_f64 v[98:99], s[20:21], v[96:97], v[96:97], 1.0
	v_div_scale_f64 v[104:105], vcc, 1.0, v[96:97], 1.0
	v_rcp_f64_e32 v[100:101], v[98:99]
	v_fma_f64 v[102:103], -v[98:99], v[100:101], 1.0
	v_fma_f64 v[100:101], v[100:101], v[102:103], v[100:101]
	v_fma_f64 v[102:103], -v[98:99], v[100:101], 1.0
	v_fma_f64 v[100:101], v[100:101], v[102:103], v[100:101]
	v_mul_f64 v[102:103], v[104:105], v[100:101]
	v_fma_f64 v[98:99], -v[98:99], v[102:103], v[104:105]
	v_div_fmas_f64 v[98:99], v[98:99], v[100:101], v[102:103]
	v_div_fixup_f64 v[119:120], v[98:99], v[96:97], 1.0
	v_mul_f64 v[117:118], v[94:95], v[119:120]
	v_xor_b32_e32 v120, 0x80000000, v120
.LBB92_700:
	s_andn2_saveexec_b64 s[18:19], s[18:19]
	s_cbranch_execz .LBB92_702
; %bb.701:
	v_div_scale_f64 v[94:95], s[20:21], v[117:118], v[117:118], v[119:120]
	v_rcp_f64_e32 v[96:97], v[94:95]
	v_fma_f64 v[98:99], -v[94:95], v[96:97], 1.0
	v_fma_f64 v[96:97], v[96:97], v[98:99], v[96:97]
	v_div_scale_f64 v[98:99], vcc, v[119:120], v[117:118], v[119:120]
	v_fma_f64 v[100:101], -v[94:95], v[96:97], 1.0
	v_fma_f64 v[96:97], v[96:97], v[100:101], v[96:97]
	v_mul_f64 v[100:101], v[98:99], v[96:97]
	v_fma_f64 v[94:95], -v[94:95], v[100:101], v[98:99]
	v_div_fmas_f64 v[94:95], v[94:95], v[96:97], v[100:101]
	v_div_fixup_f64 v[94:95], v[94:95], v[117:118], v[119:120]
	v_fma_f64 v[96:97], v[119:120], v[94:95], v[117:118]
	v_div_scale_f64 v[98:99], s[20:21], v[96:97], v[96:97], 1.0
	v_div_scale_f64 v[104:105], vcc, 1.0, v[96:97], 1.0
	v_rcp_f64_e32 v[100:101], v[98:99]
	v_fma_f64 v[102:103], -v[98:99], v[100:101], 1.0
	v_fma_f64 v[100:101], v[100:101], v[102:103], v[100:101]
	v_fma_f64 v[102:103], -v[98:99], v[100:101], 1.0
	v_fma_f64 v[100:101], v[100:101], v[102:103], v[100:101]
	v_mul_f64 v[102:103], v[104:105], v[100:101]
	v_fma_f64 v[98:99], -v[98:99], v[102:103], v[104:105]
	v_div_fmas_f64 v[98:99], v[98:99], v[100:101], v[102:103]
	v_div_fixup_f64 v[117:118], v[98:99], v[96:97], 1.0
	v_mul_f64 v[119:120], v[94:95], -v[117:118]
.LBB92_702:
	s_or_b64 exec, exec, s[18:19]
.LBB92_703:
	s_or_b64 exec, exec, s[0:1]
	v_cmp_ne_u32_e32 vcc, v92, v93
	s_and_saveexec_b64 s[0:1], vcc
	s_xor_b64 s[0:1], exec, s[0:1]
	s_cbranch_execz .LBB92_709
; %bb.704:
	v_cmp_eq_u32_e32 vcc, 33, v92
	s_and_saveexec_b64 s[18:19], vcc
	s_cbranch_execz .LBB92_708
; %bb.705:
	v_cmp_ne_u32_e32 vcc, 33, v93
	s_xor_b64 s[20:21], s[6:7], -1
	s_and_b64 s[22:23], s[20:21], vcc
	s_and_saveexec_b64 s[20:21], s[22:23]
	s_cbranch_execz .LBB92_707
; %bb.706:
	buffer_load_dword v85, off, s[24:27], 0 offset:336 ; 4-byte Folded Reload
	buffer_load_dword v86, off, s[24:27], 0 offset:340 ; 4-byte Folded Reload
	v_ashrrev_i32_e32 v94, 31, v93
	v_lshlrev_b64 v[94:95], 2, v[93:94]
	s_waitcnt vmcnt(1)
	v_add_co_u32_e32 v94, vcc, v85, v94
	s_waitcnt vmcnt(0)
	v_addc_co_u32_e32 v95, vcc, v86, v95, vcc
	global_load_dword v0, v[94:95], off
	global_load_dword v92, v[85:86], off offset:132
	s_waitcnt vmcnt(1)
	global_store_dword v[85:86], v0, off offset:132
	v_mov_b32_e32 v85, v106
	v_mov_b32_e32 v86, v107
	;; [unrolled: 1-line block ×4, first 2 shown]
	s_waitcnt vmcnt(1)
	global_store_dword v[94:95], v92, off
.LBB92_707:
	s_or_b64 exec, exec, s[20:21]
	v_mov_b32_e32 v92, v93
	v_mov_b32_e32 v0, v93
.LBB92_708:
	s_or_b64 exec, exec, s[18:19]
.LBB92_709:
	s_andn2_saveexec_b64 s[0:1], s[0:1]
	s_cbranch_execz .LBB92_711
; %bb.710:
	v_mov_b32_e32 v92, 33
	ds_write2_b64 v90, v[45:46], v[47:48] offset0:68 offset1:69
	ds_write2_b64 v90, v[41:42], v[43:44] offset0:70 offset1:71
	;; [unrolled: 1-line block ×13, first 2 shown]
.LBB92_711:
	s_or_b64 exec, exec, s[0:1]
	v_cmp_lt_i32_e32 vcc, 33, v92
	s_waitcnt vmcnt(0) lgkmcnt(0)
	s_barrier
	s_and_saveexec_b64 s[0:1], vcc
	s_cbranch_execz .LBB92_713
; %bb.712:
	v_mul_f64 v[93:94], v[117:118], v[51:52]
	v_mul_f64 v[51:52], v[119:120], v[51:52]
	ds_read2_b64 v[95:98], v90 offset0:68 offset1:69
	v_fma_f64 v[93:94], v[119:120], v[49:50], v[93:94]
	v_fma_f64 v[49:50], v[117:118], v[49:50], -v[51:52]
	s_waitcnt lgkmcnt(0)
	v_mul_f64 v[51:52], v[97:98], v[93:94]
	v_fma_f64 v[51:52], v[95:96], v[49:50], -v[51:52]
	v_mul_f64 v[95:96], v[95:96], v[93:94]
	v_add_f64 v[45:46], v[45:46], -v[51:52]
	v_fma_f64 v[95:96], v[97:98], v[49:50], v[95:96]
	v_add_f64 v[47:48], v[47:48], -v[95:96]
	ds_read2_b64 v[95:98], v90 offset0:70 offset1:71
	s_waitcnt lgkmcnt(0)
	v_mul_f64 v[51:52], v[97:98], v[93:94]
	v_fma_f64 v[51:52], v[95:96], v[49:50], -v[51:52]
	v_mul_f64 v[95:96], v[95:96], v[93:94]
	v_add_f64 v[41:42], v[41:42], -v[51:52]
	v_fma_f64 v[95:96], v[97:98], v[49:50], v[95:96]
	v_add_f64 v[43:44], v[43:44], -v[95:96]
	ds_read2_b64 v[95:98], v90 offset0:72 offset1:73
	;; [unrolled: 8-line block ×12, first 2 shown]
	s_waitcnt lgkmcnt(0)
	v_mul_f64 v[51:52], v[97:98], v[93:94]
	v_fma_f64 v[51:52], v[95:96], v[49:50], -v[51:52]
	v_mul_f64 v[95:96], v[95:96], v[93:94]
	v_add_f64 v[121:122], v[121:122], -v[51:52]
	v_fma_f64 v[95:96], v[97:98], v[49:50], v[95:96]
	v_mov_b32_e32 v51, v93
	v_mov_b32_e32 v52, v94
	v_add_f64 v[123:124], v[123:124], -v[95:96]
.LBB92_713:
	s_or_b64 exec, exec, s[0:1]
	v_lshl_add_u32 v93, v92, 4, v90
	s_barrier
	ds_write2_b64 v93, v[45:46], v[47:48] offset1:1
	s_waitcnt lgkmcnt(0)
	s_barrier
	ds_read2_b64 v[117:120], v90 offset0:68 offset1:69
	s_cmp_lt_i32 s3, 36
	v_mov_b32_e32 v93, 34
	s_cbranch_scc1 .LBB92_716
; %bb.714:
	v_add_u32_e32 v94, 0x230, v90
	s_mov_b32 s0, 35
	v_mov_b32_e32 v93, 34
.LBB92_715:                             ; =>This Inner Loop Header: Depth=1
	s_waitcnt lgkmcnt(0)
	v_cmp_gt_f64_e32 vcc, 0, v[117:118]
	v_xor_b32_e32 v99, 0x80000000, v118
	ds_read2_b64 v[95:98], v94 offset1:1
	v_xor_b32_e32 v101, 0x80000000, v120
	v_add_u32_e32 v94, 16, v94
	s_waitcnt lgkmcnt(0)
	v_xor_b32_e32 v103, 0x80000000, v98
	v_cndmask_b32_e32 v100, v118, v99, vcc
	v_cmp_gt_f64_e32 vcc, 0, v[119:120]
	v_mov_b32_e32 v99, v117
	v_cndmask_b32_e32 v102, v120, v101, vcc
	v_cmp_gt_f64_e32 vcc, 0, v[95:96]
	v_mov_b32_e32 v101, v119
	v_add_f64 v[99:100], v[99:100], v[101:102]
	v_xor_b32_e32 v101, 0x80000000, v96
	v_cndmask_b32_e32 v102, v96, v101, vcc
	v_cmp_gt_f64_e32 vcc, 0, v[97:98]
	v_mov_b32_e32 v101, v95
	v_cndmask_b32_e32 v104, v98, v103, vcc
	v_mov_b32_e32 v103, v97
	v_add_f64 v[101:102], v[101:102], v[103:104]
	v_cmp_lt_f64_e32 vcc, v[99:100], v[101:102]
	v_cndmask_b32_e32 v117, v117, v95, vcc
	v_mov_b32_e32 v95, s0
	s_add_i32 s0, s0, 1
	v_cndmask_b32_e32 v118, v118, v96, vcc
	v_cndmask_b32_e32 v120, v120, v98, vcc
	;; [unrolled: 1-line block ×4, first 2 shown]
	s_cmp_lg_u32 s3, s0
	s_cbranch_scc1 .LBB92_715
.LBB92_716:
	s_waitcnt lgkmcnt(0)
	v_cmp_eq_f64_e32 vcc, 0, v[117:118]
	v_cmp_eq_f64_e64 s[0:1], 0, v[119:120]
	s_and_b64 s[0:1], vcc, s[0:1]
	s_and_saveexec_b64 s[18:19], s[0:1]
	s_xor_b64 s[0:1], exec, s[18:19]
; %bb.717:
	v_cmp_ne_u32_e32 vcc, 0, v91
	v_cndmask_b32_e32 v91, 35, v91, vcc
; %bb.718:
	s_andn2_saveexec_b64 s[0:1], s[0:1]
	s_cbranch_execz .LBB92_724
; %bb.719:
	v_cmp_ngt_f64_e64 s[18:19], |v[117:118]|, |v[119:120]|
	s_and_saveexec_b64 s[20:21], s[18:19]
	s_xor_b64 s[18:19], exec, s[20:21]
	s_cbranch_execz .LBB92_721
; %bb.720:
	v_div_scale_f64 v[94:95], s[20:21], v[119:120], v[119:120], v[117:118]
	v_rcp_f64_e32 v[96:97], v[94:95]
	v_fma_f64 v[98:99], -v[94:95], v[96:97], 1.0
	v_fma_f64 v[96:97], v[96:97], v[98:99], v[96:97]
	v_div_scale_f64 v[98:99], vcc, v[117:118], v[119:120], v[117:118]
	v_fma_f64 v[100:101], -v[94:95], v[96:97], 1.0
	v_fma_f64 v[96:97], v[96:97], v[100:101], v[96:97]
	v_mul_f64 v[100:101], v[98:99], v[96:97]
	v_fma_f64 v[94:95], -v[94:95], v[100:101], v[98:99]
	v_div_fmas_f64 v[94:95], v[94:95], v[96:97], v[100:101]
	v_div_fixup_f64 v[94:95], v[94:95], v[119:120], v[117:118]
	v_fma_f64 v[96:97], v[117:118], v[94:95], v[119:120]
	v_div_scale_f64 v[98:99], s[20:21], v[96:97], v[96:97], 1.0
	v_div_scale_f64 v[104:105], vcc, 1.0, v[96:97], 1.0
	v_rcp_f64_e32 v[100:101], v[98:99]
	v_fma_f64 v[102:103], -v[98:99], v[100:101], 1.0
	v_fma_f64 v[100:101], v[100:101], v[102:103], v[100:101]
	v_fma_f64 v[102:103], -v[98:99], v[100:101], 1.0
	v_fma_f64 v[100:101], v[100:101], v[102:103], v[100:101]
	v_mul_f64 v[102:103], v[104:105], v[100:101]
	v_fma_f64 v[98:99], -v[98:99], v[102:103], v[104:105]
	v_div_fmas_f64 v[98:99], v[98:99], v[100:101], v[102:103]
	v_div_fixup_f64 v[119:120], v[98:99], v[96:97], 1.0
	v_mul_f64 v[117:118], v[94:95], v[119:120]
	v_xor_b32_e32 v120, 0x80000000, v120
.LBB92_721:
	s_andn2_saveexec_b64 s[18:19], s[18:19]
	s_cbranch_execz .LBB92_723
; %bb.722:
	v_div_scale_f64 v[94:95], s[20:21], v[117:118], v[117:118], v[119:120]
	v_rcp_f64_e32 v[96:97], v[94:95]
	v_fma_f64 v[98:99], -v[94:95], v[96:97], 1.0
	v_fma_f64 v[96:97], v[96:97], v[98:99], v[96:97]
	v_div_scale_f64 v[98:99], vcc, v[119:120], v[117:118], v[119:120]
	v_fma_f64 v[100:101], -v[94:95], v[96:97], 1.0
	v_fma_f64 v[96:97], v[96:97], v[100:101], v[96:97]
	v_mul_f64 v[100:101], v[98:99], v[96:97]
	v_fma_f64 v[94:95], -v[94:95], v[100:101], v[98:99]
	v_div_fmas_f64 v[94:95], v[94:95], v[96:97], v[100:101]
	v_div_fixup_f64 v[94:95], v[94:95], v[117:118], v[119:120]
	v_fma_f64 v[96:97], v[119:120], v[94:95], v[117:118]
	v_div_scale_f64 v[98:99], s[20:21], v[96:97], v[96:97], 1.0
	v_div_scale_f64 v[104:105], vcc, 1.0, v[96:97], 1.0
	v_rcp_f64_e32 v[100:101], v[98:99]
	v_fma_f64 v[102:103], -v[98:99], v[100:101], 1.0
	v_fma_f64 v[100:101], v[100:101], v[102:103], v[100:101]
	v_fma_f64 v[102:103], -v[98:99], v[100:101], 1.0
	v_fma_f64 v[100:101], v[100:101], v[102:103], v[100:101]
	v_mul_f64 v[102:103], v[104:105], v[100:101]
	v_fma_f64 v[98:99], -v[98:99], v[102:103], v[104:105]
	v_div_fmas_f64 v[98:99], v[98:99], v[100:101], v[102:103]
	v_div_fixup_f64 v[117:118], v[98:99], v[96:97], 1.0
	v_mul_f64 v[119:120], v[94:95], -v[117:118]
.LBB92_723:
	s_or_b64 exec, exec, s[18:19]
.LBB92_724:
	s_or_b64 exec, exec, s[0:1]
	v_cmp_ne_u32_e32 vcc, v92, v93
	s_and_saveexec_b64 s[0:1], vcc
	s_xor_b64 s[0:1], exec, s[0:1]
	s_cbranch_execz .LBB92_730
; %bb.725:
	v_cmp_eq_u32_e32 vcc, 34, v92
	s_and_saveexec_b64 s[18:19], vcc
	s_cbranch_execz .LBB92_729
; %bb.726:
	v_cmp_ne_u32_e32 vcc, 34, v93
	s_xor_b64 s[20:21], s[6:7], -1
	s_and_b64 s[22:23], s[20:21], vcc
	s_and_saveexec_b64 s[20:21], s[22:23]
	s_cbranch_execz .LBB92_728
; %bb.727:
	buffer_load_dword v85, off, s[24:27], 0 offset:336 ; 4-byte Folded Reload
	buffer_load_dword v86, off, s[24:27], 0 offset:340 ; 4-byte Folded Reload
	v_ashrrev_i32_e32 v94, 31, v93
	v_lshlrev_b64 v[94:95], 2, v[93:94]
	s_waitcnt vmcnt(1)
	v_add_co_u32_e32 v94, vcc, v85, v94
	s_waitcnt vmcnt(0)
	v_addc_co_u32_e32 v95, vcc, v86, v95, vcc
	global_load_dword v0, v[94:95], off
	global_load_dword v92, v[85:86], off offset:136
	s_waitcnt vmcnt(1)
	global_store_dword v[85:86], v0, off offset:136
	v_mov_b32_e32 v85, v106
	v_mov_b32_e32 v86, v107
	;; [unrolled: 1-line block ×4, first 2 shown]
	s_waitcnt vmcnt(1)
	global_store_dword v[94:95], v92, off
.LBB92_728:
	s_or_b64 exec, exec, s[20:21]
	v_mov_b32_e32 v92, v93
	v_mov_b32_e32 v0, v93
.LBB92_729:
	s_or_b64 exec, exec, s[18:19]
.LBB92_730:
	s_andn2_saveexec_b64 s[0:1], s[0:1]
	s_cbranch_execz .LBB92_732
; %bb.731:
	v_mov_b32_e32 v92, 34
	ds_write2_b64 v90, v[41:42], v[43:44] offset0:70 offset1:71
	ds_write2_b64 v90, v[37:38], v[39:40] offset0:72 offset1:73
	ds_write2_b64 v90, v[33:34], v[35:36] offset0:74 offset1:75
	ds_write2_b64 v90, v[29:30], v[31:32] offset0:76 offset1:77
	ds_write2_b64 v90, v[25:26], v[27:28] offset0:78 offset1:79
	ds_write2_b64 v90, v[21:22], v[23:24] offset0:80 offset1:81
	ds_write2_b64 v90, v[17:18], v[19:20] offset0:82 offset1:83
	ds_write2_b64 v90, v[13:14], v[15:16] offset0:84 offset1:85
	ds_write2_b64 v90, v[9:10], v[11:12] offset0:86 offset1:87
	ds_write2_b64 v90, v[5:6], v[7:8] offset0:88 offset1:89
	ds_write2_b64 v90, v[1:2], v[3:4] offset0:90 offset1:91
	ds_write2_b64 v90, v[121:122], v[123:124] offset0:92 offset1:93
.LBB92_732:
	s_or_b64 exec, exec, s[0:1]
	v_cmp_lt_i32_e32 vcc, 34, v92
	s_waitcnt vmcnt(0) lgkmcnt(0)
	s_barrier
	s_and_saveexec_b64 s[0:1], vcc
	s_cbranch_execz .LBB92_734
; %bb.733:
	v_mul_f64 v[93:94], v[117:118], v[47:48]
	v_mul_f64 v[47:48], v[119:120], v[47:48]
	ds_read2_b64 v[95:98], v90 offset0:70 offset1:71
	v_fma_f64 v[93:94], v[119:120], v[45:46], v[93:94]
	v_fma_f64 v[45:46], v[117:118], v[45:46], -v[47:48]
	s_waitcnt lgkmcnt(0)
	v_mul_f64 v[47:48], v[97:98], v[93:94]
	v_fma_f64 v[47:48], v[95:96], v[45:46], -v[47:48]
	v_mul_f64 v[95:96], v[95:96], v[93:94]
	v_add_f64 v[41:42], v[41:42], -v[47:48]
	v_fma_f64 v[95:96], v[97:98], v[45:46], v[95:96]
	v_add_f64 v[43:44], v[43:44], -v[95:96]
	ds_read2_b64 v[95:98], v90 offset0:72 offset1:73
	s_waitcnt lgkmcnt(0)
	v_mul_f64 v[47:48], v[97:98], v[93:94]
	v_fma_f64 v[47:48], v[95:96], v[45:46], -v[47:48]
	v_mul_f64 v[95:96], v[95:96], v[93:94]
	v_add_f64 v[37:38], v[37:38], -v[47:48]
	v_fma_f64 v[95:96], v[97:98], v[45:46], v[95:96]
	v_add_f64 v[39:40], v[39:40], -v[95:96]
	ds_read2_b64 v[95:98], v90 offset0:74 offset1:75
	;; [unrolled: 8-line block ×11, first 2 shown]
	s_waitcnt lgkmcnt(0)
	v_mul_f64 v[47:48], v[97:98], v[93:94]
	v_fma_f64 v[47:48], v[95:96], v[45:46], -v[47:48]
	v_mul_f64 v[95:96], v[95:96], v[93:94]
	v_add_f64 v[121:122], v[121:122], -v[47:48]
	v_fma_f64 v[95:96], v[97:98], v[45:46], v[95:96]
	v_mov_b32_e32 v47, v93
	v_mov_b32_e32 v48, v94
	v_add_f64 v[123:124], v[123:124], -v[95:96]
.LBB92_734:
	s_or_b64 exec, exec, s[0:1]
	v_lshl_add_u32 v93, v92, 4, v90
	s_barrier
	ds_write2_b64 v93, v[41:42], v[43:44] offset1:1
	s_waitcnt lgkmcnt(0)
	s_barrier
	ds_read2_b64 v[117:120], v90 offset0:70 offset1:71
	s_cmp_lt_i32 s3, 37
	v_mov_b32_e32 v93, 35
	s_cbranch_scc1 .LBB92_737
; %bb.735:
	v_add_u32_e32 v94, 0x240, v90
	s_mov_b32 s0, 36
	v_mov_b32_e32 v93, 35
.LBB92_736:                             ; =>This Inner Loop Header: Depth=1
	s_waitcnt lgkmcnt(0)
	v_cmp_gt_f64_e32 vcc, 0, v[117:118]
	v_xor_b32_e32 v99, 0x80000000, v118
	ds_read2_b64 v[95:98], v94 offset1:1
	v_xor_b32_e32 v101, 0x80000000, v120
	v_add_u32_e32 v94, 16, v94
	s_waitcnt lgkmcnt(0)
	v_xor_b32_e32 v103, 0x80000000, v98
	v_cndmask_b32_e32 v100, v118, v99, vcc
	v_cmp_gt_f64_e32 vcc, 0, v[119:120]
	v_mov_b32_e32 v99, v117
	v_cndmask_b32_e32 v102, v120, v101, vcc
	v_cmp_gt_f64_e32 vcc, 0, v[95:96]
	v_mov_b32_e32 v101, v119
	v_add_f64 v[99:100], v[99:100], v[101:102]
	v_xor_b32_e32 v101, 0x80000000, v96
	v_cndmask_b32_e32 v102, v96, v101, vcc
	v_cmp_gt_f64_e32 vcc, 0, v[97:98]
	v_mov_b32_e32 v101, v95
	v_cndmask_b32_e32 v104, v98, v103, vcc
	v_mov_b32_e32 v103, v97
	v_add_f64 v[101:102], v[101:102], v[103:104]
	v_cmp_lt_f64_e32 vcc, v[99:100], v[101:102]
	v_cndmask_b32_e32 v117, v117, v95, vcc
	v_mov_b32_e32 v95, s0
	s_add_i32 s0, s0, 1
	v_cndmask_b32_e32 v118, v118, v96, vcc
	v_cndmask_b32_e32 v120, v120, v98, vcc
	;; [unrolled: 1-line block ×4, first 2 shown]
	s_cmp_lg_u32 s3, s0
	s_cbranch_scc1 .LBB92_736
.LBB92_737:
	s_waitcnt lgkmcnt(0)
	v_cmp_eq_f64_e32 vcc, 0, v[117:118]
	v_cmp_eq_f64_e64 s[0:1], 0, v[119:120]
	s_and_b64 s[0:1], vcc, s[0:1]
	s_and_saveexec_b64 s[18:19], s[0:1]
	s_xor_b64 s[0:1], exec, s[18:19]
; %bb.738:
	v_cmp_ne_u32_e32 vcc, 0, v91
	v_cndmask_b32_e32 v91, 36, v91, vcc
; %bb.739:
	s_andn2_saveexec_b64 s[0:1], s[0:1]
	s_cbranch_execz .LBB92_745
; %bb.740:
	v_cmp_ngt_f64_e64 s[18:19], |v[117:118]|, |v[119:120]|
	s_and_saveexec_b64 s[20:21], s[18:19]
	s_xor_b64 s[18:19], exec, s[20:21]
	s_cbranch_execz .LBB92_742
; %bb.741:
	v_div_scale_f64 v[94:95], s[20:21], v[119:120], v[119:120], v[117:118]
	v_rcp_f64_e32 v[96:97], v[94:95]
	v_fma_f64 v[98:99], -v[94:95], v[96:97], 1.0
	v_fma_f64 v[96:97], v[96:97], v[98:99], v[96:97]
	v_div_scale_f64 v[98:99], vcc, v[117:118], v[119:120], v[117:118]
	v_fma_f64 v[100:101], -v[94:95], v[96:97], 1.0
	v_fma_f64 v[96:97], v[96:97], v[100:101], v[96:97]
	v_mul_f64 v[100:101], v[98:99], v[96:97]
	v_fma_f64 v[94:95], -v[94:95], v[100:101], v[98:99]
	v_div_fmas_f64 v[94:95], v[94:95], v[96:97], v[100:101]
	v_div_fixup_f64 v[94:95], v[94:95], v[119:120], v[117:118]
	v_fma_f64 v[96:97], v[117:118], v[94:95], v[119:120]
	v_div_scale_f64 v[98:99], s[20:21], v[96:97], v[96:97], 1.0
	v_div_scale_f64 v[104:105], vcc, 1.0, v[96:97], 1.0
	v_rcp_f64_e32 v[100:101], v[98:99]
	v_fma_f64 v[102:103], -v[98:99], v[100:101], 1.0
	v_fma_f64 v[100:101], v[100:101], v[102:103], v[100:101]
	v_fma_f64 v[102:103], -v[98:99], v[100:101], 1.0
	v_fma_f64 v[100:101], v[100:101], v[102:103], v[100:101]
	v_mul_f64 v[102:103], v[104:105], v[100:101]
	v_fma_f64 v[98:99], -v[98:99], v[102:103], v[104:105]
	v_div_fmas_f64 v[98:99], v[98:99], v[100:101], v[102:103]
	v_div_fixup_f64 v[119:120], v[98:99], v[96:97], 1.0
	v_mul_f64 v[117:118], v[94:95], v[119:120]
	v_xor_b32_e32 v120, 0x80000000, v120
.LBB92_742:
	s_andn2_saveexec_b64 s[18:19], s[18:19]
	s_cbranch_execz .LBB92_744
; %bb.743:
	v_div_scale_f64 v[94:95], s[20:21], v[117:118], v[117:118], v[119:120]
	v_rcp_f64_e32 v[96:97], v[94:95]
	v_fma_f64 v[98:99], -v[94:95], v[96:97], 1.0
	v_fma_f64 v[96:97], v[96:97], v[98:99], v[96:97]
	v_div_scale_f64 v[98:99], vcc, v[119:120], v[117:118], v[119:120]
	v_fma_f64 v[100:101], -v[94:95], v[96:97], 1.0
	v_fma_f64 v[96:97], v[96:97], v[100:101], v[96:97]
	v_mul_f64 v[100:101], v[98:99], v[96:97]
	v_fma_f64 v[94:95], -v[94:95], v[100:101], v[98:99]
	v_div_fmas_f64 v[94:95], v[94:95], v[96:97], v[100:101]
	v_div_fixup_f64 v[94:95], v[94:95], v[117:118], v[119:120]
	v_fma_f64 v[96:97], v[119:120], v[94:95], v[117:118]
	v_div_scale_f64 v[98:99], s[20:21], v[96:97], v[96:97], 1.0
	v_div_scale_f64 v[104:105], vcc, 1.0, v[96:97], 1.0
	v_rcp_f64_e32 v[100:101], v[98:99]
	v_fma_f64 v[102:103], -v[98:99], v[100:101], 1.0
	v_fma_f64 v[100:101], v[100:101], v[102:103], v[100:101]
	v_fma_f64 v[102:103], -v[98:99], v[100:101], 1.0
	v_fma_f64 v[100:101], v[100:101], v[102:103], v[100:101]
	v_mul_f64 v[102:103], v[104:105], v[100:101]
	v_fma_f64 v[98:99], -v[98:99], v[102:103], v[104:105]
	v_div_fmas_f64 v[98:99], v[98:99], v[100:101], v[102:103]
	v_div_fixup_f64 v[117:118], v[98:99], v[96:97], 1.0
	v_mul_f64 v[119:120], v[94:95], -v[117:118]
.LBB92_744:
	s_or_b64 exec, exec, s[18:19]
.LBB92_745:
	s_or_b64 exec, exec, s[0:1]
	v_cmp_ne_u32_e32 vcc, v92, v93
	s_and_saveexec_b64 s[0:1], vcc
	s_xor_b64 s[0:1], exec, s[0:1]
	s_cbranch_execz .LBB92_751
; %bb.746:
	v_cmp_eq_u32_e32 vcc, 35, v92
	s_and_saveexec_b64 s[18:19], vcc
	s_cbranch_execz .LBB92_750
; %bb.747:
	v_cmp_ne_u32_e32 vcc, 35, v93
	s_xor_b64 s[20:21], s[6:7], -1
	s_and_b64 s[22:23], s[20:21], vcc
	s_and_saveexec_b64 s[20:21], s[22:23]
	s_cbranch_execz .LBB92_749
; %bb.748:
	buffer_load_dword v85, off, s[24:27], 0 offset:336 ; 4-byte Folded Reload
	buffer_load_dword v86, off, s[24:27], 0 offset:340 ; 4-byte Folded Reload
	v_ashrrev_i32_e32 v94, 31, v93
	v_lshlrev_b64 v[94:95], 2, v[93:94]
	s_waitcnt vmcnt(1)
	v_add_co_u32_e32 v94, vcc, v85, v94
	s_waitcnt vmcnt(0)
	v_addc_co_u32_e32 v95, vcc, v86, v95, vcc
	global_load_dword v0, v[94:95], off
	global_load_dword v92, v[85:86], off offset:140
	s_waitcnt vmcnt(1)
	global_store_dword v[85:86], v0, off offset:140
	v_mov_b32_e32 v85, v106
	v_mov_b32_e32 v86, v107
	;; [unrolled: 1-line block ×4, first 2 shown]
	s_waitcnt vmcnt(1)
	global_store_dword v[94:95], v92, off
.LBB92_749:
	s_or_b64 exec, exec, s[20:21]
	v_mov_b32_e32 v92, v93
	v_mov_b32_e32 v0, v93
.LBB92_750:
	s_or_b64 exec, exec, s[18:19]
.LBB92_751:
	s_andn2_saveexec_b64 s[0:1], s[0:1]
	s_cbranch_execz .LBB92_753
; %bb.752:
	v_mov_b32_e32 v92, 35
	ds_write2_b64 v90, v[37:38], v[39:40] offset0:72 offset1:73
	ds_write2_b64 v90, v[33:34], v[35:36] offset0:74 offset1:75
	;; [unrolled: 1-line block ×11, first 2 shown]
.LBB92_753:
	s_or_b64 exec, exec, s[0:1]
	v_cmp_lt_i32_e32 vcc, 35, v92
	s_waitcnt vmcnt(0) lgkmcnt(0)
	s_barrier
	s_and_saveexec_b64 s[0:1], vcc
	s_cbranch_execz .LBB92_755
; %bb.754:
	v_mul_f64 v[93:94], v[117:118], v[43:44]
	v_mul_f64 v[43:44], v[119:120], v[43:44]
	ds_read2_b64 v[95:98], v90 offset0:72 offset1:73
	v_fma_f64 v[93:94], v[119:120], v[41:42], v[93:94]
	v_fma_f64 v[41:42], v[117:118], v[41:42], -v[43:44]
	s_waitcnt lgkmcnt(0)
	v_mul_f64 v[43:44], v[97:98], v[93:94]
	v_fma_f64 v[43:44], v[95:96], v[41:42], -v[43:44]
	v_mul_f64 v[95:96], v[95:96], v[93:94]
	v_add_f64 v[37:38], v[37:38], -v[43:44]
	v_fma_f64 v[95:96], v[97:98], v[41:42], v[95:96]
	v_add_f64 v[39:40], v[39:40], -v[95:96]
	ds_read2_b64 v[95:98], v90 offset0:74 offset1:75
	s_waitcnt lgkmcnt(0)
	v_mul_f64 v[43:44], v[97:98], v[93:94]
	v_fma_f64 v[43:44], v[95:96], v[41:42], -v[43:44]
	v_mul_f64 v[95:96], v[95:96], v[93:94]
	v_add_f64 v[33:34], v[33:34], -v[43:44]
	v_fma_f64 v[95:96], v[97:98], v[41:42], v[95:96]
	v_add_f64 v[35:36], v[35:36], -v[95:96]
	ds_read2_b64 v[95:98], v90 offset0:76 offset1:77
	s_waitcnt lgkmcnt(0)
	v_mul_f64 v[43:44], v[97:98], v[93:94]
	v_fma_f64 v[43:44], v[95:96], v[41:42], -v[43:44]
	v_mul_f64 v[95:96], v[95:96], v[93:94]
	v_add_f64 v[29:30], v[29:30], -v[43:44]
	v_fma_f64 v[95:96], v[97:98], v[41:42], v[95:96]
	v_add_f64 v[31:32], v[31:32], -v[95:96]
	ds_read2_b64 v[95:98], v90 offset0:78 offset1:79
	s_waitcnt lgkmcnt(0)
	v_mul_f64 v[43:44], v[97:98], v[93:94]
	v_fma_f64 v[43:44], v[95:96], v[41:42], -v[43:44]
	v_mul_f64 v[95:96], v[95:96], v[93:94]
	v_add_f64 v[25:26], v[25:26], -v[43:44]
	v_fma_f64 v[95:96], v[97:98], v[41:42], v[95:96]
	v_add_f64 v[27:28], v[27:28], -v[95:96]
	ds_read2_b64 v[95:98], v90 offset0:80 offset1:81
	s_waitcnt lgkmcnt(0)
	v_mul_f64 v[43:44], v[97:98], v[93:94]
	v_fma_f64 v[43:44], v[95:96], v[41:42], -v[43:44]
	v_mul_f64 v[95:96], v[95:96], v[93:94]
	v_add_f64 v[21:22], v[21:22], -v[43:44]
	v_fma_f64 v[95:96], v[97:98], v[41:42], v[95:96]
	v_add_f64 v[23:24], v[23:24], -v[95:96]
	ds_read2_b64 v[95:98], v90 offset0:82 offset1:83
	s_waitcnt lgkmcnt(0)
	v_mul_f64 v[43:44], v[97:98], v[93:94]
	v_fma_f64 v[43:44], v[95:96], v[41:42], -v[43:44]
	v_mul_f64 v[95:96], v[95:96], v[93:94]
	v_add_f64 v[17:18], v[17:18], -v[43:44]
	v_fma_f64 v[95:96], v[97:98], v[41:42], v[95:96]
	v_add_f64 v[19:20], v[19:20], -v[95:96]
	ds_read2_b64 v[95:98], v90 offset0:84 offset1:85
	s_waitcnt lgkmcnt(0)
	v_mul_f64 v[43:44], v[97:98], v[93:94]
	v_fma_f64 v[43:44], v[95:96], v[41:42], -v[43:44]
	v_mul_f64 v[95:96], v[95:96], v[93:94]
	v_add_f64 v[13:14], v[13:14], -v[43:44]
	v_fma_f64 v[95:96], v[97:98], v[41:42], v[95:96]
	v_add_f64 v[15:16], v[15:16], -v[95:96]
	ds_read2_b64 v[95:98], v90 offset0:86 offset1:87
	s_waitcnt lgkmcnt(0)
	v_mul_f64 v[43:44], v[97:98], v[93:94]
	v_fma_f64 v[43:44], v[95:96], v[41:42], -v[43:44]
	v_mul_f64 v[95:96], v[95:96], v[93:94]
	v_add_f64 v[9:10], v[9:10], -v[43:44]
	v_fma_f64 v[95:96], v[97:98], v[41:42], v[95:96]
	v_add_f64 v[11:12], v[11:12], -v[95:96]
	ds_read2_b64 v[95:98], v90 offset0:88 offset1:89
	s_waitcnt lgkmcnt(0)
	v_mul_f64 v[43:44], v[97:98], v[93:94]
	v_fma_f64 v[43:44], v[95:96], v[41:42], -v[43:44]
	v_mul_f64 v[95:96], v[95:96], v[93:94]
	v_add_f64 v[5:6], v[5:6], -v[43:44]
	v_fma_f64 v[95:96], v[97:98], v[41:42], v[95:96]
	v_add_f64 v[7:8], v[7:8], -v[95:96]
	ds_read2_b64 v[95:98], v90 offset0:90 offset1:91
	s_waitcnt lgkmcnt(0)
	v_mul_f64 v[43:44], v[97:98], v[93:94]
	v_fma_f64 v[43:44], v[95:96], v[41:42], -v[43:44]
	v_mul_f64 v[95:96], v[95:96], v[93:94]
	v_add_f64 v[1:2], v[1:2], -v[43:44]
	v_fma_f64 v[95:96], v[97:98], v[41:42], v[95:96]
	v_add_f64 v[3:4], v[3:4], -v[95:96]
	ds_read2_b64 v[95:98], v90 offset0:92 offset1:93
	s_waitcnt lgkmcnt(0)
	v_mul_f64 v[43:44], v[97:98], v[93:94]
	v_fma_f64 v[43:44], v[95:96], v[41:42], -v[43:44]
	v_mul_f64 v[95:96], v[95:96], v[93:94]
	v_add_f64 v[121:122], v[121:122], -v[43:44]
	v_fma_f64 v[95:96], v[97:98], v[41:42], v[95:96]
	v_mov_b32_e32 v43, v93
	v_mov_b32_e32 v44, v94
	v_add_f64 v[123:124], v[123:124], -v[95:96]
.LBB92_755:
	s_or_b64 exec, exec, s[0:1]
	v_lshl_add_u32 v93, v92, 4, v90
	s_barrier
	ds_write2_b64 v93, v[37:38], v[39:40] offset1:1
	s_waitcnt lgkmcnt(0)
	s_barrier
	ds_read2_b64 v[117:120], v90 offset0:72 offset1:73
	s_cmp_lt_i32 s3, 38
	v_mov_b32_e32 v93, 36
	s_cbranch_scc1 .LBB92_758
; %bb.756:
	v_add_u32_e32 v94, 0x250, v90
	s_mov_b32 s0, 37
	v_mov_b32_e32 v93, 36
.LBB92_757:                             ; =>This Inner Loop Header: Depth=1
	s_waitcnt lgkmcnt(0)
	v_cmp_gt_f64_e32 vcc, 0, v[117:118]
	v_xor_b32_e32 v99, 0x80000000, v118
	ds_read2_b64 v[95:98], v94 offset1:1
	v_xor_b32_e32 v101, 0x80000000, v120
	v_add_u32_e32 v94, 16, v94
	s_waitcnt lgkmcnt(0)
	v_xor_b32_e32 v103, 0x80000000, v98
	v_cndmask_b32_e32 v100, v118, v99, vcc
	v_cmp_gt_f64_e32 vcc, 0, v[119:120]
	v_mov_b32_e32 v99, v117
	v_cndmask_b32_e32 v102, v120, v101, vcc
	v_cmp_gt_f64_e32 vcc, 0, v[95:96]
	v_mov_b32_e32 v101, v119
	v_add_f64 v[99:100], v[99:100], v[101:102]
	v_xor_b32_e32 v101, 0x80000000, v96
	v_cndmask_b32_e32 v102, v96, v101, vcc
	v_cmp_gt_f64_e32 vcc, 0, v[97:98]
	v_mov_b32_e32 v101, v95
	v_cndmask_b32_e32 v104, v98, v103, vcc
	v_mov_b32_e32 v103, v97
	v_add_f64 v[101:102], v[101:102], v[103:104]
	v_cmp_lt_f64_e32 vcc, v[99:100], v[101:102]
	v_cndmask_b32_e32 v117, v117, v95, vcc
	v_mov_b32_e32 v95, s0
	s_add_i32 s0, s0, 1
	v_cndmask_b32_e32 v118, v118, v96, vcc
	v_cndmask_b32_e32 v120, v120, v98, vcc
	;; [unrolled: 1-line block ×4, first 2 shown]
	s_cmp_lg_u32 s3, s0
	s_cbranch_scc1 .LBB92_757
.LBB92_758:
	s_waitcnt lgkmcnt(0)
	v_cmp_eq_f64_e32 vcc, 0, v[117:118]
	v_cmp_eq_f64_e64 s[0:1], 0, v[119:120]
	s_and_b64 s[0:1], vcc, s[0:1]
	s_and_saveexec_b64 s[18:19], s[0:1]
	s_xor_b64 s[0:1], exec, s[18:19]
; %bb.759:
	v_cmp_ne_u32_e32 vcc, 0, v91
	v_cndmask_b32_e32 v91, 37, v91, vcc
; %bb.760:
	s_andn2_saveexec_b64 s[0:1], s[0:1]
	s_cbranch_execz .LBB92_766
; %bb.761:
	v_cmp_ngt_f64_e64 s[18:19], |v[117:118]|, |v[119:120]|
	s_and_saveexec_b64 s[20:21], s[18:19]
	s_xor_b64 s[18:19], exec, s[20:21]
	s_cbranch_execz .LBB92_763
; %bb.762:
	v_div_scale_f64 v[94:95], s[20:21], v[119:120], v[119:120], v[117:118]
	v_rcp_f64_e32 v[96:97], v[94:95]
	v_fma_f64 v[98:99], -v[94:95], v[96:97], 1.0
	v_fma_f64 v[96:97], v[96:97], v[98:99], v[96:97]
	v_div_scale_f64 v[98:99], vcc, v[117:118], v[119:120], v[117:118]
	v_fma_f64 v[100:101], -v[94:95], v[96:97], 1.0
	v_fma_f64 v[96:97], v[96:97], v[100:101], v[96:97]
	v_mul_f64 v[100:101], v[98:99], v[96:97]
	v_fma_f64 v[94:95], -v[94:95], v[100:101], v[98:99]
	v_div_fmas_f64 v[94:95], v[94:95], v[96:97], v[100:101]
	v_div_fixup_f64 v[94:95], v[94:95], v[119:120], v[117:118]
	v_fma_f64 v[96:97], v[117:118], v[94:95], v[119:120]
	v_div_scale_f64 v[98:99], s[20:21], v[96:97], v[96:97], 1.0
	v_div_scale_f64 v[104:105], vcc, 1.0, v[96:97], 1.0
	v_rcp_f64_e32 v[100:101], v[98:99]
	v_fma_f64 v[102:103], -v[98:99], v[100:101], 1.0
	v_fma_f64 v[100:101], v[100:101], v[102:103], v[100:101]
	v_fma_f64 v[102:103], -v[98:99], v[100:101], 1.0
	v_fma_f64 v[100:101], v[100:101], v[102:103], v[100:101]
	v_mul_f64 v[102:103], v[104:105], v[100:101]
	v_fma_f64 v[98:99], -v[98:99], v[102:103], v[104:105]
	v_div_fmas_f64 v[98:99], v[98:99], v[100:101], v[102:103]
	v_div_fixup_f64 v[119:120], v[98:99], v[96:97], 1.0
	v_mul_f64 v[117:118], v[94:95], v[119:120]
	v_xor_b32_e32 v120, 0x80000000, v120
.LBB92_763:
	s_andn2_saveexec_b64 s[18:19], s[18:19]
	s_cbranch_execz .LBB92_765
; %bb.764:
	v_div_scale_f64 v[94:95], s[20:21], v[117:118], v[117:118], v[119:120]
	v_rcp_f64_e32 v[96:97], v[94:95]
	v_fma_f64 v[98:99], -v[94:95], v[96:97], 1.0
	v_fma_f64 v[96:97], v[96:97], v[98:99], v[96:97]
	v_div_scale_f64 v[98:99], vcc, v[119:120], v[117:118], v[119:120]
	v_fma_f64 v[100:101], -v[94:95], v[96:97], 1.0
	v_fma_f64 v[96:97], v[96:97], v[100:101], v[96:97]
	v_mul_f64 v[100:101], v[98:99], v[96:97]
	v_fma_f64 v[94:95], -v[94:95], v[100:101], v[98:99]
	v_div_fmas_f64 v[94:95], v[94:95], v[96:97], v[100:101]
	v_div_fixup_f64 v[94:95], v[94:95], v[117:118], v[119:120]
	v_fma_f64 v[96:97], v[119:120], v[94:95], v[117:118]
	v_div_scale_f64 v[98:99], s[20:21], v[96:97], v[96:97], 1.0
	v_div_scale_f64 v[104:105], vcc, 1.0, v[96:97], 1.0
	v_rcp_f64_e32 v[100:101], v[98:99]
	v_fma_f64 v[102:103], -v[98:99], v[100:101], 1.0
	v_fma_f64 v[100:101], v[100:101], v[102:103], v[100:101]
	v_fma_f64 v[102:103], -v[98:99], v[100:101], 1.0
	v_fma_f64 v[100:101], v[100:101], v[102:103], v[100:101]
	v_mul_f64 v[102:103], v[104:105], v[100:101]
	v_fma_f64 v[98:99], -v[98:99], v[102:103], v[104:105]
	v_div_fmas_f64 v[98:99], v[98:99], v[100:101], v[102:103]
	v_div_fixup_f64 v[117:118], v[98:99], v[96:97], 1.0
	v_mul_f64 v[119:120], v[94:95], -v[117:118]
.LBB92_765:
	s_or_b64 exec, exec, s[18:19]
.LBB92_766:
	s_or_b64 exec, exec, s[0:1]
	v_cmp_ne_u32_e32 vcc, v92, v93
	s_and_saveexec_b64 s[0:1], vcc
	s_xor_b64 s[0:1], exec, s[0:1]
	s_cbranch_execz .LBB92_772
; %bb.767:
	v_cmp_eq_u32_e32 vcc, 36, v92
	s_and_saveexec_b64 s[18:19], vcc
	s_cbranch_execz .LBB92_771
; %bb.768:
	v_cmp_ne_u32_e32 vcc, 36, v93
	s_xor_b64 s[20:21], s[6:7], -1
	s_and_b64 s[22:23], s[20:21], vcc
	s_and_saveexec_b64 s[20:21], s[22:23]
	s_cbranch_execz .LBB92_770
; %bb.769:
	buffer_load_dword v85, off, s[24:27], 0 offset:336 ; 4-byte Folded Reload
	buffer_load_dword v86, off, s[24:27], 0 offset:340 ; 4-byte Folded Reload
	v_ashrrev_i32_e32 v94, 31, v93
	v_lshlrev_b64 v[94:95], 2, v[93:94]
	s_waitcnt vmcnt(1)
	v_add_co_u32_e32 v94, vcc, v85, v94
	s_waitcnt vmcnt(0)
	v_addc_co_u32_e32 v95, vcc, v86, v95, vcc
	global_load_dword v0, v[94:95], off
	global_load_dword v92, v[85:86], off offset:144
	s_waitcnt vmcnt(1)
	global_store_dword v[85:86], v0, off offset:144
	v_mov_b32_e32 v85, v106
	v_mov_b32_e32 v86, v107
	;; [unrolled: 1-line block ×4, first 2 shown]
	s_waitcnt vmcnt(1)
	global_store_dword v[94:95], v92, off
.LBB92_770:
	s_or_b64 exec, exec, s[20:21]
	v_mov_b32_e32 v92, v93
	v_mov_b32_e32 v0, v93
.LBB92_771:
	s_or_b64 exec, exec, s[18:19]
.LBB92_772:
	s_andn2_saveexec_b64 s[0:1], s[0:1]
	s_cbranch_execz .LBB92_774
; %bb.773:
	v_mov_b32_e32 v92, 36
	ds_write2_b64 v90, v[33:34], v[35:36] offset0:74 offset1:75
	ds_write2_b64 v90, v[29:30], v[31:32] offset0:76 offset1:77
	;; [unrolled: 1-line block ×10, first 2 shown]
.LBB92_774:
	s_or_b64 exec, exec, s[0:1]
	v_cmp_lt_i32_e32 vcc, 36, v92
	s_waitcnt vmcnt(0) lgkmcnt(0)
	s_barrier
	s_and_saveexec_b64 s[0:1], vcc
	s_cbranch_execz .LBB92_776
; %bb.775:
	v_mul_f64 v[93:94], v[117:118], v[39:40]
	v_mul_f64 v[39:40], v[119:120], v[39:40]
	ds_read2_b64 v[95:98], v90 offset0:74 offset1:75
	v_fma_f64 v[93:94], v[119:120], v[37:38], v[93:94]
	v_fma_f64 v[37:38], v[117:118], v[37:38], -v[39:40]
	s_waitcnt lgkmcnt(0)
	v_mul_f64 v[39:40], v[97:98], v[93:94]
	v_fma_f64 v[39:40], v[95:96], v[37:38], -v[39:40]
	v_mul_f64 v[95:96], v[95:96], v[93:94]
	v_add_f64 v[33:34], v[33:34], -v[39:40]
	v_fma_f64 v[95:96], v[97:98], v[37:38], v[95:96]
	v_add_f64 v[35:36], v[35:36], -v[95:96]
	ds_read2_b64 v[95:98], v90 offset0:76 offset1:77
	s_waitcnt lgkmcnt(0)
	v_mul_f64 v[39:40], v[97:98], v[93:94]
	v_fma_f64 v[39:40], v[95:96], v[37:38], -v[39:40]
	v_mul_f64 v[95:96], v[95:96], v[93:94]
	v_add_f64 v[29:30], v[29:30], -v[39:40]
	v_fma_f64 v[95:96], v[97:98], v[37:38], v[95:96]
	v_add_f64 v[31:32], v[31:32], -v[95:96]
	ds_read2_b64 v[95:98], v90 offset0:78 offset1:79
	;; [unrolled: 8-line block ×9, first 2 shown]
	s_waitcnt lgkmcnt(0)
	v_mul_f64 v[39:40], v[97:98], v[93:94]
	v_fma_f64 v[39:40], v[95:96], v[37:38], -v[39:40]
	v_mul_f64 v[95:96], v[95:96], v[93:94]
	v_add_f64 v[121:122], v[121:122], -v[39:40]
	v_fma_f64 v[95:96], v[97:98], v[37:38], v[95:96]
	v_mov_b32_e32 v39, v93
	v_mov_b32_e32 v40, v94
	v_add_f64 v[123:124], v[123:124], -v[95:96]
.LBB92_776:
	s_or_b64 exec, exec, s[0:1]
	v_lshl_add_u32 v93, v92, 4, v90
	s_barrier
	ds_write2_b64 v93, v[33:34], v[35:36] offset1:1
	s_waitcnt lgkmcnt(0)
	s_barrier
	ds_read2_b64 v[117:120], v90 offset0:74 offset1:75
	s_cmp_lt_i32 s3, 39
	v_mov_b32_e32 v93, 37
	s_cbranch_scc1 .LBB92_779
; %bb.777:
	v_add_u32_e32 v94, 0x260, v90
	s_mov_b32 s0, 38
	v_mov_b32_e32 v93, 37
.LBB92_778:                             ; =>This Inner Loop Header: Depth=1
	s_waitcnt lgkmcnt(0)
	v_cmp_gt_f64_e32 vcc, 0, v[117:118]
	v_xor_b32_e32 v99, 0x80000000, v118
	ds_read2_b64 v[95:98], v94 offset1:1
	v_xor_b32_e32 v101, 0x80000000, v120
	v_add_u32_e32 v94, 16, v94
	s_waitcnt lgkmcnt(0)
	v_xor_b32_e32 v103, 0x80000000, v98
	v_cndmask_b32_e32 v100, v118, v99, vcc
	v_cmp_gt_f64_e32 vcc, 0, v[119:120]
	v_mov_b32_e32 v99, v117
	v_cndmask_b32_e32 v102, v120, v101, vcc
	v_cmp_gt_f64_e32 vcc, 0, v[95:96]
	v_mov_b32_e32 v101, v119
	v_add_f64 v[99:100], v[99:100], v[101:102]
	v_xor_b32_e32 v101, 0x80000000, v96
	v_cndmask_b32_e32 v102, v96, v101, vcc
	v_cmp_gt_f64_e32 vcc, 0, v[97:98]
	v_mov_b32_e32 v101, v95
	v_cndmask_b32_e32 v104, v98, v103, vcc
	v_mov_b32_e32 v103, v97
	v_add_f64 v[101:102], v[101:102], v[103:104]
	v_cmp_lt_f64_e32 vcc, v[99:100], v[101:102]
	v_cndmask_b32_e32 v117, v117, v95, vcc
	v_mov_b32_e32 v95, s0
	s_add_i32 s0, s0, 1
	v_cndmask_b32_e32 v118, v118, v96, vcc
	v_cndmask_b32_e32 v120, v120, v98, vcc
	;; [unrolled: 1-line block ×4, first 2 shown]
	s_cmp_lg_u32 s3, s0
	s_cbranch_scc1 .LBB92_778
.LBB92_779:
	s_waitcnt lgkmcnt(0)
	v_cmp_eq_f64_e32 vcc, 0, v[117:118]
	v_cmp_eq_f64_e64 s[0:1], 0, v[119:120]
	s_and_b64 s[0:1], vcc, s[0:1]
	s_and_saveexec_b64 s[18:19], s[0:1]
	s_xor_b64 s[0:1], exec, s[18:19]
; %bb.780:
	v_cmp_ne_u32_e32 vcc, 0, v91
	v_cndmask_b32_e32 v91, 38, v91, vcc
; %bb.781:
	s_andn2_saveexec_b64 s[0:1], s[0:1]
	s_cbranch_execz .LBB92_787
; %bb.782:
	v_cmp_ngt_f64_e64 s[18:19], |v[117:118]|, |v[119:120]|
	s_and_saveexec_b64 s[20:21], s[18:19]
	s_xor_b64 s[18:19], exec, s[20:21]
	s_cbranch_execz .LBB92_784
; %bb.783:
	v_div_scale_f64 v[94:95], s[20:21], v[119:120], v[119:120], v[117:118]
	v_rcp_f64_e32 v[96:97], v[94:95]
	v_fma_f64 v[98:99], -v[94:95], v[96:97], 1.0
	v_fma_f64 v[96:97], v[96:97], v[98:99], v[96:97]
	v_div_scale_f64 v[98:99], vcc, v[117:118], v[119:120], v[117:118]
	v_fma_f64 v[100:101], -v[94:95], v[96:97], 1.0
	v_fma_f64 v[96:97], v[96:97], v[100:101], v[96:97]
	v_mul_f64 v[100:101], v[98:99], v[96:97]
	v_fma_f64 v[94:95], -v[94:95], v[100:101], v[98:99]
	v_div_fmas_f64 v[94:95], v[94:95], v[96:97], v[100:101]
	v_div_fixup_f64 v[94:95], v[94:95], v[119:120], v[117:118]
	v_fma_f64 v[96:97], v[117:118], v[94:95], v[119:120]
	v_div_scale_f64 v[98:99], s[20:21], v[96:97], v[96:97], 1.0
	v_div_scale_f64 v[104:105], vcc, 1.0, v[96:97], 1.0
	v_rcp_f64_e32 v[100:101], v[98:99]
	v_fma_f64 v[102:103], -v[98:99], v[100:101], 1.0
	v_fma_f64 v[100:101], v[100:101], v[102:103], v[100:101]
	v_fma_f64 v[102:103], -v[98:99], v[100:101], 1.0
	v_fma_f64 v[100:101], v[100:101], v[102:103], v[100:101]
	v_mul_f64 v[102:103], v[104:105], v[100:101]
	v_fma_f64 v[98:99], -v[98:99], v[102:103], v[104:105]
	v_div_fmas_f64 v[98:99], v[98:99], v[100:101], v[102:103]
	v_div_fixup_f64 v[119:120], v[98:99], v[96:97], 1.0
	v_mul_f64 v[117:118], v[94:95], v[119:120]
	v_xor_b32_e32 v120, 0x80000000, v120
.LBB92_784:
	s_andn2_saveexec_b64 s[18:19], s[18:19]
	s_cbranch_execz .LBB92_786
; %bb.785:
	v_div_scale_f64 v[94:95], s[20:21], v[117:118], v[117:118], v[119:120]
	v_rcp_f64_e32 v[96:97], v[94:95]
	v_fma_f64 v[98:99], -v[94:95], v[96:97], 1.0
	v_fma_f64 v[96:97], v[96:97], v[98:99], v[96:97]
	v_div_scale_f64 v[98:99], vcc, v[119:120], v[117:118], v[119:120]
	v_fma_f64 v[100:101], -v[94:95], v[96:97], 1.0
	v_fma_f64 v[96:97], v[96:97], v[100:101], v[96:97]
	v_mul_f64 v[100:101], v[98:99], v[96:97]
	v_fma_f64 v[94:95], -v[94:95], v[100:101], v[98:99]
	v_div_fmas_f64 v[94:95], v[94:95], v[96:97], v[100:101]
	v_div_fixup_f64 v[94:95], v[94:95], v[117:118], v[119:120]
	v_fma_f64 v[96:97], v[119:120], v[94:95], v[117:118]
	v_div_scale_f64 v[98:99], s[20:21], v[96:97], v[96:97], 1.0
	v_div_scale_f64 v[104:105], vcc, 1.0, v[96:97], 1.0
	v_rcp_f64_e32 v[100:101], v[98:99]
	v_fma_f64 v[102:103], -v[98:99], v[100:101], 1.0
	v_fma_f64 v[100:101], v[100:101], v[102:103], v[100:101]
	v_fma_f64 v[102:103], -v[98:99], v[100:101], 1.0
	v_fma_f64 v[100:101], v[100:101], v[102:103], v[100:101]
	v_mul_f64 v[102:103], v[104:105], v[100:101]
	v_fma_f64 v[98:99], -v[98:99], v[102:103], v[104:105]
	v_div_fmas_f64 v[98:99], v[98:99], v[100:101], v[102:103]
	v_div_fixup_f64 v[117:118], v[98:99], v[96:97], 1.0
	v_mul_f64 v[119:120], v[94:95], -v[117:118]
.LBB92_786:
	s_or_b64 exec, exec, s[18:19]
.LBB92_787:
	s_or_b64 exec, exec, s[0:1]
	v_cmp_ne_u32_e32 vcc, v92, v93
	s_and_saveexec_b64 s[0:1], vcc
	s_xor_b64 s[0:1], exec, s[0:1]
	s_cbranch_execz .LBB92_793
; %bb.788:
	v_cmp_eq_u32_e32 vcc, 37, v92
	s_and_saveexec_b64 s[18:19], vcc
	s_cbranch_execz .LBB92_792
; %bb.789:
	v_cmp_ne_u32_e32 vcc, 37, v93
	s_xor_b64 s[20:21], s[6:7], -1
	s_and_b64 s[22:23], s[20:21], vcc
	s_and_saveexec_b64 s[20:21], s[22:23]
	s_cbranch_execz .LBB92_791
; %bb.790:
	buffer_load_dword v85, off, s[24:27], 0 offset:336 ; 4-byte Folded Reload
	buffer_load_dword v86, off, s[24:27], 0 offset:340 ; 4-byte Folded Reload
	v_ashrrev_i32_e32 v94, 31, v93
	v_lshlrev_b64 v[94:95], 2, v[93:94]
	s_waitcnt vmcnt(1)
	v_add_co_u32_e32 v94, vcc, v85, v94
	s_waitcnt vmcnt(0)
	v_addc_co_u32_e32 v95, vcc, v86, v95, vcc
	global_load_dword v0, v[94:95], off
	global_load_dword v92, v[85:86], off offset:148
	s_waitcnt vmcnt(1)
	global_store_dword v[85:86], v0, off offset:148
	v_mov_b32_e32 v85, v106
	v_mov_b32_e32 v86, v107
	;; [unrolled: 1-line block ×4, first 2 shown]
	s_waitcnt vmcnt(1)
	global_store_dword v[94:95], v92, off
.LBB92_791:
	s_or_b64 exec, exec, s[20:21]
	v_mov_b32_e32 v92, v93
	v_mov_b32_e32 v0, v93
.LBB92_792:
	s_or_b64 exec, exec, s[18:19]
.LBB92_793:
	s_andn2_saveexec_b64 s[0:1], s[0:1]
	s_cbranch_execz .LBB92_795
; %bb.794:
	v_mov_b32_e32 v92, 37
	ds_write2_b64 v90, v[29:30], v[31:32] offset0:76 offset1:77
	ds_write2_b64 v90, v[25:26], v[27:28] offset0:78 offset1:79
	;; [unrolled: 1-line block ×9, first 2 shown]
.LBB92_795:
	s_or_b64 exec, exec, s[0:1]
	v_cmp_lt_i32_e32 vcc, 37, v92
	s_waitcnt vmcnt(0) lgkmcnt(0)
	s_barrier
	s_and_saveexec_b64 s[0:1], vcc
	s_cbranch_execz .LBB92_797
; %bb.796:
	v_mul_f64 v[93:94], v[117:118], v[35:36]
	v_mul_f64 v[35:36], v[119:120], v[35:36]
	ds_read2_b64 v[95:98], v90 offset0:76 offset1:77
	v_fma_f64 v[93:94], v[119:120], v[33:34], v[93:94]
	v_fma_f64 v[33:34], v[117:118], v[33:34], -v[35:36]
	s_waitcnt lgkmcnt(0)
	v_mul_f64 v[35:36], v[97:98], v[93:94]
	v_fma_f64 v[35:36], v[95:96], v[33:34], -v[35:36]
	v_mul_f64 v[95:96], v[95:96], v[93:94]
	v_add_f64 v[29:30], v[29:30], -v[35:36]
	v_fma_f64 v[95:96], v[97:98], v[33:34], v[95:96]
	v_add_f64 v[31:32], v[31:32], -v[95:96]
	ds_read2_b64 v[95:98], v90 offset0:78 offset1:79
	s_waitcnt lgkmcnt(0)
	v_mul_f64 v[35:36], v[97:98], v[93:94]
	v_fma_f64 v[35:36], v[95:96], v[33:34], -v[35:36]
	v_mul_f64 v[95:96], v[95:96], v[93:94]
	v_add_f64 v[25:26], v[25:26], -v[35:36]
	v_fma_f64 v[95:96], v[97:98], v[33:34], v[95:96]
	v_add_f64 v[27:28], v[27:28], -v[95:96]
	ds_read2_b64 v[95:98], v90 offset0:80 offset1:81
	s_waitcnt lgkmcnt(0)
	v_mul_f64 v[35:36], v[97:98], v[93:94]
	v_fma_f64 v[35:36], v[95:96], v[33:34], -v[35:36]
	v_mul_f64 v[95:96], v[95:96], v[93:94]
	v_add_f64 v[21:22], v[21:22], -v[35:36]
	v_fma_f64 v[95:96], v[97:98], v[33:34], v[95:96]
	v_add_f64 v[23:24], v[23:24], -v[95:96]
	ds_read2_b64 v[95:98], v90 offset0:82 offset1:83
	s_waitcnt lgkmcnt(0)
	v_mul_f64 v[35:36], v[97:98], v[93:94]
	v_fma_f64 v[35:36], v[95:96], v[33:34], -v[35:36]
	v_mul_f64 v[95:96], v[95:96], v[93:94]
	v_add_f64 v[17:18], v[17:18], -v[35:36]
	v_fma_f64 v[95:96], v[97:98], v[33:34], v[95:96]
	v_add_f64 v[19:20], v[19:20], -v[95:96]
	ds_read2_b64 v[95:98], v90 offset0:84 offset1:85
	s_waitcnt lgkmcnt(0)
	v_mul_f64 v[35:36], v[97:98], v[93:94]
	v_fma_f64 v[35:36], v[95:96], v[33:34], -v[35:36]
	v_mul_f64 v[95:96], v[95:96], v[93:94]
	v_add_f64 v[13:14], v[13:14], -v[35:36]
	v_fma_f64 v[95:96], v[97:98], v[33:34], v[95:96]
	v_add_f64 v[15:16], v[15:16], -v[95:96]
	ds_read2_b64 v[95:98], v90 offset0:86 offset1:87
	s_waitcnt lgkmcnt(0)
	v_mul_f64 v[35:36], v[97:98], v[93:94]
	v_fma_f64 v[35:36], v[95:96], v[33:34], -v[35:36]
	v_mul_f64 v[95:96], v[95:96], v[93:94]
	v_add_f64 v[9:10], v[9:10], -v[35:36]
	v_fma_f64 v[95:96], v[97:98], v[33:34], v[95:96]
	v_add_f64 v[11:12], v[11:12], -v[95:96]
	ds_read2_b64 v[95:98], v90 offset0:88 offset1:89
	s_waitcnt lgkmcnt(0)
	v_mul_f64 v[35:36], v[97:98], v[93:94]
	v_fma_f64 v[35:36], v[95:96], v[33:34], -v[35:36]
	v_mul_f64 v[95:96], v[95:96], v[93:94]
	v_add_f64 v[5:6], v[5:6], -v[35:36]
	v_fma_f64 v[95:96], v[97:98], v[33:34], v[95:96]
	v_add_f64 v[7:8], v[7:8], -v[95:96]
	ds_read2_b64 v[95:98], v90 offset0:90 offset1:91
	s_waitcnt lgkmcnt(0)
	v_mul_f64 v[35:36], v[97:98], v[93:94]
	v_fma_f64 v[35:36], v[95:96], v[33:34], -v[35:36]
	v_mul_f64 v[95:96], v[95:96], v[93:94]
	v_add_f64 v[1:2], v[1:2], -v[35:36]
	v_fma_f64 v[95:96], v[97:98], v[33:34], v[95:96]
	v_add_f64 v[3:4], v[3:4], -v[95:96]
	ds_read2_b64 v[95:98], v90 offset0:92 offset1:93
	s_waitcnt lgkmcnt(0)
	v_mul_f64 v[35:36], v[97:98], v[93:94]
	v_fma_f64 v[35:36], v[95:96], v[33:34], -v[35:36]
	v_mul_f64 v[95:96], v[95:96], v[93:94]
	v_add_f64 v[121:122], v[121:122], -v[35:36]
	v_fma_f64 v[95:96], v[97:98], v[33:34], v[95:96]
	v_mov_b32_e32 v35, v93
	v_mov_b32_e32 v36, v94
	v_add_f64 v[123:124], v[123:124], -v[95:96]
.LBB92_797:
	s_or_b64 exec, exec, s[0:1]
	v_lshl_add_u32 v93, v92, 4, v90
	s_barrier
	ds_write2_b64 v93, v[29:30], v[31:32] offset1:1
	s_waitcnt lgkmcnt(0)
	s_barrier
	ds_read2_b64 v[117:120], v90 offset0:76 offset1:77
	s_cmp_lt_i32 s3, 40
	v_mov_b32_e32 v93, 38
	s_cbranch_scc1 .LBB92_800
; %bb.798:
	v_add_u32_e32 v94, 0x270, v90
	s_mov_b32 s0, 39
	v_mov_b32_e32 v93, 38
.LBB92_799:                             ; =>This Inner Loop Header: Depth=1
	s_waitcnt lgkmcnt(0)
	v_cmp_gt_f64_e32 vcc, 0, v[117:118]
	v_xor_b32_e32 v99, 0x80000000, v118
	ds_read2_b64 v[95:98], v94 offset1:1
	v_xor_b32_e32 v101, 0x80000000, v120
	v_add_u32_e32 v94, 16, v94
	s_waitcnt lgkmcnt(0)
	v_xor_b32_e32 v103, 0x80000000, v98
	v_cndmask_b32_e32 v100, v118, v99, vcc
	v_cmp_gt_f64_e32 vcc, 0, v[119:120]
	v_mov_b32_e32 v99, v117
	v_cndmask_b32_e32 v102, v120, v101, vcc
	v_cmp_gt_f64_e32 vcc, 0, v[95:96]
	v_mov_b32_e32 v101, v119
	v_add_f64 v[99:100], v[99:100], v[101:102]
	v_xor_b32_e32 v101, 0x80000000, v96
	v_cndmask_b32_e32 v102, v96, v101, vcc
	v_cmp_gt_f64_e32 vcc, 0, v[97:98]
	v_mov_b32_e32 v101, v95
	v_cndmask_b32_e32 v104, v98, v103, vcc
	v_mov_b32_e32 v103, v97
	v_add_f64 v[101:102], v[101:102], v[103:104]
	v_cmp_lt_f64_e32 vcc, v[99:100], v[101:102]
	v_cndmask_b32_e32 v117, v117, v95, vcc
	v_mov_b32_e32 v95, s0
	s_add_i32 s0, s0, 1
	v_cndmask_b32_e32 v118, v118, v96, vcc
	v_cndmask_b32_e32 v120, v120, v98, vcc
	;; [unrolled: 1-line block ×4, first 2 shown]
	s_cmp_lg_u32 s3, s0
	s_cbranch_scc1 .LBB92_799
.LBB92_800:
	s_waitcnt lgkmcnt(0)
	v_cmp_eq_f64_e32 vcc, 0, v[117:118]
	v_cmp_eq_f64_e64 s[0:1], 0, v[119:120]
	s_and_b64 s[0:1], vcc, s[0:1]
	s_and_saveexec_b64 s[18:19], s[0:1]
	s_xor_b64 s[0:1], exec, s[18:19]
; %bb.801:
	v_cmp_ne_u32_e32 vcc, 0, v91
	v_cndmask_b32_e32 v91, 39, v91, vcc
; %bb.802:
	s_andn2_saveexec_b64 s[0:1], s[0:1]
	s_cbranch_execz .LBB92_808
; %bb.803:
	v_cmp_ngt_f64_e64 s[18:19], |v[117:118]|, |v[119:120]|
	s_and_saveexec_b64 s[20:21], s[18:19]
	s_xor_b64 s[18:19], exec, s[20:21]
	s_cbranch_execz .LBB92_805
; %bb.804:
	v_div_scale_f64 v[94:95], s[20:21], v[119:120], v[119:120], v[117:118]
	v_rcp_f64_e32 v[96:97], v[94:95]
	v_fma_f64 v[98:99], -v[94:95], v[96:97], 1.0
	v_fma_f64 v[96:97], v[96:97], v[98:99], v[96:97]
	v_div_scale_f64 v[98:99], vcc, v[117:118], v[119:120], v[117:118]
	v_fma_f64 v[100:101], -v[94:95], v[96:97], 1.0
	v_fma_f64 v[96:97], v[96:97], v[100:101], v[96:97]
	v_mul_f64 v[100:101], v[98:99], v[96:97]
	v_fma_f64 v[94:95], -v[94:95], v[100:101], v[98:99]
	v_div_fmas_f64 v[94:95], v[94:95], v[96:97], v[100:101]
	v_div_fixup_f64 v[94:95], v[94:95], v[119:120], v[117:118]
	v_fma_f64 v[96:97], v[117:118], v[94:95], v[119:120]
	v_div_scale_f64 v[98:99], s[20:21], v[96:97], v[96:97], 1.0
	v_div_scale_f64 v[104:105], vcc, 1.0, v[96:97], 1.0
	v_rcp_f64_e32 v[100:101], v[98:99]
	v_fma_f64 v[102:103], -v[98:99], v[100:101], 1.0
	v_fma_f64 v[100:101], v[100:101], v[102:103], v[100:101]
	v_fma_f64 v[102:103], -v[98:99], v[100:101], 1.0
	v_fma_f64 v[100:101], v[100:101], v[102:103], v[100:101]
	v_mul_f64 v[102:103], v[104:105], v[100:101]
	v_fma_f64 v[98:99], -v[98:99], v[102:103], v[104:105]
	v_div_fmas_f64 v[98:99], v[98:99], v[100:101], v[102:103]
	v_div_fixup_f64 v[119:120], v[98:99], v[96:97], 1.0
	v_mul_f64 v[117:118], v[94:95], v[119:120]
	v_xor_b32_e32 v120, 0x80000000, v120
.LBB92_805:
	s_andn2_saveexec_b64 s[18:19], s[18:19]
	s_cbranch_execz .LBB92_807
; %bb.806:
	v_div_scale_f64 v[94:95], s[20:21], v[117:118], v[117:118], v[119:120]
	v_rcp_f64_e32 v[96:97], v[94:95]
	v_fma_f64 v[98:99], -v[94:95], v[96:97], 1.0
	v_fma_f64 v[96:97], v[96:97], v[98:99], v[96:97]
	v_div_scale_f64 v[98:99], vcc, v[119:120], v[117:118], v[119:120]
	v_fma_f64 v[100:101], -v[94:95], v[96:97], 1.0
	v_fma_f64 v[96:97], v[96:97], v[100:101], v[96:97]
	v_mul_f64 v[100:101], v[98:99], v[96:97]
	v_fma_f64 v[94:95], -v[94:95], v[100:101], v[98:99]
	v_div_fmas_f64 v[94:95], v[94:95], v[96:97], v[100:101]
	v_div_fixup_f64 v[94:95], v[94:95], v[117:118], v[119:120]
	v_fma_f64 v[96:97], v[119:120], v[94:95], v[117:118]
	v_div_scale_f64 v[98:99], s[20:21], v[96:97], v[96:97], 1.0
	v_div_scale_f64 v[104:105], vcc, 1.0, v[96:97], 1.0
	v_rcp_f64_e32 v[100:101], v[98:99]
	v_fma_f64 v[102:103], -v[98:99], v[100:101], 1.0
	v_fma_f64 v[100:101], v[100:101], v[102:103], v[100:101]
	v_fma_f64 v[102:103], -v[98:99], v[100:101], 1.0
	v_fma_f64 v[100:101], v[100:101], v[102:103], v[100:101]
	v_mul_f64 v[102:103], v[104:105], v[100:101]
	v_fma_f64 v[98:99], -v[98:99], v[102:103], v[104:105]
	v_div_fmas_f64 v[98:99], v[98:99], v[100:101], v[102:103]
	v_div_fixup_f64 v[117:118], v[98:99], v[96:97], 1.0
	v_mul_f64 v[119:120], v[94:95], -v[117:118]
.LBB92_807:
	s_or_b64 exec, exec, s[18:19]
.LBB92_808:
	s_or_b64 exec, exec, s[0:1]
	v_cmp_ne_u32_e32 vcc, v92, v93
	s_and_saveexec_b64 s[0:1], vcc
	s_xor_b64 s[0:1], exec, s[0:1]
	s_cbranch_execz .LBB92_814
; %bb.809:
	v_cmp_eq_u32_e32 vcc, 38, v92
	s_and_saveexec_b64 s[18:19], vcc
	s_cbranch_execz .LBB92_813
; %bb.810:
	v_cmp_ne_u32_e32 vcc, 38, v93
	s_xor_b64 s[20:21], s[6:7], -1
	s_and_b64 s[22:23], s[20:21], vcc
	s_and_saveexec_b64 s[20:21], s[22:23]
	s_cbranch_execz .LBB92_812
; %bb.811:
	buffer_load_dword v85, off, s[24:27], 0 offset:336 ; 4-byte Folded Reload
	buffer_load_dword v86, off, s[24:27], 0 offset:340 ; 4-byte Folded Reload
	v_ashrrev_i32_e32 v94, 31, v93
	v_lshlrev_b64 v[94:95], 2, v[93:94]
	s_waitcnt vmcnt(1)
	v_add_co_u32_e32 v94, vcc, v85, v94
	s_waitcnt vmcnt(0)
	v_addc_co_u32_e32 v95, vcc, v86, v95, vcc
	global_load_dword v0, v[94:95], off
	global_load_dword v92, v[85:86], off offset:152
	s_waitcnt vmcnt(1)
	global_store_dword v[85:86], v0, off offset:152
	v_mov_b32_e32 v85, v106
	v_mov_b32_e32 v86, v107
	;; [unrolled: 1-line block ×4, first 2 shown]
	s_waitcnt vmcnt(1)
	global_store_dword v[94:95], v92, off
.LBB92_812:
	s_or_b64 exec, exec, s[20:21]
	v_mov_b32_e32 v92, v93
	v_mov_b32_e32 v0, v93
.LBB92_813:
	s_or_b64 exec, exec, s[18:19]
.LBB92_814:
	s_andn2_saveexec_b64 s[0:1], s[0:1]
	s_cbranch_execz .LBB92_816
; %bb.815:
	v_mov_b32_e32 v92, 38
	ds_write2_b64 v90, v[25:26], v[27:28] offset0:78 offset1:79
	ds_write2_b64 v90, v[21:22], v[23:24] offset0:80 offset1:81
	;; [unrolled: 1-line block ×8, first 2 shown]
.LBB92_816:
	s_or_b64 exec, exec, s[0:1]
	v_cmp_lt_i32_e32 vcc, 38, v92
	s_waitcnt vmcnt(0) lgkmcnt(0)
	s_barrier
	s_and_saveexec_b64 s[0:1], vcc
	s_cbranch_execz .LBB92_818
; %bb.817:
	v_mul_f64 v[93:94], v[117:118], v[31:32]
	v_mul_f64 v[31:32], v[119:120], v[31:32]
	ds_read2_b64 v[95:98], v90 offset0:78 offset1:79
	v_fma_f64 v[93:94], v[119:120], v[29:30], v[93:94]
	v_fma_f64 v[29:30], v[117:118], v[29:30], -v[31:32]
	s_waitcnt lgkmcnt(0)
	v_mul_f64 v[31:32], v[97:98], v[93:94]
	v_fma_f64 v[31:32], v[95:96], v[29:30], -v[31:32]
	v_mul_f64 v[95:96], v[95:96], v[93:94]
	v_add_f64 v[25:26], v[25:26], -v[31:32]
	v_fma_f64 v[95:96], v[97:98], v[29:30], v[95:96]
	v_add_f64 v[27:28], v[27:28], -v[95:96]
	ds_read2_b64 v[95:98], v90 offset0:80 offset1:81
	s_waitcnt lgkmcnt(0)
	v_mul_f64 v[31:32], v[97:98], v[93:94]
	v_fma_f64 v[31:32], v[95:96], v[29:30], -v[31:32]
	v_mul_f64 v[95:96], v[95:96], v[93:94]
	v_add_f64 v[21:22], v[21:22], -v[31:32]
	v_fma_f64 v[95:96], v[97:98], v[29:30], v[95:96]
	v_add_f64 v[23:24], v[23:24], -v[95:96]
	ds_read2_b64 v[95:98], v90 offset0:82 offset1:83
	;; [unrolled: 8-line block ×7, first 2 shown]
	s_waitcnt lgkmcnt(0)
	v_mul_f64 v[31:32], v[97:98], v[93:94]
	v_fma_f64 v[31:32], v[95:96], v[29:30], -v[31:32]
	v_mul_f64 v[95:96], v[95:96], v[93:94]
	v_add_f64 v[121:122], v[121:122], -v[31:32]
	v_fma_f64 v[95:96], v[97:98], v[29:30], v[95:96]
	v_mov_b32_e32 v31, v93
	v_mov_b32_e32 v32, v94
	v_add_f64 v[123:124], v[123:124], -v[95:96]
.LBB92_818:
	s_or_b64 exec, exec, s[0:1]
	v_lshl_add_u32 v93, v92, 4, v90
	s_barrier
	ds_write2_b64 v93, v[25:26], v[27:28] offset1:1
	s_waitcnt lgkmcnt(0)
	s_barrier
	ds_read2_b64 v[117:120], v90 offset0:78 offset1:79
	s_cmp_lt_i32 s3, 41
	v_mov_b32_e32 v93, 39
	s_cbranch_scc1 .LBB92_821
; %bb.819:
	v_add_u32_e32 v94, 0x280, v90
	s_mov_b32 s0, 40
	v_mov_b32_e32 v93, 39
.LBB92_820:                             ; =>This Inner Loop Header: Depth=1
	s_waitcnt lgkmcnt(0)
	v_cmp_gt_f64_e32 vcc, 0, v[117:118]
	v_xor_b32_e32 v99, 0x80000000, v118
	ds_read2_b64 v[95:98], v94 offset1:1
	v_xor_b32_e32 v101, 0x80000000, v120
	v_add_u32_e32 v94, 16, v94
	s_waitcnt lgkmcnt(0)
	v_xor_b32_e32 v103, 0x80000000, v98
	v_cndmask_b32_e32 v100, v118, v99, vcc
	v_cmp_gt_f64_e32 vcc, 0, v[119:120]
	v_mov_b32_e32 v99, v117
	v_cndmask_b32_e32 v102, v120, v101, vcc
	v_cmp_gt_f64_e32 vcc, 0, v[95:96]
	v_mov_b32_e32 v101, v119
	v_add_f64 v[99:100], v[99:100], v[101:102]
	v_xor_b32_e32 v101, 0x80000000, v96
	v_cndmask_b32_e32 v102, v96, v101, vcc
	v_cmp_gt_f64_e32 vcc, 0, v[97:98]
	v_mov_b32_e32 v101, v95
	v_cndmask_b32_e32 v104, v98, v103, vcc
	v_mov_b32_e32 v103, v97
	v_add_f64 v[101:102], v[101:102], v[103:104]
	v_cmp_lt_f64_e32 vcc, v[99:100], v[101:102]
	v_cndmask_b32_e32 v117, v117, v95, vcc
	v_mov_b32_e32 v95, s0
	s_add_i32 s0, s0, 1
	v_cndmask_b32_e32 v118, v118, v96, vcc
	v_cndmask_b32_e32 v120, v120, v98, vcc
	;; [unrolled: 1-line block ×4, first 2 shown]
	s_cmp_lg_u32 s3, s0
	s_cbranch_scc1 .LBB92_820
.LBB92_821:
	s_waitcnt lgkmcnt(0)
	v_cmp_eq_f64_e32 vcc, 0, v[117:118]
	v_cmp_eq_f64_e64 s[0:1], 0, v[119:120]
	s_and_b64 s[0:1], vcc, s[0:1]
	s_and_saveexec_b64 s[18:19], s[0:1]
	s_xor_b64 s[0:1], exec, s[18:19]
; %bb.822:
	v_cmp_ne_u32_e32 vcc, 0, v91
	v_cndmask_b32_e32 v91, 40, v91, vcc
; %bb.823:
	s_andn2_saveexec_b64 s[0:1], s[0:1]
	s_cbranch_execz .LBB92_829
; %bb.824:
	v_cmp_ngt_f64_e64 s[18:19], |v[117:118]|, |v[119:120]|
	s_and_saveexec_b64 s[20:21], s[18:19]
	s_xor_b64 s[18:19], exec, s[20:21]
	s_cbranch_execz .LBB92_826
; %bb.825:
	v_div_scale_f64 v[94:95], s[20:21], v[119:120], v[119:120], v[117:118]
	v_rcp_f64_e32 v[96:97], v[94:95]
	v_fma_f64 v[98:99], -v[94:95], v[96:97], 1.0
	v_fma_f64 v[96:97], v[96:97], v[98:99], v[96:97]
	v_div_scale_f64 v[98:99], vcc, v[117:118], v[119:120], v[117:118]
	v_fma_f64 v[100:101], -v[94:95], v[96:97], 1.0
	v_fma_f64 v[96:97], v[96:97], v[100:101], v[96:97]
	v_mul_f64 v[100:101], v[98:99], v[96:97]
	v_fma_f64 v[94:95], -v[94:95], v[100:101], v[98:99]
	v_div_fmas_f64 v[94:95], v[94:95], v[96:97], v[100:101]
	v_div_fixup_f64 v[94:95], v[94:95], v[119:120], v[117:118]
	v_fma_f64 v[96:97], v[117:118], v[94:95], v[119:120]
	v_div_scale_f64 v[98:99], s[20:21], v[96:97], v[96:97], 1.0
	v_div_scale_f64 v[104:105], vcc, 1.0, v[96:97], 1.0
	v_rcp_f64_e32 v[100:101], v[98:99]
	v_fma_f64 v[102:103], -v[98:99], v[100:101], 1.0
	v_fma_f64 v[100:101], v[100:101], v[102:103], v[100:101]
	v_fma_f64 v[102:103], -v[98:99], v[100:101], 1.0
	v_fma_f64 v[100:101], v[100:101], v[102:103], v[100:101]
	v_mul_f64 v[102:103], v[104:105], v[100:101]
	v_fma_f64 v[98:99], -v[98:99], v[102:103], v[104:105]
	v_div_fmas_f64 v[98:99], v[98:99], v[100:101], v[102:103]
	v_div_fixup_f64 v[119:120], v[98:99], v[96:97], 1.0
	v_mul_f64 v[117:118], v[94:95], v[119:120]
	v_xor_b32_e32 v120, 0x80000000, v120
.LBB92_826:
	s_andn2_saveexec_b64 s[18:19], s[18:19]
	s_cbranch_execz .LBB92_828
; %bb.827:
	v_div_scale_f64 v[94:95], s[20:21], v[117:118], v[117:118], v[119:120]
	v_rcp_f64_e32 v[96:97], v[94:95]
	v_fma_f64 v[98:99], -v[94:95], v[96:97], 1.0
	v_fma_f64 v[96:97], v[96:97], v[98:99], v[96:97]
	v_div_scale_f64 v[98:99], vcc, v[119:120], v[117:118], v[119:120]
	v_fma_f64 v[100:101], -v[94:95], v[96:97], 1.0
	v_fma_f64 v[96:97], v[96:97], v[100:101], v[96:97]
	v_mul_f64 v[100:101], v[98:99], v[96:97]
	v_fma_f64 v[94:95], -v[94:95], v[100:101], v[98:99]
	v_div_fmas_f64 v[94:95], v[94:95], v[96:97], v[100:101]
	v_div_fixup_f64 v[94:95], v[94:95], v[117:118], v[119:120]
	v_fma_f64 v[96:97], v[119:120], v[94:95], v[117:118]
	v_div_scale_f64 v[98:99], s[20:21], v[96:97], v[96:97], 1.0
	v_div_scale_f64 v[104:105], vcc, 1.0, v[96:97], 1.0
	v_rcp_f64_e32 v[100:101], v[98:99]
	v_fma_f64 v[102:103], -v[98:99], v[100:101], 1.0
	v_fma_f64 v[100:101], v[100:101], v[102:103], v[100:101]
	v_fma_f64 v[102:103], -v[98:99], v[100:101], 1.0
	v_fma_f64 v[100:101], v[100:101], v[102:103], v[100:101]
	v_mul_f64 v[102:103], v[104:105], v[100:101]
	v_fma_f64 v[98:99], -v[98:99], v[102:103], v[104:105]
	v_div_fmas_f64 v[98:99], v[98:99], v[100:101], v[102:103]
	v_div_fixup_f64 v[117:118], v[98:99], v[96:97], 1.0
	v_mul_f64 v[119:120], v[94:95], -v[117:118]
.LBB92_828:
	s_or_b64 exec, exec, s[18:19]
.LBB92_829:
	s_or_b64 exec, exec, s[0:1]
	v_cmp_ne_u32_e32 vcc, v92, v93
	s_and_saveexec_b64 s[0:1], vcc
	s_xor_b64 s[0:1], exec, s[0:1]
	s_cbranch_execz .LBB92_835
; %bb.830:
	v_cmp_eq_u32_e32 vcc, 39, v92
	s_and_saveexec_b64 s[18:19], vcc
	s_cbranch_execz .LBB92_834
; %bb.831:
	v_cmp_ne_u32_e32 vcc, 39, v93
	s_xor_b64 s[20:21], s[6:7], -1
	s_and_b64 s[22:23], s[20:21], vcc
	s_and_saveexec_b64 s[20:21], s[22:23]
	s_cbranch_execz .LBB92_833
; %bb.832:
	buffer_load_dword v85, off, s[24:27], 0 offset:336 ; 4-byte Folded Reload
	buffer_load_dword v86, off, s[24:27], 0 offset:340 ; 4-byte Folded Reload
	v_ashrrev_i32_e32 v94, 31, v93
	v_lshlrev_b64 v[94:95], 2, v[93:94]
	s_waitcnt vmcnt(1)
	v_add_co_u32_e32 v94, vcc, v85, v94
	s_waitcnt vmcnt(0)
	v_addc_co_u32_e32 v95, vcc, v86, v95, vcc
	global_load_dword v0, v[94:95], off
	global_load_dword v92, v[85:86], off offset:156
	s_waitcnt vmcnt(1)
	global_store_dword v[85:86], v0, off offset:156
	v_mov_b32_e32 v85, v106
	v_mov_b32_e32 v86, v107
	;; [unrolled: 1-line block ×4, first 2 shown]
	s_waitcnt vmcnt(1)
	global_store_dword v[94:95], v92, off
.LBB92_833:
	s_or_b64 exec, exec, s[20:21]
	v_mov_b32_e32 v92, v93
	v_mov_b32_e32 v0, v93
.LBB92_834:
	s_or_b64 exec, exec, s[18:19]
.LBB92_835:
	s_andn2_saveexec_b64 s[0:1], s[0:1]
	s_cbranch_execz .LBB92_837
; %bb.836:
	v_mov_b32_e32 v92, 39
	ds_write2_b64 v90, v[21:22], v[23:24] offset0:80 offset1:81
	ds_write2_b64 v90, v[17:18], v[19:20] offset0:82 offset1:83
	;; [unrolled: 1-line block ×7, first 2 shown]
.LBB92_837:
	s_or_b64 exec, exec, s[0:1]
	v_cmp_lt_i32_e32 vcc, 39, v92
	s_waitcnt vmcnt(0) lgkmcnt(0)
	s_barrier
	s_and_saveexec_b64 s[0:1], vcc
	s_cbranch_execz .LBB92_839
; %bb.838:
	v_mul_f64 v[93:94], v[117:118], v[27:28]
	v_mul_f64 v[27:28], v[119:120], v[27:28]
	ds_read2_b64 v[95:98], v90 offset0:80 offset1:81
	v_fma_f64 v[93:94], v[119:120], v[25:26], v[93:94]
	v_fma_f64 v[25:26], v[117:118], v[25:26], -v[27:28]
	s_waitcnt lgkmcnt(0)
	v_mul_f64 v[27:28], v[97:98], v[93:94]
	v_fma_f64 v[27:28], v[95:96], v[25:26], -v[27:28]
	v_mul_f64 v[95:96], v[95:96], v[93:94]
	v_add_f64 v[21:22], v[21:22], -v[27:28]
	v_fma_f64 v[95:96], v[97:98], v[25:26], v[95:96]
	v_add_f64 v[23:24], v[23:24], -v[95:96]
	ds_read2_b64 v[95:98], v90 offset0:82 offset1:83
	s_waitcnt lgkmcnt(0)
	v_mul_f64 v[27:28], v[97:98], v[93:94]
	v_fma_f64 v[27:28], v[95:96], v[25:26], -v[27:28]
	v_mul_f64 v[95:96], v[95:96], v[93:94]
	v_add_f64 v[17:18], v[17:18], -v[27:28]
	v_fma_f64 v[95:96], v[97:98], v[25:26], v[95:96]
	v_add_f64 v[19:20], v[19:20], -v[95:96]
	ds_read2_b64 v[95:98], v90 offset0:84 offset1:85
	;; [unrolled: 8-line block ×6, first 2 shown]
	s_waitcnt lgkmcnt(0)
	v_mul_f64 v[27:28], v[97:98], v[93:94]
	v_fma_f64 v[27:28], v[95:96], v[25:26], -v[27:28]
	v_mul_f64 v[95:96], v[95:96], v[93:94]
	v_add_f64 v[121:122], v[121:122], -v[27:28]
	v_fma_f64 v[95:96], v[97:98], v[25:26], v[95:96]
	v_mov_b32_e32 v27, v93
	v_mov_b32_e32 v28, v94
	v_add_f64 v[123:124], v[123:124], -v[95:96]
.LBB92_839:
	s_or_b64 exec, exec, s[0:1]
	v_lshl_add_u32 v93, v92, 4, v90
	s_barrier
	ds_write2_b64 v93, v[21:22], v[23:24] offset1:1
	s_waitcnt lgkmcnt(0)
	s_barrier
	ds_read2_b64 v[117:120], v90 offset0:80 offset1:81
	s_cmp_lt_i32 s3, 42
	v_mov_b32_e32 v93, 40
	s_cbranch_scc1 .LBB92_842
; %bb.840:
	v_add_u32_e32 v94, 0x290, v90
	s_mov_b32 s0, 41
	v_mov_b32_e32 v93, 40
.LBB92_841:                             ; =>This Inner Loop Header: Depth=1
	s_waitcnt lgkmcnt(0)
	v_cmp_gt_f64_e32 vcc, 0, v[117:118]
	v_xor_b32_e32 v99, 0x80000000, v118
	ds_read2_b64 v[95:98], v94 offset1:1
	v_xor_b32_e32 v101, 0x80000000, v120
	v_add_u32_e32 v94, 16, v94
	s_waitcnt lgkmcnt(0)
	v_xor_b32_e32 v103, 0x80000000, v98
	v_cndmask_b32_e32 v100, v118, v99, vcc
	v_cmp_gt_f64_e32 vcc, 0, v[119:120]
	v_mov_b32_e32 v99, v117
	v_cndmask_b32_e32 v102, v120, v101, vcc
	v_cmp_gt_f64_e32 vcc, 0, v[95:96]
	v_mov_b32_e32 v101, v119
	v_add_f64 v[99:100], v[99:100], v[101:102]
	v_xor_b32_e32 v101, 0x80000000, v96
	v_cndmask_b32_e32 v102, v96, v101, vcc
	v_cmp_gt_f64_e32 vcc, 0, v[97:98]
	v_mov_b32_e32 v101, v95
	v_cndmask_b32_e32 v104, v98, v103, vcc
	v_mov_b32_e32 v103, v97
	v_add_f64 v[101:102], v[101:102], v[103:104]
	v_cmp_lt_f64_e32 vcc, v[99:100], v[101:102]
	v_cndmask_b32_e32 v117, v117, v95, vcc
	v_mov_b32_e32 v95, s0
	s_add_i32 s0, s0, 1
	v_cndmask_b32_e32 v118, v118, v96, vcc
	v_cndmask_b32_e32 v120, v120, v98, vcc
	;; [unrolled: 1-line block ×4, first 2 shown]
	s_cmp_lg_u32 s3, s0
	s_cbranch_scc1 .LBB92_841
.LBB92_842:
	s_waitcnt lgkmcnt(0)
	v_cmp_eq_f64_e32 vcc, 0, v[117:118]
	v_cmp_eq_f64_e64 s[0:1], 0, v[119:120]
	s_and_b64 s[0:1], vcc, s[0:1]
	s_and_saveexec_b64 s[18:19], s[0:1]
	s_xor_b64 s[0:1], exec, s[18:19]
; %bb.843:
	v_cmp_ne_u32_e32 vcc, 0, v91
	v_cndmask_b32_e32 v91, 41, v91, vcc
; %bb.844:
	s_andn2_saveexec_b64 s[0:1], s[0:1]
	s_cbranch_execz .LBB92_850
; %bb.845:
	v_cmp_ngt_f64_e64 s[18:19], |v[117:118]|, |v[119:120]|
	s_and_saveexec_b64 s[20:21], s[18:19]
	s_xor_b64 s[18:19], exec, s[20:21]
	s_cbranch_execz .LBB92_847
; %bb.846:
	v_div_scale_f64 v[94:95], s[20:21], v[119:120], v[119:120], v[117:118]
	v_rcp_f64_e32 v[96:97], v[94:95]
	v_fma_f64 v[98:99], -v[94:95], v[96:97], 1.0
	v_fma_f64 v[96:97], v[96:97], v[98:99], v[96:97]
	v_div_scale_f64 v[98:99], vcc, v[117:118], v[119:120], v[117:118]
	v_fma_f64 v[100:101], -v[94:95], v[96:97], 1.0
	v_fma_f64 v[96:97], v[96:97], v[100:101], v[96:97]
	v_mul_f64 v[100:101], v[98:99], v[96:97]
	v_fma_f64 v[94:95], -v[94:95], v[100:101], v[98:99]
	v_div_fmas_f64 v[94:95], v[94:95], v[96:97], v[100:101]
	v_div_fixup_f64 v[94:95], v[94:95], v[119:120], v[117:118]
	v_fma_f64 v[96:97], v[117:118], v[94:95], v[119:120]
	v_div_scale_f64 v[98:99], s[20:21], v[96:97], v[96:97], 1.0
	v_div_scale_f64 v[104:105], vcc, 1.0, v[96:97], 1.0
	v_rcp_f64_e32 v[100:101], v[98:99]
	v_fma_f64 v[102:103], -v[98:99], v[100:101], 1.0
	v_fma_f64 v[100:101], v[100:101], v[102:103], v[100:101]
	v_fma_f64 v[102:103], -v[98:99], v[100:101], 1.0
	v_fma_f64 v[100:101], v[100:101], v[102:103], v[100:101]
	v_mul_f64 v[102:103], v[104:105], v[100:101]
	v_fma_f64 v[98:99], -v[98:99], v[102:103], v[104:105]
	v_div_fmas_f64 v[98:99], v[98:99], v[100:101], v[102:103]
	v_div_fixup_f64 v[119:120], v[98:99], v[96:97], 1.0
	v_mul_f64 v[117:118], v[94:95], v[119:120]
	v_xor_b32_e32 v120, 0x80000000, v120
.LBB92_847:
	s_andn2_saveexec_b64 s[18:19], s[18:19]
	s_cbranch_execz .LBB92_849
; %bb.848:
	v_div_scale_f64 v[94:95], s[20:21], v[117:118], v[117:118], v[119:120]
	v_rcp_f64_e32 v[96:97], v[94:95]
	v_fma_f64 v[98:99], -v[94:95], v[96:97], 1.0
	v_fma_f64 v[96:97], v[96:97], v[98:99], v[96:97]
	v_div_scale_f64 v[98:99], vcc, v[119:120], v[117:118], v[119:120]
	v_fma_f64 v[100:101], -v[94:95], v[96:97], 1.0
	v_fma_f64 v[96:97], v[96:97], v[100:101], v[96:97]
	v_mul_f64 v[100:101], v[98:99], v[96:97]
	v_fma_f64 v[94:95], -v[94:95], v[100:101], v[98:99]
	v_div_fmas_f64 v[94:95], v[94:95], v[96:97], v[100:101]
	v_div_fixup_f64 v[94:95], v[94:95], v[117:118], v[119:120]
	v_fma_f64 v[96:97], v[119:120], v[94:95], v[117:118]
	v_div_scale_f64 v[98:99], s[20:21], v[96:97], v[96:97], 1.0
	v_div_scale_f64 v[104:105], vcc, 1.0, v[96:97], 1.0
	v_rcp_f64_e32 v[100:101], v[98:99]
	v_fma_f64 v[102:103], -v[98:99], v[100:101], 1.0
	v_fma_f64 v[100:101], v[100:101], v[102:103], v[100:101]
	v_fma_f64 v[102:103], -v[98:99], v[100:101], 1.0
	v_fma_f64 v[100:101], v[100:101], v[102:103], v[100:101]
	v_mul_f64 v[102:103], v[104:105], v[100:101]
	v_fma_f64 v[98:99], -v[98:99], v[102:103], v[104:105]
	v_div_fmas_f64 v[98:99], v[98:99], v[100:101], v[102:103]
	v_div_fixup_f64 v[117:118], v[98:99], v[96:97], 1.0
	v_mul_f64 v[119:120], v[94:95], -v[117:118]
.LBB92_849:
	s_or_b64 exec, exec, s[18:19]
.LBB92_850:
	s_or_b64 exec, exec, s[0:1]
	v_cmp_ne_u32_e32 vcc, v92, v93
	s_and_saveexec_b64 s[0:1], vcc
	s_xor_b64 s[0:1], exec, s[0:1]
	s_cbranch_execz .LBB92_856
; %bb.851:
	v_cmp_eq_u32_e32 vcc, 40, v92
	s_and_saveexec_b64 s[18:19], vcc
	s_cbranch_execz .LBB92_855
; %bb.852:
	v_cmp_ne_u32_e32 vcc, 40, v93
	s_xor_b64 s[20:21], s[6:7], -1
	s_and_b64 s[22:23], s[20:21], vcc
	s_and_saveexec_b64 s[20:21], s[22:23]
	s_cbranch_execz .LBB92_854
; %bb.853:
	buffer_load_dword v85, off, s[24:27], 0 offset:336 ; 4-byte Folded Reload
	buffer_load_dword v86, off, s[24:27], 0 offset:340 ; 4-byte Folded Reload
	v_ashrrev_i32_e32 v94, 31, v93
	v_lshlrev_b64 v[94:95], 2, v[93:94]
	s_waitcnt vmcnt(1)
	v_add_co_u32_e32 v94, vcc, v85, v94
	s_waitcnt vmcnt(0)
	v_addc_co_u32_e32 v95, vcc, v86, v95, vcc
	global_load_dword v0, v[94:95], off
	global_load_dword v92, v[85:86], off offset:160
	s_waitcnt vmcnt(1)
	global_store_dword v[85:86], v0, off offset:160
	v_mov_b32_e32 v85, v106
	v_mov_b32_e32 v86, v107
	;; [unrolled: 1-line block ×4, first 2 shown]
	s_waitcnt vmcnt(1)
	global_store_dword v[94:95], v92, off
.LBB92_854:
	s_or_b64 exec, exec, s[20:21]
	v_mov_b32_e32 v92, v93
	v_mov_b32_e32 v0, v93
.LBB92_855:
	s_or_b64 exec, exec, s[18:19]
.LBB92_856:
	s_andn2_saveexec_b64 s[0:1], s[0:1]
	s_cbranch_execz .LBB92_858
; %bb.857:
	v_mov_b32_e32 v92, 40
	ds_write2_b64 v90, v[17:18], v[19:20] offset0:82 offset1:83
	ds_write2_b64 v90, v[13:14], v[15:16] offset0:84 offset1:85
	;; [unrolled: 1-line block ×6, first 2 shown]
.LBB92_858:
	s_or_b64 exec, exec, s[0:1]
	v_cmp_lt_i32_e32 vcc, 40, v92
	s_waitcnt vmcnt(0) lgkmcnt(0)
	s_barrier
	s_and_saveexec_b64 s[0:1], vcc
	s_cbranch_execz .LBB92_860
; %bb.859:
	v_mul_f64 v[93:94], v[117:118], v[23:24]
	v_mul_f64 v[23:24], v[119:120], v[23:24]
	ds_read2_b64 v[95:98], v90 offset0:82 offset1:83
	v_fma_f64 v[93:94], v[119:120], v[21:22], v[93:94]
	v_fma_f64 v[21:22], v[117:118], v[21:22], -v[23:24]
	s_waitcnt lgkmcnt(0)
	v_mul_f64 v[23:24], v[97:98], v[93:94]
	v_fma_f64 v[23:24], v[95:96], v[21:22], -v[23:24]
	v_mul_f64 v[95:96], v[95:96], v[93:94]
	v_add_f64 v[17:18], v[17:18], -v[23:24]
	v_fma_f64 v[95:96], v[97:98], v[21:22], v[95:96]
	v_add_f64 v[19:20], v[19:20], -v[95:96]
	ds_read2_b64 v[95:98], v90 offset0:84 offset1:85
	s_waitcnt lgkmcnt(0)
	v_mul_f64 v[23:24], v[97:98], v[93:94]
	v_fma_f64 v[23:24], v[95:96], v[21:22], -v[23:24]
	v_mul_f64 v[95:96], v[95:96], v[93:94]
	v_add_f64 v[13:14], v[13:14], -v[23:24]
	v_fma_f64 v[95:96], v[97:98], v[21:22], v[95:96]
	v_add_f64 v[15:16], v[15:16], -v[95:96]
	ds_read2_b64 v[95:98], v90 offset0:86 offset1:87
	;; [unrolled: 8-line block ×5, first 2 shown]
	s_waitcnt lgkmcnt(0)
	v_mul_f64 v[23:24], v[97:98], v[93:94]
	v_fma_f64 v[23:24], v[95:96], v[21:22], -v[23:24]
	v_mul_f64 v[95:96], v[95:96], v[93:94]
	v_add_f64 v[121:122], v[121:122], -v[23:24]
	v_fma_f64 v[95:96], v[97:98], v[21:22], v[95:96]
	v_mov_b32_e32 v23, v93
	v_mov_b32_e32 v24, v94
	v_add_f64 v[123:124], v[123:124], -v[95:96]
.LBB92_860:
	s_or_b64 exec, exec, s[0:1]
	v_lshl_add_u32 v93, v92, 4, v90
	s_barrier
	ds_write2_b64 v93, v[17:18], v[19:20] offset1:1
	s_waitcnt lgkmcnt(0)
	s_barrier
	ds_read2_b64 v[117:120], v90 offset0:82 offset1:83
	s_cmp_lt_i32 s3, 43
	v_mov_b32_e32 v93, 41
	s_cbranch_scc1 .LBB92_863
; %bb.861:
	v_add_u32_e32 v94, 0x2a0, v90
	s_mov_b32 s0, 42
	v_mov_b32_e32 v93, 41
.LBB92_862:                             ; =>This Inner Loop Header: Depth=1
	s_waitcnt lgkmcnt(0)
	v_cmp_gt_f64_e32 vcc, 0, v[117:118]
	v_xor_b32_e32 v99, 0x80000000, v118
	ds_read2_b64 v[95:98], v94 offset1:1
	v_xor_b32_e32 v101, 0x80000000, v120
	v_add_u32_e32 v94, 16, v94
	s_waitcnt lgkmcnt(0)
	v_xor_b32_e32 v103, 0x80000000, v98
	v_cndmask_b32_e32 v100, v118, v99, vcc
	v_cmp_gt_f64_e32 vcc, 0, v[119:120]
	v_mov_b32_e32 v99, v117
	v_cndmask_b32_e32 v102, v120, v101, vcc
	v_cmp_gt_f64_e32 vcc, 0, v[95:96]
	v_mov_b32_e32 v101, v119
	v_add_f64 v[99:100], v[99:100], v[101:102]
	v_xor_b32_e32 v101, 0x80000000, v96
	v_cndmask_b32_e32 v102, v96, v101, vcc
	v_cmp_gt_f64_e32 vcc, 0, v[97:98]
	v_mov_b32_e32 v101, v95
	v_cndmask_b32_e32 v104, v98, v103, vcc
	v_mov_b32_e32 v103, v97
	v_add_f64 v[101:102], v[101:102], v[103:104]
	v_cmp_lt_f64_e32 vcc, v[99:100], v[101:102]
	v_cndmask_b32_e32 v117, v117, v95, vcc
	v_mov_b32_e32 v95, s0
	s_add_i32 s0, s0, 1
	v_cndmask_b32_e32 v118, v118, v96, vcc
	v_cndmask_b32_e32 v120, v120, v98, vcc
	;; [unrolled: 1-line block ×4, first 2 shown]
	s_cmp_lg_u32 s3, s0
	s_cbranch_scc1 .LBB92_862
.LBB92_863:
	s_waitcnt lgkmcnt(0)
	v_cmp_eq_f64_e32 vcc, 0, v[117:118]
	v_cmp_eq_f64_e64 s[0:1], 0, v[119:120]
	s_and_b64 s[0:1], vcc, s[0:1]
	s_and_saveexec_b64 s[18:19], s[0:1]
	s_xor_b64 s[0:1], exec, s[18:19]
; %bb.864:
	v_cmp_ne_u32_e32 vcc, 0, v91
	v_cndmask_b32_e32 v91, 42, v91, vcc
; %bb.865:
	s_andn2_saveexec_b64 s[0:1], s[0:1]
	s_cbranch_execz .LBB92_871
; %bb.866:
	v_cmp_ngt_f64_e64 s[18:19], |v[117:118]|, |v[119:120]|
	s_and_saveexec_b64 s[20:21], s[18:19]
	s_xor_b64 s[18:19], exec, s[20:21]
	s_cbranch_execz .LBB92_868
; %bb.867:
	v_div_scale_f64 v[94:95], s[20:21], v[119:120], v[119:120], v[117:118]
	v_rcp_f64_e32 v[96:97], v[94:95]
	v_fma_f64 v[98:99], -v[94:95], v[96:97], 1.0
	v_fma_f64 v[96:97], v[96:97], v[98:99], v[96:97]
	v_div_scale_f64 v[98:99], vcc, v[117:118], v[119:120], v[117:118]
	v_fma_f64 v[100:101], -v[94:95], v[96:97], 1.0
	v_fma_f64 v[96:97], v[96:97], v[100:101], v[96:97]
	v_mul_f64 v[100:101], v[98:99], v[96:97]
	v_fma_f64 v[94:95], -v[94:95], v[100:101], v[98:99]
	v_div_fmas_f64 v[94:95], v[94:95], v[96:97], v[100:101]
	v_div_fixup_f64 v[94:95], v[94:95], v[119:120], v[117:118]
	v_fma_f64 v[96:97], v[117:118], v[94:95], v[119:120]
	v_div_scale_f64 v[98:99], s[20:21], v[96:97], v[96:97], 1.0
	v_div_scale_f64 v[104:105], vcc, 1.0, v[96:97], 1.0
	v_rcp_f64_e32 v[100:101], v[98:99]
	v_fma_f64 v[102:103], -v[98:99], v[100:101], 1.0
	v_fma_f64 v[100:101], v[100:101], v[102:103], v[100:101]
	v_fma_f64 v[102:103], -v[98:99], v[100:101], 1.0
	v_fma_f64 v[100:101], v[100:101], v[102:103], v[100:101]
	v_mul_f64 v[102:103], v[104:105], v[100:101]
	v_fma_f64 v[98:99], -v[98:99], v[102:103], v[104:105]
	v_div_fmas_f64 v[98:99], v[98:99], v[100:101], v[102:103]
	v_div_fixup_f64 v[119:120], v[98:99], v[96:97], 1.0
	v_mul_f64 v[117:118], v[94:95], v[119:120]
	v_xor_b32_e32 v120, 0x80000000, v120
.LBB92_868:
	s_andn2_saveexec_b64 s[18:19], s[18:19]
	s_cbranch_execz .LBB92_870
; %bb.869:
	v_div_scale_f64 v[94:95], s[20:21], v[117:118], v[117:118], v[119:120]
	v_rcp_f64_e32 v[96:97], v[94:95]
	v_fma_f64 v[98:99], -v[94:95], v[96:97], 1.0
	v_fma_f64 v[96:97], v[96:97], v[98:99], v[96:97]
	v_div_scale_f64 v[98:99], vcc, v[119:120], v[117:118], v[119:120]
	v_fma_f64 v[100:101], -v[94:95], v[96:97], 1.0
	v_fma_f64 v[96:97], v[96:97], v[100:101], v[96:97]
	v_mul_f64 v[100:101], v[98:99], v[96:97]
	v_fma_f64 v[94:95], -v[94:95], v[100:101], v[98:99]
	v_div_fmas_f64 v[94:95], v[94:95], v[96:97], v[100:101]
	v_div_fixup_f64 v[94:95], v[94:95], v[117:118], v[119:120]
	v_fma_f64 v[96:97], v[119:120], v[94:95], v[117:118]
	v_div_scale_f64 v[98:99], s[20:21], v[96:97], v[96:97], 1.0
	v_div_scale_f64 v[104:105], vcc, 1.0, v[96:97], 1.0
	v_rcp_f64_e32 v[100:101], v[98:99]
	v_fma_f64 v[102:103], -v[98:99], v[100:101], 1.0
	v_fma_f64 v[100:101], v[100:101], v[102:103], v[100:101]
	v_fma_f64 v[102:103], -v[98:99], v[100:101], 1.0
	v_fma_f64 v[100:101], v[100:101], v[102:103], v[100:101]
	v_mul_f64 v[102:103], v[104:105], v[100:101]
	v_fma_f64 v[98:99], -v[98:99], v[102:103], v[104:105]
	v_div_fmas_f64 v[98:99], v[98:99], v[100:101], v[102:103]
	v_div_fixup_f64 v[117:118], v[98:99], v[96:97], 1.0
	v_mul_f64 v[119:120], v[94:95], -v[117:118]
.LBB92_870:
	s_or_b64 exec, exec, s[18:19]
.LBB92_871:
	s_or_b64 exec, exec, s[0:1]
	v_cmp_ne_u32_e32 vcc, v92, v93
	s_and_saveexec_b64 s[0:1], vcc
	s_xor_b64 s[0:1], exec, s[0:1]
	s_cbranch_execz .LBB92_877
; %bb.872:
	v_cmp_eq_u32_e32 vcc, 41, v92
	s_and_saveexec_b64 s[18:19], vcc
	s_cbranch_execz .LBB92_876
; %bb.873:
	v_cmp_ne_u32_e32 vcc, 41, v93
	s_xor_b64 s[20:21], s[6:7], -1
	s_and_b64 s[22:23], s[20:21], vcc
	s_and_saveexec_b64 s[20:21], s[22:23]
	s_cbranch_execz .LBB92_875
; %bb.874:
	buffer_load_dword v85, off, s[24:27], 0 offset:336 ; 4-byte Folded Reload
	buffer_load_dword v86, off, s[24:27], 0 offset:340 ; 4-byte Folded Reload
	v_ashrrev_i32_e32 v94, 31, v93
	v_lshlrev_b64 v[94:95], 2, v[93:94]
	s_waitcnt vmcnt(1)
	v_add_co_u32_e32 v94, vcc, v85, v94
	s_waitcnt vmcnt(0)
	v_addc_co_u32_e32 v95, vcc, v86, v95, vcc
	global_load_dword v0, v[94:95], off
	global_load_dword v92, v[85:86], off offset:164
	s_waitcnt vmcnt(1)
	global_store_dword v[85:86], v0, off offset:164
	v_mov_b32_e32 v85, v106
	v_mov_b32_e32 v86, v107
	;; [unrolled: 1-line block ×4, first 2 shown]
	s_waitcnt vmcnt(1)
	global_store_dword v[94:95], v92, off
.LBB92_875:
	s_or_b64 exec, exec, s[20:21]
	v_mov_b32_e32 v92, v93
	v_mov_b32_e32 v0, v93
.LBB92_876:
	s_or_b64 exec, exec, s[18:19]
.LBB92_877:
	s_andn2_saveexec_b64 s[0:1], s[0:1]
	s_cbranch_execz .LBB92_879
; %bb.878:
	v_mov_b32_e32 v92, 41
	ds_write2_b64 v90, v[13:14], v[15:16] offset0:84 offset1:85
	ds_write2_b64 v90, v[9:10], v[11:12] offset0:86 offset1:87
	ds_write2_b64 v90, v[5:6], v[7:8] offset0:88 offset1:89
	ds_write2_b64 v90, v[1:2], v[3:4] offset0:90 offset1:91
	ds_write2_b64 v90, v[121:122], v[123:124] offset0:92 offset1:93
.LBB92_879:
	s_or_b64 exec, exec, s[0:1]
	v_cmp_lt_i32_e32 vcc, 41, v92
	s_waitcnt vmcnt(0) lgkmcnt(0)
	s_barrier
	s_and_saveexec_b64 s[0:1], vcc
	s_cbranch_execz .LBB92_881
; %bb.880:
	v_mul_f64 v[93:94], v[117:118], v[19:20]
	v_mul_f64 v[19:20], v[119:120], v[19:20]
	v_fma_f64 v[97:98], v[119:120], v[17:18], v[93:94]
	ds_read2_b64 v[93:96], v90 offset0:84 offset1:85
	v_fma_f64 v[17:18], v[117:118], v[17:18], -v[19:20]
	s_waitcnt lgkmcnt(0)
	v_mul_f64 v[19:20], v[95:96], v[97:98]
	v_fma_f64 v[19:20], v[93:94], v[17:18], -v[19:20]
	v_mul_f64 v[93:94], v[93:94], v[97:98]
	v_add_f64 v[13:14], v[13:14], -v[19:20]
	v_fma_f64 v[93:94], v[95:96], v[17:18], v[93:94]
	v_add_f64 v[15:16], v[15:16], -v[93:94]
	ds_read2_b64 v[93:96], v90 offset0:86 offset1:87
	s_waitcnt lgkmcnt(0)
	v_mul_f64 v[19:20], v[95:96], v[97:98]
	v_fma_f64 v[19:20], v[93:94], v[17:18], -v[19:20]
	v_mul_f64 v[93:94], v[93:94], v[97:98]
	v_add_f64 v[9:10], v[9:10], -v[19:20]
	v_fma_f64 v[93:94], v[95:96], v[17:18], v[93:94]
	v_add_f64 v[11:12], v[11:12], -v[93:94]
	ds_read2_b64 v[93:96], v90 offset0:88 offset1:89
	;; [unrolled: 8-line block ×4, first 2 shown]
	s_waitcnt lgkmcnt(0)
	v_mul_f64 v[19:20], v[95:96], v[97:98]
	v_fma_f64 v[19:20], v[93:94], v[17:18], -v[19:20]
	v_mul_f64 v[93:94], v[93:94], v[97:98]
	v_add_f64 v[121:122], v[121:122], -v[19:20]
	v_fma_f64 v[93:94], v[95:96], v[17:18], v[93:94]
	v_mov_b32_e32 v19, v97
	v_mov_b32_e32 v20, v98
	v_add_f64 v[123:124], v[123:124], -v[93:94]
.LBB92_881:
	s_or_b64 exec, exec, s[0:1]
	v_lshl_add_u32 v93, v92, 4, v90
	s_barrier
	ds_write2_b64 v93, v[13:14], v[15:16] offset1:1
	s_waitcnt lgkmcnt(0)
	s_barrier
	ds_read2_b64 v[117:120], v90 offset0:84 offset1:85
	s_cmp_lt_i32 s3, 44
	v_mov_b32_e32 v93, 42
	s_cbranch_scc1 .LBB92_884
; %bb.882:
	v_add_u32_e32 v94, 0x2b0, v90
	s_mov_b32 s0, 43
	v_mov_b32_e32 v93, 42
.LBB92_883:                             ; =>This Inner Loop Header: Depth=1
	s_waitcnt lgkmcnt(0)
	v_cmp_gt_f64_e32 vcc, 0, v[117:118]
	v_xor_b32_e32 v99, 0x80000000, v118
	ds_read2_b64 v[95:98], v94 offset1:1
	v_xor_b32_e32 v101, 0x80000000, v120
	v_add_u32_e32 v94, 16, v94
	s_waitcnt lgkmcnt(0)
	v_xor_b32_e32 v103, 0x80000000, v98
	v_cndmask_b32_e32 v100, v118, v99, vcc
	v_cmp_gt_f64_e32 vcc, 0, v[119:120]
	v_mov_b32_e32 v99, v117
	v_cndmask_b32_e32 v102, v120, v101, vcc
	v_cmp_gt_f64_e32 vcc, 0, v[95:96]
	v_mov_b32_e32 v101, v119
	v_add_f64 v[99:100], v[99:100], v[101:102]
	v_xor_b32_e32 v101, 0x80000000, v96
	v_cndmask_b32_e32 v102, v96, v101, vcc
	v_cmp_gt_f64_e32 vcc, 0, v[97:98]
	v_mov_b32_e32 v101, v95
	v_cndmask_b32_e32 v104, v98, v103, vcc
	v_mov_b32_e32 v103, v97
	v_add_f64 v[101:102], v[101:102], v[103:104]
	v_cmp_lt_f64_e32 vcc, v[99:100], v[101:102]
	v_cndmask_b32_e32 v117, v117, v95, vcc
	v_mov_b32_e32 v95, s0
	s_add_i32 s0, s0, 1
	v_cndmask_b32_e32 v118, v118, v96, vcc
	v_cndmask_b32_e32 v120, v120, v98, vcc
	;; [unrolled: 1-line block ×4, first 2 shown]
	s_cmp_lg_u32 s3, s0
	s_cbranch_scc1 .LBB92_883
.LBB92_884:
	s_waitcnt lgkmcnt(0)
	v_cmp_eq_f64_e32 vcc, 0, v[117:118]
	v_cmp_eq_f64_e64 s[0:1], 0, v[119:120]
	s_and_b64 s[0:1], vcc, s[0:1]
	s_and_saveexec_b64 s[18:19], s[0:1]
	s_xor_b64 s[0:1], exec, s[18:19]
; %bb.885:
	v_cmp_ne_u32_e32 vcc, 0, v91
	v_cndmask_b32_e32 v91, 43, v91, vcc
; %bb.886:
	s_andn2_saveexec_b64 s[0:1], s[0:1]
	s_cbranch_execz .LBB92_892
; %bb.887:
	v_cmp_ngt_f64_e64 s[18:19], |v[117:118]|, |v[119:120]|
	s_and_saveexec_b64 s[20:21], s[18:19]
	s_xor_b64 s[18:19], exec, s[20:21]
	s_cbranch_execz .LBB92_889
; %bb.888:
	v_div_scale_f64 v[94:95], s[20:21], v[119:120], v[119:120], v[117:118]
	v_rcp_f64_e32 v[96:97], v[94:95]
	v_fma_f64 v[98:99], -v[94:95], v[96:97], 1.0
	v_fma_f64 v[96:97], v[96:97], v[98:99], v[96:97]
	v_div_scale_f64 v[98:99], vcc, v[117:118], v[119:120], v[117:118]
	v_fma_f64 v[100:101], -v[94:95], v[96:97], 1.0
	v_fma_f64 v[96:97], v[96:97], v[100:101], v[96:97]
	v_mul_f64 v[100:101], v[98:99], v[96:97]
	v_fma_f64 v[94:95], -v[94:95], v[100:101], v[98:99]
	v_div_fmas_f64 v[94:95], v[94:95], v[96:97], v[100:101]
	v_div_fixup_f64 v[94:95], v[94:95], v[119:120], v[117:118]
	v_fma_f64 v[96:97], v[117:118], v[94:95], v[119:120]
	v_div_scale_f64 v[98:99], s[20:21], v[96:97], v[96:97], 1.0
	v_div_scale_f64 v[104:105], vcc, 1.0, v[96:97], 1.0
	v_rcp_f64_e32 v[100:101], v[98:99]
	v_fma_f64 v[102:103], -v[98:99], v[100:101], 1.0
	v_fma_f64 v[100:101], v[100:101], v[102:103], v[100:101]
	v_fma_f64 v[102:103], -v[98:99], v[100:101], 1.0
	v_fma_f64 v[100:101], v[100:101], v[102:103], v[100:101]
	v_mul_f64 v[102:103], v[104:105], v[100:101]
	v_fma_f64 v[98:99], -v[98:99], v[102:103], v[104:105]
	v_div_fmas_f64 v[98:99], v[98:99], v[100:101], v[102:103]
	v_div_fixup_f64 v[119:120], v[98:99], v[96:97], 1.0
	v_mul_f64 v[117:118], v[94:95], v[119:120]
	v_xor_b32_e32 v120, 0x80000000, v120
.LBB92_889:
	s_andn2_saveexec_b64 s[18:19], s[18:19]
	s_cbranch_execz .LBB92_891
; %bb.890:
	v_div_scale_f64 v[94:95], s[20:21], v[117:118], v[117:118], v[119:120]
	v_rcp_f64_e32 v[96:97], v[94:95]
	v_fma_f64 v[98:99], -v[94:95], v[96:97], 1.0
	v_fma_f64 v[96:97], v[96:97], v[98:99], v[96:97]
	v_div_scale_f64 v[98:99], vcc, v[119:120], v[117:118], v[119:120]
	v_fma_f64 v[100:101], -v[94:95], v[96:97], 1.0
	v_fma_f64 v[96:97], v[96:97], v[100:101], v[96:97]
	v_mul_f64 v[100:101], v[98:99], v[96:97]
	v_fma_f64 v[94:95], -v[94:95], v[100:101], v[98:99]
	v_div_fmas_f64 v[94:95], v[94:95], v[96:97], v[100:101]
	v_div_fixup_f64 v[94:95], v[94:95], v[117:118], v[119:120]
	v_fma_f64 v[96:97], v[119:120], v[94:95], v[117:118]
	v_div_scale_f64 v[98:99], s[20:21], v[96:97], v[96:97], 1.0
	v_div_scale_f64 v[104:105], vcc, 1.0, v[96:97], 1.0
	v_rcp_f64_e32 v[100:101], v[98:99]
	v_fma_f64 v[102:103], -v[98:99], v[100:101], 1.0
	v_fma_f64 v[100:101], v[100:101], v[102:103], v[100:101]
	v_fma_f64 v[102:103], -v[98:99], v[100:101], 1.0
	v_fma_f64 v[100:101], v[100:101], v[102:103], v[100:101]
	v_mul_f64 v[102:103], v[104:105], v[100:101]
	v_fma_f64 v[98:99], -v[98:99], v[102:103], v[104:105]
	v_div_fmas_f64 v[98:99], v[98:99], v[100:101], v[102:103]
	v_div_fixup_f64 v[117:118], v[98:99], v[96:97], 1.0
	v_mul_f64 v[119:120], v[94:95], -v[117:118]
.LBB92_891:
	s_or_b64 exec, exec, s[18:19]
.LBB92_892:
	s_or_b64 exec, exec, s[0:1]
	v_cmp_ne_u32_e32 vcc, v92, v93
	s_and_saveexec_b64 s[0:1], vcc
	s_xor_b64 s[0:1], exec, s[0:1]
	s_cbranch_execz .LBB92_898
; %bb.893:
	v_cmp_eq_u32_e32 vcc, 42, v92
	s_and_saveexec_b64 s[18:19], vcc
	s_cbranch_execz .LBB92_897
; %bb.894:
	v_cmp_ne_u32_e32 vcc, 42, v93
	s_xor_b64 s[20:21], s[6:7], -1
	s_and_b64 s[22:23], s[20:21], vcc
	s_and_saveexec_b64 s[20:21], s[22:23]
	s_cbranch_execz .LBB92_896
; %bb.895:
	buffer_load_dword v85, off, s[24:27], 0 offset:336 ; 4-byte Folded Reload
	buffer_load_dword v86, off, s[24:27], 0 offset:340 ; 4-byte Folded Reload
	v_ashrrev_i32_e32 v94, 31, v93
	v_lshlrev_b64 v[94:95], 2, v[93:94]
	s_waitcnt vmcnt(1)
	v_add_co_u32_e32 v94, vcc, v85, v94
	s_waitcnt vmcnt(0)
	v_addc_co_u32_e32 v95, vcc, v86, v95, vcc
	global_load_dword v0, v[94:95], off
	global_load_dword v92, v[85:86], off offset:168
	s_waitcnt vmcnt(1)
	global_store_dword v[85:86], v0, off offset:168
	v_mov_b32_e32 v85, v106
	v_mov_b32_e32 v86, v107
	;; [unrolled: 1-line block ×4, first 2 shown]
	s_waitcnt vmcnt(1)
	global_store_dword v[94:95], v92, off
.LBB92_896:
	s_or_b64 exec, exec, s[20:21]
	v_mov_b32_e32 v92, v93
	v_mov_b32_e32 v0, v93
.LBB92_897:
	s_or_b64 exec, exec, s[18:19]
.LBB92_898:
	s_andn2_saveexec_b64 s[0:1], s[0:1]
	s_cbranch_execz .LBB92_900
; %bb.899:
	v_mov_b32_e32 v92, 42
	ds_write2_b64 v90, v[9:10], v[11:12] offset0:86 offset1:87
	ds_write2_b64 v90, v[5:6], v[7:8] offset0:88 offset1:89
	;; [unrolled: 1-line block ×4, first 2 shown]
.LBB92_900:
	s_or_b64 exec, exec, s[0:1]
	v_cmp_lt_i32_e32 vcc, 42, v92
	s_waitcnt vmcnt(0) lgkmcnt(0)
	s_barrier
	s_and_saveexec_b64 s[0:1], vcc
	s_cbranch_execz .LBB92_902
; %bb.901:
	v_mul_f64 v[93:94], v[117:118], v[15:16]
	v_mul_f64 v[15:16], v[119:120], v[15:16]
	v_fma_f64 v[97:98], v[119:120], v[13:14], v[93:94]
	ds_read2_b64 v[93:96], v90 offset0:86 offset1:87
	v_fma_f64 v[13:14], v[117:118], v[13:14], -v[15:16]
	s_waitcnt lgkmcnt(0)
	v_mul_f64 v[15:16], v[95:96], v[97:98]
	v_fma_f64 v[15:16], v[93:94], v[13:14], -v[15:16]
	v_mul_f64 v[93:94], v[93:94], v[97:98]
	v_add_f64 v[9:10], v[9:10], -v[15:16]
	v_fma_f64 v[93:94], v[95:96], v[13:14], v[93:94]
	v_add_f64 v[11:12], v[11:12], -v[93:94]
	ds_read2_b64 v[93:96], v90 offset0:88 offset1:89
	s_waitcnt lgkmcnt(0)
	v_mul_f64 v[15:16], v[95:96], v[97:98]
	v_fma_f64 v[15:16], v[93:94], v[13:14], -v[15:16]
	v_mul_f64 v[93:94], v[93:94], v[97:98]
	v_add_f64 v[5:6], v[5:6], -v[15:16]
	v_fma_f64 v[93:94], v[95:96], v[13:14], v[93:94]
	v_add_f64 v[7:8], v[7:8], -v[93:94]
	ds_read2_b64 v[93:96], v90 offset0:90 offset1:91
	;; [unrolled: 8-line block ×3, first 2 shown]
	s_waitcnt lgkmcnt(0)
	v_mul_f64 v[15:16], v[95:96], v[97:98]
	v_fma_f64 v[15:16], v[93:94], v[13:14], -v[15:16]
	v_mul_f64 v[93:94], v[93:94], v[97:98]
	v_add_f64 v[121:122], v[121:122], -v[15:16]
	v_fma_f64 v[93:94], v[95:96], v[13:14], v[93:94]
	v_mov_b32_e32 v15, v97
	v_mov_b32_e32 v16, v98
	v_add_f64 v[123:124], v[123:124], -v[93:94]
.LBB92_902:
	s_or_b64 exec, exec, s[0:1]
	v_lshl_add_u32 v93, v92, 4, v90
	s_barrier
	ds_write2_b64 v93, v[9:10], v[11:12] offset1:1
	s_waitcnt lgkmcnt(0)
	s_barrier
	ds_read2_b64 v[117:120], v90 offset0:86 offset1:87
	s_cmp_lt_i32 s3, 45
	v_mov_b32_e32 v93, 43
	s_cbranch_scc1 .LBB92_905
; %bb.903:
	v_add_u32_e32 v94, 0x2c0, v90
	s_mov_b32 s0, 44
	v_mov_b32_e32 v93, 43
.LBB92_904:                             ; =>This Inner Loop Header: Depth=1
	s_waitcnt lgkmcnt(0)
	v_cmp_gt_f64_e32 vcc, 0, v[117:118]
	v_xor_b32_e32 v99, 0x80000000, v118
	ds_read2_b64 v[95:98], v94 offset1:1
	v_xor_b32_e32 v101, 0x80000000, v120
	v_add_u32_e32 v94, 16, v94
	s_waitcnt lgkmcnt(0)
	v_xor_b32_e32 v103, 0x80000000, v98
	v_cndmask_b32_e32 v100, v118, v99, vcc
	v_cmp_gt_f64_e32 vcc, 0, v[119:120]
	v_mov_b32_e32 v99, v117
	v_cndmask_b32_e32 v102, v120, v101, vcc
	v_cmp_gt_f64_e32 vcc, 0, v[95:96]
	v_mov_b32_e32 v101, v119
	v_add_f64 v[99:100], v[99:100], v[101:102]
	v_xor_b32_e32 v101, 0x80000000, v96
	v_cndmask_b32_e32 v102, v96, v101, vcc
	v_cmp_gt_f64_e32 vcc, 0, v[97:98]
	v_mov_b32_e32 v101, v95
	v_cndmask_b32_e32 v104, v98, v103, vcc
	v_mov_b32_e32 v103, v97
	v_add_f64 v[101:102], v[101:102], v[103:104]
	v_cmp_lt_f64_e32 vcc, v[99:100], v[101:102]
	v_cndmask_b32_e32 v117, v117, v95, vcc
	v_mov_b32_e32 v95, s0
	s_add_i32 s0, s0, 1
	v_cndmask_b32_e32 v118, v118, v96, vcc
	v_cndmask_b32_e32 v120, v120, v98, vcc
	;; [unrolled: 1-line block ×4, first 2 shown]
	s_cmp_lg_u32 s3, s0
	s_cbranch_scc1 .LBB92_904
.LBB92_905:
	s_waitcnt lgkmcnt(0)
	v_cmp_eq_f64_e32 vcc, 0, v[117:118]
	v_cmp_eq_f64_e64 s[0:1], 0, v[119:120]
	s_and_b64 s[0:1], vcc, s[0:1]
	s_and_saveexec_b64 s[18:19], s[0:1]
	s_xor_b64 s[0:1], exec, s[18:19]
; %bb.906:
	v_cmp_ne_u32_e32 vcc, 0, v91
	v_cndmask_b32_e32 v91, 44, v91, vcc
; %bb.907:
	s_andn2_saveexec_b64 s[0:1], s[0:1]
	s_cbranch_execz .LBB92_913
; %bb.908:
	v_cmp_ngt_f64_e64 s[18:19], |v[117:118]|, |v[119:120]|
	s_and_saveexec_b64 s[20:21], s[18:19]
	s_xor_b64 s[18:19], exec, s[20:21]
	s_cbranch_execz .LBB92_910
; %bb.909:
	v_div_scale_f64 v[94:95], s[20:21], v[119:120], v[119:120], v[117:118]
	v_rcp_f64_e32 v[96:97], v[94:95]
	v_fma_f64 v[98:99], -v[94:95], v[96:97], 1.0
	v_fma_f64 v[96:97], v[96:97], v[98:99], v[96:97]
	v_div_scale_f64 v[98:99], vcc, v[117:118], v[119:120], v[117:118]
	v_fma_f64 v[100:101], -v[94:95], v[96:97], 1.0
	v_fma_f64 v[96:97], v[96:97], v[100:101], v[96:97]
	v_mul_f64 v[100:101], v[98:99], v[96:97]
	v_fma_f64 v[94:95], -v[94:95], v[100:101], v[98:99]
	v_div_fmas_f64 v[94:95], v[94:95], v[96:97], v[100:101]
	v_div_fixup_f64 v[94:95], v[94:95], v[119:120], v[117:118]
	v_fma_f64 v[96:97], v[117:118], v[94:95], v[119:120]
	v_div_scale_f64 v[98:99], s[20:21], v[96:97], v[96:97], 1.0
	v_div_scale_f64 v[104:105], vcc, 1.0, v[96:97], 1.0
	v_rcp_f64_e32 v[100:101], v[98:99]
	v_fma_f64 v[102:103], -v[98:99], v[100:101], 1.0
	v_fma_f64 v[100:101], v[100:101], v[102:103], v[100:101]
	v_fma_f64 v[102:103], -v[98:99], v[100:101], 1.0
	v_fma_f64 v[100:101], v[100:101], v[102:103], v[100:101]
	v_mul_f64 v[102:103], v[104:105], v[100:101]
	v_fma_f64 v[98:99], -v[98:99], v[102:103], v[104:105]
	v_div_fmas_f64 v[98:99], v[98:99], v[100:101], v[102:103]
	v_div_fixup_f64 v[119:120], v[98:99], v[96:97], 1.0
	v_mul_f64 v[117:118], v[94:95], v[119:120]
	v_xor_b32_e32 v120, 0x80000000, v120
.LBB92_910:
	s_andn2_saveexec_b64 s[18:19], s[18:19]
	s_cbranch_execz .LBB92_912
; %bb.911:
	v_div_scale_f64 v[94:95], s[20:21], v[117:118], v[117:118], v[119:120]
	v_rcp_f64_e32 v[96:97], v[94:95]
	v_fma_f64 v[98:99], -v[94:95], v[96:97], 1.0
	v_fma_f64 v[96:97], v[96:97], v[98:99], v[96:97]
	v_div_scale_f64 v[98:99], vcc, v[119:120], v[117:118], v[119:120]
	v_fma_f64 v[100:101], -v[94:95], v[96:97], 1.0
	v_fma_f64 v[96:97], v[96:97], v[100:101], v[96:97]
	v_mul_f64 v[100:101], v[98:99], v[96:97]
	v_fma_f64 v[94:95], -v[94:95], v[100:101], v[98:99]
	v_div_fmas_f64 v[94:95], v[94:95], v[96:97], v[100:101]
	v_div_fixup_f64 v[94:95], v[94:95], v[117:118], v[119:120]
	v_fma_f64 v[96:97], v[119:120], v[94:95], v[117:118]
	v_div_scale_f64 v[98:99], s[20:21], v[96:97], v[96:97], 1.0
	v_div_scale_f64 v[104:105], vcc, 1.0, v[96:97], 1.0
	v_rcp_f64_e32 v[100:101], v[98:99]
	v_fma_f64 v[102:103], -v[98:99], v[100:101], 1.0
	v_fma_f64 v[100:101], v[100:101], v[102:103], v[100:101]
	v_fma_f64 v[102:103], -v[98:99], v[100:101], 1.0
	v_fma_f64 v[100:101], v[100:101], v[102:103], v[100:101]
	v_mul_f64 v[102:103], v[104:105], v[100:101]
	v_fma_f64 v[98:99], -v[98:99], v[102:103], v[104:105]
	v_div_fmas_f64 v[98:99], v[98:99], v[100:101], v[102:103]
	v_div_fixup_f64 v[117:118], v[98:99], v[96:97], 1.0
	v_mul_f64 v[119:120], v[94:95], -v[117:118]
.LBB92_912:
	s_or_b64 exec, exec, s[18:19]
.LBB92_913:
	s_or_b64 exec, exec, s[0:1]
	v_cmp_ne_u32_e32 vcc, v92, v93
	s_and_saveexec_b64 s[0:1], vcc
	s_xor_b64 s[0:1], exec, s[0:1]
	s_cbranch_execz .LBB92_919
; %bb.914:
	v_cmp_eq_u32_e32 vcc, 43, v92
	s_and_saveexec_b64 s[18:19], vcc
	s_cbranch_execz .LBB92_918
; %bb.915:
	v_cmp_ne_u32_e32 vcc, 43, v93
	s_xor_b64 s[20:21], s[6:7], -1
	s_and_b64 s[22:23], s[20:21], vcc
	s_and_saveexec_b64 s[20:21], s[22:23]
	s_cbranch_execz .LBB92_917
; %bb.916:
	buffer_load_dword v85, off, s[24:27], 0 offset:336 ; 4-byte Folded Reload
	buffer_load_dword v86, off, s[24:27], 0 offset:340 ; 4-byte Folded Reload
	v_ashrrev_i32_e32 v94, 31, v93
	v_lshlrev_b64 v[94:95], 2, v[93:94]
	s_waitcnt vmcnt(1)
	v_add_co_u32_e32 v94, vcc, v85, v94
	s_waitcnt vmcnt(0)
	v_addc_co_u32_e32 v95, vcc, v86, v95, vcc
	global_load_dword v0, v[94:95], off
	global_load_dword v92, v[85:86], off offset:172
	s_waitcnt vmcnt(1)
	global_store_dword v[85:86], v0, off offset:172
	v_mov_b32_e32 v85, v106
	v_mov_b32_e32 v86, v107
	;; [unrolled: 1-line block ×4, first 2 shown]
	s_waitcnt vmcnt(1)
	global_store_dword v[94:95], v92, off
.LBB92_917:
	s_or_b64 exec, exec, s[20:21]
	v_mov_b32_e32 v92, v93
	v_mov_b32_e32 v0, v93
.LBB92_918:
	s_or_b64 exec, exec, s[18:19]
.LBB92_919:
	s_andn2_saveexec_b64 s[0:1], s[0:1]
	s_cbranch_execz .LBB92_921
; %bb.920:
	v_mov_b32_e32 v92, 43
	ds_write2_b64 v90, v[5:6], v[7:8] offset0:88 offset1:89
	ds_write2_b64 v90, v[1:2], v[3:4] offset0:90 offset1:91
	;; [unrolled: 1-line block ×3, first 2 shown]
.LBB92_921:
	s_or_b64 exec, exec, s[0:1]
	v_cmp_lt_i32_e32 vcc, 43, v92
	s_waitcnt vmcnt(0) lgkmcnt(0)
	s_barrier
	s_and_saveexec_b64 s[0:1], vcc
	s_cbranch_execz .LBB92_923
; %bb.922:
	v_mul_f64 v[93:94], v[117:118], v[11:12]
	v_mul_f64 v[11:12], v[119:120], v[11:12]
	v_fma_f64 v[97:98], v[119:120], v[9:10], v[93:94]
	ds_read2_b64 v[93:96], v90 offset0:88 offset1:89
	v_fma_f64 v[9:10], v[117:118], v[9:10], -v[11:12]
	s_waitcnt lgkmcnt(0)
	v_mul_f64 v[11:12], v[95:96], v[97:98]
	v_fma_f64 v[11:12], v[93:94], v[9:10], -v[11:12]
	v_mul_f64 v[93:94], v[93:94], v[97:98]
	v_add_f64 v[5:6], v[5:6], -v[11:12]
	v_fma_f64 v[93:94], v[95:96], v[9:10], v[93:94]
	v_add_f64 v[7:8], v[7:8], -v[93:94]
	ds_read2_b64 v[93:96], v90 offset0:90 offset1:91
	s_waitcnt lgkmcnt(0)
	v_mul_f64 v[11:12], v[95:96], v[97:98]
	v_fma_f64 v[11:12], v[93:94], v[9:10], -v[11:12]
	v_mul_f64 v[93:94], v[93:94], v[97:98]
	v_add_f64 v[1:2], v[1:2], -v[11:12]
	v_fma_f64 v[93:94], v[95:96], v[9:10], v[93:94]
	v_add_f64 v[3:4], v[3:4], -v[93:94]
	ds_read2_b64 v[93:96], v90 offset0:92 offset1:93
	s_waitcnt lgkmcnt(0)
	v_mul_f64 v[11:12], v[95:96], v[97:98]
	v_fma_f64 v[11:12], v[93:94], v[9:10], -v[11:12]
	v_mul_f64 v[93:94], v[93:94], v[97:98]
	v_add_f64 v[121:122], v[121:122], -v[11:12]
	v_fma_f64 v[93:94], v[95:96], v[9:10], v[93:94]
	v_mov_b32_e32 v11, v97
	v_mov_b32_e32 v12, v98
	v_add_f64 v[123:124], v[123:124], -v[93:94]
.LBB92_923:
	s_or_b64 exec, exec, s[0:1]
	v_lshl_add_u32 v93, v92, 4, v90
	s_barrier
	ds_write2_b64 v93, v[5:6], v[7:8] offset1:1
	s_waitcnt lgkmcnt(0)
	s_barrier
	ds_read2_b64 v[117:120], v90 offset0:88 offset1:89
	s_cmp_lt_i32 s3, 46
	v_mov_b32_e32 v93, 44
	s_cbranch_scc1 .LBB92_926
; %bb.924:
	v_add_u32_e32 v94, 0x2d0, v90
	s_mov_b32 s0, 45
	v_mov_b32_e32 v93, 44
.LBB92_925:                             ; =>This Inner Loop Header: Depth=1
	s_waitcnt lgkmcnt(0)
	v_cmp_gt_f64_e32 vcc, 0, v[117:118]
	v_xor_b32_e32 v99, 0x80000000, v118
	ds_read2_b64 v[95:98], v94 offset1:1
	v_xor_b32_e32 v101, 0x80000000, v120
	v_add_u32_e32 v94, 16, v94
	s_waitcnt lgkmcnt(0)
	v_xor_b32_e32 v103, 0x80000000, v98
	v_cndmask_b32_e32 v100, v118, v99, vcc
	v_cmp_gt_f64_e32 vcc, 0, v[119:120]
	v_mov_b32_e32 v99, v117
	v_cndmask_b32_e32 v102, v120, v101, vcc
	v_cmp_gt_f64_e32 vcc, 0, v[95:96]
	v_mov_b32_e32 v101, v119
	v_add_f64 v[99:100], v[99:100], v[101:102]
	v_xor_b32_e32 v101, 0x80000000, v96
	v_cndmask_b32_e32 v102, v96, v101, vcc
	v_cmp_gt_f64_e32 vcc, 0, v[97:98]
	v_mov_b32_e32 v101, v95
	v_cndmask_b32_e32 v104, v98, v103, vcc
	v_mov_b32_e32 v103, v97
	v_add_f64 v[101:102], v[101:102], v[103:104]
	v_cmp_lt_f64_e32 vcc, v[99:100], v[101:102]
	v_cndmask_b32_e32 v117, v117, v95, vcc
	v_mov_b32_e32 v95, s0
	s_add_i32 s0, s0, 1
	v_cndmask_b32_e32 v118, v118, v96, vcc
	v_cndmask_b32_e32 v120, v120, v98, vcc
	;; [unrolled: 1-line block ×4, first 2 shown]
	s_cmp_lg_u32 s3, s0
	s_cbranch_scc1 .LBB92_925
.LBB92_926:
	s_waitcnt lgkmcnt(0)
	v_cmp_eq_f64_e32 vcc, 0, v[117:118]
	v_cmp_eq_f64_e64 s[0:1], 0, v[119:120]
	s_and_b64 s[0:1], vcc, s[0:1]
	s_and_saveexec_b64 s[18:19], s[0:1]
	s_xor_b64 s[0:1], exec, s[18:19]
; %bb.927:
	v_cmp_ne_u32_e32 vcc, 0, v91
	v_cndmask_b32_e32 v91, 45, v91, vcc
; %bb.928:
	s_andn2_saveexec_b64 s[0:1], s[0:1]
	s_cbranch_execz .LBB92_934
; %bb.929:
	v_cmp_ngt_f64_e64 s[18:19], |v[117:118]|, |v[119:120]|
	s_and_saveexec_b64 s[20:21], s[18:19]
	s_xor_b64 s[18:19], exec, s[20:21]
	s_cbranch_execz .LBB92_931
; %bb.930:
	v_div_scale_f64 v[94:95], s[20:21], v[119:120], v[119:120], v[117:118]
	v_rcp_f64_e32 v[96:97], v[94:95]
	v_fma_f64 v[98:99], -v[94:95], v[96:97], 1.0
	v_fma_f64 v[96:97], v[96:97], v[98:99], v[96:97]
	v_div_scale_f64 v[98:99], vcc, v[117:118], v[119:120], v[117:118]
	v_fma_f64 v[100:101], -v[94:95], v[96:97], 1.0
	v_fma_f64 v[96:97], v[96:97], v[100:101], v[96:97]
	v_mul_f64 v[100:101], v[98:99], v[96:97]
	v_fma_f64 v[94:95], -v[94:95], v[100:101], v[98:99]
	v_div_fmas_f64 v[94:95], v[94:95], v[96:97], v[100:101]
	v_div_fixup_f64 v[94:95], v[94:95], v[119:120], v[117:118]
	v_fma_f64 v[96:97], v[117:118], v[94:95], v[119:120]
	v_div_scale_f64 v[98:99], s[20:21], v[96:97], v[96:97], 1.0
	v_div_scale_f64 v[104:105], vcc, 1.0, v[96:97], 1.0
	v_rcp_f64_e32 v[100:101], v[98:99]
	v_fma_f64 v[102:103], -v[98:99], v[100:101], 1.0
	v_fma_f64 v[100:101], v[100:101], v[102:103], v[100:101]
	v_fma_f64 v[102:103], -v[98:99], v[100:101], 1.0
	v_fma_f64 v[100:101], v[100:101], v[102:103], v[100:101]
	v_mul_f64 v[102:103], v[104:105], v[100:101]
	v_fma_f64 v[98:99], -v[98:99], v[102:103], v[104:105]
	v_div_fmas_f64 v[98:99], v[98:99], v[100:101], v[102:103]
	v_div_fixup_f64 v[119:120], v[98:99], v[96:97], 1.0
	v_mul_f64 v[117:118], v[94:95], v[119:120]
	v_xor_b32_e32 v120, 0x80000000, v120
.LBB92_931:
	s_andn2_saveexec_b64 s[18:19], s[18:19]
	s_cbranch_execz .LBB92_933
; %bb.932:
	v_div_scale_f64 v[94:95], s[20:21], v[117:118], v[117:118], v[119:120]
	v_rcp_f64_e32 v[96:97], v[94:95]
	v_fma_f64 v[98:99], -v[94:95], v[96:97], 1.0
	v_fma_f64 v[96:97], v[96:97], v[98:99], v[96:97]
	v_div_scale_f64 v[98:99], vcc, v[119:120], v[117:118], v[119:120]
	v_fma_f64 v[100:101], -v[94:95], v[96:97], 1.0
	v_fma_f64 v[96:97], v[96:97], v[100:101], v[96:97]
	v_mul_f64 v[100:101], v[98:99], v[96:97]
	v_fma_f64 v[94:95], -v[94:95], v[100:101], v[98:99]
	v_div_fmas_f64 v[94:95], v[94:95], v[96:97], v[100:101]
	v_div_fixup_f64 v[94:95], v[94:95], v[117:118], v[119:120]
	v_fma_f64 v[96:97], v[119:120], v[94:95], v[117:118]
	v_div_scale_f64 v[98:99], s[20:21], v[96:97], v[96:97], 1.0
	v_div_scale_f64 v[104:105], vcc, 1.0, v[96:97], 1.0
	v_rcp_f64_e32 v[100:101], v[98:99]
	v_fma_f64 v[102:103], -v[98:99], v[100:101], 1.0
	v_fma_f64 v[100:101], v[100:101], v[102:103], v[100:101]
	v_fma_f64 v[102:103], -v[98:99], v[100:101], 1.0
	v_fma_f64 v[100:101], v[100:101], v[102:103], v[100:101]
	v_mul_f64 v[102:103], v[104:105], v[100:101]
	v_fma_f64 v[98:99], -v[98:99], v[102:103], v[104:105]
	v_div_fmas_f64 v[98:99], v[98:99], v[100:101], v[102:103]
	v_div_fixup_f64 v[117:118], v[98:99], v[96:97], 1.0
	v_mul_f64 v[119:120], v[94:95], -v[117:118]
.LBB92_933:
	s_or_b64 exec, exec, s[18:19]
.LBB92_934:
	s_or_b64 exec, exec, s[0:1]
	v_cmp_ne_u32_e32 vcc, v92, v93
	s_and_saveexec_b64 s[0:1], vcc
	s_xor_b64 s[0:1], exec, s[0:1]
	s_cbranch_execz .LBB92_940
; %bb.935:
	v_cmp_eq_u32_e32 vcc, 44, v92
	s_and_saveexec_b64 s[18:19], vcc
	s_cbranch_execz .LBB92_939
; %bb.936:
	v_cmp_ne_u32_e32 vcc, 44, v93
	s_xor_b64 s[20:21], s[6:7], -1
	s_and_b64 s[22:23], s[20:21], vcc
	s_and_saveexec_b64 s[20:21], s[22:23]
	s_cbranch_execz .LBB92_938
; %bb.937:
	buffer_load_dword v85, off, s[24:27], 0 offset:336 ; 4-byte Folded Reload
	buffer_load_dword v86, off, s[24:27], 0 offset:340 ; 4-byte Folded Reload
	v_ashrrev_i32_e32 v94, 31, v93
	v_lshlrev_b64 v[94:95], 2, v[93:94]
	s_waitcnt vmcnt(1)
	v_add_co_u32_e32 v94, vcc, v85, v94
	s_waitcnt vmcnt(0)
	v_addc_co_u32_e32 v95, vcc, v86, v95, vcc
	global_load_dword v0, v[94:95], off
	global_load_dword v92, v[85:86], off offset:176
	s_waitcnt vmcnt(1)
	global_store_dword v[85:86], v0, off offset:176
	v_mov_b32_e32 v85, v106
	v_mov_b32_e32 v86, v107
	;; [unrolled: 1-line block ×4, first 2 shown]
	s_waitcnt vmcnt(1)
	global_store_dword v[94:95], v92, off
.LBB92_938:
	s_or_b64 exec, exec, s[20:21]
	v_mov_b32_e32 v92, v93
	v_mov_b32_e32 v0, v93
.LBB92_939:
	s_or_b64 exec, exec, s[18:19]
.LBB92_940:
	s_andn2_saveexec_b64 s[0:1], s[0:1]
	s_cbranch_execz .LBB92_942
; %bb.941:
	v_mov_b32_e32 v92, 44
	ds_write2_b64 v90, v[1:2], v[3:4] offset0:90 offset1:91
	ds_write2_b64 v90, v[121:122], v[123:124] offset0:92 offset1:93
.LBB92_942:
	s_or_b64 exec, exec, s[0:1]
	v_cmp_lt_i32_e32 vcc, 44, v92
	s_waitcnt vmcnt(0) lgkmcnt(0)
	s_barrier
	s_and_saveexec_b64 s[0:1], vcc
	s_cbranch_execz .LBB92_944
; %bb.943:
	v_mul_f64 v[93:94], v[117:118], v[7:8]
	v_mul_f64 v[7:8], v[119:120], v[7:8]
	v_fma_f64 v[97:98], v[119:120], v[5:6], v[93:94]
	ds_read2_b64 v[93:96], v90 offset0:90 offset1:91
	v_fma_f64 v[5:6], v[117:118], v[5:6], -v[7:8]
	s_waitcnt lgkmcnt(0)
	v_mul_f64 v[7:8], v[95:96], v[97:98]
	v_fma_f64 v[7:8], v[93:94], v[5:6], -v[7:8]
	v_mul_f64 v[93:94], v[93:94], v[97:98]
	v_add_f64 v[1:2], v[1:2], -v[7:8]
	v_fma_f64 v[93:94], v[95:96], v[5:6], v[93:94]
	v_add_f64 v[3:4], v[3:4], -v[93:94]
	ds_read2_b64 v[93:96], v90 offset0:92 offset1:93
	s_waitcnt lgkmcnt(0)
	v_mul_f64 v[7:8], v[95:96], v[97:98]
	v_fma_f64 v[7:8], v[93:94], v[5:6], -v[7:8]
	v_mul_f64 v[93:94], v[93:94], v[97:98]
	v_add_f64 v[121:122], v[121:122], -v[7:8]
	v_fma_f64 v[93:94], v[95:96], v[5:6], v[93:94]
	v_mov_b32_e32 v7, v97
	v_mov_b32_e32 v8, v98
	v_add_f64 v[123:124], v[123:124], -v[93:94]
.LBB92_944:
	s_or_b64 exec, exec, s[0:1]
	v_lshl_add_u32 v93, v92, 4, v90
	s_barrier
	ds_write2_b64 v93, v[1:2], v[3:4] offset1:1
	s_waitcnt lgkmcnt(0)
	s_barrier
	ds_read2_b64 v[117:120], v90 offset0:90 offset1:91
	s_cmp_lt_i32 s3, 47
	v_mov_b32_e32 v93, 45
	s_cbranch_scc1 .LBB92_947
; %bb.945:
	v_add_u32_e32 v94, 0x2e0, v90
	s_mov_b32 s0, 46
	v_mov_b32_e32 v93, 45
.LBB92_946:                             ; =>This Inner Loop Header: Depth=1
	s_waitcnt lgkmcnt(0)
	v_cmp_gt_f64_e32 vcc, 0, v[117:118]
	v_xor_b32_e32 v99, 0x80000000, v118
	ds_read2_b64 v[95:98], v94 offset1:1
	v_xor_b32_e32 v101, 0x80000000, v120
	v_add_u32_e32 v94, 16, v94
	s_waitcnt lgkmcnt(0)
	v_xor_b32_e32 v103, 0x80000000, v98
	v_cndmask_b32_e32 v100, v118, v99, vcc
	v_cmp_gt_f64_e32 vcc, 0, v[119:120]
	v_mov_b32_e32 v99, v117
	v_cndmask_b32_e32 v102, v120, v101, vcc
	v_cmp_gt_f64_e32 vcc, 0, v[95:96]
	v_mov_b32_e32 v101, v119
	v_add_f64 v[99:100], v[99:100], v[101:102]
	v_xor_b32_e32 v101, 0x80000000, v96
	v_cndmask_b32_e32 v102, v96, v101, vcc
	v_cmp_gt_f64_e32 vcc, 0, v[97:98]
	v_mov_b32_e32 v101, v95
	v_cndmask_b32_e32 v104, v98, v103, vcc
	v_mov_b32_e32 v103, v97
	v_add_f64 v[101:102], v[101:102], v[103:104]
	v_cmp_lt_f64_e32 vcc, v[99:100], v[101:102]
	v_cndmask_b32_e32 v117, v117, v95, vcc
	v_mov_b32_e32 v95, s0
	s_add_i32 s0, s0, 1
	v_cndmask_b32_e32 v118, v118, v96, vcc
	v_cndmask_b32_e32 v120, v120, v98, vcc
	;; [unrolled: 1-line block ×4, first 2 shown]
	s_cmp_lg_u32 s3, s0
	s_cbranch_scc1 .LBB92_946
.LBB92_947:
	s_waitcnt lgkmcnt(0)
	v_cmp_eq_f64_e32 vcc, 0, v[117:118]
	v_cmp_eq_f64_e64 s[0:1], 0, v[119:120]
	s_and_b64 s[0:1], vcc, s[0:1]
	s_and_saveexec_b64 s[18:19], s[0:1]
	s_xor_b64 s[0:1], exec, s[18:19]
; %bb.948:
	v_cmp_ne_u32_e32 vcc, 0, v91
	v_cndmask_b32_e32 v91, 46, v91, vcc
; %bb.949:
	s_andn2_saveexec_b64 s[0:1], s[0:1]
	s_cbranch_execz .LBB92_955
; %bb.950:
	v_cmp_ngt_f64_e64 s[18:19], |v[117:118]|, |v[119:120]|
	s_and_saveexec_b64 s[20:21], s[18:19]
	s_xor_b64 s[18:19], exec, s[20:21]
	s_cbranch_execz .LBB92_952
; %bb.951:
	v_div_scale_f64 v[94:95], s[20:21], v[119:120], v[119:120], v[117:118]
	v_rcp_f64_e32 v[96:97], v[94:95]
	v_fma_f64 v[98:99], -v[94:95], v[96:97], 1.0
	v_fma_f64 v[96:97], v[96:97], v[98:99], v[96:97]
	v_div_scale_f64 v[98:99], vcc, v[117:118], v[119:120], v[117:118]
	v_fma_f64 v[100:101], -v[94:95], v[96:97], 1.0
	v_fma_f64 v[96:97], v[96:97], v[100:101], v[96:97]
	v_mul_f64 v[100:101], v[98:99], v[96:97]
	v_fma_f64 v[94:95], -v[94:95], v[100:101], v[98:99]
	v_div_fmas_f64 v[94:95], v[94:95], v[96:97], v[100:101]
	v_div_fixup_f64 v[94:95], v[94:95], v[119:120], v[117:118]
	v_fma_f64 v[96:97], v[117:118], v[94:95], v[119:120]
	v_div_scale_f64 v[98:99], s[20:21], v[96:97], v[96:97], 1.0
	v_div_scale_f64 v[104:105], vcc, 1.0, v[96:97], 1.0
	v_rcp_f64_e32 v[100:101], v[98:99]
	v_fma_f64 v[102:103], -v[98:99], v[100:101], 1.0
	v_fma_f64 v[100:101], v[100:101], v[102:103], v[100:101]
	v_fma_f64 v[102:103], -v[98:99], v[100:101], 1.0
	v_fma_f64 v[100:101], v[100:101], v[102:103], v[100:101]
	v_mul_f64 v[102:103], v[104:105], v[100:101]
	v_fma_f64 v[98:99], -v[98:99], v[102:103], v[104:105]
	v_div_fmas_f64 v[98:99], v[98:99], v[100:101], v[102:103]
	v_div_fixup_f64 v[119:120], v[98:99], v[96:97], 1.0
	v_mul_f64 v[117:118], v[94:95], v[119:120]
	v_xor_b32_e32 v120, 0x80000000, v120
.LBB92_952:
	s_andn2_saveexec_b64 s[18:19], s[18:19]
	s_cbranch_execz .LBB92_954
; %bb.953:
	v_div_scale_f64 v[94:95], s[20:21], v[117:118], v[117:118], v[119:120]
	v_rcp_f64_e32 v[96:97], v[94:95]
	v_fma_f64 v[98:99], -v[94:95], v[96:97], 1.0
	v_fma_f64 v[96:97], v[96:97], v[98:99], v[96:97]
	v_div_scale_f64 v[98:99], vcc, v[119:120], v[117:118], v[119:120]
	v_fma_f64 v[100:101], -v[94:95], v[96:97], 1.0
	v_fma_f64 v[96:97], v[96:97], v[100:101], v[96:97]
	v_mul_f64 v[100:101], v[98:99], v[96:97]
	v_fma_f64 v[94:95], -v[94:95], v[100:101], v[98:99]
	v_div_fmas_f64 v[94:95], v[94:95], v[96:97], v[100:101]
	v_div_fixup_f64 v[94:95], v[94:95], v[117:118], v[119:120]
	v_fma_f64 v[96:97], v[119:120], v[94:95], v[117:118]
	v_div_scale_f64 v[98:99], s[20:21], v[96:97], v[96:97], 1.0
	v_div_scale_f64 v[104:105], vcc, 1.0, v[96:97], 1.0
	v_rcp_f64_e32 v[100:101], v[98:99]
	v_fma_f64 v[102:103], -v[98:99], v[100:101], 1.0
	v_fma_f64 v[100:101], v[100:101], v[102:103], v[100:101]
	v_fma_f64 v[102:103], -v[98:99], v[100:101], 1.0
	v_fma_f64 v[100:101], v[100:101], v[102:103], v[100:101]
	v_mul_f64 v[102:103], v[104:105], v[100:101]
	v_fma_f64 v[98:99], -v[98:99], v[102:103], v[104:105]
	v_div_fmas_f64 v[98:99], v[98:99], v[100:101], v[102:103]
	v_div_fixup_f64 v[117:118], v[98:99], v[96:97], 1.0
	v_mul_f64 v[119:120], v[94:95], -v[117:118]
.LBB92_954:
	s_or_b64 exec, exec, s[18:19]
.LBB92_955:
	s_or_b64 exec, exec, s[0:1]
	v_cmp_ne_u32_e32 vcc, v92, v93
	s_and_saveexec_b64 s[0:1], vcc
	s_xor_b64 s[0:1], exec, s[0:1]
	s_cbranch_execz .LBB92_961
; %bb.956:
	v_cmp_eq_u32_e32 vcc, 45, v92
	s_and_saveexec_b64 s[18:19], vcc
	s_cbranch_execz .LBB92_960
; %bb.957:
	v_cmp_ne_u32_e32 vcc, 45, v93
	s_xor_b64 s[20:21], s[6:7], -1
	s_and_b64 s[22:23], s[20:21], vcc
	s_and_saveexec_b64 s[20:21], s[22:23]
	s_cbranch_execz .LBB92_959
; %bb.958:
	buffer_load_dword v85, off, s[24:27], 0 offset:336 ; 4-byte Folded Reload
	buffer_load_dword v86, off, s[24:27], 0 offset:340 ; 4-byte Folded Reload
	v_ashrrev_i32_e32 v94, 31, v93
	v_lshlrev_b64 v[94:95], 2, v[93:94]
	s_waitcnt vmcnt(1)
	v_add_co_u32_e32 v94, vcc, v85, v94
	s_waitcnt vmcnt(0)
	v_addc_co_u32_e32 v95, vcc, v86, v95, vcc
	global_load_dword v0, v[94:95], off
	global_load_dword v92, v[85:86], off offset:180
	s_waitcnt vmcnt(1)
	global_store_dword v[85:86], v0, off offset:180
	v_mov_b32_e32 v85, v106
	v_mov_b32_e32 v86, v107
	;; [unrolled: 1-line block ×4, first 2 shown]
	s_waitcnt vmcnt(1)
	global_store_dword v[94:95], v92, off
.LBB92_959:
	s_or_b64 exec, exec, s[20:21]
	v_mov_b32_e32 v92, v93
	v_mov_b32_e32 v0, v93
.LBB92_960:
	s_or_b64 exec, exec, s[18:19]
.LBB92_961:
	s_andn2_saveexec_b64 s[0:1], s[0:1]
; %bb.962:
	v_mov_b32_e32 v92, 45
	ds_write2_b64 v90, v[121:122], v[123:124] offset0:92 offset1:93
; %bb.963:
	s_or_b64 exec, exec, s[0:1]
	v_cmp_lt_i32_e32 vcc, 45, v92
	s_waitcnt vmcnt(0) lgkmcnt(0)
	s_barrier
	s_and_saveexec_b64 s[0:1], vcc
	s_cbranch_execz .LBB92_965
; %bb.964:
	v_mul_f64 v[93:94], v[117:118], v[3:4]
	v_mul_f64 v[3:4], v[119:120], v[3:4]
	v_fma_f64 v[97:98], v[119:120], v[1:2], v[93:94]
	ds_read2_b64 v[93:96], v90 offset0:92 offset1:93
	v_fma_f64 v[1:2], v[117:118], v[1:2], -v[3:4]
	s_waitcnt lgkmcnt(0)
	v_mul_f64 v[3:4], v[95:96], v[97:98]
	v_fma_f64 v[3:4], v[93:94], v[1:2], -v[3:4]
	v_mul_f64 v[93:94], v[93:94], v[97:98]
	v_add_f64 v[121:122], v[121:122], -v[3:4]
	v_fma_f64 v[93:94], v[95:96], v[1:2], v[93:94]
	v_mov_b32_e32 v3, v97
	v_mov_b32_e32 v4, v98
	v_add_f64 v[123:124], v[123:124], -v[93:94]
.LBB92_965:
	s_or_b64 exec, exec, s[0:1]
	v_lshl_add_u32 v93, v92, 4, v90
	s_barrier
	ds_write2_b64 v93, v[121:122], v[123:124] offset1:1
	s_waitcnt lgkmcnt(0)
	s_barrier
	ds_read2_b64 v[117:120], v90 offset0:92 offset1:93
	s_cmp_lt_i32 s3, 48
	v_mov_b32_e32 v93, 46
	s_cbranch_scc1 .LBB92_968
; %bb.966:
	v_add_u32_e32 v90, 0x2f0, v90
	s_mov_b32 s0, 47
	v_mov_b32_e32 v93, 46
.LBB92_967:                             ; =>This Inner Loop Header: Depth=1
	s_waitcnt lgkmcnt(0)
	v_cmp_gt_f64_e32 vcc, 0, v[117:118]
	v_xor_b32_e32 v98, 0x80000000, v118
	ds_read2_b64 v[94:97], v90 offset1:1
	v_xor_b32_e32 v100, 0x80000000, v120
	v_add_u32_e32 v90, 16, v90
	s_waitcnt lgkmcnt(0)
	v_xor_b32_e32 v102, 0x80000000, v97
	v_cndmask_b32_e32 v99, v118, v98, vcc
	v_cmp_gt_f64_e32 vcc, 0, v[119:120]
	v_mov_b32_e32 v98, v117
	v_cndmask_b32_e32 v101, v120, v100, vcc
	v_cmp_gt_f64_e32 vcc, 0, v[94:95]
	v_mov_b32_e32 v100, v119
	v_add_f64 v[98:99], v[98:99], v[100:101]
	v_xor_b32_e32 v100, 0x80000000, v95
	v_cndmask_b32_e32 v101, v95, v100, vcc
	v_cmp_gt_f64_e32 vcc, 0, v[96:97]
	v_mov_b32_e32 v100, v94
	v_cndmask_b32_e32 v103, v97, v102, vcc
	v_mov_b32_e32 v102, v96
	v_add_f64 v[100:101], v[100:101], v[102:103]
	v_cmp_lt_f64_e32 vcc, v[98:99], v[100:101]
	v_cndmask_b32_e32 v117, v117, v94, vcc
	v_mov_b32_e32 v94, s0
	s_add_i32 s0, s0, 1
	v_cndmask_b32_e32 v118, v118, v95, vcc
	v_cndmask_b32_e32 v120, v120, v97, vcc
	;; [unrolled: 1-line block ×4, first 2 shown]
	s_cmp_lg_u32 s3, s0
	s_cbranch_scc1 .LBB92_967
.LBB92_968:
	s_waitcnt lgkmcnt(0)
	v_cmp_eq_f64_e32 vcc, 0, v[117:118]
	v_cmp_eq_f64_e64 s[0:1], 0, v[119:120]
	s_and_b64 s[0:1], vcc, s[0:1]
	s_and_saveexec_b64 s[18:19], s[0:1]
	s_xor_b64 s[0:1], exec, s[18:19]
; %bb.969:
	v_cmp_ne_u32_e32 vcc, 0, v91
	v_cndmask_b32_e32 v91, 47, v91, vcc
; %bb.970:
	s_andn2_saveexec_b64 s[0:1], s[0:1]
	s_cbranch_execz .LBB92_976
; %bb.971:
	v_cmp_ngt_f64_e64 s[18:19], |v[117:118]|, |v[119:120]|
	s_and_saveexec_b64 s[20:21], s[18:19]
	s_xor_b64 s[18:19], exec, s[20:21]
	s_cbranch_execz .LBB92_973
; %bb.972:
	v_div_scale_f64 v[94:95], s[20:21], v[119:120], v[119:120], v[117:118]
	v_rcp_f64_e32 v[96:97], v[94:95]
	v_fma_f64 v[98:99], -v[94:95], v[96:97], 1.0
	v_fma_f64 v[96:97], v[96:97], v[98:99], v[96:97]
	v_div_scale_f64 v[98:99], vcc, v[117:118], v[119:120], v[117:118]
	v_fma_f64 v[100:101], -v[94:95], v[96:97], 1.0
	v_fma_f64 v[96:97], v[96:97], v[100:101], v[96:97]
	v_mul_f64 v[100:101], v[98:99], v[96:97]
	v_fma_f64 v[94:95], -v[94:95], v[100:101], v[98:99]
	v_div_fmas_f64 v[94:95], v[94:95], v[96:97], v[100:101]
	v_div_fixup_f64 v[94:95], v[94:95], v[119:120], v[117:118]
	v_fma_f64 v[96:97], v[117:118], v[94:95], v[119:120]
	v_div_scale_f64 v[98:99], s[20:21], v[96:97], v[96:97], 1.0
	v_div_scale_f64 v[104:105], vcc, 1.0, v[96:97], 1.0
	v_rcp_f64_e32 v[100:101], v[98:99]
	v_fma_f64 v[102:103], -v[98:99], v[100:101], 1.0
	v_fma_f64 v[100:101], v[100:101], v[102:103], v[100:101]
	v_fma_f64 v[102:103], -v[98:99], v[100:101], 1.0
	v_fma_f64 v[100:101], v[100:101], v[102:103], v[100:101]
	v_mul_f64 v[102:103], v[104:105], v[100:101]
	v_fma_f64 v[98:99], -v[98:99], v[102:103], v[104:105]
	v_div_fmas_f64 v[98:99], v[98:99], v[100:101], v[102:103]
	v_div_fixup_f64 v[119:120], v[98:99], v[96:97], 1.0
	v_mul_f64 v[117:118], v[94:95], v[119:120]
	v_xor_b32_e32 v120, 0x80000000, v120
.LBB92_973:
	s_andn2_saveexec_b64 s[18:19], s[18:19]
	s_cbranch_execz .LBB92_975
; %bb.974:
	v_div_scale_f64 v[94:95], s[20:21], v[117:118], v[117:118], v[119:120]
	v_rcp_f64_e32 v[96:97], v[94:95]
	v_fma_f64 v[98:99], -v[94:95], v[96:97], 1.0
	v_fma_f64 v[96:97], v[96:97], v[98:99], v[96:97]
	v_div_scale_f64 v[98:99], vcc, v[119:120], v[117:118], v[119:120]
	v_fma_f64 v[100:101], -v[94:95], v[96:97], 1.0
	v_fma_f64 v[96:97], v[96:97], v[100:101], v[96:97]
	v_mul_f64 v[100:101], v[98:99], v[96:97]
	v_fma_f64 v[94:95], -v[94:95], v[100:101], v[98:99]
	v_div_fmas_f64 v[94:95], v[94:95], v[96:97], v[100:101]
	v_div_fixup_f64 v[94:95], v[94:95], v[117:118], v[119:120]
	v_fma_f64 v[96:97], v[119:120], v[94:95], v[117:118]
	v_div_scale_f64 v[98:99], s[20:21], v[96:97], v[96:97], 1.0
	v_div_scale_f64 v[104:105], vcc, 1.0, v[96:97], 1.0
	v_rcp_f64_e32 v[100:101], v[98:99]
	v_fma_f64 v[102:103], -v[98:99], v[100:101], 1.0
	v_fma_f64 v[100:101], v[100:101], v[102:103], v[100:101]
	v_fma_f64 v[102:103], -v[98:99], v[100:101], 1.0
	v_fma_f64 v[100:101], v[100:101], v[102:103], v[100:101]
	v_mul_f64 v[102:103], v[104:105], v[100:101]
	v_fma_f64 v[98:99], -v[98:99], v[102:103], v[104:105]
	v_div_fmas_f64 v[98:99], v[98:99], v[100:101], v[102:103]
	v_div_fixup_f64 v[117:118], v[98:99], v[96:97], 1.0
	v_mul_f64 v[119:120], v[94:95], -v[117:118]
.LBB92_975:
	s_or_b64 exec, exec, s[18:19]
.LBB92_976:
	s_or_b64 exec, exec, s[0:1]
	v_cmp_ne_u32_e32 vcc, v92, v93
	v_mov_b32_e32 v94, 46
	s_and_saveexec_b64 s[0:1], vcc
	s_cbranch_execz .LBB92_982
; %bb.977:
	v_cmp_eq_u32_e32 vcc, 46, v92
	s_and_saveexec_b64 s[18:19], vcc
	s_cbranch_execz .LBB92_981
; %bb.978:
	v_cmp_ne_u32_e32 vcc, 46, v93
	s_xor_b64 s[6:7], s[6:7], -1
	s_and_b64 s[20:21], s[6:7], vcc
	s_and_saveexec_b64 s[6:7], s[20:21]
	s_cbranch_execz .LBB92_980
; %bb.979:
	buffer_load_dword v85, off, s[24:27], 0 offset:336 ; 4-byte Folded Reload
	buffer_load_dword v86, off, s[24:27], 0 offset:340 ; 4-byte Folded Reload
	v_ashrrev_i32_e32 v94, 31, v93
	v_lshlrev_b64 v[94:95], 2, v[93:94]
	s_waitcnt vmcnt(1)
	v_add_co_u32_e32 v94, vcc, v85, v94
	s_waitcnt vmcnt(0)
	v_addc_co_u32_e32 v95, vcc, v86, v95, vcc
	global_load_dword v0, v[94:95], off
	global_load_dword v90, v[85:86], off offset:184
	s_waitcnt vmcnt(1)
	global_store_dword v[85:86], v0, off offset:184
	v_mov_b32_e32 v85, v106
	v_mov_b32_e32 v86, v107
	;; [unrolled: 1-line block ×4, first 2 shown]
	s_waitcnt vmcnt(1)
	global_store_dword v[94:95], v90, off
.LBB92_980:
	s_or_b64 exec, exec, s[6:7]
	v_mov_b32_e32 v92, v93
	v_mov_b32_e32 v0, v93
.LBB92_981:
	s_or_b64 exec, exec, s[18:19]
	v_mov_b32_e32 v94, v92
.LBB92_982:
	s_or_b64 exec, exec, s[0:1]
	v_cmp_gt_i32_e32 vcc, 47, v94
	v_ashrrev_i32_e32 v95, 31, v94
	s_waitcnt vmcnt(0)
	s_barrier
	s_barrier
	s_and_saveexec_b64 s[0:1], vcc
	s_cbranch_execz .LBB92_984
; %bb.983:
	v_mul_lo_u32 v90, s15, v115
	v_mul_lo_u32 v96, s14, v116
	v_mad_u64_u32 v[92:93], s[6:7], s14, v115, 0
	s_lshl_b64 s[6:7], s[12:13], 2
	v_add3_u32 v0, v0, s17, 1
	v_add3_u32 v93, v93, v96, v90
	v_lshlrev_b64 v[92:93], 2, v[92:93]
	v_mov_b32_e32 v90, s11
	v_add_co_u32_e32 v92, vcc, s10, v92
	v_addc_co_u32_e32 v90, vcc, v90, v93, vcc
	v_mov_b32_e32 v93, s7
	v_add_co_u32_e32 v96, vcc, s6, v92
	v_addc_co_u32_e32 v90, vcc, v90, v93, vcc
	v_lshlrev_b64 v[92:93], 2, v[94:95]
	v_add_co_u32_e32 v92, vcc, v96, v92
	v_addc_co_u32_e32 v93, vcc, v90, v93, vcc
	global_store_dword v[92:93], v0, off
.LBB92_984:
	s_or_b64 exec, exec, s[0:1]
	v_cmp_eq_u32_e32 vcc, 0, v94
	s_and_saveexec_b64 s[6:7], vcc
	s_cbranch_execz .LBB92_987
; %bb.985:
	v_lshlrev_b64 v[92:93], 2, v[115:116]
	v_mov_b32_e32 v0, s5
	v_add_co_u32_e32 v96, vcc, s4, v92
	v_addc_co_u32_e32 v97, vcc, v0, v93, vcc
	global_load_dword v0, v[96:97], off
	v_cmp_ne_u32_e64 s[0:1], 0, v91
	s_waitcnt vmcnt(0)
	v_cmp_eq_u32_e32 vcc, 0, v0
	s_and_b64 s[0:1], vcc, s[0:1]
	s_and_b64 exec, exec, s[0:1]
	s_cbranch_execz .LBB92_987
; %bb.986:
	v_add_u32_e32 v0, s17, v91
	global_store_dword v[96:97], v0, off
.LBB92_987:
	s_or_b64 exec, exec, s[6:7]
	buffer_load_dword v81, off, s[24:27], 0 offset:376 ; 4-byte Folded Reload
	buffer_load_dword v82, off, s[24:27], 0 offset:380 ; 4-byte Folded Reload
	;; [unrolled: 1-line block ×4, first 2 shown]
	v_mul_f64 v[90:91], v[117:118], v[123:124]
	v_mul_f64 v[92:93], v[119:120], v[123:124]
	v_cmp_lt_i32_e32 vcc, 46, v94
	v_mov_b32_e32 v0, s9
	v_fma_f64 v[90:91], v[119:120], v[121:122], v[90:91]
	v_fma_f64 v[92:93], v[117:118], v[121:122], -v[92:93]
	v_cndmask_b32_e32 v120, v124, v91, vcc
	v_cndmask_b32_e32 v119, v123, v90, vcc
	v_lshlrev_b64 v[90:91], 4, v[94:95]
	v_cndmask_b32_e32 v118, v122, v93, vcc
	v_cndmask_b32_e32 v117, v121, v92, vcc
	v_add_co_u32_e32 v90, vcc, v127, v90
	v_addc_co_u32_e32 v91, vcc, v89, v91, vcc
	s_waitcnt vmcnt(0)
	global_store_dwordx4 v[90:91], v[81:84], off
	buffer_load_dword v81, off, s[24:27], 0 offset:360 ; 4-byte Folded Reload
	s_nop 0
	buffer_load_dword v82, off, s[24:27], 0 offset:364 ; 4-byte Folded Reload
	buffer_load_dword v83, off, s[24:27], 0 offset:368 ; 4-byte Folded Reload
	;; [unrolled: 1-line block ×3, first 2 shown]
	v_add_co_u32_e32 v90, vcc, s8, v90
	v_addc_co_u32_e32 v91, vcc, v91, v0, vcc
	s_waitcnt vmcnt(0)
	global_store_dwordx4 v[90:91], v[81:84], off
	buffer_load_dword v81, off, s[24:27], 0 offset:344 ; 4-byte Folded Reload
	s_nop 0
	buffer_load_dword v82, off, s[24:27], 0 offset:348 ; 4-byte Folded Reload
	buffer_load_dword v83, off, s[24:27], 0 offset:352 ; 4-byte Folded Reload
	;; [unrolled: 1-line block ×3, first 2 shown]
	v_add_u32_e32 v90, s16, v94
	v_ashrrev_i32_e32 v91, 31, v90
	v_lshlrev_b64 v[91:92], 4, v[90:91]
	v_add_u32_e32 v90, s2, v90
	v_add_co_u32_e32 v91, vcc, v127, v91
	v_addc_co_u32_e32 v92, vcc, v89, v92, vcc
	s_waitcnt vmcnt(0)
	global_store_dwordx4 v[91:92], v[81:84], off
	buffer_load_dword v81, off, s[24:27], 0 offset:320 ; 4-byte Folded Reload
	s_nop 0
	buffer_load_dword v82, off, s[24:27], 0 offset:324 ; 4-byte Folded Reload
	buffer_load_dword v83, off, s[24:27], 0 offset:328 ; 4-byte Folded Reload
	buffer_load_dword v84, off, s[24:27], 0 offset:332 ; 4-byte Folded Reload
	v_ashrrev_i32_e32 v91, 31, v90
	v_lshlrev_b64 v[91:92], 4, v[90:91]
	v_add_u32_e32 v90, s2, v90
	v_add_co_u32_e32 v91, vcc, v127, v91
	v_addc_co_u32_e32 v92, vcc, v89, v92, vcc
	s_waitcnt vmcnt(0)
	global_store_dwordx4 v[91:92], v[81:84], off
	buffer_load_dword v81, off, s[24:27], 0 offset:304 ; 4-byte Folded Reload
	s_nop 0
	buffer_load_dword v82, off, s[24:27], 0 offset:308 ; 4-byte Folded Reload
	buffer_load_dword v83, off, s[24:27], 0 offset:312 ; 4-byte Folded Reload
	buffer_load_dword v84, off, s[24:27], 0 offset:316 ; 4-byte Folded Reload
	;; [unrolled: 12-line block ×20, first 2 shown]
	v_ashrrev_i32_e32 v91, 31, v90
	v_lshlrev_b64 v[91:92], 4, v[90:91]
	v_add_u32_e32 v90, s2, v90
	v_add_co_u32_e32 v91, vcc, v127, v91
	v_addc_co_u32_e32 v92, vcc, v89, v92, vcc
	s_waitcnt vmcnt(0)
	global_store_dwordx4 v[91:92], v[81:84], off
	v_ashrrev_i32_e32 v91, 31, v90
	v_lshlrev_b64 v[91:92], 4, v[90:91]
	v_add_u32_e32 v90, s2, v90
	v_add_co_u32_e32 v91, vcc, v127, v91
	v_addc_co_u32_e32 v92, vcc, v89, v92, vcc
	global_store_dwordx4 v[91:92], v[85:88], off
	v_ashrrev_i32_e32 v91, 31, v90
	v_lshlrev_b64 v[91:92], 4, v[90:91]
	v_add_u32_e32 v85, s2, v90
	v_add_co_u32_e32 v91, vcc, v127, v91
	v_addc_co_u32_e32 v92, vcc, v89, v92, vcc
	global_store_dwordx4 v[91:92], v[111:114], off
	buffer_load_dword v81, off, s[24:27], 0 ; 4-byte Folded Reload
	buffer_load_dword v82, off, s[24:27], 0 offset:4 ; 4-byte Folded Reload
	buffer_load_dword v83, off, s[24:27], 0 offset:8 ; 4-byte Folded Reload
	;; [unrolled: 1-line block ×3, first 2 shown]
	v_ashrrev_i32_e32 v86, 31, v85
	v_lshlrev_b64 v[86:87], 4, v[85:86]
	v_add_co_u32_e32 v86, vcc, v127, v86
	v_addc_co_u32_e32 v87, vcc, v89, v87, vcc
	s_waitcnt vmcnt(0)
	global_store_dwordx4 v[86:87], v[81:84], off
	s_nop 0
	v_add_u32_e32 v81, s2, v85
	v_ashrrev_i32_e32 v82, 31, v81
	v_lshlrev_b64 v[82:83], 4, v[81:82]
	v_add_co_u32_e32 v82, vcc, v127, v82
	v_addc_co_u32_e32 v83, vcc, v89, v83, vcc
	global_store_dwordx4 v[82:83], v[77:80], off
	s_nop 0
	v_add_u32_e32 v77, s2, v81
	v_ashrrev_i32_e32 v78, 31, v77
	v_lshlrev_b64 v[78:79], 4, v[77:78]
	v_add_co_u32_e32 v78, vcc, v127, v78
	v_addc_co_u32_e32 v79, vcc, v89, v79, vcc
	;; [unrolled: 7-line block ×19, first 2 shown]
	global_store_dwordx4 v[10:11], v[5:8], off
	s_nop 0
	v_add_u32_e32 v5, s2, v9
	v_ashrrev_i32_e32 v6, 31, v5
	v_lshlrev_b64 v[6:7], 4, v[5:6]
	v_add_u32_e32 v0, s2, v5
	v_add_co_u32_e32 v6, vcc, v127, v6
	v_addc_co_u32_e32 v7, vcc, v89, v7, vcc
	global_store_dwordx4 v[6:7], v[1:4], off
	s_nop 0
	v_ashrrev_i32_e32 v1, 31, v0
	v_lshlrev_b64 v[0:1], 4, v[0:1]
	v_add_co_u32_e32 v0, vcc, v127, v0
	v_addc_co_u32_e32 v1, vcc, v89, v1, vcc
	global_store_dwordx4 v[0:1], v[117:120], off
.LBB92_988:
	s_endpgm
	.section	.rodata,"a",@progbits
	.p2align	6, 0x0
	.amdhsa_kernel _ZN9rocsolver6v33100L18getf2_small_kernelILi47E19rocblas_complex_numIdEiiPS3_EEvT1_T3_lS5_lPS5_llPT2_S5_S5_S7_l
		.amdhsa_group_segment_fixed_size 0
		.amdhsa_private_segment_fixed_size 396
		.amdhsa_kernarg_size 352
		.amdhsa_user_sgpr_count 6
		.amdhsa_user_sgpr_private_segment_buffer 1
		.amdhsa_user_sgpr_dispatch_ptr 0
		.amdhsa_user_sgpr_queue_ptr 0
		.amdhsa_user_sgpr_kernarg_segment_ptr 1
		.amdhsa_user_sgpr_dispatch_id 0
		.amdhsa_user_sgpr_flat_scratch_init 0
		.amdhsa_user_sgpr_private_segment_size 0
		.amdhsa_uses_dynamic_stack 0
		.amdhsa_system_sgpr_private_segment_wavefront_offset 1
		.amdhsa_system_sgpr_workgroup_id_x 1
		.amdhsa_system_sgpr_workgroup_id_y 1
		.amdhsa_system_sgpr_workgroup_id_z 0
		.amdhsa_system_sgpr_workgroup_info 0
		.amdhsa_system_vgpr_workitem_id 1
		.amdhsa_next_free_vgpr 128
		.amdhsa_next_free_sgpr 30
		.amdhsa_reserve_vcc 1
		.amdhsa_reserve_flat_scratch 0
		.amdhsa_float_round_mode_32 0
		.amdhsa_float_round_mode_16_64 0
		.amdhsa_float_denorm_mode_32 3
		.amdhsa_float_denorm_mode_16_64 3
		.amdhsa_dx10_clamp 1
		.amdhsa_ieee_mode 1
		.amdhsa_fp16_overflow 0
		.amdhsa_exception_fp_ieee_invalid_op 0
		.amdhsa_exception_fp_denorm_src 0
		.amdhsa_exception_fp_ieee_div_zero 0
		.amdhsa_exception_fp_ieee_overflow 0
		.amdhsa_exception_fp_ieee_underflow 0
		.amdhsa_exception_fp_ieee_inexact 0
		.amdhsa_exception_int_div_zero 0
	.end_amdhsa_kernel
	.section	.text._ZN9rocsolver6v33100L18getf2_small_kernelILi47E19rocblas_complex_numIdEiiPS3_EEvT1_T3_lS5_lPS5_llPT2_S5_S5_S7_l,"axG",@progbits,_ZN9rocsolver6v33100L18getf2_small_kernelILi47E19rocblas_complex_numIdEiiPS3_EEvT1_T3_lS5_lPS5_llPT2_S5_S5_S7_l,comdat
.Lfunc_end92:
	.size	_ZN9rocsolver6v33100L18getf2_small_kernelILi47E19rocblas_complex_numIdEiiPS3_EEvT1_T3_lS5_lPS5_llPT2_S5_S5_S7_l, .Lfunc_end92-_ZN9rocsolver6v33100L18getf2_small_kernelILi47E19rocblas_complex_numIdEiiPS3_EEvT1_T3_lS5_lPS5_llPT2_S5_S5_S7_l
                                        ; -- End function
	.set _ZN9rocsolver6v33100L18getf2_small_kernelILi47E19rocblas_complex_numIdEiiPS3_EEvT1_T3_lS5_lPS5_llPT2_S5_S5_S7_l.num_vgpr, 128
	.set _ZN9rocsolver6v33100L18getf2_small_kernelILi47E19rocblas_complex_numIdEiiPS3_EEvT1_T3_lS5_lPS5_llPT2_S5_S5_S7_l.num_agpr, 0
	.set _ZN9rocsolver6v33100L18getf2_small_kernelILi47E19rocblas_complex_numIdEiiPS3_EEvT1_T3_lS5_lPS5_llPT2_S5_S5_S7_l.numbered_sgpr, 30
	.set _ZN9rocsolver6v33100L18getf2_small_kernelILi47E19rocblas_complex_numIdEiiPS3_EEvT1_T3_lS5_lPS5_llPT2_S5_S5_S7_l.num_named_barrier, 0
	.set _ZN9rocsolver6v33100L18getf2_small_kernelILi47E19rocblas_complex_numIdEiiPS3_EEvT1_T3_lS5_lPS5_llPT2_S5_S5_S7_l.private_seg_size, 396
	.set _ZN9rocsolver6v33100L18getf2_small_kernelILi47E19rocblas_complex_numIdEiiPS3_EEvT1_T3_lS5_lPS5_llPT2_S5_S5_S7_l.uses_vcc, 1
	.set _ZN9rocsolver6v33100L18getf2_small_kernelILi47E19rocblas_complex_numIdEiiPS3_EEvT1_T3_lS5_lPS5_llPT2_S5_S5_S7_l.uses_flat_scratch, 0
	.set _ZN9rocsolver6v33100L18getf2_small_kernelILi47E19rocblas_complex_numIdEiiPS3_EEvT1_T3_lS5_lPS5_llPT2_S5_S5_S7_l.has_dyn_sized_stack, 0
	.set _ZN9rocsolver6v33100L18getf2_small_kernelILi47E19rocblas_complex_numIdEiiPS3_EEvT1_T3_lS5_lPS5_llPT2_S5_S5_S7_l.has_recursion, 0
	.set _ZN9rocsolver6v33100L18getf2_small_kernelILi47E19rocblas_complex_numIdEiiPS3_EEvT1_T3_lS5_lPS5_llPT2_S5_S5_S7_l.has_indirect_call, 0
	.section	.AMDGPU.csdata,"",@progbits
; Kernel info:
; codeLenInByte = 156532
; TotalNumSgprs: 34
; NumVgprs: 128
; ScratchSize: 396
; MemoryBound: 0
; FloatMode: 240
; IeeeMode: 1
; LDSByteSize: 0 bytes/workgroup (compile time only)
; SGPRBlocks: 4
; VGPRBlocks: 31
; NumSGPRsForWavesPerEU: 34
; NumVGPRsForWavesPerEU: 128
; Occupancy: 2
; WaveLimiterHint : 0
; COMPUTE_PGM_RSRC2:SCRATCH_EN: 1
; COMPUTE_PGM_RSRC2:USER_SGPR: 6
; COMPUTE_PGM_RSRC2:TRAP_HANDLER: 0
; COMPUTE_PGM_RSRC2:TGID_X_EN: 1
; COMPUTE_PGM_RSRC2:TGID_Y_EN: 1
; COMPUTE_PGM_RSRC2:TGID_Z_EN: 0
; COMPUTE_PGM_RSRC2:TIDIG_COMP_CNT: 1
	.section	.text._ZN9rocsolver6v33100L23getf2_npvt_small_kernelILi47E19rocblas_complex_numIdEiiPS3_EEvT1_T3_lS5_lPT2_S5_S5_,"axG",@progbits,_ZN9rocsolver6v33100L23getf2_npvt_small_kernelILi47E19rocblas_complex_numIdEiiPS3_EEvT1_T3_lS5_lPT2_S5_S5_,comdat
	.globl	_ZN9rocsolver6v33100L23getf2_npvt_small_kernelILi47E19rocblas_complex_numIdEiiPS3_EEvT1_T3_lS5_lPT2_S5_S5_ ; -- Begin function _ZN9rocsolver6v33100L23getf2_npvt_small_kernelILi47E19rocblas_complex_numIdEiiPS3_EEvT1_T3_lS5_lPT2_S5_S5_
	.p2align	8
	.type	_ZN9rocsolver6v33100L23getf2_npvt_small_kernelILi47E19rocblas_complex_numIdEiiPS3_EEvT1_T3_lS5_lPT2_S5_S5_,@function
_ZN9rocsolver6v33100L23getf2_npvt_small_kernelILi47E19rocblas_complex_numIdEiiPS3_EEvT1_T3_lS5_lPT2_S5_S5_: ; @_ZN9rocsolver6v33100L23getf2_npvt_small_kernelILi47E19rocblas_complex_numIdEiiPS3_EEvT1_T3_lS5_lPT2_S5_S5_
; %bb.0:
	s_mov_b64 s[22:23], s[2:3]
	s_mov_b64 s[20:21], s[0:1]
	s_load_dword s0, s[4:5], 0x44
	s_load_dwordx2 s[12:13], s[4:5], 0x30
	s_add_u32 s20, s20, s8
	s_addc_u32 s21, s21, 0
	s_waitcnt lgkmcnt(0)
	s_lshr_b32 s2, s0, 16
	s_mul_i32 s7, s7, s2
	v_add_u32_e32 v87, s7, v1
	v_cmp_gt_i32_e32 vcc, s12, v87
	s_and_saveexec_b64 s[0:1], vcc
	s_cbranch_execnz .LBB93_1
; %bb.427:
	s_getpc_b64 s[0:1]
.Lpost_getpc7:
	s_add_u32 s0, s0, (.LBB93_426-.Lpost_getpc7)&4294967295
	s_addc_u32 s1, s1, (.LBB93_426-.Lpost_getpc7)>>32
	s_setpc_b64 s[0:1]
.LBB93_1:
	s_load_dwordx4 s[8:11], s[4:5], 0x20
	s_load_dwordx4 s[16:19], s[4:5], 0x8
	v_ashrrev_i32_e32 v88, 31, v87
	s_mulk_i32 s2, 0x2f0
	s_waitcnt lgkmcnt(0)
	v_mul_lo_u32 v4, s9, v87
	v_mul_lo_u32 v5, s8, v88
	v_mad_u64_u32 v[2:3], s[0:1], s8, v87, 0
	s_load_dword s0, s[4:5], 0x18
	v_mov_b32_e32 v6, s17
	v_add3_u32 v3, v3, v5, v4
	v_lshlrev_b64 v[2:3], 4, v[2:3]
	s_lshl_b64 s[4:5], s[18:19], 4
	v_add_co_u32_e32 v2, vcc, s16, v2
	v_addc_co_u32_e32 v3, vcc, v6, v3, vcc
	v_mov_b32_e32 v4, s5
	v_add_co_u32_e32 v2, vcc, s4, v2
	s_waitcnt lgkmcnt(0)
	s_add_i32 s1, s0, s0
	v_addc_co_u32_e32 v3, vcc, v3, v4, vcc
	v_add_u32_e32 v4, s1, v0
	v_ashrrev_i32_e32 v5, 31, v4
	v_lshlrev_b64 v[5:6], 4, v[4:5]
	v_add_u32_e32 v4, s0, v4
	v_add_co_u32_e32 v91, vcc, v2, v5
	v_ashrrev_i32_e32 v5, 31, v4
	v_addc_co_u32_e32 v92, vcc, v3, v6, vcc
	v_lshlrev_b64 v[5:6], 4, v[4:5]
	v_add_u32_e32 v4, s0, v4
	v_add_co_u32_e32 v57, vcc, v2, v5
	v_ashrrev_i32_e32 v5, 31, v4
	v_addc_co_u32_e32 v58, vcc, v3, v6, vcc
	;; [unrolled: 5-line block ×43, first 2 shown]
	v_lshlrev_b64 v[5:6], 4, v[4:5]
	v_add_u32_e32 v4, s0, v4
	v_add_co_u32_e32 v115, vcc, v2, v5
	v_ashrrev_i32_e32 v5, 31, v4
	v_lshlrev_b64 v[4:5], 4, v[4:5]
	v_addc_co_u32_e32 v116, vcc, v3, v6, vcc
	v_add_co_u32_e32 v121, vcc, v2, v4
	v_addc_co_u32_e32 v122, vcc, v3, v5, vcc
	v_lshlrev_b32_e32 v4, 4, v0
	v_add_co_u32_e32 v4, vcc, v2, v4
	s_ashr_i32 s1, s0, 31
	v_addc_co_u32_e32 v5, vcc, 0, v3, vcc
	s_lshl_b64 s[0:1], s[0:1], 4
	v_mov_b32_e32 v2, s1
	v_add_co_u32_e32 v61, vcc, s0, v4
	v_addc_co_u32_e32 v62, vcc, v5, v2, vcc
	buffer_store_dword v4, off, s[20:23], 0 offset:736 ; 4-byte Folded Spill
	s_nop 0
	buffer_store_dword v5, off, s[20:23], 0 offset:740 ; 4-byte Folded Spill
	s_movk_i32 s0, 0x2f0
	s_add_i32 s1, s2, 0
	v_mad_u32_u24 v125, v1, s0, 0
	v_lshl_add_u32 v127, v1, 4, s1
	v_cmp_ne_u32_e64 s[2:3], 0, v0
	v_cmp_eq_u32_e64 s[0:1], 0, v0
	global_load_dwordx4 v[1:4], v[4:5], off
	s_waitcnt vmcnt(0)
	buffer_store_dword v1, off, s[20:23], 0 offset:368 ; 4-byte Folded Spill
	s_nop 0
	buffer_store_dword v2, off, s[20:23], 0 offset:372 ; 4-byte Folded Spill
	buffer_store_dword v3, off, s[20:23], 0 offset:376 ; 4-byte Folded Spill
	;; [unrolled: 1-line block ×4, first 2 shown]
	s_nop 0
	buffer_store_dword v62, off, s[20:23], 0 offset:748 ; 4-byte Folded Spill
	global_load_dwordx4 v[1:4], v[61:62], off
	s_waitcnt vmcnt(0)
	buffer_store_dword v1, off, s[20:23], 0 offset:352 ; 4-byte Folded Spill
	s_nop 0
	buffer_store_dword v2, off, s[20:23], 0 offset:356 ; 4-byte Folded Spill
	buffer_store_dword v3, off, s[20:23], 0 offset:360 ; 4-byte Folded Spill
	;; [unrolled: 1-line block ×3, first 2 shown]
	global_load_dwordx4 v[1:4], v[91:92], off
	s_waitcnt vmcnt(0)
	buffer_store_dword v1, off, s[20:23], 0 offset:336 ; 4-byte Folded Spill
	s_nop 0
	buffer_store_dword v2, off, s[20:23], 0 offset:340 ; 4-byte Folded Spill
	buffer_store_dword v3, off, s[20:23], 0 offset:344 ; 4-byte Folded Spill
	buffer_store_dword v4, off, s[20:23], 0 offset:348 ; 4-byte Folded Spill
	buffer_store_dword v57, off, s[20:23], 0 offset:728 ; 4-byte Folded Spill
	s_nop 0
	buffer_store_dword v58, off, s[20:23], 0 offset:732 ; 4-byte Folded Spill
	global_load_dwordx4 v[1:4], v[57:58], off
	s_waitcnt vmcnt(0)
	buffer_store_dword v1, off, s[20:23], 0 offset:320 ; 4-byte Folded Spill
	s_nop 0
	buffer_store_dword v2, off, s[20:23], 0 offset:324 ; 4-byte Folded Spill
	buffer_store_dword v3, off, s[20:23], 0 offset:328 ; 4-byte Folded Spill
	buffer_store_dword v4, off, s[20:23], 0 offset:332 ; 4-byte Folded Spill
	buffer_store_dword v59, off, s[20:23], 0 offset:720 ; 4-byte Folded Spill
	s_nop 0
	buffer_store_dword v60, off, s[20:23], 0 offset:724 ; 4-byte Folded Spill
	;; [unrolled: 10-line block ×3, first 2 shown]
	global_load_dwordx4 v[1:4], v[7:8], off
	s_waitcnt vmcnt(0)
	buffer_store_dword v1, off, s[20:23], 0 offset:288 ; 4-byte Folded Spill
	s_nop 0
	buffer_store_dword v2, off, s[20:23], 0 offset:292 ; 4-byte Folded Spill
	buffer_store_dword v3, off, s[20:23], 0 offset:296 ; 4-byte Folded Spill
	;; [unrolled: 1-line block ×3, first 2 shown]
	global_load_dwordx4 v[1:4], v[85:86], off
	s_waitcnt vmcnt(0)
	buffer_store_dword v1, off, s[20:23], 0 offset:272 ; 4-byte Folded Spill
	s_nop 0
	buffer_store_dword v2, off, s[20:23], 0 offset:276 ; 4-byte Folded Spill
	buffer_store_dword v3, off, s[20:23], 0 offset:280 ; 4-byte Folded Spill
	buffer_store_dword v4, off, s[20:23], 0 offset:284 ; 4-byte Folded Spill
	buffer_store_dword v9, off, s[20:23], 0 offset:408 ; 4-byte Folded Spill
	s_nop 0
	buffer_store_dword v10, off, s[20:23], 0 offset:412 ; 4-byte Folded Spill
	global_load_dwordx4 v[1:4], v[9:10], off
	s_waitcnt vmcnt(0)
	buffer_store_dword v1, off, s[20:23], 0 offset:256 ; 4-byte Folded Spill
	s_nop 0
	buffer_store_dword v2, off, s[20:23], 0 offset:260 ; 4-byte Folded Spill
	buffer_store_dword v3, off, s[20:23], 0 offset:264 ; 4-byte Folded Spill
	buffer_store_dword v4, off, s[20:23], 0 offset:268 ; 4-byte Folded Spill
	buffer_store_dword v11, off, s[20:23], 0 offset:416 ; 4-byte Folded Spill
	s_nop 0
	buffer_store_dword v12, off, s[20:23], 0 offset:420 ; 4-byte Folded Spill
	;; [unrolled: 10-line block ×15, first 2 shown]
	global_load_dwordx4 v[69:72], v[37:38], off
	s_nop 0
	buffer_store_dword v39, off, s[20:23], 0 offset:528 ; 4-byte Folded Spill
	s_nop 0
	buffer_store_dword v40, off, s[20:23], 0 offset:532 ; 4-byte Folded Spill
	global_load_dwordx4 v[117:120], v[39:40], off
	s_nop 0
	buffer_store_dword v41, off, s[20:23], 0 offset:536 ; 4-byte Folded Spill
	s_nop 0
	buffer_store_dword v42, off, s[20:23], 0 offset:540 ; 4-byte Folded Spill
	global_load_dwordx4 v[77:80], v[41:42], off
	global_load_dwordx4 v[37:40], v[81:82], off
	s_nop 0
	buffer_store_dword v43, off, s[20:23], 0 offset:544 ; 4-byte Folded Spill
	s_nop 0
	buffer_store_dword v44, off, s[20:23], 0 offset:548 ; 4-byte Folded Spill
	global_load_dwordx4 v[1:4], v[43:44], off
	s_nop 0
	buffer_store_dword v45, off, s[20:23], 0 offset:552 ; 4-byte Folded Spill
	s_nop 0
	buffer_store_dword v46, off, s[20:23], 0 offset:556 ; 4-byte Folded Spill
	global_load_dwordx4 v[5:8], v[45:46], off
	s_waitcnt vmcnt(0)
	buffer_store_dword v5, off, s[20:23], 0 offset:32 ; 4-byte Folded Spill
	s_nop 0
	buffer_store_dword v6, off, s[20:23], 0 offset:36 ; 4-byte Folded Spill
	buffer_store_dword v7, off, s[20:23], 0 offset:40 ; 4-byte Folded Spill
	;; [unrolled: 1-line block ×4, first 2 shown]
	s_nop 0
	buffer_store_dword v48, off, s[20:23], 0 offset:564 ; 4-byte Folded Spill
	global_load_dwordx4 v[5:8], v[47:48], off
	s_waitcnt vmcnt(0)
	buffer_store_dword v5, off, s[20:23], 0 offset:16 ; 4-byte Folded Spill
	s_nop 0
	buffer_store_dword v6, off, s[20:23], 0 offset:20 ; 4-byte Folded Spill
	buffer_store_dword v7, off, s[20:23], 0 offset:24 ; 4-byte Folded Spill
	;; [unrolled: 1-line block ×4, first 2 shown]
	s_nop 0
	buffer_store_dword v50, off, s[20:23], 0 offset:572 ; 4-byte Folded Spill
	global_load_dwordx4 v[5:8], v[49:50], off
	s_waitcnt vmcnt(0)
	buffer_store_dword v5, off, s[20:23], 0 ; 4-byte Folded Spill
	s_nop 0
	buffer_store_dword v6, off, s[20:23], 0 offset:4 ; 4-byte Folded Spill
	buffer_store_dword v7, off, s[20:23], 0 offset:8 ; 4-byte Folded Spill
	;; [unrolled: 1-line block ×4, first 2 shown]
	s_nop 0
	buffer_store_dword v52, off, s[20:23], 0 offset:580 ; 4-byte Folded Spill
	global_load_dwordx4 v[65:68], v[51:52], off
	s_nop 0
	buffer_store_dword v53, off, s[20:23], 0 offset:584 ; 4-byte Folded Spill
	s_nop 0
	buffer_store_dword v54, off, s[20:23], 0 offset:588 ; 4-byte Folded Spill
	global_load_dwordx4 v[61:64], v[53:54], off
	s_nop 0
	buffer_store_dword v55, off, s[20:23], 0 offset:592 ; 4-byte Folded Spill
	s_nop 0
	buffer_store_dword v56, off, s[20:23], 0 offset:596 ; 4-byte Folded Spill
	global_load_dwordx4 v[57:60], v[55:56], off
	s_nop 0
	buffer_store_dword v83, off, s[20:23], 0 offset:600 ; 4-byte Folded Spill
	s_nop 0
	buffer_store_dword v84, off, s[20:23], 0 offset:604 ; 4-byte Folded Spill
	global_load_dwordx4 v[53:56], v[83:84], off
	s_nop 0
	buffer_store_dword v89, off, s[20:23], 0 offset:608 ; 4-byte Folded Spill
	s_nop 0
	buffer_store_dword v90, off, s[20:23], 0 offset:612 ; 4-byte Folded Spill
	global_load_dwordx4 v[49:52], v[89:90], off
	s_nop 0
	buffer_store_dword v93, off, s[20:23], 0 offset:616 ; 4-byte Folded Spill
	s_nop 0
	buffer_store_dword v94, off, s[20:23], 0 offset:620 ; 4-byte Folded Spill
	global_load_dwordx4 v[45:48], v[93:94], off
	s_nop 0
	buffer_store_dword v95, off, s[20:23], 0 offset:624 ; 4-byte Folded Spill
	s_nop 0
	buffer_store_dword v96, off, s[20:23], 0 offset:628 ; 4-byte Folded Spill
	global_load_dwordx4 v[41:44], v[95:96], off
	s_nop 0
	buffer_store_dword v97, off, s[20:23], 0 offset:632 ; 4-byte Folded Spill
	s_nop 0
	buffer_store_dword v98, off, s[20:23], 0 offset:636 ; 4-byte Folded Spill
	v_mov_b32_e32 v96, v4
	v_mov_b32_e32 v95, v3
	;; [unrolled: 1-line block ×4, first 2 shown]
	global_load_dwordx4 v[33:36], v[97:98], off
	s_nop 0
	buffer_store_dword v99, off, s[20:23], 0 offset:640 ; 4-byte Folded Spill
	s_nop 0
	buffer_store_dword v100, off, s[20:23], 0 offset:644 ; 4-byte Folded Spill
	global_load_dwordx4 v[29:32], v[99:100], off
	s_nop 0
	buffer_store_dword v101, off, s[20:23], 0 offset:648 ; 4-byte Folded Spill
	s_nop 0
	buffer_store_dword v102, off, s[20:23], 0 offset:652 ; 4-byte Folded Spill
	;; [unrolled: 5-line block ×8, first 2 shown]
	v_mov_b32_e32 v112, v80
	v_mov_b32_e32 v111, v79
	;; [unrolled: 1-line block ×4, first 2 shown]
	global_load_dwordx4 v[1:4], v[113:114], off
	s_nop 0
	buffer_store_dword v115, off, s[20:23], 0 offset:704 ; 4-byte Folded Spill
	s_nop 0
	buffer_store_dword v116, off, s[20:23], 0 offset:708 ; 4-byte Folded Spill
	global_load_dwordx4 v[77:80], v[115:116], off
	s_nop 0
	buffer_store_dword v121, off, s[20:23], 0 offset:712 ; 4-byte Folded Spill
	s_nop 0
	buffer_store_dword v122, off, s[20:23], 0 offset:716 ; 4-byte Folded Spill
	v_mov_b32_e32 v116, v40
	v_mov_b32_e32 v115, v39
	v_mov_b32_e32 v114, v38
	v_mov_b32_e32 v113, v37
	s_waitcnt vmcnt(29)
	v_mov_b32_e32 v40, v36
	v_mov_b32_e32 v39, v35
	v_mov_b32_e32 v38, v34
	v_mov_b32_e32 v37, v33
	s_waitcnt vmcnt(26)
	;; [unrolled: 5-line block ×9, first 2 shown]
	v_mov_b32_e32 v8, v4
	v_mov_b32_e32 v7, v3
	;; [unrolled: 1-line block ×4, first 2 shown]
	global_load_dwordx4 v[73:76], v[121:122], off
	s_waitcnt vmcnt(3)
	v_mov_b32_e32 v1, v77
	v_mov_b32_e32 v124, v72
	;; [unrolled: 1-line block ×8, first 2 shown]
	s_and_saveexec_b64 s[6:7], s[0:1]
	s_cbranch_execz .LBB93_8
; %bb.2:
	buffer_load_dword v69, off, s[20:23], 0 offset:368 ; 4-byte Folded Reload
	buffer_load_dword v70, off, s[20:23], 0 offset:372 ; 4-byte Folded Reload
	;; [unrolled: 1-line block ×4, first 2 shown]
	s_waitcnt vmcnt(0)
	ds_write2_b64 v127, v[69:70], v[71:72] offset1:1
	buffer_load_dword v69, off, s[20:23], 0 offset:352 ; 4-byte Folded Reload
	buffer_load_dword v70, off, s[20:23], 0 offset:356 ; 4-byte Folded Reload
	buffer_load_dword v71, off, s[20:23], 0 offset:360 ; 4-byte Folded Reload
	buffer_load_dword v72, off, s[20:23], 0 offset:364 ; 4-byte Folded Reload
	s_waitcnt vmcnt(0)
	ds_write2_b64 v125, v[69:70], v[71:72] offset0:2 offset1:3
	buffer_load_dword v69, off, s[20:23], 0 offset:336 ; 4-byte Folded Reload
	buffer_load_dword v70, off, s[20:23], 0 offset:340 ; 4-byte Folded Reload
	buffer_load_dword v71, off, s[20:23], 0 offset:344 ; 4-byte Folded Reload
	buffer_load_dword v72, off, s[20:23], 0 offset:348 ; 4-byte Folded Reload
	s_waitcnt vmcnt(0)
	ds_write2_b64 v125, v[69:70], v[71:72] offset0:4 offset1:5
	;; [unrolled: 6-line block ×20, first 2 shown]
	ds_write2_b64 v125, v[121:122], v[123:124] offset0:42 offset1:43
	ds_write2_b64 v125, v[117:118], v[119:120] offset0:44 offset1:45
	;; [unrolled: 1-line block ×5, first 2 shown]
	buffer_load_dword v77, off, s[20:23], 0 offset:32 ; 4-byte Folded Reload
	buffer_load_dword v78, off, s[20:23], 0 offset:36 ; 4-byte Folded Reload
	;; [unrolled: 1-line block ×4, first 2 shown]
	v_mov_b32_e32 v69, v73
	v_mov_b32_e32 v70, v74
	;; [unrolled: 1-line block ×4, first 2 shown]
	s_waitcnt vmcnt(0)
	ds_write2_b64 v125, v[77:78], v[79:80] offset0:52 offset1:53
	buffer_load_dword v73, off, s[20:23], 0 offset:16 ; 4-byte Folded Reload
	buffer_load_dword v74, off, s[20:23], 0 offset:20 ; 4-byte Folded Reload
	;; [unrolled: 1-line block ×4, first 2 shown]
	s_waitcnt vmcnt(0)
	ds_write2_b64 v125, v[73:74], v[75:76] offset0:54 offset1:55
	v_mov_b32_e32 v76, v72
	v_mov_b32_e32 v75, v71
	;; [unrolled: 1-line block ×4, first 2 shown]
	buffer_load_dword v69, off, s[20:23], 0 ; 4-byte Folded Reload
	buffer_load_dword v70, off, s[20:23], 0 offset:4 ; 4-byte Folded Reload
	buffer_load_dword v71, off, s[20:23], 0 offset:8 ; 4-byte Folded Reload
	;; [unrolled: 1-line block ×3, first 2 shown]
	s_waitcnt vmcnt(0)
	ds_write2_b64 v125, v[69:70], v[71:72] offset0:56 offset1:57
	ds_write2_b64 v125, v[65:66], v[67:68] offset0:58 offset1:59
	;; [unrolled: 1-line block ×19, first 2 shown]
	ds_read2_b64 v[97:100], v127 offset1:1
	s_waitcnt lgkmcnt(0)
	v_cmp_neq_f64_e32 vcc, 0, v[97:98]
	v_cmp_neq_f64_e64 s[4:5], 0, v[99:100]
	s_or_b64 s[4:5], vcc, s[4:5]
	s_and_b64 exec, exec, s[4:5]
	s_cbranch_execz .LBB93_8
; %bb.3:
	v_cmp_ngt_f64_e64 s[4:5], |v[97:98]|, |v[99:100]|
                                        ; implicit-def: $vgpr101_vgpr102
	s_and_saveexec_b64 s[8:9], s[4:5]
	s_xor_b64 s[4:5], exec, s[8:9]
                                        ; implicit-def: $vgpr103_vgpr104
	s_cbranch_execz .LBB93_5
; %bb.4:
	v_div_scale_f64 v[101:102], s[8:9], v[99:100], v[99:100], v[97:98]
	v_rcp_f64_e32 v[103:104], v[101:102]
	v_fma_f64 v[105:106], -v[101:102], v[103:104], 1.0
	v_fma_f64 v[103:104], v[103:104], v[105:106], v[103:104]
	v_div_scale_f64 v[105:106], vcc, v[97:98], v[99:100], v[97:98]
	v_fma_f64 v[107:108], -v[101:102], v[103:104], 1.0
	v_fma_f64 v[103:104], v[103:104], v[107:108], v[103:104]
	v_mul_f64 v[107:108], v[105:106], v[103:104]
	v_fma_f64 v[101:102], -v[101:102], v[107:108], v[105:106]
	v_div_fmas_f64 v[101:102], v[101:102], v[103:104], v[107:108]
	v_div_fixup_f64 v[101:102], v[101:102], v[99:100], v[97:98]
	v_fma_f64 v[97:98], v[97:98], v[101:102], v[99:100]
	v_div_scale_f64 v[99:100], s[8:9], v[97:98], v[97:98], 1.0
	v_div_scale_f64 v[107:108], vcc, 1.0, v[97:98], 1.0
	v_rcp_f64_e32 v[103:104], v[99:100]
	v_fma_f64 v[105:106], -v[99:100], v[103:104], 1.0
	v_fma_f64 v[103:104], v[103:104], v[105:106], v[103:104]
	v_fma_f64 v[105:106], -v[99:100], v[103:104], 1.0
	v_fma_f64 v[103:104], v[103:104], v[105:106], v[103:104]
	v_mul_f64 v[105:106], v[107:108], v[103:104]
	v_fma_f64 v[99:100], -v[99:100], v[105:106], v[107:108]
	v_div_fmas_f64 v[99:100], v[99:100], v[103:104], v[105:106]
	v_div_fixup_f64 v[103:104], v[99:100], v[97:98], 1.0
                                        ; implicit-def: $vgpr97_vgpr98
	v_mul_f64 v[101:102], v[101:102], v[103:104]
	v_xor_b32_e32 v104, 0x80000000, v104
.LBB93_5:
	s_andn2_saveexec_b64 s[4:5], s[4:5]
	s_cbranch_execz .LBB93_7
; %bb.6:
	v_div_scale_f64 v[101:102], s[8:9], v[97:98], v[97:98], v[99:100]
	v_rcp_f64_e32 v[103:104], v[101:102]
	v_fma_f64 v[105:106], -v[101:102], v[103:104], 1.0
	v_fma_f64 v[103:104], v[103:104], v[105:106], v[103:104]
	v_div_scale_f64 v[105:106], vcc, v[99:100], v[97:98], v[99:100]
	v_fma_f64 v[107:108], -v[101:102], v[103:104], 1.0
	v_fma_f64 v[103:104], v[103:104], v[107:108], v[103:104]
	v_mul_f64 v[107:108], v[105:106], v[103:104]
	v_fma_f64 v[101:102], -v[101:102], v[107:108], v[105:106]
	v_div_fmas_f64 v[101:102], v[101:102], v[103:104], v[107:108]
	v_div_fixup_f64 v[103:104], v[101:102], v[97:98], v[99:100]
	v_fma_f64 v[97:98], v[99:100], v[103:104], v[97:98]
	v_div_scale_f64 v[99:100], s[8:9], v[97:98], v[97:98], 1.0
	v_div_scale_f64 v[107:108], vcc, 1.0, v[97:98], 1.0
	v_rcp_f64_e32 v[101:102], v[99:100]
	v_fma_f64 v[105:106], -v[99:100], v[101:102], 1.0
	v_fma_f64 v[101:102], v[101:102], v[105:106], v[101:102]
	v_fma_f64 v[105:106], -v[99:100], v[101:102], 1.0
	v_fma_f64 v[101:102], v[101:102], v[105:106], v[101:102]
	v_mul_f64 v[105:106], v[107:108], v[101:102]
	v_fma_f64 v[99:100], -v[99:100], v[105:106], v[107:108]
	v_div_fmas_f64 v[99:100], v[99:100], v[101:102], v[105:106]
	v_div_fixup_f64 v[101:102], v[99:100], v[97:98], 1.0
	v_mul_f64 v[103:104], v[103:104], -v[101:102]
.LBB93_7:
	s_or_b64 exec, exec, s[4:5]
	ds_write2_b64 v127, v[101:102], v[103:104] offset1:1
.LBB93_8:
	s_or_b64 exec, exec, s[6:7]
	s_waitcnt vmcnt(0) lgkmcnt(0)
	s_barrier
	ds_read2_b64 v[69:72], v127 offset1:1
	s_waitcnt lgkmcnt(0)
	buffer_store_dword v69, off, s[20:23], 0 offset:752 ; 4-byte Folded Spill
	s_nop 0
	buffer_store_dword v70, off, s[20:23], 0 offset:756 ; 4-byte Folded Spill
	buffer_store_dword v71, off, s[20:23], 0 offset:760 ; 4-byte Folded Spill
	buffer_store_dword v72, off, s[20:23], 0 offset:764 ; 4-byte Folded Spill
	s_and_saveexec_b64 s[4:5], s[2:3]
	s_cbranch_execz .LBB93_10
; %bb.9:
	buffer_load_dword v103, off, s[20:23], 0 offset:368 ; 4-byte Folded Reload
	buffer_load_dword v104, off, s[20:23], 0 offset:372 ; 4-byte Folded Reload
	;; [unrolled: 1-line block ×8, first 2 shown]
	s_waitcnt vmcnt(2)
	v_mul_f64 v[99:100], v[69:70], v[105:106]
	s_waitcnt vmcnt(0)
	v_mul_f64 v[97:98], v[71:72], v[105:106]
	v_fma_f64 v[105:106], v[71:72], v[103:104], v[99:100]
	ds_read2_b64 v[99:102], v125 offset0:2 offset1:3
	v_fma_f64 v[97:98], v[69:70], v[103:104], -v[97:98]
	buffer_load_dword v69, off, s[20:23], 0 offset:352 ; 4-byte Folded Reload
	buffer_load_dword v70, off, s[20:23], 0 offset:356 ; 4-byte Folded Reload
	buffer_load_dword v71, off, s[20:23], 0 offset:360 ; 4-byte Folded Reload
	buffer_load_dword v72, off, s[20:23], 0 offset:364 ; 4-byte Folded Reload
	s_waitcnt lgkmcnt(0)
	v_mul_f64 v[103:104], v[101:102], v[105:106]
	v_fma_f64 v[103:104], v[99:100], v[97:98], -v[103:104]
	v_mul_f64 v[99:100], v[99:100], v[105:106]
	v_fma_f64 v[99:100], v[101:102], v[97:98], v[99:100]
	s_waitcnt vmcnt(2)
	v_add_f64 v[69:70], v[69:70], -v[103:104]
	s_waitcnt vmcnt(0)
	v_add_f64 v[71:72], v[71:72], -v[99:100]
	buffer_store_dword v69, off, s[20:23], 0 offset:352 ; 4-byte Folded Spill
	s_nop 0
	buffer_store_dword v70, off, s[20:23], 0 offset:356 ; 4-byte Folded Spill
	buffer_store_dword v71, off, s[20:23], 0 offset:360 ; 4-byte Folded Spill
	buffer_store_dword v72, off, s[20:23], 0 offset:364 ; 4-byte Folded Spill
	ds_read2_b64 v[99:102], v125 offset0:4 offset1:5
	buffer_load_dword v69, off, s[20:23], 0 offset:336 ; 4-byte Folded Reload
	buffer_load_dword v70, off, s[20:23], 0 offset:340 ; 4-byte Folded Reload
	buffer_load_dword v71, off, s[20:23], 0 offset:344 ; 4-byte Folded Reload
	buffer_load_dword v72, off, s[20:23], 0 offset:348 ; 4-byte Folded Reload
	s_waitcnt lgkmcnt(0)
	v_mul_f64 v[103:104], v[101:102], v[105:106]
	v_fma_f64 v[103:104], v[99:100], v[97:98], -v[103:104]
	v_mul_f64 v[99:100], v[99:100], v[105:106]
	v_fma_f64 v[99:100], v[101:102], v[97:98], v[99:100]
	s_waitcnt vmcnt(2)
	v_add_f64 v[69:70], v[69:70], -v[103:104]
	s_waitcnt vmcnt(0)
	v_add_f64 v[71:72], v[71:72], -v[99:100]
	buffer_store_dword v69, off, s[20:23], 0 offset:336 ; 4-byte Folded Spill
	s_nop 0
	buffer_store_dword v70, off, s[20:23], 0 offset:340 ; 4-byte Folded Spill
	buffer_store_dword v71, off, s[20:23], 0 offset:344 ; 4-byte Folded Spill
	buffer_store_dword v72, off, s[20:23], 0 offset:348 ; 4-byte Folded Spill
	ds_read2_b64 v[99:102], v125 offset0:6 offset1:7
	;; [unrolled: 19-line block ×20, first 2 shown]
	v_mov_b32_e32 v69, v73
	v_mov_b32_e32 v70, v74
	;; [unrolled: 1-line block ×4, first 2 shown]
	s_waitcnt lgkmcnt(0)
	v_mul_f64 v[103:104], v[101:102], v[105:106]
	v_fma_f64 v[103:104], v[99:100], v[97:98], -v[103:104]
	v_mul_f64 v[99:100], v[99:100], v[105:106]
	v_add_f64 v[121:122], v[121:122], -v[103:104]
	v_fma_f64 v[99:100], v[101:102], v[97:98], v[99:100]
	v_add_f64 v[123:124], v[123:124], -v[99:100]
	ds_read2_b64 v[99:102], v125 offset0:44 offset1:45
	s_waitcnt lgkmcnt(0)
	v_mul_f64 v[103:104], v[101:102], v[105:106]
	v_fma_f64 v[103:104], v[99:100], v[97:98], -v[103:104]
	v_mul_f64 v[99:100], v[99:100], v[105:106]
	v_add_f64 v[117:118], v[117:118], -v[103:104]
	v_fma_f64 v[99:100], v[101:102], v[97:98], v[99:100]
	v_add_f64 v[119:120], v[119:120], -v[99:100]
	ds_read2_b64 v[99:102], v125 offset0:46 offset1:47
	;; [unrolled: 8-line block ×5, first 2 shown]
	buffer_load_dword v77, off, s[20:23], 0 offset:32 ; 4-byte Folded Reload
	buffer_load_dword v78, off, s[20:23], 0 offset:36 ; 4-byte Folded Reload
	;; [unrolled: 1-line block ×4, first 2 shown]
	s_waitcnt lgkmcnt(0)
	v_mul_f64 v[103:104], v[101:102], v[105:106]
	v_fma_f64 v[103:104], v[99:100], v[97:98], -v[103:104]
	v_mul_f64 v[99:100], v[99:100], v[105:106]
	v_fma_f64 v[99:100], v[101:102], v[97:98], v[99:100]
	s_waitcnt vmcnt(2)
	v_add_f64 v[77:78], v[77:78], -v[103:104]
	s_waitcnt vmcnt(0)
	v_add_f64 v[79:80], v[79:80], -v[99:100]
	buffer_store_dword v77, off, s[20:23], 0 offset:32 ; 4-byte Folded Spill
	s_nop 0
	buffer_store_dword v78, off, s[20:23], 0 offset:36 ; 4-byte Folded Spill
	buffer_store_dword v79, off, s[20:23], 0 offset:40 ; 4-byte Folded Spill
	;; [unrolled: 1-line block ×3, first 2 shown]
	ds_read2_b64 v[99:102], v125 offset0:54 offset1:55
	buffer_load_dword v73, off, s[20:23], 0 offset:16 ; 4-byte Folded Reload
	buffer_load_dword v74, off, s[20:23], 0 offset:20 ; 4-byte Folded Reload
	;; [unrolled: 1-line block ×4, first 2 shown]
	s_waitcnt lgkmcnt(0)
	v_mul_f64 v[103:104], v[101:102], v[105:106]
	v_fma_f64 v[103:104], v[99:100], v[97:98], -v[103:104]
	v_mul_f64 v[99:100], v[99:100], v[105:106]
	v_fma_f64 v[99:100], v[101:102], v[97:98], v[99:100]
	s_waitcnt vmcnt(2)
	v_add_f64 v[73:74], v[73:74], -v[103:104]
	s_waitcnt vmcnt(0)
	v_add_f64 v[75:76], v[75:76], -v[99:100]
	buffer_store_dword v73, off, s[20:23], 0 offset:16 ; 4-byte Folded Spill
	s_nop 0
	buffer_store_dword v74, off, s[20:23], 0 offset:20 ; 4-byte Folded Spill
	buffer_store_dword v75, off, s[20:23], 0 offset:24 ; 4-byte Folded Spill
	;; [unrolled: 1-line block ×3, first 2 shown]
	v_mov_b32_e32 v76, v72
	v_mov_b32_e32 v75, v71
	;; [unrolled: 1-line block ×4, first 2 shown]
	ds_read2_b64 v[99:102], v125 offset0:56 offset1:57
	buffer_load_dword v69, off, s[20:23], 0 ; 4-byte Folded Reload
	buffer_load_dword v70, off, s[20:23], 0 offset:4 ; 4-byte Folded Reload
	buffer_load_dword v71, off, s[20:23], 0 offset:8 ; 4-byte Folded Reload
	;; [unrolled: 1-line block ×3, first 2 shown]
	s_waitcnt lgkmcnt(0)
	v_mul_f64 v[103:104], v[101:102], v[105:106]
	v_fma_f64 v[103:104], v[99:100], v[97:98], -v[103:104]
	v_mul_f64 v[99:100], v[99:100], v[105:106]
	v_fma_f64 v[99:100], v[101:102], v[97:98], v[99:100]
	s_waitcnt vmcnt(2)
	v_add_f64 v[69:70], v[69:70], -v[103:104]
	s_waitcnt vmcnt(0)
	v_add_f64 v[71:72], v[71:72], -v[99:100]
	buffer_store_dword v69, off, s[20:23], 0 ; 4-byte Folded Spill
	s_nop 0
	buffer_store_dword v70, off, s[20:23], 0 offset:4 ; 4-byte Folded Spill
	buffer_store_dword v71, off, s[20:23], 0 offset:8 ; 4-byte Folded Spill
	;; [unrolled: 1-line block ×3, first 2 shown]
	ds_read2_b64 v[99:102], v125 offset0:58 offset1:59
	s_waitcnt lgkmcnt(0)
	v_mul_f64 v[103:104], v[101:102], v[105:106]
	v_fma_f64 v[103:104], v[99:100], v[97:98], -v[103:104]
	v_mul_f64 v[99:100], v[99:100], v[105:106]
	v_add_f64 v[65:66], v[65:66], -v[103:104]
	v_fma_f64 v[99:100], v[101:102], v[97:98], v[99:100]
	v_add_f64 v[67:68], v[67:68], -v[99:100]
	ds_read2_b64 v[99:102], v125 offset0:60 offset1:61
	s_waitcnt lgkmcnt(0)
	v_mul_f64 v[103:104], v[101:102], v[105:106]
	v_fma_f64 v[103:104], v[99:100], v[97:98], -v[103:104]
	v_mul_f64 v[99:100], v[99:100], v[105:106]
	v_add_f64 v[61:62], v[61:62], -v[103:104]
	v_fma_f64 v[99:100], v[101:102], v[97:98], v[99:100]
	v_add_f64 v[63:64], v[63:64], -v[99:100]
	;; [unrolled: 8-line block ×16, first 2 shown]
	ds_read2_b64 v[99:102], v125 offset0:90 offset1:91
	s_waitcnt lgkmcnt(0)
	v_mul_f64 v[103:104], v[101:102], v[105:106]
	v_fma_f64 v[103:104], v[99:100], v[97:98], -v[103:104]
	v_mul_f64 v[99:100], v[99:100], v[105:106]
	v_add_f64 v[1:2], v[1:2], -v[103:104]
	v_fma_f64 v[99:100], v[101:102], v[97:98], v[99:100]
	ds_read2_b64 v[101:104], v125 offset0:92 offset1:93
	v_add_f64 v[3:4], v[3:4], -v[99:100]
	s_waitcnt lgkmcnt(0)
	v_mul_f64 v[99:100], v[103:104], v[105:106]
	v_fma_f64 v[99:100], v[101:102], v[97:98], -v[99:100]
	v_mul_f64 v[101:102], v[101:102], v[105:106]
	v_add_f64 v[73:74], v[73:74], -v[99:100]
	v_fma_f64 v[101:102], v[103:104], v[97:98], v[101:102]
	v_mov_b32_e32 v104, v98
	v_mov_b32_e32 v103, v97
	buffer_store_dword v103, off, s[20:23], 0 offset:368 ; 4-byte Folded Spill
	s_nop 0
	buffer_store_dword v104, off, s[20:23], 0 offset:372 ; 4-byte Folded Spill
	buffer_store_dword v105, off, s[20:23], 0 offset:376 ; 4-byte Folded Spill
	;; [unrolled: 1-line block ×3, first 2 shown]
	v_add_f64 v[75:76], v[75:76], -v[101:102]
.LBB93_10:
	s_or_b64 exec, exec, s[4:5]
	v_cmp_eq_u32_e32 vcc, 1, v0
	s_waitcnt vmcnt(0)
	s_barrier
	s_and_saveexec_b64 s[4:5], vcc
	s_cbranch_execz .LBB93_17
; %bb.11:
	buffer_load_dword v69, off, s[20:23], 0 offset:352 ; 4-byte Folded Reload
	buffer_load_dword v70, off, s[20:23], 0 offset:356 ; 4-byte Folded Reload
	;; [unrolled: 1-line block ×4, first 2 shown]
	s_waitcnt vmcnt(0)
	ds_write2_b64 v127, v[69:70], v[71:72] offset1:1
	buffer_load_dword v69, off, s[20:23], 0 offset:336 ; 4-byte Folded Reload
	buffer_load_dword v70, off, s[20:23], 0 offset:340 ; 4-byte Folded Reload
	buffer_load_dword v71, off, s[20:23], 0 offset:344 ; 4-byte Folded Reload
	buffer_load_dword v72, off, s[20:23], 0 offset:348 ; 4-byte Folded Reload
	s_waitcnt vmcnt(0)
	ds_write2_b64 v125, v[69:70], v[71:72] offset0:4 offset1:5
	buffer_load_dword v69, off, s[20:23], 0 offset:320 ; 4-byte Folded Reload
	buffer_load_dword v70, off, s[20:23], 0 offset:324 ; 4-byte Folded Reload
	buffer_load_dword v71, off, s[20:23], 0 offset:328 ; 4-byte Folded Reload
	buffer_load_dword v72, off, s[20:23], 0 offset:332 ; 4-byte Folded Reload
	s_waitcnt vmcnt(0)
	ds_write2_b64 v125, v[69:70], v[71:72] offset0:6 offset1:7
	;; [unrolled: 6-line block ×19, first 2 shown]
	ds_write2_b64 v125, v[121:122], v[123:124] offset0:42 offset1:43
	ds_write2_b64 v125, v[117:118], v[119:120] offset0:44 offset1:45
	;; [unrolled: 1-line block ×5, first 2 shown]
	buffer_load_dword v77, off, s[20:23], 0 offset:32 ; 4-byte Folded Reload
	buffer_load_dword v78, off, s[20:23], 0 offset:36 ; 4-byte Folded Reload
	;; [unrolled: 1-line block ×4, first 2 shown]
	v_mov_b32_e32 v69, v73
	v_mov_b32_e32 v70, v74
	;; [unrolled: 1-line block ×4, first 2 shown]
	s_waitcnt vmcnt(0)
	ds_write2_b64 v125, v[77:78], v[79:80] offset0:52 offset1:53
	buffer_load_dword v73, off, s[20:23], 0 offset:16 ; 4-byte Folded Reload
	buffer_load_dword v74, off, s[20:23], 0 offset:20 ; 4-byte Folded Reload
	;; [unrolled: 1-line block ×4, first 2 shown]
	s_waitcnt vmcnt(0)
	ds_write2_b64 v125, v[73:74], v[75:76] offset0:54 offset1:55
	v_mov_b32_e32 v76, v72
	v_mov_b32_e32 v75, v71
	;; [unrolled: 1-line block ×4, first 2 shown]
	buffer_load_dword v69, off, s[20:23], 0 ; 4-byte Folded Reload
	buffer_load_dword v70, off, s[20:23], 0 offset:4 ; 4-byte Folded Reload
	buffer_load_dword v71, off, s[20:23], 0 offset:8 ; 4-byte Folded Reload
	;; [unrolled: 1-line block ×3, first 2 shown]
	s_waitcnt vmcnt(0)
	ds_write2_b64 v125, v[69:70], v[71:72] offset0:56 offset1:57
	ds_write2_b64 v125, v[65:66], v[67:68] offset0:58 offset1:59
	;; [unrolled: 1-line block ×19, first 2 shown]
	ds_read2_b64 v[97:100], v127 offset1:1
	s_waitcnt lgkmcnt(0)
	v_cmp_neq_f64_e32 vcc, 0, v[97:98]
	v_cmp_neq_f64_e64 s[2:3], 0, v[99:100]
	s_or_b64 s[2:3], vcc, s[2:3]
	s_and_b64 exec, exec, s[2:3]
	s_cbranch_execz .LBB93_17
; %bb.12:
	v_cmp_ngt_f64_e64 s[2:3], |v[97:98]|, |v[99:100]|
                                        ; implicit-def: $vgpr101_vgpr102
	s_and_saveexec_b64 s[6:7], s[2:3]
	s_xor_b64 s[2:3], exec, s[6:7]
                                        ; implicit-def: $vgpr103_vgpr104
	s_cbranch_execz .LBB93_14
; %bb.13:
	v_div_scale_f64 v[101:102], s[6:7], v[99:100], v[99:100], v[97:98]
	v_rcp_f64_e32 v[103:104], v[101:102]
	v_fma_f64 v[105:106], -v[101:102], v[103:104], 1.0
	v_fma_f64 v[103:104], v[103:104], v[105:106], v[103:104]
	v_div_scale_f64 v[105:106], vcc, v[97:98], v[99:100], v[97:98]
	v_fma_f64 v[107:108], -v[101:102], v[103:104], 1.0
	v_fma_f64 v[103:104], v[103:104], v[107:108], v[103:104]
	v_mul_f64 v[107:108], v[105:106], v[103:104]
	v_fma_f64 v[101:102], -v[101:102], v[107:108], v[105:106]
	v_div_fmas_f64 v[101:102], v[101:102], v[103:104], v[107:108]
	v_div_fixup_f64 v[101:102], v[101:102], v[99:100], v[97:98]
	v_fma_f64 v[97:98], v[97:98], v[101:102], v[99:100]
	v_div_scale_f64 v[99:100], s[6:7], v[97:98], v[97:98], 1.0
	v_div_scale_f64 v[107:108], vcc, 1.0, v[97:98], 1.0
	v_rcp_f64_e32 v[103:104], v[99:100]
	v_fma_f64 v[105:106], -v[99:100], v[103:104], 1.0
	v_fma_f64 v[103:104], v[103:104], v[105:106], v[103:104]
	v_fma_f64 v[105:106], -v[99:100], v[103:104], 1.0
	v_fma_f64 v[103:104], v[103:104], v[105:106], v[103:104]
	v_mul_f64 v[105:106], v[107:108], v[103:104]
	v_fma_f64 v[99:100], -v[99:100], v[105:106], v[107:108]
	v_div_fmas_f64 v[99:100], v[99:100], v[103:104], v[105:106]
	v_div_fixup_f64 v[103:104], v[99:100], v[97:98], 1.0
                                        ; implicit-def: $vgpr97_vgpr98
	v_mul_f64 v[101:102], v[101:102], v[103:104]
	v_xor_b32_e32 v104, 0x80000000, v104
.LBB93_14:
	s_andn2_saveexec_b64 s[2:3], s[2:3]
	s_cbranch_execz .LBB93_16
; %bb.15:
	v_div_scale_f64 v[101:102], s[6:7], v[97:98], v[97:98], v[99:100]
	v_rcp_f64_e32 v[103:104], v[101:102]
	v_fma_f64 v[105:106], -v[101:102], v[103:104], 1.0
	v_fma_f64 v[103:104], v[103:104], v[105:106], v[103:104]
	v_div_scale_f64 v[105:106], vcc, v[99:100], v[97:98], v[99:100]
	v_fma_f64 v[107:108], -v[101:102], v[103:104], 1.0
	v_fma_f64 v[103:104], v[103:104], v[107:108], v[103:104]
	v_mul_f64 v[107:108], v[105:106], v[103:104]
	v_fma_f64 v[101:102], -v[101:102], v[107:108], v[105:106]
	v_div_fmas_f64 v[101:102], v[101:102], v[103:104], v[107:108]
	v_div_fixup_f64 v[103:104], v[101:102], v[97:98], v[99:100]
	v_fma_f64 v[97:98], v[99:100], v[103:104], v[97:98]
	v_div_scale_f64 v[99:100], s[6:7], v[97:98], v[97:98], 1.0
	v_div_scale_f64 v[107:108], vcc, 1.0, v[97:98], 1.0
	v_rcp_f64_e32 v[101:102], v[99:100]
	v_fma_f64 v[105:106], -v[99:100], v[101:102], 1.0
	v_fma_f64 v[101:102], v[101:102], v[105:106], v[101:102]
	v_fma_f64 v[105:106], -v[99:100], v[101:102], 1.0
	v_fma_f64 v[101:102], v[101:102], v[105:106], v[101:102]
	v_mul_f64 v[105:106], v[107:108], v[101:102]
	v_fma_f64 v[99:100], -v[99:100], v[105:106], v[107:108]
	v_div_fmas_f64 v[99:100], v[99:100], v[101:102], v[105:106]
	v_div_fixup_f64 v[101:102], v[99:100], v[97:98], 1.0
	v_mul_f64 v[103:104], v[103:104], -v[101:102]
.LBB93_16:
	s_or_b64 exec, exec, s[2:3]
	ds_write2_b64 v127, v[101:102], v[103:104] offset1:1
.LBB93_17:
	s_or_b64 exec, exec, s[4:5]
	s_waitcnt lgkmcnt(0)
	s_barrier
	ds_read2_b64 v[69:72], v127 offset1:1
	v_cmp_lt_u32_e32 vcc, 1, v0
	s_waitcnt lgkmcnt(0)
	buffer_store_dword v69, off, s[20:23], 0 offset:768 ; 4-byte Folded Spill
	s_nop 0
	buffer_store_dword v70, off, s[20:23], 0 offset:772 ; 4-byte Folded Spill
	buffer_store_dword v71, off, s[20:23], 0 offset:776 ; 4-byte Folded Spill
	;; [unrolled: 1-line block ×3, first 2 shown]
	s_and_saveexec_b64 s[2:3], vcc
	s_cbranch_execz .LBB93_19
; %bb.18:
	buffer_load_dword v103, off, s[20:23], 0 offset:352 ; 4-byte Folded Reload
	buffer_load_dword v104, off, s[20:23], 0 offset:356 ; 4-byte Folded Reload
	;; [unrolled: 1-line block ×8, first 2 shown]
	s_waitcnt vmcnt(2)
	v_mul_f64 v[99:100], v[69:70], v[105:106]
	s_waitcnt vmcnt(0)
	v_mul_f64 v[97:98], v[71:72], v[105:106]
	v_fma_f64 v[105:106], v[71:72], v[103:104], v[99:100]
	ds_read2_b64 v[99:102], v125 offset0:4 offset1:5
	v_fma_f64 v[97:98], v[69:70], v[103:104], -v[97:98]
	buffer_load_dword v69, off, s[20:23], 0 offset:336 ; 4-byte Folded Reload
	buffer_load_dword v70, off, s[20:23], 0 offset:340 ; 4-byte Folded Reload
	buffer_load_dword v71, off, s[20:23], 0 offset:344 ; 4-byte Folded Reload
	buffer_load_dword v72, off, s[20:23], 0 offset:348 ; 4-byte Folded Reload
	s_waitcnt lgkmcnt(0)
	v_mul_f64 v[103:104], v[101:102], v[105:106]
	v_fma_f64 v[103:104], v[99:100], v[97:98], -v[103:104]
	v_mul_f64 v[99:100], v[99:100], v[105:106]
	v_fma_f64 v[99:100], v[101:102], v[97:98], v[99:100]
	s_waitcnt vmcnt(2)
	v_add_f64 v[69:70], v[69:70], -v[103:104]
	s_waitcnt vmcnt(0)
	v_add_f64 v[71:72], v[71:72], -v[99:100]
	buffer_store_dword v69, off, s[20:23], 0 offset:336 ; 4-byte Folded Spill
	s_nop 0
	buffer_store_dword v70, off, s[20:23], 0 offset:340 ; 4-byte Folded Spill
	buffer_store_dword v71, off, s[20:23], 0 offset:344 ; 4-byte Folded Spill
	buffer_store_dword v72, off, s[20:23], 0 offset:348 ; 4-byte Folded Spill
	ds_read2_b64 v[99:102], v125 offset0:6 offset1:7
	buffer_load_dword v69, off, s[20:23], 0 offset:320 ; 4-byte Folded Reload
	buffer_load_dword v70, off, s[20:23], 0 offset:324 ; 4-byte Folded Reload
	buffer_load_dword v71, off, s[20:23], 0 offset:328 ; 4-byte Folded Reload
	buffer_load_dword v72, off, s[20:23], 0 offset:332 ; 4-byte Folded Reload
	s_waitcnt lgkmcnt(0)
	v_mul_f64 v[103:104], v[101:102], v[105:106]
	v_fma_f64 v[103:104], v[99:100], v[97:98], -v[103:104]
	v_mul_f64 v[99:100], v[99:100], v[105:106]
	v_fma_f64 v[99:100], v[101:102], v[97:98], v[99:100]
	s_waitcnt vmcnt(2)
	v_add_f64 v[69:70], v[69:70], -v[103:104]
	s_waitcnt vmcnt(0)
	v_add_f64 v[71:72], v[71:72], -v[99:100]
	buffer_store_dword v69, off, s[20:23], 0 offset:320 ; 4-byte Folded Spill
	s_nop 0
	buffer_store_dword v70, off, s[20:23], 0 offset:324 ; 4-byte Folded Spill
	buffer_store_dword v71, off, s[20:23], 0 offset:328 ; 4-byte Folded Spill
	buffer_store_dword v72, off, s[20:23], 0 offset:332 ; 4-byte Folded Spill
	ds_read2_b64 v[99:102], v125 offset0:8 offset1:9
	;; [unrolled: 19-line block ×19, first 2 shown]
	v_mov_b32_e32 v69, v73
	v_mov_b32_e32 v70, v74
	;; [unrolled: 1-line block ×4, first 2 shown]
	s_waitcnt lgkmcnt(0)
	v_mul_f64 v[103:104], v[101:102], v[105:106]
	v_fma_f64 v[103:104], v[99:100], v[97:98], -v[103:104]
	v_mul_f64 v[99:100], v[99:100], v[105:106]
	v_add_f64 v[121:122], v[121:122], -v[103:104]
	v_fma_f64 v[99:100], v[101:102], v[97:98], v[99:100]
	v_add_f64 v[123:124], v[123:124], -v[99:100]
	ds_read2_b64 v[99:102], v125 offset0:44 offset1:45
	s_waitcnt lgkmcnt(0)
	v_mul_f64 v[103:104], v[101:102], v[105:106]
	v_fma_f64 v[103:104], v[99:100], v[97:98], -v[103:104]
	v_mul_f64 v[99:100], v[99:100], v[105:106]
	v_add_f64 v[117:118], v[117:118], -v[103:104]
	v_fma_f64 v[99:100], v[101:102], v[97:98], v[99:100]
	v_add_f64 v[119:120], v[119:120], -v[99:100]
	ds_read2_b64 v[99:102], v125 offset0:46 offset1:47
	;; [unrolled: 8-line block ×5, first 2 shown]
	buffer_load_dword v77, off, s[20:23], 0 offset:32 ; 4-byte Folded Reload
	buffer_load_dword v78, off, s[20:23], 0 offset:36 ; 4-byte Folded Reload
	;; [unrolled: 1-line block ×4, first 2 shown]
	s_waitcnt lgkmcnt(0)
	v_mul_f64 v[103:104], v[101:102], v[105:106]
	v_fma_f64 v[103:104], v[99:100], v[97:98], -v[103:104]
	v_mul_f64 v[99:100], v[99:100], v[105:106]
	v_fma_f64 v[99:100], v[101:102], v[97:98], v[99:100]
	s_waitcnt vmcnt(2)
	v_add_f64 v[77:78], v[77:78], -v[103:104]
	s_waitcnt vmcnt(0)
	v_add_f64 v[79:80], v[79:80], -v[99:100]
	buffer_store_dword v77, off, s[20:23], 0 offset:32 ; 4-byte Folded Spill
	s_nop 0
	buffer_store_dword v78, off, s[20:23], 0 offset:36 ; 4-byte Folded Spill
	buffer_store_dword v79, off, s[20:23], 0 offset:40 ; 4-byte Folded Spill
	;; [unrolled: 1-line block ×3, first 2 shown]
	ds_read2_b64 v[99:102], v125 offset0:54 offset1:55
	buffer_load_dword v73, off, s[20:23], 0 offset:16 ; 4-byte Folded Reload
	buffer_load_dword v74, off, s[20:23], 0 offset:20 ; 4-byte Folded Reload
	buffer_load_dword v75, off, s[20:23], 0 offset:24 ; 4-byte Folded Reload
	buffer_load_dword v76, off, s[20:23], 0 offset:28 ; 4-byte Folded Reload
	s_waitcnt lgkmcnt(0)
	v_mul_f64 v[103:104], v[101:102], v[105:106]
	v_fma_f64 v[103:104], v[99:100], v[97:98], -v[103:104]
	v_mul_f64 v[99:100], v[99:100], v[105:106]
	v_fma_f64 v[99:100], v[101:102], v[97:98], v[99:100]
	s_waitcnt vmcnt(2)
	v_add_f64 v[73:74], v[73:74], -v[103:104]
	s_waitcnt vmcnt(0)
	v_add_f64 v[75:76], v[75:76], -v[99:100]
	buffer_store_dword v73, off, s[20:23], 0 offset:16 ; 4-byte Folded Spill
	s_nop 0
	buffer_store_dword v74, off, s[20:23], 0 offset:20 ; 4-byte Folded Spill
	buffer_store_dword v75, off, s[20:23], 0 offset:24 ; 4-byte Folded Spill
	;; [unrolled: 1-line block ×3, first 2 shown]
	v_mov_b32_e32 v76, v72
	v_mov_b32_e32 v75, v71
	;; [unrolled: 1-line block ×4, first 2 shown]
	ds_read2_b64 v[99:102], v125 offset0:56 offset1:57
	buffer_load_dword v69, off, s[20:23], 0 ; 4-byte Folded Reload
	buffer_load_dword v70, off, s[20:23], 0 offset:4 ; 4-byte Folded Reload
	buffer_load_dword v71, off, s[20:23], 0 offset:8 ; 4-byte Folded Reload
	;; [unrolled: 1-line block ×3, first 2 shown]
	s_waitcnt lgkmcnt(0)
	v_mul_f64 v[103:104], v[101:102], v[105:106]
	v_fma_f64 v[103:104], v[99:100], v[97:98], -v[103:104]
	v_mul_f64 v[99:100], v[99:100], v[105:106]
	v_fma_f64 v[99:100], v[101:102], v[97:98], v[99:100]
	s_waitcnt vmcnt(2)
	v_add_f64 v[69:70], v[69:70], -v[103:104]
	s_waitcnt vmcnt(0)
	v_add_f64 v[71:72], v[71:72], -v[99:100]
	buffer_store_dword v69, off, s[20:23], 0 ; 4-byte Folded Spill
	s_nop 0
	buffer_store_dword v70, off, s[20:23], 0 offset:4 ; 4-byte Folded Spill
	buffer_store_dword v71, off, s[20:23], 0 offset:8 ; 4-byte Folded Spill
	;; [unrolled: 1-line block ×3, first 2 shown]
	ds_read2_b64 v[99:102], v125 offset0:58 offset1:59
	s_waitcnt lgkmcnt(0)
	v_mul_f64 v[103:104], v[101:102], v[105:106]
	v_fma_f64 v[103:104], v[99:100], v[97:98], -v[103:104]
	v_mul_f64 v[99:100], v[99:100], v[105:106]
	v_add_f64 v[65:66], v[65:66], -v[103:104]
	v_fma_f64 v[99:100], v[101:102], v[97:98], v[99:100]
	v_add_f64 v[67:68], v[67:68], -v[99:100]
	ds_read2_b64 v[99:102], v125 offset0:60 offset1:61
	s_waitcnt lgkmcnt(0)
	v_mul_f64 v[103:104], v[101:102], v[105:106]
	v_fma_f64 v[103:104], v[99:100], v[97:98], -v[103:104]
	v_mul_f64 v[99:100], v[99:100], v[105:106]
	v_add_f64 v[61:62], v[61:62], -v[103:104]
	v_fma_f64 v[99:100], v[101:102], v[97:98], v[99:100]
	v_add_f64 v[63:64], v[63:64], -v[99:100]
	;; [unrolled: 8-line block ×16, first 2 shown]
	ds_read2_b64 v[99:102], v125 offset0:90 offset1:91
	s_waitcnt lgkmcnt(0)
	v_mul_f64 v[103:104], v[101:102], v[105:106]
	v_fma_f64 v[103:104], v[99:100], v[97:98], -v[103:104]
	v_mul_f64 v[99:100], v[99:100], v[105:106]
	v_add_f64 v[1:2], v[1:2], -v[103:104]
	v_fma_f64 v[99:100], v[101:102], v[97:98], v[99:100]
	ds_read2_b64 v[101:104], v125 offset0:92 offset1:93
	v_add_f64 v[3:4], v[3:4], -v[99:100]
	s_waitcnt lgkmcnt(0)
	v_mul_f64 v[99:100], v[103:104], v[105:106]
	v_fma_f64 v[99:100], v[101:102], v[97:98], -v[99:100]
	v_mul_f64 v[101:102], v[101:102], v[105:106]
	v_add_f64 v[73:74], v[73:74], -v[99:100]
	v_fma_f64 v[101:102], v[103:104], v[97:98], v[101:102]
	v_mov_b32_e32 v104, v98
	v_mov_b32_e32 v103, v97
	buffer_store_dword v103, off, s[20:23], 0 offset:352 ; 4-byte Folded Spill
	s_nop 0
	buffer_store_dword v104, off, s[20:23], 0 offset:356 ; 4-byte Folded Spill
	buffer_store_dword v105, off, s[20:23], 0 offset:360 ; 4-byte Folded Spill
	;; [unrolled: 1-line block ×3, first 2 shown]
	v_add_f64 v[75:76], v[75:76], -v[101:102]
.LBB93_19:
	s_or_b64 exec, exec, s[2:3]
	v_cmp_eq_u32_e32 vcc, 2, v0
	s_waitcnt vmcnt(0)
	s_barrier
	s_and_saveexec_b64 s[4:5], vcc
	s_cbranch_execz .LBB93_26
; %bb.20:
	buffer_load_dword v69, off, s[20:23], 0 offset:336 ; 4-byte Folded Reload
	buffer_load_dword v70, off, s[20:23], 0 offset:340 ; 4-byte Folded Reload
	;; [unrolled: 1-line block ×4, first 2 shown]
	s_waitcnt vmcnt(0)
	ds_write2_b64 v127, v[69:70], v[71:72] offset1:1
	buffer_load_dword v69, off, s[20:23], 0 offset:320 ; 4-byte Folded Reload
	buffer_load_dword v70, off, s[20:23], 0 offset:324 ; 4-byte Folded Reload
	buffer_load_dword v71, off, s[20:23], 0 offset:328 ; 4-byte Folded Reload
	buffer_load_dword v72, off, s[20:23], 0 offset:332 ; 4-byte Folded Reload
	s_waitcnt vmcnt(0)
	ds_write2_b64 v125, v[69:70], v[71:72] offset0:6 offset1:7
	buffer_load_dword v69, off, s[20:23], 0 offset:304 ; 4-byte Folded Reload
	buffer_load_dword v70, off, s[20:23], 0 offset:308 ; 4-byte Folded Reload
	buffer_load_dword v71, off, s[20:23], 0 offset:312 ; 4-byte Folded Reload
	buffer_load_dword v72, off, s[20:23], 0 offset:316 ; 4-byte Folded Reload
	s_waitcnt vmcnt(0)
	ds_write2_b64 v125, v[69:70], v[71:72] offset0:8 offset1:9
	;; [unrolled: 6-line block ×18, first 2 shown]
	ds_write2_b64 v125, v[121:122], v[123:124] offset0:42 offset1:43
	ds_write2_b64 v125, v[117:118], v[119:120] offset0:44 offset1:45
	;; [unrolled: 1-line block ×5, first 2 shown]
	buffer_load_dword v77, off, s[20:23], 0 offset:32 ; 4-byte Folded Reload
	buffer_load_dword v78, off, s[20:23], 0 offset:36 ; 4-byte Folded Reload
	;; [unrolled: 1-line block ×4, first 2 shown]
	v_mov_b32_e32 v69, v73
	v_mov_b32_e32 v70, v74
	;; [unrolled: 1-line block ×4, first 2 shown]
	s_waitcnt vmcnt(0)
	ds_write2_b64 v125, v[77:78], v[79:80] offset0:52 offset1:53
	buffer_load_dword v73, off, s[20:23], 0 offset:16 ; 4-byte Folded Reload
	buffer_load_dword v74, off, s[20:23], 0 offset:20 ; 4-byte Folded Reload
	;; [unrolled: 1-line block ×4, first 2 shown]
	s_waitcnt vmcnt(0)
	ds_write2_b64 v125, v[73:74], v[75:76] offset0:54 offset1:55
	v_mov_b32_e32 v76, v72
	v_mov_b32_e32 v75, v71
	;; [unrolled: 1-line block ×4, first 2 shown]
	buffer_load_dword v69, off, s[20:23], 0 ; 4-byte Folded Reload
	buffer_load_dword v70, off, s[20:23], 0 offset:4 ; 4-byte Folded Reload
	buffer_load_dword v71, off, s[20:23], 0 offset:8 ; 4-byte Folded Reload
	;; [unrolled: 1-line block ×3, first 2 shown]
	s_waitcnt vmcnt(0)
	ds_write2_b64 v125, v[69:70], v[71:72] offset0:56 offset1:57
	ds_write2_b64 v125, v[65:66], v[67:68] offset0:58 offset1:59
	;; [unrolled: 1-line block ×19, first 2 shown]
	ds_read2_b64 v[97:100], v127 offset1:1
	s_waitcnt lgkmcnt(0)
	v_cmp_neq_f64_e32 vcc, 0, v[97:98]
	v_cmp_neq_f64_e64 s[2:3], 0, v[99:100]
	s_or_b64 s[2:3], vcc, s[2:3]
	s_and_b64 exec, exec, s[2:3]
	s_cbranch_execz .LBB93_26
; %bb.21:
	v_cmp_ngt_f64_e64 s[2:3], |v[97:98]|, |v[99:100]|
                                        ; implicit-def: $vgpr101_vgpr102
	s_and_saveexec_b64 s[6:7], s[2:3]
	s_xor_b64 s[2:3], exec, s[6:7]
                                        ; implicit-def: $vgpr103_vgpr104
	s_cbranch_execz .LBB93_23
; %bb.22:
	v_div_scale_f64 v[101:102], s[6:7], v[99:100], v[99:100], v[97:98]
	v_rcp_f64_e32 v[103:104], v[101:102]
	v_fma_f64 v[105:106], -v[101:102], v[103:104], 1.0
	v_fma_f64 v[103:104], v[103:104], v[105:106], v[103:104]
	v_div_scale_f64 v[105:106], vcc, v[97:98], v[99:100], v[97:98]
	v_fma_f64 v[107:108], -v[101:102], v[103:104], 1.0
	v_fma_f64 v[103:104], v[103:104], v[107:108], v[103:104]
	v_mul_f64 v[107:108], v[105:106], v[103:104]
	v_fma_f64 v[101:102], -v[101:102], v[107:108], v[105:106]
	v_div_fmas_f64 v[101:102], v[101:102], v[103:104], v[107:108]
	v_div_fixup_f64 v[101:102], v[101:102], v[99:100], v[97:98]
	v_fma_f64 v[97:98], v[97:98], v[101:102], v[99:100]
	v_div_scale_f64 v[99:100], s[6:7], v[97:98], v[97:98], 1.0
	v_div_scale_f64 v[107:108], vcc, 1.0, v[97:98], 1.0
	v_rcp_f64_e32 v[103:104], v[99:100]
	v_fma_f64 v[105:106], -v[99:100], v[103:104], 1.0
	v_fma_f64 v[103:104], v[103:104], v[105:106], v[103:104]
	v_fma_f64 v[105:106], -v[99:100], v[103:104], 1.0
	v_fma_f64 v[103:104], v[103:104], v[105:106], v[103:104]
	v_mul_f64 v[105:106], v[107:108], v[103:104]
	v_fma_f64 v[99:100], -v[99:100], v[105:106], v[107:108]
	v_div_fmas_f64 v[99:100], v[99:100], v[103:104], v[105:106]
	v_div_fixup_f64 v[103:104], v[99:100], v[97:98], 1.0
                                        ; implicit-def: $vgpr97_vgpr98
	v_mul_f64 v[101:102], v[101:102], v[103:104]
	v_xor_b32_e32 v104, 0x80000000, v104
.LBB93_23:
	s_andn2_saveexec_b64 s[2:3], s[2:3]
	s_cbranch_execz .LBB93_25
; %bb.24:
	v_div_scale_f64 v[101:102], s[6:7], v[97:98], v[97:98], v[99:100]
	v_rcp_f64_e32 v[103:104], v[101:102]
	v_fma_f64 v[105:106], -v[101:102], v[103:104], 1.0
	v_fma_f64 v[103:104], v[103:104], v[105:106], v[103:104]
	v_div_scale_f64 v[105:106], vcc, v[99:100], v[97:98], v[99:100]
	v_fma_f64 v[107:108], -v[101:102], v[103:104], 1.0
	v_fma_f64 v[103:104], v[103:104], v[107:108], v[103:104]
	v_mul_f64 v[107:108], v[105:106], v[103:104]
	v_fma_f64 v[101:102], -v[101:102], v[107:108], v[105:106]
	v_div_fmas_f64 v[101:102], v[101:102], v[103:104], v[107:108]
	v_div_fixup_f64 v[103:104], v[101:102], v[97:98], v[99:100]
	v_fma_f64 v[97:98], v[99:100], v[103:104], v[97:98]
	v_div_scale_f64 v[99:100], s[6:7], v[97:98], v[97:98], 1.0
	v_div_scale_f64 v[107:108], vcc, 1.0, v[97:98], 1.0
	v_rcp_f64_e32 v[101:102], v[99:100]
	v_fma_f64 v[105:106], -v[99:100], v[101:102], 1.0
	v_fma_f64 v[101:102], v[101:102], v[105:106], v[101:102]
	v_fma_f64 v[105:106], -v[99:100], v[101:102], 1.0
	v_fma_f64 v[101:102], v[101:102], v[105:106], v[101:102]
	v_mul_f64 v[105:106], v[107:108], v[101:102]
	v_fma_f64 v[99:100], -v[99:100], v[105:106], v[107:108]
	v_div_fmas_f64 v[99:100], v[99:100], v[101:102], v[105:106]
	v_div_fixup_f64 v[101:102], v[99:100], v[97:98], 1.0
	v_mul_f64 v[103:104], v[103:104], -v[101:102]
.LBB93_25:
	s_or_b64 exec, exec, s[2:3]
	ds_write2_b64 v127, v[101:102], v[103:104] offset1:1
.LBB93_26:
	s_or_b64 exec, exec, s[4:5]
	s_waitcnt lgkmcnt(0)
	s_barrier
	ds_read2_b64 v[69:72], v127 offset1:1
	v_cmp_lt_u32_e32 vcc, 2, v0
	s_waitcnt lgkmcnt(0)
	buffer_store_dword v69, off, s[20:23], 0 offset:784 ; 4-byte Folded Spill
	s_nop 0
	buffer_store_dword v70, off, s[20:23], 0 offset:788 ; 4-byte Folded Spill
	buffer_store_dword v71, off, s[20:23], 0 offset:792 ; 4-byte Folded Spill
	buffer_store_dword v72, off, s[20:23], 0 offset:796 ; 4-byte Folded Spill
	s_and_saveexec_b64 s[2:3], vcc
	s_cbranch_execz .LBB93_28
; %bb.27:
	buffer_load_dword v103, off, s[20:23], 0 offset:336 ; 4-byte Folded Reload
	buffer_load_dword v104, off, s[20:23], 0 offset:340 ; 4-byte Folded Reload
	;; [unrolled: 1-line block ×8, first 2 shown]
	s_waitcnt vmcnt(2)
	v_mul_f64 v[99:100], v[69:70], v[105:106]
	s_waitcnt vmcnt(0)
	v_mul_f64 v[97:98], v[71:72], v[105:106]
	v_fma_f64 v[105:106], v[71:72], v[103:104], v[99:100]
	ds_read2_b64 v[99:102], v125 offset0:6 offset1:7
	v_fma_f64 v[97:98], v[69:70], v[103:104], -v[97:98]
	buffer_load_dword v69, off, s[20:23], 0 offset:320 ; 4-byte Folded Reload
	buffer_load_dword v70, off, s[20:23], 0 offset:324 ; 4-byte Folded Reload
	buffer_load_dword v71, off, s[20:23], 0 offset:328 ; 4-byte Folded Reload
	buffer_load_dword v72, off, s[20:23], 0 offset:332 ; 4-byte Folded Reload
	s_waitcnt lgkmcnt(0)
	v_mul_f64 v[103:104], v[101:102], v[105:106]
	v_fma_f64 v[103:104], v[99:100], v[97:98], -v[103:104]
	v_mul_f64 v[99:100], v[99:100], v[105:106]
	v_fma_f64 v[99:100], v[101:102], v[97:98], v[99:100]
	s_waitcnt vmcnt(2)
	v_add_f64 v[69:70], v[69:70], -v[103:104]
	s_waitcnt vmcnt(0)
	v_add_f64 v[71:72], v[71:72], -v[99:100]
	buffer_store_dword v69, off, s[20:23], 0 offset:320 ; 4-byte Folded Spill
	s_nop 0
	buffer_store_dword v70, off, s[20:23], 0 offset:324 ; 4-byte Folded Spill
	buffer_store_dword v71, off, s[20:23], 0 offset:328 ; 4-byte Folded Spill
	buffer_store_dword v72, off, s[20:23], 0 offset:332 ; 4-byte Folded Spill
	ds_read2_b64 v[99:102], v125 offset0:8 offset1:9
	buffer_load_dword v69, off, s[20:23], 0 offset:304 ; 4-byte Folded Reload
	buffer_load_dword v70, off, s[20:23], 0 offset:308 ; 4-byte Folded Reload
	buffer_load_dword v71, off, s[20:23], 0 offset:312 ; 4-byte Folded Reload
	buffer_load_dword v72, off, s[20:23], 0 offset:316 ; 4-byte Folded Reload
	s_waitcnt lgkmcnt(0)
	v_mul_f64 v[103:104], v[101:102], v[105:106]
	v_fma_f64 v[103:104], v[99:100], v[97:98], -v[103:104]
	v_mul_f64 v[99:100], v[99:100], v[105:106]
	v_fma_f64 v[99:100], v[101:102], v[97:98], v[99:100]
	s_waitcnt vmcnt(2)
	v_add_f64 v[69:70], v[69:70], -v[103:104]
	s_waitcnt vmcnt(0)
	v_add_f64 v[71:72], v[71:72], -v[99:100]
	buffer_store_dword v69, off, s[20:23], 0 offset:304 ; 4-byte Folded Spill
	s_nop 0
	buffer_store_dword v70, off, s[20:23], 0 offset:308 ; 4-byte Folded Spill
	buffer_store_dword v71, off, s[20:23], 0 offset:312 ; 4-byte Folded Spill
	buffer_store_dword v72, off, s[20:23], 0 offset:316 ; 4-byte Folded Spill
	ds_read2_b64 v[99:102], v125 offset0:10 offset1:11
	buffer_load_dword v69, off, s[20:23], 0 offset:288 ; 4-byte Folded Reload
	buffer_load_dword v70, off, s[20:23], 0 offset:292 ; 4-byte Folded Reload
	buffer_load_dword v71, off, s[20:23], 0 offset:296 ; 4-byte Folded Reload
	buffer_load_dword v72, off, s[20:23], 0 offset:300 ; 4-byte Folded Reload
	s_waitcnt lgkmcnt(0)
	v_mul_f64 v[103:104], v[101:102], v[105:106]
	v_fma_f64 v[103:104], v[99:100], v[97:98], -v[103:104]
	v_mul_f64 v[99:100], v[99:100], v[105:106]
	v_fma_f64 v[99:100], v[101:102], v[97:98], v[99:100]
	s_waitcnt vmcnt(2)
	v_add_f64 v[69:70], v[69:70], -v[103:104]
	s_waitcnt vmcnt(0)
	v_add_f64 v[71:72], v[71:72], -v[99:100]
	buffer_store_dword v69, off, s[20:23], 0 offset:288 ; 4-byte Folded Spill
	s_nop 0
	buffer_store_dword v70, off, s[20:23], 0 offset:292 ; 4-byte Folded Spill
	buffer_store_dword v71, off, s[20:23], 0 offset:296 ; 4-byte Folded Spill
	buffer_store_dword v72, off, s[20:23], 0 offset:300 ; 4-byte Folded Spill
	ds_read2_b64 v[99:102], v125 offset0:12 offset1:13
	buffer_load_dword v69, off, s[20:23], 0 offset:272 ; 4-byte Folded Reload
	buffer_load_dword v70, off, s[20:23], 0 offset:276 ; 4-byte Folded Reload
	buffer_load_dword v71, off, s[20:23], 0 offset:280 ; 4-byte Folded Reload
	buffer_load_dword v72, off, s[20:23], 0 offset:284 ; 4-byte Folded Reload
	s_waitcnt lgkmcnt(0)
	v_mul_f64 v[103:104], v[101:102], v[105:106]
	v_fma_f64 v[103:104], v[99:100], v[97:98], -v[103:104]
	v_mul_f64 v[99:100], v[99:100], v[105:106]
	v_fma_f64 v[99:100], v[101:102], v[97:98], v[99:100]
	s_waitcnt vmcnt(2)
	v_add_f64 v[69:70], v[69:70], -v[103:104]
	s_waitcnt vmcnt(0)
	v_add_f64 v[71:72], v[71:72], -v[99:100]
	buffer_store_dword v69, off, s[20:23], 0 offset:272 ; 4-byte Folded Spill
	s_nop 0
	buffer_store_dword v70, off, s[20:23], 0 offset:276 ; 4-byte Folded Spill
	buffer_store_dword v71, off, s[20:23], 0 offset:280 ; 4-byte Folded Spill
	buffer_store_dword v72, off, s[20:23], 0 offset:284 ; 4-byte Folded Spill
	ds_read2_b64 v[99:102], v125 offset0:14 offset1:15
	buffer_load_dword v69, off, s[20:23], 0 offset:256 ; 4-byte Folded Reload
	buffer_load_dword v70, off, s[20:23], 0 offset:260 ; 4-byte Folded Reload
	buffer_load_dword v71, off, s[20:23], 0 offset:264 ; 4-byte Folded Reload
	buffer_load_dword v72, off, s[20:23], 0 offset:268 ; 4-byte Folded Reload
	s_waitcnt lgkmcnt(0)
	v_mul_f64 v[103:104], v[101:102], v[105:106]
	v_fma_f64 v[103:104], v[99:100], v[97:98], -v[103:104]
	v_mul_f64 v[99:100], v[99:100], v[105:106]
	v_fma_f64 v[99:100], v[101:102], v[97:98], v[99:100]
	s_waitcnt vmcnt(2)
	v_add_f64 v[69:70], v[69:70], -v[103:104]
	s_waitcnt vmcnt(0)
	v_add_f64 v[71:72], v[71:72], -v[99:100]
	buffer_store_dword v69, off, s[20:23], 0 offset:256 ; 4-byte Folded Spill
	s_nop 0
	buffer_store_dword v70, off, s[20:23], 0 offset:260 ; 4-byte Folded Spill
	buffer_store_dword v71, off, s[20:23], 0 offset:264 ; 4-byte Folded Spill
	buffer_store_dword v72, off, s[20:23], 0 offset:268 ; 4-byte Folded Spill
	ds_read2_b64 v[99:102], v125 offset0:16 offset1:17
	buffer_load_dword v69, off, s[20:23], 0 offset:240 ; 4-byte Folded Reload
	buffer_load_dword v70, off, s[20:23], 0 offset:244 ; 4-byte Folded Reload
	buffer_load_dword v71, off, s[20:23], 0 offset:248 ; 4-byte Folded Reload
	buffer_load_dword v72, off, s[20:23], 0 offset:252 ; 4-byte Folded Reload
	s_waitcnt lgkmcnt(0)
	v_mul_f64 v[103:104], v[101:102], v[105:106]
	v_fma_f64 v[103:104], v[99:100], v[97:98], -v[103:104]
	v_mul_f64 v[99:100], v[99:100], v[105:106]
	v_fma_f64 v[99:100], v[101:102], v[97:98], v[99:100]
	s_waitcnt vmcnt(2)
	v_add_f64 v[69:70], v[69:70], -v[103:104]
	s_waitcnt vmcnt(0)
	v_add_f64 v[71:72], v[71:72], -v[99:100]
	buffer_store_dword v69, off, s[20:23], 0 offset:240 ; 4-byte Folded Spill
	s_nop 0
	buffer_store_dword v70, off, s[20:23], 0 offset:244 ; 4-byte Folded Spill
	buffer_store_dword v71, off, s[20:23], 0 offset:248 ; 4-byte Folded Spill
	buffer_store_dword v72, off, s[20:23], 0 offset:252 ; 4-byte Folded Spill
	ds_read2_b64 v[99:102], v125 offset0:18 offset1:19
	buffer_load_dword v69, off, s[20:23], 0 offset:224 ; 4-byte Folded Reload
	buffer_load_dword v70, off, s[20:23], 0 offset:228 ; 4-byte Folded Reload
	buffer_load_dword v71, off, s[20:23], 0 offset:232 ; 4-byte Folded Reload
	buffer_load_dword v72, off, s[20:23], 0 offset:236 ; 4-byte Folded Reload
	s_waitcnt lgkmcnt(0)
	v_mul_f64 v[103:104], v[101:102], v[105:106]
	v_fma_f64 v[103:104], v[99:100], v[97:98], -v[103:104]
	v_mul_f64 v[99:100], v[99:100], v[105:106]
	v_fma_f64 v[99:100], v[101:102], v[97:98], v[99:100]
	s_waitcnt vmcnt(2)
	v_add_f64 v[69:70], v[69:70], -v[103:104]
	s_waitcnt vmcnt(0)
	v_add_f64 v[71:72], v[71:72], -v[99:100]
	buffer_store_dword v69, off, s[20:23], 0 offset:224 ; 4-byte Folded Spill
	s_nop 0
	buffer_store_dword v70, off, s[20:23], 0 offset:228 ; 4-byte Folded Spill
	buffer_store_dword v71, off, s[20:23], 0 offset:232 ; 4-byte Folded Spill
	buffer_store_dword v72, off, s[20:23], 0 offset:236 ; 4-byte Folded Spill
	ds_read2_b64 v[99:102], v125 offset0:20 offset1:21
	buffer_load_dword v69, off, s[20:23], 0 offset:208 ; 4-byte Folded Reload
	buffer_load_dword v70, off, s[20:23], 0 offset:212 ; 4-byte Folded Reload
	buffer_load_dword v71, off, s[20:23], 0 offset:216 ; 4-byte Folded Reload
	buffer_load_dword v72, off, s[20:23], 0 offset:220 ; 4-byte Folded Reload
	s_waitcnt lgkmcnt(0)
	v_mul_f64 v[103:104], v[101:102], v[105:106]
	v_fma_f64 v[103:104], v[99:100], v[97:98], -v[103:104]
	v_mul_f64 v[99:100], v[99:100], v[105:106]
	v_fma_f64 v[99:100], v[101:102], v[97:98], v[99:100]
	s_waitcnt vmcnt(2)
	v_add_f64 v[69:70], v[69:70], -v[103:104]
	s_waitcnt vmcnt(0)
	v_add_f64 v[71:72], v[71:72], -v[99:100]
	buffer_store_dword v69, off, s[20:23], 0 offset:208 ; 4-byte Folded Spill
	s_nop 0
	buffer_store_dword v70, off, s[20:23], 0 offset:212 ; 4-byte Folded Spill
	buffer_store_dword v71, off, s[20:23], 0 offset:216 ; 4-byte Folded Spill
	buffer_store_dword v72, off, s[20:23], 0 offset:220 ; 4-byte Folded Spill
	ds_read2_b64 v[99:102], v125 offset0:22 offset1:23
	buffer_load_dword v69, off, s[20:23], 0 offset:192 ; 4-byte Folded Reload
	buffer_load_dword v70, off, s[20:23], 0 offset:196 ; 4-byte Folded Reload
	buffer_load_dword v71, off, s[20:23], 0 offset:200 ; 4-byte Folded Reload
	buffer_load_dword v72, off, s[20:23], 0 offset:204 ; 4-byte Folded Reload
	s_waitcnt lgkmcnt(0)
	v_mul_f64 v[103:104], v[101:102], v[105:106]
	v_fma_f64 v[103:104], v[99:100], v[97:98], -v[103:104]
	v_mul_f64 v[99:100], v[99:100], v[105:106]
	v_fma_f64 v[99:100], v[101:102], v[97:98], v[99:100]
	s_waitcnt vmcnt(2)
	v_add_f64 v[69:70], v[69:70], -v[103:104]
	s_waitcnt vmcnt(0)
	v_add_f64 v[71:72], v[71:72], -v[99:100]
	buffer_store_dword v69, off, s[20:23], 0 offset:192 ; 4-byte Folded Spill
	s_nop 0
	buffer_store_dword v70, off, s[20:23], 0 offset:196 ; 4-byte Folded Spill
	buffer_store_dword v71, off, s[20:23], 0 offset:200 ; 4-byte Folded Spill
	buffer_store_dword v72, off, s[20:23], 0 offset:204 ; 4-byte Folded Spill
	ds_read2_b64 v[99:102], v125 offset0:24 offset1:25
	buffer_load_dword v69, off, s[20:23], 0 offset:176 ; 4-byte Folded Reload
	buffer_load_dword v70, off, s[20:23], 0 offset:180 ; 4-byte Folded Reload
	buffer_load_dword v71, off, s[20:23], 0 offset:184 ; 4-byte Folded Reload
	buffer_load_dword v72, off, s[20:23], 0 offset:188 ; 4-byte Folded Reload
	s_waitcnt lgkmcnt(0)
	v_mul_f64 v[103:104], v[101:102], v[105:106]
	v_fma_f64 v[103:104], v[99:100], v[97:98], -v[103:104]
	v_mul_f64 v[99:100], v[99:100], v[105:106]
	v_fma_f64 v[99:100], v[101:102], v[97:98], v[99:100]
	s_waitcnt vmcnt(2)
	v_add_f64 v[69:70], v[69:70], -v[103:104]
	s_waitcnt vmcnt(0)
	v_add_f64 v[71:72], v[71:72], -v[99:100]
	buffer_store_dword v69, off, s[20:23], 0 offset:176 ; 4-byte Folded Spill
	s_nop 0
	buffer_store_dword v70, off, s[20:23], 0 offset:180 ; 4-byte Folded Spill
	buffer_store_dword v71, off, s[20:23], 0 offset:184 ; 4-byte Folded Spill
	buffer_store_dword v72, off, s[20:23], 0 offset:188 ; 4-byte Folded Spill
	ds_read2_b64 v[99:102], v125 offset0:26 offset1:27
	buffer_load_dword v69, off, s[20:23], 0 offset:160 ; 4-byte Folded Reload
	buffer_load_dword v70, off, s[20:23], 0 offset:164 ; 4-byte Folded Reload
	buffer_load_dword v71, off, s[20:23], 0 offset:168 ; 4-byte Folded Reload
	buffer_load_dword v72, off, s[20:23], 0 offset:172 ; 4-byte Folded Reload
	s_waitcnt lgkmcnt(0)
	v_mul_f64 v[103:104], v[101:102], v[105:106]
	v_fma_f64 v[103:104], v[99:100], v[97:98], -v[103:104]
	v_mul_f64 v[99:100], v[99:100], v[105:106]
	v_fma_f64 v[99:100], v[101:102], v[97:98], v[99:100]
	s_waitcnt vmcnt(2)
	v_add_f64 v[69:70], v[69:70], -v[103:104]
	s_waitcnt vmcnt(0)
	v_add_f64 v[71:72], v[71:72], -v[99:100]
	buffer_store_dword v69, off, s[20:23], 0 offset:160 ; 4-byte Folded Spill
	s_nop 0
	buffer_store_dword v70, off, s[20:23], 0 offset:164 ; 4-byte Folded Spill
	buffer_store_dword v71, off, s[20:23], 0 offset:168 ; 4-byte Folded Spill
	buffer_store_dword v72, off, s[20:23], 0 offset:172 ; 4-byte Folded Spill
	ds_read2_b64 v[99:102], v125 offset0:28 offset1:29
	buffer_load_dword v69, off, s[20:23], 0 offset:144 ; 4-byte Folded Reload
	buffer_load_dword v70, off, s[20:23], 0 offset:148 ; 4-byte Folded Reload
	buffer_load_dword v71, off, s[20:23], 0 offset:152 ; 4-byte Folded Reload
	buffer_load_dword v72, off, s[20:23], 0 offset:156 ; 4-byte Folded Reload
	s_waitcnt lgkmcnt(0)
	v_mul_f64 v[103:104], v[101:102], v[105:106]
	v_fma_f64 v[103:104], v[99:100], v[97:98], -v[103:104]
	v_mul_f64 v[99:100], v[99:100], v[105:106]
	v_fma_f64 v[99:100], v[101:102], v[97:98], v[99:100]
	s_waitcnt vmcnt(2)
	v_add_f64 v[69:70], v[69:70], -v[103:104]
	s_waitcnt vmcnt(0)
	v_add_f64 v[71:72], v[71:72], -v[99:100]
	buffer_store_dword v69, off, s[20:23], 0 offset:144 ; 4-byte Folded Spill
	s_nop 0
	buffer_store_dword v70, off, s[20:23], 0 offset:148 ; 4-byte Folded Spill
	buffer_store_dword v71, off, s[20:23], 0 offset:152 ; 4-byte Folded Spill
	buffer_store_dword v72, off, s[20:23], 0 offset:156 ; 4-byte Folded Spill
	ds_read2_b64 v[99:102], v125 offset0:30 offset1:31
	buffer_load_dword v69, off, s[20:23], 0 offset:128 ; 4-byte Folded Reload
	buffer_load_dword v70, off, s[20:23], 0 offset:132 ; 4-byte Folded Reload
	buffer_load_dword v71, off, s[20:23], 0 offset:136 ; 4-byte Folded Reload
	buffer_load_dword v72, off, s[20:23], 0 offset:140 ; 4-byte Folded Reload
	s_waitcnt lgkmcnt(0)
	v_mul_f64 v[103:104], v[101:102], v[105:106]
	v_fma_f64 v[103:104], v[99:100], v[97:98], -v[103:104]
	v_mul_f64 v[99:100], v[99:100], v[105:106]
	v_fma_f64 v[99:100], v[101:102], v[97:98], v[99:100]
	s_waitcnt vmcnt(2)
	v_add_f64 v[69:70], v[69:70], -v[103:104]
	s_waitcnt vmcnt(0)
	v_add_f64 v[71:72], v[71:72], -v[99:100]
	buffer_store_dword v69, off, s[20:23], 0 offset:128 ; 4-byte Folded Spill
	s_nop 0
	buffer_store_dword v70, off, s[20:23], 0 offset:132 ; 4-byte Folded Spill
	buffer_store_dword v71, off, s[20:23], 0 offset:136 ; 4-byte Folded Spill
	buffer_store_dword v72, off, s[20:23], 0 offset:140 ; 4-byte Folded Spill
	ds_read2_b64 v[99:102], v125 offset0:32 offset1:33
	buffer_load_dword v69, off, s[20:23], 0 offset:112 ; 4-byte Folded Reload
	buffer_load_dword v70, off, s[20:23], 0 offset:116 ; 4-byte Folded Reload
	buffer_load_dword v71, off, s[20:23], 0 offset:120 ; 4-byte Folded Reload
	buffer_load_dword v72, off, s[20:23], 0 offset:124 ; 4-byte Folded Reload
	s_waitcnt lgkmcnt(0)
	v_mul_f64 v[103:104], v[101:102], v[105:106]
	v_fma_f64 v[103:104], v[99:100], v[97:98], -v[103:104]
	v_mul_f64 v[99:100], v[99:100], v[105:106]
	v_fma_f64 v[99:100], v[101:102], v[97:98], v[99:100]
	s_waitcnt vmcnt(2)
	v_add_f64 v[69:70], v[69:70], -v[103:104]
	s_waitcnt vmcnt(0)
	v_add_f64 v[71:72], v[71:72], -v[99:100]
	buffer_store_dword v69, off, s[20:23], 0 offset:112 ; 4-byte Folded Spill
	s_nop 0
	buffer_store_dword v70, off, s[20:23], 0 offset:116 ; 4-byte Folded Spill
	buffer_store_dword v71, off, s[20:23], 0 offset:120 ; 4-byte Folded Spill
	buffer_store_dword v72, off, s[20:23], 0 offset:124 ; 4-byte Folded Spill
	ds_read2_b64 v[99:102], v125 offset0:34 offset1:35
	buffer_load_dword v69, off, s[20:23], 0 offset:96 ; 4-byte Folded Reload
	buffer_load_dword v70, off, s[20:23], 0 offset:100 ; 4-byte Folded Reload
	buffer_load_dword v71, off, s[20:23], 0 offset:104 ; 4-byte Folded Reload
	buffer_load_dword v72, off, s[20:23], 0 offset:108 ; 4-byte Folded Reload
	s_waitcnt lgkmcnt(0)
	v_mul_f64 v[103:104], v[101:102], v[105:106]
	v_fma_f64 v[103:104], v[99:100], v[97:98], -v[103:104]
	v_mul_f64 v[99:100], v[99:100], v[105:106]
	v_fma_f64 v[99:100], v[101:102], v[97:98], v[99:100]
	s_waitcnt vmcnt(2)
	v_add_f64 v[69:70], v[69:70], -v[103:104]
	s_waitcnt vmcnt(0)
	v_add_f64 v[71:72], v[71:72], -v[99:100]
	buffer_store_dword v69, off, s[20:23], 0 offset:96 ; 4-byte Folded Spill
	s_nop 0
	buffer_store_dword v70, off, s[20:23], 0 offset:100 ; 4-byte Folded Spill
	buffer_store_dword v71, off, s[20:23], 0 offset:104 ; 4-byte Folded Spill
	buffer_store_dword v72, off, s[20:23], 0 offset:108 ; 4-byte Folded Spill
	ds_read2_b64 v[99:102], v125 offset0:36 offset1:37
	buffer_load_dword v69, off, s[20:23], 0 offset:80 ; 4-byte Folded Reload
	buffer_load_dword v70, off, s[20:23], 0 offset:84 ; 4-byte Folded Reload
	buffer_load_dword v71, off, s[20:23], 0 offset:88 ; 4-byte Folded Reload
	buffer_load_dword v72, off, s[20:23], 0 offset:92 ; 4-byte Folded Reload
	s_waitcnt lgkmcnt(0)
	v_mul_f64 v[103:104], v[101:102], v[105:106]
	v_fma_f64 v[103:104], v[99:100], v[97:98], -v[103:104]
	v_mul_f64 v[99:100], v[99:100], v[105:106]
	v_fma_f64 v[99:100], v[101:102], v[97:98], v[99:100]
	s_waitcnt vmcnt(2)
	v_add_f64 v[69:70], v[69:70], -v[103:104]
	s_waitcnt vmcnt(0)
	v_add_f64 v[71:72], v[71:72], -v[99:100]
	buffer_store_dword v69, off, s[20:23], 0 offset:80 ; 4-byte Folded Spill
	s_nop 0
	buffer_store_dword v70, off, s[20:23], 0 offset:84 ; 4-byte Folded Spill
	buffer_store_dword v71, off, s[20:23], 0 offset:88 ; 4-byte Folded Spill
	buffer_store_dword v72, off, s[20:23], 0 offset:92 ; 4-byte Folded Spill
	ds_read2_b64 v[99:102], v125 offset0:38 offset1:39
	buffer_load_dword v69, off, s[20:23], 0 offset:64 ; 4-byte Folded Reload
	buffer_load_dword v70, off, s[20:23], 0 offset:68 ; 4-byte Folded Reload
	buffer_load_dword v71, off, s[20:23], 0 offset:72 ; 4-byte Folded Reload
	buffer_load_dword v72, off, s[20:23], 0 offset:76 ; 4-byte Folded Reload
	s_waitcnt lgkmcnt(0)
	v_mul_f64 v[103:104], v[101:102], v[105:106]
	v_fma_f64 v[103:104], v[99:100], v[97:98], -v[103:104]
	v_mul_f64 v[99:100], v[99:100], v[105:106]
	v_fma_f64 v[99:100], v[101:102], v[97:98], v[99:100]
	s_waitcnt vmcnt(2)
	v_add_f64 v[69:70], v[69:70], -v[103:104]
	s_waitcnt vmcnt(0)
	v_add_f64 v[71:72], v[71:72], -v[99:100]
	buffer_store_dword v69, off, s[20:23], 0 offset:64 ; 4-byte Folded Spill
	s_nop 0
	buffer_store_dword v70, off, s[20:23], 0 offset:68 ; 4-byte Folded Spill
	buffer_store_dword v71, off, s[20:23], 0 offset:72 ; 4-byte Folded Spill
	buffer_store_dword v72, off, s[20:23], 0 offset:76 ; 4-byte Folded Spill
	ds_read2_b64 v[99:102], v125 offset0:40 offset1:41
	buffer_load_dword v69, off, s[20:23], 0 offset:48 ; 4-byte Folded Reload
	buffer_load_dword v70, off, s[20:23], 0 offset:52 ; 4-byte Folded Reload
	buffer_load_dword v71, off, s[20:23], 0 offset:56 ; 4-byte Folded Reload
	buffer_load_dword v72, off, s[20:23], 0 offset:60 ; 4-byte Folded Reload
	s_waitcnt lgkmcnt(0)
	v_mul_f64 v[103:104], v[101:102], v[105:106]
	v_fma_f64 v[103:104], v[99:100], v[97:98], -v[103:104]
	v_mul_f64 v[99:100], v[99:100], v[105:106]
	v_fma_f64 v[99:100], v[101:102], v[97:98], v[99:100]
	s_waitcnt vmcnt(2)
	v_add_f64 v[69:70], v[69:70], -v[103:104]
	s_waitcnt vmcnt(0)
	v_add_f64 v[71:72], v[71:72], -v[99:100]
	buffer_store_dword v69, off, s[20:23], 0 offset:48 ; 4-byte Folded Spill
	s_nop 0
	buffer_store_dword v70, off, s[20:23], 0 offset:52 ; 4-byte Folded Spill
	buffer_store_dword v71, off, s[20:23], 0 offset:56 ; 4-byte Folded Spill
	buffer_store_dword v72, off, s[20:23], 0 offset:60 ; 4-byte Folded Spill
	ds_read2_b64 v[99:102], v125 offset0:42 offset1:43
	v_mov_b32_e32 v69, v73
	v_mov_b32_e32 v70, v74
	;; [unrolled: 1-line block ×4, first 2 shown]
	s_waitcnt lgkmcnt(0)
	v_mul_f64 v[103:104], v[101:102], v[105:106]
	v_fma_f64 v[103:104], v[99:100], v[97:98], -v[103:104]
	v_mul_f64 v[99:100], v[99:100], v[105:106]
	v_add_f64 v[121:122], v[121:122], -v[103:104]
	v_fma_f64 v[99:100], v[101:102], v[97:98], v[99:100]
	v_add_f64 v[123:124], v[123:124], -v[99:100]
	ds_read2_b64 v[99:102], v125 offset0:44 offset1:45
	s_waitcnt lgkmcnt(0)
	v_mul_f64 v[103:104], v[101:102], v[105:106]
	v_fma_f64 v[103:104], v[99:100], v[97:98], -v[103:104]
	v_mul_f64 v[99:100], v[99:100], v[105:106]
	v_add_f64 v[117:118], v[117:118], -v[103:104]
	v_fma_f64 v[99:100], v[101:102], v[97:98], v[99:100]
	v_add_f64 v[119:120], v[119:120], -v[99:100]
	ds_read2_b64 v[99:102], v125 offset0:46 offset1:47
	s_waitcnt lgkmcnt(0)
	v_mul_f64 v[103:104], v[101:102], v[105:106]
	v_fma_f64 v[103:104], v[99:100], v[97:98], -v[103:104]
	v_mul_f64 v[99:100], v[99:100], v[105:106]
	v_add_f64 v[109:110], v[109:110], -v[103:104]
	v_fma_f64 v[99:100], v[101:102], v[97:98], v[99:100]
	v_add_f64 v[111:112], v[111:112], -v[99:100]
	ds_read2_b64 v[99:102], v125 offset0:48 offset1:49
	s_waitcnt lgkmcnt(0)
	v_mul_f64 v[103:104], v[101:102], v[105:106]
	v_fma_f64 v[103:104], v[99:100], v[97:98], -v[103:104]
	v_mul_f64 v[99:100], v[99:100], v[105:106]
	v_add_f64 v[113:114], v[113:114], -v[103:104]
	v_fma_f64 v[99:100], v[101:102], v[97:98], v[99:100]
	v_add_f64 v[115:116], v[115:116], -v[99:100]
	ds_read2_b64 v[99:102], v125 offset0:50 offset1:51
	s_waitcnt lgkmcnt(0)
	v_mul_f64 v[103:104], v[101:102], v[105:106]
	v_fma_f64 v[103:104], v[99:100], v[97:98], -v[103:104]
	v_mul_f64 v[99:100], v[99:100], v[105:106]
	v_add_f64 v[93:94], v[93:94], -v[103:104]
	v_fma_f64 v[99:100], v[101:102], v[97:98], v[99:100]
	v_add_f64 v[95:96], v[95:96], -v[99:100]
	ds_read2_b64 v[99:102], v125 offset0:52 offset1:53
	buffer_load_dword v77, off, s[20:23], 0 offset:32 ; 4-byte Folded Reload
	buffer_load_dword v78, off, s[20:23], 0 offset:36 ; 4-byte Folded Reload
	;; [unrolled: 1-line block ×4, first 2 shown]
	s_waitcnt lgkmcnt(0)
	v_mul_f64 v[103:104], v[101:102], v[105:106]
	v_fma_f64 v[103:104], v[99:100], v[97:98], -v[103:104]
	v_mul_f64 v[99:100], v[99:100], v[105:106]
	v_fma_f64 v[99:100], v[101:102], v[97:98], v[99:100]
	s_waitcnt vmcnt(2)
	v_add_f64 v[77:78], v[77:78], -v[103:104]
	s_waitcnt vmcnt(0)
	v_add_f64 v[79:80], v[79:80], -v[99:100]
	buffer_store_dword v77, off, s[20:23], 0 offset:32 ; 4-byte Folded Spill
	s_nop 0
	buffer_store_dword v78, off, s[20:23], 0 offset:36 ; 4-byte Folded Spill
	buffer_store_dword v79, off, s[20:23], 0 offset:40 ; 4-byte Folded Spill
	;; [unrolled: 1-line block ×3, first 2 shown]
	ds_read2_b64 v[99:102], v125 offset0:54 offset1:55
	buffer_load_dword v73, off, s[20:23], 0 offset:16 ; 4-byte Folded Reload
	buffer_load_dword v74, off, s[20:23], 0 offset:20 ; 4-byte Folded Reload
	;; [unrolled: 1-line block ×4, first 2 shown]
	s_waitcnt lgkmcnt(0)
	v_mul_f64 v[103:104], v[101:102], v[105:106]
	v_fma_f64 v[103:104], v[99:100], v[97:98], -v[103:104]
	v_mul_f64 v[99:100], v[99:100], v[105:106]
	v_fma_f64 v[99:100], v[101:102], v[97:98], v[99:100]
	s_waitcnt vmcnt(2)
	v_add_f64 v[73:74], v[73:74], -v[103:104]
	s_waitcnt vmcnt(0)
	v_add_f64 v[75:76], v[75:76], -v[99:100]
	buffer_store_dword v73, off, s[20:23], 0 offset:16 ; 4-byte Folded Spill
	s_nop 0
	buffer_store_dword v74, off, s[20:23], 0 offset:20 ; 4-byte Folded Spill
	buffer_store_dword v75, off, s[20:23], 0 offset:24 ; 4-byte Folded Spill
	;; [unrolled: 1-line block ×3, first 2 shown]
	v_mov_b32_e32 v76, v72
	v_mov_b32_e32 v75, v71
	;; [unrolled: 1-line block ×4, first 2 shown]
	ds_read2_b64 v[99:102], v125 offset0:56 offset1:57
	buffer_load_dword v69, off, s[20:23], 0 ; 4-byte Folded Reload
	buffer_load_dword v70, off, s[20:23], 0 offset:4 ; 4-byte Folded Reload
	buffer_load_dword v71, off, s[20:23], 0 offset:8 ; 4-byte Folded Reload
	;; [unrolled: 1-line block ×3, first 2 shown]
	s_waitcnt lgkmcnt(0)
	v_mul_f64 v[103:104], v[101:102], v[105:106]
	v_fma_f64 v[103:104], v[99:100], v[97:98], -v[103:104]
	v_mul_f64 v[99:100], v[99:100], v[105:106]
	v_fma_f64 v[99:100], v[101:102], v[97:98], v[99:100]
	s_waitcnt vmcnt(2)
	v_add_f64 v[69:70], v[69:70], -v[103:104]
	s_waitcnt vmcnt(0)
	v_add_f64 v[71:72], v[71:72], -v[99:100]
	buffer_store_dword v69, off, s[20:23], 0 ; 4-byte Folded Spill
	s_nop 0
	buffer_store_dword v70, off, s[20:23], 0 offset:4 ; 4-byte Folded Spill
	buffer_store_dword v71, off, s[20:23], 0 offset:8 ; 4-byte Folded Spill
	;; [unrolled: 1-line block ×3, first 2 shown]
	ds_read2_b64 v[99:102], v125 offset0:58 offset1:59
	s_waitcnt lgkmcnt(0)
	v_mul_f64 v[103:104], v[101:102], v[105:106]
	v_fma_f64 v[103:104], v[99:100], v[97:98], -v[103:104]
	v_mul_f64 v[99:100], v[99:100], v[105:106]
	v_add_f64 v[65:66], v[65:66], -v[103:104]
	v_fma_f64 v[99:100], v[101:102], v[97:98], v[99:100]
	v_add_f64 v[67:68], v[67:68], -v[99:100]
	ds_read2_b64 v[99:102], v125 offset0:60 offset1:61
	s_waitcnt lgkmcnt(0)
	v_mul_f64 v[103:104], v[101:102], v[105:106]
	v_fma_f64 v[103:104], v[99:100], v[97:98], -v[103:104]
	v_mul_f64 v[99:100], v[99:100], v[105:106]
	v_add_f64 v[61:62], v[61:62], -v[103:104]
	v_fma_f64 v[99:100], v[101:102], v[97:98], v[99:100]
	v_add_f64 v[63:64], v[63:64], -v[99:100]
	;; [unrolled: 8-line block ×16, first 2 shown]
	ds_read2_b64 v[99:102], v125 offset0:90 offset1:91
	s_waitcnt lgkmcnt(0)
	v_mul_f64 v[103:104], v[101:102], v[105:106]
	v_fma_f64 v[103:104], v[99:100], v[97:98], -v[103:104]
	v_mul_f64 v[99:100], v[99:100], v[105:106]
	v_add_f64 v[1:2], v[1:2], -v[103:104]
	v_fma_f64 v[99:100], v[101:102], v[97:98], v[99:100]
	ds_read2_b64 v[101:104], v125 offset0:92 offset1:93
	v_add_f64 v[3:4], v[3:4], -v[99:100]
	s_waitcnt lgkmcnt(0)
	v_mul_f64 v[99:100], v[103:104], v[105:106]
	v_fma_f64 v[99:100], v[101:102], v[97:98], -v[99:100]
	v_mul_f64 v[101:102], v[101:102], v[105:106]
	v_add_f64 v[73:74], v[73:74], -v[99:100]
	v_fma_f64 v[101:102], v[103:104], v[97:98], v[101:102]
	v_mov_b32_e32 v104, v98
	v_mov_b32_e32 v103, v97
	buffer_store_dword v103, off, s[20:23], 0 offset:336 ; 4-byte Folded Spill
	s_nop 0
	buffer_store_dword v104, off, s[20:23], 0 offset:340 ; 4-byte Folded Spill
	buffer_store_dword v105, off, s[20:23], 0 offset:344 ; 4-byte Folded Spill
	buffer_store_dword v106, off, s[20:23], 0 offset:348 ; 4-byte Folded Spill
	v_add_f64 v[75:76], v[75:76], -v[101:102]
.LBB93_28:
	s_or_b64 exec, exec, s[2:3]
	v_cmp_eq_u32_e32 vcc, 3, v0
	s_waitcnt vmcnt(0)
	s_barrier
	s_and_saveexec_b64 s[4:5], vcc
	s_cbranch_execz .LBB93_35
; %bb.29:
	buffer_load_dword v69, off, s[20:23], 0 offset:320 ; 4-byte Folded Reload
	buffer_load_dword v70, off, s[20:23], 0 offset:324 ; 4-byte Folded Reload
	;; [unrolled: 1-line block ×4, first 2 shown]
	s_waitcnt vmcnt(0)
	ds_write2_b64 v127, v[69:70], v[71:72] offset1:1
	buffer_load_dword v69, off, s[20:23], 0 offset:304 ; 4-byte Folded Reload
	buffer_load_dword v70, off, s[20:23], 0 offset:308 ; 4-byte Folded Reload
	buffer_load_dword v71, off, s[20:23], 0 offset:312 ; 4-byte Folded Reload
	buffer_load_dword v72, off, s[20:23], 0 offset:316 ; 4-byte Folded Reload
	s_waitcnt vmcnt(0)
	ds_write2_b64 v125, v[69:70], v[71:72] offset0:8 offset1:9
	buffer_load_dword v69, off, s[20:23], 0 offset:288 ; 4-byte Folded Reload
	buffer_load_dword v70, off, s[20:23], 0 offset:292 ; 4-byte Folded Reload
	buffer_load_dword v71, off, s[20:23], 0 offset:296 ; 4-byte Folded Reload
	buffer_load_dword v72, off, s[20:23], 0 offset:300 ; 4-byte Folded Reload
	s_waitcnt vmcnt(0)
	ds_write2_b64 v125, v[69:70], v[71:72] offset0:10 offset1:11
	;; [unrolled: 6-line block ×17, first 2 shown]
	ds_write2_b64 v125, v[121:122], v[123:124] offset0:42 offset1:43
	ds_write2_b64 v125, v[117:118], v[119:120] offset0:44 offset1:45
	;; [unrolled: 1-line block ×5, first 2 shown]
	buffer_load_dword v77, off, s[20:23], 0 offset:32 ; 4-byte Folded Reload
	buffer_load_dword v78, off, s[20:23], 0 offset:36 ; 4-byte Folded Reload
	;; [unrolled: 1-line block ×4, first 2 shown]
	v_mov_b32_e32 v69, v73
	v_mov_b32_e32 v70, v74
	v_mov_b32_e32 v71, v75
	v_mov_b32_e32 v72, v76
	s_waitcnt vmcnt(0)
	ds_write2_b64 v125, v[77:78], v[79:80] offset0:52 offset1:53
	buffer_load_dword v73, off, s[20:23], 0 offset:16 ; 4-byte Folded Reload
	buffer_load_dword v74, off, s[20:23], 0 offset:20 ; 4-byte Folded Reload
	;; [unrolled: 1-line block ×4, first 2 shown]
	s_waitcnt vmcnt(0)
	ds_write2_b64 v125, v[73:74], v[75:76] offset0:54 offset1:55
	v_mov_b32_e32 v76, v72
	v_mov_b32_e32 v75, v71
	;; [unrolled: 1-line block ×4, first 2 shown]
	buffer_load_dword v69, off, s[20:23], 0 ; 4-byte Folded Reload
	buffer_load_dword v70, off, s[20:23], 0 offset:4 ; 4-byte Folded Reload
	buffer_load_dword v71, off, s[20:23], 0 offset:8 ; 4-byte Folded Reload
	;; [unrolled: 1-line block ×3, first 2 shown]
	s_waitcnt vmcnt(0)
	ds_write2_b64 v125, v[69:70], v[71:72] offset0:56 offset1:57
	ds_write2_b64 v125, v[65:66], v[67:68] offset0:58 offset1:59
	;; [unrolled: 1-line block ×19, first 2 shown]
	ds_read2_b64 v[97:100], v127 offset1:1
	s_waitcnt lgkmcnt(0)
	v_cmp_neq_f64_e32 vcc, 0, v[97:98]
	v_cmp_neq_f64_e64 s[2:3], 0, v[99:100]
	s_or_b64 s[2:3], vcc, s[2:3]
	s_and_b64 exec, exec, s[2:3]
	s_cbranch_execz .LBB93_35
; %bb.30:
	v_cmp_ngt_f64_e64 s[2:3], |v[97:98]|, |v[99:100]|
                                        ; implicit-def: $vgpr101_vgpr102
	s_and_saveexec_b64 s[6:7], s[2:3]
	s_xor_b64 s[2:3], exec, s[6:7]
                                        ; implicit-def: $vgpr103_vgpr104
	s_cbranch_execz .LBB93_32
; %bb.31:
	v_div_scale_f64 v[101:102], s[6:7], v[99:100], v[99:100], v[97:98]
	v_rcp_f64_e32 v[103:104], v[101:102]
	v_fma_f64 v[105:106], -v[101:102], v[103:104], 1.0
	v_fma_f64 v[103:104], v[103:104], v[105:106], v[103:104]
	v_div_scale_f64 v[105:106], vcc, v[97:98], v[99:100], v[97:98]
	v_fma_f64 v[107:108], -v[101:102], v[103:104], 1.0
	v_fma_f64 v[103:104], v[103:104], v[107:108], v[103:104]
	v_mul_f64 v[107:108], v[105:106], v[103:104]
	v_fma_f64 v[101:102], -v[101:102], v[107:108], v[105:106]
	v_div_fmas_f64 v[101:102], v[101:102], v[103:104], v[107:108]
	v_div_fixup_f64 v[101:102], v[101:102], v[99:100], v[97:98]
	v_fma_f64 v[97:98], v[97:98], v[101:102], v[99:100]
	v_div_scale_f64 v[99:100], s[6:7], v[97:98], v[97:98], 1.0
	v_div_scale_f64 v[107:108], vcc, 1.0, v[97:98], 1.0
	v_rcp_f64_e32 v[103:104], v[99:100]
	v_fma_f64 v[105:106], -v[99:100], v[103:104], 1.0
	v_fma_f64 v[103:104], v[103:104], v[105:106], v[103:104]
	v_fma_f64 v[105:106], -v[99:100], v[103:104], 1.0
	v_fma_f64 v[103:104], v[103:104], v[105:106], v[103:104]
	v_mul_f64 v[105:106], v[107:108], v[103:104]
	v_fma_f64 v[99:100], -v[99:100], v[105:106], v[107:108]
	v_div_fmas_f64 v[99:100], v[99:100], v[103:104], v[105:106]
	v_div_fixup_f64 v[103:104], v[99:100], v[97:98], 1.0
                                        ; implicit-def: $vgpr97_vgpr98
	v_mul_f64 v[101:102], v[101:102], v[103:104]
	v_xor_b32_e32 v104, 0x80000000, v104
.LBB93_32:
	s_andn2_saveexec_b64 s[2:3], s[2:3]
	s_cbranch_execz .LBB93_34
; %bb.33:
	v_div_scale_f64 v[101:102], s[6:7], v[97:98], v[97:98], v[99:100]
	v_rcp_f64_e32 v[103:104], v[101:102]
	v_fma_f64 v[105:106], -v[101:102], v[103:104], 1.0
	v_fma_f64 v[103:104], v[103:104], v[105:106], v[103:104]
	v_div_scale_f64 v[105:106], vcc, v[99:100], v[97:98], v[99:100]
	v_fma_f64 v[107:108], -v[101:102], v[103:104], 1.0
	v_fma_f64 v[103:104], v[103:104], v[107:108], v[103:104]
	v_mul_f64 v[107:108], v[105:106], v[103:104]
	v_fma_f64 v[101:102], -v[101:102], v[107:108], v[105:106]
	v_div_fmas_f64 v[101:102], v[101:102], v[103:104], v[107:108]
	v_div_fixup_f64 v[103:104], v[101:102], v[97:98], v[99:100]
	v_fma_f64 v[97:98], v[99:100], v[103:104], v[97:98]
	v_div_scale_f64 v[99:100], s[6:7], v[97:98], v[97:98], 1.0
	v_div_scale_f64 v[107:108], vcc, 1.0, v[97:98], 1.0
	v_rcp_f64_e32 v[101:102], v[99:100]
	v_fma_f64 v[105:106], -v[99:100], v[101:102], 1.0
	v_fma_f64 v[101:102], v[101:102], v[105:106], v[101:102]
	v_fma_f64 v[105:106], -v[99:100], v[101:102], 1.0
	v_fma_f64 v[101:102], v[101:102], v[105:106], v[101:102]
	v_mul_f64 v[105:106], v[107:108], v[101:102]
	v_fma_f64 v[99:100], -v[99:100], v[105:106], v[107:108]
	v_div_fmas_f64 v[99:100], v[99:100], v[101:102], v[105:106]
	v_div_fixup_f64 v[101:102], v[99:100], v[97:98], 1.0
	v_mul_f64 v[103:104], v[103:104], -v[101:102]
.LBB93_34:
	s_or_b64 exec, exec, s[2:3]
	ds_write2_b64 v127, v[101:102], v[103:104] offset1:1
.LBB93_35:
	s_or_b64 exec, exec, s[4:5]
	s_waitcnt lgkmcnt(0)
	s_barrier
	ds_read2_b64 v[69:72], v127 offset1:1
	v_cmp_lt_u32_e32 vcc, 3, v0
	s_waitcnt lgkmcnt(0)
	buffer_store_dword v69, off, s[20:23], 0 offset:800 ; 4-byte Folded Spill
	s_nop 0
	buffer_store_dword v70, off, s[20:23], 0 offset:804 ; 4-byte Folded Spill
	buffer_store_dword v71, off, s[20:23], 0 offset:808 ; 4-byte Folded Spill
	;; [unrolled: 1-line block ×3, first 2 shown]
	s_and_saveexec_b64 s[2:3], vcc
	s_cbranch_execz .LBB93_37
; %bb.36:
	buffer_load_dword v103, off, s[20:23], 0 offset:320 ; 4-byte Folded Reload
	buffer_load_dword v104, off, s[20:23], 0 offset:324 ; 4-byte Folded Reload
	;; [unrolled: 1-line block ×8, first 2 shown]
	s_waitcnt vmcnt(2)
	v_mul_f64 v[99:100], v[69:70], v[105:106]
	s_waitcnt vmcnt(0)
	v_mul_f64 v[97:98], v[71:72], v[105:106]
	v_fma_f64 v[105:106], v[71:72], v[103:104], v[99:100]
	ds_read2_b64 v[99:102], v125 offset0:8 offset1:9
	v_fma_f64 v[97:98], v[69:70], v[103:104], -v[97:98]
	buffer_load_dword v69, off, s[20:23], 0 offset:304 ; 4-byte Folded Reload
	buffer_load_dword v70, off, s[20:23], 0 offset:308 ; 4-byte Folded Reload
	buffer_load_dword v71, off, s[20:23], 0 offset:312 ; 4-byte Folded Reload
	buffer_load_dword v72, off, s[20:23], 0 offset:316 ; 4-byte Folded Reload
	s_waitcnt lgkmcnt(0)
	v_mul_f64 v[103:104], v[101:102], v[105:106]
	v_fma_f64 v[103:104], v[99:100], v[97:98], -v[103:104]
	v_mul_f64 v[99:100], v[99:100], v[105:106]
	v_fma_f64 v[99:100], v[101:102], v[97:98], v[99:100]
	s_waitcnt vmcnt(2)
	v_add_f64 v[69:70], v[69:70], -v[103:104]
	s_waitcnt vmcnt(0)
	v_add_f64 v[71:72], v[71:72], -v[99:100]
	buffer_store_dword v69, off, s[20:23], 0 offset:304 ; 4-byte Folded Spill
	s_nop 0
	buffer_store_dword v70, off, s[20:23], 0 offset:308 ; 4-byte Folded Spill
	buffer_store_dword v71, off, s[20:23], 0 offset:312 ; 4-byte Folded Spill
	buffer_store_dword v72, off, s[20:23], 0 offset:316 ; 4-byte Folded Spill
	ds_read2_b64 v[99:102], v125 offset0:10 offset1:11
	buffer_load_dword v69, off, s[20:23], 0 offset:288 ; 4-byte Folded Reload
	buffer_load_dword v70, off, s[20:23], 0 offset:292 ; 4-byte Folded Reload
	buffer_load_dword v71, off, s[20:23], 0 offset:296 ; 4-byte Folded Reload
	buffer_load_dword v72, off, s[20:23], 0 offset:300 ; 4-byte Folded Reload
	s_waitcnt lgkmcnt(0)
	v_mul_f64 v[103:104], v[101:102], v[105:106]
	v_fma_f64 v[103:104], v[99:100], v[97:98], -v[103:104]
	v_mul_f64 v[99:100], v[99:100], v[105:106]
	v_fma_f64 v[99:100], v[101:102], v[97:98], v[99:100]
	s_waitcnt vmcnt(2)
	v_add_f64 v[69:70], v[69:70], -v[103:104]
	s_waitcnt vmcnt(0)
	v_add_f64 v[71:72], v[71:72], -v[99:100]
	buffer_store_dword v69, off, s[20:23], 0 offset:288 ; 4-byte Folded Spill
	s_nop 0
	buffer_store_dword v70, off, s[20:23], 0 offset:292 ; 4-byte Folded Spill
	buffer_store_dword v71, off, s[20:23], 0 offset:296 ; 4-byte Folded Spill
	buffer_store_dword v72, off, s[20:23], 0 offset:300 ; 4-byte Folded Spill
	ds_read2_b64 v[99:102], v125 offset0:12 offset1:13
	buffer_load_dword v69, off, s[20:23], 0 offset:272 ; 4-byte Folded Reload
	buffer_load_dword v70, off, s[20:23], 0 offset:276 ; 4-byte Folded Reload
	buffer_load_dword v71, off, s[20:23], 0 offset:280 ; 4-byte Folded Reload
	buffer_load_dword v72, off, s[20:23], 0 offset:284 ; 4-byte Folded Reload
	s_waitcnt lgkmcnt(0)
	v_mul_f64 v[103:104], v[101:102], v[105:106]
	v_fma_f64 v[103:104], v[99:100], v[97:98], -v[103:104]
	v_mul_f64 v[99:100], v[99:100], v[105:106]
	v_fma_f64 v[99:100], v[101:102], v[97:98], v[99:100]
	s_waitcnt vmcnt(2)
	v_add_f64 v[69:70], v[69:70], -v[103:104]
	s_waitcnt vmcnt(0)
	v_add_f64 v[71:72], v[71:72], -v[99:100]
	buffer_store_dword v69, off, s[20:23], 0 offset:272 ; 4-byte Folded Spill
	s_nop 0
	buffer_store_dword v70, off, s[20:23], 0 offset:276 ; 4-byte Folded Spill
	buffer_store_dword v71, off, s[20:23], 0 offset:280 ; 4-byte Folded Spill
	buffer_store_dword v72, off, s[20:23], 0 offset:284 ; 4-byte Folded Spill
	ds_read2_b64 v[99:102], v125 offset0:14 offset1:15
	buffer_load_dword v69, off, s[20:23], 0 offset:256 ; 4-byte Folded Reload
	buffer_load_dword v70, off, s[20:23], 0 offset:260 ; 4-byte Folded Reload
	buffer_load_dword v71, off, s[20:23], 0 offset:264 ; 4-byte Folded Reload
	buffer_load_dword v72, off, s[20:23], 0 offset:268 ; 4-byte Folded Reload
	s_waitcnt lgkmcnt(0)
	v_mul_f64 v[103:104], v[101:102], v[105:106]
	v_fma_f64 v[103:104], v[99:100], v[97:98], -v[103:104]
	v_mul_f64 v[99:100], v[99:100], v[105:106]
	v_fma_f64 v[99:100], v[101:102], v[97:98], v[99:100]
	s_waitcnt vmcnt(2)
	v_add_f64 v[69:70], v[69:70], -v[103:104]
	s_waitcnt vmcnt(0)
	v_add_f64 v[71:72], v[71:72], -v[99:100]
	buffer_store_dword v69, off, s[20:23], 0 offset:256 ; 4-byte Folded Spill
	s_nop 0
	buffer_store_dword v70, off, s[20:23], 0 offset:260 ; 4-byte Folded Spill
	buffer_store_dword v71, off, s[20:23], 0 offset:264 ; 4-byte Folded Spill
	buffer_store_dword v72, off, s[20:23], 0 offset:268 ; 4-byte Folded Spill
	ds_read2_b64 v[99:102], v125 offset0:16 offset1:17
	buffer_load_dword v69, off, s[20:23], 0 offset:240 ; 4-byte Folded Reload
	buffer_load_dword v70, off, s[20:23], 0 offset:244 ; 4-byte Folded Reload
	buffer_load_dword v71, off, s[20:23], 0 offset:248 ; 4-byte Folded Reload
	buffer_load_dword v72, off, s[20:23], 0 offset:252 ; 4-byte Folded Reload
	s_waitcnt lgkmcnt(0)
	v_mul_f64 v[103:104], v[101:102], v[105:106]
	v_fma_f64 v[103:104], v[99:100], v[97:98], -v[103:104]
	v_mul_f64 v[99:100], v[99:100], v[105:106]
	v_fma_f64 v[99:100], v[101:102], v[97:98], v[99:100]
	s_waitcnt vmcnt(2)
	v_add_f64 v[69:70], v[69:70], -v[103:104]
	s_waitcnt vmcnt(0)
	v_add_f64 v[71:72], v[71:72], -v[99:100]
	buffer_store_dword v69, off, s[20:23], 0 offset:240 ; 4-byte Folded Spill
	s_nop 0
	buffer_store_dword v70, off, s[20:23], 0 offset:244 ; 4-byte Folded Spill
	buffer_store_dword v71, off, s[20:23], 0 offset:248 ; 4-byte Folded Spill
	buffer_store_dword v72, off, s[20:23], 0 offset:252 ; 4-byte Folded Spill
	ds_read2_b64 v[99:102], v125 offset0:18 offset1:19
	buffer_load_dword v69, off, s[20:23], 0 offset:224 ; 4-byte Folded Reload
	buffer_load_dword v70, off, s[20:23], 0 offset:228 ; 4-byte Folded Reload
	buffer_load_dword v71, off, s[20:23], 0 offset:232 ; 4-byte Folded Reload
	buffer_load_dword v72, off, s[20:23], 0 offset:236 ; 4-byte Folded Reload
	s_waitcnt lgkmcnt(0)
	v_mul_f64 v[103:104], v[101:102], v[105:106]
	v_fma_f64 v[103:104], v[99:100], v[97:98], -v[103:104]
	v_mul_f64 v[99:100], v[99:100], v[105:106]
	v_fma_f64 v[99:100], v[101:102], v[97:98], v[99:100]
	s_waitcnt vmcnt(2)
	v_add_f64 v[69:70], v[69:70], -v[103:104]
	s_waitcnt vmcnt(0)
	v_add_f64 v[71:72], v[71:72], -v[99:100]
	buffer_store_dword v69, off, s[20:23], 0 offset:224 ; 4-byte Folded Spill
	s_nop 0
	buffer_store_dword v70, off, s[20:23], 0 offset:228 ; 4-byte Folded Spill
	buffer_store_dword v71, off, s[20:23], 0 offset:232 ; 4-byte Folded Spill
	buffer_store_dword v72, off, s[20:23], 0 offset:236 ; 4-byte Folded Spill
	ds_read2_b64 v[99:102], v125 offset0:20 offset1:21
	buffer_load_dword v69, off, s[20:23], 0 offset:208 ; 4-byte Folded Reload
	buffer_load_dword v70, off, s[20:23], 0 offset:212 ; 4-byte Folded Reload
	buffer_load_dword v71, off, s[20:23], 0 offset:216 ; 4-byte Folded Reload
	buffer_load_dword v72, off, s[20:23], 0 offset:220 ; 4-byte Folded Reload
	s_waitcnt lgkmcnt(0)
	v_mul_f64 v[103:104], v[101:102], v[105:106]
	v_fma_f64 v[103:104], v[99:100], v[97:98], -v[103:104]
	v_mul_f64 v[99:100], v[99:100], v[105:106]
	v_fma_f64 v[99:100], v[101:102], v[97:98], v[99:100]
	s_waitcnt vmcnt(2)
	v_add_f64 v[69:70], v[69:70], -v[103:104]
	s_waitcnt vmcnt(0)
	v_add_f64 v[71:72], v[71:72], -v[99:100]
	buffer_store_dword v69, off, s[20:23], 0 offset:208 ; 4-byte Folded Spill
	s_nop 0
	buffer_store_dword v70, off, s[20:23], 0 offset:212 ; 4-byte Folded Spill
	buffer_store_dword v71, off, s[20:23], 0 offset:216 ; 4-byte Folded Spill
	buffer_store_dword v72, off, s[20:23], 0 offset:220 ; 4-byte Folded Spill
	ds_read2_b64 v[99:102], v125 offset0:22 offset1:23
	buffer_load_dword v69, off, s[20:23], 0 offset:192 ; 4-byte Folded Reload
	buffer_load_dword v70, off, s[20:23], 0 offset:196 ; 4-byte Folded Reload
	buffer_load_dword v71, off, s[20:23], 0 offset:200 ; 4-byte Folded Reload
	buffer_load_dword v72, off, s[20:23], 0 offset:204 ; 4-byte Folded Reload
	s_waitcnt lgkmcnt(0)
	v_mul_f64 v[103:104], v[101:102], v[105:106]
	v_fma_f64 v[103:104], v[99:100], v[97:98], -v[103:104]
	v_mul_f64 v[99:100], v[99:100], v[105:106]
	v_fma_f64 v[99:100], v[101:102], v[97:98], v[99:100]
	s_waitcnt vmcnt(2)
	v_add_f64 v[69:70], v[69:70], -v[103:104]
	s_waitcnt vmcnt(0)
	v_add_f64 v[71:72], v[71:72], -v[99:100]
	buffer_store_dword v69, off, s[20:23], 0 offset:192 ; 4-byte Folded Spill
	s_nop 0
	buffer_store_dword v70, off, s[20:23], 0 offset:196 ; 4-byte Folded Spill
	buffer_store_dword v71, off, s[20:23], 0 offset:200 ; 4-byte Folded Spill
	buffer_store_dword v72, off, s[20:23], 0 offset:204 ; 4-byte Folded Spill
	ds_read2_b64 v[99:102], v125 offset0:24 offset1:25
	buffer_load_dword v69, off, s[20:23], 0 offset:176 ; 4-byte Folded Reload
	buffer_load_dword v70, off, s[20:23], 0 offset:180 ; 4-byte Folded Reload
	buffer_load_dword v71, off, s[20:23], 0 offset:184 ; 4-byte Folded Reload
	buffer_load_dword v72, off, s[20:23], 0 offset:188 ; 4-byte Folded Reload
	s_waitcnt lgkmcnt(0)
	v_mul_f64 v[103:104], v[101:102], v[105:106]
	v_fma_f64 v[103:104], v[99:100], v[97:98], -v[103:104]
	v_mul_f64 v[99:100], v[99:100], v[105:106]
	v_fma_f64 v[99:100], v[101:102], v[97:98], v[99:100]
	s_waitcnt vmcnt(2)
	v_add_f64 v[69:70], v[69:70], -v[103:104]
	s_waitcnt vmcnt(0)
	v_add_f64 v[71:72], v[71:72], -v[99:100]
	buffer_store_dword v69, off, s[20:23], 0 offset:176 ; 4-byte Folded Spill
	s_nop 0
	buffer_store_dword v70, off, s[20:23], 0 offset:180 ; 4-byte Folded Spill
	buffer_store_dword v71, off, s[20:23], 0 offset:184 ; 4-byte Folded Spill
	buffer_store_dword v72, off, s[20:23], 0 offset:188 ; 4-byte Folded Spill
	ds_read2_b64 v[99:102], v125 offset0:26 offset1:27
	buffer_load_dword v69, off, s[20:23], 0 offset:160 ; 4-byte Folded Reload
	buffer_load_dword v70, off, s[20:23], 0 offset:164 ; 4-byte Folded Reload
	buffer_load_dword v71, off, s[20:23], 0 offset:168 ; 4-byte Folded Reload
	buffer_load_dword v72, off, s[20:23], 0 offset:172 ; 4-byte Folded Reload
	s_waitcnt lgkmcnt(0)
	v_mul_f64 v[103:104], v[101:102], v[105:106]
	v_fma_f64 v[103:104], v[99:100], v[97:98], -v[103:104]
	v_mul_f64 v[99:100], v[99:100], v[105:106]
	v_fma_f64 v[99:100], v[101:102], v[97:98], v[99:100]
	s_waitcnt vmcnt(2)
	v_add_f64 v[69:70], v[69:70], -v[103:104]
	s_waitcnt vmcnt(0)
	v_add_f64 v[71:72], v[71:72], -v[99:100]
	buffer_store_dword v69, off, s[20:23], 0 offset:160 ; 4-byte Folded Spill
	s_nop 0
	buffer_store_dword v70, off, s[20:23], 0 offset:164 ; 4-byte Folded Spill
	buffer_store_dword v71, off, s[20:23], 0 offset:168 ; 4-byte Folded Spill
	buffer_store_dword v72, off, s[20:23], 0 offset:172 ; 4-byte Folded Spill
	ds_read2_b64 v[99:102], v125 offset0:28 offset1:29
	buffer_load_dword v69, off, s[20:23], 0 offset:144 ; 4-byte Folded Reload
	buffer_load_dword v70, off, s[20:23], 0 offset:148 ; 4-byte Folded Reload
	buffer_load_dword v71, off, s[20:23], 0 offset:152 ; 4-byte Folded Reload
	buffer_load_dword v72, off, s[20:23], 0 offset:156 ; 4-byte Folded Reload
	s_waitcnt lgkmcnt(0)
	v_mul_f64 v[103:104], v[101:102], v[105:106]
	v_fma_f64 v[103:104], v[99:100], v[97:98], -v[103:104]
	v_mul_f64 v[99:100], v[99:100], v[105:106]
	v_fma_f64 v[99:100], v[101:102], v[97:98], v[99:100]
	s_waitcnt vmcnt(2)
	v_add_f64 v[69:70], v[69:70], -v[103:104]
	s_waitcnt vmcnt(0)
	v_add_f64 v[71:72], v[71:72], -v[99:100]
	buffer_store_dword v69, off, s[20:23], 0 offset:144 ; 4-byte Folded Spill
	s_nop 0
	buffer_store_dword v70, off, s[20:23], 0 offset:148 ; 4-byte Folded Spill
	buffer_store_dword v71, off, s[20:23], 0 offset:152 ; 4-byte Folded Spill
	buffer_store_dword v72, off, s[20:23], 0 offset:156 ; 4-byte Folded Spill
	ds_read2_b64 v[99:102], v125 offset0:30 offset1:31
	buffer_load_dword v69, off, s[20:23], 0 offset:128 ; 4-byte Folded Reload
	buffer_load_dword v70, off, s[20:23], 0 offset:132 ; 4-byte Folded Reload
	buffer_load_dword v71, off, s[20:23], 0 offset:136 ; 4-byte Folded Reload
	buffer_load_dword v72, off, s[20:23], 0 offset:140 ; 4-byte Folded Reload
	s_waitcnt lgkmcnt(0)
	v_mul_f64 v[103:104], v[101:102], v[105:106]
	v_fma_f64 v[103:104], v[99:100], v[97:98], -v[103:104]
	v_mul_f64 v[99:100], v[99:100], v[105:106]
	v_fma_f64 v[99:100], v[101:102], v[97:98], v[99:100]
	s_waitcnt vmcnt(2)
	v_add_f64 v[69:70], v[69:70], -v[103:104]
	s_waitcnt vmcnt(0)
	v_add_f64 v[71:72], v[71:72], -v[99:100]
	buffer_store_dword v69, off, s[20:23], 0 offset:128 ; 4-byte Folded Spill
	s_nop 0
	buffer_store_dword v70, off, s[20:23], 0 offset:132 ; 4-byte Folded Spill
	buffer_store_dword v71, off, s[20:23], 0 offset:136 ; 4-byte Folded Spill
	buffer_store_dword v72, off, s[20:23], 0 offset:140 ; 4-byte Folded Spill
	ds_read2_b64 v[99:102], v125 offset0:32 offset1:33
	buffer_load_dword v69, off, s[20:23], 0 offset:112 ; 4-byte Folded Reload
	buffer_load_dword v70, off, s[20:23], 0 offset:116 ; 4-byte Folded Reload
	buffer_load_dword v71, off, s[20:23], 0 offset:120 ; 4-byte Folded Reload
	buffer_load_dword v72, off, s[20:23], 0 offset:124 ; 4-byte Folded Reload
	s_waitcnt lgkmcnt(0)
	v_mul_f64 v[103:104], v[101:102], v[105:106]
	v_fma_f64 v[103:104], v[99:100], v[97:98], -v[103:104]
	v_mul_f64 v[99:100], v[99:100], v[105:106]
	v_fma_f64 v[99:100], v[101:102], v[97:98], v[99:100]
	s_waitcnt vmcnt(2)
	v_add_f64 v[69:70], v[69:70], -v[103:104]
	s_waitcnt vmcnt(0)
	v_add_f64 v[71:72], v[71:72], -v[99:100]
	buffer_store_dword v69, off, s[20:23], 0 offset:112 ; 4-byte Folded Spill
	s_nop 0
	buffer_store_dword v70, off, s[20:23], 0 offset:116 ; 4-byte Folded Spill
	buffer_store_dword v71, off, s[20:23], 0 offset:120 ; 4-byte Folded Spill
	buffer_store_dword v72, off, s[20:23], 0 offset:124 ; 4-byte Folded Spill
	ds_read2_b64 v[99:102], v125 offset0:34 offset1:35
	buffer_load_dword v69, off, s[20:23], 0 offset:96 ; 4-byte Folded Reload
	buffer_load_dword v70, off, s[20:23], 0 offset:100 ; 4-byte Folded Reload
	buffer_load_dword v71, off, s[20:23], 0 offset:104 ; 4-byte Folded Reload
	buffer_load_dword v72, off, s[20:23], 0 offset:108 ; 4-byte Folded Reload
	s_waitcnt lgkmcnt(0)
	v_mul_f64 v[103:104], v[101:102], v[105:106]
	v_fma_f64 v[103:104], v[99:100], v[97:98], -v[103:104]
	v_mul_f64 v[99:100], v[99:100], v[105:106]
	v_fma_f64 v[99:100], v[101:102], v[97:98], v[99:100]
	s_waitcnt vmcnt(2)
	v_add_f64 v[69:70], v[69:70], -v[103:104]
	s_waitcnt vmcnt(0)
	v_add_f64 v[71:72], v[71:72], -v[99:100]
	buffer_store_dword v69, off, s[20:23], 0 offset:96 ; 4-byte Folded Spill
	s_nop 0
	buffer_store_dword v70, off, s[20:23], 0 offset:100 ; 4-byte Folded Spill
	buffer_store_dword v71, off, s[20:23], 0 offset:104 ; 4-byte Folded Spill
	buffer_store_dword v72, off, s[20:23], 0 offset:108 ; 4-byte Folded Spill
	ds_read2_b64 v[99:102], v125 offset0:36 offset1:37
	buffer_load_dword v69, off, s[20:23], 0 offset:80 ; 4-byte Folded Reload
	buffer_load_dword v70, off, s[20:23], 0 offset:84 ; 4-byte Folded Reload
	buffer_load_dword v71, off, s[20:23], 0 offset:88 ; 4-byte Folded Reload
	buffer_load_dword v72, off, s[20:23], 0 offset:92 ; 4-byte Folded Reload
	s_waitcnt lgkmcnt(0)
	v_mul_f64 v[103:104], v[101:102], v[105:106]
	v_fma_f64 v[103:104], v[99:100], v[97:98], -v[103:104]
	v_mul_f64 v[99:100], v[99:100], v[105:106]
	v_fma_f64 v[99:100], v[101:102], v[97:98], v[99:100]
	s_waitcnt vmcnt(2)
	v_add_f64 v[69:70], v[69:70], -v[103:104]
	s_waitcnt vmcnt(0)
	v_add_f64 v[71:72], v[71:72], -v[99:100]
	buffer_store_dword v69, off, s[20:23], 0 offset:80 ; 4-byte Folded Spill
	s_nop 0
	buffer_store_dword v70, off, s[20:23], 0 offset:84 ; 4-byte Folded Spill
	buffer_store_dword v71, off, s[20:23], 0 offset:88 ; 4-byte Folded Spill
	buffer_store_dword v72, off, s[20:23], 0 offset:92 ; 4-byte Folded Spill
	ds_read2_b64 v[99:102], v125 offset0:38 offset1:39
	buffer_load_dword v69, off, s[20:23], 0 offset:64 ; 4-byte Folded Reload
	buffer_load_dword v70, off, s[20:23], 0 offset:68 ; 4-byte Folded Reload
	buffer_load_dword v71, off, s[20:23], 0 offset:72 ; 4-byte Folded Reload
	buffer_load_dword v72, off, s[20:23], 0 offset:76 ; 4-byte Folded Reload
	s_waitcnt lgkmcnt(0)
	v_mul_f64 v[103:104], v[101:102], v[105:106]
	v_fma_f64 v[103:104], v[99:100], v[97:98], -v[103:104]
	v_mul_f64 v[99:100], v[99:100], v[105:106]
	v_fma_f64 v[99:100], v[101:102], v[97:98], v[99:100]
	s_waitcnt vmcnt(2)
	v_add_f64 v[69:70], v[69:70], -v[103:104]
	s_waitcnt vmcnt(0)
	v_add_f64 v[71:72], v[71:72], -v[99:100]
	buffer_store_dword v69, off, s[20:23], 0 offset:64 ; 4-byte Folded Spill
	s_nop 0
	buffer_store_dword v70, off, s[20:23], 0 offset:68 ; 4-byte Folded Spill
	buffer_store_dword v71, off, s[20:23], 0 offset:72 ; 4-byte Folded Spill
	buffer_store_dword v72, off, s[20:23], 0 offset:76 ; 4-byte Folded Spill
	ds_read2_b64 v[99:102], v125 offset0:40 offset1:41
	buffer_load_dword v69, off, s[20:23], 0 offset:48 ; 4-byte Folded Reload
	buffer_load_dword v70, off, s[20:23], 0 offset:52 ; 4-byte Folded Reload
	buffer_load_dword v71, off, s[20:23], 0 offset:56 ; 4-byte Folded Reload
	buffer_load_dword v72, off, s[20:23], 0 offset:60 ; 4-byte Folded Reload
	s_waitcnt lgkmcnt(0)
	v_mul_f64 v[103:104], v[101:102], v[105:106]
	v_fma_f64 v[103:104], v[99:100], v[97:98], -v[103:104]
	v_mul_f64 v[99:100], v[99:100], v[105:106]
	v_fma_f64 v[99:100], v[101:102], v[97:98], v[99:100]
	s_waitcnt vmcnt(2)
	v_add_f64 v[69:70], v[69:70], -v[103:104]
	s_waitcnt vmcnt(0)
	v_add_f64 v[71:72], v[71:72], -v[99:100]
	buffer_store_dword v69, off, s[20:23], 0 offset:48 ; 4-byte Folded Spill
	s_nop 0
	buffer_store_dword v70, off, s[20:23], 0 offset:52 ; 4-byte Folded Spill
	buffer_store_dword v71, off, s[20:23], 0 offset:56 ; 4-byte Folded Spill
	buffer_store_dword v72, off, s[20:23], 0 offset:60 ; 4-byte Folded Spill
	ds_read2_b64 v[99:102], v125 offset0:42 offset1:43
	v_mov_b32_e32 v69, v73
	v_mov_b32_e32 v70, v74
	;; [unrolled: 1-line block ×4, first 2 shown]
	s_waitcnt lgkmcnt(0)
	v_mul_f64 v[103:104], v[101:102], v[105:106]
	v_fma_f64 v[103:104], v[99:100], v[97:98], -v[103:104]
	v_mul_f64 v[99:100], v[99:100], v[105:106]
	v_add_f64 v[121:122], v[121:122], -v[103:104]
	v_fma_f64 v[99:100], v[101:102], v[97:98], v[99:100]
	v_add_f64 v[123:124], v[123:124], -v[99:100]
	ds_read2_b64 v[99:102], v125 offset0:44 offset1:45
	s_waitcnt lgkmcnt(0)
	v_mul_f64 v[103:104], v[101:102], v[105:106]
	v_fma_f64 v[103:104], v[99:100], v[97:98], -v[103:104]
	v_mul_f64 v[99:100], v[99:100], v[105:106]
	v_add_f64 v[117:118], v[117:118], -v[103:104]
	v_fma_f64 v[99:100], v[101:102], v[97:98], v[99:100]
	v_add_f64 v[119:120], v[119:120], -v[99:100]
	ds_read2_b64 v[99:102], v125 offset0:46 offset1:47
	;; [unrolled: 8-line block ×5, first 2 shown]
	buffer_load_dword v77, off, s[20:23], 0 offset:32 ; 4-byte Folded Reload
	buffer_load_dword v78, off, s[20:23], 0 offset:36 ; 4-byte Folded Reload
	;; [unrolled: 1-line block ×4, first 2 shown]
	s_waitcnt lgkmcnt(0)
	v_mul_f64 v[103:104], v[101:102], v[105:106]
	v_fma_f64 v[103:104], v[99:100], v[97:98], -v[103:104]
	v_mul_f64 v[99:100], v[99:100], v[105:106]
	v_fma_f64 v[99:100], v[101:102], v[97:98], v[99:100]
	s_waitcnt vmcnt(2)
	v_add_f64 v[77:78], v[77:78], -v[103:104]
	s_waitcnt vmcnt(0)
	v_add_f64 v[79:80], v[79:80], -v[99:100]
	buffer_store_dword v77, off, s[20:23], 0 offset:32 ; 4-byte Folded Spill
	s_nop 0
	buffer_store_dword v78, off, s[20:23], 0 offset:36 ; 4-byte Folded Spill
	buffer_store_dword v79, off, s[20:23], 0 offset:40 ; 4-byte Folded Spill
	;; [unrolled: 1-line block ×3, first 2 shown]
	ds_read2_b64 v[99:102], v125 offset0:54 offset1:55
	buffer_load_dword v73, off, s[20:23], 0 offset:16 ; 4-byte Folded Reload
	buffer_load_dword v74, off, s[20:23], 0 offset:20 ; 4-byte Folded Reload
	;; [unrolled: 1-line block ×4, first 2 shown]
	s_waitcnt lgkmcnt(0)
	v_mul_f64 v[103:104], v[101:102], v[105:106]
	v_fma_f64 v[103:104], v[99:100], v[97:98], -v[103:104]
	v_mul_f64 v[99:100], v[99:100], v[105:106]
	v_fma_f64 v[99:100], v[101:102], v[97:98], v[99:100]
	s_waitcnt vmcnt(2)
	v_add_f64 v[73:74], v[73:74], -v[103:104]
	s_waitcnt vmcnt(0)
	v_add_f64 v[75:76], v[75:76], -v[99:100]
	buffer_store_dword v73, off, s[20:23], 0 offset:16 ; 4-byte Folded Spill
	s_nop 0
	buffer_store_dword v74, off, s[20:23], 0 offset:20 ; 4-byte Folded Spill
	buffer_store_dword v75, off, s[20:23], 0 offset:24 ; 4-byte Folded Spill
	;; [unrolled: 1-line block ×3, first 2 shown]
	v_mov_b32_e32 v76, v72
	v_mov_b32_e32 v75, v71
	;; [unrolled: 1-line block ×4, first 2 shown]
	ds_read2_b64 v[99:102], v125 offset0:56 offset1:57
	buffer_load_dword v69, off, s[20:23], 0 ; 4-byte Folded Reload
	buffer_load_dword v70, off, s[20:23], 0 offset:4 ; 4-byte Folded Reload
	buffer_load_dword v71, off, s[20:23], 0 offset:8 ; 4-byte Folded Reload
	;; [unrolled: 1-line block ×3, first 2 shown]
	s_waitcnt lgkmcnt(0)
	v_mul_f64 v[103:104], v[101:102], v[105:106]
	v_fma_f64 v[103:104], v[99:100], v[97:98], -v[103:104]
	v_mul_f64 v[99:100], v[99:100], v[105:106]
	v_fma_f64 v[99:100], v[101:102], v[97:98], v[99:100]
	s_waitcnt vmcnt(2)
	v_add_f64 v[69:70], v[69:70], -v[103:104]
	s_waitcnt vmcnt(0)
	v_add_f64 v[71:72], v[71:72], -v[99:100]
	buffer_store_dword v69, off, s[20:23], 0 ; 4-byte Folded Spill
	s_nop 0
	buffer_store_dword v70, off, s[20:23], 0 offset:4 ; 4-byte Folded Spill
	buffer_store_dword v71, off, s[20:23], 0 offset:8 ; 4-byte Folded Spill
	;; [unrolled: 1-line block ×3, first 2 shown]
	ds_read2_b64 v[99:102], v125 offset0:58 offset1:59
	s_waitcnt lgkmcnt(0)
	v_mul_f64 v[103:104], v[101:102], v[105:106]
	v_fma_f64 v[103:104], v[99:100], v[97:98], -v[103:104]
	v_mul_f64 v[99:100], v[99:100], v[105:106]
	v_add_f64 v[65:66], v[65:66], -v[103:104]
	v_fma_f64 v[99:100], v[101:102], v[97:98], v[99:100]
	v_add_f64 v[67:68], v[67:68], -v[99:100]
	ds_read2_b64 v[99:102], v125 offset0:60 offset1:61
	s_waitcnt lgkmcnt(0)
	v_mul_f64 v[103:104], v[101:102], v[105:106]
	v_fma_f64 v[103:104], v[99:100], v[97:98], -v[103:104]
	v_mul_f64 v[99:100], v[99:100], v[105:106]
	v_add_f64 v[61:62], v[61:62], -v[103:104]
	v_fma_f64 v[99:100], v[101:102], v[97:98], v[99:100]
	v_add_f64 v[63:64], v[63:64], -v[99:100]
	;; [unrolled: 8-line block ×16, first 2 shown]
	ds_read2_b64 v[99:102], v125 offset0:90 offset1:91
	s_waitcnt lgkmcnt(0)
	v_mul_f64 v[103:104], v[101:102], v[105:106]
	v_fma_f64 v[103:104], v[99:100], v[97:98], -v[103:104]
	v_mul_f64 v[99:100], v[99:100], v[105:106]
	v_add_f64 v[1:2], v[1:2], -v[103:104]
	v_fma_f64 v[99:100], v[101:102], v[97:98], v[99:100]
	ds_read2_b64 v[101:104], v125 offset0:92 offset1:93
	v_add_f64 v[3:4], v[3:4], -v[99:100]
	s_waitcnt lgkmcnt(0)
	v_mul_f64 v[99:100], v[103:104], v[105:106]
	v_fma_f64 v[99:100], v[101:102], v[97:98], -v[99:100]
	v_mul_f64 v[101:102], v[101:102], v[105:106]
	v_add_f64 v[73:74], v[73:74], -v[99:100]
	v_fma_f64 v[101:102], v[103:104], v[97:98], v[101:102]
	v_mov_b32_e32 v104, v98
	v_mov_b32_e32 v103, v97
	buffer_store_dword v103, off, s[20:23], 0 offset:320 ; 4-byte Folded Spill
	s_nop 0
	buffer_store_dword v104, off, s[20:23], 0 offset:324 ; 4-byte Folded Spill
	buffer_store_dword v105, off, s[20:23], 0 offset:328 ; 4-byte Folded Spill
	;; [unrolled: 1-line block ×3, first 2 shown]
	v_add_f64 v[75:76], v[75:76], -v[101:102]
.LBB93_37:
	s_or_b64 exec, exec, s[2:3]
	v_cmp_eq_u32_e32 vcc, 4, v0
	s_waitcnt vmcnt(0)
	s_barrier
	s_and_saveexec_b64 s[4:5], vcc
	s_cbranch_execz .LBB93_44
; %bb.38:
	buffer_load_dword v69, off, s[20:23], 0 offset:304 ; 4-byte Folded Reload
	buffer_load_dword v70, off, s[20:23], 0 offset:308 ; 4-byte Folded Reload
	;; [unrolled: 1-line block ×4, first 2 shown]
	s_waitcnt vmcnt(0)
	ds_write2_b64 v127, v[69:70], v[71:72] offset1:1
	buffer_load_dword v69, off, s[20:23], 0 offset:288 ; 4-byte Folded Reload
	buffer_load_dword v70, off, s[20:23], 0 offset:292 ; 4-byte Folded Reload
	buffer_load_dword v71, off, s[20:23], 0 offset:296 ; 4-byte Folded Reload
	buffer_load_dword v72, off, s[20:23], 0 offset:300 ; 4-byte Folded Reload
	s_waitcnt vmcnt(0)
	ds_write2_b64 v125, v[69:70], v[71:72] offset0:10 offset1:11
	buffer_load_dword v69, off, s[20:23], 0 offset:272 ; 4-byte Folded Reload
	buffer_load_dword v70, off, s[20:23], 0 offset:276 ; 4-byte Folded Reload
	buffer_load_dword v71, off, s[20:23], 0 offset:280 ; 4-byte Folded Reload
	buffer_load_dword v72, off, s[20:23], 0 offset:284 ; 4-byte Folded Reload
	s_waitcnt vmcnt(0)
	ds_write2_b64 v125, v[69:70], v[71:72] offset0:12 offset1:13
	buffer_load_dword v69, off, s[20:23], 0 offset:256 ; 4-byte Folded Reload
	buffer_load_dword v70, off, s[20:23], 0 offset:260 ; 4-byte Folded Reload
	buffer_load_dword v71, off, s[20:23], 0 offset:264 ; 4-byte Folded Reload
	buffer_load_dword v72, off, s[20:23], 0 offset:268 ; 4-byte Folded Reload
	s_waitcnt vmcnt(0)
	ds_write2_b64 v125, v[69:70], v[71:72] offset0:14 offset1:15
	buffer_load_dword v69, off, s[20:23], 0 offset:240 ; 4-byte Folded Reload
	buffer_load_dword v70, off, s[20:23], 0 offset:244 ; 4-byte Folded Reload
	buffer_load_dword v71, off, s[20:23], 0 offset:248 ; 4-byte Folded Reload
	buffer_load_dword v72, off, s[20:23], 0 offset:252 ; 4-byte Folded Reload
	s_waitcnt vmcnt(0)
	ds_write2_b64 v125, v[69:70], v[71:72] offset0:16 offset1:17
	buffer_load_dword v69, off, s[20:23], 0 offset:224 ; 4-byte Folded Reload
	buffer_load_dword v70, off, s[20:23], 0 offset:228 ; 4-byte Folded Reload
	buffer_load_dword v71, off, s[20:23], 0 offset:232 ; 4-byte Folded Reload
	buffer_load_dword v72, off, s[20:23], 0 offset:236 ; 4-byte Folded Reload
	s_waitcnt vmcnt(0)
	ds_write2_b64 v125, v[69:70], v[71:72] offset0:18 offset1:19
	buffer_load_dword v69, off, s[20:23], 0 offset:208 ; 4-byte Folded Reload
	buffer_load_dword v70, off, s[20:23], 0 offset:212 ; 4-byte Folded Reload
	buffer_load_dword v71, off, s[20:23], 0 offset:216 ; 4-byte Folded Reload
	buffer_load_dword v72, off, s[20:23], 0 offset:220 ; 4-byte Folded Reload
	s_waitcnt vmcnt(0)
	ds_write2_b64 v125, v[69:70], v[71:72] offset0:20 offset1:21
	buffer_load_dword v69, off, s[20:23], 0 offset:192 ; 4-byte Folded Reload
	buffer_load_dword v70, off, s[20:23], 0 offset:196 ; 4-byte Folded Reload
	buffer_load_dword v71, off, s[20:23], 0 offset:200 ; 4-byte Folded Reload
	buffer_load_dword v72, off, s[20:23], 0 offset:204 ; 4-byte Folded Reload
	s_waitcnt vmcnt(0)
	ds_write2_b64 v125, v[69:70], v[71:72] offset0:22 offset1:23
	buffer_load_dword v69, off, s[20:23], 0 offset:176 ; 4-byte Folded Reload
	buffer_load_dword v70, off, s[20:23], 0 offset:180 ; 4-byte Folded Reload
	buffer_load_dword v71, off, s[20:23], 0 offset:184 ; 4-byte Folded Reload
	buffer_load_dword v72, off, s[20:23], 0 offset:188 ; 4-byte Folded Reload
	s_waitcnt vmcnt(0)
	ds_write2_b64 v125, v[69:70], v[71:72] offset0:24 offset1:25
	buffer_load_dword v69, off, s[20:23], 0 offset:160 ; 4-byte Folded Reload
	buffer_load_dword v70, off, s[20:23], 0 offset:164 ; 4-byte Folded Reload
	buffer_load_dword v71, off, s[20:23], 0 offset:168 ; 4-byte Folded Reload
	buffer_load_dword v72, off, s[20:23], 0 offset:172 ; 4-byte Folded Reload
	s_waitcnt vmcnt(0)
	ds_write2_b64 v125, v[69:70], v[71:72] offset0:26 offset1:27
	buffer_load_dword v69, off, s[20:23], 0 offset:144 ; 4-byte Folded Reload
	buffer_load_dword v70, off, s[20:23], 0 offset:148 ; 4-byte Folded Reload
	buffer_load_dword v71, off, s[20:23], 0 offset:152 ; 4-byte Folded Reload
	buffer_load_dword v72, off, s[20:23], 0 offset:156 ; 4-byte Folded Reload
	s_waitcnt vmcnt(0)
	ds_write2_b64 v125, v[69:70], v[71:72] offset0:28 offset1:29
	buffer_load_dword v69, off, s[20:23], 0 offset:128 ; 4-byte Folded Reload
	buffer_load_dword v70, off, s[20:23], 0 offset:132 ; 4-byte Folded Reload
	buffer_load_dword v71, off, s[20:23], 0 offset:136 ; 4-byte Folded Reload
	buffer_load_dword v72, off, s[20:23], 0 offset:140 ; 4-byte Folded Reload
	s_waitcnt vmcnt(0)
	ds_write2_b64 v125, v[69:70], v[71:72] offset0:30 offset1:31
	buffer_load_dword v69, off, s[20:23], 0 offset:112 ; 4-byte Folded Reload
	buffer_load_dword v70, off, s[20:23], 0 offset:116 ; 4-byte Folded Reload
	buffer_load_dword v71, off, s[20:23], 0 offset:120 ; 4-byte Folded Reload
	buffer_load_dword v72, off, s[20:23], 0 offset:124 ; 4-byte Folded Reload
	s_waitcnt vmcnt(0)
	ds_write2_b64 v125, v[69:70], v[71:72] offset0:32 offset1:33
	buffer_load_dword v69, off, s[20:23], 0 offset:96 ; 4-byte Folded Reload
	buffer_load_dword v70, off, s[20:23], 0 offset:100 ; 4-byte Folded Reload
	buffer_load_dword v71, off, s[20:23], 0 offset:104 ; 4-byte Folded Reload
	buffer_load_dword v72, off, s[20:23], 0 offset:108 ; 4-byte Folded Reload
	s_waitcnt vmcnt(0)
	ds_write2_b64 v125, v[69:70], v[71:72] offset0:34 offset1:35
	buffer_load_dword v69, off, s[20:23], 0 offset:80 ; 4-byte Folded Reload
	buffer_load_dword v70, off, s[20:23], 0 offset:84 ; 4-byte Folded Reload
	buffer_load_dword v71, off, s[20:23], 0 offset:88 ; 4-byte Folded Reload
	buffer_load_dword v72, off, s[20:23], 0 offset:92 ; 4-byte Folded Reload
	s_waitcnt vmcnt(0)
	ds_write2_b64 v125, v[69:70], v[71:72] offset0:36 offset1:37
	buffer_load_dword v69, off, s[20:23], 0 offset:64 ; 4-byte Folded Reload
	buffer_load_dword v70, off, s[20:23], 0 offset:68 ; 4-byte Folded Reload
	buffer_load_dword v71, off, s[20:23], 0 offset:72 ; 4-byte Folded Reload
	buffer_load_dword v72, off, s[20:23], 0 offset:76 ; 4-byte Folded Reload
	s_waitcnt vmcnt(0)
	ds_write2_b64 v125, v[69:70], v[71:72] offset0:38 offset1:39
	buffer_load_dword v69, off, s[20:23], 0 offset:48 ; 4-byte Folded Reload
	buffer_load_dword v70, off, s[20:23], 0 offset:52 ; 4-byte Folded Reload
	buffer_load_dword v71, off, s[20:23], 0 offset:56 ; 4-byte Folded Reload
	buffer_load_dword v72, off, s[20:23], 0 offset:60 ; 4-byte Folded Reload
	s_waitcnt vmcnt(0)
	ds_write2_b64 v125, v[69:70], v[71:72] offset0:40 offset1:41
	ds_write2_b64 v125, v[121:122], v[123:124] offset0:42 offset1:43
	ds_write2_b64 v125, v[117:118], v[119:120] offset0:44 offset1:45
	;; [unrolled: 1-line block ×5, first 2 shown]
	buffer_load_dword v77, off, s[20:23], 0 offset:32 ; 4-byte Folded Reload
	buffer_load_dword v78, off, s[20:23], 0 offset:36 ; 4-byte Folded Reload
	;; [unrolled: 1-line block ×4, first 2 shown]
	v_mov_b32_e32 v69, v73
	v_mov_b32_e32 v70, v74
	;; [unrolled: 1-line block ×4, first 2 shown]
	s_waitcnt vmcnt(0)
	ds_write2_b64 v125, v[77:78], v[79:80] offset0:52 offset1:53
	buffer_load_dword v73, off, s[20:23], 0 offset:16 ; 4-byte Folded Reload
	buffer_load_dword v74, off, s[20:23], 0 offset:20 ; 4-byte Folded Reload
	;; [unrolled: 1-line block ×4, first 2 shown]
	s_waitcnt vmcnt(0)
	ds_write2_b64 v125, v[73:74], v[75:76] offset0:54 offset1:55
	v_mov_b32_e32 v76, v72
	v_mov_b32_e32 v75, v71
	;; [unrolled: 1-line block ×4, first 2 shown]
	buffer_load_dword v69, off, s[20:23], 0 ; 4-byte Folded Reload
	buffer_load_dword v70, off, s[20:23], 0 offset:4 ; 4-byte Folded Reload
	buffer_load_dword v71, off, s[20:23], 0 offset:8 ; 4-byte Folded Reload
	;; [unrolled: 1-line block ×3, first 2 shown]
	s_waitcnt vmcnt(0)
	ds_write2_b64 v125, v[69:70], v[71:72] offset0:56 offset1:57
	ds_write2_b64 v125, v[65:66], v[67:68] offset0:58 offset1:59
	;; [unrolled: 1-line block ×19, first 2 shown]
	ds_read2_b64 v[97:100], v127 offset1:1
	s_waitcnt lgkmcnt(0)
	v_cmp_neq_f64_e32 vcc, 0, v[97:98]
	v_cmp_neq_f64_e64 s[2:3], 0, v[99:100]
	s_or_b64 s[2:3], vcc, s[2:3]
	s_and_b64 exec, exec, s[2:3]
	s_cbranch_execz .LBB93_44
; %bb.39:
	v_cmp_ngt_f64_e64 s[2:3], |v[97:98]|, |v[99:100]|
                                        ; implicit-def: $vgpr101_vgpr102
	s_and_saveexec_b64 s[6:7], s[2:3]
	s_xor_b64 s[2:3], exec, s[6:7]
                                        ; implicit-def: $vgpr103_vgpr104
	s_cbranch_execz .LBB93_41
; %bb.40:
	v_div_scale_f64 v[101:102], s[6:7], v[99:100], v[99:100], v[97:98]
	v_rcp_f64_e32 v[103:104], v[101:102]
	v_fma_f64 v[105:106], -v[101:102], v[103:104], 1.0
	v_fma_f64 v[103:104], v[103:104], v[105:106], v[103:104]
	v_div_scale_f64 v[105:106], vcc, v[97:98], v[99:100], v[97:98]
	v_fma_f64 v[107:108], -v[101:102], v[103:104], 1.0
	v_fma_f64 v[103:104], v[103:104], v[107:108], v[103:104]
	v_mul_f64 v[107:108], v[105:106], v[103:104]
	v_fma_f64 v[101:102], -v[101:102], v[107:108], v[105:106]
	v_div_fmas_f64 v[101:102], v[101:102], v[103:104], v[107:108]
	v_div_fixup_f64 v[101:102], v[101:102], v[99:100], v[97:98]
	v_fma_f64 v[97:98], v[97:98], v[101:102], v[99:100]
	v_div_scale_f64 v[99:100], s[6:7], v[97:98], v[97:98], 1.0
	v_div_scale_f64 v[107:108], vcc, 1.0, v[97:98], 1.0
	v_rcp_f64_e32 v[103:104], v[99:100]
	v_fma_f64 v[105:106], -v[99:100], v[103:104], 1.0
	v_fma_f64 v[103:104], v[103:104], v[105:106], v[103:104]
	v_fma_f64 v[105:106], -v[99:100], v[103:104], 1.0
	v_fma_f64 v[103:104], v[103:104], v[105:106], v[103:104]
	v_mul_f64 v[105:106], v[107:108], v[103:104]
	v_fma_f64 v[99:100], -v[99:100], v[105:106], v[107:108]
	v_div_fmas_f64 v[99:100], v[99:100], v[103:104], v[105:106]
	v_div_fixup_f64 v[103:104], v[99:100], v[97:98], 1.0
                                        ; implicit-def: $vgpr97_vgpr98
	v_mul_f64 v[101:102], v[101:102], v[103:104]
	v_xor_b32_e32 v104, 0x80000000, v104
.LBB93_41:
	s_andn2_saveexec_b64 s[2:3], s[2:3]
	s_cbranch_execz .LBB93_43
; %bb.42:
	v_div_scale_f64 v[101:102], s[6:7], v[97:98], v[97:98], v[99:100]
	v_rcp_f64_e32 v[103:104], v[101:102]
	v_fma_f64 v[105:106], -v[101:102], v[103:104], 1.0
	v_fma_f64 v[103:104], v[103:104], v[105:106], v[103:104]
	v_div_scale_f64 v[105:106], vcc, v[99:100], v[97:98], v[99:100]
	v_fma_f64 v[107:108], -v[101:102], v[103:104], 1.0
	v_fma_f64 v[103:104], v[103:104], v[107:108], v[103:104]
	v_mul_f64 v[107:108], v[105:106], v[103:104]
	v_fma_f64 v[101:102], -v[101:102], v[107:108], v[105:106]
	v_div_fmas_f64 v[101:102], v[101:102], v[103:104], v[107:108]
	v_div_fixup_f64 v[103:104], v[101:102], v[97:98], v[99:100]
	v_fma_f64 v[97:98], v[99:100], v[103:104], v[97:98]
	v_div_scale_f64 v[99:100], s[6:7], v[97:98], v[97:98], 1.0
	v_div_scale_f64 v[107:108], vcc, 1.0, v[97:98], 1.0
	v_rcp_f64_e32 v[101:102], v[99:100]
	v_fma_f64 v[105:106], -v[99:100], v[101:102], 1.0
	v_fma_f64 v[101:102], v[101:102], v[105:106], v[101:102]
	v_fma_f64 v[105:106], -v[99:100], v[101:102], 1.0
	v_fma_f64 v[101:102], v[101:102], v[105:106], v[101:102]
	v_mul_f64 v[105:106], v[107:108], v[101:102]
	v_fma_f64 v[99:100], -v[99:100], v[105:106], v[107:108]
	v_div_fmas_f64 v[99:100], v[99:100], v[101:102], v[105:106]
	v_div_fixup_f64 v[101:102], v[99:100], v[97:98], 1.0
	v_mul_f64 v[103:104], v[103:104], -v[101:102]
.LBB93_43:
	s_or_b64 exec, exec, s[2:3]
	ds_write2_b64 v127, v[101:102], v[103:104] offset1:1
.LBB93_44:
	s_or_b64 exec, exec, s[4:5]
	s_waitcnt lgkmcnt(0)
	s_barrier
	ds_read2_b64 v[69:72], v127 offset1:1
	v_cmp_lt_u32_e32 vcc, 4, v0
	s_waitcnt lgkmcnt(0)
	buffer_store_dword v69, off, s[20:23], 0 offset:816 ; 4-byte Folded Spill
	s_nop 0
	buffer_store_dword v70, off, s[20:23], 0 offset:820 ; 4-byte Folded Spill
	buffer_store_dword v71, off, s[20:23], 0 offset:824 ; 4-byte Folded Spill
	;; [unrolled: 1-line block ×3, first 2 shown]
	s_and_saveexec_b64 s[2:3], vcc
	s_cbranch_execz .LBB93_46
; %bb.45:
	buffer_load_dword v103, off, s[20:23], 0 offset:304 ; 4-byte Folded Reload
	buffer_load_dword v104, off, s[20:23], 0 offset:308 ; 4-byte Folded Reload
	;; [unrolled: 1-line block ×8, first 2 shown]
	s_waitcnt vmcnt(2)
	v_mul_f64 v[99:100], v[69:70], v[105:106]
	s_waitcnt vmcnt(0)
	v_mul_f64 v[97:98], v[71:72], v[105:106]
	v_fma_f64 v[105:106], v[71:72], v[103:104], v[99:100]
	ds_read2_b64 v[99:102], v125 offset0:10 offset1:11
	v_fma_f64 v[97:98], v[69:70], v[103:104], -v[97:98]
	buffer_load_dword v69, off, s[20:23], 0 offset:288 ; 4-byte Folded Reload
	buffer_load_dword v70, off, s[20:23], 0 offset:292 ; 4-byte Folded Reload
	buffer_load_dword v71, off, s[20:23], 0 offset:296 ; 4-byte Folded Reload
	buffer_load_dword v72, off, s[20:23], 0 offset:300 ; 4-byte Folded Reload
	s_waitcnt lgkmcnt(0)
	v_mul_f64 v[103:104], v[101:102], v[105:106]
	v_fma_f64 v[103:104], v[99:100], v[97:98], -v[103:104]
	v_mul_f64 v[99:100], v[99:100], v[105:106]
	v_fma_f64 v[99:100], v[101:102], v[97:98], v[99:100]
	s_waitcnt vmcnt(2)
	v_add_f64 v[69:70], v[69:70], -v[103:104]
	s_waitcnt vmcnt(0)
	v_add_f64 v[71:72], v[71:72], -v[99:100]
	buffer_store_dword v69, off, s[20:23], 0 offset:288 ; 4-byte Folded Spill
	s_nop 0
	buffer_store_dword v70, off, s[20:23], 0 offset:292 ; 4-byte Folded Spill
	buffer_store_dword v71, off, s[20:23], 0 offset:296 ; 4-byte Folded Spill
	buffer_store_dword v72, off, s[20:23], 0 offset:300 ; 4-byte Folded Spill
	ds_read2_b64 v[99:102], v125 offset0:12 offset1:13
	buffer_load_dword v69, off, s[20:23], 0 offset:272 ; 4-byte Folded Reload
	buffer_load_dword v70, off, s[20:23], 0 offset:276 ; 4-byte Folded Reload
	buffer_load_dword v71, off, s[20:23], 0 offset:280 ; 4-byte Folded Reload
	buffer_load_dword v72, off, s[20:23], 0 offset:284 ; 4-byte Folded Reload
	s_waitcnt lgkmcnt(0)
	v_mul_f64 v[103:104], v[101:102], v[105:106]
	v_fma_f64 v[103:104], v[99:100], v[97:98], -v[103:104]
	v_mul_f64 v[99:100], v[99:100], v[105:106]
	v_fma_f64 v[99:100], v[101:102], v[97:98], v[99:100]
	s_waitcnt vmcnt(2)
	v_add_f64 v[69:70], v[69:70], -v[103:104]
	s_waitcnt vmcnt(0)
	v_add_f64 v[71:72], v[71:72], -v[99:100]
	buffer_store_dword v69, off, s[20:23], 0 offset:272 ; 4-byte Folded Spill
	s_nop 0
	buffer_store_dword v70, off, s[20:23], 0 offset:276 ; 4-byte Folded Spill
	buffer_store_dword v71, off, s[20:23], 0 offset:280 ; 4-byte Folded Spill
	buffer_store_dword v72, off, s[20:23], 0 offset:284 ; 4-byte Folded Spill
	ds_read2_b64 v[99:102], v125 offset0:14 offset1:15
	;; [unrolled: 19-line block ×16, first 2 shown]
	v_mov_b32_e32 v69, v73
	v_mov_b32_e32 v70, v74
	;; [unrolled: 1-line block ×4, first 2 shown]
	s_waitcnt lgkmcnt(0)
	v_mul_f64 v[103:104], v[101:102], v[105:106]
	v_fma_f64 v[103:104], v[99:100], v[97:98], -v[103:104]
	v_mul_f64 v[99:100], v[99:100], v[105:106]
	v_add_f64 v[121:122], v[121:122], -v[103:104]
	v_fma_f64 v[99:100], v[101:102], v[97:98], v[99:100]
	v_add_f64 v[123:124], v[123:124], -v[99:100]
	ds_read2_b64 v[99:102], v125 offset0:44 offset1:45
	s_waitcnt lgkmcnt(0)
	v_mul_f64 v[103:104], v[101:102], v[105:106]
	v_fma_f64 v[103:104], v[99:100], v[97:98], -v[103:104]
	v_mul_f64 v[99:100], v[99:100], v[105:106]
	v_add_f64 v[117:118], v[117:118], -v[103:104]
	v_fma_f64 v[99:100], v[101:102], v[97:98], v[99:100]
	v_add_f64 v[119:120], v[119:120], -v[99:100]
	ds_read2_b64 v[99:102], v125 offset0:46 offset1:47
	s_waitcnt lgkmcnt(0)
	v_mul_f64 v[103:104], v[101:102], v[105:106]
	v_fma_f64 v[103:104], v[99:100], v[97:98], -v[103:104]
	v_mul_f64 v[99:100], v[99:100], v[105:106]
	v_add_f64 v[109:110], v[109:110], -v[103:104]
	v_fma_f64 v[99:100], v[101:102], v[97:98], v[99:100]
	v_add_f64 v[111:112], v[111:112], -v[99:100]
	ds_read2_b64 v[99:102], v125 offset0:48 offset1:49
	s_waitcnt lgkmcnt(0)
	v_mul_f64 v[103:104], v[101:102], v[105:106]
	v_fma_f64 v[103:104], v[99:100], v[97:98], -v[103:104]
	v_mul_f64 v[99:100], v[99:100], v[105:106]
	v_add_f64 v[113:114], v[113:114], -v[103:104]
	v_fma_f64 v[99:100], v[101:102], v[97:98], v[99:100]
	v_add_f64 v[115:116], v[115:116], -v[99:100]
	ds_read2_b64 v[99:102], v125 offset0:50 offset1:51
	s_waitcnt lgkmcnt(0)
	v_mul_f64 v[103:104], v[101:102], v[105:106]
	v_fma_f64 v[103:104], v[99:100], v[97:98], -v[103:104]
	v_mul_f64 v[99:100], v[99:100], v[105:106]
	v_add_f64 v[93:94], v[93:94], -v[103:104]
	v_fma_f64 v[99:100], v[101:102], v[97:98], v[99:100]
	v_add_f64 v[95:96], v[95:96], -v[99:100]
	ds_read2_b64 v[99:102], v125 offset0:52 offset1:53
	buffer_load_dword v77, off, s[20:23], 0 offset:32 ; 4-byte Folded Reload
	buffer_load_dword v78, off, s[20:23], 0 offset:36 ; 4-byte Folded Reload
	;; [unrolled: 1-line block ×4, first 2 shown]
	s_waitcnt lgkmcnt(0)
	v_mul_f64 v[103:104], v[101:102], v[105:106]
	v_fma_f64 v[103:104], v[99:100], v[97:98], -v[103:104]
	v_mul_f64 v[99:100], v[99:100], v[105:106]
	v_fma_f64 v[99:100], v[101:102], v[97:98], v[99:100]
	s_waitcnt vmcnt(2)
	v_add_f64 v[77:78], v[77:78], -v[103:104]
	s_waitcnt vmcnt(0)
	v_add_f64 v[79:80], v[79:80], -v[99:100]
	buffer_store_dword v77, off, s[20:23], 0 offset:32 ; 4-byte Folded Spill
	s_nop 0
	buffer_store_dword v78, off, s[20:23], 0 offset:36 ; 4-byte Folded Spill
	buffer_store_dword v79, off, s[20:23], 0 offset:40 ; 4-byte Folded Spill
	;; [unrolled: 1-line block ×3, first 2 shown]
	ds_read2_b64 v[99:102], v125 offset0:54 offset1:55
	buffer_load_dword v73, off, s[20:23], 0 offset:16 ; 4-byte Folded Reload
	buffer_load_dword v74, off, s[20:23], 0 offset:20 ; 4-byte Folded Reload
	;; [unrolled: 1-line block ×4, first 2 shown]
	s_waitcnt lgkmcnt(0)
	v_mul_f64 v[103:104], v[101:102], v[105:106]
	v_fma_f64 v[103:104], v[99:100], v[97:98], -v[103:104]
	v_mul_f64 v[99:100], v[99:100], v[105:106]
	v_fma_f64 v[99:100], v[101:102], v[97:98], v[99:100]
	s_waitcnt vmcnt(2)
	v_add_f64 v[73:74], v[73:74], -v[103:104]
	s_waitcnt vmcnt(0)
	v_add_f64 v[75:76], v[75:76], -v[99:100]
	buffer_store_dword v73, off, s[20:23], 0 offset:16 ; 4-byte Folded Spill
	s_nop 0
	buffer_store_dword v74, off, s[20:23], 0 offset:20 ; 4-byte Folded Spill
	buffer_store_dword v75, off, s[20:23], 0 offset:24 ; 4-byte Folded Spill
	;; [unrolled: 1-line block ×3, first 2 shown]
	v_mov_b32_e32 v76, v72
	v_mov_b32_e32 v75, v71
	;; [unrolled: 1-line block ×4, first 2 shown]
	ds_read2_b64 v[99:102], v125 offset0:56 offset1:57
	buffer_load_dword v69, off, s[20:23], 0 ; 4-byte Folded Reload
	buffer_load_dword v70, off, s[20:23], 0 offset:4 ; 4-byte Folded Reload
	buffer_load_dword v71, off, s[20:23], 0 offset:8 ; 4-byte Folded Reload
	;; [unrolled: 1-line block ×3, first 2 shown]
	s_waitcnt lgkmcnt(0)
	v_mul_f64 v[103:104], v[101:102], v[105:106]
	v_fma_f64 v[103:104], v[99:100], v[97:98], -v[103:104]
	v_mul_f64 v[99:100], v[99:100], v[105:106]
	v_fma_f64 v[99:100], v[101:102], v[97:98], v[99:100]
	s_waitcnt vmcnt(2)
	v_add_f64 v[69:70], v[69:70], -v[103:104]
	s_waitcnt vmcnt(0)
	v_add_f64 v[71:72], v[71:72], -v[99:100]
	buffer_store_dword v69, off, s[20:23], 0 ; 4-byte Folded Spill
	s_nop 0
	buffer_store_dword v70, off, s[20:23], 0 offset:4 ; 4-byte Folded Spill
	buffer_store_dword v71, off, s[20:23], 0 offset:8 ; 4-byte Folded Spill
	;; [unrolled: 1-line block ×3, first 2 shown]
	ds_read2_b64 v[99:102], v125 offset0:58 offset1:59
	s_waitcnt lgkmcnt(0)
	v_mul_f64 v[103:104], v[101:102], v[105:106]
	v_fma_f64 v[103:104], v[99:100], v[97:98], -v[103:104]
	v_mul_f64 v[99:100], v[99:100], v[105:106]
	v_add_f64 v[65:66], v[65:66], -v[103:104]
	v_fma_f64 v[99:100], v[101:102], v[97:98], v[99:100]
	v_add_f64 v[67:68], v[67:68], -v[99:100]
	ds_read2_b64 v[99:102], v125 offset0:60 offset1:61
	s_waitcnt lgkmcnt(0)
	v_mul_f64 v[103:104], v[101:102], v[105:106]
	v_fma_f64 v[103:104], v[99:100], v[97:98], -v[103:104]
	v_mul_f64 v[99:100], v[99:100], v[105:106]
	v_add_f64 v[61:62], v[61:62], -v[103:104]
	v_fma_f64 v[99:100], v[101:102], v[97:98], v[99:100]
	v_add_f64 v[63:64], v[63:64], -v[99:100]
	;; [unrolled: 8-line block ×17, first 2 shown]
	ds_read2_b64 v[99:102], v125 offset0:92 offset1:93
	s_waitcnt lgkmcnt(0)
	v_mul_f64 v[103:104], v[101:102], v[105:106]
	v_fma_f64 v[103:104], v[99:100], v[97:98], -v[103:104]
	v_mul_f64 v[99:100], v[99:100], v[105:106]
	v_add_f64 v[73:74], v[73:74], -v[103:104]
	v_fma_f64 v[99:100], v[101:102], v[97:98], v[99:100]
	v_mov_b32_e32 v104, v98
	v_mov_b32_e32 v103, v97
	buffer_store_dword v103, off, s[20:23], 0 offset:304 ; 4-byte Folded Spill
	s_nop 0
	buffer_store_dword v104, off, s[20:23], 0 offset:308 ; 4-byte Folded Spill
	buffer_store_dword v105, off, s[20:23], 0 offset:312 ; 4-byte Folded Spill
	;; [unrolled: 1-line block ×3, first 2 shown]
	v_add_f64 v[75:76], v[75:76], -v[99:100]
.LBB93_46:
	s_or_b64 exec, exec, s[2:3]
	v_cmp_eq_u32_e32 vcc, 5, v0
	s_waitcnt vmcnt(0)
	s_barrier
	s_and_saveexec_b64 s[4:5], vcc
	s_cbranch_execz .LBB93_53
; %bb.47:
	buffer_load_dword v69, off, s[20:23], 0 offset:288 ; 4-byte Folded Reload
	buffer_load_dword v70, off, s[20:23], 0 offset:292 ; 4-byte Folded Reload
	;; [unrolled: 1-line block ×4, first 2 shown]
	s_waitcnt vmcnt(0)
	ds_write2_b64 v127, v[69:70], v[71:72] offset1:1
	buffer_load_dword v69, off, s[20:23], 0 offset:272 ; 4-byte Folded Reload
	buffer_load_dword v70, off, s[20:23], 0 offset:276 ; 4-byte Folded Reload
	buffer_load_dword v71, off, s[20:23], 0 offset:280 ; 4-byte Folded Reload
	buffer_load_dword v72, off, s[20:23], 0 offset:284 ; 4-byte Folded Reload
	s_waitcnt vmcnt(0)
	ds_write2_b64 v125, v[69:70], v[71:72] offset0:12 offset1:13
	buffer_load_dword v69, off, s[20:23], 0 offset:256 ; 4-byte Folded Reload
	buffer_load_dword v70, off, s[20:23], 0 offset:260 ; 4-byte Folded Reload
	buffer_load_dword v71, off, s[20:23], 0 offset:264 ; 4-byte Folded Reload
	buffer_load_dword v72, off, s[20:23], 0 offset:268 ; 4-byte Folded Reload
	s_waitcnt vmcnt(0)
	ds_write2_b64 v125, v[69:70], v[71:72] offset0:14 offset1:15
	;; [unrolled: 6-line block ×15, first 2 shown]
	ds_write2_b64 v125, v[121:122], v[123:124] offset0:42 offset1:43
	ds_write2_b64 v125, v[117:118], v[119:120] offset0:44 offset1:45
	;; [unrolled: 1-line block ×5, first 2 shown]
	buffer_load_dword v77, off, s[20:23], 0 offset:32 ; 4-byte Folded Reload
	buffer_load_dword v78, off, s[20:23], 0 offset:36 ; 4-byte Folded Reload
	;; [unrolled: 1-line block ×4, first 2 shown]
	v_mov_b32_e32 v69, v73
	v_mov_b32_e32 v70, v74
	;; [unrolled: 1-line block ×4, first 2 shown]
	s_waitcnt vmcnt(0)
	ds_write2_b64 v125, v[77:78], v[79:80] offset0:52 offset1:53
	buffer_load_dword v73, off, s[20:23], 0 offset:16 ; 4-byte Folded Reload
	buffer_load_dword v74, off, s[20:23], 0 offset:20 ; 4-byte Folded Reload
	;; [unrolled: 1-line block ×4, first 2 shown]
	s_waitcnt vmcnt(0)
	ds_write2_b64 v125, v[73:74], v[75:76] offset0:54 offset1:55
	v_mov_b32_e32 v76, v72
	v_mov_b32_e32 v75, v71
	;; [unrolled: 1-line block ×4, first 2 shown]
	buffer_load_dword v69, off, s[20:23], 0 ; 4-byte Folded Reload
	buffer_load_dword v70, off, s[20:23], 0 offset:4 ; 4-byte Folded Reload
	buffer_load_dword v71, off, s[20:23], 0 offset:8 ; 4-byte Folded Reload
	;; [unrolled: 1-line block ×3, first 2 shown]
	s_waitcnt vmcnt(0)
	ds_write2_b64 v125, v[69:70], v[71:72] offset0:56 offset1:57
	ds_write2_b64 v125, v[65:66], v[67:68] offset0:58 offset1:59
	;; [unrolled: 1-line block ×19, first 2 shown]
	ds_read2_b64 v[97:100], v127 offset1:1
	s_waitcnt lgkmcnt(0)
	v_cmp_neq_f64_e32 vcc, 0, v[97:98]
	v_cmp_neq_f64_e64 s[2:3], 0, v[99:100]
	s_or_b64 s[2:3], vcc, s[2:3]
	s_and_b64 exec, exec, s[2:3]
	s_cbranch_execz .LBB93_53
; %bb.48:
	v_cmp_ngt_f64_e64 s[2:3], |v[97:98]|, |v[99:100]|
                                        ; implicit-def: $vgpr101_vgpr102
	s_and_saveexec_b64 s[6:7], s[2:3]
	s_xor_b64 s[2:3], exec, s[6:7]
                                        ; implicit-def: $vgpr103_vgpr104
	s_cbranch_execz .LBB93_50
; %bb.49:
	v_div_scale_f64 v[101:102], s[6:7], v[99:100], v[99:100], v[97:98]
	v_rcp_f64_e32 v[103:104], v[101:102]
	v_fma_f64 v[105:106], -v[101:102], v[103:104], 1.0
	v_fma_f64 v[103:104], v[103:104], v[105:106], v[103:104]
	v_div_scale_f64 v[105:106], vcc, v[97:98], v[99:100], v[97:98]
	v_fma_f64 v[107:108], -v[101:102], v[103:104], 1.0
	v_fma_f64 v[103:104], v[103:104], v[107:108], v[103:104]
	v_mul_f64 v[107:108], v[105:106], v[103:104]
	v_fma_f64 v[101:102], -v[101:102], v[107:108], v[105:106]
	v_div_fmas_f64 v[101:102], v[101:102], v[103:104], v[107:108]
	v_div_fixup_f64 v[101:102], v[101:102], v[99:100], v[97:98]
	v_fma_f64 v[97:98], v[97:98], v[101:102], v[99:100]
	v_div_scale_f64 v[99:100], s[6:7], v[97:98], v[97:98], 1.0
	v_div_scale_f64 v[107:108], vcc, 1.0, v[97:98], 1.0
	v_rcp_f64_e32 v[103:104], v[99:100]
	v_fma_f64 v[105:106], -v[99:100], v[103:104], 1.0
	v_fma_f64 v[103:104], v[103:104], v[105:106], v[103:104]
	v_fma_f64 v[105:106], -v[99:100], v[103:104], 1.0
	v_fma_f64 v[103:104], v[103:104], v[105:106], v[103:104]
	v_mul_f64 v[105:106], v[107:108], v[103:104]
	v_fma_f64 v[99:100], -v[99:100], v[105:106], v[107:108]
	v_div_fmas_f64 v[99:100], v[99:100], v[103:104], v[105:106]
	v_div_fixup_f64 v[103:104], v[99:100], v[97:98], 1.0
                                        ; implicit-def: $vgpr97_vgpr98
	v_mul_f64 v[101:102], v[101:102], v[103:104]
	v_xor_b32_e32 v104, 0x80000000, v104
.LBB93_50:
	s_andn2_saveexec_b64 s[2:3], s[2:3]
	s_cbranch_execz .LBB93_52
; %bb.51:
	v_div_scale_f64 v[101:102], s[6:7], v[97:98], v[97:98], v[99:100]
	v_rcp_f64_e32 v[103:104], v[101:102]
	v_fma_f64 v[105:106], -v[101:102], v[103:104], 1.0
	v_fma_f64 v[103:104], v[103:104], v[105:106], v[103:104]
	v_div_scale_f64 v[105:106], vcc, v[99:100], v[97:98], v[99:100]
	v_fma_f64 v[107:108], -v[101:102], v[103:104], 1.0
	v_fma_f64 v[103:104], v[103:104], v[107:108], v[103:104]
	v_mul_f64 v[107:108], v[105:106], v[103:104]
	v_fma_f64 v[101:102], -v[101:102], v[107:108], v[105:106]
	v_div_fmas_f64 v[101:102], v[101:102], v[103:104], v[107:108]
	v_div_fixup_f64 v[103:104], v[101:102], v[97:98], v[99:100]
	v_fma_f64 v[97:98], v[99:100], v[103:104], v[97:98]
	v_div_scale_f64 v[99:100], s[6:7], v[97:98], v[97:98], 1.0
	v_div_scale_f64 v[107:108], vcc, 1.0, v[97:98], 1.0
	v_rcp_f64_e32 v[101:102], v[99:100]
	v_fma_f64 v[105:106], -v[99:100], v[101:102], 1.0
	v_fma_f64 v[101:102], v[101:102], v[105:106], v[101:102]
	v_fma_f64 v[105:106], -v[99:100], v[101:102], 1.0
	v_fma_f64 v[101:102], v[101:102], v[105:106], v[101:102]
	v_mul_f64 v[105:106], v[107:108], v[101:102]
	v_fma_f64 v[99:100], -v[99:100], v[105:106], v[107:108]
	v_div_fmas_f64 v[99:100], v[99:100], v[101:102], v[105:106]
	v_div_fixup_f64 v[101:102], v[99:100], v[97:98], 1.0
	v_mul_f64 v[103:104], v[103:104], -v[101:102]
.LBB93_52:
	s_or_b64 exec, exec, s[2:3]
	ds_write2_b64 v127, v[101:102], v[103:104] offset1:1
.LBB93_53:
	s_or_b64 exec, exec, s[4:5]
	s_waitcnt lgkmcnt(0)
	s_barrier
	ds_read2_b64 v[69:72], v127 offset1:1
	v_cmp_lt_u32_e32 vcc, 5, v0
	s_waitcnt lgkmcnt(0)
	buffer_store_dword v69, off, s[20:23], 0 offset:832 ; 4-byte Folded Spill
	s_nop 0
	buffer_store_dword v70, off, s[20:23], 0 offset:836 ; 4-byte Folded Spill
	buffer_store_dword v71, off, s[20:23], 0 offset:840 ; 4-byte Folded Spill
	;; [unrolled: 1-line block ×3, first 2 shown]
	s_and_saveexec_b64 s[2:3], vcc
	s_cbranch_execz .LBB93_55
; %bb.54:
	buffer_load_dword v103, off, s[20:23], 0 offset:288 ; 4-byte Folded Reload
	buffer_load_dword v104, off, s[20:23], 0 offset:292 ; 4-byte Folded Reload
	;; [unrolled: 1-line block ×8, first 2 shown]
	s_waitcnt vmcnt(2)
	v_mul_f64 v[99:100], v[69:70], v[105:106]
	s_waitcnt vmcnt(0)
	v_mul_f64 v[97:98], v[71:72], v[105:106]
	v_fma_f64 v[105:106], v[71:72], v[103:104], v[99:100]
	ds_read2_b64 v[99:102], v125 offset0:12 offset1:13
	v_fma_f64 v[97:98], v[69:70], v[103:104], -v[97:98]
	buffer_load_dword v69, off, s[20:23], 0 offset:272 ; 4-byte Folded Reload
	buffer_load_dword v70, off, s[20:23], 0 offset:276 ; 4-byte Folded Reload
	buffer_load_dword v71, off, s[20:23], 0 offset:280 ; 4-byte Folded Reload
	buffer_load_dword v72, off, s[20:23], 0 offset:284 ; 4-byte Folded Reload
	s_waitcnt lgkmcnt(0)
	v_mul_f64 v[103:104], v[101:102], v[105:106]
	v_fma_f64 v[103:104], v[99:100], v[97:98], -v[103:104]
	v_mul_f64 v[99:100], v[99:100], v[105:106]
	v_fma_f64 v[99:100], v[101:102], v[97:98], v[99:100]
	s_waitcnt vmcnt(2)
	v_add_f64 v[69:70], v[69:70], -v[103:104]
	s_waitcnt vmcnt(0)
	v_add_f64 v[71:72], v[71:72], -v[99:100]
	buffer_store_dword v69, off, s[20:23], 0 offset:272 ; 4-byte Folded Spill
	s_nop 0
	buffer_store_dword v70, off, s[20:23], 0 offset:276 ; 4-byte Folded Spill
	buffer_store_dword v71, off, s[20:23], 0 offset:280 ; 4-byte Folded Spill
	buffer_store_dword v72, off, s[20:23], 0 offset:284 ; 4-byte Folded Spill
	ds_read2_b64 v[99:102], v125 offset0:14 offset1:15
	buffer_load_dword v69, off, s[20:23], 0 offset:256 ; 4-byte Folded Reload
	buffer_load_dword v70, off, s[20:23], 0 offset:260 ; 4-byte Folded Reload
	buffer_load_dword v71, off, s[20:23], 0 offset:264 ; 4-byte Folded Reload
	buffer_load_dword v72, off, s[20:23], 0 offset:268 ; 4-byte Folded Reload
	s_waitcnt lgkmcnt(0)
	v_mul_f64 v[103:104], v[101:102], v[105:106]
	v_fma_f64 v[103:104], v[99:100], v[97:98], -v[103:104]
	v_mul_f64 v[99:100], v[99:100], v[105:106]
	v_fma_f64 v[99:100], v[101:102], v[97:98], v[99:100]
	s_waitcnt vmcnt(2)
	v_add_f64 v[69:70], v[69:70], -v[103:104]
	s_waitcnt vmcnt(0)
	v_add_f64 v[71:72], v[71:72], -v[99:100]
	buffer_store_dword v69, off, s[20:23], 0 offset:256 ; 4-byte Folded Spill
	s_nop 0
	buffer_store_dword v70, off, s[20:23], 0 offset:260 ; 4-byte Folded Spill
	buffer_store_dword v71, off, s[20:23], 0 offset:264 ; 4-byte Folded Spill
	buffer_store_dword v72, off, s[20:23], 0 offset:268 ; 4-byte Folded Spill
	ds_read2_b64 v[99:102], v125 offset0:16 offset1:17
	;; [unrolled: 19-line block ×15, first 2 shown]
	v_mov_b32_e32 v69, v73
	v_mov_b32_e32 v70, v74
	;; [unrolled: 1-line block ×4, first 2 shown]
	s_waitcnt lgkmcnt(0)
	v_mul_f64 v[103:104], v[101:102], v[105:106]
	v_fma_f64 v[103:104], v[99:100], v[97:98], -v[103:104]
	v_mul_f64 v[99:100], v[99:100], v[105:106]
	v_add_f64 v[121:122], v[121:122], -v[103:104]
	v_fma_f64 v[99:100], v[101:102], v[97:98], v[99:100]
	v_add_f64 v[123:124], v[123:124], -v[99:100]
	ds_read2_b64 v[99:102], v125 offset0:44 offset1:45
	s_waitcnt lgkmcnt(0)
	v_mul_f64 v[103:104], v[101:102], v[105:106]
	v_fma_f64 v[103:104], v[99:100], v[97:98], -v[103:104]
	v_mul_f64 v[99:100], v[99:100], v[105:106]
	v_add_f64 v[117:118], v[117:118], -v[103:104]
	v_fma_f64 v[99:100], v[101:102], v[97:98], v[99:100]
	v_add_f64 v[119:120], v[119:120], -v[99:100]
	ds_read2_b64 v[99:102], v125 offset0:46 offset1:47
	s_waitcnt lgkmcnt(0)
	v_mul_f64 v[103:104], v[101:102], v[105:106]
	v_fma_f64 v[103:104], v[99:100], v[97:98], -v[103:104]
	v_mul_f64 v[99:100], v[99:100], v[105:106]
	v_add_f64 v[109:110], v[109:110], -v[103:104]
	v_fma_f64 v[99:100], v[101:102], v[97:98], v[99:100]
	v_add_f64 v[111:112], v[111:112], -v[99:100]
	ds_read2_b64 v[99:102], v125 offset0:48 offset1:49
	s_waitcnt lgkmcnt(0)
	v_mul_f64 v[103:104], v[101:102], v[105:106]
	v_fma_f64 v[103:104], v[99:100], v[97:98], -v[103:104]
	v_mul_f64 v[99:100], v[99:100], v[105:106]
	v_add_f64 v[113:114], v[113:114], -v[103:104]
	v_fma_f64 v[99:100], v[101:102], v[97:98], v[99:100]
	v_add_f64 v[115:116], v[115:116], -v[99:100]
	ds_read2_b64 v[99:102], v125 offset0:50 offset1:51
	s_waitcnt lgkmcnt(0)
	v_mul_f64 v[103:104], v[101:102], v[105:106]
	v_fma_f64 v[103:104], v[99:100], v[97:98], -v[103:104]
	v_mul_f64 v[99:100], v[99:100], v[105:106]
	v_add_f64 v[93:94], v[93:94], -v[103:104]
	v_fma_f64 v[99:100], v[101:102], v[97:98], v[99:100]
	v_add_f64 v[95:96], v[95:96], -v[99:100]
	ds_read2_b64 v[99:102], v125 offset0:52 offset1:53
	buffer_load_dword v77, off, s[20:23], 0 offset:32 ; 4-byte Folded Reload
	buffer_load_dword v78, off, s[20:23], 0 offset:36 ; 4-byte Folded Reload
	;; [unrolled: 1-line block ×4, first 2 shown]
	s_waitcnt lgkmcnt(0)
	v_mul_f64 v[103:104], v[101:102], v[105:106]
	v_fma_f64 v[103:104], v[99:100], v[97:98], -v[103:104]
	v_mul_f64 v[99:100], v[99:100], v[105:106]
	v_fma_f64 v[99:100], v[101:102], v[97:98], v[99:100]
	s_waitcnt vmcnt(2)
	v_add_f64 v[77:78], v[77:78], -v[103:104]
	s_waitcnt vmcnt(0)
	v_add_f64 v[79:80], v[79:80], -v[99:100]
	buffer_store_dword v77, off, s[20:23], 0 offset:32 ; 4-byte Folded Spill
	s_nop 0
	buffer_store_dword v78, off, s[20:23], 0 offset:36 ; 4-byte Folded Spill
	buffer_store_dword v79, off, s[20:23], 0 offset:40 ; 4-byte Folded Spill
	;; [unrolled: 1-line block ×3, first 2 shown]
	ds_read2_b64 v[99:102], v125 offset0:54 offset1:55
	buffer_load_dword v73, off, s[20:23], 0 offset:16 ; 4-byte Folded Reload
	buffer_load_dword v74, off, s[20:23], 0 offset:20 ; 4-byte Folded Reload
	;; [unrolled: 1-line block ×4, first 2 shown]
	s_waitcnt lgkmcnt(0)
	v_mul_f64 v[103:104], v[101:102], v[105:106]
	v_fma_f64 v[103:104], v[99:100], v[97:98], -v[103:104]
	v_mul_f64 v[99:100], v[99:100], v[105:106]
	v_fma_f64 v[99:100], v[101:102], v[97:98], v[99:100]
	s_waitcnt vmcnt(2)
	v_add_f64 v[73:74], v[73:74], -v[103:104]
	s_waitcnt vmcnt(0)
	v_add_f64 v[75:76], v[75:76], -v[99:100]
	buffer_store_dword v73, off, s[20:23], 0 offset:16 ; 4-byte Folded Spill
	s_nop 0
	buffer_store_dword v74, off, s[20:23], 0 offset:20 ; 4-byte Folded Spill
	buffer_store_dword v75, off, s[20:23], 0 offset:24 ; 4-byte Folded Spill
	;; [unrolled: 1-line block ×3, first 2 shown]
	v_mov_b32_e32 v76, v72
	v_mov_b32_e32 v75, v71
	v_mov_b32_e32 v74, v70
	v_mov_b32_e32 v73, v69
	ds_read2_b64 v[99:102], v125 offset0:56 offset1:57
	buffer_load_dword v69, off, s[20:23], 0 ; 4-byte Folded Reload
	buffer_load_dword v70, off, s[20:23], 0 offset:4 ; 4-byte Folded Reload
	buffer_load_dword v71, off, s[20:23], 0 offset:8 ; 4-byte Folded Reload
	;; [unrolled: 1-line block ×3, first 2 shown]
	s_waitcnt lgkmcnt(0)
	v_mul_f64 v[103:104], v[101:102], v[105:106]
	v_fma_f64 v[103:104], v[99:100], v[97:98], -v[103:104]
	v_mul_f64 v[99:100], v[99:100], v[105:106]
	v_fma_f64 v[99:100], v[101:102], v[97:98], v[99:100]
	s_waitcnt vmcnt(2)
	v_add_f64 v[69:70], v[69:70], -v[103:104]
	s_waitcnt vmcnt(0)
	v_add_f64 v[71:72], v[71:72], -v[99:100]
	buffer_store_dword v69, off, s[20:23], 0 ; 4-byte Folded Spill
	s_nop 0
	buffer_store_dword v70, off, s[20:23], 0 offset:4 ; 4-byte Folded Spill
	buffer_store_dword v71, off, s[20:23], 0 offset:8 ; 4-byte Folded Spill
	;; [unrolled: 1-line block ×3, first 2 shown]
	ds_read2_b64 v[99:102], v125 offset0:58 offset1:59
	s_waitcnt lgkmcnt(0)
	v_mul_f64 v[103:104], v[101:102], v[105:106]
	v_fma_f64 v[103:104], v[99:100], v[97:98], -v[103:104]
	v_mul_f64 v[99:100], v[99:100], v[105:106]
	v_add_f64 v[65:66], v[65:66], -v[103:104]
	v_fma_f64 v[99:100], v[101:102], v[97:98], v[99:100]
	v_add_f64 v[67:68], v[67:68], -v[99:100]
	ds_read2_b64 v[99:102], v125 offset0:60 offset1:61
	s_waitcnt lgkmcnt(0)
	v_mul_f64 v[103:104], v[101:102], v[105:106]
	v_fma_f64 v[103:104], v[99:100], v[97:98], -v[103:104]
	v_mul_f64 v[99:100], v[99:100], v[105:106]
	v_add_f64 v[61:62], v[61:62], -v[103:104]
	v_fma_f64 v[99:100], v[101:102], v[97:98], v[99:100]
	v_add_f64 v[63:64], v[63:64], -v[99:100]
	;; [unrolled: 8-line block ×17, first 2 shown]
	ds_read2_b64 v[99:102], v125 offset0:92 offset1:93
	s_waitcnt lgkmcnt(0)
	v_mul_f64 v[103:104], v[101:102], v[105:106]
	v_fma_f64 v[103:104], v[99:100], v[97:98], -v[103:104]
	v_mul_f64 v[99:100], v[99:100], v[105:106]
	v_add_f64 v[73:74], v[73:74], -v[103:104]
	v_fma_f64 v[99:100], v[101:102], v[97:98], v[99:100]
	v_mov_b32_e32 v104, v98
	v_mov_b32_e32 v103, v97
	buffer_store_dword v103, off, s[20:23], 0 offset:288 ; 4-byte Folded Spill
	s_nop 0
	buffer_store_dword v104, off, s[20:23], 0 offset:292 ; 4-byte Folded Spill
	buffer_store_dword v105, off, s[20:23], 0 offset:296 ; 4-byte Folded Spill
	;; [unrolled: 1-line block ×3, first 2 shown]
	v_add_f64 v[75:76], v[75:76], -v[99:100]
.LBB93_55:
	s_or_b64 exec, exec, s[2:3]
	v_cmp_eq_u32_e32 vcc, 6, v0
	s_waitcnt vmcnt(0)
	s_barrier
	s_and_saveexec_b64 s[4:5], vcc
	s_cbranch_execz .LBB93_62
; %bb.56:
	buffer_load_dword v69, off, s[20:23], 0 offset:272 ; 4-byte Folded Reload
	buffer_load_dword v70, off, s[20:23], 0 offset:276 ; 4-byte Folded Reload
	buffer_load_dword v71, off, s[20:23], 0 offset:280 ; 4-byte Folded Reload
	buffer_load_dword v72, off, s[20:23], 0 offset:284 ; 4-byte Folded Reload
	s_waitcnt vmcnt(0)
	ds_write2_b64 v127, v[69:70], v[71:72] offset1:1
	buffer_load_dword v69, off, s[20:23], 0 offset:256 ; 4-byte Folded Reload
	buffer_load_dword v70, off, s[20:23], 0 offset:260 ; 4-byte Folded Reload
	buffer_load_dword v71, off, s[20:23], 0 offset:264 ; 4-byte Folded Reload
	buffer_load_dword v72, off, s[20:23], 0 offset:268 ; 4-byte Folded Reload
	s_waitcnt vmcnt(0)
	ds_write2_b64 v125, v[69:70], v[71:72] offset0:14 offset1:15
	buffer_load_dword v69, off, s[20:23], 0 offset:240 ; 4-byte Folded Reload
	buffer_load_dword v70, off, s[20:23], 0 offset:244 ; 4-byte Folded Reload
	buffer_load_dword v71, off, s[20:23], 0 offset:248 ; 4-byte Folded Reload
	buffer_load_dword v72, off, s[20:23], 0 offset:252 ; 4-byte Folded Reload
	s_waitcnt vmcnt(0)
	ds_write2_b64 v125, v[69:70], v[71:72] offset0:16 offset1:17
	;; [unrolled: 6-line block ×14, first 2 shown]
	ds_write2_b64 v125, v[121:122], v[123:124] offset0:42 offset1:43
	ds_write2_b64 v125, v[117:118], v[119:120] offset0:44 offset1:45
	;; [unrolled: 1-line block ×5, first 2 shown]
	buffer_load_dword v77, off, s[20:23], 0 offset:32 ; 4-byte Folded Reload
	buffer_load_dword v78, off, s[20:23], 0 offset:36 ; 4-byte Folded Reload
	;; [unrolled: 1-line block ×4, first 2 shown]
	v_mov_b32_e32 v69, v73
	v_mov_b32_e32 v70, v74
	;; [unrolled: 1-line block ×4, first 2 shown]
	s_waitcnt vmcnt(0)
	ds_write2_b64 v125, v[77:78], v[79:80] offset0:52 offset1:53
	buffer_load_dword v73, off, s[20:23], 0 offset:16 ; 4-byte Folded Reload
	buffer_load_dword v74, off, s[20:23], 0 offset:20 ; 4-byte Folded Reload
	;; [unrolled: 1-line block ×4, first 2 shown]
	s_waitcnt vmcnt(0)
	ds_write2_b64 v125, v[73:74], v[75:76] offset0:54 offset1:55
	v_mov_b32_e32 v76, v72
	v_mov_b32_e32 v75, v71
	;; [unrolled: 1-line block ×4, first 2 shown]
	buffer_load_dword v69, off, s[20:23], 0 ; 4-byte Folded Reload
	buffer_load_dword v70, off, s[20:23], 0 offset:4 ; 4-byte Folded Reload
	buffer_load_dword v71, off, s[20:23], 0 offset:8 ; 4-byte Folded Reload
	;; [unrolled: 1-line block ×3, first 2 shown]
	s_waitcnt vmcnt(0)
	ds_write2_b64 v125, v[69:70], v[71:72] offset0:56 offset1:57
	ds_write2_b64 v125, v[65:66], v[67:68] offset0:58 offset1:59
	;; [unrolled: 1-line block ×19, first 2 shown]
	ds_read2_b64 v[97:100], v127 offset1:1
	s_waitcnt lgkmcnt(0)
	v_cmp_neq_f64_e32 vcc, 0, v[97:98]
	v_cmp_neq_f64_e64 s[2:3], 0, v[99:100]
	s_or_b64 s[2:3], vcc, s[2:3]
	s_and_b64 exec, exec, s[2:3]
	s_cbranch_execz .LBB93_62
; %bb.57:
	v_cmp_ngt_f64_e64 s[2:3], |v[97:98]|, |v[99:100]|
                                        ; implicit-def: $vgpr101_vgpr102
	s_and_saveexec_b64 s[6:7], s[2:3]
	s_xor_b64 s[2:3], exec, s[6:7]
                                        ; implicit-def: $vgpr103_vgpr104
	s_cbranch_execz .LBB93_59
; %bb.58:
	v_div_scale_f64 v[101:102], s[6:7], v[99:100], v[99:100], v[97:98]
	v_rcp_f64_e32 v[103:104], v[101:102]
	v_fma_f64 v[105:106], -v[101:102], v[103:104], 1.0
	v_fma_f64 v[103:104], v[103:104], v[105:106], v[103:104]
	v_div_scale_f64 v[105:106], vcc, v[97:98], v[99:100], v[97:98]
	v_fma_f64 v[107:108], -v[101:102], v[103:104], 1.0
	v_fma_f64 v[103:104], v[103:104], v[107:108], v[103:104]
	v_mul_f64 v[107:108], v[105:106], v[103:104]
	v_fma_f64 v[101:102], -v[101:102], v[107:108], v[105:106]
	v_div_fmas_f64 v[101:102], v[101:102], v[103:104], v[107:108]
	v_div_fixup_f64 v[101:102], v[101:102], v[99:100], v[97:98]
	v_fma_f64 v[97:98], v[97:98], v[101:102], v[99:100]
	v_div_scale_f64 v[99:100], s[6:7], v[97:98], v[97:98], 1.0
	v_div_scale_f64 v[107:108], vcc, 1.0, v[97:98], 1.0
	v_rcp_f64_e32 v[103:104], v[99:100]
	v_fma_f64 v[105:106], -v[99:100], v[103:104], 1.0
	v_fma_f64 v[103:104], v[103:104], v[105:106], v[103:104]
	v_fma_f64 v[105:106], -v[99:100], v[103:104], 1.0
	v_fma_f64 v[103:104], v[103:104], v[105:106], v[103:104]
	v_mul_f64 v[105:106], v[107:108], v[103:104]
	v_fma_f64 v[99:100], -v[99:100], v[105:106], v[107:108]
	v_div_fmas_f64 v[99:100], v[99:100], v[103:104], v[105:106]
	v_div_fixup_f64 v[103:104], v[99:100], v[97:98], 1.0
                                        ; implicit-def: $vgpr97_vgpr98
	v_mul_f64 v[101:102], v[101:102], v[103:104]
	v_xor_b32_e32 v104, 0x80000000, v104
.LBB93_59:
	s_andn2_saveexec_b64 s[2:3], s[2:3]
	s_cbranch_execz .LBB93_61
; %bb.60:
	v_div_scale_f64 v[101:102], s[6:7], v[97:98], v[97:98], v[99:100]
	v_rcp_f64_e32 v[103:104], v[101:102]
	v_fma_f64 v[105:106], -v[101:102], v[103:104], 1.0
	v_fma_f64 v[103:104], v[103:104], v[105:106], v[103:104]
	v_div_scale_f64 v[105:106], vcc, v[99:100], v[97:98], v[99:100]
	v_fma_f64 v[107:108], -v[101:102], v[103:104], 1.0
	v_fma_f64 v[103:104], v[103:104], v[107:108], v[103:104]
	v_mul_f64 v[107:108], v[105:106], v[103:104]
	v_fma_f64 v[101:102], -v[101:102], v[107:108], v[105:106]
	v_div_fmas_f64 v[101:102], v[101:102], v[103:104], v[107:108]
	v_div_fixup_f64 v[103:104], v[101:102], v[97:98], v[99:100]
	v_fma_f64 v[97:98], v[99:100], v[103:104], v[97:98]
	v_div_scale_f64 v[99:100], s[6:7], v[97:98], v[97:98], 1.0
	v_div_scale_f64 v[107:108], vcc, 1.0, v[97:98], 1.0
	v_rcp_f64_e32 v[101:102], v[99:100]
	v_fma_f64 v[105:106], -v[99:100], v[101:102], 1.0
	v_fma_f64 v[101:102], v[101:102], v[105:106], v[101:102]
	v_fma_f64 v[105:106], -v[99:100], v[101:102], 1.0
	v_fma_f64 v[101:102], v[101:102], v[105:106], v[101:102]
	v_mul_f64 v[105:106], v[107:108], v[101:102]
	v_fma_f64 v[99:100], -v[99:100], v[105:106], v[107:108]
	v_div_fmas_f64 v[99:100], v[99:100], v[101:102], v[105:106]
	v_div_fixup_f64 v[101:102], v[99:100], v[97:98], 1.0
	v_mul_f64 v[103:104], v[103:104], -v[101:102]
.LBB93_61:
	s_or_b64 exec, exec, s[2:3]
	ds_write2_b64 v127, v[101:102], v[103:104] offset1:1
.LBB93_62:
	s_or_b64 exec, exec, s[4:5]
	s_waitcnt lgkmcnt(0)
	s_barrier
	ds_read2_b64 v[69:72], v127 offset1:1
	v_cmp_lt_u32_e32 vcc, 6, v0
	s_waitcnt lgkmcnt(0)
	buffer_store_dword v69, off, s[20:23], 0 offset:848 ; 4-byte Folded Spill
	s_nop 0
	buffer_store_dword v70, off, s[20:23], 0 offset:852 ; 4-byte Folded Spill
	buffer_store_dword v71, off, s[20:23], 0 offset:856 ; 4-byte Folded Spill
	;; [unrolled: 1-line block ×3, first 2 shown]
	s_and_saveexec_b64 s[2:3], vcc
	s_cbranch_execz .LBB93_64
; %bb.63:
	buffer_load_dword v103, off, s[20:23], 0 offset:272 ; 4-byte Folded Reload
	buffer_load_dword v104, off, s[20:23], 0 offset:276 ; 4-byte Folded Reload
	;; [unrolled: 1-line block ×8, first 2 shown]
	s_waitcnt vmcnt(2)
	v_mul_f64 v[99:100], v[69:70], v[105:106]
	s_waitcnt vmcnt(0)
	v_mul_f64 v[97:98], v[71:72], v[105:106]
	v_fma_f64 v[105:106], v[71:72], v[103:104], v[99:100]
	ds_read2_b64 v[99:102], v125 offset0:14 offset1:15
	v_fma_f64 v[97:98], v[69:70], v[103:104], -v[97:98]
	buffer_load_dword v69, off, s[20:23], 0 offset:256 ; 4-byte Folded Reload
	buffer_load_dword v70, off, s[20:23], 0 offset:260 ; 4-byte Folded Reload
	buffer_load_dword v71, off, s[20:23], 0 offset:264 ; 4-byte Folded Reload
	buffer_load_dword v72, off, s[20:23], 0 offset:268 ; 4-byte Folded Reload
	s_waitcnt lgkmcnt(0)
	v_mul_f64 v[103:104], v[101:102], v[105:106]
	v_fma_f64 v[103:104], v[99:100], v[97:98], -v[103:104]
	v_mul_f64 v[99:100], v[99:100], v[105:106]
	v_fma_f64 v[99:100], v[101:102], v[97:98], v[99:100]
	s_waitcnt vmcnt(2)
	v_add_f64 v[69:70], v[69:70], -v[103:104]
	s_waitcnt vmcnt(0)
	v_add_f64 v[71:72], v[71:72], -v[99:100]
	buffer_store_dword v69, off, s[20:23], 0 offset:256 ; 4-byte Folded Spill
	s_nop 0
	buffer_store_dword v70, off, s[20:23], 0 offset:260 ; 4-byte Folded Spill
	buffer_store_dword v71, off, s[20:23], 0 offset:264 ; 4-byte Folded Spill
	buffer_store_dword v72, off, s[20:23], 0 offset:268 ; 4-byte Folded Spill
	ds_read2_b64 v[99:102], v125 offset0:16 offset1:17
	buffer_load_dword v69, off, s[20:23], 0 offset:240 ; 4-byte Folded Reload
	buffer_load_dword v70, off, s[20:23], 0 offset:244 ; 4-byte Folded Reload
	buffer_load_dword v71, off, s[20:23], 0 offset:248 ; 4-byte Folded Reload
	buffer_load_dword v72, off, s[20:23], 0 offset:252 ; 4-byte Folded Reload
	s_waitcnt lgkmcnt(0)
	v_mul_f64 v[103:104], v[101:102], v[105:106]
	v_fma_f64 v[103:104], v[99:100], v[97:98], -v[103:104]
	v_mul_f64 v[99:100], v[99:100], v[105:106]
	v_fma_f64 v[99:100], v[101:102], v[97:98], v[99:100]
	s_waitcnt vmcnt(2)
	v_add_f64 v[69:70], v[69:70], -v[103:104]
	s_waitcnt vmcnt(0)
	v_add_f64 v[71:72], v[71:72], -v[99:100]
	buffer_store_dword v69, off, s[20:23], 0 offset:240 ; 4-byte Folded Spill
	s_nop 0
	buffer_store_dword v70, off, s[20:23], 0 offset:244 ; 4-byte Folded Spill
	buffer_store_dword v71, off, s[20:23], 0 offset:248 ; 4-byte Folded Spill
	buffer_store_dword v72, off, s[20:23], 0 offset:252 ; 4-byte Folded Spill
	ds_read2_b64 v[99:102], v125 offset0:18 offset1:19
	;; [unrolled: 19-line block ×14, first 2 shown]
	v_mov_b32_e32 v69, v73
	v_mov_b32_e32 v70, v74
	;; [unrolled: 1-line block ×4, first 2 shown]
	s_waitcnt lgkmcnt(0)
	v_mul_f64 v[103:104], v[101:102], v[105:106]
	v_fma_f64 v[103:104], v[99:100], v[97:98], -v[103:104]
	v_mul_f64 v[99:100], v[99:100], v[105:106]
	v_add_f64 v[121:122], v[121:122], -v[103:104]
	v_fma_f64 v[99:100], v[101:102], v[97:98], v[99:100]
	v_add_f64 v[123:124], v[123:124], -v[99:100]
	ds_read2_b64 v[99:102], v125 offset0:44 offset1:45
	s_waitcnt lgkmcnt(0)
	v_mul_f64 v[103:104], v[101:102], v[105:106]
	v_fma_f64 v[103:104], v[99:100], v[97:98], -v[103:104]
	v_mul_f64 v[99:100], v[99:100], v[105:106]
	v_add_f64 v[117:118], v[117:118], -v[103:104]
	v_fma_f64 v[99:100], v[101:102], v[97:98], v[99:100]
	v_add_f64 v[119:120], v[119:120], -v[99:100]
	ds_read2_b64 v[99:102], v125 offset0:46 offset1:47
	;; [unrolled: 8-line block ×5, first 2 shown]
	buffer_load_dword v77, off, s[20:23], 0 offset:32 ; 4-byte Folded Reload
	buffer_load_dword v78, off, s[20:23], 0 offset:36 ; 4-byte Folded Reload
	;; [unrolled: 1-line block ×4, first 2 shown]
	s_waitcnt lgkmcnt(0)
	v_mul_f64 v[103:104], v[101:102], v[105:106]
	v_fma_f64 v[103:104], v[99:100], v[97:98], -v[103:104]
	v_mul_f64 v[99:100], v[99:100], v[105:106]
	v_fma_f64 v[99:100], v[101:102], v[97:98], v[99:100]
	s_waitcnt vmcnt(2)
	v_add_f64 v[77:78], v[77:78], -v[103:104]
	s_waitcnt vmcnt(0)
	v_add_f64 v[79:80], v[79:80], -v[99:100]
	buffer_store_dword v77, off, s[20:23], 0 offset:32 ; 4-byte Folded Spill
	s_nop 0
	buffer_store_dword v78, off, s[20:23], 0 offset:36 ; 4-byte Folded Spill
	buffer_store_dword v79, off, s[20:23], 0 offset:40 ; 4-byte Folded Spill
	;; [unrolled: 1-line block ×3, first 2 shown]
	ds_read2_b64 v[99:102], v125 offset0:54 offset1:55
	buffer_load_dword v73, off, s[20:23], 0 offset:16 ; 4-byte Folded Reload
	buffer_load_dword v74, off, s[20:23], 0 offset:20 ; 4-byte Folded Reload
	;; [unrolled: 1-line block ×4, first 2 shown]
	s_waitcnt lgkmcnt(0)
	v_mul_f64 v[103:104], v[101:102], v[105:106]
	v_fma_f64 v[103:104], v[99:100], v[97:98], -v[103:104]
	v_mul_f64 v[99:100], v[99:100], v[105:106]
	v_fma_f64 v[99:100], v[101:102], v[97:98], v[99:100]
	s_waitcnt vmcnt(2)
	v_add_f64 v[73:74], v[73:74], -v[103:104]
	s_waitcnt vmcnt(0)
	v_add_f64 v[75:76], v[75:76], -v[99:100]
	buffer_store_dword v73, off, s[20:23], 0 offset:16 ; 4-byte Folded Spill
	s_nop 0
	buffer_store_dword v74, off, s[20:23], 0 offset:20 ; 4-byte Folded Spill
	buffer_store_dword v75, off, s[20:23], 0 offset:24 ; 4-byte Folded Spill
	;; [unrolled: 1-line block ×3, first 2 shown]
	v_mov_b32_e32 v76, v72
	v_mov_b32_e32 v75, v71
	v_mov_b32_e32 v74, v70
	v_mov_b32_e32 v73, v69
	ds_read2_b64 v[99:102], v125 offset0:56 offset1:57
	buffer_load_dword v69, off, s[20:23], 0 ; 4-byte Folded Reload
	buffer_load_dword v70, off, s[20:23], 0 offset:4 ; 4-byte Folded Reload
	buffer_load_dword v71, off, s[20:23], 0 offset:8 ; 4-byte Folded Reload
	;; [unrolled: 1-line block ×3, first 2 shown]
	s_waitcnt lgkmcnt(0)
	v_mul_f64 v[103:104], v[101:102], v[105:106]
	v_fma_f64 v[103:104], v[99:100], v[97:98], -v[103:104]
	v_mul_f64 v[99:100], v[99:100], v[105:106]
	v_fma_f64 v[99:100], v[101:102], v[97:98], v[99:100]
	s_waitcnt vmcnt(2)
	v_add_f64 v[69:70], v[69:70], -v[103:104]
	s_waitcnt vmcnt(0)
	v_add_f64 v[71:72], v[71:72], -v[99:100]
	buffer_store_dword v69, off, s[20:23], 0 ; 4-byte Folded Spill
	s_nop 0
	buffer_store_dword v70, off, s[20:23], 0 offset:4 ; 4-byte Folded Spill
	buffer_store_dword v71, off, s[20:23], 0 offset:8 ; 4-byte Folded Spill
	;; [unrolled: 1-line block ×3, first 2 shown]
	ds_read2_b64 v[99:102], v125 offset0:58 offset1:59
	s_waitcnt lgkmcnt(0)
	v_mul_f64 v[103:104], v[101:102], v[105:106]
	v_fma_f64 v[103:104], v[99:100], v[97:98], -v[103:104]
	v_mul_f64 v[99:100], v[99:100], v[105:106]
	v_add_f64 v[65:66], v[65:66], -v[103:104]
	v_fma_f64 v[99:100], v[101:102], v[97:98], v[99:100]
	v_add_f64 v[67:68], v[67:68], -v[99:100]
	ds_read2_b64 v[99:102], v125 offset0:60 offset1:61
	s_waitcnt lgkmcnt(0)
	v_mul_f64 v[103:104], v[101:102], v[105:106]
	v_fma_f64 v[103:104], v[99:100], v[97:98], -v[103:104]
	v_mul_f64 v[99:100], v[99:100], v[105:106]
	v_add_f64 v[61:62], v[61:62], -v[103:104]
	v_fma_f64 v[99:100], v[101:102], v[97:98], v[99:100]
	v_add_f64 v[63:64], v[63:64], -v[99:100]
	;; [unrolled: 8-line block ×17, first 2 shown]
	ds_read2_b64 v[99:102], v125 offset0:92 offset1:93
	s_waitcnt lgkmcnt(0)
	v_mul_f64 v[103:104], v[101:102], v[105:106]
	v_fma_f64 v[103:104], v[99:100], v[97:98], -v[103:104]
	v_mul_f64 v[99:100], v[99:100], v[105:106]
	v_add_f64 v[73:74], v[73:74], -v[103:104]
	v_fma_f64 v[99:100], v[101:102], v[97:98], v[99:100]
	v_mov_b32_e32 v104, v98
	v_mov_b32_e32 v103, v97
	buffer_store_dword v103, off, s[20:23], 0 offset:272 ; 4-byte Folded Spill
	s_nop 0
	buffer_store_dword v104, off, s[20:23], 0 offset:276 ; 4-byte Folded Spill
	buffer_store_dword v105, off, s[20:23], 0 offset:280 ; 4-byte Folded Spill
	;; [unrolled: 1-line block ×3, first 2 shown]
	v_add_f64 v[75:76], v[75:76], -v[99:100]
.LBB93_64:
	s_or_b64 exec, exec, s[2:3]
	v_cmp_eq_u32_e32 vcc, 7, v0
	s_waitcnt vmcnt(0)
	s_barrier
	s_and_saveexec_b64 s[4:5], vcc
	s_cbranch_execz .LBB93_71
; %bb.65:
	buffer_load_dword v69, off, s[20:23], 0 offset:256 ; 4-byte Folded Reload
	buffer_load_dword v70, off, s[20:23], 0 offset:260 ; 4-byte Folded Reload
	buffer_load_dword v71, off, s[20:23], 0 offset:264 ; 4-byte Folded Reload
	buffer_load_dword v72, off, s[20:23], 0 offset:268 ; 4-byte Folded Reload
	s_waitcnt vmcnt(0)
	ds_write2_b64 v127, v[69:70], v[71:72] offset1:1
	buffer_load_dword v69, off, s[20:23], 0 offset:240 ; 4-byte Folded Reload
	buffer_load_dword v70, off, s[20:23], 0 offset:244 ; 4-byte Folded Reload
	buffer_load_dword v71, off, s[20:23], 0 offset:248 ; 4-byte Folded Reload
	buffer_load_dword v72, off, s[20:23], 0 offset:252 ; 4-byte Folded Reload
	s_waitcnt vmcnt(0)
	ds_write2_b64 v125, v[69:70], v[71:72] offset0:16 offset1:17
	buffer_load_dword v69, off, s[20:23], 0 offset:224 ; 4-byte Folded Reload
	buffer_load_dword v70, off, s[20:23], 0 offset:228 ; 4-byte Folded Reload
	buffer_load_dword v71, off, s[20:23], 0 offset:232 ; 4-byte Folded Reload
	buffer_load_dword v72, off, s[20:23], 0 offset:236 ; 4-byte Folded Reload
	s_waitcnt vmcnt(0)
	ds_write2_b64 v125, v[69:70], v[71:72] offset0:18 offset1:19
	;; [unrolled: 6-line block ×13, first 2 shown]
	ds_write2_b64 v125, v[121:122], v[123:124] offset0:42 offset1:43
	ds_write2_b64 v125, v[117:118], v[119:120] offset0:44 offset1:45
	;; [unrolled: 1-line block ×5, first 2 shown]
	buffer_load_dword v77, off, s[20:23], 0 offset:32 ; 4-byte Folded Reload
	buffer_load_dword v78, off, s[20:23], 0 offset:36 ; 4-byte Folded Reload
	;; [unrolled: 1-line block ×4, first 2 shown]
	v_mov_b32_e32 v69, v73
	v_mov_b32_e32 v70, v74
	;; [unrolled: 1-line block ×4, first 2 shown]
	s_waitcnt vmcnt(0)
	ds_write2_b64 v125, v[77:78], v[79:80] offset0:52 offset1:53
	buffer_load_dword v73, off, s[20:23], 0 offset:16 ; 4-byte Folded Reload
	buffer_load_dword v74, off, s[20:23], 0 offset:20 ; 4-byte Folded Reload
	;; [unrolled: 1-line block ×4, first 2 shown]
	s_waitcnt vmcnt(0)
	ds_write2_b64 v125, v[73:74], v[75:76] offset0:54 offset1:55
	v_mov_b32_e32 v76, v72
	v_mov_b32_e32 v75, v71
	;; [unrolled: 1-line block ×4, first 2 shown]
	buffer_load_dword v69, off, s[20:23], 0 ; 4-byte Folded Reload
	buffer_load_dword v70, off, s[20:23], 0 offset:4 ; 4-byte Folded Reload
	buffer_load_dword v71, off, s[20:23], 0 offset:8 ; 4-byte Folded Reload
	;; [unrolled: 1-line block ×3, first 2 shown]
	s_waitcnt vmcnt(0)
	ds_write2_b64 v125, v[69:70], v[71:72] offset0:56 offset1:57
	ds_write2_b64 v125, v[65:66], v[67:68] offset0:58 offset1:59
	;; [unrolled: 1-line block ×19, first 2 shown]
	ds_read2_b64 v[97:100], v127 offset1:1
	s_waitcnt lgkmcnt(0)
	v_cmp_neq_f64_e32 vcc, 0, v[97:98]
	v_cmp_neq_f64_e64 s[2:3], 0, v[99:100]
	s_or_b64 s[2:3], vcc, s[2:3]
	s_and_b64 exec, exec, s[2:3]
	s_cbranch_execz .LBB93_71
; %bb.66:
	v_cmp_ngt_f64_e64 s[2:3], |v[97:98]|, |v[99:100]|
                                        ; implicit-def: $vgpr101_vgpr102
	s_and_saveexec_b64 s[6:7], s[2:3]
	s_xor_b64 s[2:3], exec, s[6:7]
                                        ; implicit-def: $vgpr103_vgpr104
	s_cbranch_execz .LBB93_68
; %bb.67:
	v_div_scale_f64 v[101:102], s[6:7], v[99:100], v[99:100], v[97:98]
	v_rcp_f64_e32 v[103:104], v[101:102]
	v_fma_f64 v[105:106], -v[101:102], v[103:104], 1.0
	v_fma_f64 v[103:104], v[103:104], v[105:106], v[103:104]
	v_div_scale_f64 v[105:106], vcc, v[97:98], v[99:100], v[97:98]
	v_fma_f64 v[107:108], -v[101:102], v[103:104], 1.0
	v_fma_f64 v[103:104], v[103:104], v[107:108], v[103:104]
	v_mul_f64 v[107:108], v[105:106], v[103:104]
	v_fma_f64 v[101:102], -v[101:102], v[107:108], v[105:106]
	v_div_fmas_f64 v[101:102], v[101:102], v[103:104], v[107:108]
	v_div_fixup_f64 v[101:102], v[101:102], v[99:100], v[97:98]
	v_fma_f64 v[97:98], v[97:98], v[101:102], v[99:100]
	v_div_scale_f64 v[99:100], s[6:7], v[97:98], v[97:98], 1.0
	v_div_scale_f64 v[107:108], vcc, 1.0, v[97:98], 1.0
	v_rcp_f64_e32 v[103:104], v[99:100]
	v_fma_f64 v[105:106], -v[99:100], v[103:104], 1.0
	v_fma_f64 v[103:104], v[103:104], v[105:106], v[103:104]
	v_fma_f64 v[105:106], -v[99:100], v[103:104], 1.0
	v_fma_f64 v[103:104], v[103:104], v[105:106], v[103:104]
	v_mul_f64 v[105:106], v[107:108], v[103:104]
	v_fma_f64 v[99:100], -v[99:100], v[105:106], v[107:108]
	v_div_fmas_f64 v[99:100], v[99:100], v[103:104], v[105:106]
	v_div_fixup_f64 v[103:104], v[99:100], v[97:98], 1.0
                                        ; implicit-def: $vgpr97_vgpr98
	v_mul_f64 v[101:102], v[101:102], v[103:104]
	v_xor_b32_e32 v104, 0x80000000, v104
.LBB93_68:
	s_andn2_saveexec_b64 s[2:3], s[2:3]
	s_cbranch_execz .LBB93_70
; %bb.69:
	v_div_scale_f64 v[101:102], s[6:7], v[97:98], v[97:98], v[99:100]
	v_rcp_f64_e32 v[103:104], v[101:102]
	v_fma_f64 v[105:106], -v[101:102], v[103:104], 1.0
	v_fma_f64 v[103:104], v[103:104], v[105:106], v[103:104]
	v_div_scale_f64 v[105:106], vcc, v[99:100], v[97:98], v[99:100]
	v_fma_f64 v[107:108], -v[101:102], v[103:104], 1.0
	v_fma_f64 v[103:104], v[103:104], v[107:108], v[103:104]
	v_mul_f64 v[107:108], v[105:106], v[103:104]
	v_fma_f64 v[101:102], -v[101:102], v[107:108], v[105:106]
	v_div_fmas_f64 v[101:102], v[101:102], v[103:104], v[107:108]
	v_div_fixup_f64 v[103:104], v[101:102], v[97:98], v[99:100]
	v_fma_f64 v[97:98], v[99:100], v[103:104], v[97:98]
	v_div_scale_f64 v[99:100], s[6:7], v[97:98], v[97:98], 1.0
	v_div_scale_f64 v[107:108], vcc, 1.0, v[97:98], 1.0
	v_rcp_f64_e32 v[101:102], v[99:100]
	v_fma_f64 v[105:106], -v[99:100], v[101:102], 1.0
	v_fma_f64 v[101:102], v[101:102], v[105:106], v[101:102]
	v_fma_f64 v[105:106], -v[99:100], v[101:102], 1.0
	v_fma_f64 v[101:102], v[101:102], v[105:106], v[101:102]
	v_mul_f64 v[105:106], v[107:108], v[101:102]
	v_fma_f64 v[99:100], -v[99:100], v[105:106], v[107:108]
	v_div_fmas_f64 v[99:100], v[99:100], v[101:102], v[105:106]
	v_div_fixup_f64 v[101:102], v[99:100], v[97:98], 1.0
	v_mul_f64 v[103:104], v[103:104], -v[101:102]
.LBB93_70:
	s_or_b64 exec, exec, s[2:3]
	ds_write2_b64 v127, v[101:102], v[103:104] offset1:1
.LBB93_71:
	s_or_b64 exec, exec, s[4:5]
	s_waitcnt lgkmcnt(0)
	s_barrier
	ds_read2_b64 v[69:72], v127 offset1:1
	v_cmp_lt_u32_e32 vcc, 7, v0
	s_waitcnt lgkmcnt(0)
	buffer_store_dword v69, off, s[20:23], 0 offset:864 ; 4-byte Folded Spill
	s_nop 0
	buffer_store_dword v70, off, s[20:23], 0 offset:868 ; 4-byte Folded Spill
	buffer_store_dword v71, off, s[20:23], 0 offset:872 ; 4-byte Folded Spill
	;; [unrolled: 1-line block ×3, first 2 shown]
	s_and_saveexec_b64 s[2:3], vcc
	s_cbranch_execz .LBB93_73
; %bb.72:
	buffer_load_dword v103, off, s[20:23], 0 offset:256 ; 4-byte Folded Reload
	buffer_load_dword v104, off, s[20:23], 0 offset:260 ; 4-byte Folded Reload
	;; [unrolled: 1-line block ×8, first 2 shown]
	s_waitcnt vmcnt(2)
	v_mul_f64 v[99:100], v[69:70], v[105:106]
	s_waitcnt vmcnt(0)
	v_mul_f64 v[97:98], v[71:72], v[105:106]
	v_fma_f64 v[105:106], v[71:72], v[103:104], v[99:100]
	ds_read2_b64 v[99:102], v125 offset0:16 offset1:17
	v_fma_f64 v[97:98], v[69:70], v[103:104], -v[97:98]
	buffer_load_dword v69, off, s[20:23], 0 offset:240 ; 4-byte Folded Reload
	buffer_load_dword v70, off, s[20:23], 0 offset:244 ; 4-byte Folded Reload
	buffer_load_dword v71, off, s[20:23], 0 offset:248 ; 4-byte Folded Reload
	buffer_load_dword v72, off, s[20:23], 0 offset:252 ; 4-byte Folded Reload
	s_waitcnt lgkmcnt(0)
	v_mul_f64 v[103:104], v[101:102], v[105:106]
	v_fma_f64 v[103:104], v[99:100], v[97:98], -v[103:104]
	v_mul_f64 v[99:100], v[99:100], v[105:106]
	v_fma_f64 v[99:100], v[101:102], v[97:98], v[99:100]
	s_waitcnt vmcnt(2)
	v_add_f64 v[69:70], v[69:70], -v[103:104]
	s_waitcnt vmcnt(0)
	v_add_f64 v[71:72], v[71:72], -v[99:100]
	buffer_store_dword v69, off, s[20:23], 0 offset:240 ; 4-byte Folded Spill
	s_nop 0
	buffer_store_dword v70, off, s[20:23], 0 offset:244 ; 4-byte Folded Spill
	buffer_store_dword v71, off, s[20:23], 0 offset:248 ; 4-byte Folded Spill
	buffer_store_dword v72, off, s[20:23], 0 offset:252 ; 4-byte Folded Spill
	ds_read2_b64 v[99:102], v125 offset0:18 offset1:19
	buffer_load_dword v69, off, s[20:23], 0 offset:224 ; 4-byte Folded Reload
	buffer_load_dword v70, off, s[20:23], 0 offset:228 ; 4-byte Folded Reload
	buffer_load_dword v71, off, s[20:23], 0 offset:232 ; 4-byte Folded Reload
	buffer_load_dword v72, off, s[20:23], 0 offset:236 ; 4-byte Folded Reload
	s_waitcnt lgkmcnt(0)
	v_mul_f64 v[103:104], v[101:102], v[105:106]
	v_fma_f64 v[103:104], v[99:100], v[97:98], -v[103:104]
	v_mul_f64 v[99:100], v[99:100], v[105:106]
	v_fma_f64 v[99:100], v[101:102], v[97:98], v[99:100]
	s_waitcnt vmcnt(2)
	v_add_f64 v[69:70], v[69:70], -v[103:104]
	s_waitcnt vmcnt(0)
	v_add_f64 v[71:72], v[71:72], -v[99:100]
	buffer_store_dword v69, off, s[20:23], 0 offset:224 ; 4-byte Folded Spill
	s_nop 0
	buffer_store_dword v70, off, s[20:23], 0 offset:228 ; 4-byte Folded Spill
	buffer_store_dword v71, off, s[20:23], 0 offset:232 ; 4-byte Folded Spill
	buffer_store_dword v72, off, s[20:23], 0 offset:236 ; 4-byte Folded Spill
	ds_read2_b64 v[99:102], v125 offset0:20 offset1:21
	buffer_load_dword v69, off, s[20:23], 0 offset:208 ; 4-byte Folded Reload
	buffer_load_dword v70, off, s[20:23], 0 offset:212 ; 4-byte Folded Reload
	buffer_load_dword v71, off, s[20:23], 0 offset:216 ; 4-byte Folded Reload
	buffer_load_dword v72, off, s[20:23], 0 offset:220 ; 4-byte Folded Reload
	s_waitcnt lgkmcnt(0)
	v_mul_f64 v[103:104], v[101:102], v[105:106]
	v_fma_f64 v[103:104], v[99:100], v[97:98], -v[103:104]
	v_mul_f64 v[99:100], v[99:100], v[105:106]
	v_fma_f64 v[99:100], v[101:102], v[97:98], v[99:100]
	s_waitcnt vmcnt(2)
	v_add_f64 v[69:70], v[69:70], -v[103:104]
	s_waitcnt vmcnt(0)
	v_add_f64 v[71:72], v[71:72], -v[99:100]
	buffer_store_dword v69, off, s[20:23], 0 offset:208 ; 4-byte Folded Spill
	s_nop 0
	buffer_store_dword v70, off, s[20:23], 0 offset:212 ; 4-byte Folded Spill
	buffer_store_dword v71, off, s[20:23], 0 offset:216 ; 4-byte Folded Spill
	buffer_store_dword v72, off, s[20:23], 0 offset:220 ; 4-byte Folded Spill
	ds_read2_b64 v[99:102], v125 offset0:22 offset1:23
	buffer_load_dword v69, off, s[20:23], 0 offset:192 ; 4-byte Folded Reload
	buffer_load_dword v70, off, s[20:23], 0 offset:196 ; 4-byte Folded Reload
	buffer_load_dword v71, off, s[20:23], 0 offset:200 ; 4-byte Folded Reload
	buffer_load_dword v72, off, s[20:23], 0 offset:204 ; 4-byte Folded Reload
	s_waitcnt lgkmcnt(0)
	v_mul_f64 v[103:104], v[101:102], v[105:106]
	v_fma_f64 v[103:104], v[99:100], v[97:98], -v[103:104]
	v_mul_f64 v[99:100], v[99:100], v[105:106]
	v_fma_f64 v[99:100], v[101:102], v[97:98], v[99:100]
	s_waitcnt vmcnt(2)
	v_add_f64 v[69:70], v[69:70], -v[103:104]
	s_waitcnt vmcnt(0)
	v_add_f64 v[71:72], v[71:72], -v[99:100]
	buffer_store_dword v69, off, s[20:23], 0 offset:192 ; 4-byte Folded Spill
	s_nop 0
	buffer_store_dword v70, off, s[20:23], 0 offset:196 ; 4-byte Folded Spill
	buffer_store_dword v71, off, s[20:23], 0 offset:200 ; 4-byte Folded Spill
	buffer_store_dword v72, off, s[20:23], 0 offset:204 ; 4-byte Folded Spill
	ds_read2_b64 v[99:102], v125 offset0:24 offset1:25
	buffer_load_dword v69, off, s[20:23], 0 offset:176 ; 4-byte Folded Reload
	buffer_load_dword v70, off, s[20:23], 0 offset:180 ; 4-byte Folded Reload
	buffer_load_dword v71, off, s[20:23], 0 offset:184 ; 4-byte Folded Reload
	buffer_load_dword v72, off, s[20:23], 0 offset:188 ; 4-byte Folded Reload
	s_waitcnt lgkmcnt(0)
	v_mul_f64 v[103:104], v[101:102], v[105:106]
	v_fma_f64 v[103:104], v[99:100], v[97:98], -v[103:104]
	v_mul_f64 v[99:100], v[99:100], v[105:106]
	v_fma_f64 v[99:100], v[101:102], v[97:98], v[99:100]
	s_waitcnt vmcnt(2)
	v_add_f64 v[69:70], v[69:70], -v[103:104]
	s_waitcnt vmcnt(0)
	v_add_f64 v[71:72], v[71:72], -v[99:100]
	buffer_store_dword v69, off, s[20:23], 0 offset:176 ; 4-byte Folded Spill
	s_nop 0
	buffer_store_dword v70, off, s[20:23], 0 offset:180 ; 4-byte Folded Spill
	buffer_store_dword v71, off, s[20:23], 0 offset:184 ; 4-byte Folded Spill
	buffer_store_dword v72, off, s[20:23], 0 offset:188 ; 4-byte Folded Spill
	ds_read2_b64 v[99:102], v125 offset0:26 offset1:27
	buffer_load_dword v69, off, s[20:23], 0 offset:160 ; 4-byte Folded Reload
	buffer_load_dword v70, off, s[20:23], 0 offset:164 ; 4-byte Folded Reload
	buffer_load_dword v71, off, s[20:23], 0 offset:168 ; 4-byte Folded Reload
	buffer_load_dword v72, off, s[20:23], 0 offset:172 ; 4-byte Folded Reload
	s_waitcnt lgkmcnt(0)
	v_mul_f64 v[103:104], v[101:102], v[105:106]
	v_fma_f64 v[103:104], v[99:100], v[97:98], -v[103:104]
	v_mul_f64 v[99:100], v[99:100], v[105:106]
	v_fma_f64 v[99:100], v[101:102], v[97:98], v[99:100]
	s_waitcnt vmcnt(2)
	v_add_f64 v[69:70], v[69:70], -v[103:104]
	s_waitcnt vmcnt(0)
	v_add_f64 v[71:72], v[71:72], -v[99:100]
	buffer_store_dword v69, off, s[20:23], 0 offset:160 ; 4-byte Folded Spill
	s_nop 0
	buffer_store_dword v70, off, s[20:23], 0 offset:164 ; 4-byte Folded Spill
	buffer_store_dword v71, off, s[20:23], 0 offset:168 ; 4-byte Folded Spill
	buffer_store_dword v72, off, s[20:23], 0 offset:172 ; 4-byte Folded Spill
	ds_read2_b64 v[99:102], v125 offset0:28 offset1:29
	buffer_load_dword v69, off, s[20:23], 0 offset:144 ; 4-byte Folded Reload
	buffer_load_dword v70, off, s[20:23], 0 offset:148 ; 4-byte Folded Reload
	buffer_load_dword v71, off, s[20:23], 0 offset:152 ; 4-byte Folded Reload
	buffer_load_dword v72, off, s[20:23], 0 offset:156 ; 4-byte Folded Reload
	s_waitcnt lgkmcnt(0)
	v_mul_f64 v[103:104], v[101:102], v[105:106]
	v_fma_f64 v[103:104], v[99:100], v[97:98], -v[103:104]
	v_mul_f64 v[99:100], v[99:100], v[105:106]
	v_fma_f64 v[99:100], v[101:102], v[97:98], v[99:100]
	s_waitcnt vmcnt(2)
	v_add_f64 v[69:70], v[69:70], -v[103:104]
	s_waitcnt vmcnt(0)
	v_add_f64 v[71:72], v[71:72], -v[99:100]
	buffer_store_dword v69, off, s[20:23], 0 offset:144 ; 4-byte Folded Spill
	s_nop 0
	buffer_store_dword v70, off, s[20:23], 0 offset:148 ; 4-byte Folded Spill
	buffer_store_dword v71, off, s[20:23], 0 offset:152 ; 4-byte Folded Spill
	buffer_store_dword v72, off, s[20:23], 0 offset:156 ; 4-byte Folded Spill
	ds_read2_b64 v[99:102], v125 offset0:30 offset1:31
	buffer_load_dword v69, off, s[20:23], 0 offset:128 ; 4-byte Folded Reload
	buffer_load_dword v70, off, s[20:23], 0 offset:132 ; 4-byte Folded Reload
	buffer_load_dword v71, off, s[20:23], 0 offset:136 ; 4-byte Folded Reload
	buffer_load_dword v72, off, s[20:23], 0 offset:140 ; 4-byte Folded Reload
	s_waitcnt lgkmcnt(0)
	v_mul_f64 v[103:104], v[101:102], v[105:106]
	v_fma_f64 v[103:104], v[99:100], v[97:98], -v[103:104]
	v_mul_f64 v[99:100], v[99:100], v[105:106]
	v_fma_f64 v[99:100], v[101:102], v[97:98], v[99:100]
	s_waitcnt vmcnt(2)
	v_add_f64 v[69:70], v[69:70], -v[103:104]
	s_waitcnt vmcnt(0)
	v_add_f64 v[71:72], v[71:72], -v[99:100]
	buffer_store_dword v69, off, s[20:23], 0 offset:128 ; 4-byte Folded Spill
	s_nop 0
	buffer_store_dword v70, off, s[20:23], 0 offset:132 ; 4-byte Folded Spill
	buffer_store_dword v71, off, s[20:23], 0 offset:136 ; 4-byte Folded Spill
	buffer_store_dword v72, off, s[20:23], 0 offset:140 ; 4-byte Folded Spill
	ds_read2_b64 v[99:102], v125 offset0:32 offset1:33
	buffer_load_dword v69, off, s[20:23], 0 offset:112 ; 4-byte Folded Reload
	buffer_load_dword v70, off, s[20:23], 0 offset:116 ; 4-byte Folded Reload
	buffer_load_dword v71, off, s[20:23], 0 offset:120 ; 4-byte Folded Reload
	buffer_load_dword v72, off, s[20:23], 0 offset:124 ; 4-byte Folded Reload
	s_waitcnt lgkmcnt(0)
	v_mul_f64 v[103:104], v[101:102], v[105:106]
	v_fma_f64 v[103:104], v[99:100], v[97:98], -v[103:104]
	v_mul_f64 v[99:100], v[99:100], v[105:106]
	v_fma_f64 v[99:100], v[101:102], v[97:98], v[99:100]
	s_waitcnt vmcnt(2)
	v_add_f64 v[69:70], v[69:70], -v[103:104]
	s_waitcnt vmcnt(0)
	v_add_f64 v[71:72], v[71:72], -v[99:100]
	buffer_store_dword v69, off, s[20:23], 0 offset:112 ; 4-byte Folded Spill
	s_nop 0
	buffer_store_dword v70, off, s[20:23], 0 offset:116 ; 4-byte Folded Spill
	buffer_store_dword v71, off, s[20:23], 0 offset:120 ; 4-byte Folded Spill
	buffer_store_dword v72, off, s[20:23], 0 offset:124 ; 4-byte Folded Spill
	ds_read2_b64 v[99:102], v125 offset0:34 offset1:35
	buffer_load_dword v69, off, s[20:23], 0 offset:96 ; 4-byte Folded Reload
	buffer_load_dword v70, off, s[20:23], 0 offset:100 ; 4-byte Folded Reload
	buffer_load_dword v71, off, s[20:23], 0 offset:104 ; 4-byte Folded Reload
	buffer_load_dword v72, off, s[20:23], 0 offset:108 ; 4-byte Folded Reload
	s_waitcnt lgkmcnt(0)
	v_mul_f64 v[103:104], v[101:102], v[105:106]
	v_fma_f64 v[103:104], v[99:100], v[97:98], -v[103:104]
	v_mul_f64 v[99:100], v[99:100], v[105:106]
	v_fma_f64 v[99:100], v[101:102], v[97:98], v[99:100]
	s_waitcnt vmcnt(2)
	v_add_f64 v[69:70], v[69:70], -v[103:104]
	s_waitcnt vmcnt(0)
	v_add_f64 v[71:72], v[71:72], -v[99:100]
	buffer_store_dword v69, off, s[20:23], 0 offset:96 ; 4-byte Folded Spill
	s_nop 0
	buffer_store_dword v70, off, s[20:23], 0 offset:100 ; 4-byte Folded Spill
	buffer_store_dword v71, off, s[20:23], 0 offset:104 ; 4-byte Folded Spill
	buffer_store_dword v72, off, s[20:23], 0 offset:108 ; 4-byte Folded Spill
	ds_read2_b64 v[99:102], v125 offset0:36 offset1:37
	buffer_load_dword v69, off, s[20:23], 0 offset:80 ; 4-byte Folded Reload
	buffer_load_dword v70, off, s[20:23], 0 offset:84 ; 4-byte Folded Reload
	buffer_load_dword v71, off, s[20:23], 0 offset:88 ; 4-byte Folded Reload
	buffer_load_dword v72, off, s[20:23], 0 offset:92 ; 4-byte Folded Reload
	s_waitcnt lgkmcnt(0)
	v_mul_f64 v[103:104], v[101:102], v[105:106]
	v_fma_f64 v[103:104], v[99:100], v[97:98], -v[103:104]
	v_mul_f64 v[99:100], v[99:100], v[105:106]
	v_fma_f64 v[99:100], v[101:102], v[97:98], v[99:100]
	s_waitcnt vmcnt(2)
	v_add_f64 v[69:70], v[69:70], -v[103:104]
	s_waitcnt vmcnt(0)
	v_add_f64 v[71:72], v[71:72], -v[99:100]
	buffer_store_dword v69, off, s[20:23], 0 offset:80 ; 4-byte Folded Spill
	s_nop 0
	buffer_store_dword v70, off, s[20:23], 0 offset:84 ; 4-byte Folded Spill
	buffer_store_dword v71, off, s[20:23], 0 offset:88 ; 4-byte Folded Spill
	buffer_store_dword v72, off, s[20:23], 0 offset:92 ; 4-byte Folded Spill
	ds_read2_b64 v[99:102], v125 offset0:38 offset1:39
	buffer_load_dword v69, off, s[20:23], 0 offset:64 ; 4-byte Folded Reload
	buffer_load_dword v70, off, s[20:23], 0 offset:68 ; 4-byte Folded Reload
	buffer_load_dword v71, off, s[20:23], 0 offset:72 ; 4-byte Folded Reload
	buffer_load_dword v72, off, s[20:23], 0 offset:76 ; 4-byte Folded Reload
	s_waitcnt lgkmcnt(0)
	v_mul_f64 v[103:104], v[101:102], v[105:106]
	v_fma_f64 v[103:104], v[99:100], v[97:98], -v[103:104]
	v_mul_f64 v[99:100], v[99:100], v[105:106]
	v_fma_f64 v[99:100], v[101:102], v[97:98], v[99:100]
	s_waitcnt vmcnt(2)
	v_add_f64 v[69:70], v[69:70], -v[103:104]
	s_waitcnt vmcnt(0)
	v_add_f64 v[71:72], v[71:72], -v[99:100]
	buffer_store_dword v69, off, s[20:23], 0 offset:64 ; 4-byte Folded Spill
	s_nop 0
	buffer_store_dword v70, off, s[20:23], 0 offset:68 ; 4-byte Folded Spill
	buffer_store_dword v71, off, s[20:23], 0 offset:72 ; 4-byte Folded Spill
	buffer_store_dword v72, off, s[20:23], 0 offset:76 ; 4-byte Folded Spill
	ds_read2_b64 v[99:102], v125 offset0:40 offset1:41
	buffer_load_dword v69, off, s[20:23], 0 offset:48 ; 4-byte Folded Reload
	buffer_load_dword v70, off, s[20:23], 0 offset:52 ; 4-byte Folded Reload
	buffer_load_dword v71, off, s[20:23], 0 offset:56 ; 4-byte Folded Reload
	buffer_load_dword v72, off, s[20:23], 0 offset:60 ; 4-byte Folded Reload
	s_waitcnt lgkmcnt(0)
	v_mul_f64 v[103:104], v[101:102], v[105:106]
	v_fma_f64 v[103:104], v[99:100], v[97:98], -v[103:104]
	v_mul_f64 v[99:100], v[99:100], v[105:106]
	v_fma_f64 v[99:100], v[101:102], v[97:98], v[99:100]
	s_waitcnt vmcnt(2)
	v_add_f64 v[69:70], v[69:70], -v[103:104]
	s_waitcnt vmcnt(0)
	v_add_f64 v[71:72], v[71:72], -v[99:100]
	buffer_store_dword v69, off, s[20:23], 0 offset:48 ; 4-byte Folded Spill
	s_nop 0
	buffer_store_dword v70, off, s[20:23], 0 offset:52 ; 4-byte Folded Spill
	buffer_store_dword v71, off, s[20:23], 0 offset:56 ; 4-byte Folded Spill
	buffer_store_dword v72, off, s[20:23], 0 offset:60 ; 4-byte Folded Spill
	ds_read2_b64 v[99:102], v125 offset0:42 offset1:43
	v_mov_b32_e32 v69, v73
	v_mov_b32_e32 v70, v74
	;; [unrolled: 1-line block ×4, first 2 shown]
	s_waitcnt lgkmcnt(0)
	v_mul_f64 v[103:104], v[101:102], v[105:106]
	v_fma_f64 v[103:104], v[99:100], v[97:98], -v[103:104]
	v_mul_f64 v[99:100], v[99:100], v[105:106]
	v_add_f64 v[121:122], v[121:122], -v[103:104]
	v_fma_f64 v[99:100], v[101:102], v[97:98], v[99:100]
	v_add_f64 v[123:124], v[123:124], -v[99:100]
	ds_read2_b64 v[99:102], v125 offset0:44 offset1:45
	s_waitcnt lgkmcnt(0)
	v_mul_f64 v[103:104], v[101:102], v[105:106]
	v_fma_f64 v[103:104], v[99:100], v[97:98], -v[103:104]
	v_mul_f64 v[99:100], v[99:100], v[105:106]
	v_add_f64 v[117:118], v[117:118], -v[103:104]
	v_fma_f64 v[99:100], v[101:102], v[97:98], v[99:100]
	v_add_f64 v[119:120], v[119:120], -v[99:100]
	ds_read2_b64 v[99:102], v125 offset0:46 offset1:47
	s_waitcnt lgkmcnt(0)
	v_mul_f64 v[103:104], v[101:102], v[105:106]
	v_fma_f64 v[103:104], v[99:100], v[97:98], -v[103:104]
	v_mul_f64 v[99:100], v[99:100], v[105:106]
	v_add_f64 v[109:110], v[109:110], -v[103:104]
	v_fma_f64 v[99:100], v[101:102], v[97:98], v[99:100]
	v_add_f64 v[111:112], v[111:112], -v[99:100]
	ds_read2_b64 v[99:102], v125 offset0:48 offset1:49
	s_waitcnt lgkmcnt(0)
	v_mul_f64 v[103:104], v[101:102], v[105:106]
	v_fma_f64 v[103:104], v[99:100], v[97:98], -v[103:104]
	v_mul_f64 v[99:100], v[99:100], v[105:106]
	v_add_f64 v[113:114], v[113:114], -v[103:104]
	v_fma_f64 v[99:100], v[101:102], v[97:98], v[99:100]
	v_add_f64 v[115:116], v[115:116], -v[99:100]
	ds_read2_b64 v[99:102], v125 offset0:50 offset1:51
	s_waitcnt lgkmcnt(0)
	v_mul_f64 v[103:104], v[101:102], v[105:106]
	v_fma_f64 v[103:104], v[99:100], v[97:98], -v[103:104]
	v_mul_f64 v[99:100], v[99:100], v[105:106]
	v_add_f64 v[93:94], v[93:94], -v[103:104]
	v_fma_f64 v[99:100], v[101:102], v[97:98], v[99:100]
	v_add_f64 v[95:96], v[95:96], -v[99:100]
	ds_read2_b64 v[99:102], v125 offset0:52 offset1:53
	buffer_load_dword v77, off, s[20:23], 0 offset:32 ; 4-byte Folded Reload
	buffer_load_dword v78, off, s[20:23], 0 offset:36 ; 4-byte Folded Reload
	;; [unrolled: 1-line block ×4, first 2 shown]
	s_waitcnt lgkmcnt(0)
	v_mul_f64 v[103:104], v[101:102], v[105:106]
	v_fma_f64 v[103:104], v[99:100], v[97:98], -v[103:104]
	v_mul_f64 v[99:100], v[99:100], v[105:106]
	v_fma_f64 v[99:100], v[101:102], v[97:98], v[99:100]
	s_waitcnt vmcnt(2)
	v_add_f64 v[77:78], v[77:78], -v[103:104]
	s_waitcnt vmcnt(0)
	v_add_f64 v[79:80], v[79:80], -v[99:100]
	buffer_store_dword v77, off, s[20:23], 0 offset:32 ; 4-byte Folded Spill
	s_nop 0
	buffer_store_dword v78, off, s[20:23], 0 offset:36 ; 4-byte Folded Spill
	buffer_store_dword v79, off, s[20:23], 0 offset:40 ; 4-byte Folded Spill
	;; [unrolled: 1-line block ×3, first 2 shown]
	ds_read2_b64 v[99:102], v125 offset0:54 offset1:55
	buffer_load_dword v73, off, s[20:23], 0 offset:16 ; 4-byte Folded Reload
	buffer_load_dword v74, off, s[20:23], 0 offset:20 ; 4-byte Folded Reload
	;; [unrolled: 1-line block ×4, first 2 shown]
	s_waitcnt lgkmcnt(0)
	v_mul_f64 v[103:104], v[101:102], v[105:106]
	v_fma_f64 v[103:104], v[99:100], v[97:98], -v[103:104]
	v_mul_f64 v[99:100], v[99:100], v[105:106]
	v_fma_f64 v[99:100], v[101:102], v[97:98], v[99:100]
	s_waitcnt vmcnt(2)
	v_add_f64 v[73:74], v[73:74], -v[103:104]
	s_waitcnt vmcnt(0)
	v_add_f64 v[75:76], v[75:76], -v[99:100]
	buffer_store_dword v73, off, s[20:23], 0 offset:16 ; 4-byte Folded Spill
	s_nop 0
	buffer_store_dword v74, off, s[20:23], 0 offset:20 ; 4-byte Folded Spill
	buffer_store_dword v75, off, s[20:23], 0 offset:24 ; 4-byte Folded Spill
	;; [unrolled: 1-line block ×3, first 2 shown]
	v_mov_b32_e32 v76, v72
	v_mov_b32_e32 v75, v71
	;; [unrolled: 1-line block ×4, first 2 shown]
	ds_read2_b64 v[99:102], v125 offset0:56 offset1:57
	buffer_load_dword v69, off, s[20:23], 0 ; 4-byte Folded Reload
	buffer_load_dword v70, off, s[20:23], 0 offset:4 ; 4-byte Folded Reload
	buffer_load_dword v71, off, s[20:23], 0 offset:8 ; 4-byte Folded Reload
	;; [unrolled: 1-line block ×3, first 2 shown]
	s_waitcnt lgkmcnt(0)
	v_mul_f64 v[103:104], v[101:102], v[105:106]
	v_fma_f64 v[103:104], v[99:100], v[97:98], -v[103:104]
	v_mul_f64 v[99:100], v[99:100], v[105:106]
	v_fma_f64 v[99:100], v[101:102], v[97:98], v[99:100]
	s_waitcnt vmcnt(2)
	v_add_f64 v[69:70], v[69:70], -v[103:104]
	s_waitcnt vmcnt(0)
	v_add_f64 v[71:72], v[71:72], -v[99:100]
	buffer_store_dword v69, off, s[20:23], 0 ; 4-byte Folded Spill
	s_nop 0
	buffer_store_dword v70, off, s[20:23], 0 offset:4 ; 4-byte Folded Spill
	buffer_store_dword v71, off, s[20:23], 0 offset:8 ; 4-byte Folded Spill
	;; [unrolled: 1-line block ×3, first 2 shown]
	ds_read2_b64 v[99:102], v125 offset0:58 offset1:59
	s_waitcnt lgkmcnt(0)
	v_mul_f64 v[103:104], v[101:102], v[105:106]
	v_fma_f64 v[103:104], v[99:100], v[97:98], -v[103:104]
	v_mul_f64 v[99:100], v[99:100], v[105:106]
	v_add_f64 v[65:66], v[65:66], -v[103:104]
	v_fma_f64 v[99:100], v[101:102], v[97:98], v[99:100]
	v_add_f64 v[67:68], v[67:68], -v[99:100]
	ds_read2_b64 v[99:102], v125 offset0:60 offset1:61
	s_waitcnt lgkmcnt(0)
	v_mul_f64 v[103:104], v[101:102], v[105:106]
	v_fma_f64 v[103:104], v[99:100], v[97:98], -v[103:104]
	v_mul_f64 v[99:100], v[99:100], v[105:106]
	v_add_f64 v[61:62], v[61:62], -v[103:104]
	v_fma_f64 v[99:100], v[101:102], v[97:98], v[99:100]
	v_add_f64 v[63:64], v[63:64], -v[99:100]
	;; [unrolled: 8-line block ×17, first 2 shown]
	ds_read2_b64 v[99:102], v125 offset0:92 offset1:93
	s_waitcnt lgkmcnt(0)
	v_mul_f64 v[103:104], v[101:102], v[105:106]
	v_fma_f64 v[103:104], v[99:100], v[97:98], -v[103:104]
	v_mul_f64 v[99:100], v[99:100], v[105:106]
	v_add_f64 v[73:74], v[73:74], -v[103:104]
	v_fma_f64 v[99:100], v[101:102], v[97:98], v[99:100]
	v_mov_b32_e32 v104, v98
	v_mov_b32_e32 v103, v97
	buffer_store_dword v103, off, s[20:23], 0 offset:256 ; 4-byte Folded Spill
	s_nop 0
	buffer_store_dword v104, off, s[20:23], 0 offset:260 ; 4-byte Folded Spill
	buffer_store_dword v105, off, s[20:23], 0 offset:264 ; 4-byte Folded Spill
	;; [unrolled: 1-line block ×3, first 2 shown]
	v_add_f64 v[75:76], v[75:76], -v[99:100]
.LBB93_73:
	s_or_b64 exec, exec, s[2:3]
	v_cmp_eq_u32_e32 vcc, 8, v0
	s_waitcnt vmcnt(0)
	s_barrier
	s_and_saveexec_b64 s[4:5], vcc
	s_cbranch_execz .LBB93_80
; %bb.74:
	buffer_load_dword v69, off, s[20:23], 0 offset:240 ; 4-byte Folded Reload
	buffer_load_dword v70, off, s[20:23], 0 offset:244 ; 4-byte Folded Reload
	;; [unrolled: 1-line block ×4, first 2 shown]
	s_waitcnt vmcnt(0)
	ds_write2_b64 v127, v[69:70], v[71:72] offset1:1
	buffer_load_dword v69, off, s[20:23], 0 offset:224 ; 4-byte Folded Reload
	buffer_load_dword v70, off, s[20:23], 0 offset:228 ; 4-byte Folded Reload
	buffer_load_dword v71, off, s[20:23], 0 offset:232 ; 4-byte Folded Reload
	buffer_load_dword v72, off, s[20:23], 0 offset:236 ; 4-byte Folded Reload
	s_waitcnt vmcnt(0)
	ds_write2_b64 v125, v[69:70], v[71:72] offset0:18 offset1:19
	buffer_load_dword v69, off, s[20:23], 0 offset:208 ; 4-byte Folded Reload
	buffer_load_dword v70, off, s[20:23], 0 offset:212 ; 4-byte Folded Reload
	buffer_load_dword v71, off, s[20:23], 0 offset:216 ; 4-byte Folded Reload
	buffer_load_dword v72, off, s[20:23], 0 offset:220 ; 4-byte Folded Reload
	s_waitcnt vmcnt(0)
	ds_write2_b64 v125, v[69:70], v[71:72] offset0:20 offset1:21
	buffer_load_dword v69, off, s[20:23], 0 offset:192 ; 4-byte Folded Reload
	buffer_load_dword v70, off, s[20:23], 0 offset:196 ; 4-byte Folded Reload
	buffer_load_dword v71, off, s[20:23], 0 offset:200 ; 4-byte Folded Reload
	buffer_load_dword v72, off, s[20:23], 0 offset:204 ; 4-byte Folded Reload
	s_waitcnt vmcnt(0)
	ds_write2_b64 v125, v[69:70], v[71:72] offset0:22 offset1:23
	buffer_load_dword v69, off, s[20:23], 0 offset:176 ; 4-byte Folded Reload
	buffer_load_dword v70, off, s[20:23], 0 offset:180 ; 4-byte Folded Reload
	buffer_load_dword v71, off, s[20:23], 0 offset:184 ; 4-byte Folded Reload
	buffer_load_dword v72, off, s[20:23], 0 offset:188 ; 4-byte Folded Reload
	s_waitcnt vmcnt(0)
	ds_write2_b64 v125, v[69:70], v[71:72] offset0:24 offset1:25
	buffer_load_dword v69, off, s[20:23], 0 offset:160 ; 4-byte Folded Reload
	buffer_load_dword v70, off, s[20:23], 0 offset:164 ; 4-byte Folded Reload
	buffer_load_dword v71, off, s[20:23], 0 offset:168 ; 4-byte Folded Reload
	buffer_load_dword v72, off, s[20:23], 0 offset:172 ; 4-byte Folded Reload
	s_waitcnt vmcnt(0)
	ds_write2_b64 v125, v[69:70], v[71:72] offset0:26 offset1:27
	buffer_load_dword v69, off, s[20:23], 0 offset:144 ; 4-byte Folded Reload
	buffer_load_dword v70, off, s[20:23], 0 offset:148 ; 4-byte Folded Reload
	buffer_load_dword v71, off, s[20:23], 0 offset:152 ; 4-byte Folded Reload
	buffer_load_dword v72, off, s[20:23], 0 offset:156 ; 4-byte Folded Reload
	s_waitcnt vmcnt(0)
	ds_write2_b64 v125, v[69:70], v[71:72] offset0:28 offset1:29
	buffer_load_dword v69, off, s[20:23], 0 offset:128 ; 4-byte Folded Reload
	buffer_load_dword v70, off, s[20:23], 0 offset:132 ; 4-byte Folded Reload
	buffer_load_dword v71, off, s[20:23], 0 offset:136 ; 4-byte Folded Reload
	buffer_load_dword v72, off, s[20:23], 0 offset:140 ; 4-byte Folded Reload
	s_waitcnt vmcnt(0)
	ds_write2_b64 v125, v[69:70], v[71:72] offset0:30 offset1:31
	buffer_load_dword v69, off, s[20:23], 0 offset:112 ; 4-byte Folded Reload
	buffer_load_dword v70, off, s[20:23], 0 offset:116 ; 4-byte Folded Reload
	buffer_load_dword v71, off, s[20:23], 0 offset:120 ; 4-byte Folded Reload
	buffer_load_dword v72, off, s[20:23], 0 offset:124 ; 4-byte Folded Reload
	s_waitcnt vmcnt(0)
	ds_write2_b64 v125, v[69:70], v[71:72] offset0:32 offset1:33
	buffer_load_dword v69, off, s[20:23], 0 offset:96 ; 4-byte Folded Reload
	buffer_load_dword v70, off, s[20:23], 0 offset:100 ; 4-byte Folded Reload
	buffer_load_dword v71, off, s[20:23], 0 offset:104 ; 4-byte Folded Reload
	buffer_load_dword v72, off, s[20:23], 0 offset:108 ; 4-byte Folded Reload
	s_waitcnt vmcnt(0)
	ds_write2_b64 v125, v[69:70], v[71:72] offset0:34 offset1:35
	buffer_load_dword v69, off, s[20:23], 0 offset:80 ; 4-byte Folded Reload
	buffer_load_dword v70, off, s[20:23], 0 offset:84 ; 4-byte Folded Reload
	buffer_load_dword v71, off, s[20:23], 0 offset:88 ; 4-byte Folded Reload
	buffer_load_dword v72, off, s[20:23], 0 offset:92 ; 4-byte Folded Reload
	s_waitcnt vmcnt(0)
	ds_write2_b64 v125, v[69:70], v[71:72] offset0:36 offset1:37
	buffer_load_dword v69, off, s[20:23], 0 offset:64 ; 4-byte Folded Reload
	buffer_load_dword v70, off, s[20:23], 0 offset:68 ; 4-byte Folded Reload
	buffer_load_dword v71, off, s[20:23], 0 offset:72 ; 4-byte Folded Reload
	buffer_load_dword v72, off, s[20:23], 0 offset:76 ; 4-byte Folded Reload
	s_waitcnt vmcnt(0)
	ds_write2_b64 v125, v[69:70], v[71:72] offset0:38 offset1:39
	buffer_load_dword v69, off, s[20:23], 0 offset:48 ; 4-byte Folded Reload
	buffer_load_dword v70, off, s[20:23], 0 offset:52 ; 4-byte Folded Reload
	buffer_load_dword v71, off, s[20:23], 0 offset:56 ; 4-byte Folded Reload
	buffer_load_dword v72, off, s[20:23], 0 offset:60 ; 4-byte Folded Reload
	s_waitcnt vmcnt(0)
	ds_write2_b64 v125, v[69:70], v[71:72] offset0:40 offset1:41
	ds_write2_b64 v125, v[121:122], v[123:124] offset0:42 offset1:43
	ds_write2_b64 v125, v[117:118], v[119:120] offset0:44 offset1:45
	;; [unrolled: 1-line block ×5, first 2 shown]
	buffer_load_dword v77, off, s[20:23], 0 offset:32 ; 4-byte Folded Reload
	buffer_load_dword v78, off, s[20:23], 0 offset:36 ; 4-byte Folded Reload
	;; [unrolled: 1-line block ×4, first 2 shown]
	v_mov_b32_e32 v69, v73
	v_mov_b32_e32 v70, v74
	;; [unrolled: 1-line block ×4, first 2 shown]
	s_waitcnt vmcnt(0)
	ds_write2_b64 v125, v[77:78], v[79:80] offset0:52 offset1:53
	buffer_load_dword v73, off, s[20:23], 0 offset:16 ; 4-byte Folded Reload
	buffer_load_dword v74, off, s[20:23], 0 offset:20 ; 4-byte Folded Reload
	;; [unrolled: 1-line block ×4, first 2 shown]
	s_waitcnt vmcnt(0)
	ds_write2_b64 v125, v[73:74], v[75:76] offset0:54 offset1:55
	v_mov_b32_e32 v76, v72
	v_mov_b32_e32 v75, v71
	;; [unrolled: 1-line block ×4, first 2 shown]
	buffer_load_dword v69, off, s[20:23], 0 ; 4-byte Folded Reload
	buffer_load_dword v70, off, s[20:23], 0 offset:4 ; 4-byte Folded Reload
	buffer_load_dword v71, off, s[20:23], 0 offset:8 ; 4-byte Folded Reload
	;; [unrolled: 1-line block ×3, first 2 shown]
	s_waitcnt vmcnt(0)
	ds_write2_b64 v125, v[69:70], v[71:72] offset0:56 offset1:57
	ds_write2_b64 v125, v[65:66], v[67:68] offset0:58 offset1:59
	;; [unrolled: 1-line block ×19, first 2 shown]
	ds_read2_b64 v[97:100], v127 offset1:1
	s_waitcnt lgkmcnt(0)
	v_cmp_neq_f64_e32 vcc, 0, v[97:98]
	v_cmp_neq_f64_e64 s[2:3], 0, v[99:100]
	s_or_b64 s[2:3], vcc, s[2:3]
	s_and_b64 exec, exec, s[2:3]
	s_cbranch_execz .LBB93_80
; %bb.75:
	v_cmp_ngt_f64_e64 s[2:3], |v[97:98]|, |v[99:100]|
                                        ; implicit-def: $vgpr101_vgpr102
	s_and_saveexec_b64 s[6:7], s[2:3]
	s_xor_b64 s[2:3], exec, s[6:7]
                                        ; implicit-def: $vgpr103_vgpr104
	s_cbranch_execz .LBB93_77
; %bb.76:
	v_div_scale_f64 v[101:102], s[6:7], v[99:100], v[99:100], v[97:98]
	v_rcp_f64_e32 v[103:104], v[101:102]
	v_fma_f64 v[105:106], -v[101:102], v[103:104], 1.0
	v_fma_f64 v[103:104], v[103:104], v[105:106], v[103:104]
	v_div_scale_f64 v[105:106], vcc, v[97:98], v[99:100], v[97:98]
	v_fma_f64 v[107:108], -v[101:102], v[103:104], 1.0
	v_fma_f64 v[103:104], v[103:104], v[107:108], v[103:104]
	v_mul_f64 v[107:108], v[105:106], v[103:104]
	v_fma_f64 v[101:102], -v[101:102], v[107:108], v[105:106]
	v_div_fmas_f64 v[101:102], v[101:102], v[103:104], v[107:108]
	v_div_fixup_f64 v[101:102], v[101:102], v[99:100], v[97:98]
	v_fma_f64 v[97:98], v[97:98], v[101:102], v[99:100]
	v_div_scale_f64 v[99:100], s[6:7], v[97:98], v[97:98], 1.0
	v_div_scale_f64 v[107:108], vcc, 1.0, v[97:98], 1.0
	v_rcp_f64_e32 v[103:104], v[99:100]
	v_fma_f64 v[105:106], -v[99:100], v[103:104], 1.0
	v_fma_f64 v[103:104], v[103:104], v[105:106], v[103:104]
	v_fma_f64 v[105:106], -v[99:100], v[103:104], 1.0
	v_fma_f64 v[103:104], v[103:104], v[105:106], v[103:104]
	v_mul_f64 v[105:106], v[107:108], v[103:104]
	v_fma_f64 v[99:100], -v[99:100], v[105:106], v[107:108]
	v_div_fmas_f64 v[99:100], v[99:100], v[103:104], v[105:106]
	v_div_fixup_f64 v[103:104], v[99:100], v[97:98], 1.0
                                        ; implicit-def: $vgpr97_vgpr98
	v_mul_f64 v[101:102], v[101:102], v[103:104]
	v_xor_b32_e32 v104, 0x80000000, v104
.LBB93_77:
	s_andn2_saveexec_b64 s[2:3], s[2:3]
	s_cbranch_execz .LBB93_79
; %bb.78:
	v_div_scale_f64 v[101:102], s[6:7], v[97:98], v[97:98], v[99:100]
	v_rcp_f64_e32 v[103:104], v[101:102]
	v_fma_f64 v[105:106], -v[101:102], v[103:104], 1.0
	v_fma_f64 v[103:104], v[103:104], v[105:106], v[103:104]
	v_div_scale_f64 v[105:106], vcc, v[99:100], v[97:98], v[99:100]
	v_fma_f64 v[107:108], -v[101:102], v[103:104], 1.0
	v_fma_f64 v[103:104], v[103:104], v[107:108], v[103:104]
	v_mul_f64 v[107:108], v[105:106], v[103:104]
	v_fma_f64 v[101:102], -v[101:102], v[107:108], v[105:106]
	v_div_fmas_f64 v[101:102], v[101:102], v[103:104], v[107:108]
	v_div_fixup_f64 v[103:104], v[101:102], v[97:98], v[99:100]
	v_fma_f64 v[97:98], v[99:100], v[103:104], v[97:98]
	v_div_scale_f64 v[99:100], s[6:7], v[97:98], v[97:98], 1.0
	v_div_scale_f64 v[107:108], vcc, 1.0, v[97:98], 1.0
	v_rcp_f64_e32 v[101:102], v[99:100]
	v_fma_f64 v[105:106], -v[99:100], v[101:102], 1.0
	v_fma_f64 v[101:102], v[101:102], v[105:106], v[101:102]
	v_fma_f64 v[105:106], -v[99:100], v[101:102], 1.0
	v_fma_f64 v[101:102], v[101:102], v[105:106], v[101:102]
	v_mul_f64 v[105:106], v[107:108], v[101:102]
	v_fma_f64 v[99:100], -v[99:100], v[105:106], v[107:108]
	v_div_fmas_f64 v[99:100], v[99:100], v[101:102], v[105:106]
	v_div_fixup_f64 v[101:102], v[99:100], v[97:98], 1.0
	v_mul_f64 v[103:104], v[103:104], -v[101:102]
.LBB93_79:
	s_or_b64 exec, exec, s[2:3]
	ds_write2_b64 v127, v[101:102], v[103:104] offset1:1
.LBB93_80:
	s_or_b64 exec, exec, s[4:5]
	s_waitcnt lgkmcnt(0)
	s_barrier
	ds_read2_b64 v[69:72], v127 offset1:1
	v_cmp_lt_u32_e32 vcc, 8, v0
	s_waitcnt lgkmcnt(0)
	buffer_store_dword v69, off, s[20:23], 0 offset:880 ; 4-byte Folded Spill
	s_nop 0
	buffer_store_dword v70, off, s[20:23], 0 offset:884 ; 4-byte Folded Spill
	buffer_store_dword v71, off, s[20:23], 0 offset:888 ; 4-byte Folded Spill
	;; [unrolled: 1-line block ×3, first 2 shown]
	s_and_saveexec_b64 s[2:3], vcc
	s_cbranch_execz .LBB93_82
; %bb.81:
	buffer_load_dword v103, off, s[20:23], 0 offset:240 ; 4-byte Folded Reload
	buffer_load_dword v104, off, s[20:23], 0 offset:244 ; 4-byte Folded Reload
	;; [unrolled: 1-line block ×8, first 2 shown]
	s_waitcnt vmcnt(2)
	v_mul_f64 v[99:100], v[69:70], v[105:106]
	s_waitcnt vmcnt(0)
	v_mul_f64 v[97:98], v[71:72], v[105:106]
	v_fma_f64 v[105:106], v[71:72], v[103:104], v[99:100]
	ds_read2_b64 v[99:102], v125 offset0:18 offset1:19
	v_fma_f64 v[97:98], v[69:70], v[103:104], -v[97:98]
	buffer_load_dword v69, off, s[20:23], 0 offset:224 ; 4-byte Folded Reload
	buffer_load_dword v70, off, s[20:23], 0 offset:228 ; 4-byte Folded Reload
	buffer_load_dword v71, off, s[20:23], 0 offset:232 ; 4-byte Folded Reload
	buffer_load_dword v72, off, s[20:23], 0 offset:236 ; 4-byte Folded Reload
	s_waitcnt lgkmcnt(0)
	v_mul_f64 v[103:104], v[101:102], v[105:106]
	v_fma_f64 v[103:104], v[99:100], v[97:98], -v[103:104]
	v_mul_f64 v[99:100], v[99:100], v[105:106]
	v_fma_f64 v[99:100], v[101:102], v[97:98], v[99:100]
	s_waitcnt vmcnt(2)
	v_add_f64 v[69:70], v[69:70], -v[103:104]
	s_waitcnt vmcnt(0)
	v_add_f64 v[71:72], v[71:72], -v[99:100]
	buffer_store_dword v69, off, s[20:23], 0 offset:224 ; 4-byte Folded Spill
	s_nop 0
	buffer_store_dword v70, off, s[20:23], 0 offset:228 ; 4-byte Folded Spill
	buffer_store_dword v71, off, s[20:23], 0 offset:232 ; 4-byte Folded Spill
	buffer_store_dword v72, off, s[20:23], 0 offset:236 ; 4-byte Folded Spill
	ds_read2_b64 v[99:102], v125 offset0:20 offset1:21
	buffer_load_dword v69, off, s[20:23], 0 offset:208 ; 4-byte Folded Reload
	buffer_load_dword v70, off, s[20:23], 0 offset:212 ; 4-byte Folded Reload
	buffer_load_dword v71, off, s[20:23], 0 offset:216 ; 4-byte Folded Reload
	buffer_load_dword v72, off, s[20:23], 0 offset:220 ; 4-byte Folded Reload
	s_waitcnt lgkmcnt(0)
	v_mul_f64 v[103:104], v[101:102], v[105:106]
	v_fma_f64 v[103:104], v[99:100], v[97:98], -v[103:104]
	v_mul_f64 v[99:100], v[99:100], v[105:106]
	v_fma_f64 v[99:100], v[101:102], v[97:98], v[99:100]
	s_waitcnt vmcnt(2)
	v_add_f64 v[69:70], v[69:70], -v[103:104]
	s_waitcnt vmcnt(0)
	v_add_f64 v[71:72], v[71:72], -v[99:100]
	buffer_store_dword v69, off, s[20:23], 0 offset:208 ; 4-byte Folded Spill
	s_nop 0
	buffer_store_dword v70, off, s[20:23], 0 offset:212 ; 4-byte Folded Spill
	buffer_store_dword v71, off, s[20:23], 0 offset:216 ; 4-byte Folded Spill
	buffer_store_dword v72, off, s[20:23], 0 offset:220 ; 4-byte Folded Spill
	ds_read2_b64 v[99:102], v125 offset0:22 offset1:23
	;; [unrolled: 19-line block ×12, first 2 shown]
	v_mov_b32_e32 v69, v73
	v_mov_b32_e32 v70, v74
	v_mov_b32_e32 v71, v75
	v_mov_b32_e32 v72, v76
	s_waitcnt lgkmcnt(0)
	v_mul_f64 v[103:104], v[101:102], v[105:106]
	v_fma_f64 v[103:104], v[99:100], v[97:98], -v[103:104]
	v_mul_f64 v[99:100], v[99:100], v[105:106]
	v_add_f64 v[121:122], v[121:122], -v[103:104]
	v_fma_f64 v[99:100], v[101:102], v[97:98], v[99:100]
	v_add_f64 v[123:124], v[123:124], -v[99:100]
	ds_read2_b64 v[99:102], v125 offset0:44 offset1:45
	s_waitcnt lgkmcnt(0)
	v_mul_f64 v[103:104], v[101:102], v[105:106]
	v_fma_f64 v[103:104], v[99:100], v[97:98], -v[103:104]
	v_mul_f64 v[99:100], v[99:100], v[105:106]
	v_add_f64 v[117:118], v[117:118], -v[103:104]
	v_fma_f64 v[99:100], v[101:102], v[97:98], v[99:100]
	v_add_f64 v[119:120], v[119:120], -v[99:100]
	ds_read2_b64 v[99:102], v125 offset0:46 offset1:47
	;; [unrolled: 8-line block ×5, first 2 shown]
	buffer_load_dword v77, off, s[20:23], 0 offset:32 ; 4-byte Folded Reload
	buffer_load_dword v78, off, s[20:23], 0 offset:36 ; 4-byte Folded Reload
	;; [unrolled: 1-line block ×4, first 2 shown]
	s_waitcnt lgkmcnt(0)
	v_mul_f64 v[103:104], v[101:102], v[105:106]
	v_fma_f64 v[103:104], v[99:100], v[97:98], -v[103:104]
	v_mul_f64 v[99:100], v[99:100], v[105:106]
	v_fma_f64 v[99:100], v[101:102], v[97:98], v[99:100]
	s_waitcnt vmcnt(2)
	v_add_f64 v[77:78], v[77:78], -v[103:104]
	s_waitcnt vmcnt(0)
	v_add_f64 v[79:80], v[79:80], -v[99:100]
	buffer_store_dword v77, off, s[20:23], 0 offset:32 ; 4-byte Folded Spill
	s_nop 0
	buffer_store_dword v78, off, s[20:23], 0 offset:36 ; 4-byte Folded Spill
	buffer_store_dword v79, off, s[20:23], 0 offset:40 ; 4-byte Folded Spill
	;; [unrolled: 1-line block ×3, first 2 shown]
	ds_read2_b64 v[99:102], v125 offset0:54 offset1:55
	buffer_load_dword v73, off, s[20:23], 0 offset:16 ; 4-byte Folded Reload
	buffer_load_dword v74, off, s[20:23], 0 offset:20 ; 4-byte Folded Reload
	;; [unrolled: 1-line block ×4, first 2 shown]
	s_waitcnt lgkmcnt(0)
	v_mul_f64 v[103:104], v[101:102], v[105:106]
	v_fma_f64 v[103:104], v[99:100], v[97:98], -v[103:104]
	v_mul_f64 v[99:100], v[99:100], v[105:106]
	v_fma_f64 v[99:100], v[101:102], v[97:98], v[99:100]
	s_waitcnt vmcnt(2)
	v_add_f64 v[73:74], v[73:74], -v[103:104]
	s_waitcnt vmcnt(0)
	v_add_f64 v[75:76], v[75:76], -v[99:100]
	buffer_store_dword v73, off, s[20:23], 0 offset:16 ; 4-byte Folded Spill
	s_nop 0
	buffer_store_dword v74, off, s[20:23], 0 offset:20 ; 4-byte Folded Spill
	buffer_store_dword v75, off, s[20:23], 0 offset:24 ; 4-byte Folded Spill
	buffer_store_dword v76, off, s[20:23], 0 offset:28 ; 4-byte Folded Spill
	v_mov_b32_e32 v76, v72
	v_mov_b32_e32 v75, v71
	;; [unrolled: 1-line block ×4, first 2 shown]
	ds_read2_b64 v[99:102], v125 offset0:56 offset1:57
	buffer_load_dword v69, off, s[20:23], 0 ; 4-byte Folded Reload
	buffer_load_dword v70, off, s[20:23], 0 offset:4 ; 4-byte Folded Reload
	buffer_load_dword v71, off, s[20:23], 0 offset:8 ; 4-byte Folded Reload
	buffer_load_dword v72, off, s[20:23], 0 offset:12 ; 4-byte Folded Reload
	s_waitcnt lgkmcnt(0)
	v_mul_f64 v[103:104], v[101:102], v[105:106]
	v_fma_f64 v[103:104], v[99:100], v[97:98], -v[103:104]
	v_mul_f64 v[99:100], v[99:100], v[105:106]
	v_fma_f64 v[99:100], v[101:102], v[97:98], v[99:100]
	s_waitcnt vmcnt(2)
	v_add_f64 v[69:70], v[69:70], -v[103:104]
	s_waitcnt vmcnt(0)
	v_add_f64 v[71:72], v[71:72], -v[99:100]
	buffer_store_dword v69, off, s[20:23], 0 ; 4-byte Folded Spill
	s_nop 0
	buffer_store_dword v70, off, s[20:23], 0 offset:4 ; 4-byte Folded Spill
	buffer_store_dword v71, off, s[20:23], 0 offset:8 ; 4-byte Folded Spill
	;; [unrolled: 1-line block ×3, first 2 shown]
	ds_read2_b64 v[99:102], v125 offset0:58 offset1:59
	s_waitcnt lgkmcnt(0)
	v_mul_f64 v[103:104], v[101:102], v[105:106]
	v_fma_f64 v[103:104], v[99:100], v[97:98], -v[103:104]
	v_mul_f64 v[99:100], v[99:100], v[105:106]
	v_add_f64 v[65:66], v[65:66], -v[103:104]
	v_fma_f64 v[99:100], v[101:102], v[97:98], v[99:100]
	v_add_f64 v[67:68], v[67:68], -v[99:100]
	ds_read2_b64 v[99:102], v125 offset0:60 offset1:61
	s_waitcnt lgkmcnt(0)
	v_mul_f64 v[103:104], v[101:102], v[105:106]
	v_fma_f64 v[103:104], v[99:100], v[97:98], -v[103:104]
	v_mul_f64 v[99:100], v[99:100], v[105:106]
	v_add_f64 v[61:62], v[61:62], -v[103:104]
	v_fma_f64 v[99:100], v[101:102], v[97:98], v[99:100]
	v_add_f64 v[63:64], v[63:64], -v[99:100]
	;; [unrolled: 8-line block ×17, first 2 shown]
	ds_read2_b64 v[99:102], v125 offset0:92 offset1:93
	s_waitcnt lgkmcnt(0)
	v_mul_f64 v[103:104], v[101:102], v[105:106]
	v_fma_f64 v[103:104], v[99:100], v[97:98], -v[103:104]
	v_mul_f64 v[99:100], v[99:100], v[105:106]
	v_add_f64 v[73:74], v[73:74], -v[103:104]
	v_fma_f64 v[99:100], v[101:102], v[97:98], v[99:100]
	v_mov_b32_e32 v104, v98
	v_mov_b32_e32 v103, v97
	buffer_store_dword v103, off, s[20:23], 0 offset:240 ; 4-byte Folded Spill
	s_nop 0
	buffer_store_dword v104, off, s[20:23], 0 offset:244 ; 4-byte Folded Spill
	buffer_store_dword v105, off, s[20:23], 0 offset:248 ; 4-byte Folded Spill
	;; [unrolled: 1-line block ×3, first 2 shown]
	v_add_f64 v[75:76], v[75:76], -v[99:100]
.LBB93_82:
	s_or_b64 exec, exec, s[2:3]
	v_cmp_eq_u32_e32 vcc, 9, v0
	s_waitcnt vmcnt(0)
	s_barrier
	s_and_saveexec_b64 s[4:5], vcc
	s_cbranch_execz .LBB93_89
; %bb.83:
	buffer_load_dword v69, off, s[20:23], 0 offset:224 ; 4-byte Folded Reload
	buffer_load_dword v70, off, s[20:23], 0 offset:228 ; 4-byte Folded Reload
	;; [unrolled: 1-line block ×4, first 2 shown]
	s_waitcnt vmcnt(0)
	ds_write2_b64 v127, v[69:70], v[71:72] offset1:1
	buffer_load_dword v69, off, s[20:23], 0 offset:208 ; 4-byte Folded Reload
	buffer_load_dword v70, off, s[20:23], 0 offset:212 ; 4-byte Folded Reload
	buffer_load_dword v71, off, s[20:23], 0 offset:216 ; 4-byte Folded Reload
	buffer_load_dword v72, off, s[20:23], 0 offset:220 ; 4-byte Folded Reload
	s_waitcnt vmcnt(0)
	ds_write2_b64 v125, v[69:70], v[71:72] offset0:20 offset1:21
	buffer_load_dword v69, off, s[20:23], 0 offset:192 ; 4-byte Folded Reload
	buffer_load_dword v70, off, s[20:23], 0 offset:196 ; 4-byte Folded Reload
	buffer_load_dword v71, off, s[20:23], 0 offset:200 ; 4-byte Folded Reload
	buffer_load_dword v72, off, s[20:23], 0 offset:204 ; 4-byte Folded Reload
	s_waitcnt vmcnt(0)
	ds_write2_b64 v125, v[69:70], v[71:72] offset0:22 offset1:23
	;; [unrolled: 6-line block ×11, first 2 shown]
	ds_write2_b64 v125, v[121:122], v[123:124] offset0:42 offset1:43
	ds_write2_b64 v125, v[117:118], v[119:120] offset0:44 offset1:45
	;; [unrolled: 1-line block ×5, first 2 shown]
	buffer_load_dword v77, off, s[20:23], 0 offset:32 ; 4-byte Folded Reload
	buffer_load_dword v78, off, s[20:23], 0 offset:36 ; 4-byte Folded Reload
	;; [unrolled: 1-line block ×4, first 2 shown]
	v_mov_b32_e32 v69, v73
	v_mov_b32_e32 v70, v74
	;; [unrolled: 1-line block ×4, first 2 shown]
	s_waitcnt vmcnt(0)
	ds_write2_b64 v125, v[77:78], v[79:80] offset0:52 offset1:53
	buffer_load_dword v73, off, s[20:23], 0 offset:16 ; 4-byte Folded Reload
	buffer_load_dword v74, off, s[20:23], 0 offset:20 ; 4-byte Folded Reload
	;; [unrolled: 1-line block ×4, first 2 shown]
	s_waitcnt vmcnt(0)
	ds_write2_b64 v125, v[73:74], v[75:76] offset0:54 offset1:55
	v_mov_b32_e32 v76, v72
	v_mov_b32_e32 v75, v71
	v_mov_b32_e32 v74, v70
	v_mov_b32_e32 v73, v69
	buffer_load_dword v69, off, s[20:23], 0 ; 4-byte Folded Reload
	buffer_load_dword v70, off, s[20:23], 0 offset:4 ; 4-byte Folded Reload
	buffer_load_dword v71, off, s[20:23], 0 offset:8 ; 4-byte Folded Reload
	;; [unrolled: 1-line block ×3, first 2 shown]
	s_waitcnt vmcnt(0)
	ds_write2_b64 v125, v[69:70], v[71:72] offset0:56 offset1:57
	ds_write2_b64 v125, v[65:66], v[67:68] offset0:58 offset1:59
	;; [unrolled: 1-line block ×19, first 2 shown]
	ds_read2_b64 v[97:100], v127 offset1:1
	s_waitcnt lgkmcnt(0)
	v_cmp_neq_f64_e32 vcc, 0, v[97:98]
	v_cmp_neq_f64_e64 s[2:3], 0, v[99:100]
	s_or_b64 s[2:3], vcc, s[2:3]
	s_and_b64 exec, exec, s[2:3]
	s_cbranch_execz .LBB93_89
; %bb.84:
	v_cmp_ngt_f64_e64 s[2:3], |v[97:98]|, |v[99:100]|
                                        ; implicit-def: $vgpr101_vgpr102
	s_and_saveexec_b64 s[6:7], s[2:3]
	s_xor_b64 s[2:3], exec, s[6:7]
                                        ; implicit-def: $vgpr103_vgpr104
	s_cbranch_execz .LBB93_86
; %bb.85:
	v_div_scale_f64 v[101:102], s[6:7], v[99:100], v[99:100], v[97:98]
	v_rcp_f64_e32 v[103:104], v[101:102]
	v_fma_f64 v[105:106], -v[101:102], v[103:104], 1.0
	v_fma_f64 v[103:104], v[103:104], v[105:106], v[103:104]
	v_div_scale_f64 v[105:106], vcc, v[97:98], v[99:100], v[97:98]
	v_fma_f64 v[107:108], -v[101:102], v[103:104], 1.0
	v_fma_f64 v[103:104], v[103:104], v[107:108], v[103:104]
	v_mul_f64 v[107:108], v[105:106], v[103:104]
	v_fma_f64 v[101:102], -v[101:102], v[107:108], v[105:106]
	v_div_fmas_f64 v[101:102], v[101:102], v[103:104], v[107:108]
	v_div_fixup_f64 v[101:102], v[101:102], v[99:100], v[97:98]
	v_fma_f64 v[97:98], v[97:98], v[101:102], v[99:100]
	v_div_scale_f64 v[99:100], s[6:7], v[97:98], v[97:98], 1.0
	v_div_scale_f64 v[107:108], vcc, 1.0, v[97:98], 1.0
	v_rcp_f64_e32 v[103:104], v[99:100]
	v_fma_f64 v[105:106], -v[99:100], v[103:104], 1.0
	v_fma_f64 v[103:104], v[103:104], v[105:106], v[103:104]
	v_fma_f64 v[105:106], -v[99:100], v[103:104], 1.0
	v_fma_f64 v[103:104], v[103:104], v[105:106], v[103:104]
	v_mul_f64 v[105:106], v[107:108], v[103:104]
	v_fma_f64 v[99:100], -v[99:100], v[105:106], v[107:108]
	v_div_fmas_f64 v[99:100], v[99:100], v[103:104], v[105:106]
	v_div_fixup_f64 v[103:104], v[99:100], v[97:98], 1.0
                                        ; implicit-def: $vgpr97_vgpr98
	v_mul_f64 v[101:102], v[101:102], v[103:104]
	v_xor_b32_e32 v104, 0x80000000, v104
.LBB93_86:
	s_andn2_saveexec_b64 s[2:3], s[2:3]
	s_cbranch_execz .LBB93_88
; %bb.87:
	v_div_scale_f64 v[101:102], s[6:7], v[97:98], v[97:98], v[99:100]
	v_rcp_f64_e32 v[103:104], v[101:102]
	v_fma_f64 v[105:106], -v[101:102], v[103:104], 1.0
	v_fma_f64 v[103:104], v[103:104], v[105:106], v[103:104]
	v_div_scale_f64 v[105:106], vcc, v[99:100], v[97:98], v[99:100]
	v_fma_f64 v[107:108], -v[101:102], v[103:104], 1.0
	v_fma_f64 v[103:104], v[103:104], v[107:108], v[103:104]
	v_mul_f64 v[107:108], v[105:106], v[103:104]
	v_fma_f64 v[101:102], -v[101:102], v[107:108], v[105:106]
	v_div_fmas_f64 v[101:102], v[101:102], v[103:104], v[107:108]
	v_div_fixup_f64 v[103:104], v[101:102], v[97:98], v[99:100]
	v_fma_f64 v[97:98], v[99:100], v[103:104], v[97:98]
	v_div_scale_f64 v[99:100], s[6:7], v[97:98], v[97:98], 1.0
	v_div_scale_f64 v[107:108], vcc, 1.0, v[97:98], 1.0
	v_rcp_f64_e32 v[101:102], v[99:100]
	v_fma_f64 v[105:106], -v[99:100], v[101:102], 1.0
	v_fma_f64 v[101:102], v[101:102], v[105:106], v[101:102]
	v_fma_f64 v[105:106], -v[99:100], v[101:102], 1.0
	v_fma_f64 v[101:102], v[101:102], v[105:106], v[101:102]
	v_mul_f64 v[105:106], v[107:108], v[101:102]
	v_fma_f64 v[99:100], -v[99:100], v[105:106], v[107:108]
	v_div_fmas_f64 v[99:100], v[99:100], v[101:102], v[105:106]
	v_div_fixup_f64 v[101:102], v[99:100], v[97:98], 1.0
	v_mul_f64 v[103:104], v[103:104], -v[101:102]
.LBB93_88:
	s_or_b64 exec, exec, s[2:3]
	ds_write2_b64 v127, v[101:102], v[103:104] offset1:1
.LBB93_89:
	s_or_b64 exec, exec, s[4:5]
	s_waitcnt lgkmcnt(0)
	s_barrier
	ds_read2_b64 v[69:72], v127 offset1:1
	v_cmp_lt_u32_e32 vcc, 9, v0
	s_waitcnt lgkmcnt(0)
	buffer_store_dword v69, off, s[20:23], 0 offset:896 ; 4-byte Folded Spill
	s_nop 0
	buffer_store_dword v70, off, s[20:23], 0 offset:900 ; 4-byte Folded Spill
	buffer_store_dword v71, off, s[20:23], 0 offset:904 ; 4-byte Folded Spill
	;; [unrolled: 1-line block ×3, first 2 shown]
	s_and_saveexec_b64 s[2:3], vcc
	s_cbranch_execz .LBB93_91
; %bb.90:
	buffer_load_dword v103, off, s[20:23], 0 offset:224 ; 4-byte Folded Reload
	buffer_load_dword v104, off, s[20:23], 0 offset:228 ; 4-byte Folded Reload
	;; [unrolled: 1-line block ×8, first 2 shown]
	s_waitcnt vmcnt(2)
	v_mul_f64 v[99:100], v[69:70], v[105:106]
	s_waitcnt vmcnt(0)
	v_mul_f64 v[97:98], v[71:72], v[105:106]
	v_fma_f64 v[105:106], v[71:72], v[103:104], v[99:100]
	ds_read2_b64 v[99:102], v125 offset0:20 offset1:21
	v_fma_f64 v[97:98], v[69:70], v[103:104], -v[97:98]
	buffer_load_dword v69, off, s[20:23], 0 offset:208 ; 4-byte Folded Reload
	buffer_load_dword v70, off, s[20:23], 0 offset:212 ; 4-byte Folded Reload
	buffer_load_dword v71, off, s[20:23], 0 offset:216 ; 4-byte Folded Reload
	buffer_load_dword v72, off, s[20:23], 0 offset:220 ; 4-byte Folded Reload
	s_waitcnt lgkmcnt(0)
	v_mul_f64 v[103:104], v[101:102], v[105:106]
	v_fma_f64 v[103:104], v[99:100], v[97:98], -v[103:104]
	v_mul_f64 v[99:100], v[99:100], v[105:106]
	v_fma_f64 v[99:100], v[101:102], v[97:98], v[99:100]
	s_waitcnt vmcnt(2)
	v_add_f64 v[69:70], v[69:70], -v[103:104]
	s_waitcnt vmcnt(0)
	v_add_f64 v[71:72], v[71:72], -v[99:100]
	buffer_store_dword v69, off, s[20:23], 0 offset:208 ; 4-byte Folded Spill
	s_nop 0
	buffer_store_dword v70, off, s[20:23], 0 offset:212 ; 4-byte Folded Spill
	buffer_store_dword v71, off, s[20:23], 0 offset:216 ; 4-byte Folded Spill
	buffer_store_dword v72, off, s[20:23], 0 offset:220 ; 4-byte Folded Spill
	ds_read2_b64 v[99:102], v125 offset0:22 offset1:23
	buffer_load_dword v69, off, s[20:23], 0 offset:192 ; 4-byte Folded Reload
	buffer_load_dword v70, off, s[20:23], 0 offset:196 ; 4-byte Folded Reload
	buffer_load_dword v71, off, s[20:23], 0 offset:200 ; 4-byte Folded Reload
	buffer_load_dword v72, off, s[20:23], 0 offset:204 ; 4-byte Folded Reload
	s_waitcnt lgkmcnt(0)
	v_mul_f64 v[103:104], v[101:102], v[105:106]
	v_fma_f64 v[103:104], v[99:100], v[97:98], -v[103:104]
	v_mul_f64 v[99:100], v[99:100], v[105:106]
	v_fma_f64 v[99:100], v[101:102], v[97:98], v[99:100]
	s_waitcnt vmcnt(2)
	v_add_f64 v[69:70], v[69:70], -v[103:104]
	s_waitcnt vmcnt(0)
	v_add_f64 v[71:72], v[71:72], -v[99:100]
	buffer_store_dword v69, off, s[20:23], 0 offset:192 ; 4-byte Folded Spill
	s_nop 0
	buffer_store_dword v70, off, s[20:23], 0 offset:196 ; 4-byte Folded Spill
	buffer_store_dword v71, off, s[20:23], 0 offset:200 ; 4-byte Folded Spill
	buffer_store_dword v72, off, s[20:23], 0 offset:204 ; 4-byte Folded Spill
	ds_read2_b64 v[99:102], v125 offset0:24 offset1:25
	;; [unrolled: 19-line block ×11, first 2 shown]
	v_mov_b32_e32 v69, v73
	v_mov_b32_e32 v70, v74
	;; [unrolled: 1-line block ×4, first 2 shown]
	s_waitcnt lgkmcnt(0)
	v_mul_f64 v[103:104], v[101:102], v[105:106]
	v_fma_f64 v[103:104], v[99:100], v[97:98], -v[103:104]
	v_mul_f64 v[99:100], v[99:100], v[105:106]
	v_add_f64 v[121:122], v[121:122], -v[103:104]
	v_fma_f64 v[99:100], v[101:102], v[97:98], v[99:100]
	v_add_f64 v[123:124], v[123:124], -v[99:100]
	ds_read2_b64 v[99:102], v125 offset0:44 offset1:45
	s_waitcnt lgkmcnt(0)
	v_mul_f64 v[103:104], v[101:102], v[105:106]
	v_fma_f64 v[103:104], v[99:100], v[97:98], -v[103:104]
	v_mul_f64 v[99:100], v[99:100], v[105:106]
	v_add_f64 v[117:118], v[117:118], -v[103:104]
	v_fma_f64 v[99:100], v[101:102], v[97:98], v[99:100]
	v_add_f64 v[119:120], v[119:120], -v[99:100]
	ds_read2_b64 v[99:102], v125 offset0:46 offset1:47
	;; [unrolled: 8-line block ×5, first 2 shown]
	buffer_load_dword v77, off, s[20:23], 0 offset:32 ; 4-byte Folded Reload
	buffer_load_dword v78, off, s[20:23], 0 offset:36 ; 4-byte Folded Reload
	;; [unrolled: 1-line block ×4, first 2 shown]
	s_waitcnt lgkmcnt(0)
	v_mul_f64 v[103:104], v[101:102], v[105:106]
	v_fma_f64 v[103:104], v[99:100], v[97:98], -v[103:104]
	v_mul_f64 v[99:100], v[99:100], v[105:106]
	v_fma_f64 v[99:100], v[101:102], v[97:98], v[99:100]
	s_waitcnt vmcnt(2)
	v_add_f64 v[77:78], v[77:78], -v[103:104]
	s_waitcnt vmcnt(0)
	v_add_f64 v[79:80], v[79:80], -v[99:100]
	buffer_store_dword v77, off, s[20:23], 0 offset:32 ; 4-byte Folded Spill
	s_nop 0
	buffer_store_dword v78, off, s[20:23], 0 offset:36 ; 4-byte Folded Spill
	buffer_store_dword v79, off, s[20:23], 0 offset:40 ; 4-byte Folded Spill
	;; [unrolled: 1-line block ×3, first 2 shown]
	ds_read2_b64 v[99:102], v125 offset0:54 offset1:55
	buffer_load_dword v73, off, s[20:23], 0 offset:16 ; 4-byte Folded Reload
	buffer_load_dword v74, off, s[20:23], 0 offset:20 ; 4-byte Folded Reload
	;; [unrolled: 1-line block ×4, first 2 shown]
	s_waitcnt lgkmcnt(0)
	v_mul_f64 v[103:104], v[101:102], v[105:106]
	v_fma_f64 v[103:104], v[99:100], v[97:98], -v[103:104]
	v_mul_f64 v[99:100], v[99:100], v[105:106]
	v_fma_f64 v[99:100], v[101:102], v[97:98], v[99:100]
	s_waitcnt vmcnt(2)
	v_add_f64 v[73:74], v[73:74], -v[103:104]
	s_waitcnt vmcnt(0)
	v_add_f64 v[75:76], v[75:76], -v[99:100]
	buffer_store_dword v73, off, s[20:23], 0 offset:16 ; 4-byte Folded Spill
	s_nop 0
	buffer_store_dword v74, off, s[20:23], 0 offset:20 ; 4-byte Folded Spill
	buffer_store_dword v75, off, s[20:23], 0 offset:24 ; 4-byte Folded Spill
	;; [unrolled: 1-line block ×3, first 2 shown]
	v_mov_b32_e32 v76, v72
	v_mov_b32_e32 v75, v71
	;; [unrolled: 1-line block ×4, first 2 shown]
	ds_read2_b64 v[99:102], v125 offset0:56 offset1:57
	buffer_load_dword v69, off, s[20:23], 0 ; 4-byte Folded Reload
	buffer_load_dword v70, off, s[20:23], 0 offset:4 ; 4-byte Folded Reload
	buffer_load_dword v71, off, s[20:23], 0 offset:8 ; 4-byte Folded Reload
	;; [unrolled: 1-line block ×3, first 2 shown]
	s_waitcnt lgkmcnt(0)
	v_mul_f64 v[103:104], v[101:102], v[105:106]
	v_fma_f64 v[103:104], v[99:100], v[97:98], -v[103:104]
	v_mul_f64 v[99:100], v[99:100], v[105:106]
	v_fma_f64 v[99:100], v[101:102], v[97:98], v[99:100]
	s_waitcnt vmcnt(2)
	v_add_f64 v[69:70], v[69:70], -v[103:104]
	s_waitcnt vmcnt(0)
	v_add_f64 v[71:72], v[71:72], -v[99:100]
	buffer_store_dword v69, off, s[20:23], 0 ; 4-byte Folded Spill
	s_nop 0
	buffer_store_dword v70, off, s[20:23], 0 offset:4 ; 4-byte Folded Spill
	buffer_store_dword v71, off, s[20:23], 0 offset:8 ; 4-byte Folded Spill
	buffer_store_dword v72, off, s[20:23], 0 offset:12 ; 4-byte Folded Spill
	ds_read2_b64 v[99:102], v125 offset0:58 offset1:59
	s_waitcnt lgkmcnt(0)
	v_mul_f64 v[103:104], v[101:102], v[105:106]
	v_fma_f64 v[103:104], v[99:100], v[97:98], -v[103:104]
	v_mul_f64 v[99:100], v[99:100], v[105:106]
	v_add_f64 v[65:66], v[65:66], -v[103:104]
	v_fma_f64 v[99:100], v[101:102], v[97:98], v[99:100]
	v_add_f64 v[67:68], v[67:68], -v[99:100]
	ds_read2_b64 v[99:102], v125 offset0:60 offset1:61
	s_waitcnt lgkmcnt(0)
	v_mul_f64 v[103:104], v[101:102], v[105:106]
	v_fma_f64 v[103:104], v[99:100], v[97:98], -v[103:104]
	v_mul_f64 v[99:100], v[99:100], v[105:106]
	v_add_f64 v[61:62], v[61:62], -v[103:104]
	v_fma_f64 v[99:100], v[101:102], v[97:98], v[99:100]
	v_add_f64 v[63:64], v[63:64], -v[99:100]
	;; [unrolled: 8-line block ×17, first 2 shown]
	ds_read2_b64 v[99:102], v125 offset0:92 offset1:93
	s_waitcnt lgkmcnt(0)
	v_mul_f64 v[103:104], v[101:102], v[105:106]
	v_fma_f64 v[103:104], v[99:100], v[97:98], -v[103:104]
	v_mul_f64 v[99:100], v[99:100], v[105:106]
	v_add_f64 v[73:74], v[73:74], -v[103:104]
	v_fma_f64 v[99:100], v[101:102], v[97:98], v[99:100]
	v_mov_b32_e32 v104, v98
	v_mov_b32_e32 v103, v97
	buffer_store_dword v103, off, s[20:23], 0 offset:224 ; 4-byte Folded Spill
	s_nop 0
	buffer_store_dword v104, off, s[20:23], 0 offset:228 ; 4-byte Folded Spill
	buffer_store_dword v105, off, s[20:23], 0 offset:232 ; 4-byte Folded Spill
	;; [unrolled: 1-line block ×3, first 2 shown]
	v_add_f64 v[75:76], v[75:76], -v[99:100]
.LBB93_91:
	s_or_b64 exec, exec, s[2:3]
	v_cmp_eq_u32_e32 vcc, 10, v0
	s_waitcnt vmcnt(0)
	s_barrier
	s_and_saveexec_b64 s[4:5], vcc
	s_cbranch_execz .LBB93_98
; %bb.92:
	buffer_load_dword v69, off, s[20:23], 0 offset:208 ; 4-byte Folded Reload
	buffer_load_dword v70, off, s[20:23], 0 offset:212 ; 4-byte Folded Reload
	;; [unrolled: 1-line block ×4, first 2 shown]
	s_waitcnt vmcnt(0)
	ds_write2_b64 v127, v[69:70], v[71:72] offset1:1
	buffer_load_dword v69, off, s[20:23], 0 offset:192 ; 4-byte Folded Reload
	buffer_load_dword v70, off, s[20:23], 0 offset:196 ; 4-byte Folded Reload
	buffer_load_dword v71, off, s[20:23], 0 offset:200 ; 4-byte Folded Reload
	buffer_load_dword v72, off, s[20:23], 0 offset:204 ; 4-byte Folded Reload
	s_waitcnt vmcnt(0)
	ds_write2_b64 v125, v[69:70], v[71:72] offset0:22 offset1:23
	buffer_load_dword v69, off, s[20:23], 0 offset:176 ; 4-byte Folded Reload
	buffer_load_dword v70, off, s[20:23], 0 offset:180 ; 4-byte Folded Reload
	buffer_load_dword v71, off, s[20:23], 0 offset:184 ; 4-byte Folded Reload
	buffer_load_dword v72, off, s[20:23], 0 offset:188 ; 4-byte Folded Reload
	s_waitcnt vmcnt(0)
	ds_write2_b64 v125, v[69:70], v[71:72] offset0:24 offset1:25
	;; [unrolled: 6-line block ×10, first 2 shown]
	ds_write2_b64 v125, v[121:122], v[123:124] offset0:42 offset1:43
	ds_write2_b64 v125, v[117:118], v[119:120] offset0:44 offset1:45
	;; [unrolled: 1-line block ×5, first 2 shown]
	buffer_load_dword v77, off, s[20:23], 0 offset:32 ; 4-byte Folded Reload
	buffer_load_dword v78, off, s[20:23], 0 offset:36 ; 4-byte Folded Reload
	;; [unrolled: 1-line block ×4, first 2 shown]
	v_mov_b32_e32 v69, v73
	v_mov_b32_e32 v70, v74
	;; [unrolled: 1-line block ×4, first 2 shown]
	s_waitcnt vmcnt(0)
	ds_write2_b64 v125, v[77:78], v[79:80] offset0:52 offset1:53
	buffer_load_dword v73, off, s[20:23], 0 offset:16 ; 4-byte Folded Reload
	buffer_load_dword v74, off, s[20:23], 0 offset:20 ; 4-byte Folded Reload
	;; [unrolled: 1-line block ×4, first 2 shown]
	s_waitcnt vmcnt(0)
	ds_write2_b64 v125, v[73:74], v[75:76] offset0:54 offset1:55
	v_mov_b32_e32 v76, v72
	v_mov_b32_e32 v75, v71
	v_mov_b32_e32 v74, v70
	v_mov_b32_e32 v73, v69
	buffer_load_dword v69, off, s[20:23], 0 ; 4-byte Folded Reload
	buffer_load_dword v70, off, s[20:23], 0 offset:4 ; 4-byte Folded Reload
	buffer_load_dword v71, off, s[20:23], 0 offset:8 ; 4-byte Folded Reload
	;; [unrolled: 1-line block ×3, first 2 shown]
	s_waitcnt vmcnt(0)
	ds_write2_b64 v125, v[69:70], v[71:72] offset0:56 offset1:57
	ds_write2_b64 v125, v[65:66], v[67:68] offset0:58 offset1:59
	;; [unrolled: 1-line block ×19, first 2 shown]
	ds_read2_b64 v[97:100], v127 offset1:1
	s_waitcnt lgkmcnt(0)
	v_cmp_neq_f64_e32 vcc, 0, v[97:98]
	v_cmp_neq_f64_e64 s[2:3], 0, v[99:100]
	s_or_b64 s[2:3], vcc, s[2:3]
	s_and_b64 exec, exec, s[2:3]
	s_cbranch_execz .LBB93_98
; %bb.93:
	v_cmp_ngt_f64_e64 s[2:3], |v[97:98]|, |v[99:100]|
                                        ; implicit-def: $vgpr101_vgpr102
	s_and_saveexec_b64 s[6:7], s[2:3]
	s_xor_b64 s[2:3], exec, s[6:7]
                                        ; implicit-def: $vgpr103_vgpr104
	s_cbranch_execz .LBB93_95
; %bb.94:
	v_div_scale_f64 v[101:102], s[6:7], v[99:100], v[99:100], v[97:98]
	v_rcp_f64_e32 v[103:104], v[101:102]
	v_fma_f64 v[105:106], -v[101:102], v[103:104], 1.0
	v_fma_f64 v[103:104], v[103:104], v[105:106], v[103:104]
	v_div_scale_f64 v[105:106], vcc, v[97:98], v[99:100], v[97:98]
	v_fma_f64 v[107:108], -v[101:102], v[103:104], 1.0
	v_fma_f64 v[103:104], v[103:104], v[107:108], v[103:104]
	v_mul_f64 v[107:108], v[105:106], v[103:104]
	v_fma_f64 v[101:102], -v[101:102], v[107:108], v[105:106]
	v_div_fmas_f64 v[101:102], v[101:102], v[103:104], v[107:108]
	v_div_fixup_f64 v[101:102], v[101:102], v[99:100], v[97:98]
	v_fma_f64 v[97:98], v[97:98], v[101:102], v[99:100]
	v_div_scale_f64 v[99:100], s[6:7], v[97:98], v[97:98], 1.0
	v_div_scale_f64 v[107:108], vcc, 1.0, v[97:98], 1.0
	v_rcp_f64_e32 v[103:104], v[99:100]
	v_fma_f64 v[105:106], -v[99:100], v[103:104], 1.0
	v_fma_f64 v[103:104], v[103:104], v[105:106], v[103:104]
	v_fma_f64 v[105:106], -v[99:100], v[103:104], 1.0
	v_fma_f64 v[103:104], v[103:104], v[105:106], v[103:104]
	v_mul_f64 v[105:106], v[107:108], v[103:104]
	v_fma_f64 v[99:100], -v[99:100], v[105:106], v[107:108]
	v_div_fmas_f64 v[99:100], v[99:100], v[103:104], v[105:106]
	v_div_fixup_f64 v[103:104], v[99:100], v[97:98], 1.0
                                        ; implicit-def: $vgpr97_vgpr98
	v_mul_f64 v[101:102], v[101:102], v[103:104]
	v_xor_b32_e32 v104, 0x80000000, v104
.LBB93_95:
	s_andn2_saveexec_b64 s[2:3], s[2:3]
	s_cbranch_execz .LBB93_97
; %bb.96:
	v_div_scale_f64 v[101:102], s[6:7], v[97:98], v[97:98], v[99:100]
	v_rcp_f64_e32 v[103:104], v[101:102]
	v_fma_f64 v[105:106], -v[101:102], v[103:104], 1.0
	v_fma_f64 v[103:104], v[103:104], v[105:106], v[103:104]
	v_div_scale_f64 v[105:106], vcc, v[99:100], v[97:98], v[99:100]
	v_fma_f64 v[107:108], -v[101:102], v[103:104], 1.0
	v_fma_f64 v[103:104], v[103:104], v[107:108], v[103:104]
	v_mul_f64 v[107:108], v[105:106], v[103:104]
	v_fma_f64 v[101:102], -v[101:102], v[107:108], v[105:106]
	v_div_fmas_f64 v[101:102], v[101:102], v[103:104], v[107:108]
	v_div_fixup_f64 v[103:104], v[101:102], v[97:98], v[99:100]
	v_fma_f64 v[97:98], v[99:100], v[103:104], v[97:98]
	v_div_scale_f64 v[99:100], s[6:7], v[97:98], v[97:98], 1.0
	v_div_scale_f64 v[107:108], vcc, 1.0, v[97:98], 1.0
	v_rcp_f64_e32 v[101:102], v[99:100]
	v_fma_f64 v[105:106], -v[99:100], v[101:102], 1.0
	v_fma_f64 v[101:102], v[101:102], v[105:106], v[101:102]
	v_fma_f64 v[105:106], -v[99:100], v[101:102], 1.0
	v_fma_f64 v[101:102], v[101:102], v[105:106], v[101:102]
	v_mul_f64 v[105:106], v[107:108], v[101:102]
	v_fma_f64 v[99:100], -v[99:100], v[105:106], v[107:108]
	v_div_fmas_f64 v[99:100], v[99:100], v[101:102], v[105:106]
	v_div_fixup_f64 v[101:102], v[99:100], v[97:98], 1.0
	v_mul_f64 v[103:104], v[103:104], -v[101:102]
.LBB93_97:
	s_or_b64 exec, exec, s[2:3]
	ds_write2_b64 v127, v[101:102], v[103:104] offset1:1
.LBB93_98:
	s_or_b64 exec, exec, s[4:5]
	s_waitcnt lgkmcnt(0)
	s_barrier
	ds_read2_b64 v[69:72], v127 offset1:1
	v_cmp_lt_u32_e32 vcc, 10, v0
	s_waitcnt lgkmcnt(0)
	buffer_store_dword v69, off, s[20:23], 0 offset:912 ; 4-byte Folded Spill
	s_nop 0
	buffer_store_dword v70, off, s[20:23], 0 offset:916 ; 4-byte Folded Spill
	buffer_store_dword v71, off, s[20:23], 0 offset:920 ; 4-byte Folded Spill
	;; [unrolled: 1-line block ×3, first 2 shown]
	s_and_saveexec_b64 s[2:3], vcc
	s_cbranch_execz .LBB93_100
; %bb.99:
	buffer_load_dword v103, off, s[20:23], 0 offset:208 ; 4-byte Folded Reload
	buffer_load_dword v104, off, s[20:23], 0 offset:212 ; 4-byte Folded Reload
	;; [unrolled: 1-line block ×8, first 2 shown]
	s_waitcnt vmcnt(2)
	v_mul_f64 v[99:100], v[69:70], v[105:106]
	s_waitcnt vmcnt(0)
	v_mul_f64 v[97:98], v[71:72], v[105:106]
	v_fma_f64 v[105:106], v[71:72], v[103:104], v[99:100]
	ds_read2_b64 v[99:102], v125 offset0:22 offset1:23
	v_fma_f64 v[97:98], v[69:70], v[103:104], -v[97:98]
	buffer_load_dword v69, off, s[20:23], 0 offset:192 ; 4-byte Folded Reload
	buffer_load_dword v70, off, s[20:23], 0 offset:196 ; 4-byte Folded Reload
	buffer_load_dword v71, off, s[20:23], 0 offset:200 ; 4-byte Folded Reload
	buffer_load_dword v72, off, s[20:23], 0 offset:204 ; 4-byte Folded Reload
	s_waitcnt lgkmcnt(0)
	v_mul_f64 v[103:104], v[101:102], v[105:106]
	v_fma_f64 v[103:104], v[99:100], v[97:98], -v[103:104]
	v_mul_f64 v[99:100], v[99:100], v[105:106]
	v_fma_f64 v[99:100], v[101:102], v[97:98], v[99:100]
	s_waitcnt vmcnt(2)
	v_add_f64 v[69:70], v[69:70], -v[103:104]
	s_waitcnt vmcnt(0)
	v_add_f64 v[71:72], v[71:72], -v[99:100]
	buffer_store_dword v69, off, s[20:23], 0 offset:192 ; 4-byte Folded Spill
	s_nop 0
	buffer_store_dword v70, off, s[20:23], 0 offset:196 ; 4-byte Folded Spill
	buffer_store_dword v71, off, s[20:23], 0 offset:200 ; 4-byte Folded Spill
	buffer_store_dword v72, off, s[20:23], 0 offset:204 ; 4-byte Folded Spill
	ds_read2_b64 v[99:102], v125 offset0:24 offset1:25
	buffer_load_dword v69, off, s[20:23], 0 offset:176 ; 4-byte Folded Reload
	buffer_load_dword v70, off, s[20:23], 0 offset:180 ; 4-byte Folded Reload
	buffer_load_dword v71, off, s[20:23], 0 offset:184 ; 4-byte Folded Reload
	buffer_load_dword v72, off, s[20:23], 0 offset:188 ; 4-byte Folded Reload
	s_waitcnt lgkmcnt(0)
	v_mul_f64 v[103:104], v[101:102], v[105:106]
	v_fma_f64 v[103:104], v[99:100], v[97:98], -v[103:104]
	v_mul_f64 v[99:100], v[99:100], v[105:106]
	v_fma_f64 v[99:100], v[101:102], v[97:98], v[99:100]
	s_waitcnt vmcnt(2)
	v_add_f64 v[69:70], v[69:70], -v[103:104]
	s_waitcnt vmcnt(0)
	v_add_f64 v[71:72], v[71:72], -v[99:100]
	buffer_store_dword v69, off, s[20:23], 0 offset:176 ; 4-byte Folded Spill
	s_nop 0
	buffer_store_dword v70, off, s[20:23], 0 offset:180 ; 4-byte Folded Spill
	buffer_store_dword v71, off, s[20:23], 0 offset:184 ; 4-byte Folded Spill
	buffer_store_dword v72, off, s[20:23], 0 offset:188 ; 4-byte Folded Spill
	ds_read2_b64 v[99:102], v125 offset0:26 offset1:27
	;; [unrolled: 19-line block ×10, first 2 shown]
	v_mov_b32_e32 v69, v73
	v_mov_b32_e32 v70, v74
	;; [unrolled: 1-line block ×4, first 2 shown]
	s_waitcnt lgkmcnt(0)
	v_mul_f64 v[103:104], v[101:102], v[105:106]
	v_fma_f64 v[103:104], v[99:100], v[97:98], -v[103:104]
	v_mul_f64 v[99:100], v[99:100], v[105:106]
	v_add_f64 v[121:122], v[121:122], -v[103:104]
	v_fma_f64 v[99:100], v[101:102], v[97:98], v[99:100]
	v_add_f64 v[123:124], v[123:124], -v[99:100]
	ds_read2_b64 v[99:102], v125 offset0:44 offset1:45
	s_waitcnt lgkmcnt(0)
	v_mul_f64 v[103:104], v[101:102], v[105:106]
	v_fma_f64 v[103:104], v[99:100], v[97:98], -v[103:104]
	v_mul_f64 v[99:100], v[99:100], v[105:106]
	v_add_f64 v[117:118], v[117:118], -v[103:104]
	v_fma_f64 v[99:100], v[101:102], v[97:98], v[99:100]
	v_add_f64 v[119:120], v[119:120], -v[99:100]
	ds_read2_b64 v[99:102], v125 offset0:46 offset1:47
	;; [unrolled: 8-line block ×5, first 2 shown]
	buffer_load_dword v77, off, s[20:23], 0 offset:32 ; 4-byte Folded Reload
	buffer_load_dword v78, off, s[20:23], 0 offset:36 ; 4-byte Folded Reload
	;; [unrolled: 1-line block ×4, first 2 shown]
	s_waitcnt lgkmcnt(0)
	v_mul_f64 v[103:104], v[101:102], v[105:106]
	v_fma_f64 v[103:104], v[99:100], v[97:98], -v[103:104]
	v_mul_f64 v[99:100], v[99:100], v[105:106]
	v_fma_f64 v[99:100], v[101:102], v[97:98], v[99:100]
	s_waitcnt vmcnt(2)
	v_add_f64 v[77:78], v[77:78], -v[103:104]
	s_waitcnt vmcnt(0)
	v_add_f64 v[79:80], v[79:80], -v[99:100]
	buffer_store_dword v77, off, s[20:23], 0 offset:32 ; 4-byte Folded Spill
	s_nop 0
	buffer_store_dword v78, off, s[20:23], 0 offset:36 ; 4-byte Folded Spill
	buffer_store_dword v79, off, s[20:23], 0 offset:40 ; 4-byte Folded Spill
	;; [unrolled: 1-line block ×3, first 2 shown]
	ds_read2_b64 v[99:102], v125 offset0:54 offset1:55
	buffer_load_dword v73, off, s[20:23], 0 offset:16 ; 4-byte Folded Reload
	buffer_load_dword v74, off, s[20:23], 0 offset:20 ; 4-byte Folded Reload
	;; [unrolled: 1-line block ×4, first 2 shown]
	s_waitcnt lgkmcnt(0)
	v_mul_f64 v[103:104], v[101:102], v[105:106]
	v_fma_f64 v[103:104], v[99:100], v[97:98], -v[103:104]
	v_mul_f64 v[99:100], v[99:100], v[105:106]
	v_fma_f64 v[99:100], v[101:102], v[97:98], v[99:100]
	s_waitcnt vmcnt(2)
	v_add_f64 v[73:74], v[73:74], -v[103:104]
	s_waitcnt vmcnt(0)
	v_add_f64 v[75:76], v[75:76], -v[99:100]
	buffer_store_dword v73, off, s[20:23], 0 offset:16 ; 4-byte Folded Spill
	s_nop 0
	buffer_store_dword v74, off, s[20:23], 0 offset:20 ; 4-byte Folded Spill
	buffer_store_dword v75, off, s[20:23], 0 offset:24 ; 4-byte Folded Spill
	;; [unrolled: 1-line block ×3, first 2 shown]
	v_mov_b32_e32 v76, v72
	v_mov_b32_e32 v75, v71
	;; [unrolled: 1-line block ×4, first 2 shown]
	ds_read2_b64 v[99:102], v125 offset0:56 offset1:57
	buffer_load_dword v69, off, s[20:23], 0 ; 4-byte Folded Reload
	buffer_load_dword v70, off, s[20:23], 0 offset:4 ; 4-byte Folded Reload
	buffer_load_dword v71, off, s[20:23], 0 offset:8 ; 4-byte Folded Reload
	;; [unrolled: 1-line block ×3, first 2 shown]
	s_waitcnt lgkmcnt(0)
	v_mul_f64 v[103:104], v[101:102], v[105:106]
	v_fma_f64 v[103:104], v[99:100], v[97:98], -v[103:104]
	v_mul_f64 v[99:100], v[99:100], v[105:106]
	v_fma_f64 v[99:100], v[101:102], v[97:98], v[99:100]
	s_waitcnt vmcnt(2)
	v_add_f64 v[69:70], v[69:70], -v[103:104]
	s_waitcnt vmcnt(0)
	v_add_f64 v[71:72], v[71:72], -v[99:100]
	buffer_store_dword v69, off, s[20:23], 0 ; 4-byte Folded Spill
	s_nop 0
	buffer_store_dword v70, off, s[20:23], 0 offset:4 ; 4-byte Folded Spill
	buffer_store_dword v71, off, s[20:23], 0 offset:8 ; 4-byte Folded Spill
	;; [unrolled: 1-line block ×3, first 2 shown]
	ds_read2_b64 v[99:102], v125 offset0:58 offset1:59
	s_waitcnt lgkmcnt(0)
	v_mul_f64 v[103:104], v[101:102], v[105:106]
	v_fma_f64 v[103:104], v[99:100], v[97:98], -v[103:104]
	v_mul_f64 v[99:100], v[99:100], v[105:106]
	v_add_f64 v[65:66], v[65:66], -v[103:104]
	v_fma_f64 v[99:100], v[101:102], v[97:98], v[99:100]
	v_add_f64 v[67:68], v[67:68], -v[99:100]
	ds_read2_b64 v[99:102], v125 offset0:60 offset1:61
	s_waitcnt lgkmcnt(0)
	v_mul_f64 v[103:104], v[101:102], v[105:106]
	v_fma_f64 v[103:104], v[99:100], v[97:98], -v[103:104]
	v_mul_f64 v[99:100], v[99:100], v[105:106]
	v_add_f64 v[61:62], v[61:62], -v[103:104]
	v_fma_f64 v[99:100], v[101:102], v[97:98], v[99:100]
	v_add_f64 v[63:64], v[63:64], -v[99:100]
	;; [unrolled: 8-line block ×17, first 2 shown]
	ds_read2_b64 v[99:102], v125 offset0:92 offset1:93
	s_waitcnt lgkmcnt(0)
	v_mul_f64 v[103:104], v[101:102], v[105:106]
	v_fma_f64 v[103:104], v[99:100], v[97:98], -v[103:104]
	v_mul_f64 v[99:100], v[99:100], v[105:106]
	v_add_f64 v[73:74], v[73:74], -v[103:104]
	v_fma_f64 v[99:100], v[101:102], v[97:98], v[99:100]
	v_mov_b32_e32 v104, v98
	v_mov_b32_e32 v103, v97
	buffer_store_dword v103, off, s[20:23], 0 offset:208 ; 4-byte Folded Spill
	s_nop 0
	buffer_store_dword v104, off, s[20:23], 0 offset:212 ; 4-byte Folded Spill
	buffer_store_dword v105, off, s[20:23], 0 offset:216 ; 4-byte Folded Spill
	;; [unrolled: 1-line block ×3, first 2 shown]
	v_add_f64 v[75:76], v[75:76], -v[99:100]
.LBB93_100:
	s_or_b64 exec, exec, s[2:3]
	v_cmp_eq_u32_e32 vcc, 11, v0
	s_waitcnt vmcnt(0)
	s_barrier
	s_and_saveexec_b64 s[4:5], vcc
	s_cbranch_execz .LBB93_107
; %bb.101:
	buffer_load_dword v69, off, s[20:23], 0 offset:192 ; 4-byte Folded Reload
	buffer_load_dword v70, off, s[20:23], 0 offset:196 ; 4-byte Folded Reload
	;; [unrolled: 1-line block ×4, first 2 shown]
	s_waitcnt vmcnt(0)
	ds_write2_b64 v127, v[69:70], v[71:72] offset1:1
	buffer_load_dword v69, off, s[20:23], 0 offset:176 ; 4-byte Folded Reload
	buffer_load_dword v70, off, s[20:23], 0 offset:180 ; 4-byte Folded Reload
	buffer_load_dword v71, off, s[20:23], 0 offset:184 ; 4-byte Folded Reload
	buffer_load_dword v72, off, s[20:23], 0 offset:188 ; 4-byte Folded Reload
	s_waitcnt vmcnt(0)
	ds_write2_b64 v125, v[69:70], v[71:72] offset0:24 offset1:25
	buffer_load_dword v69, off, s[20:23], 0 offset:160 ; 4-byte Folded Reload
	buffer_load_dword v70, off, s[20:23], 0 offset:164 ; 4-byte Folded Reload
	buffer_load_dword v71, off, s[20:23], 0 offset:168 ; 4-byte Folded Reload
	buffer_load_dword v72, off, s[20:23], 0 offset:172 ; 4-byte Folded Reload
	s_waitcnt vmcnt(0)
	ds_write2_b64 v125, v[69:70], v[71:72] offset0:26 offset1:27
	;; [unrolled: 6-line block ×9, first 2 shown]
	ds_write2_b64 v125, v[121:122], v[123:124] offset0:42 offset1:43
	ds_write2_b64 v125, v[117:118], v[119:120] offset0:44 offset1:45
	;; [unrolled: 1-line block ×5, first 2 shown]
	buffer_load_dword v77, off, s[20:23], 0 offset:32 ; 4-byte Folded Reload
	buffer_load_dword v78, off, s[20:23], 0 offset:36 ; 4-byte Folded Reload
	;; [unrolled: 1-line block ×4, first 2 shown]
	v_mov_b32_e32 v69, v73
	v_mov_b32_e32 v70, v74
	;; [unrolled: 1-line block ×4, first 2 shown]
	s_waitcnt vmcnt(0)
	ds_write2_b64 v125, v[77:78], v[79:80] offset0:52 offset1:53
	buffer_load_dword v73, off, s[20:23], 0 offset:16 ; 4-byte Folded Reload
	buffer_load_dword v74, off, s[20:23], 0 offset:20 ; 4-byte Folded Reload
	;; [unrolled: 1-line block ×4, first 2 shown]
	s_waitcnt vmcnt(0)
	ds_write2_b64 v125, v[73:74], v[75:76] offset0:54 offset1:55
	v_mov_b32_e32 v76, v72
	v_mov_b32_e32 v75, v71
	;; [unrolled: 1-line block ×4, first 2 shown]
	buffer_load_dword v69, off, s[20:23], 0 ; 4-byte Folded Reload
	buffer_load_dword v70, off, s[20:23], 0 offset:4 ; 4-byte Folded Reload
	buffer_load_dword v71, off, s[20:23], 0 offset:8 ; 4-byte Folded Reload
	buffer_load_dword v72, off, s[20:23], 0 offset:12 ; 4-byte Folded Reload
	s_waitcnt vmcnt(0)
	ds_write2_b64 v125, v[69:70], v[71:72] offset0:56 offset1:57
	ds_write2_b64 v125, v[65:66], v[67:68] offset0:58 offset1:59
	;; [unrolled: 1-line block ×19, first 2 shown]
	ds_read2_b64 v[97:100], v127 offset1:1
	s_waitcnt lgkmcnt(0)
	v_cmp_neq_f64_e32 vcc, 0, v[97:98]
	v_cmp_neq_f64_e64 s[2:3], 0, v[99:100]
	s_or_b64 s[2:3], vcc, s[2:3]
	s_and_b64 exec, exec, s[2:3]
	s_cbranch_execz .LBB93_107
; %bb.102:
	v_cmp_ngt_f64_e64 s[2:3], |v[97:98]|, |v[99:100]|
                                        ; implicit-def: $vgpr101_vgpr102
	s_and_saveexec_b64 s[6:7], s[2:3]
	s_xor_b64 s[2:3], exec, s[6:7]
                                        ; implicit-def: $vgpr103_vgpr104
	s_cbranch_execz .LBB93_104
; %bb.103:
	v_div_scale_f64 v[101:102], s[6:7], v[99:100], v[99:100], v[97:98]
	v_rcp_f64_e32 v[103:104], v[101:102]
	v_fma_f64 v[105:106], -v[101:102], v[103:104], 1.0
	v_fma_f64 v[103:104], v[103:104], v[105:106], v[103:104]
	v_div_scale_f64 v[105:106], vcc, v[97:98], v[99:100], v[97:98]
	v_fma_f64 v[107:108], -v[101:102], v[103:104], 1.0
	v_fma_f64 v[103:104], v[103:104], v[107:108], v[103:104]
	v_mul_f64 v[107:108], v[105:106], v[103:104]
	v_fma_f64 v[101:102], -v[101:102], v[107:108], v[105:106]
	v_div_fmas_f64 v[101:102], v[101:102], v[103:104], v[107:108]
	v_div_fixup_f64 v[101:102], v[101:102], v[99:100], v[97:98]
	v_fma_f64 v[97:98], v[97:98], v[101:102], v[99:100]
	v_div_scale_f64 v[99:100], s[6:7], v[97:98], v[97:98], 1.0
	v_div_scale_f64 v[107:108], vcc, 1.0, v[97:98], 1.0
	v_rcp_f64_e32 v[103:104], v[99:100]
	v_fma_f64 v[105:106], -v[99:100], v[103:104], 1.0
	v_fma_f64 v[103:104], v[103:104], v[105:106], v[103:104]
	v_fma_f64 v[105:106], -v[99:100], v[103:104], 1.0
	v_fma_f64 v[103:104], v[103:104], v[105:106], v[103:104]
	v_mul_f64 v[105:106], v[107:108], v[103:104]
	v_fma_f64 v[99:100], -v[99:100], v[105:106], v[107:108]
	v_div_fmas_f64 v[99:100], v[99:100], v[103:104], v[105:106]
	v_div_fixup_f64 v[103:104], v[99:100], v[97:98], 1.0
                                        ; implicit-def: $vgpr97_vgpr98
	v_mul_f64 v[101:102], v[101:102], v[103:104]
	v_xor_b32_e32 v104, 0x80000000, v104
.LBB93_104:
	s_andn2_saveexec_b64 s[2:3], s[2:3]
	s_cbranch_execz .LBB93_106
; %bb.105:
	v_div_scale_f64 v[101:102], s[6:7], v[97:98], v[97:98], v[99:100]
	v_rcp_f64_e32 v[103:104], v[101:102]
	v_fma_f64 v[105:106], -v[101:102], v[103:104], 1.0
	v_fma_f64 v[103:104], v[103:104], v[105:106], v[103:104]
	v_div_scale_f64 v[105:106], vcc, v[99:100], v[97:98], v[99:100]
	v_fma_f64 v[107:108], -v[101:102], v[103:104], 1.0
	v_fma_f64 v[103:104], v[103:104], v[107:108], v[103:104]
	v_mul_f64 v[107:108], v[105:106], v[103:104]
	v_fma_f64 v[101:102], -v[101:102], v[107:108], v[105:106]
	v_div_fmas_f64 v[101:102], v[101:102], v[103:104], v[107:108]
	v_div_fixup_f64 v[103:104], v[101:102], v[97:98], v[99:100]
	v_fma_f64 v[97:98], v[99:100], v[103:104], v[97:98]
	v_div_scale_f64 v[99:100], s[6:7], v[97:98], v[97:98], 1.0
	v_div_scale_f64 v[107:108], vcc, 1.0, v[97:98], 1.0
	v_rcp_f64_e32 v[101:102], v[99:100]
	v_fma_f64 v[105:106], -v[99:100], v[101:102], 1.0
	v_fma_f64 v[101:102], v[101:102], v[105:106], v[101:102]
	v_fma_f64 v[105:106], -v[99:100], v[101:102], 1.0
	v_fma_f64 v[101:102], v[101:102], v[105:106], v[101:102]
	v_mul_f64 v[105:106], v[107:108], v[101:102]
	v_fma_f64 v[99:100], -v[99:100], v[105:106], v[107:108]
	v_div_fmas_f64 v[99:100], v[99:100], v[101:102], v[105:106]
	v_div_fixup_f64 v[101:102], v[99:100], v[97:98], 1.0
	v_mul_f64 v[103:104], v[103:104], -v[101:102]
.LBB93_106:
	s_or_b64 exec, exec, s[2:3]
	ds_write2_b64 v127, v[101:102], v[103:104] offset1:1
.LBB93_107:
	s_or_b64 exec, exec, s[4:5]
	s_waitcnt lgkmcnt(0)
	s_barrier
	ds_read2_b64 v[69:72], v127 offset1:1
	v_cmp_lt_u32_e32 vcc, 11, v0
	s_waitcnt lgkmcnt(0)
	buffer_store_dword v69, off, s[20:23], 0 offset:928 ; 4-byte Folded Spill
	s_nop 0
	buffer_store_dword v70, off, s[20:23], 0 offset:932 ; 4-byte Folded Spill
	buffer_store_dword v71, off, s[20:23], 0 offset:936 ; 4-byte Folded Spill
	;; [unrolled: 1-line block ×3, first 2 shown]
	s_and_saveexec_b64 s[2:3], vcc
	s_cbranch_execz .LBB93_109
; %bb.108:
	buffer_load_dword v103, off, s[20:23], 0 offset:192 ; 4-byte Folded Reload
	buffer_load_dword v104, off, s[20:23], 0 offset:196 ; 4-byte Folded Reload
	;; [unrolled: 1-line block ×8, first 2 shown]
	s_waitcnt vmcnt(2)
	v_mul_f64 v[99:100], v[69:70], v[105:106]
	s_waitcnt vmcnt(0)
	v_mul_f64 v[97:98], v[71:72], v[105:106]
	v_fma_f64 v[105:106], v[71:72], v[103:104], v[99:100]
	ds_read2_b64 v[99:102], v125 offset0:24 offset1:25
	v_fma_f64 v[97:98], v[69:70], v[103:104], -v[97:98]
	buffer_load_dword v69, off, s[20:23], 0 offset:176 ; 4-byte Folded Reload
	buffer_load_dword v70, off, s[20:23], 0 offset:180 ; 4-byte Folded Reload
	buffer_load_dword v71, off, s[20:23], 0 offset:184 ; 4-byte Folded Reload
	buffer_load_dword v72, off, s[20:23], 0 offset:188 ; 4-byte Folded Reload
	s_waitcnt lgkmcnt(0)
	v_mul_f64 v[103:104], v[101:102], v[105:106]
	v_fma_f64 v[103:104], v[99:100], v[97:98], -v[103:104]
	v_mul_f64 v[99:100], v[99:100], v[105:106]
	v_fma_f64 v[99:100], v[101:102], v[97:98], v[99:100]
	s_waitcnt vmcnt(2)
	v_add_f64 v[69:70], v[69:70], -v[103:104]
	s_waitcnt vmcnt(0)
	v_add_f64 v[71:72], v[71:72], -v[99:100]
	buffer_store_dword v69, off, s[20:23], 0 offset:176 ; 4-byte Folded Spill
	s_nop 0
	buffer_store_dword v70, off, s[20:23], 0 offset:180 ; 4-byte Folded Spill
	buffer_store_dword v71, off, s[20:23], 0 offset:184 ; 4-byte Folded Spill
	buffer_store_dword v72, off, s[20:23], 0 offset:188 ; 4-byte Folded Spill
	ds_read2_b64 v[99:102], v125 offset0:26 offset1:27
	buffer_load_dword v69, off, s[20:23], 0 offset:160 ; 4-byte Folded Reload
	buffer_load_dword v70, off, s[20:23], 0 offset:164 ; 4-byte Folded Reload
	buffer_load_dword v71, off, s[20:23], 0 offset:168 ; 4-byte Folded Reload
	buffer_load_dword v72, off, s[20:23], 0 offset:172 ; 4-byte Folded Reload
	s_waitcnt lgkmcnt(0)
	v_mul_f64 v[103:104], v[101:102], v[105:106]
	v_fma_f64 v[103:104], v[99:100], v[97:98], -v[103:104]
	v_mul_f64 v[99:100], v[99:100], v[105:106]
	v_fma_f64 v[99:100], v[101:102], v[97:98], v[99:100]
	s_waitcnt vmcnt(2)
	v_add_f64 v[69:70], v[69:70], -v[103:104]
	s_waitcnt vmcnt(0)
	v_add_f64 v[71:72], v[71:72], -v[99:100]
	buffer_store_dword v69, off, s[20:23], 0 offset:160 ; 4-byte Folded Spill
	s_nop 0
	buffer_store_dword v70, off, s[20:23], 0 offset:164 ; 4-byte Folded Spill
	buffer_store_dword v71, off, s[20:23], 0 offset:168 ; 4-byte Folded Spill
	buffer_store_dword v72, off, s[20:23], 0 offset:172 ; 4-byte Folded Spill
	ds_read2_b64 v[99:102], v125 offset0:28 offset1:29
	;; [unrolled: 19-line block ×9, first 2 shown]
	v_mov_b32_e32 v69, v73
	v_mov_b32_e32 v70, v74
	;; [unrolled: 1-line block ×4, first 2 shown]
	s_waitcnt lgkmcnt(0)
	v_mul_f64 v[103:104], v[101:102], v[105:106]
	v_fma_f64 v[103:104], v[99:100], v[97:98], -v[103:104]
	v_mul_f64 v[99:100], v[99:100], v[105:106]
	v_add_f64 v[121:122], v[121:122], -v[103:104]
	v_fma_f64 v[99:100], v[101:102], v[97:98], v[99:100]
	v_add_f64 v[123:124], v[123:124], -v[99:100]
	ds_read2_b64 v[99:102], v125 offset0:44 offset1:45
	s_waitcnt lgkmcnt(0)
	v_mul_f64 v[103:104], v[101:102], v[105:106]
	v_fma_f64 v[103:104], v[99:100], v[97:98], -v[103:104]
	v_mul_f64 v[99:100], v[99:100], v[105:106]
	v_add_f64 v[117:118], v[117:118], -v[103:104]
	v_fma_f64 v[99:100], v[101:102], v[97:98], v[99:100]
	v_add_f64 v[119:120], v[119:120], -v[99:100]
	ds_read2_b64 v[99:102], v125 offset0:46 offset1:47
	;; [unrolled: 8-line block ×5, first 2 shown]
	buffer_load_dword v77, off, s[20:23], 0 offset:32 ; 4-byte Folded Reload
	buffer_load_dword v78, off, s[20:23], 0 offset:36 ; 4-byte Folded Reload
	;; [unrolled: 1-line block ×4, first 2 shown]
	s_waitcnt lgkmcnt(0)
	v_mul_f64 v[103:104], v[101:102], v[105:106]
	v_fma_f64 v[103:104], v[99:100], v[97:98], -v[103:104]
	v_mul_f64 v[99:100], v[99:100], v[105:106]
	v_fma_f64 v[99:100], v[101:102], v[97:98], v[99:100]
	s_waitcnt vmcnt(2)
	v_add_f64 v[77:78], v[77:78], -v[103:104]
	s_waitcnt vmcnt(0)
	v_add_f64 v[79:80], v[79:80], -v[99:100]
	buffer_store_dword v77, off, s[20:23], 0 offset:32 ; 4-byte Folded Spill
	s_nop 0
	buffer_store_dword v78, off, s[20:23], 0 offset:36 ; 4-byte Folded Spill
	buffer_store_dword v79, off, s[20:23], 0 offset:40 ; 4-byte Folded Spill
	buffer_store_dword v80, off, s[20:23], 0 offset:44 ; 4-byte Folded Spill
	ds_read2_b64 v[99:102], v125 offset0:54 offset1:55
	buffer_load_dword v73, off, s[20:23], 0 offset:16 ; 4-byte Folded Reload
	buffer_load_dword v74, off, s[20:23], 0 offset:20 ; 4-byte Folded Reload
	;; [unrolled: 1-line block ×4, first 2 shown]
	s_waitcnt lgkmcnt(0)
	v_mul_f64 v[103:104], v[101:102], v[105:106]
	v_fma_f64 v[103:104], v[99:100], v[97:98], -v[103:104]
	v_mul_f64 v[99:100], v[99:100], v[105:106]
	v_fma_f64 v[99:100], v[101:102], v[97:98], v[99:100]
	s_waitcnt vmcnt(2)
	v_add_f64 v[73:74], v[73:74], -v[103:104]
	s_waitcnt vmcnt(0)
	v_add_f64 v[75:76], v[75:76], -v[99:100]
	buffer_store_dword v73, off, s[20:23], 0 offset:16 ; 4-byte Folded Spill
	s_nop 0
	buffer_store_dword v74, off, s[20:23], 0 offset:20 ; 4-byte Folded Spill
	buffer_store_dword v75, off, s[20:23], 0 offset:24 ; 4-byte Folded Spill
	;; [unrolled: 1-line block ×3, first 2 shown]
	v_mov_b32_e32 v76, v72
	v_mov_b32_e32 v75, v71
	;; [unrolled: 1-line block ×4, first 2 shown]
	ds_read2_b64 v[99:102], v125 offset0:56 offset1:57
	buffer_load_dword v69, off, s[20:23], 0 ; 4-byte Folded Reload
	buffer_load_dword v70, off, s[20:23], 0 offset:4 ; 4-byte Folded Reload
	buffer_load_dword v71, off, s[20:23], 0 offset:8 ; 4-byte Folded Reload
	;; [unrolled: 1-line block ×3, first 2 shown]
	s_waitcnt lgkmcnt(0)
	v_mul_f64 v[103:104], v[101:102], v[105:106]
	v_fma_f64 v[103:104], v[99:100], v[97:98], -v[103:104]
	v_mul_f64 v[99:100], v[99:100], v[105:106]
	v_fma_f64 v[99:100], v[101:102], v[97:98], v[99:100]
	s_waitcnt vmcnt(2)
	v_add_f64 v[69:70], v[69:70], -v[103:104]
	s_waitcnt vmcnt(0)
	v_add_f64 v[71:72], v[71:72], -v[99:100]
	buffer_store_dword v69, off, s[20:23], 0 ; 4-byte Folded Spill
	s_nop 0
	buffer_store_dword v70, off, s[20:23], 0 offset:4 ; 4-byte Folded Spill
	buffer_store_dword v71, off, s[20:23], 0 offset:8 ; 4-byte Folded Spill
	;; [unrolled: 1-line block ×3, first 2 shown]
	ds_read2_b64 v[99:102], v125 offset0:58 offset1:59
	s_waitcnt lgkmcnt(0)
	v_mul_f64 v[103:104], v[101:102], v[105:106]
	v_fma_f64 v[103:104], v[99:100], v[97:98], -v[103:104]
	v_mul_f64 v[99:100], v[99:100], v[105:106]
	v_add_f64 v[65:66], v[65:66], -v[103:104]
	v_fma_f64 v[99:100], v[101:102], v[97:98], v[99:100]
	v_add_f64 v[67:68], v[67:68], -v[99:100]
	ds_read2_b64 v[99:102], v125 offset0:60 offset1:61
	s_waitcnt lgkmcnt(0)
	v_mul_f64 v[103:104], v[101:102], v[105:106]
	v_fma_f64 v[103:104], v[99:100], v[97:98], -v[103:104]
	v_mul_f64 v[99:100], v[99:100], v[105:106]
	v_add_f64 v[61:62], v[61:62], -v[103:104]
	v_fma_f64 v[99:100], v[101:102], v[97:98], v[99:100]
	v_add_f64 v[63:64], v[63:64], -v[99:100]
	;; [unrolled: 8-line block ×17, first 2 shown]
	ds_read2_b64 v[99:102], v125 offset0:92 offset1:93
	s_waitcnt lgkmcnt(0)
	v_mul_f64 v[103:104], v[101:102], v[105:106]
	v_fma_f64 v[103:104], v[99:100], v[97:98], -v[103:104]
	v_mul_f64 v[99:100], v[99:100], v[105:106]
	v_add_f64 v[73:74], v[73:74], -v[103:104]
	v_fma_f64 v[99:100], v[101:102], v[97:98], v[99:100]
	v_mov_b32_e32 v104, v98
	v_mov_b32_e32 v103, v97
	buffer_store_dword v103, off, s[20:23], 0 offset:192 ; 4-byte Folded Spill
	s_nop 0
	buffer_store_dword v104, off, s[20:23], 0 offset:196 ; 4-byte Folded Spill
	buffer_store_dword v105, off, s[20:23], 0 offset:200 ; 4-byte Folded Spill
	;; [unrolled: 1-line block ×3, first 2 shown]
	v_add_f64 v[75:76], v[75:76], -v[99:100]
.LBB93_109:
	s_or_b64 exec, exec, s[2:3]
	v_cmp_eq_u32_e32 vcc, 12, v0
	s_waitcnt vmcnt(0)
	s_barrier
	s_and_saveexec_b64 s[4:5], vcc
	s_cbranch_execz .LBB93_116
; %bb.110:
	buffer_load_dword v69, off, s[20:23], 0 offset:176 ; 4-byte Folded Reload
	buffer_load_dword v70, off, s[20:23], 0 offset:180 ; 4-byte Folded Reload
	;; [unrolled: 1-line block ×4, first 2 shown]
	s_waitcnt vmcnt(0)
	ds_write2_b64 v127, v[69:70], v[71:72] offset1:1
	buffer_load_dword v69, off, s[20:23], 0 offset:160 ; 4-byte Folded Reload
	buffer_load_dword v70, off, s[20:23], 0 offset:164 ; 4-byte Folded Reload
	buffer_load_dword v71, off, s[20:23], 0 offset:168 ; 4-byte Folded Reload
	buffer_load_dword v72, off, s[20:23], 0 offset:172 ; 4-byte Folded Reload
	s_waitcnt vmcnt(0)
	ds_write2_b64 v125, v[69:70], v[71:72] offset0:26 offset1:27
	buffer_load_dword v69, off, s[20:23], 0 offset:144 ; 4-byte Folded Reload
	buffer_load_dword v70, off, s[20:23], 0 offset:148 ; 4-byte Folded Reload
	buffer_load_dword v71, off, s[20:23], 0 offset:152 ; 4-byte Folded Reload
	buffer_load_dword v72, off, s[20:23], 0 offset:156 ; 4-byte Folded Reload
	s_waitcnt vmcnt(0)
	ds_write2_b64 v125, v[69:70], v[71:72] offset0:28 offset1:29
	;; [unrolled: 6-line block ×8, first 2 shown]
	ds_write2_b64 v125, v[121:122], v[123:124] offset0:42 offset1:43
	ds_write2_b64 v125, v[117:118], v[119:120] offset0:44 offset1:45
	;; [unrolled: 1-line block ×5, first 2 shown]
	buffer_load_dword v77, off, s[20:23], 0 offset:32 ; 4-byte Folded Reload
	buffer_load_dword v78, off, s[20:23], 0 offset:36 ; 4-byte Folded Reload
	;; [unrolled: 1-line block ×4, first 2 shown]
	v_mov_b32_e32 v69, v73
	v_mov_b32_e32 v70, v74
	;; [unrolled: 1-line block ×4, first 2 shown]
	s_waitcnt vmcnt(0)
	ds_write2_b64 v125, v[77:78], v[79:80] offset0:52 offset1:53
	buffer_load_dword v73, off, s[20:23], 0 offset:16 ; 4-byte Folded Reload
	buffer_load_dword v74, off, s[20:23], 0 offset:20 ; 4-byte Folded Reload
	;; [unrolled: 1-line block ×4, first 2 shown]
	s_waitcnt vmcnt(0)
	ds_write2_b64 v125, v[73:74], v[75:76] offset0:54 offset1:55
	v_mov_b32_e32 v76, v72
	v_mov_b32_e32 v75, v71
	;; [unrolled: 1-line block ×4, first 2 shown]
	buffer_load_dword v69, off, s[20:23], 0 ; 4-byte Folded Reload
	buffer_load_dword v70, off, s[20:23], 0 offset:4 ; 4-byte Folded Reload
	buffer_load_dword v71, off, s[20:23], 0 offset:8 ; 4-byte Folded Reload
	;; [unrolled: 1-line block ×3, first 2 shown]
	s_waitcnt vmcnt(0)
	ds_write2_b64 v125, v[69:70], v[71:72] offset0:56 offset1:57
	ds_write2_b64 v125, v[65:66], v[67:68] offset0:58 offset1:59
	;; [unrolled: 1-line block ×19, first 2 shown]
	ds_read2_b64 v[97:100], v127 offset1:1
	s_waitcnt lgkmcnt(0)
	v_cmp_neq_f64_e32 vcc, 0, v[97:98]
	v_cmp_neq_f64_e64 s[2:3], 0, v[99:100]
	s_or_b64 s[2:3], vcc, s[2:3]
	s_and_b64 exec, exec, s[2:3]
	s_cbranch_execz .LBB93_116
; %bb.111:
	v_cmp_ngt_f64_e64 s[2:3], |v[97:98]|, |v[99:100]|
                                        ; implicit-def: $vgpr101_vgpr102
	s_and_saveexec_b64 s[6:7], s[2:3]
	s_xor_b64 s[2:3], exec, s[6:7]
                                        ; implicit-def: $vgpr103_vgpr104
	s_cbranch_execz .LBB93_113
; %bb.112:
	v_div_scale_f64 v[101:102], s[6:7], v[99:100], v[99:100], v[97:98]
	v_rcp_f64_e32 v[103:104], v[101:102]
	v_fma_f64 v[105:106], -v[101:102], v[103:104], 1.0
	v_fma_f64 v[103:104], v[103:104], v[105:106], v[103:104]
	v_div_scale_f64 v[105:106], vcc, v[97:98], v[99:100], v[97:98]
	v_fma_f64 v[107:108], -v[101:102], v[103:104], 1.0
	v_fma_f64 v[103:104], v[103:104], v[107:108], v[103:104]
	v_mul_f64 v[107:108], v[105:106], v[103:104]
	v_fma_f64 v[101:102], -v[101:102], v[107:108], v[105:106]
	v_div_fmas_f64 v[101:102], v[101:102], v[103:104], v[107:108]
	v_div_fixup_f64 v[101:102], v[101:102], v[99:100], v[97:98]
	v_fma_f64 v[97:98], v[97:98], v[101:102], v[99:100]
	v_div_scale_f64 v[99:100], s[6:7], v[97:98], v[97:98], 1.0
	v_div_scale_f64 v[107:108], vcc, 1.0, v[97:98], 1.0
	v_rcp_f64_e32 v[103:104], v[99:100]
	v_fma_f64 v[105:106], -v[99:100], v[103:104], 1.0
	v_fma_f64 v[103:104], v[103:104], v[105:106], v[103:104]
	v_fma_f64 v[105:106], -v[99:100], v[103:104], 1.0
	v_fma_f64 v[103:104], v[103:104], v[105:106], v[103:104]
	v_mul_f64 v[105:106], v[107:108], v[103:104]
	v_fma_f64 v[99:100], -v[99:100], v[105:106], v[107:108]
	v_div_fmas_f64 v[99:100], v[99:100], v[103:104], v[105:106]
	v_div_fixup_f64 v[103:104], v[99:100], v[97:98], 1.0
                                        ; implicit-def: $vgpr97_vgpr98
	v_mul_f64 v[101:102], v[101:102], v[103:104]
	v_xor_b32_e32 v104, 0x80000000, v104
.LBB93_113:
	s_andn2_saveexec_b64 s[2:3], s[2:3]
	s_cbranch_execz .LBB93_115
; %bb.114:
	v_div_scale_f64 v[101:102], s[6:7], v[97:98], v[97:98], v[99:100]
	v_rcp_f64_e32 v[103:104], v[101:102]
	v_fma_f64 v[105:106], -v[101:102], v[103:104], 1.0
	v_fma_f64 v[103:104], v[103:104], v[105:106], v[103:104]
	v_div_scale_f64 v[105:106], vcc, v[99:100], v[97:98], v[99:100]
	v_fma_f64 v[107:108], -v[101:102], v[103:104], 1.0
	v_fma_f64 v[103:104], v[103:104], v[107:108], v[103:104]
	v_mul_f64 v[107:108], v[105:106], v[103:104]
	v_fma_f64 v[101:102], -v[101:102], v[107:108], v[105:106]
	v_div_fmas_f64 v[101:102], v[101:102], v[103:104], v[107:108]
	v_div_fixup_f64 v[103:104], v[101:102], v[97:98], v[99:100]
	v_fma_f64 v[97:98], v[99:100], v[103:104], v[97:98]
	v_div_scale_f64 v[99:100], s[6:7], v[97:98], v[97:98], 1.0
	v_div_scale_f64 v[107:108], vcc, 1.0, v[97:98], 1.0
	v_rcp_f64_e32 v[101:102], v[99:100]
	v_fma_f64 v[105:106], -v[99:100], v[101:102], 1.0
	v_fma_f64 v[101:102], v[101:102], v[105:106], v[101:102]
	v_fma_f64 v[105:106], -v[99:100], v[101:102], 1.0
	v_fma_f64 v[101:102], v[101:102], v[105:106], v[101:102]
	v_mul_f64 v[105:106], v[107:108], v[101:102]
	v_fma_f64 v[99:100], -v[99:100], v[105:106], v[107:108]
	v_div_fmas_f64 v[99:100], v[99:100], v[101:102], v[105:106]
	v_div_fixup_f64 v[101:102], v[99:100], v[97:98], 1.0
	v_mul_f64 v[103:104], v[103:104], -v[101:102]
.LBB93_115:
	s_or_b64 exec, exec, s[2:3]
	ds_write2_b64 v127, v[101:102], v[103:104] offset1:1
.LBB93_116:
	s_or_b64 exec, exec, s[4:5]
	s_waitcnt lgkmcnt(0)
	s_barrier
	ds_read2_b64 v[69:72], v127 offset1:1
	v_cmp_lt_u32_e32 vcc, 12, v0
	s_waitcnt lgkmcnt(0)
	buffer_store_dword v69, off, s[20:23], 0 offset:944 ; 4-byte Folded Spill
	s_nop 0
	buffer_store_dword v70, off, s[20:23], 0 offset:948 ; 4-byte Folded Spill
	buffer_store_dword v71, off, s[20:23], 0 offset:952 ; 4-byte Folded Spill
	;; [unrolled: 1-line block ×3, first 2 shown]
	s_and_saveexec_b64 s[2:3], vcc
	s_cbranch_execz .LBB93_118
; %bb.117:
	buffer_load_dword v103, off, s[20:23], 0 offset:176 ; 4-byte Folded Reload
	buffer_load_dword v104, off, s[20:23], 0 offset:180 ; 4-byte Folded Reload
	;; [unrolled: 1-line block ×8, first 2 shown]
	s_waitcnt vmcnt(2)
	v_mul_f64 v[99:100], v[69:70], v[105:106]
	s_waitcnt vmcnt(0)
	v_mul_f64 v[97:98], v[71:72], v[105:106]
	v_fma_f64 v[105:106], v[71:72], v[103:104], v[99:100]
	ds_read2_b64 v[99:102], v125 offset0:26 offset1:27
	v_fma_f64 v[97:98], v[69:70], v[103:104], -v[97:98]
	buffer_load_dword v69, off, s[20:23], 0 offset:160 ; 4-byte Folded Reload
	buffer_load_dword v70, off, s[20:23], 0 offset:164 ; 4-byte Folded Reload
	buffer_load_dword v71, off, s[20:23], 0 offset:168 ; 4-byte Folded Reload
	buffer_load_dword v72, off, s[20:23], 0 offset:172 ; 4-byte Folded Reload
	s_waitcnt lgkmcnt(0)
	v_mul_f64 v[103:104], v[101:102], v[105:106]
	v_fma_f64 v[103:104], v[99:100], v[97:98], -v[103:104]
	v_mul_f64 v[99:100], v[99:100], v[105:106]
	v_fma_f64 v[99:100], v[101:102], v[97:98], v[99:100]
	s_waitcnt vmcnt(2)
	v_add_f64 v[69:70], v[69:70], -v[103:104]
	s_waitcnt vmcnt(0)
	v_add_f64 v[71:72], v[71:72], -v[99:100]
	buffer_store_dword v69, off, s[20:23], 0 offset:160 ; 4-byte Folded Spill
	s_nop 0
	buffer_store_dword v70, off, s[20:23], 0 offset:164 ; 4-byte Folded Spill
	buffer_store_dword v71, off, s[20:23], 0 offset:168 ; 4-byte Folded Spill
	buffer_store_dword v72, off, s[20:23], 0 offset:172 ; 4-byte Folded Spill
	ds_read2_b64 v[99:102], v125 offset0:28 offset1:29
	buffer_load_dword v69, off, s[20:23], 0 offset:144 ; 4-byte Folded Reload
	buffer_load_dword v70, off, s[20:23], 0 offset:148 ; 4-byte Folded Reload
	buffer_load_dword v71, off, s[20:23], 0 offset:152 ; 4-byte Folded Reload
	buffer_load_dword v72, off, s[20:23], 0 offset:156 ; 4-byte Folded Reload
	s_waitcnt lgkmcnt(0)
	v_mul_f64 v[103:104], v[101:102], v[105:106]
	v_fma_f64 v[103:104], v[99:100], v[97:98], -v[103:104]
	v_mul_f64 v[99:100], v[99:100], v[105:106]
	v_fma_f64 v[99:100], v[101:102], v[97:98], v[99:100]
	s_waitcnt vmcnt(2)
	v_add_f64 v[69:70], v[69:70], -v[103:104]
	s_waitcnt vmcnt(0)
	v_add_f64 v[71:72], v[71:72], -v[99:100]
	buffer_store_dword v69, off, s[20:23], 0 offset:144 ; 4-byte Folded Spill
	s_nop 0
	buffer_store_dword v70, off, s[20:23], 0 offset:148 ; 4-byte Folded Spill
	buffer_store_dword v71, off, s[20:23], 0 offset:152 ; 4-byte Folded Spill
	buffer_store_dword v72, off, s[20:23], 0 offset:156 ; 4-byte Folded Spill
	ds_read2_b64 v[99:102], v125 offset0:30 offset1:31
	;; [unrolled: 19-line block ×8, first 2 shown]
	v_mov_b32_e32 v69, v73
	v_mov_b32_e32 v70, v74
	;; [unrolled: 1-line block ×4, first 2 shown]
	s_waitcnt lgkmcnt(0)
	v_mul_f64 v[103:104], v[101:102], v[105:106]
	v_fma_f64 v[103:104], v[99:100], v[97:98], -v[103:104]
	v_mul_f64 v[99:100], v[99:100], v[105:106]
	v_add_f64 v[121:122], v[121:122], -v[103:104]
	v_fma_f64 v[99:100], v[101:102], v[97:98], v[99:100]
	v_add_f64 v[123:124], v[123:124], -v[99:100]
	ds_read2_b64 v[99:102], v125 offset0:44 offset1:45
	s_waitcnt lgkmcnt(0)
	v_mul_f64 v[103:104], v[101:102], v[105:106]
	v_fma_f64 v[103:104], v[99:100], v[97:98], -v[103:104]
	v_mul_f64 v[99:100], v[99:100], v[105:106]
	v_add_f64 v[117:118], v[117:118], -v[103:104]
	v_fma_f64 v[99:100], v[101:102], v[97:98], v[99:100]
	v_add_f64 v[119:120], v[119:120], -v[99:100]
	ds_read2_b64 v[99:102], v125 offset0:46 offset1:47
	;; [unrolled: 8-line block ×5, first 2 shown]
	buffer_load_dword v77, off, s[20:23], 0 offset:32 ; 4-byte Folded Reload
	buffer_load_dword v78, off, s[20:23], 0 offset:36 ; 4-byte Folded Reload
	;; [unrolled: 1-line block ×4, first 2 shown]
	s_waitcnt lgkmcnt(0)
	v_mul_f64 v[103:104], v[101:102], v[105:106]
	v_fma_f64 v[103:104], v[99:100], v[97:98], -v[103:104]
	v_mul_f64 v[99:100], v[99:100], v[105:106]
	v_fma_f64 v[99:100], v[101:102], v[97:98], v[99:100]
	s_waitcnt vmcnt(2)
	v_add_f64 v[77:78], v[77:78], -v[103:104]
	s_waitcnt vmcnt(0)
	v_add_f64 v[79:80], v[79:80], -v[99:100]
	buffer_store_dword v77, off, s[20:23], 0 offset:32 ; 4-byte Folded Spill
	s_nop 0
	buffer_store_dword v78, off, s[20:23], 0 offset:36 ; 4-byte Folded Spill
	buffer_store_dword v79, off, s[20:23], 0 offset:40 ; 4-byte Folded Spill
	;; [unrolled: 1-line block ×3, first 2 shown]
	ds_read2_b64 v[99:102], v125 offset0:54 offset1:55
	buffer_load_dword v73, off, s[20:23], 0 offset:16 ; 4-byte Folded Reload
	buffer_load_dword v74, off, s[20:23], 0 offset:20 ; 4-byte Folded Reload
	;; [unrolled: 1-line block ×4, first 2 shown]
	s_waitcnt lgkmcnt(0)
	v_mul_f64 v[103:104], v[101:102], v[105:106]
	v_fma_f64 v[103:104], v[99:100], v[97:98], -v[103:104]
	v_mul_f64 v[99:100], v[99:100], v[105:106]
	v_fma_f64 v[99:100], v[101:102], v[97:98], v[99:100]
	s_waitcnt vmcnt(2)
	v_add_f64 v[73:74], v[73:74], -v[103:104]
	s_waitcnt vmcnt(0)
	v_add_f64 v[75:76], v[75:76], -v[99:100]
	buffer_store_dword v73, off, s[20:23], 0 offset:16 ; 4-byte Folded Spill
	s_nop 0
	buffer_store_dword v74, off, s[20:23], 0 offset:20 ; 4-byte Folded Spill
	buffer_store_dword v75, off, s[20:23], 0 offset:24 ; 4-byte Folded Spill
	;; [unrolled: 1-line block ×3, first 2 shown]
	v_mov_b32_e32 v76, v72
	v_mov_b32_e32 v75, v71
	;; [unrolled: 1-line block ×4, first 2 shown]
	ds_read2_b64 v[99:102], v125 offset0:56 offset1:57
	buffer_load_dword v69, off, s[20:23], 0 ; 4-byte Folded Reload
	buffer_load_dword v70, off, s[20:23], 0 offset:4 ; 4-byte Folded Reload
	buffer_load_dword v71, off, s[20:23], 0 offset:8 ; 4-byte Folded Reload
	;; [unrolled: 1-line block ×3, first 2 shown]
	s_waitcnt lgkmcnt(0)
	v_mul_f64 v[103:104], v[101:102], v[105:106]
	v_fma_f64 v[103:104], v[99:100], v[97:98], -v[103:104]
	v_mul_f64 v[99:100], v[99:100], v[105:106]
	v_fma_f64 v[99:100], v[101:102], v[97:98], v[99:100]
	s_waitcnt vmcnt(2)
	v_add_f64 v[69:70], v[69:70], -v[103:104]
	s_waitcnt vmcnt(0)
	v_add_f64 v[71:72], v[71:72], -v[99:100]
	buffer_store_dword v69, off, s[20:23], 0 ; 4-byte Folded Spill
	s_nop 0
	buffer_store_dword v70, off, s[20:23], 0 offset:4 ; 4-byte Folded Spill
	buffer_store_dword v71, off, s[20:23], 0 offset:8 ; 4-byte Folded Spill
	;; [unrolled: 1-line block ×3, first 2 shown]
	ds_read2_b64 v[99:102], v125 offset0:58 offset1:59
	s_waitcnt lgkmcnt(0)
	v_mul_f64 v[103:104], v[101:102], v[105:106]
	v_fma_f64 v[103:104], v[99:100], v[97:98], -v[103:104]
	v_mul_f64 v[99:100], v[99:100], v[105:106]
	v_add_f64 v[65:66], v[65:66], -v[103:104]
	v_fma_f64 v[99:100], v[101:102], v[97:98], v[99:100]
	v_add_f64 v[67:68], v[67:68], -v[99:100]
	ds_read2_b64 v[99:102], v125 offset0:60 offset1:61
	s_waitcnt lgkmcnt(0)
	v_mul_f64 v[103:104], v[101:102], v[105:106]
	v_fma_f64 v[103:104], v[99:100], v[97:98], -v[103:104]
	v_mul_f64 v[99:100], v[99:100], v[105:106]
	v_add_f64 v[61:62], v[61:62], -v[103:104]
	v_fma_f64 v[99:100], v[101:102], v[97:98], v[99:100]
	v_add_f64 v[63:64], v[63:64], -v[99:100]
	;; [unrolled: 8-line block ×17, first 2 shown]
	ds_read2_b64 v[99:102], v125 offset0:92 offset1:93
	s_waitcnt lgkmcnt(0)
	v_mul_f64 v[103:104], v[101:102], v[105:106]
	v_fma_f64 v[103:104], v[99:100], v[97:98], -v[103:104]
	v_mul_f64 v[99:100], v[99:100], v[105:106]
	v_add_f64 v[73:74], v[73:74], -v[103:104]
	v_fma_f64 v[99:100], v[101:102], v[97:98], v[99:100]
	v_mov_b32_e32 v104, v98
	v_mov_b32_e32 v103, v97
	buffer_store_dword v103, off, s[20:23], 0 offset:176 ; 4-byte Folded Spill
	s_nop 0
	buffer_store_dword v104, off, s[20:23], 0 offset:180 ; 4-byte Folded Spill
	buffer_store_dword v105, off, s[20:23], 0 offset:184 ; 4-byte Folded Spill
	buffer_store_dword v106, off, s[20:23], 0 offset:188 ; 4-byte Folded Spill
	v_add_f64 v[75:76], v[75:76], -v[99:100]
.LBB93_118:
	s_or_b64 exec, exec, s[2:3]
	v_cmp_eq_u32_e32 vcc, 13, v0
	s_waitcnt vmcnt(0)
	s_barrier
	s_and_saveexec_b64 s[4:5], vcc
	s_cbranch_execz .LBB93_125
; %bb.119:
	buffer_load_dword v69, off, s[20:23], 0 offset:160 ; 4-byte Folded Reload
	buffer_load_dword v70, off, s[20:23], 0 offset:164 ; 4-byte Folded Reload
	;; [unrolled: 1-line block ×4, first 2 shown]
	s_waitcnt vmcnt(0)
	ds_write2_b64 v127, v[69:70], v[71:72] offset1:1
	buffer_load_dword v69, off, s[20:23], 0 offset:144 ; 4-byte Folded Reload
	buffer_load_dword v70, off, s[20:23], 0 offset:148 ; 4-byte Folded Reload
	buffer_load_dword v71, off, s[20:23], 0 offset:152 ; 4-byte Folded Reload
	buffer_load_dword v72, off, s[20:23], 0 offset:156 ; 4-byte Folded Reload
	s_waitcnt vmcnt(0)
	ds_write2_b64 v125, v[69:70], v[71:72] offset0:28 offset1:29
	buffer_load_dword v69, off, s[20:23], 0 offset:128 ; 4-byte Folded Reload
	buffer_load_dword v70, off, s[20:23], 0 offset:132 ; 4-byte Folded Reload
	buffer_load_dword v71, off, s[20:23], 0 offset:136 ; 4-byte Folded Reload
	buffer_load_dword v72, off, s[20:23], 0 offset:140 ; 4-byte Folded Reload
	s_waitcnt vmcnt(0)
	ds_write2_b64 v125, v[69:70], v[71:72] offset0:30 offset1:31
	;; [unrolled: 6-line block ×7, first 2 shown]
	ds_write2_b64 v125, v[121:122], v[123:124] offset0:42 offset1:43
	ds_write2_b64 v125, v[117:118], v[119:120] offset0:44 offset1:45
	;; [unrolled: 1-line block ×5, first 2 shown]
	buffer_load_dword v77, off, s[20:23], 0 offset:32 ; 4-byte Folded Reload
	buffer_load_dword v78, off, s[20:23], 0 offset:36 ; 4-byte Folded Reload
	;; [unrolled: 1-line block ×4, first 2 shown]
	v_mov_b32_e32 v69, v73
	v_mov_b32_e32 v70, v74
	;; [unrolled: 1-line block ×4, first 2 shown]
	s_waitcnt vmcnt(0)
	ds_write2_b64 v125, v[77:78], v[79:80] offset0:52 offset1:53
	buffer_load_dword v73, off, s[20:23], 0 offset:16 ; 4-byte Folded Reload
	buffer_load_dword v74, off, s[20:23], 0 offset:20 ; 4-byte Folded Reload
	;; [unrolled: 1-line block ×4, first 2 shown]
	s_waitcnt vmcnt(0)
	ds_write2_b64 v125, v[73:74], v[75:76] offset0:54 offset1:55
	v_mov_b32_e32 v76, v72
	v_mov_b32_e32 v75, v71
	;; [unrolled: 1-line block ×4, first 2 shown]
	buffer_load_dword v69, off, s[20:23], 0 ; 4-byte Folded Reload
	buffer_load_dword v70, off, s[20:23], 0 offset:4 ; 4-byte Folded Reload
	buffer_load_dword v71, off, s[20:23], 0 offset:8 ; 4-byte Folded Reload
	;; [unrolled: 1-line block ×3, first 2 shown]
	s_waitcnt vmcnt(0)
	ds_write2_b64 v125, v[69:70], v[71:72] offset0:56 offset1:57
	ds_write2_b64 v125, v[65:66], v[67:68] offset0:58 offset1:59
	;; [unrolled: 1-line block ×19, first 2 shown]
	ds_read2_b64 v[97:100], v127 offset1:1
	s_waitcnt lgkmcnt(0)
	v_cmp_neq_f64_e32 vcc, 0, v[97:98]
	v_cmp_neq_f64_e64 s[2:3], 0, v[99:100]
	s_or_b64 s[2:3], vcc, s[2:3]
	s_and_b64 exec, exec, s[2:3]
	s_cbranch_execz .LBB93_125
; %bb.120:
	v_cmp_ngt_f64_e64 s[2:3], |v[97:98]|, |v[99:100]|
                                        ; implicit-def: $vgpr101_vgpr102
	s_and_saveexec_b64 s[6:7], s[2:3]
	s_xor_b64 s[2:3], exec, s[6:7]
                                        ; implicit-def: $vgpr103_vgpr104
	s_cbranch_execz .LBB93_122
; %bb.121:
	v_div_scale_f64 v[101:102], s[6:7], v[99:100], v[99:100], v[97:98]
	v_rcp_f64_e32 v[103:104], v[101:102]
	v_fma_f64 v[105:106], -v[101:102], v[103:104], 1.0
	v_fma_f64 v[103:104], v[103:104], v[105:106], v[103:104]
	v_div_scale_f64 v[105:106], vcc, v[97:98], v[99:100], v[97:98]
	v_fma_f64 v[107:108], -v[101:102], v[103:104], 1.0
	v_fma_f64 v[103:104], v[103:104], v[107:108], v[103:104]
	v_mul_f64 v[107:108], v[105:106], v[103:104]
	v_fma_f64 v[101:102], -v[101:102], v[107:108], v[105:106]
	v_div_fmas_f64 v[101:102], v[101:102], v[103:104], v[107:108]
	v_div_fixup_f64 v[101:102], v[101:102], v[99:100], v[97:98]
	v_fma_f64 v[97:98], v[97:98], v[101:102], v[99:100]
	v_div_scale_f64 v[99:100], s[6:7], v[97:98], v[97:98], 1.0
	v_div_scale_f64 v[107:108], vcc, 1.0, v[97:98], 1.0
	v_rcp_f64_e32 v[103:104], v[99:100]
	v_fma_f64 v[105:106], -v[99:100], v[103:104], 1.0
	v_fma_f64 v[103:104], v[103:104], v[105:106], v[103:104]
	v_fma_f64 v[105:106], -v[99:100], v[103:104], 1.0
	v_fma_f64 v[103:104], v[103:104], v[105:106], v[103:104]
	v_mul_f64 v[105:106], v[107:108], v[103:104]
	v_fma_f64 v[99:100], -v[99:100], v[105:106], v[107:108]
	v_div_fmas_f64 v[99:100], v[99:100], v[103:104], v[105:106]
	v_div_fixup_f64 v[103:104], v[99:100], v[97:98], 1.0
                                        ; implicit-def: $vgpr97_vgpr98
	v_mul_f64 v[101:102], v[101:102], v[103:104]
	v_xor_b32_e32 v104, 0x80000000, v104
.LBB93_122:
	s_andn2_saveexec_b64 s[2:3], s[2:3]
	s_cbranch_execz .LBB93_124
; %bb.123:
	v_div_scale_f64 v[101:102], s[6:7], v[97:98], v[97:98], v[99:100]
	v_rcp_f64_e32 v[103:104], v[101:102]
	v_fma_f64 v[105:106], -v[101:102], v[103:104], 1.0
	v_fma_f64 v[103:104], v[103:104], v[105:106], v[103:104]
	v_div_scale_f64 v[105:106], vcc, v[99:100], v[97:98], v[99:100]
	v_fma_f64 v[107:108], -v[101:102], v[103:104], 1.0
	v_fma_f64 v[103:104], v[103:104], v[107:108], v[103:104]
	v_mul_f64 v[107:108], v[105:106], v[103:104]
	v_fma_f64 v[101:102], -v[101:102], v[107:108], v[105:106]
	v_div_fmas_f64 v[101:102], v[101:102], v[103:104], v[107:108]
	v_div_fixup_f64 v[103:104], v[101:102], v[97:98], v[99:100]
	v_fma_f64 v[97:98], v[99:100], v[103:104], v[97:98]
	v_div_scale_f64 v[99:100], s[6:7], v[97:98], v[97:98], 1.0
	v_div_scale_f64 v[107:108], vcc, 1.0, v[97:98], 1.0
	v_rcp_f64_e32 v[101:102], v[99:100]
	v_fma_f64 v[105:106], -v[99:100], v[101:102], 1.0
	v_fma_f64 v[101:102], v[101:102], v[105:106], v[101:102]
	v_fma_f64 v[105:106], -v[99:100], v[101:102], 1.0
	v_fma_f64 v[101:102], v[101:102], v[105:106], v[101:102]
	v_mul_f64 v[105:106], v[107:108], v[101:102]
	v_fma_f64 v[99:100], -v[99:100], v[105:106], v[107:108]
	v_div_fmas_f64 v[99:100], v[99:100], v[101:102], v[105:106]
	v_div_fixup_f64 v[101:102], v[99:100], v[97:98], 1.0
	v_mul_f64 v[103:104], v[103:104], -v[101:102]
.LBB93_124:
	s_or_b64 exec, exec, s[2:3]
	ds_write2_b64 v127, v[101:102], v[103:104] offset1:1
.LBB93_125:
	s_or_b64 exec, exec, s[4:5]
	s_waitcnt lgkmcnt(0)
	s_barrier
	ds_read2_b64 v[69:72], v127 offset1:1
	v_cmp_lt_u32_e32 vcc, 13, v0
	s_waitcnt lgkmcnt(0)
	buffer_store_dword v69, off, s[20:23], 0 offset:960 ; 4-byte Folded Spill
	s_nop 0
	buffer_store_dword v70, off, s[20:23], 0 offset:964 ; 4-byte Folded Spill
	buffer_store_dword v71, off, s[20:23], 0 offset:968 ; 4-byte Folded Spill
	;; [unrolled: 1-line block ×3, first 2 shown]
	s_and_saveexec_b64 s[2:3], vcc
	s_cbranch_execz .LBB93_127
; %bb.126:
	buffer_load_dword v103, off, s[20:23], 0 offset:160 ; 4-byte Folded Reload
	buffer_load_dword v104, off, s[20:23], 0 offset:164 ; 4-byte Folded Reload
	;; [unrolled: 1-line block ×8, first 2 shown]
	s_waitcnt vmcnt(2)
	v_mul_f64 v[99:100], v[69:70], v[105:106]
	s_waitcnt vmcnt(0)
	v_mul_f64 v[97:98], v[71:72], v[105:106]
	v_fma_f64 v[105:106], v[71:72], v[103:104], v[99:100]
	ds_read2_b64 v[99:102], v125 offset0:28 offset1:29
	v_fma_f64 v[97:98], v[69:70], v[103:104], -v[97:98]
	buffer_load_dword v69, off, s[20:23], 0 offset:144 ; 4-byte Folded Reload
	buffer_load_dword v70, off, s[20:23], 0 offset:148 ; 4-byte Folded Reload
	buffer_load_dword v71, off, s[20:23], 0 offset:152 ; 4-byte Folded Reload
	buffer_load_dword v72, off, s[20:23], 0 offset:156 ; 4-byte Folded Reload
	s_waitcnt lgkmcnt(0)
	v_mul_f64 v[103:104], v[101:102], v[105:106]
	v_fma_f64 v[103:104], v[99:100], v[97:98], -v[103:104]
	v_mul_f64 v[99:100], v[99:100], v[105:106]
	v_fma_f64 v[99:100], v[101:102], v[97:98], v[99:100]
	s_waitcnt vmcnt(2)
	v_add_f64 v[69:70], v[69:70], -v[103:104]
	s_waitcnt vmcnt(0)
	v_add_f64 v[71:72], v[71:72], -v[99:100]
	buffer_store_dword v69, off, s[20:23], 0 offset:144 ; 4-byte Folded Spill
	s_nop 0
	buffer_store_dword v70, off, s[20:23], 0 offset:148 ; 4-byte Folded Spill
	buffer_store_dword v71, off, s[20:23], 0 offset:152 ; 4-byte Folded Spill
	buffer_store_dword v72, off, s[20:23], 0 offset:156 ; 4-byte Folded Spill
	ds_read2_b64 v[99:102], v125 offset0:30 offset1:31
	buffer_load_dword v69, off, s[20:23], 0 offset:128 ; 4-byte Folded Reload
	buffer_load_dword v70, off, s[20:23], 0 offset:132 ; 4-byte Folded Reload
	buffer_load_dword v71, off, s[20:23], 0 offset:136 ; 4-byte Folded Reload
	buffer_load_dword v72, off, s[20:23], 0 offset:140 ; 4-byte Folded Reload
	s_waitcnt lgkmcnt(0)
	v_mul_f64 v[103:104], v[101:102], v[105:106]
	v_fma_f64 v[103:104], v[99:100], v[97:98], -v[103:104]
	v_mul_f64 v[99:100], v[99:100], v[105:106]
	v_fma_f64 v[99:100], v[101:102], v[97:98], v[99:100]
	s_waitcnt vmcnt(2)
	v_add_f64 v[69:70], v[69:70], -v[103:104]
	s_waitcnt vmcnt(0)
	v_add_f64 v[71:72], v[71:72], -v[99:100]
	buffer_store_dword v69, off, s[20:23], 0 offset:128 ; 4-byte Folded Spill
	s_nop 0
	buffer_store_dword v70, off, s[20:23], 0 offset:132 ; 4-byte Folded Spill
	buffer_store_dword v71, off, s[20:23], 0 offset:136 ; 4-byte Folded Spill
	buffer_store_dword v72, off, s[20:23], 0 offset:140 ; 4-byte Folded Spill
	ds_read2_b64 v[99:102], v125 offset0:32 offset1:33
	;; [unrolled: 19-line block ×7, first 2 shown]
	v_mov_b32_e32 v69, v73
	v_mov_b32_e32 v70, v74
	;; [unrolled: 1-line block ×4, first 2 shown]
	s_waitcnt lgkmcnt(0)
	v_mul_f64 v[103:104], v[101:102], v[105:106]
	v_fma_f64 v[103:104], v[99:100], v[97:98], -v[103:104]
	v_mul_f64 v[99:100], v[99:100], v[105:106]
	v_add_f64 v[121:122], v[121:122], -v[103:104]
	v_fma_f64 v[99:100], v[101:102], v[97:98], v[99:100]
	v_add_f64 v[123:124], v[123:124], -v[99:100]
	ds_read2_b64 v[99:102], v125 offset0:44 offset1:45
	s_waitcnt lgkmcnt(0)
	v_mul_f64 v[103:104], v[101:102], v[105:106]
	v_fma_f64 v[103:104], v[99:100], v[97:98], -v[103:104]
	v_mul_f64 v[99:100], v[99:100], v[105:106]
	v_add_f64 v[117:118], v[117:118], -v[103:104]
	v_fma_f64 v[99:100], v[101:102], v[97:98], v[99:100]
	v_add_f64 v[119:120], v[119:120], -v[99:100]
	ds_read2_b64 v[99:102], v125 offset0:46 offset1:47
	;; [unrolled: 8-line block ×5, first 2 shown]
	buffer_load_dword v77, off, s[20:23], 0 offset:32 ; 4-byte Folded Reload
	buffer_load_dword v78, off, s[20:23], 0 offset:36 ; 4-byte Folded Reload
	;; [unrolled: 1-line block ×4, first 2 shown]
	s_waitcnt lgkmcnt(0)
	v_mul_f64 v[103:104], v[101:102], v[105:106]
	v_fma_f64 v[103:104], v[99:100], v[97:98], -v[103:104]
	v_mul_f64 v[99:100], v[99:100], v[105:106]
	v_fma_f64 v[99:100], v[101:102], v[97:98], v[99:100]
	s_waitcnt vmcnt(2)
	v_add_f64 v[77:78], v[77:78], -v[103:104]
	s_waitcnt vmcnt(0)
	v_add_f64 v[79:80], v[79:80], -v[99:100]
	buffer_store_dword v77, off, s[20:23], 0 offset:32 ; 4-byte Folded Spill
	s_nop 0
	buffer_store_dword v78, off, s[20:23], 0 offset:36 ; 4-byte Folded Spill
	buffer_store_dword v79, off, s[20:23], 0 offset:40 ; 4-byte Folded Spill
	;; [unrolled: 1-line block ×3, first 2 shown]
	ds_read2_b64 v[99:102], v125 offset0:54 offset1:55
	buffer_load_dword v73, off, s[20:23], 0 offset:16 ; 4-byte Folded Reload
	buffer_load_dword v74, off, s[20:23], 0 offset:20 ; 4-byte Folded Reload
	;; [unrolled: 1-line block ×4, first 2 shown]
	s_waitcnt lgkmcnt(0)
	v_mul_f64 v[103:104], v[101:102], v[105:106]
	v_fma_f64 v[103:104], v[99:100], v[97:98], -v[103:104]
	v_mul_f64 v[99:100], v[99:100], v[105:106]
	v_fma_f64 v[99:100], v[101:102], v[97:98], v[99:100]
	s_waitcnt vmcnt(2)
	v_add_f64 v[73:74], v[73:74], -v[103:104]
	s_waitcnt vmcnt(0)
	v_add_f64 v[75:76], v[75:76], -v[99:100]
	buffer_store_dword v73, off, s[20:23], 0 offset:16 ; 4-byte Folded Spill
	s_nop 0
	buffer_store_dword v74, off, s[20:23], 0 offset:20 ; 4-byte Folded Spill
	buffer_store_dword v75, off, s[20:23], 0 offset:24 ; 4-byte Folded Spill
	;; [unrolled: 1-line block ×3, first 2 shown]
	v_mov_b32_e32 v76, v72
	v_mov_b32_e32 v75, v71
	;; [unrolled: 1-line block ×4, first 2 shown]
	ds_read2_b64 v[99:102], v125 offset0:56 offset1:57
	buffer_load_dword v69, off, s[20:23], 0 ; 4-byte Folded Reload
	buffer_load_dword v70, off, s[20:23], 0 offset:4 ; 4-byte Folded Reload
	buffer_load_dword v71, off, s[20:23], 0 offset:8 ; 4-byte Folded Reload
	;; [unrolled: 1-line block ×3, first 2 shown]
	s_waitcnt lgkmcnt(0)
	v_mul_f64 v[103:104], v[101:102], v[105:106]
	v_fma_f64 v[103:104], v[99:100], v[97:98], -v[103:104]
	v_mul_f64 v[99:100], v[99:100], v[105:106]
	v_fma_f64 v[99:100], v[101:102], v[97:98], v[99:100]
	s_waitcnt vmcnt(2)
	v_add_f64 v[69:70], v[69:70], -v[103:104]
	s_waitcnt vmcnt(0)
	v_add_f64 v[71:72], v[71:72], -v[99:100]
	buffer_store_dword v69, off, s[20:23], 0 ; 4-byte Folded Spill
	s_nop 0
	buffer_store_dword v70, off, s[20:23], 0 offset:4 ; 4-byte Folded Spill
	buffer_store_dword v71, off, s[20:23], 0 offset:8 ; 4-byte Folded Spill
	;; [unrolled: 1-line block ×3, first 2 shown]
	ds_read2_b64 v[99:102], v125 offset0:58 offset1:59
	s_waitcnt lgkmcnt(0)
	v_mul_f64 v[103:104], v[101:102], v[105:106]
	v_fma_f64 v[103:104], v[99:100], v[97:98], -v[103:104]
	v_mul_f64 v[99:100], v[99:100], v[105:106]
	v_add_f64 v[65:66], v[65:66], -v[103:104]
	v_fma_f64 v[99:100], v[101:102], v[97:98], v[99:100]
	v_add_f64 v[67:68], v[67:68], -v[99:100]
	ds_read2_b64 v[99:102], v125 offset0:60 offset1:61
	s_waitcnt lgkmcnt(0)
	v_mul_f64 v[103:104], v[101:102], v[105:106]
	v_fma_f64 v[103:104], v[99:100], v[97:98], -v[103:104]
	v_mul_f64 v[99:100], v[99:100], v[105:106]
	v_add_f64 v[61:62], v[61:62], -v[103:104]
	v_fma_f64 v[99:100], v[101:102], v[97:98], v[99:100]
	v_add_f64 v[63:64], v[63:64], -v[99:100]
	;; [unrolled: 8-line block ×17, first 2 shown]
	ds_read2_b64 v[99:102], v125 offset0:92 offset1:93
	s_waitcnt lgkmcnt(0)
	v_mul_f64 v[103:104], v[101:102], v[105:106]
	v_fma_f64 v[103:104], v[99:100], v[97:98], -v[103:104]
	v_mul_f64 v[99:100], v[99:100], v[105:106]
	v_add_f64 v[73:74], v[73:74], -v[103:104]
	v_fma_f64 v[99:100], v[101:102], v[97:98], v[99:100]
	v_mov_b32_e32 v104, v98
	v_mov_b32_e32 v103, v97
	buffer_store_dword v103, off, s[20:23], 0 offset:160 ; 4-byte Folded Spill
	s_nop 0
	buffer_store_dword v104, off, s[20:23], 0 offset:164 ; 4-byte Folded Spill
	buffer_store_dword v105, off, s[20:23], 0 offset:168 ; 4-byte Folded Spill
	;; [unrolled: 1-line block ×3, first 2 shown]
	v_add_f64 v[75:76], v[75:76], -v[99:100]
.LBB93_127:
	s_or_b64 exec, exec, s[2:3]
	v_cmp_eq_u32_e32 vcc, 14, v0
	s_waitcnt vmcnt(0)
	s_barrier
	s_and_saveexec_b64 s[4:5], vcc
	s_cbranch_execz .LBB93_134
; %bb.128:
	buffer_load_dword v69, off, s[20:23], 0 offset:144 ; 4-byte Folded Reload
	buffer_load_dword v70, off, s[20:23], 0 offset:148 ; 4-byte Folded Reload
	;; [unrolled: 1-line block ×4, first 2 shown]
	s_waitcnt vmcnt(0)
	ds_write2_b64 v127, v[69:70], v[71:72] offset1:1
	buffer_load_dword v69, off, s[20:23], 0 offset:128 ; 4-byte Folded Reload
	buffer_load_dword v70, off, s[20:23], 0 offset:132 ; 4-byte Folded Reload
	buffer_load_dword v71, off, s[20:23], 0 offset:136 ; 4-byte Folded Reload
	buffer_load_dword v72, off, s[20:23], 0 offset:140 ; 4-byte Folded Reload
	s_waitcnt vmcnt(0)
	ds_write2_b64 v125, v[69:70], v[71:72] offset0:30 offset1:31
	buffer_load_dword v69, off, s[20:23], 0 offset:112 ; 4-byte Folded Reload
	buffer_load_dword v70, off, s[20:23], 0 offset:116 ; 4-byte Folded Reload
	buffer_load_dword v71, off, s[20:23], 0 offset:120 ; 4-byte Folded Reload
	buffer_load_dword v72, off, s[20:23], 0 offset:124 ; 4-byte Folded Reload
	s_waitcnt vmcnt(0)
	ds_write2_b64 v125, v[69:70], v[71:72] offset0:32 offset1:33
	;; [unrolled: 6-line block ×6, first 2 shown]
	ds_write2_b64 v125, v[121:122], v[123:124] offset0:42 offset1:43
	ds_write2_b64 v125, v[117:118], v[119:120] offset0:44 offset1:45
	;; [unrolled: 1-line block ×5, first 2 shown]
	buffer_load_dword v77, off, s[20:23], 0 offset:32 ; 4-byte Folded Reload
	buffer_load_dword v78, off, s[20:23], 0 offset:36 ; 4-byte Folded Reload
	;; [unrolled: 1-line block ×4, first 2 shown]
	v_mov_b32_e32 v69, v73
	v_mov_b32_e32 v70, v74
	;; [unrolled: 1-line block ×4, first 2 shown]
	s_waitcnt vmcnt(0)
	ds_write2_b64 v125, v[77:78], v[79:80] offset0:52 offset1:53
	buffer_load_dword v73, off, s[20:23], 0 offset:16 ; 4-byte Folded Reload
	buffer_load_dword v74, off, s[20:23], 0 offset:20 ; 4-byte Folded Reload
	;; [unrolled: 1-line block ×4, first 2 shown]
	s_waitcnt vmcnt(0)
	ds_write2_b64 v125, v[73:74], v[75:76] offset0:54 offset1:55
	v_mov_b32_e32 v76, v72
	v_mov_b32_e32 v75, v71
	;; [unrolled: 1-line block ×4, first 2 shown]
	buffer_load_dword v69, off, s[20:23], 0 ; 4-byte Folded Reload
	buffer_load_dword v70, off, s[20:23], 0 offset:4 ; 4-byte Folded Reload
	buffer_load_dword v71, off, s[20:23], 0 offset:8 ; 4-byte Folded Reload
	;; [unrolled: 1-line block ×3, first 2 shown]
	s_waitcnt vmcnt(0)
	ds_write2_b64 v125, v[69:70], v[71:72] offset0:56 offset1:57
	ds_write2_b64 v125, v[65:66], v[67:68] offset0:58 offset1:59
	;; [unrolled: 1-line block ×19, first 2 shown]
	ds_read2_b64 v[97:100], v127 offset1:1
	s_waitcnt lgkmcnt(0)
	v_cmp_neq_f64_e32 vcc, 0, v[97:98]
	v_cmp_neq_f64_e64 s[2:3], 0, v[99:100]
	s_or_b64 s[2:3], vcc, s[2:3]
	s_and_b64 exec, exec, s[2:3]
	s_cbranch_execz .LBB93_134
; %bb.129:
	v_cmp_ngt_f64_e64 s[2:3], |v[97:98]|, |v[99:100]|
                                        ; implicit-def: $vgpr101_vgpr102
	s_and_saveexec_b64 s[6:7], s[2:3]
	s_xor_b64 s[2:3], exec, s[6:7]
                                        ; implicit-def: $vgpr103_vgpr104
	s_cbranch_execz .LBB93_131
; %bb.130:
	v_div_scale_f64 v[101:102], s[6:7], v[99:100], v[99:100], v[97:98]
	v_rcp_f64_e32 v[103:104], v[101:102]
	v_fma_f64 v[105:106], -v[101:102], v[103:104], 1.0
	v_fma_f64 v[103:104], v[103:104], v[105:106], v[103:104]
	v_div_scale_f64 v[105:106], vcc, v[97:98], v[99:100], v[97:98]
	v_fma_f64 v[107:108], -v[101:102], v[103:104], 1.0
	v_fma_f64 v[103:104], v[103:104], v[107:108], v[103:104]
	v_mul_f64 v[107:108], v[105:106], v[103:104]
	v_fma_f64 v[101:102], -v[101:102], v[107:108], v[105:106]
	v_div_fmas_f64 v[101:102], v[101:102], v[103:104], v[107:108]
	v_div_fixup_f64 v[101:102], v[101:102], v[99:100], v[97:98]
	v_fma_f64 v[97:98], v[97:98], v[101:102], v[99:100]
	v_div_scale_f64 v[99:100], s[6:7], v[97:98], v[97:98], 1.0
	v_div_scale_f64 v[107:108], vcc, 1.0, v[97:98], 1.0
	v_rcp_f64_e32 v[103:104], v[99:100]
	v_fma_f64 v[105:106], -v[99:100], v[103:104], 1.0
	v_fma_f64 v[103:104], v[103:104], v[105:106], v[103:104]
	v_fma_f64 v[105:106], -v[99:100], v[103:104], 1.0
	v_fma_f64 v[103:104], v[103:104], v[105:106], v[103:104]
	v_mul_f64 v[105:106], v[107:108], v[103:104]
	v_fma_f64 v[99:100], -v[99:100], v[105:106], v[107:108]
	v_div_fmas_f64 v[99:100], v[99:100], v[103:104], v[105:106]
	v_div_fixup_f64 v[103:104], v[99:100], v[97:98], 1.0
                                        ; implicit-def: $vgpr97_vgpr98
	v_mul_f64 v[101:102], v[101:102], v[103:104]
	v_xor_b32_e32 v104, 0x80000000, v104
.LBB93_131:
	s_andn2_saveexec_b64 s[2:3], s[2:3]
	s_cbranch_execz .LBB93_133
; %bb.132:
	v_div_scale_f64 v[101:102], s[6:7], v[97:98], v[97:98], v[99:100]
	v_rcp_f64_e32 v[103:104], v[101:102]
	v_fma_f64 v[105:106], -v[101:102], v[103:104], 1.0
	v_fma_f64 v[103:104], v[103:104], v[105:106], v[103:104]
	v_div_scale_f64 v[105:106], vcc, v[99:100], v[97:98], v[99:100]
	v_fma_f64 v[107:108], -v[101:102], v[103:104], 1.0
	v_fma_f64 v[103:104], v[103:104], v[107:108], v[103:104]
	v_mul_f64 v[107:108], v[105:106], v[103:104]
	v_fma_f64 v[101:102], -v[101:102], v[107:108], v[105:106]
	v_div_fmas_f64 v[101:102], v[101:102], v[103:104], v[107:108]
	v_div_fixup_f64 v[103:104], v[101:102], v[97:98], v[99:100]
	v_fma_f64 v[97:98], v[99:100], v[103:104], v[97:98]
	v_div_scale_f64 v[99:100], s[6:7], v[97:98], v[97:98], 1.0
	v_div_scale_f64 v[107:108], vcc, 1.0, v[97:98], 1.0
	v_rcp_f64_e32 v[101:102], v[99:100]
	v_fma_f64 v[105:106], -v[99:100], v[101:102], 1.0
	v_fma_f64 v[101:102], v[101:102], v[105:106], v[101:102]
	v_fma_f64 v[105:106], -v[99:100], v[101:102], 1.0
	v_fma_f64 v[101:102], v[101:102], v[105:106], v[101:102]
	v_mul_f64 v[105:106], v[107:108], v[101:102]
	v_fma_f64 v[99:100], -v[99:100], v[105:106], v[107:108]
	v_div_fmas_f64 v[99:100], v[99:100], v[101:102], v[105:106]
	v_div_fixup_f64 v[101:102], v[99:100], v[97:98], 1.0
	v_mul_f64 v[103:104], v[103:104], -v[101:102]
.LBB93_133:
	s_or_b64 exec, exec, s[2:3]
	ds_write2_b64 v127, v[101:102], v[103:104] offset1:1
.LBB93_134:
	s_or_b64 exec, exec, s[4:5]
	s_waitcnt lgkmcnt(0)
	s_barrier
	ds_read2_b64 v[69:72], v127 offset1:1
	v_cmp_lt_u32_e32 vcc, 14, v0
	s_waitcnt lgkmcnt(0)
	buffer_store_dword v69, off, s[20:23], 0 offset:976 ; 4-byte Folded Spill
	s_nop 0
	buffer_store_dword v70, off, s[20:23], 0 offset:980 ; 4-byte Folded Spill
	buffer_store_dword v71, off, s[20:23], 0 offset:984 ; 4-byte Folded Spill
	;; [unrolled: 1-line block ×3, first 2 shown]
	s_and_saveexec_b64 s[2:3], vcc
	s_cbranch_execz .LBB93_136
; %bb.135:
	buffer_load_dword v103, off, s[20:23], 0 offset:144 ; 4-byte Folded Reload
	buffer_load_dword v104, off, s[20:23], 0 offset:148 ; 4-byte Folded Reload
	;; [unrolled: 1-line block ×8, first 2 shown]
	s_waitcnt vmcnt(2)
	v_mul_f64 v[99:100], v[69:70], v[105:106]
	s_waitcnt vmcnt(0)
	v_mul_f64 v[97:98], v[71:72], v[105:106]
	v_fma_f64 v[105:106], v[71:72], v[103:104], v[99:100]
	ds_read2_b64 v[99:102], v125 offset0:30 offset1:31
	v_fma_f64 v[97:98], v[69:70], v[103:104], -v[97:98]
	buffer_load_dword v69, off, s[20:23], 0 offset:128 ; 4-byte Folded Reload
	buffer_load_dword v70, off, s[20:23], 0 offset:132 ; 4-byte Folded Reload
	buffer_load_dword v71, off, s[20:23], 0 offset:136 ; 4-byte Folded Reload
	buffer_load_dword v72, off, s[20:23], 0 offset:140 ; 4-byte Folded Reload
	s_waitcnt lgkmcnt(0)
	v_mul_f64 v[103:104], v[101:102], v[105:106]
	v_fma_f64 v[103:104], v[99:100], v[97:98], -v[103:104]
	v_mul_f64 v[99:100], v[99:100], v[105:106]
	v_fma_f64 v[99:100], v[101:102], v[97:98], v[99:100]
	s_waitcnt vmcnt(2)
	v_add_f64 v[69:70], v[69:70], -v[103:104]
	s_waitcnt vmcnt(0)
	v_add_f64 v[71:72], v[71:72], -v[99:100]
	buffer_store_dword v69, off, s[20:23], 0 offset:128 ; 4-byte Folded Spill
	s_nop 0
	buffer_store_dword v70, off, s[20:23], 0 offset:132 ; 4-byte Folded Spill
	buffer_store_dword v71, off, s[20:23], 0 offset:136 ; 4-byte Folded Spill
	buffer_store_dword v72, off, s[20:23], 0 offset:140 ; 4-byte Folded Spill
	ds_read2_b64 v[99:102], v125 offset0:32 offset1:33
	buffer_load_dword v69, off, s[20:23], 0 offset:112 ; 4-byte Folded Reload
	buffer_load_dword v70, off, s[20:23], 0 offset:116 ; 4-byte Folded Reload
	buffer_load_dword v71, off, s[20:23], 0 offset:120 ; 4-byte Folded Reload
	buffer_load_dword v72, off, s[20:23], 0 offset:124 ; 4-byte Folded Reload
	s_waitcnt lgkmcnt(0)
	v_mul_f64 v[103:104], v[101:102], v[105:106]
	v_fma_f64 v[103:104], v[99:100], v[97:98], -v[103:104]
	v_mul_f64 v[99:100], v[99:100], v[105:106]
	v_fma_f64 v[99:100], v[101:102], v[97:98], v[99:100]
	s_waitcnt vmcnt(2)
	v_add_f64 v[69:70], v[69:70], -v[103:104]
	s_waitcnt vmcnt(0)
	v_add_f64 v[71:72], v[71:72], -v[99:100]
	buffer_store_dword v69, off, s[20:23], 0 offset:112 ; 4-byte Folded Spill
	s_nop 0
	buffer_store_dword v70, off, s[20:23], 0 offset:116 ; 4-byte Folded Spill
	buffer_store_dword v71, off, s[20:23], 0 offset:120 ; 4-byte Folded Spill
	buffer_store_dword v72, off, s[20:23], 0 offset:124 ; 4-byte Folded Spill
	ds_read2_b64 v[99:102], v125 offset0:34 offset1:35
	buffer_load_dword v69, off, s[20:23], 0 offset:96 ; 4-byte Folded Reload
	buffer_load_dword v70, off, s[20:23], 0 offset:100 ; 4-byte Folded Reload
	buffer_load_dword v71, off, s[20:23], 0 offset:104 ; 4-byte Folded Reload
	buffer_load_dword v72, off, s[20:23], 0 offset:108 ; 4-byte Folded Reload
	s_waitcnt lgkmcnt(0)
	v_mul_f64 v[103:104], v[101:102], v[105:106]
	v_fma_f64 v[103:104], v[99:100], v[97:98], -v[103:104]
	v_mul_f64 v[99:100], v[99:100], v[105:106]
	v_fma_f64 v[99:100], v[101:102], v[97:98], v[99:100]
	s_waitcnt vmcnt(2)
	v_add_f64 v[69:70], v[69:70], -v[103:104]
	s_waitcnt vmcnt(0)
	v_add_f64 v[71:72], v[71:72], -v[99:100]
	buffer_store_dword v69, off, s[20:23], 0 offset:96 ; 4-byte Folded Spill
	s_nop 0
	buffer_store_dword v70, off, s[20:23], 0 offset:100 ; 4-byte Folded Spill
	buffer_store_dword v71, off, s[20:23], 0 offset:104 ; 4-byte Folded Spill
	buffer_store_dword v72, off, s[20:23], 0 offset:108 ; 4-byte Folded Spill
	ds_read2_b64 v[99:102], v125 offset0:36 offset1:37
	buffer_load_dword v69, off, s[20:23], 0 offset:80 ; 4-byte Folded Reload
	buffer_load_dword v70, off, s[20:23], 0 offset:84 ; 4-byte Folded Reload
	buffer_load_dword v71, off, s[20:23], 0 offset:88 ; 4-byte Folded Reload
	buffer_load_dword v72, off, s[20:23], 0 offset:92 ; 4-byte Folded Reload
	s_waitcnt lgkmcnt(0)
	v_mul_f64 v[103:104], v[101:102], v[105:106]
	v_fma_f64 v[103:104], v[99:100], v[97:98], -v[103:104]
	v_mul_f64 v[99:100], v[99:100], v[105:106]
	v_fma_f64 v[99:100], v[101:102], v[97:98], v[99:100]
	s_waitcnt vmcnt(2)
	v_add_f64 v[69:70], v[69:70], -v[103:104]
	s_waitcnt vmcnt(0)
	v_add_f64 v[71:72], v[71:72], -v[99:100]
	buffer_store_dword v69, off, s[20:23], 0 offset:80 ; 4-byte Folded Spill
	s_nop 0
	buffer_store_dword v70, off, s[20:23], 0 offset:84 ; 4-byte Folded Spill
	buffer_store_dword v71, off, s[20:23], 0 offset:88 ; 4-byte Folded Spill
	buffer_store_dword v72, off, s[20:23], 0 offset:92 ; 4-byte Folded Spill
	ds_read2_b64 v[99:102], v125 offset0:38 offset1:39
	buffer_load_dword v69, off, s[20:23], 0 offset:64 ; 4-byte Folded Reload
	buffer_load_dword v70, off, s[20:23], 0 offset:68 ; 4-byte Folded Reload
	buffer_load_dword v71, off, s[20:23], 0 offset:72 ; 4-byte Folded Reload
	buffer_load_dword v72, off, s[20:23], 0 offset:76 ; 4-byte Folded Reload
	s_waitcnt lgkmcnt(0)
	v_mul_f64 v[103:104], v[101:102], v[105:106]
	v_fma_f64 v[103:104], v[99:100], v[97:98], -v[103:104]
	v_mul_f64 v[99:100], v[99:100], v[105:106]
	v_fma_f64 v[99:100], v[101:102], v[97:98], v[99:100]
	s_waitcnt vmcnt(2)
	v_add_f64 v[69:70], v[69:70], -v[103:104]
	s_waitcnt vmcnt(0)
	v_add_f64 v[71:72], v[71:72], -v[99:100]
	buffer_store_dword v69, off, s[20:23], 0 offset:64 ; 4-byte Folded Spill
	s_nop 0
	buffer_store_dword v70, off, s[20:23], 0 offset:68 ; 4-byte Folded Spill
	buffer_store_dword v71, off, s[20:23], 0 offset:72 ; 4-byte Folded Spill
	buffer_store_dword v72, off, s[20:23], 0 offset:76 ; 4-byte Folded Spill
	ds_read2_b64 v[99:102], v125 offset0:40 offset1:41
	buffer_load_dword v69, off, s[20:23], 0 offset:48 ; 4-byte Folded Reload
	buffer_load_dword v70, off, s[20:23], 0 offset:52 ; 4-byte Folded Reload
	buffer_load_dword v71, off, s[20:23], 0 offset:56 ; 4-byte Folded Reload
	buffer_load_dword v72, off, s[20:23], 0 offset:60 ; 4-byte Folded Reload
	s_waitcnt lgkmcnt(0)
	v_mul_f64 v[103:104], v[101:102], v[105:106]
	v_fma_f64 v[103:104], v[99:100], v[97:98], -v[103:104]
	v_mul_f64 v[99:100], v[99:100], v[105:106]
	v_fma_f64 v[99:100], v[101:102], v[97:98], v[99:100]
	s_waitcnt vmcnt(2)
	v_add_f64 v[69:70], v[69:70], -v[103:104]
	s_waitcnt vmcnt(0)
	v_add_f64 v[71:72], v[71:72], -v[99:100]
	buffer_store_dword v69, off, s[20:23], 0 offset:48 ; 4-byte Folded Spill
	s_nop 0
	buffer_store_dword v70, off, s[20:23], 0 offset:52 ; 4-byte Folded Spill
	buffer_store_dword v71, off, s[20:23], 0 offset:56 ; 4-byte Folded Spill
	buffer_store_dword v72, off, s[20:23], 0 offset:60 ; 4-byte Folded Spill
	ds_read2_b64 v[99:102], v125 offset0:42 offset1:43
	v_mov_b32_e32 v69, v73
	v_mov_b32_e32 v70, v74
	;; [unrolled: 1-line block ×4, first 2 shown]
	s_waitcnt lgkmcnt(0)
	v_mul_f64 v[103:104], v[101:102], v[105:106]
	v_fma_f64 v[103:104], v[99:100], v[97:98], -v[103:104]
	v_mul_f64 v[99:100], v[99:100], v[105:106]
	v_add_f64 v[121:122], v[121:122], -v[103:104]
	v_fma_f64 v[99:100], v[101:102], v[97:98], v[99:100]
	v_add_f64 v[123:124], v[123:124], -v[99:100]
	ds_read2_b64 v[99:102], v125 offset0:44 offset1:45
	s_waitcnt lgkmcnt(0)
	v_mul_f64 v[103:104], v[101:102], v[105:106]
	v_fma_f64 v[103:104], v[99:100], v[97:98], -v[103:104]
	v_mul_f64 v[99:100], v[99:100], v[105:106]
	v_add_f64 v[117:118], v[117:118], -v[103:104]
	v_fma_f64 v[99:100], v[101:102], v[97:98], v[99:100]
	v_add_f64 v[119:120], v[119:120], -v[99:100]
	ds_read2_b64 v[99:102], v125 offset0:46 offset1:47
	;; [unrolled: 8-line block ×5, first 2 shown]
	buffer_load_dword v77, off, s[20:23], 0 offset:32 ; 4-byte Folded Reload
	buffer_load_dword v78, off, s[20:23], 0 offset:36 ; 4-byte Folded Reload
	;; [unrolled: 1-line block ×4, first 2 shown]
	s_waitcnt lgkmcnt(0)
	v_mul_f64 v[103:104], v[101:102], v[105:106]
	v_fma_f64 v[103:104], v[99:100], v[97:98], -v[103:104]
	v_mul_f64 v[99:100], v[99:100], v[105:106]
	v_fma_f64 v[99:100], v[101:102], v[97:98], v[99:100]
	s_waitcnt vmcnt(2)
	v_add_f64 v[77:78], v[77:78], -v[103:104]
	s_waitcnt vmcnt(0)
	v_add_f64 v[79:80], v[79:80], -v[99:100]
	buffer_store_dword v77, off, s[20:23], 0 offset:32 ; 4-byte Folded Spill
	s_nop 0
	buffer_store_dword v78, off, s[20:23], 0 offset:36 ; 4-byte Folded Spill
	buffer_store_dword v79, off, s[20:23], 0 offset:40 ; 4-byte Folded Spill
	;; [unrolled: 1-line block ×3, first 2 shown]
	ds_read2_b64 v[99:102], v125 offset0:54 offset1:55
	buffer_load_dword v73, off, s[20:23], 0 offset:16 ; 4-byte Folded Reload
	buffer_load_dword v74, off, s[20:23], 0 offset:20 ; 4-byte Folded Reload
	;; [unrolled: 1-line block ×4, first 2 shown]
	s_waitcnt lgkmcnt(0)
	v_mul_f64 v[103:104], v[101:102], v[105:106]
	v_fma_f64 v[103:104], v[99:100], v[97:98], -v[103:104]
	v_mul_f64 v[99:100], v[99:100], v[105:106]
	v_fma_f64 v[99:100], v[101:102], v[97:98], v[99:100]
	s_waitcnt vmcnt(2)
	v_add_f64 v[73:74], v[73:74], -v[103:104]
	s_waitcnt vmcnt(0)
	v_add_f64 v[75:76], v[75:76], -v[99:100]
	buffer_store_dword v73, off, s[20:23], 0 offset:16 ; 4-byte Folded Spill
	s_nop 0
	buffer_store_dword v74, off, s[20:23], 0 offset:20 ; 4-byte Folded Spill
	buffer_store_dword v75, off, s[20:23], 0 offset:24 ; 4-byte Folded Spill
	;; [unrolled: 1-line block ×3, first 2 shown]
	v_mov_b32_e32 v76, v72
	v_mov_b32_e32 v75, v71
	;; [unrolled: 1-line block ×4, first 2 shown]
	ds_read2_b64 v[99:102], v125 offset0:56 offset1:57
	buffer_load_dword v69, off, s[20:23], 0 ; 4-byte Folded Reload
	buffer_load_dword v70, off, s[20:23], 0 offset:4 ; 4-byte Folded Reload
	buffer_load_dword v71, off, s[20:23], 0 offset:8 ; 4-byte Folded Reload
	;; [unrolled: 1-line block ×3, first 2 shown]
	s_waitcnt lgkmcnt(0)
	v_mul_f64 v[103:104], v[101:102], v[105:106]
	v_fma_f64 v[103:104], v[99:100], v[97:98], -v[103:104]
	v_mul_f64 v[99:100], v[99:100], v[105:106]
	v_fma_f64 v[99:100], v[101:102], v[97:98], v[99:100]
	s_waitcnt vmcnt(2)
	v_add_f64 v[69:70], v[69:70], -v[103:104]
	s_waitcnt vmcnt(0)
	v_add_f64 v[71:72], v[71:72], -v[99:100]
	buffer_store_dword v69, off, s[20:23], 0 ; 4-byte Folded Spill
	s_nop 0
	buffer_store_dword v70, off, s[20:23], 0 offset:4 ; 4-byte Folded Spill
	buffer_store_dword v71, off, s[20:23], 0 offset:8 ; 4-byte Folded Spill
	;; [unrolled: 1-line block ×3, first 2 shown]
	ds_read2_b64 v[99:102], v125 offset0:58 offset1:59
	s_waitcnt lgkmcnt(0)
	v_mul_f64 v[103:104], v[101:102], v[105:106]
	v_fma_f64 v[103:104], v[99:100], v[97:98], -v[103:104]
	v_mul_f64 v[99:100], v[99:100], v[105:106]
	v_add_f64 v[65:66], v[65:66], -v[103:104]
	v_fma_f64 v[99:100], v[101:102], v[97:98], v[99:100]
	v_add_f64 v[67:68], v[67:68], -v[99:100]
	ds_read2_b64 v[99:102], v125 offset0:60 offset1:61
	s_waitcnt lgkmcnt(0)
	v_mul_f64 v[103:104], v[101:102], v[105:106]
	v_fma_f64 v[103:104], v[99:100], v[97:98], -v[103:104]
	v_mul_f64 v[99:100], v[99:100], v[105:106]
	v_add_f64 v[61:62], v[61:62], -v[103:104]
	v_fma_f64 v[99:100], v[101:102], v[97:98], v[99:100]
	v_add_f64 v[63:64], v[63:64], -v[99:100]
	;; [unrolled: 8-line block ×17, first 2 shown]
	ds_read2_b64 v[99:102], v125 offset0:92 offset1:93
	s_waitcnt lgkmcnt(0)
	v_mul_f64 v[103:104], v[101:102], v[105:106]
	v_fma_f64 v[103:104], v[99:100], v[97:98], -v[103:104]
	v_mul_f64 v[99:100], v[99:100], v[105:106]
	v_add_f64 v[73:74], v[73:74], -v[103:104]
	v_fma_f64 v[99:100], v[101:102], v[97:98], v[99:100]
	v_mov_b32_e32 v104, v98
	v_mov_b32_e32 v103, v97
	buffer_store_dword v103, off, s[20:23], 0 offset:144 ; 4-byte Folded Spill
	s_nop 0
	buffer_store_dword v104, off, s[20:23], 0 offset:148 ; 4-byte Folded Spill
	buffer_store_dword v105, off, s[20:23], 0 offset:152 ; 4-byte Folded Spill
	;; [unrolled: 1-line block ×3, first 2 shown]
	v_add_f64 v[75:76], v[75:76], -v[99:100]
.LBB93_136:
	s_or_b64 exec, exec, s[2:3]
	v_cmp_eq_u32_e32 vcc, 15, v0
	s_waitcnt vmcnt(0)
	s_barrier
	s_and_saveexec_b64 s[4:5], vcc
	s_cbranch_execz .LBB93_143
; %bb.137:
	buffer_load_dword v69, off, s[20:23], 0 offset:128 ; 4-byte Folded Reload
	buffer_load_dword v70, off, s[20:23], 0 offset:132 ; 4-byte Folded Reload
	;; [unrolled: 1-line block ×4, first 2 shown]
	s_waitcnt vmcnt(0)
	ds_write2_b64 v127, v[69:70], v[71:72] offset1:1
	buffer_load_dword v69, off, s[20:23], 0 offset:112 ; 4-byte Folded Reload
	buffer_load_dword v70, off, s[20:23], 0 offset:116 ; 4-byte Folded Reload
	buffer_load_dword v71, off, s[20:23], 0 offset:120 ; 4-byte Folded Reload
	buffer_load_dword v72, off, s[20:23], 0 offset:124 ; 4-byte Folded Reload
	s_waitcnt vmcnt(0)
	ds_write2_b64 v125, v[69:70], v[71:72] offset0:32 offset1:33
	buffer_load_dword v69, off, s[20:23], 0 offset:96 ; 4-byte Folded Reload
	buffer_load_dword v70, off, s[20:23], 0 offset:100 ; 4-byte Folded Reload
	buffer_load_dword v71, off, s[20:23], 0 offset:104 ; 4-byte Folded Reload
	buffer_load_dword v72, off, s[20:23], 0 offset:108 ; 4-byte Folded Reload
	s_waitcnt vmcnt(0)
	ds_write2_b64 v125, v[69:70], v[71:72] offset0:34 offset1:35
	;; [unrolled: 6-line block ×5, first 2 shown]
	ds_write2_b64 v125, v[121:122], v[123:124] offset0:42 offset1:43
	ds_write2_b64 v125, v[117:118], v[119:120] offset0:44 offset1:45
	;; [unrolled: 1-line block ×5, first 2 shown]
	buffer_load_dword v77, off, s[20:23], 0 offset:32 ; 4-byte Folded Reload
	buffer_load_dword v78, off, s[20:23], 0 offset:36 ; 4-byte Folded Reload
	;; [unrolled: 1-line block ×4, first 2 shown]
	v_mov_b32_e32 v69, v73
	v_mov_b32_e32 v70, v74
	;; [unrolled: 1-line block ×4, first 2 shown]
	s_waitcnt vmcnt(0)
	ds_write2_b64 v125, v[77:78], v[79:80] offset0:52 offset1:53
	buffer_load_dword v73, off, s[20:23], 0 offset:16 ; 4-byte Folded Reload
	buffer_load_dword v74, off, s[20:23], 0 offset:20 ; 4-byte Folded Reload
	;; [unrolled: 1-line block ×4, first 2 shown]
	s_waitcnt vmcnt(0)
	ds_write2_b64 v125, v[73:74], v[75:76] offset0:54 offset1:55
	v_mov_b32_e32 v76, v72
	v_mov_b32_e32 v75, v71
	;; [unrolled: 1-line block ×4, first 2 shown]
	buffer_load_dword v69, off, s[20:23], 0 ; 4-byte Folded Reload
	buffer_load_dword v70, off, s[20:23], 0 offset:4 ; 4-byte Folded Reload
	buffer_load_dword v71, off, s[20:23], 0 offset:8 ; 4-byte Folded Reload
	;; [unrolled: 1-line block ×3, first 2 shown]
	s_waitcnt vmcnt(0)
	ds_write2_b64 v125, v[69:70], v[71:72] offset0:56 offset1:57
	ds_write2_b64 v125, v[65:66], v[67:68] offset0:58 offset1:59
	;; [unrolled: 1-line block ×19, first 2 shown]
	ds_read2_b64 v[97:100], v127 offset1:1
	s_waitcnt lgkmcnt(0)
	v_cmp_neq_f64_e32 vcc, 0, v[97:98]
	v_cmp_neq_f64_e64 s[2:3], 0, v[99:100]
	s_or_b64 s[2:3], vcc, s[2:3]
	s_and_b64 exec, exec, s[2:3]
	s_cbranch_execz .LBB93_143
; %bb.138:
	v_cmp_ngt_f64_e64 s[2:3], |v[97:98]|, |v[99:100]|
                                        ; implicit-def: $vgpr101_vgpr102
	s_and_saveexec_b64 s[6:7], s[2:3]
	s_xor_b64 s[2:3], exec, s[6:7]
                                        ; implicit-def: $vgpr103_vgpr104
	s_cbranch_execz .LBB93_140
; %bb.139:
	v_div_scale_f64 v[101:102], s[6:7], v[99:100], v[99:100], v[97:98]
	v_rcp_f64_e32 v[103:104], v[101:102]
	v_fma_f64 v[105:106], -v[101:102], v[103:104], 1.0
	v_fma_f64 v[103:104], v[103:104], v[105:106], v[103:104]
	v_div_scale_f64 v[105:106], vcc, v[97:98], v[99:100], v[97:98]
	v_fma_f64 v[107:108], -v[101:102], v[103:104], 1.0
	v_fma_f64 v[103:104], v[103:104], v[107:108], v[103:104]
	v_mul_f64 v[107:108], v[105:106], v[103:104]
	v_fma_f64 v[101:102], -v[101:102], v[107:108], v[105:106]
	v_div_fmas_f64 v[101:102], v[101:102], v[103:104], v[107:108]
	v_div_fixup_f64 v[101:102], v[101:102], v[99:100], v[97:98]
	v_fma_f64 v[97:98], v[97:98], v[101:102], v[99:100]
	v_div_scale_f64 v[99:100], s[6:7], v[97:98], v[97:98], 1.0
	v_div_scale_f64 v[107:108], vcc, 1.0, v[97:98], 1.0
	v_rcp_f64_e32 v[103:104], v[99:100]
	v_fma_f64 v[105:106], -v[99:100], v[103:104], 1.0
	v_fma_f64 v[103:104], v[103:104], v[105:106], v[103:104]
	v_fma_f64 v[105:106], -v[99:100], v[103:104], 1.0
	v_fma_f64 v[103:104], v[103:104], v[105:106], v[103:104]
	v_mul_f64 v[105:106], v[107:108], v[103:104]
	v_fma_f64 v[99:100], -v[99:100], v[105:106], v[107:108]
	v_div_fmas_f64 v[99:100], v[99:100], v[103:104], v[105:106]
	v_div_fixup_f64 v[103:104], v[99:100], v[97:98], 1.0
                                        ; implicit-def: $vgpr97_vgpr98
	v_mul_f64 v[101:102], v[101:102], v[103:104]
	v_xor_b32_e32 v104, 0x80000000, v104
.LBB93_140:
	s_andn2_saveexec_b64 s[2:3], s[2:3]
	s_cbranch_execz .LBB93_142
; %bb.141:
	v_div_scale_f64 v[101:102], s[6:7], v[97:98], v[97:98], v[99:100]
	v_rcp_f64_e32 v[103:104], v[101:102]
	v_fma_f64 v[105:106], -v[101:102], v[103:104], 1.0
	v_fma_f64 v[103:104], v[103:104], v[105:106], v[103:104]
	v_div_scale_f64 v[105:106], vcc, v[99:100], v[97:98], v[99:100]
	v_fma_f64 v[107:108], -v[101:102], v[103:104], 1.0
	v_fma_f64 v[103:104], v[103:104], v[107:108], v[103:104]
	v_mul_f64 v[107:108], v[105:106], v[103:104]
	v_fma_f64 v[101:102], -v[101:102], v[107:108], v[105:106]
	v_div_fmas_f64 v[101:102], v[101:102], v[103:104], v[107:108]
	v_div_fixup_f64 v[103:104], v[101:102], v[97:98], v[99:100]
	v_fma_f64 v[97:98], v[99:100], v[103:104], v[97:98]
	v_div_scale_f64 v[99:100], s[6:7], v[97:98], v[97:98], 1.0
	v_div_scale_f64 v[107:108], vcc, 1.0, v[97:98], 1.0
	v_rcp_f64_e32 v[101:102], v[99:100]
	v_fma_f64 v[105:106], -v[99:100], v[101:102], 1.0
	v_fma_f64 v[101:102], v[101:102], v[105:106], v[101:102]
	v_fma_f64 v[105:106], -v[99:100], v[101:102], 1.0
	v_fma_f64 v[101:102], v[101:102], v[105:106], v[101:102]
	v_mul_f64 v[105:106], v[107:108], v[101:102]
	v_fma_f64 v[99:100], -v[99:100], v[105:106], v[107:108]
	v_div_fmas_f64 v[99:100], v[99:100], v[101:102], v[105:106]
	v_div_fixup_f64 v[101:102], v[99:100], v[97:98], 1.0
	v_mul_f64 v[103:104], v[103:104], -v[101:102]
.LBB93_142:
	s_or_b64 exec, exec, s[2:3]
	ds_write2_b64 v127, v[101:102], v[103:104] offset1:1
.LBB93_143:
	s_or_b64 exec, exec, s[4:5]
	s_waitcnt lgkmcnt(0)
	s_barrier
	ds_read2_b64 v[69:72], v127 offset1:1
	v_cmp_lt_u32_e32 vcc, 15, v0
	s_waitcnt lgkmcnt(0)
	buffer_store_dword v69, off, s[20:23], 0 offset:992 ; 4-byte Folded Spill
	s_nop 0
	buffer_store_dword v70, off, s[20:23], 0 offset:996 ; 4-byte Folded Spill
	buffer_store_dword v71, off, s[20:23], 0 offset:1000 ; 4-byte Folded Spill
	;; [unrolled: 1-line block ×3, first 2 shown]
	s_and_saveexec_b64 s[2:3], vcc
	s_cbranch_execz .LBB93_145
; %bb.144:
	buffer_load_dword v103, off, s[20:23], 0 offset:128 ; 4-byte Folded Reload
	buffer_load_dword v104, off, s[20:23], 0 offset:132 ; 4-byte Folded Reload
	;; [unrolled: 1-line block ×8, first 2 shown]
	s_waitcnt vmcnt(2)
	v_mul_f64 v[99:100], v[69:70], v[105:106]
	s_waitcnt vmcnt(0)
	v_mul_f64 v[97:98], v[71:72], v[105:106]
	v_fma_f64 v[105:106], v[71:72], v[103:104], v[99:100]
	ds_read2_b64 v[99:102], v125 offset0:32 offset1:33
	v_fma_f64 v[97:98], v[69:70], v[103:104], -v[97:98]
	buffer_load_dword v69, off, s[20:23], 0 offset:112 ; 4-byte Folded Reload
	buffer_load_dword v70, off, s[20:23], 0 offset:116 ; 4-byte Folded Reload
	buffer_load_dword v71, off, s[20:23], 0 offset:120 ; 4-byte Folded Reload
	buffer_load_dword v72, off, s[20:23], 0 offset:124 ; 4-byte Folded Reload
	s_waitcnt lgkmcnt(0)
	v_mul_f64 v[103:104], v[101:102], v[105:106]
	v_fma_f64 v[103:104], v[99:100], v[97:98], -v[103:104]
	v_mul_f64 v[99:100], v[99:100], v[105:106]
	v_fma_f64 v[99:100], v[101:102], v[97:98], v[99:100]
	s_waitcnt vmcnt(2)
	v_add_f64 v[69:70], v[69:70], -v[103:104]
	s_waitcnt vmcnt(0)
	v_add_f64 v[71:72], v[71:72], -v[99:100]
	buffer_store_dword v69, off, s[20:23], 0 offset:112 ; 4-byte Folded Spill
	s_nop 0
	buffer_store_dword v70, off, s[20:23], 0 offset:116 ; 4-byte Folded Spill
	buffer_store_dword v71, off, s[20:23], 0 offset:120 ; 4-byte Folded Spill
	buffer_store_dword v72, off, s[20:23], 0 offset:124 ; 4-byte Folded Spill
	ds_read2_b64 v[99:102], v125 offset0:34 offset1:35
	buffer_load_dword v69, off, s[20:23], 0 offset:96 ; 4-byte Folded Reload
	buffer_load_dword v70, off, s[20:23], 0 offset:100 ; 4-byte Folded Reload
	buffer_load_dword v71, off, s[20:23], 0 offset:104 ; 4-byte Folded Reload
	buffer_load_dword v72, off, s[20:23], 0 offset:108 ; 4-byte Folded Reload
	s_waitcnt lgkmcnt(0)
	v_mul_f64 v[103:104], v[101:102], v[105:106]
	v_fma_f64 v[103:104], v[99:100], v[97:98], -v[103:104]
	v_mul_f64 v[99:100], v[99:100], v[105:106]
	v_fma_f64 v[99:100], v[101:102], v[97:98], v[99:100]
	s_waitcnt vmcnt(2)
	v_add_f64 v[69:70], v[69:70], -v[103:104]
	s_waitcnt vmcnt(0)
	v_add_f64 v[71:72], v[71:72], -v[99:100]
	buffer_store_dword v69, off, s[20:23], 0 offset:96 ; 4-byte Folded Spill
	s_nop 0
	buffer_store_dword v70, off, s[20:23], 0 offset:100 ; 4-byte Folded Spill
	buffer_store_dword v71, off, s[20:23], 0 offset:104 ; 4-byte Folded Spill
	buffer_store_dword v72, off, s[20:23], 0 offset:108 ; 4-byte Folded Spill
	ds_read2_b64 v[99:102], v125 offset0:36 offset1:37
	;; [unrolled: 19-line block ×5, first 2 shown]
	v_mov_b32_e32 v69, v73
	v_mov_b32_e32 v70, v74
	v_mov_b32_e32 v71, v75
	v_mov_b32_e32 v72, v76
	s_waitcnt lgkmcnt(0)
	v_mul_f64 v[103:104], v[101:102], v[105:106]
	v_fma_f64 v[103:104], v[99:100], v[97:98], -v[103:104]
	v_mul_f64 v[99:100], v[99:100], v[105:106]
	v_add_f64 v[121:122], v[121:122], -v[103:104]
	v_fma_f64 v[99:100], v[101:102], v[97:98], v[99:100]
	v_add_f64 v[123:124], v[123:124], -v[99:100]
	ds_read2_b64 v[99:102], v125 offset0:44 offset1:45
	s_waitcnt lgkmcnt(0)
	v_mul_f64 v[103:104], v[101:102], v[105:106]
	v_fma_f64 v[103:104], v[99:100], v[97:98], -v[103:104]
	v_mul_f64 v[99:100], v[99:100], v[105:106]
	v_add_f64 v[117:118], v[117:118], -v[103:104]
	v_fma_f64 v[99:100], v[101:102], v[97:98], v[99:100]
	v_add_f64 v[119:120], v[119:120], -v[99:100]
	ds_read2_b64 v[99:102], v125 offset0:46 offset1:47
	s_waitcnt lgkmcnt(0)
	v_mul_f64 v[103:104], v[101:102], v[105:106]
	v_fma_f64 v[103:104], v[99:100], v[97:98], -v[103:104]
	v_mul_f64 v[99:100], v[99:100], v[105:106]
	v_add_f64 v[109:110], v[109:110], -v[103:104]
	v_fma_f64 v[99:100], v[101:102], v[97:98], v[99:100]
	v_add_f64 v[111:112], v[111:112], -v[99:100]
	ds_read2_b64 v[99:102], v125 offset0:48 offset1:49
	s_waitcnt lgkmcnt(0)
	v_mul_f64 v[103:104], v[101:102], v[105:106]
	v_fma_f64 v[103:104], v[99:100], v[97:98], -v[103:104]
	v_mul_f64 v[99:100], v[99:100], v[105:106]
	v_add_f64 v[113:114], v[113:114], -v[103:104]
	v_fma_f64 v[99:100], v[101:102], v[97:98], v[99:100]
	v_add_f64 v[115:116], v[115:116], -v[99:100]
	ds_read2_b64 v[99:102], v125 offset0:50 offset1:51
	s_waitcnt lgkmcnt(0)
	v_mul_f64 v[103:104], v[101:102], v[105:106]
	v_fma_f64 v[103:104], v[99:100], v[97:98], -v[103:104]
	v_mul_f64 v[99:100], v[99:100], v[105:106]
	v_add_f64 v[93:94], v[93:94], -v[103:104]
	v_fma_f64 v[99:100], v[101:102], v[97:98], v[99:100]
	v_add_f64 v[95:96], v[95:96], -v[99:100]
	ds_read2_b64 v[99:102], v125 offset0:52 offset1:53
	buffer_load_dword v77, off, s[20:23], 0 offset:32 ; 4-byte Folded Reload
	buffer_load_dword v78, off, s[20:23], 0 offset:36 ; 4-byte Folded Reload
	;; [unrolled: 1-line block ×4, first 2 shown]
	s_waitcnt lgkmcnt(0)
	v_mul_f64 v[103:104], v[101:102], v[105:106]
	v_fma_f64 v[103:104], v[99:100], v[97:98], -v[103:104]
	v_mul_f64 v[99:100], v[99:100], v[105:106]
	v_fma_f64 v[99:100], v[101:102], v[97:98], v[99:100]
	s_waitcnt vmcnt(2)
	v_add_f64 v[77:78], v[77:78], -v[103:104]
	s_waitcnt vmcnt(0)
	v_add_f64 v[79:80], v[79:80], -v[99:100]
	buffer_store_dword v77, off, s[20:23], 0 offset:32 ; 4-byte Folded Spill
	s_nop 0
	buffer_store_dword v78, off, s[20:23], 0 offset:36 ; 4-byte Folded Spill
	buffer_store_dword v79, off, s[20:23], 0 offset:40 ; 4-byte Folded Spill
	;; [unrolled: 1-line block ×3, first 2 shown]
	ds_read2_b64 v[99:102], v125 offset0:54 offset1:55
	buffer_load_dword v73, off, s[20:23], 0 offset:16 ; 4-byte Folded Reload
	buffer_load_dword v74, off, s[20:23], 0 offset:20 ; 4-byte Folded Reload
	;; [unrolled: 1-line block ×4, first 2 shown]
	s_waitcnt lgkmcnt(0)
	v_mul_f64 v[103:104], v[101:102], v[105:106]
	v_fma_f64 v[103:104], v[99:100], v[97:98], -v[103:104]
	v_mul_f64 v[99:100], v[99:100], v[105:106]
	v_fma_f64 v[99:100], v[101:102], v[97:98], v[99:100]
	s_waitcnt vmcnt(2)
	v_add_f64 v[73:74], v[73:74], -v[103:104]
	s_waitcnt vmcnt(0)
	v_add_f64 v[75:76], v[75:76], -v[99:100]
	buffer_store_dword v73, off, s[20:23], 0 offset:16 ; 4-byte Folded Spill
	s_nop 0
	buffer_store_dword v74, off, s[20:23], 0 offset:20 ; 4-byte Folded Spill
	buffer_store_dword v75, off, s[20:23], 0 offset:24 ; 4-byte Folded Spill
	buffer_store_dword v76, off, s[20:23], 0 offset:28 ; 4-byte Folded Spill
	v_mov_b32_e32 v76, v72
	v_mov_b32_e32 v75, v71
	;; [unrolled: 1-line block ×4, first 2 shown]
	ds_read2_b64 v[99:102], v125 offset0:56 offset1:57
	buffer_load_dword v69, off, s[20:23], 0 ; 4-byte Folded Reload
	buffer_load_dword v70, off, s[20:23], 0 offset:4 ; 4-byte Folded Reload
	buffer_load_dword v71, off, s[20:23], 0 offset:8 ; 4-byte Folded Reload
	;; [unrolled: 1-line block ×3, first 2 shown]
	s_waitcnt lgkmcnt(0)
	v_mul_f64 v[103:104], v[101:102], v[105:106]
	v_fma_f64 v[103:104], v[99:100], v[97:98], -v[103:104]
	v_mul_f64 v[99:100], v[99:100], v[105:106]
	v_fma_f64 v[99:100], v[101:102], v[97:98], v[99:100]
	s_waitcnt vmcnt(2)
	v_add_f64 v[69:70], v[69:70], -v[103:104]
	s_waitcnt vmcnt(0)
	v_add_f64 v[71:72], v[71:72], -v[99:100]
	buffer_store_dword v69, off, s[20:23], 0 ; 4-byte Folded Spill
	s_nop 0
	buffer_store_dword v70, off, s[20:23], 0 offset:4 ; 4-byte Folded Spill
	buffer_store_dword v71, off, s[20:23], 0 offset:8 ; 4-byte Folded Spill
	;; [unrolled: 1-line block ×3, first 2 shown]
	ds_read2_b64 v[99:102], v125 offset0:58 offset1:59
	s_waitcnt lgkmcnt(0)
	v_mul_f64 v[103:104], v[101:102], v[105:106]
	v_fma_f64 v[103:104], v[99:100], v[97:98], -v[103:104]
	v_mul_f64 v[99:100], v[99:100], v[105:106]
	v_add_f64 v[65:66], v[65:66], -v[103:104]
	v_fma_f64 v[99:100], v[101:102], v[97:98], v[99:100]
	v_add_f64 v[67:68], v[67:68], -v[99:100]
	ds_read2_b64 v[99:102], v125 offset0:60 offset1:61
	s_waitcnt lgkmcnt(0)
	v_mul_f64 v[103:104], v[101:102], v[105:106]
	v_fma_f64 v[103:104], v[99:100], v[97:98], -v[103:104]
	v_mul_f64 v[99:100], v[99:100], v[105:106]
	v_add_f64 v[61:62], v[61:62], -v[103:104]
	v_fma_f64 v[99:100], v[101:102], v[97:98], v[99:100]
	v_add_f64 v[63:64], v[63:64], -v[99:100]
	;; [unrolled: 8-line block ×17, first 2 shown]
	ds_read2_b64 v[99:102], v125 offset0:92 offset1:93
	s_waitcnt lgkmcnt(0)
	v_mul_f64 v[103:104], v[101:102], v[105:106]
	v_fma_f64 v[103:104], v[99:100], v[97:98], -v[103:104]
	v_mul_f64 v[99:100], v[99:100], v[105:106]
	v_add_f64 v[73:74], v[73:74], -v[103:104]
	v_fma_f64 v[99:100], v[101:102], v[97:98], v[99:100]
	v_mov_b32_e32 v104, v98
	v_mov_b32_e32 v103, v97
	buffer_store_dword v103, off, s[20:23], 0 offset:128 ; 4-byte Folded Spill
	s_nop 0
	buffer_store_dword v104, off, s[20:23], 0 offset:132 ; 4-byte Folded Spill
	buffer_store_dword v105, off, s[20:23], 0 offset:136 ; 4-byte Folded Spill
	;; [unrolled: 1-line block ×3, first 2 shown]
	v_add_f64 v[75:76], v[75:76], -v[99:100]
.LBB93_145:
	s_or_b64 exec, exec, s[2:3]
	v_cmp_eq_u32_e32 vcc, 16, v0
	s_waitcnt vmcnt(0)
	s_barrier
	s_and_saveexec_b64 s[4:5], vcc
	s_cbranch_execz .LBB93_152
; %bb.146:
	buffer_load_dword v69, off, s[20:23], 0 offset:112 ; 4-byte Folded Reload
	buffer_load_dword v70, off, s[20:23], 0 offset:116 ; 4-byte Folded Reload
	;; [unrolled: 1-line block ×4, first 2 shown]
	s_waitcnt vmcnt(0)
	ds_write2_b64 v127, v[69:70], v[71:72] offset1:1
	buffer_load_dword v69, off, s[20:23], 0 offset:96 ; 4-byte Folded Reload
	buffer_load_dword v70, off, s[20:23], 0 offset:100 ; 4-byte Folded Reload
	buffer_load_dword v71, off, s[20:23], 0 offset:104 ; 4-byte Folded Reload
	buffer_load_dword v72, off, s[20:23], 0 offset:108 ; 4-byte Folded Reload
	s_waitcnt vmcnt(0)
	ds_write2_b64 v125, v[69:70], v[71:72] offset0:34 offset1:35
	buffer_load_dword v69, off, s[20:23], 0 offset:80 ; 4-byte Folded Reload
	buffer_load_dword v70, off, s[20:23], 0 offset:84 ; 4-byte Folded Reload
	buffer_load_dword v71, off, s[20:23], 0 offset:88 ; 4-byte Folded Reload
	buffer_load_dword v72, off, s[20:23], 0 offset:92 ; 4-byte Folded Reload
	s_waitcnt vmcnt(0)
	ds_write2_b64 v125, v[69:70], v[71:72] offset0:36 offset1:37
	buffer_load_dword v69, off, s[20:23], 0 offset:64 ; 4-byte Folded Reload
	buffer_load_dword v70, off, s[20:23], 0 offset:68 ; 4-byte Folded Reload
	buffer_load_dword v71, off, s[20:23], 0 offset:72 ; 4-byte Folded Reload
	buffer_load_dword v72, off, s[20:23], 0 offset:76 ; 4-byte Folded Reload
	s_waitcnt vmcnt(0)
	ds_write2_b64 v125, v[69:70], v[71:72] offset0:38 offset1:39
	buffer_load_dword v69, off, s[20:23], 0 offset:48 ; 4-byte Folded Reload
	buffer_load_dword v70, off, s[20:23], 0 offset:52 ; 4-byte Folded Reload
	buffer_load_dword v71, off, s[20:23], 0 offset:56 ; 4-byte Folded Reload
	buffer_load_dword v72, off, s[20:23], 0 offset:60 ; 4-byte Folded Reload
	s_waitcnt vmcnt(0)
	ds_write2_b64 v125, v[69:70], v[71:72] offset0:40 offset1:41
	ds_write2_b64 v125, v[121:122], v[123:124] offset0:42 offset1:43
	ds_write2_b64 v125, v[117:118], v[119:120] offset0:44 offset1:45
	;; [unrolled: 1-line block ×5, first 2 shown]
	buffer_load_dword v77, off, s[20:23], 0 offset:32 ; 4-byte Folded Reload
	buffer_load_dword v78, off, s[20:23], 0 offset:36 ; 4-byte Folded Reload
	;; [unrolled: 1-line block ×4, first 2 shown]
	v_mov_b32_e32 v69, v73
	v_mov_b32_e32 v70, v74
	v_mov_b32_e32 v71, v75
	v_mov_b32_e32 v72, v76
	s_waitcnt vmcnt(0)
	ds_write2_b64 v125, v[77:78], v[79:80] offset0:52 offset1:53
	buffer_load_dword v73, off, s[20:23], 0 offset:16 ; 4-byte Folded Reload
	buffer_load_dword v74, off, s[20:23], 0 offset:20 ; 4-byte Folded Reload
	buffer_load_dword v75, off, s[20:23], 0 offset:24 ; 4-byte Folded Reload
	buffer_load_dword v76, off, s[20:23], 0 offset:28 ; 4-byte Folded Reload
	s_waitcnt vmcnt(0)
	ds_write2_b64 v125, v[73:74], v[75:76] offset0:54 offset1:55
	v_mov_b32_e32 v76, v72
	v_mov_b32_e32 v75, v71
	;; [unrolled: 1-line block ×4, first 2 shown]
	buffer_load_dword v69, off, s[20:23], 0 ; 4-byte Folded Reload
	buffer_load_dword v70, off, s[20:23], 0 offset:4 ; 4-byte Folded Reload
	buffer_load_dword v71, off, s[20:23], 0 offset:8 ; 4-byte Folded Reload
	;; [unrolled: 1-line block ×3, first 2 shown]
	s_waitcnt vmcnt(0)
	ds_write2_b64 v125, v[69:70], v[71:72] offset0:56 offset1:57
	ds_write2_b64 v125, v[65:66], v[67:68] offset0:58 offset1:59
	;; [unrolled: 1-line block ×19, first 2 shown]
	ds_read2_b64 v[97:100], v127 offset1:1
	s_waitcnt lgkmcnt(0)
	v_cmp_neq_f64_e32 vcc, 0, v[97:98]
	v_cmp_neq_f64_e64 s[2:3], 0, v[99:100]
	s_or_b64 s[2:3], vcc, s[2:3]
	s_and_b64 exec, exec, s[2:3]
	s_cbranch_execz .LBB93_152
; %bb.147:
	v_cmp_ngt_f64_e64 s[2:3], |v[97:98]|, |v[99:100]|
                                        ; implicit-def: $vgpr101_vgpr102
	s_and_saveexec_b64 s[6:7], s[2:3]
	s_xor_b64 s[2:3], exec, s[6:7]
                                        ; implicit-def: $vgpr103_vgpr104
	s_cbranch_execz .LBB93_149
; %bb.148:
	v_div_scale_f64 v[101:102], s[6:7], v[99:100], v[99:100], v[97:98]
	v_rcp_f64_e32 v[103:104], v[101:102]
	v_fma_f64 v[105:106], -v[101:102], v[103:104], 1.0
	v_fma_f64 v[103:104], v[103:104], v[105:106], v[103:104]
	v_div_scale_f64 v[105:106], vcc, v[97:98], v[99:100], v[97:98]
	v_fma_f64 v[107:108], -v[101:102], v[103:104], 1.0
	v_fma_f64 v[103:104], v[103:104], v[107:108], v[103:104]
	v_mul_f64 v[107:108], v[105:106], v[103:104]
	v_fma_f64 v[101:102], -v[101:102], v[107:108], v[105:106]
	v_div_fmas_f64 v[101:102], v[101:102], v[103:104], v[107:108]
	v_div_fixup_f64 v[101:102], v[101:102], v[99:100], v[97:98]
	v_fma_f64 v[97:98], v[97:98], v[101:102], v[99:100]
	v_div_scale_f64 v[99:100], s[6:7], v[97:98], v[97:98], 1.0
	v_div_scale_f64 v[107:108], vcc, 1.0, v[97:98], 1.0
	v_rcp_f64_e32 v[103:104], v[99:100]
	v_fma_f64 v[105:106], -v[99:100], v[103:104], 1.0
	v_fma_f64 v[103:104], v[103:104], v[105:106], v[103:104]
	v_fma_f64 v[105:106], -v[99:100], v[103:104], 1.0
	v_fma_f64 v[103:104], v[103:104], v[105:106], v[103:104]
	v_mul_f64 v[105:106], v[107:108], v[103:104]
	v_fma_f64 v[99:100], -v[99:100], v[105:106], v[107:108]
	v_div_fmas_f64 v[99:100], v[99:100], v[103:104], v[105:106]
	v_div_fixup_f64 v[103:104], v[99:100], v[97:98], 1.0
                                        ; implicit-def: $vgpr97_vgpr98
	v_mul_f64 v[101:102], v[101:102], v[103:104]
	v_xor_b32_e32 v104, 0x80000000, v104
.LBB93_149:
	s_andn2_saveexec_b64 s[2:3], s[2:3]
	s_cbranch_execz .LBB93_151
; %bb.150:
	v_div_scale_f64 v[101:102], s[6:7], v[97:98], v[97:98], v[99:100]
	v_rcp_f64_e32 v[103:104], v[101:102]
	v_fma_f64 v[105:106], -v[101:102], v[103:104], 1.0
	v_fma_f64 v[103:104], v[103:104], v[105:106], v[103:104]
	v_div_scale_f64 v[105:106], vcc, v[99:100], v[97:98], v[99:100]
	v_fma_f64 v[107:108], -v[101:102], v[103:104], 1.0
	v_fma_f64 v[103:104], v[103:104], v[107:108], v[103:104]
	v_mul_f64 v[107:108], v[105:106], v[103:104]
	v_fma_f64 v[101:102], -v[101:102], v[107:108], v[105:106]
	v_div_fmas_f64 v[101:102], v[101:102], v[103:104], v[107:108]
	v_div_fixup_f64 v[103:104], v[101:102], v[97:98], v[99:100]
	v_fma_f64 v[97:98], v[99:100], v[103:104], v[97:98]
	v_div_scale_f64 v[99:100], s[6:7], v[97:98], v[97:98], 1.0
	v_div_scale_f64 v[107:108], vcc, 1.0, v[97:98], 1.0
	v_rcp_f64_e32 v[101:102], v[99:100]
	v_fma_f64 v[105:106], -v[99:100], v[101:102], 1.0
	v_fma_f64 v[101:102], v[101:102], v[105:106], v[101:102]
	v_fma_f64 v[105:106], -v[99:100], v[101:102], 1.0
	v_fma_f64 v[101:102], v[101:102], v[105:106], v[101:102]
	v_mul_f64 v[105:106], v[107:108], v[101:102]
	v_fma_f64 v[99:100], -v[99:100], v[105:106], v[107:108]
	v_div_fmas_f64 v[99:100], v[99:100], v[101:102], v[105:106]
	v_div_fixup_f64 v[101:102], v[99:100], v[97:98], 1.0
	v_mul_f64 v[103:104], v[103:104], -v[101:102]
.LBB93_151:
	s_or_b64 exec, exec, s[2:3]
	ds_write2_b64 v127, v[101:102], v[103:104] offset1:1
.LBB93_152:
	s_or_b64 exec, exec, s[4:5]
	s_waitcnt lgkmcnt(0)
	s_barrier
	ds_read2_b64 v[69:72], v127 offset1:1
	v_cmp_lt_u32_e32 vcc, 16, v0
	s_waitcnt lgkmcnt(0)
	buffer_store_dword v69, off, s[20:23], 0 offset:1008 ; 4-byte Folded Spill
	s_nop 0
	buffer_store_dword v70, off, s[20:23], 0 offset:1012 ; 4-byte Folded Spill
	buffer_store_dword v71, off, s[20:23], 0 offset:1016 ; 4-byte Folded Spill
	buffer_store_dword v72, off, s[20:23], 0 offset:1020 ; 4-byte Folded Spill
	s_and_saveexec_b64 s[2:3], vcc
	s_cbranch_execz .LBB93_154
; %bb.153:
	buffer_load_dword v103, off, s[20:23], 0 offset:112 ; 4-byte Folded Reload
	buffer_load_dword v104, off, s[20:23], 0 offset:116 ; 4-byte Folded Reload
	;; [unrolled: 1-line block ×8, first 2 shown]
	s_waitcnt vmcnt(2)
	v_mul_f64 v[99:100], v[69:70], v[105:106]
	s_waitcnt vmcnt(0)
	v_mul_f64 v[97:98], v[71:72], v[105:106]
	v_fma_f64 v[105:106], v[71:72], v[103:104], v[99:100]
	ds_read2_b64 v[99:102], v125 offset0:34 offset1:35
	v_fma_f64 v[97:98], v[69:70], v[103:104], -v[97:98]
	buffer_load_dword v69, off, s[20:23], 0 offset:96 ; 4-byte Folded Reload
	buffer_load_dword v70, off, s[20:23], 0 offset:100 ; 4-byte Folded Reload
	buffer_load_dword v71, off, s[20:23], 0 offset:104 ; 4-byte Folded Reload
	buffer_load_dword v72, off, s[20:23], 0 offset:108 ; 4-byte Folded Reload
	s_waitcnt lgkmcnt(0)
	v_mul_f64 v[103:104], v[101:102], v[105:106]
	v_fma_f64 v[103:104], v[99:100], v[97:98], -v[103:104]
	v_mul_f64 v[99:100], v[99:100], v[105:106]
	v_fma_f64 v[99:100], v[101:102], v[97:98], v[99:100]
	s_waitcnt vmcnt(2)
	v_add_f64 v[69:70], v[69:70], -v[103:104]
	s_waitcnt vmcnt(0)
	v_add_f64 v[71:72], v[71:72], -v[99:100]
	buffer_store_dword v69, off, s[20:23], 0 offset:96 ; 4-byte Folded Spill
	s_nop 0
	buffer_store_dword v70, off, s[20:23], 0 offset:100 ; 4-byte Folded Spill
	buffer_store_dword v71, off, s[20:23], 0 offset:104 ; 4-byte Folded Spill
	buffer_store_dword v72, off, s[20:23], 0 offset:108 ; 4-byte Folded Spill
	ds_read2_b64 v[99:102], v125 offset0:36 offset1:37
	buffer_load_dword v69, off, s[20:23], 0 offset:80 ; 4-byte Folded Reload
	buffer_load_dword v70, off, s[20:23], 0 offset:84 ; 4-byte Folded Reload
	buffer_load_dword v71, off, s[20:23], 0 offset:88 ; 4-byte Folded Reload
	buffer_load_dword v72, off, s[20:23], 0 offset:92 ; 4-byte Folded Reload
	s_waitcnt lgkmcnt(0)
	v_mul_f64 v[103:104], v[101:102], v[105:106]
	v_fma_f64 v[103:104], v[99:100], v[97:98], -v[103:104]
	v_mul_f64 v[99:100], v[99:100], v[105:106]
	v_fma_f64 v[99:100], v[101:102], v[97:98], v[99:100]
	s_waitcnt vmcnt(2)
	v_add_f64 v[69:70], v[69:70], -v[103:104]
	s_waitcnt vmcnt(0)
	v_add_f64 v[71:72], v[71:72], -v[99:100]
	buffer_store_dword v69, off, s[20:23], 0 offset:80 ; 4-byte Folded Spill
	s_nop 0
	buffer_store_dword v70, off, s[20:23], 0 offset:84 ; 4-byte Folded Spill
	buffer_store_dword v71, off, s[20:23], 0 offset:88 ; 4-byte Folded Spill
	buffer_store_dword v72, off, s[20:23], 0 offset:92 ; 4-byte Folded Spill
	ds_read2_b64 v[99:102], v125 offset0:38 offset1:39
	;; [unrolled: 19-line block ×4, first 2 shown]
	v_mov_b32_e32 v69, v73
	v_mov_b32_e32 v70, v74
	;; [unrolled: 1-line block ×4, first 2 shown]
	s_waitcnt lgkmcnt(0)
	v_mul_f64 v[103:104], v[101:102], v[105:106]
	v_fma_f64 v[103:104], v[99:100], v[97:98], -v[103:104]
	v_mul_f64 v[99:100], v[99:100], v[105:106]
	v_add_f64 v[121:122], v[121:122], -v[103:104]
	v_fma_f64 v[99:100], v[101:102], v[97:98], v[99:100]
	v_add_f64 v[123:124], v[123:124], -v[99:100]
	ds_read2_b64 v[99:102], v125 offset0:44 offset1:45
	s_waitcnt lgkmcnt(0)
	v_mul_f64 v[103:104], v[101:102], v[105:106]
	v_fma_f64 v[103:104], v[99:100], v[97:98], -v[103:104]
	v_mul_f64 v[99:100], v[99:100], v[105:106]
	v_add_f64 v[117:118], v[117:118], -v[103:104]
	v_fma_f64 v[99:100], v[101:102], v[97:98], v[99:100]
	v_add_f64 v[119:120], v[119:120], -v[99:100]
	ds_read2_b64 v[99:102], v125 offset0:46 offset1:47
	;; [unrolled: 8-line block ×5, first 2 shown]
	buffer_load_dword v77, off, s[20:23], 0 offset:32 ; 4-byte Folded Reload
	buffer_load_dword v78, off, s[20:23], 0 offset:36 ; 4-byte Folded Reload
	;; [unrolled: 1-line block ×4, first 2 shown]
	s_waitcnt lgkmcnt(0)
	v_mul_f64 v[103:104], v[101:102], v[105:106]
	v_fma_f64 v[103:104], v[99:100], v[97:98], -v[103:104]
	v_mul_f64 v[99:100], v[99:100], v[105:106]
	v_fma_f64 v[99:100], v[101:102], v[97:98], v[99:100]
	s_waitcnt vmcnt(2)
	v_add_f64 v[77:78], v[77:78], -v[103:104]
	s_waitcnt vmcnt(0)
	v_add_f64 v[79:80], v[79:80], -v[99:100]
	buffer_store_dword v77, off, s[20:23], 0 offset:32 ; 4-byte Folded Spill
	s_nop 0
	buffer_store_dword v78, off, s[20:23], 0 offset:36 ; 4-byte Folded Spill
	buffer_store_dword v79, off, s[20:23], 0 offset:40 ; 4-byte Folded Spill
	;; [unrolled: 1-line block ×3, first 2 shown]
	ds_read2_b64 v[99:102], v125 offset0:54 offset1:55
	buffer_load_dword v73, off, s[20:23], 0 offset:16 ; 4-byte Folded Reload
	buffer_load_dword v74, off, s[20:23], 0 offset:20 ; 4-byte Folded Reload
	;; [unrolled: 1-line block ×4, first 2 shown]
	s_waitcnt lgkmcnt(0)
	v_mul_f64 v[103:104], v[101:102], v[105:106]
	v_fma_f64 v[103:104], v[99:100], v[97:98], -v[103:104]
	v_mul_f64 v[99:100], v[99:100], v[105:106]
	v_fma_f64 v[99:100], v[101:102], v[97:98], v[99:100]
	s_waitcnt vmcnt(2)
	v_add_f64 v[73:74], v[73:74], -v[103:104]
	s_waitcnt vmcnt(0)
	v_add_f64 v[75:76], v[75:76], -v[99:100]
	buffer_store_dword v73, off, s[20:23], 0 offset:16 ; 4-byte Folded Spill
	s_nop 0
	buffer_store_dword v74, off, s[20:23], 0 offset:20 ; 4-byte Folded Spill
	buffer_store_dword v75, off, s[20:23], 0 offset:24 ; 4-byte Folded Spill
	;; [unrolled: 1-line block ×3, first 2 shown]
	v_mov_b32_e32 v76, v72
	v_mov_b32_e32 v75, v71
	;; [unrolled: 1-line block ×4, first 2 shown]
	ds_read2_b64 v[99:102], v125 offset0:56 offset1:57
	buffer_load_dword v69, off, s[20:23], 0 ; 4-byte Folded Reload
	buffer_load_dword v70, off, s[20:23], 0 offset:4 ; 4-byte Folded Reload
	buffer_load_dword v71, off, s[20:23], 0 offset:8 ; 4-byte Folded Reload
	;; [unrolled: 1-line block ×3, first 2 shown]
	s_waitcnt lgkmcnt(0)
	v_mul_f64 v[103:104], v[101:102], v[105:106]
	v_fma_f64 v[103:104], v[99:100], v[97:98], -v[103:104]
	v_mul_f64 v[99:100], v[99:100], v[105:106]
	v_fma_f64 v[99:100], v[101:102], v[97:98], v[99:100]
	s_waitcnt vmcnt(2)
	v_add_f64 v[69:70], v[69:70], -v[103:104]
	s_waitcnt vmcnt(0)
	v_add_f64 v[71:72], v[71:72], -v[99:100]
	buffer_store_dword v69, off, s[20:23], 0 ; 4-byte Folded Spill
	s_nop 0
	buffer_store_dword v70, off, s[20:23], 0 offset:4 ; 4-byte Folded Spill
	buffer_store_dword v71, off, s[20:23], 0 offset:8 ; 4-byte Folded Spill
	;; [unrolled: 1-line block ×3, first 2 shown]
	ds_read2_b64 v[99:102], v125 offset0:58 offset1:59
	s_waitcnt lgkmcnt(0)
	v_mul_f64 v[103:104], v[101:102], v[105:106]
	v_fma_f64 v[103:104], v[99:100], v[97:98], -v[103:104]
	v_mul_f64 v[99:100], v[99:100], v[105:106]
	v_add_f64 v[65:66], v[65:66], -v[103:104]
	v_fma_f64 v[99:100], v[101:102], v[97:98], v[99:100]
	v_add_f64 v[67:68], v[67:68], -v[99:100]
	ds_read2_b64 v[99:102], v125 offset0:60 offset1:61
	s_waitcnt lgkmcnt(0)
	v_mul_f64 v[103:104], v[101:102], v[105:106]
	v_fma_f64 v[103:104], v[99:100], v[97:98], -v[103:104]
	v_mul_f64 v[99:100], v[99:100], v[105:106]
	v_add_f64 v[61:62], v[61:62], -v[103:104]
	v_fma_f64 v[99:100], v[101:102], v[97:98], v[99:100]
	v_add_f64 v[63:64], v[63:64], -v[99:100]
	;; [unrolled: 8-line block ×17, first 2 shown]
	ds_read2_b64 v[99:102], v125 offset0:92 offset1:93
	s_waitcnt lgkmcnt(0)
	v_mul_f64 v[103:104], v[101:102], v[105:106]
	v_fma_f64 v[103:104], v[99:100], v[97:98], -v[103:104]
	v_mul_f64 v[99:100], v[99:100], v[105:106]
	v_add_f64 v[73:74], v[73:74], -v[103:104]
	v_fma_f64 v[99:100], v[101:102], v[97:98], v[99:100]
	v_mov_b32_e32 v104, v98
	v_mov_b32_e32 v103, v97
	buffer_store_dword v103, off, s[20:23], 0 offset:112 ; 4-byte Folded Spill
	s_nop 0
	buffer_store_dword v104, off, s[20:23], 0 offset:116 ; 4-byte Folded Spill
	buffer_store_dword v105, off, s[20:23], 0 offset:120 ; 4-byte Folded Spill
	buffer_store_dword v106, off, s[20:23], 0 offset:124 ; 4-byte Folded Spill
	v_add_f64 v[75:76], v[75:76], -v[99:100]
.LBB93_154:
	s_or_b64 exec, exec, s[2:3]
	v_cmp_eq_u32_e32 vcc, 17, v0
	s_waitcnt vmcnt(0)
	s_barrier
	s_and_saveexec_b64 s[4:5], vcc
	s_cbranch_execz .LBB93_161
; %bb.155:
	buffer_load_dword v69, off, s[20:23], 0 offset:96 ; 4-byte Folded Reload
	buffer_load_dword v70, off, s[20:23], 0 offset:100 ; 4-byte Folded Reload
	;; [unrolled: 1-line block ×4, first 2 shown]
	s_waitcnt vmcnt(0)
	ds_write2_b64 v127, v[69:70], v[71:72] offset1:1
	buffer_load_dword v69, off, s[20:23], 0 offset:80 ; 4-byte Folded Reload
	buffer_load_dword v70, off, s[20:23], 0 offset:84 ; 4-byte Folded Reload
	buffer_load_dword v71, off, s[20:23], 0 offset:88 ; 4-byte Folded Reload
	buffer_load_dword v72, off, s[20:23], 0 offset:92 ; 4-byte Folded Reload
	s_waitcnt vmcnt(0)
	ds_write2_b64 v125, v[69:70], v[71:72] offset0:36 offset1:37
	buffer_load_dword v69, off, s[20:23], 0 offset:64 ; 4-byte Folded Reload
	buffer_load_dword v70, off, s[20:23], 0 offset:68 ; 4-byte Folded Reload
	buffer_load_dword v71, off, s[20:23], 0 offset:72 ; 4-byte Folded Reload
	buffer_load_dword v72, off, s[20:23], 0 offset:76 ; 4-byte Folded Reload
	s_waitcnt vmcnt(0)
	ds_write2_b64 v125, v[69:70], v[71:72] offset0:38 offset1:39
	;; [unrolled: 6-line block ×3, first 2 shown]
	ds_write2_b64 v125, v[121:122], v[123:124] offset0:42 offset1:43
	ds_write2_b64 v125, v[117:118], v[119:120] offset0:44 offset1:45
	;; [unrolled: 1-line block ×5, first 2 shown]
	buffer_load_dword v77, off, s[20:23], 0 offset:32 ; 4-byte Folded Reload
	buffer_load_dword v78, off, s[20:23], 0 offset:36 ; 4-byte Folded Reload
	;; [unrolled: 1-line block ×4, first 2 shown]
	v_mov_b32_e32 v69, v73
	v_mov_b32_e32 v70, v74
	;; [unrolled: 1-line block ×4, first 2 shown]
	s_waitcnt vmcnt(0)
	ds_write2_b64 v125, v[77:78], v[79:80] offset0:52 offset1:53
	buffer_load_dword v73, off, s[20:23], 0 offset:16 ; 4-byte Folded Reload
	buffer_load_dword v74, off, s[20:23], 0 offset:20 ; 4-byte Folded Reload
	;; [unrolled: 1-line block ×4, first 2 shown]
	s_waitcnt vmcnt(0)
	ds_write2_b64 v125, v[73:74], v[75:76] offset0:54 offset1:55
	v_mov_b32_e32 v76, v72
	v_mov_b32_e32 v75, v71
	;; [unrolled: 1-line block ×4, first 2 shown]
	buffer_load_dword v69, off, s[20:23], 0 ; 4-byte Folded Reload
	buffer_load_dword v70, off, s[20:23], 0 offset:4 ; 4-byte Folded Reload
	buffer_load_dword v71, off, s[20:23], 0 offset:8 ; 4-byte Folded Reload
	;; [unrolled: 1-line block ×3, first 2 shown]
	s_waitcnt vmcnt(0)
	ds_write2_b64 v125, v[69:70], v[71:72] offset0:56 offset1:57
	ds_write2_b64 v125, v[65:66], v[67:68] offset0:58 offset1:59
	;; [unrolled: 1-line block ×19, first 2 shown]
	ds_read2_b64 v[97:100], v127 offset1:1
	s_waitcnt lgkmcnt(0)
	v_cmp_neq_f64_e32 vcc, 0, v[97:98]
	v_cmp_neq_f64_e64 s[2:3], 0, v[99:100]
	s_or_b64 s[2:3], vcc, s[2:3]
	s_and_b64 exec, exec, s[2:3]
	s_cbranch_execz .LBB93_161
; %bb.156:
	v_cmp_ngt_f64_e64 s[2:3], |v[97:98]|, |v[99:100]|
                                        ; implicit-def: $vgpr101_vgpr102
	s_and_saveexec_b64 s[6:7], s[2:3]
	s_xor_b64 s[2:3], exec, s[6:7]
                                        ; implicit-def: $vgpr103_vgpr104
	s_cbranch_execz .LBB93_158
; %bb.157:
	v_div_scale_f64 v[101:102], s[6:7], v[99:100], v[99:100], v[97:98]
	v_rcp_f64_e32 v[103:104], v[101:102]
	v_fma_f64 v[105:106], -v[101:102], v[103:104], 1.0
	v_fma_f64 v[103:104], v[103:104], v[105:106], v[103:104]
	v_div_scale_f64 v[105:106], vcc, v[97:98], v[99:100], v[97:98]
	v_fma_f64 v[107:108], -v[101:102], v[103:104], 1.0
	v_fma_f64 v[103:104], v[103:104], v[107:108], v[103:104]
	v_mul_f64 v[107:108], v[105:106], v[103:104]
	v_fma_f64 v[101:102], -v[101:102], v[107:108], v[105:106]
	v_div_fmas_f64 v[101:102], v[101:102], v[103:104], v[107:108]
	v_div_fixup_f64 v[101:102], v[101:102], v[99:100], v[97:98]
	v_fma_f64 v[97:98], v[97:98], v[101:102], v[99:100]
	v_div_scale_f64 v[99:100], s[6:7], v[97:98], v[97:98], 1.0
	v_div_scale_f64 v[107:108], vcc, 1.0, v[97:98], 1.0
	v_rcp_f64_e32 v[103:104], v[99:100]
	v_fma_f64 v[105:106], -v[99:100], v[103:104], 1.0
	v_fma_f64 v[103:104], v[103:104], v[105:106], v[103:104]
	v_fma_f64 v[105:106], -v[99:100], v[103:104], 1.0
	v_fma_f64 v[103:104], v[103:104], v[105:106], v[103:104]
	v_mul_f64 v[105:106], v[107:108], v[103:104]
	v_fma_f64 v[99:100], -v[99:100], v[105:106], v[107:108]
	v_div_fmas_f64 v[99:100], v[99:100], v[103:104], v[105:106]
	v_div_fixup_f64 v[103:104], v[99:100], v[97:98], 1.0
                                        ; implicit-def: $vgpr97_vgpr98
	v_mul_f64 v[101:102], v[101:102], v[103:104]
	v_xor_b32_e32 v104, 0x80000000, v104
.LBB93_158:
	s_andn2_saveexec_b64 s[2:3], s[2:3]
	s_cbranch_execz .LBB93_160
; %bb.159:
	v_div_scale_f64 v[101:102], s[6:7], v[97:98], v[97:98], v[99:100]
	v_rcp_f64_e32 v[103:104], v[101:102]
	v_fma_f64 v[105:106], -v[101:102], v[103:104], 1.0
	v_fma_f64 v[103:104], v[103:104], v[105:106], v[103:104]
	v_div_scale_f64 v[105:106], vcc, v[99:100], v[97:98], v[99:100]
	v_fma_f64 v[107:108], -v[101:102], v[103:104], 1.0
	v_fma_f64 v[103:104], v[103:104], v[107:108], v[103:104]
	v_mul_f64 v[107:108], v[105:106], v[103:104]
	v_fma_f64 v[101:102], -v[101:102], v[107:108], v[105:106]
	v_div_fmas_f64 v[101:102], v[101:102], v[103:104], v[107:108]
	v_div_fixup_f64 v[103:104], v[101:102], v[97:98], v[99:100]
	v_fma_f64 v[97:98], v[99:100], v[103:104], v[97:98]
	v_div_scale_f64 v[99:100], s[6:7], v[97:98], v[97:98], 1.0
	v_div_scale_f64 v[107:108], vcc, 1.0, v[97:98], 1.0
	v_rcp_f64_e32 v[101:102], v[99:100]
	v_fma_f64 v[105:106], -v[99:100], v[101:102], 1.0
	v_fma_f64 v[101:102], v[101:102], v[105:106], v[101:102]
	v_fma_f64 v[105:106], -v[99:100], v[101:102], 1.0
	v_fma_f64 v[101:102], v[101:102], v[105:106], v[101:102]
	v_mul_f64 v[105:106], v[107:108], v[101:102]
	v_fma_f64 v[99:100], -v[99:100], v[105:106], v[107:108]
	v_div_fmas_f64 v[99:100], v[99:100], v[101:102], v[105:106]
	v_div_fixup_f64 v[101:102], v[99:100], v[97:98], 1.0
	v_mul_f64 v[103:104], v[103:104], -v[101:102]
.LBB93_160:
	s_or_b64 exec, exec, s[2:3]
	ds_write2_b64 v127, v[101:102], v[103:104] offset1:1
.LBB93_161:
	s_or_b64 exec, exec, s[4:5]
	s_waitcnt lgkmcnt(0)
	s_barrier
	ds_read2_b64 v[69:72], v127 offset1:1
	v_cmp_lt_u32_e32 vcc, 17, v0
	s_waitcnt lgkmcnt(0)
	buffer_store_dword v69, off, s[20:23], 0 offset:1024 ; 4-byte Folded Spill
	s_nop 0
	buffer_store_dword v70, off, s[20:23], 0 offset:1028 ; 4-byte Folded Spill
	buffer_store_dword v71, off, s[20:23], 0 offset:1032 ; 4-byte Folded Spill
	;; [unrolled: 1-line block ×3, first 2 shown]
	s_and_saveexec_b64 s[2:3], vcc
	s_cbranch_execz .LBB93_163
; %bb.162:
	buffer_load_dword v103, off, s[20:23], 0 offset:96 ; 4-byte Folded Reload
	buffer_load_dword v104, off, s[20:23], 0 offset:100 ; 4-byte Folded Reload
	;; [unrolled: 1-line block ×8, first 2 shown]
	s_waitcnt vmcnt(2)
	v_mul_f64 v[99:100], v[69:70], v[105:106]
	s_waitcnt vmcnt(0)
	v_mul_f64 v[97:98], v[71:72], v[105:106]
	v_fma_f64 v[105:106], v[71:72], v[103:104], v[99:100]
	ds_read2_b64 v[99:102], v125 offset0:36 offset1:37
	v_fma_f64 v[97:98], v[69:70], v[103:104], -v[97:98]
	buffer_load_dword v69, off, s[20:23], 0 offset:80 ; 4-byte Folded Reload
	buffer_load_dword v70, off, s[20:23], 0 offset:84 ; 4-byte Folded Reload
	buffer_load_dword v71, off, s[20:23], 0 offset:88 ; 4-byte Folded Reload
	buffer_load_dword v72, off, s[20:23], 0 offset:92 ; 4-byte Folded Reload
	s_waitcnt lgkmcnt(0)
	v_mul_f64 v[103:104], v[101:102], v[105:106]
	v_fma_f64 v[103:104], v[99:100], v[97:98], -v[103:104]
	v_mul_f64 v[99:100], v[99:100], v[105:106]
	v_fma_f64 v[99:100], v[101:102], v[97:98], v[99:100]
	s_waitcnt vmcnt(2)
	v_add_f64 v[69:70], v[69:70], -v[103:104]
	s_waitcnt vmcnt(0)
	v_add_f64 v[71:72], v[71:72], -v[99:100]
	buffer_store_dword v69, off, s[20:23], 0 offset:80 ; 4-byte Folded Spill
	s_nop 0
	buffer_store_dword v70, off, s[20:23], 0 offset:84 ; 4-byte Folded Spill
	buffer_store_dword v71, off, s[20:23], 0 offset:88 ; 4-byte Folded Spill
	buffer_store_dword v72, off, s[20:23], 0 offset:92 ; 4-byte Folded Spill
	ds_read2_b64 v[99:102], v125 offset0:38 offset1:39
	buffer_load_dword v69, off, s[20:23], 0 offset:64 ; 4-byte Folded Reload
	buffer_load_dword v70, off, s[20:23], 0 offset:68 ; 4-byte Folded Reload
	buffer_load_dword v71, off, s[20:23], 0 offset:72 ; 4-byte Folded Reload
	buffer_load_dword v72, off, s[20:23], 0 offset:76 ; 4-byte Folded Reload
	s_waitcnt lgkmcnt(0)
	v_mul_f64 v[103:104], v[101:102], v[105:106]
	v_fma_f64 v[103:104], v[99:100], v[97:98], -v[103:104]
	v_mul_f64 v[99:100], v[99:100], v[105:106]
	v_fma_f64 v[99:100], v[101:102], v[97:98], v[99:100]
	s_waitcnt vmcnt(2)
	v_add_f64 v[69:70], v[69:70], -v[103:104]
	s_waitcnt vmcnt(0)
	v_add_f64 v[71:72], v[71:72], -v[99:100]
	buffer_store_dword v69, off, s[20:23], 0 offset:64 ; 4-byte Folded Spill
	s_nop 0
	buffer_store_dword v70, off, s[20:23], 0 offset:68 ; 4-byte Folded Spill
	buffer_store_dword v71, off, s[20:23], 0 offset:72 ; 4-byte Folded Spill
	buffer_store_dword v72, off, s[20:23], 0 offset:76 ; 4-byte Folded Spill
	ds_read2_b64 v[99:102], v125 offset0:40 offset1:41
	;; [unrolled: 19-line block ×3, first 2 shown]
	v_mov_b32_e32 v69, v73
	v_mov_b32_e32 v70, v74
	;; [unrolled: 1-line block ×4, first 2 shown]
	s_waitcnt lgkmcnt(0)
	v_mul_f64 v[103:104], v[101:102], v[105:106]
	v_fma_f64 v[103:104], v[99:100], v[97:98], -v[103:104]
	v_mul_f64 v[99:100], v[99:100], v[105:106]
	v_add_f64 v[121:122], v[121:122], -v[103:104]
	v_fma_f64 v[99:100], v[101:102], v[97:98], v[99:100]
	v_add_f64 v[123:124], v[123:124], -v[99:100]
	ds_read2_b64 v[99:102], v125 offset0:44 offset1:45
	s_waitcnt lgkmcnt(0)
	v_mul_f64 v[103:104], v[101:102], v[105:106]
	v_fma_f64 v[103:104], v[99:100], v[97:98], -v[103:104]
	v_mul_f64 v[99:100], v[99:100], v[105:106]
	v_add_f64 v[117:118], v[117:118], -v[103:104]
	v_fma_f64 v[99:100], v[101:102], v[97:98], v[99:100]
	v_add_f64 v[119:120], v[119:120], -v[99:100]
	ds_read2_b64 v[99:102], v125 offset0:46 offset1:47
	;; [unrolled: 8-line block ×5, first 2 shown]
	buffer_load_dword v77, off, s[20:23], 0 offset:32 ; 4-byte Folded Reload
	buffer_load_dword v78, off, s[20:23], 0 offset:36 ; 4-byte Folded Reload
	;; [unrolled: 1-line block ×4, first 2 shown]
	s_waitcnt lgkmcnt(0)
	v_mul_f64 v[103:104], v[101:102], v[105:106]
	v_fma_f64 v[103:104], v[99:100], v[97:98], -v[103:104]
	v_mul_f64 v[99:100], v[99:100], v[105:106]
	v_fma_f64 v[99:100], v[101:102], v[97:98], v[99:100]
	s_waitcnt vmcnt(2)
	v_add_f64 v[77:78], v[77:78], -v[103:104]
	s_waitcnt vmcnt(0)
	v_add_f64 v[79:80], v[79:80], -v[99:100]
	buffer_store_dword v77, off, s[20:23], 0 offset:32 ; 4-byte Folded Spill
	s_nop 0
	buffer_store_dword v78, off, s[20:23], 0 offset:36 ; 4-byte Folded Spill
	buffer_store_dword v79, off, s[20:23], 0 offset:40 ; 4-byte Folded Spill
	;; [unrolled: 1-line block ×3, first 2 shown]
	ds_read2_b64 v[99:102], v125 offset0:54 offset1:55
	buffer_load_dword v73, off, s[20:23], 0 offset:16 ; 4-byte Folded Reload
	buffer_load_dword v74, off, s[20:23], 0 offset:20 ; 4-byte Folded Reload
	;; [unrolled: 1-line block ×4, first 2 shown]
	s_waitcnt lgkmcnt(0)
	v_mul_f64 v[103:104], v[101:102], v[105:106]
	v_fma_f64 v[103:104], v[99:100], v[97:98], -v[103:104]
	v_mul_f64 v[99:100], v[99:100], v[105:106]
	v_fma_f64 v[99:100], v[101:102], v[97:98], v[99:100]
	s_waitcnt vmcnt(2)
	v_add_f64 v[73:74], v[73:74], -v[103:104]
	s_waitcnt vmcnt(0)
	v_add_f64 v[75:76], v[75:76], -v[99:100]
	buffer_store_dword v73, off, s[20:23], 0 offset:16 ; 4-byte Folded Spill
	s_nop 0
	buffer_store_dword v74, off, s[20:23], 0 offset:20 ; 4-byte Folded Spill
	buffer_store_dword v75, off, s[20:23], 0 offset:24 ; 4-byte Folded Spill
	;; [unrolled: 1-line block ×3, first 2 shown]
	v_mov_b32_e32 v76, v72
	v_mov_b32_e32 v75, v71
	;; [unrolled: 1-line block ×4, first 2 shown]
	ds_read2_b64 v[99:102], v125 offset0:56 offset1:57
	buffer_load_dword v69, off, s[20:23], 0 ; 4-byte Folded Reload
	buffer_load_dword v70, off, s[20:23], 0 offset:4 ; 4-byte Folded Reload
	buffer_load_dword v71, off, s[20:23], 0 offset:8 ; 4-byte Folded Reload
	;; [unrolled: 1-line block ×3, first 2 shown]
	s_waitcnt lgkmcnt(0)
	v_mul_f64 v[103:104], v[101:102], v[105:106]
	v_fma_f64 v[103:104], v[99:100], v[97:98], -v[103:104]
	v_mul_f64 v[99:100], v[99:100], v[105:106]
	v_fma_f64 v[99:100], v[101:102], v[97:98], v[99:100]
	s_waitcnt vmcnt(2)
	v_add_f64 v[69:70], v[69:70], -v[103:104]
	s_waitcnt vmcnt(0)
	v_add_f64 v[71:72], v[71:72], -v[99:100]
	buffer_store_dword v69, off, s[20:23], 0 ; 4-byte Folded Spill
	s_nop 0
	buffer_store_dword v70, off, s[20:23], 0 offset:4 ; 4-byte Folded Spill
	buffer_store_dword v71, off, s[20:23], 0 offset:8 ; 4-byte Folded Spill
	;; [unrolled: 1-line block ×3, first 2 shown]
	ds_read2_b64 v[99:102], v125 offset0:58 offset1:59
	s_waitcnt lgkmcnt(0)
	v_mul_f64 v[103:104], v[101:102], v[105:106]
	v_fma_f64 v[103:104], v[99:100], v[97:98], -v[103:104]
	v_mul_f64 v[99:100], v[99:100], v[105:106]
	v_add_f64 v[65:66], v[65:66], -v[103:104]
	v_fma_f64 v[99:100], v[101:102], v[97:98], v[99:100]
	v_add_f64 v[67:68], v[67:68], -v[99:100]
	ds_read2_b64 v[99:102], v125 offset0:60 offset1:61
	s_waitcnt lgkmcnt(0)
	v_mul_f64 v[103:104], v[101:102], v[105:106]
	v_fma_f64 v[103:104], v[99:100], v[97:98], -v[103:104]
	v_mul_f64 v[99:100], v[99:100], v[105:106]
	v_add_f64 v[61:62], v[61:62], -v[103:104]
	v_fma_f64 v[99:100], v[101:102], v[97:98], v[99:100]
	v_add_f64 v[63:64], v[63:64], -v[99:100]
	;; [unrolled: 8-line block ×17, first 2 shown]
	ds_read2_b64 v[99:102], v125 offset0:92 offset1:93
	s_waitcnt lgkmcnt(0)
	v_mul_f64 v[103:104], v[101:102], v[105:106]
	v_fma_f64 v[103:104], v[99:100], v[97:98], -v[103:104]
	v_mul_f64 v[99:100], v[99:100], v[105:106]
	v_add_f64 v[73:74], v[73:74], -v[103:104]
	v_fma_f64 v[99:100], v[101:102], v[97:98], v[99:100]
	v_mov_b32_e32 v104, v98
	v_mov_b32_e32 v103, v97
	buffer_store_dword v103, off, s[20:23], 0 offset:96 ; 4-byte Folded Spill
	s_nop 0
	buffer_store_dword v104, off, s[20:23], 0 offset:100 ; 4-byte Folded Spill
	buffer_store_dword v105, off, s[20:23], 0 offset:104 ; 4-byte Folded Spill
	;; [unrolled: 1-line block ×3, first 2 shown]
	v_add_f64 v[75:76], v[75:76], -v[99:100]
.LBB93_163:
	s_or_b64 exec, exec, s[2:3]
	v_cmp_eq_u32_e32 vcc, 18, v0
	s_waitcnt vmcnt(0)
	s_barrier
	s_and_saveexec_b64 s[4:5], vcc
	s_cbranch_execz .LBB93_170
; %bb.164:
	buffer_load_dword v69, off, s[20:23], 0 offset:80 ; 4-byte Folded Reload
	buffer_load_dword v70, off, s[20:23], 0 offset:84 ; 4-byte Folded Reload
	;; [unrolled: 1-line block ×4, first 2 shown]
	s_waitcnt vmcnt(0)
	ds_write2_b64 v127, v[69:70], v[71:72] offset1:1
	buffer_load_dword v69, off, s[20:23], 0 offset:64 ; 4-byte Folded Reload
	buffer_load_dword v70, off, s[20:23], 0 offset:68 ; 4-byte Folded Reload
	;; [unrolled: 1-line block ×4, first 2 shown]
	s_waitcnt vmcnt(0)
	ds_write2_b64 v125, v[69:70], v[71:72] offset0:38 offset1:39
	buffer_load_dword v69, off, s[20:23], 0 offset:48 ; 4-byte Folded Reload
	buffer_load_dword v70, off, s[20:23], 0 offset:52 ; 4-byte Folded Reload
	buffer_load_dword v71, off, s[20:23], 0 offset:56 ; 4-byte Folded Reload
	buffer_load_dword v72, off, s[20:23], 0 offset:60 ; 4-byte Folded Reload
	s_waitcnt vmcnt(0)
	ds_write2_b64 v125, v[69:70], v[71:72] offset0:40 offset1:41
	ds_write2_b64 v125, v[121:122], v[123:124] offset0:42 offset1:43
	;; [unrolled: 1-line block ×6, first 2 shown]
	buffer_load_dword v77, off, s[20:23], 0 offset:32 ; 4-byte Folded Reload
	buffer_load_dword v78, off, s[20:23], 0 offset:36 ; 4-byte Folded Reload
	;; [unrolled: 1-line block ×4, first 2 shown]
	v_mov_b32_e32 v69, v73
	v_mov_b32_e32 v70, v74
	;; [unrolled: 1-line block ×4, first 2 shown]
	s_waitcnt vmcnt(0)
	ds_write2_b64 v125, v[77:78], v[79:80] offset0:52 offset1:53
	buffer_load_dword v73, off, s[20:23], 0 offset:16 ; 4-byte Folded Reload
	buffer_load_dword v74, off, s[20:23], 0 offset:20 ; 4-byte Folded Reload
	;; [unrolled: 1-line block ×4, first 2 shown]
	s_waitcnt vmcnt(0)
	ds_write2_b64 v125, v[73:74], v[75:76] offset0:54 offset1:55
	v_mov_b32_e32 v76, v72
	v_mov_b32_e32 v75, v71
	;; [unrolled: 1-line block ×4, first 2 shown]
	buffer_load_dword v69, off, s[20:23], 0 ; 4-byte Folded Reload
	buffer_load_dword v70, off, s[20:23], 0 offset:4 ; 4-byte Folded Reload
	buffer_load_dword v71, off, s[20:23], 0 offset:8 ; 4-byte Folded Reload
	;; [unrolled: 1-line block ×3, first 2 shown]
	s_waitcnt vmcnt(0)
	ds_write2_b64 v125, v[69:70], v[71:72] offset0:56 offset1:57
	ds_write2_b64 v125, v[65:66], v[67:68] offset0:58 offset1:59
	;; [unrolled: 1-line block ×19, first 2 shown]
	ds_read2_b64 v[97:100], v127 offset1:1
	s_waitcnt lgkmcnt(0)
	v_cmp_neq_f64_e32 vcc, 0, v[97:98]
	v_cmp_neq_f64_e64 s[2:3], 0, v[99:100]
	s_or_b64 s[2:3], vcc, s[2:3]
	s_and_b64 exec, exec, s[2:3]
	s_cbranch_execz .LBB93_170
; %bb.165:
	v_cmp_ngt_f64_e64 s[2:3], |v[97:98]|, |v[99:100]|
                                        ; implicit-def: $vgpr101_vgpr102
	s_and_saveexec_b64 s[6:7], s[2:3]
	s_xor_b64 s[2:3], exec, s[6:7]
                                        ; implicit-def: $vgpr103_vgpr104
	s_cbranch_execz .LBB93_167
; %bb.166:
	v_div_scale_f64 v[101:102], s[6:7], v[99:100], v[99:100], v[97:98]
	v_rcp_f64_e32 v[103:104], v[101:102]
	v_fma_f64 v[105:106], -v[101:102], v[103:104], 1.0
	v_fma_f64 v[103:104], v[103:104], v[105:106], v[103:104]
	v_div_scale_f64 v[105:106], vcc, v[97:98], v[99:100], v[97:98]
	v_fma_f64 v[107:108], -v[101:102], v[103:104], 1.0
	v_fma_f64 v[103:104], v[103:104], v[107:108], v[103:104]
	v_mul_f64 v[107:108], v[105:106], v[103:104]
	v_fma_f64 v[101:102], -v[101:102], v[107:108], v[105:106]
	v_div_fmas_f64 v[101:102], v[101:102], v[103:104], v[107:108]
	v_div_fixup_f64 v[101:102], v[101:102], v[99:100], v[97:98]
	v_fma_f64 v[97:98], v[97:98], v[101:102], v[99:100]
	v_div_scale_f64 v[99:100], s[6:7], v[97:98], v[97:98], 1.0
	v_div_scale_f64 v[107:108], vcc, 1.0, v[97:98], 1.0
	v_rcp_f64_e32 v[103:104], v[99:100]
	v_fma_f64 v[105:106], -v[99:100], v[103:104], 1.0
	v_fma_f64 v[103:104], v[103:104], v[105:106], v[103:104]
	v_fma_f64 v[105:106], -v[99:100], v[103:104], 1.0
	v_fma_f64 v[103:104], v[103:104], v[105:106], v[103:104]
	v_mul_f64 v[105:106], v[107:108], v[103:104]
	v_fma_f64 v[99:100], -v[99:100], v[105:106], v[107:108]
	v_div_fmas_f64 v[99:100], v[99:100], v[103:104], v[105:106]
	v_div_fixup_f64 v[103:104], v[99:100], v[97:98], 1.0
                                        ; implicit-def: $vgpr97_vgpr98
	v_mul_f64 v[101:102], v[101:102], v[103:104]
	v_xor_b32_e32 v104, 0x80000000, v104
.LBB93_167:
	s_andn2_saveexec_b64 s[2:3], s[2:3]
	s_cbranch_execz .LBB93_169
; %bb.168:
	v_div_scale_f64 v[101:102], s[6:7], v[97:98], v[97:98], v[99:100]
	v_rcp_f64_e32 v[103:104], v[101:102]
	v_fma_f64 v[105:106], -v[101:102], v[103:104], 1.0
	v_fma_f64 v[103:104], v[103:104], v[105:106], v[103:104]
	v_div_scale_f64 v[105:106], vcc, v[99:100], v[97:98], v[99:100]
	v_fma_f64 v[107:108], -v[101:102], v[103:104], 1.0
	v_fma_f64 v[103:104], v[103:104], v[107:108], v[103:104]
	v_mul_f64 v[107:108], v[105:106], v[103:104]
	v_fma_f64 v[101:102], -v[101:102], v[107:108], v[105:106]
	v_div_fmas_f64 v[101:102], v[101:102], v[103:104], v[107:108]
	v_div_fixup_f64 v[103:104], v[101:102], v[97:98], v[99:100]
	v_fma_f64 v[97:98], v[99:100], v[103:104], v[97:98]
	v_div_scale_f64 v[99:100], s[6:7], v[97:98], v[97:98], 1.0
	v_div_scale_f64 v[107:108], vcc, 1.0, v[97:98], 1.0
	v_rcp_f64_e32 v[101:102], v[99:100]
	v_fma_f64 v[105:106], -v[99:100], v[101:102], 1.0
	v_fma_f64 v[101:102], v[101:102], v[105:106], v[101:102]
	v_fma_f64 v[105:106], -v[99:100], v[101:102], 1.0
	v_fma_f64 v[101:102], v[101:102], v[105:106], v[101:102]
	v_mul_f64 v[105:106], v[107:108], v[101:102]
	v_fma_f64 v[99:100], -v[99:100], v[105:106], v[107:108]
	v_div_fmas_f64 v[99:100], v[99:100], v[101:102], v[105:106]
	v_div_fixup_f64 v[101:102], v[99:100], v[97:98], 1.0
	v_mul_f64 v[103:104], v[103:104], -v[101:102]
.LBB93_169:
	s_or_b64 exec, exec, s[2:3]
	ds_write2_b64 v127, v[101:102], v[103:104] offset1:1
.LBB93_170:
	s_or_b64 exec, exec, s[4:5]
	s_waitcnt lgkmcnt(0)
	s_barrier
	ds_read2_b64 v[69:72], v127 offset1:1
	v_cmp_lt_u32_e32 vcc, 18, v0
	s_waitcnt lgkmcnt(0)
	buffer_store_dword v69, off, s[20:23], 0 offset:1040 ; 4-byte Folded Spill
	s_nop 0
	buffer_store_dword v70, off, s[20:23], 0 offset:1044 ; 4-byte Folded Spill
	buffer_store_dword v71, off, s[20:23], 0 offset:1048 ; 4-byte Folded Spill
	;; [unrolled: 1-line block ×3, first 2 shown]
	s_and_saveexec_b64 s[2:3], vcc
	s_cbranch_execz .LBB93_172
; %bb.171:
	buffer_load_dword v103, off, s[20:23], 0 offset:80 ; 4-byte Folded Reload
	buffer_load_dword v104, off, s[20:23], 0 offset:84 ; 4-byte Folded Reload
	;; [unrolled: 1-line block ×8, first 2 shown]
	s_waitcnt vmcnt(2)
	v_mul_f64 v[99:100], v[69:70], v[105:106]
	s_waitcnt vmcnt(0)
	v_mul_f64 v[97:98], v[71:72], v[105:106]
	v_fma_f64 v[105:106], v[71:72], v[103:104], v[99:100]
	ds_read2_b64 v[99:102], v125 offset0:38 offset1:39
	v_fma_f64 v[97:98], v[69:70], v[103:104], -v[97:98]
	buffer_load_dword v69, off, s[20:23], 0 offset:64 ; 4-byte Folded Reload
	buffer_load_dword v70, off, s[20:23], 0 offset:68 ; 4-byte Folded Reload
	;; [unrolled: 1-line block ×4, first 2 shown]
	s_waitcnt lgkmcnt(0)
	v_mul_f64 v[103:104], v[101:102], v[105:106]
	v_fma_f64 v[103:104], v[99:100], v[97:98], -v[103:104]
	v_mul_f64 v[99:100], v[99:100], v[105:106]
	v_fma_f64 v[99:100], v[101:102], v[97:98], v[99:100]
	s_waitcnt vmcnt(2)
	v_add_f64 v[69:70], v[69:70], -v[103:104]
	s_waitcnt vmcnt(0)
	v_add_f64 v[71:72], v[71:72], -v[99:100]
	buffer_store_dword v69, off, s[20:23], 0 offset:64 ; 4-byte Folded Spill
	s_nop 0
	buffer_store_dword v70, off, s[20:23], 0 offset:68 ; 4-byte Folded Spill
	buffer_store_dword v71, off, s[20:23], 0 offset:72 ; 4-byte Folded Spill
	;; [unrolled: 1-line block ×3, first 2 shown]
	ds_read2_b64 v[99:102], v125 offset0:40 offset1:41
	buffer_load_dword v69, off, s[20:23], 0 offset:48 ; 4-byte Folded Reload
	buffer_load_dword v70, off, s[20:23], 0 offset:52 ; 4-byte Folded Reload
	;; [unrolled: 1-line block ×4, first 2 shown]
	s_waitcnt lgkmcnt(0)
	v_mul_f64 v[103:104], v[101:102], v[105:106]
	v_fma_f64 v[103:104], v[99:100], v[97:98], -v[103:104]
	v_mul_f64 v[99:100], v[99:100], v[105:106]
	v_fma_f64 v[99:100], v[101:102], v[97:98], v[99:100]
	s_waitcnt vmcnt(2)
	v_add_f64 v[69:70], v[69:70], -v[103:104]
	s_waitcnt vmcnt(0)
	v_add_f64 v[71:72], v[71:72], -v[99:100]
	buffer_store_dword v69, off, s[20:23], 0 offset:48 ; 4-byte Folded Spill
	s_nop 0
	buffer_store_dword v70, off, s[20:23], 0 offset:52 ; 4-byte Folded Spill
	buffer_store_dword v71, off, s[20:23], 0 offset:56 ; 4-byte Folded Spill
	;; [unrolled: 1-line block ×3, first 2 shown]
	ds_read2_b64 v[99:102], v125 offset0:42 offset1:43
	v_mov_b32_e32 v69, v73
	v_mov_b32_e32 v70, v74
	;; [unrolled: 1-line block ×4, first 2 shown]
	s_waitcnt lgkmcnt(0)
	v_mul_f64 v[103:104], v[101:102], v[105:106]
	v_fma_f64 v[103:104], v[99:100], v[97:98], -v[103:104]
	v_mul_f64 v[99:100], v[99:100], v[105:106]
	v_add_f64 v[121:122], v[121:122], -v[103:104]
	v_fma_f64 v[99:100], v[101:102], v[97:98], v[99:100]
	v_add_f64 v[123:124], v[123:124], -v[99:100]
	ds_read2_b64 v[99:102], v125 offset0:44 offset1:45
	s_waitcnt lgkmcnt(0)
	v_mul_f64 v[103:104], v[101:102], v[105:106]
	v_fma_f64 v[103:104], v[99:100], v[97:98], -v[103:104]
	v_mul_f64 v[99:100], v[99:100], v[105:106]
	v_add_f64 v[117:118], v[117:118], -v[103:104]
	v_fma_f64 v[99:100], v[101:102], v[97:98], v[99:100]
	v_add_f64 v[119:120], v[119:120], -v[99:100]
	ds_read2_b64 v[99:102], v125 offset0:46 offset1:47
	;; [unrolled: 8-line block ×5, first 2 shown]
	buffer_load_dword v77, off, s[20:23], 0 offset:32 ; 4-byte Folded Reload
	buffer_load_dword v78, off, s[20:23], 0 offset:36 ; 4-byte Folded Reload
	;; [unrolled: 1-line block ×4, first 2 shown]
	s_waitcnt lgkmcnt(0)
	v_mul_f64 v[103:104], v[101:102], v[105:106]
	v_fma_f64 v[103:104], v[99:100], v[97:98], -v[103:104]
	v_mul_f64 v[99:100], v[99:100], v[105:106]
	v_fma_f64 v[99:100], v[101:102], v[97:98], v[99:100]
	s_waitcnt vmcnt(2)
	v_add_f64 v[77:78], v[77:78], -v[103:104]
	s_waitcnt vmcnt(0)
	v_add_f64 v[79:80], v[79:80], -v[99:100]
	buffer_store_dword v77, off, s[20:23], 0 offset:32 ; 4-byte Folded Spill
	s_nop 0
	buffer_store_dword v78, off, s[20:23], 0 offset:36 ; 4-byte Folded Spill
	buffer_store_dword v79, off, s[20:23], 0 offset:40 ; 4-byte Folded Spill
	;; [unrolled: 1-line block ×3, first 2 shown]
	ds_read2_b64 v[99:102], v125 offset0:54 offset1:55
	buffer_load_dword v73, off, s[20:23], 0 offset:16 ; 4-byte Folded Reload
	buffer_load_dword v74, off, s[20:23], 0 offset:20 ; 4-byte Folded Reload
	buffer_load_dword v75, off, s[20:23], 0 offset:24 ; 4-byte Folded Reload
	buffer_load_dword v76, off, s[20:23], 0 offset:28 ; 4-byte Folded Reload
	s_waitcnt lgkmcnt(0)
	v_mul_f64 v[103:104], v[101:102], v[105:106]
	v_fma_f64 v[103:104], v[99:100], v[97:98], -v[103:104]
	v_mul_f64 v[99:100], v[99:100], v[105:106]
	v_fma_f64 v[99:100], v[101:102], v[97:98], v[99:100]
	s_waitcnt vmcnt(2)
	v_add_f64 v[73:74], v[73:74], -v[103:104]
	s_waitcnt vmcnt(0)
	v_add_f64 v[75:76], v[75:76], -v[99:100]
	buffer_store_dword v73, off, s[20:23], 0 offset:16 ; 4-byte Folded Spill
	s_nop 0
	buffer_store_dword v74, off, s[20:23], 0 offset:20 ; 4-byte Folded Spill
	buffer_store_dword v75, off, s[20:23], 0 offset:24 ; 4-byte Folded Spill
	;; [unrolled: 1-line block ×3, first 2 shown]
	v_mov_b32_e32 v76, v72
	v_mov_b32_e32 v75, v71
	;; [unrolled: 1-line block ×4, first 2 shown]
	ds_read2_b64 v[99:102], v125 offset0:56 offset1:57
	buffer_load_dword v69, off, s[20:23], 0 ; 4-byte Folded Reload
	buffer_load_dword v70, off, s[20:23], 0 offset:4 ; 4-byte Folded Reload
	buffer_load_dword v71, off, s[20:23], 0 offset:8 ; 4-byte Folded Reload
	;; [unrolled: 1-line block ×3, first 2 shown]
	s_waitcnt lgkmcnt(0)
	v_mul_f64 v[103:104], v[101:102], v[105:106]
	v_fma_f64 v[103:104], v[99:100], v[97:98], -v[103:104]
	v_mul_f64 v[99:100], v[99:100], v[105:106]
	v_fma_f64 v[99:100], v[101:102], v[97:98], v[99:100]
	s_waitcnt vmcnt(2)
	v_add_f64 v[69:70], v[69:70], -v[103:104]
	s_waitcnt vmcnt(0)
	v_add_f64 v[71:72], v[71:72], -v[99:100]
	buffer_store_dword v69, off, s[20:23], 0 ; 4-byte Folded Spill
	s_nop 0
	buffer_store_dword v70, off, s[20:23], 0 offset:4 ; 4-byte Folded Spill
	buffer_store_dword v71, off, s[20:23], 0 offset:8 ; 4-byte Folded Spill
	;; [unrolled: 1-line block ×3, first 2 shown]
	ds_read2_b64 v[99:102], v125 offset0:58 offset1:59
	s_waitcnt lgkmcnt(0)
	v_mul_f64 v[103:104], v[101:102], v[105:106]
	v_fma_f64 v[103:104], v[99:100], v[97:98], -v[103:104]
	v_mul_f64 v[99:100], v[99:100], v[105:106]
	v_add_f64 v[65:66], v[65:66], -v[103:104]
	v_fma_f64 v[99:100], v[101:102], v[97:98], v[99:100]
	v_add_f64 v[67:68], v[67:68], -v[99:100]
	ds_read2_b64 v[99:102], v125 offset0:60 offset1:61
	s_waitcnt lgkmcnt(0)
	v_mul_f64 v[103:104], v[101:102], v[105:106]
	v_fma_f64 v[103:104], v[99:100], v[97:98], -v[103:104]
	v_mul_f64 v[99:100], v[99:100], v[105:106]
	v_add_f64 v[61:62], v[61:62], -v[103:104]
	v_fma_f64 v[99:100], v[101:102], v[97:98], v[99:100]
	v_add_f64 v[63:64], v[63:64], -v[99:100]
	;; [unrolled: 8-line block ×17, first 2 shown]
	ds_read2_b64 v[99:102], v125 offset0:92 offset1:93
	s_waitcnt lgkmcnt(0)
	v_mul_f64 v[103:104], v[101:102], v[105:106]
	v_fma_f64 v[103:104], v[99:100], v[97:98], -v[103:104]
	v_mul_f64 v[99:100], v[99:100], v[105:106]
	v_add_f64 v[73:74], v[73:74], -v[103:104]
	v_fma_f64 v[99:100], v[101:102], v[97:98], v[99:100]
	v_mov_b32_e32 v104, v98
	v_mov_b32_e32 v103, v97
	buffer_store_dword v103, off, s[20:23], 0 offset:80 ; 4-byte Folded Spill
	s_nop 0
	buffer_store_dword v104, off, s[20:23], 0 offset:84 ; 4-byte Folded Spill
	buffer_store_dword v105, off, s[20:23], 0 offset:88 ; 4-byte Folded Spill
	;; [unrolled: 1-line block ×3, first 2 shown]
	v_add_f64 v[75:76], v[75:76], -v[99:100]
.LBB93_172:
	s_or_b64 exec, exec, s[2:3]
	v_cmp_eq_u32_e32 vcc, 19, v0
	s_waitcnt vmcnt(0)
	s_barrier
	s_and_saveexec_b64 s[4:5], vcc
	s_cbranch_execz .LBB93_179
; %bb.173:
	buffer_load_dword v69, off, s[20:23], 0 offset:64 ; 4-byte Folded Reload
	buffer_load_dword v70, off, s[20:23], 0 offset:68 ; 4-byte Folded Reload
	;; [unrolled: 1-line block ×4, first 2 shown]
	s_waitcnt vmcnt(0)
	ds_write2_b64 v127, v[69:70], v[71:72] offset1:1
	buffer_load_dword v69, off, s[20:23], 0 offset:48 ; 4-byte Folded Reload
	buffer_load_dword v70, off, s[20:23], 0 offset:52 ; 4-byte Folded Reload
	;; [unrolled: 1-line block ×4, first 2 shown]
	s_waitcnt vmcnt(0)
	ds_write2_b64 v125, v[69:70], v[71:72] offset0:40 offset1:41
	ds_write2_b64 v125, v[121:122], v[123:124] offset0:42 offset1:43
	ds_write2_b64 v125, v[117:118], v[119:120] offset0:44 offset1:45
	ds_write2_b64 v125, v[109:110], v[111:112] offset0:46 offset1:47
	ds_write2_b64 v125, v[113:114], v[115:116] offset0:48 offset1:49
	ds_write2_b64 v125, v[93:94], v[95:96] offset0:50 offset1:51
	buffer_load_dword v77, off, s[20:23], 0 offset:32 ; 4-byte Folded Reload
	buffer_load_dword v78, off, s[20:23], 0 offset:36 ; 4-byte Folded Reload
	;; [unrolled: 1-line block ×4, first 2 shown]
	v_mov_b32_e32 v69, v73
	v_mov_b32_e32 v70, v74
	;; [unrolled: 1-line block ×4, first 2 shown]
	s_waitcnt vmcnt(0)
	ds_write2_b64 v125, v[77:78], v[79:80] offset0:52 offset1:53
	buffer_load_dword v73, off, s[20:23], 0 offset:16 ; 4-byte Folded Reload
	buffer_load_dword v74, off, s[20:23], 0 offset:20 ; 4-byte Folded Reload
	;; [unrolled: 1-line block ×4, first 2 shown]
	s_waitcnt vmcnt(0)
	ds_write2_b64 v125, v[73:74], v[75:76] offset0:54 offset1:55
	v_mov_b32_e32 v76, v72
	v_mov_b32_e32 v75, v71
	;; [unrolled: 1-line block ×4, first 2 shown]
	buffer_load_dword v69, off, s[20:23], 0 ; 4-byte Folded Reload
	buffer_load_dword v70, off, s[20:23], 0 offset:4 ; 4-byte Folded Reload
	buffer_load_dword v71, off, s[20:23], 0 offset:8 ; 4-byte Folded Reload
	;; [unrolled: 1-line block ×3, first 2 shown]
	s_waitcnt vmcnt(0)
	ds_write2_b64 v125, v[69:70], v[71:72] offset0:56 offset1:57
	ds_write2_b64 v125, v[65:66], v[67:68] offset0:58 offset1:59
	ds_write2_b64 v125, v[61:62], v[63:64] offset0:60 offset1:61
	ds_write2_b64 v125, v[57:58], v[59:60] offset0:62 offset1:63
	ds_write2_b64 v125, v[53:54], v[55:56] offset0:64 offset1:65
	ds_write2_b64 v125, v[49:50], v[51:52] offset0:66 offset1:67
	ds_write2_b64 v125, v[45:46], v[47:48] offset0:68 offset1:69
	ds_write2_b64 v125, v[41:42], v[43:44] offset0:70 offset1:71
	ds_write2_b64 v125, v[37:38], v[39:40] offset0:72 offset1:73
	ds_write2_b64 v125, v[33:34], v[35:36] offset0:74 offset1:75
	ds_write2_b64 v125, v[29:30], v[31:32] offset0:76 offset1:77
	ds_write2_b64 v125, v[25:26], v[27:28] offset0:78 offset1:79
	ds_write2_b64 v125, v[21:22], v[23:24] offset0:80 offset1:81
	ds_write2_b64 v125, v[17:18], v[19:20] offset0:82 offset1:83
	ds_write2_b64 v125, v[13:14], v[15:16] offset0:84 offset1:85
	ds_write2_b64 v125, v[9:10], v[11:12] offset0:86 offset1:87
	ds_write2_b64 v125, v[5:6], v[7:8] offset0:88 offset1:89
	ds_write2_b64 v125, v[1:2], v[3:4] offset0:90 offset1:91
	ds_write2_b64 v125, v[73:74], v[75:76] offset0:92 offset1:93
	ds_read2_b64 v[97:100], v127 offset1:1
	s_waitcnt lgkmcnt(0)
	v_cmp_neq_f64_e32 vcc, 0, v[97:98]
	v_cmp_neq_f64_e64 s[2:3], 0, v[99:100]
	s_or_b64 s[2:3], vcc, s[2:3]
	s_and_b64 exec, exec, s[2:3]
	s_cbranch_execz .LBB93_179
; %bb.174:
	v_cmp_ngt_f64_e64 s[2:3], |v[97:98]|, |v[99:100]|
                                        ; implicit-def: $vgpr101_vgpr102
	s_and_saveexec_b64 s[6:7], s[2:3]
	s_xor_b64 s[2:3], exec, s[6:7]
                                        ; implicit-def: $vgpr103_vgpr104
	s_cbranch_execz .LBB93_176
; %bb.175:
	v_div_scale_f64 v[101:102], s[6:7], v[99:100], v[99:100], v[97:98]
	v_rcp_f64_e32 v[103:104], v[101:102]
	v_fma_f64 v[105:106], -v[101:102], v[103:104], 1.0
	v_fma_f64 v[103:104], v[103:104], v[105:106], v[103:104]
	v_div_scale_f64 v[105:106], vcc, v[97:98], v[99:100], v[97:98]
	v_fma_f64 v[107:108], -v[101:102], v[103:104], 1.0
	v_fma_f64 v[103:104], v[103:104], v[107:108], v[103:104]
	v_mul_f64 v[107:108], v[105:106], v[103:104]
	v_fma_f64 v[101:102], -v[101:102], v[107:108], v[105:106]
	v_div_fmas_f64 v[101:102], v[101:102], v[103:104], v[107:108]
	v_div_fixup_f64 v[101:102], v[101:102], v[99:100], v[97:98]
	v_fma_f64 v[97:98], v[97:98], v[101:102], v[99:100]
	v_div_scale_f64 v[99:100], s[6:7], v[97:98], v[97:98], 1.0
	v_div_scale_f64 v[107:108], vcc, 1.0, v[97:98], 1.0
	v_rcp_f64_e32 v[103:104], v[99:100]
	v_fma_f64 v[105:106], -v[99:100], v[103:104], 1.0
	v_fma_f64 v[103:104], v[103:104], v[105:106], v[103:104]
	v_fma_f64 v[105:106], -v[99:100], v[103:104], 1.0
	v_fma_f64 v[103:104], v[103:104], v[105:106], v[103:104]
	v_mul_f64 v[105:106], v[107:108], v[103:104]
	v_fma_f64 v[99:100], -v[99:100], v[105:106], v[107:108]
	v_div_fmas_f64 v[99:100], v[99:100], v[103:104], v[105:106]
	v_div_fixup_f64 v[103:104], v[99:100], v[97:98], 1.0
                                        ; implicit-def: $vgpr97_vgpr98
	v_mul_f64 v[101:102], v[101:102], v[103:104]
	v_xor_b32_e32 v104, 0x80000000, v104
.LBB93_176:
	s_andn2_saveexec_b64 s[2:3], s[2:3]
	s_cbranch_execz .LBB93_178
; %bb.177:
	v_div_scale_f64 v[101:102], s[6:7], v[97:98], v[97:98], v[99:100]
	v_rcp_f64_e32 v[103:104], v[101:102]
	v_fma_f64 v[105:106], -v[101:102], v[103:104], 1.0
	v_fma_f64 v[103:104], v[103:104], v[105:106], v[103:104]
	v_div_scale_f64 v[105:106], vcc, v[99:100], v[97:98], v[99:100]
	v_fma_f64 v[107:108], -v[101:102], v[103:104], 1.0
	v_fma_f64 v[103:104], v[103:104], v[107:108], v[103:104]
	v_mul_f64 v[107:108], v[105:106], v[103:104]
	v_fma_f64 v[101:102], -v[101:102], v[107:108], v[105:106]
	v_div_fmas_f64 v[101:102], v[101:102], v[103:104], v[107:108]
	v_div_fixup_f64 v[103:104], v[101:102], v[97:98], v[99:100]
	v_fma_f64 v[97:98], v[99:100], v[103:104], v[97:98]
	v_div_scale_f64 v[99:100], s[6:7], v[97:98], v[97:98], 1.0
	v_div_scale_f64 v[107:108], vcc, 1.0, v[97:98], 1.0
	v_rcp_f64_e32 v[101:102], v[99:100]
	v_fma_f64 v[105:106], -v[99:100], v[101:102], 1.0
	v_fma_f64 v[101:102], v[101:102], v[105:106], v[101:102]
	v_fma_f64 v[105:106], -v[99:100], v[101:102], 1.0
	v_fma_f64 v[101:102], v[101:102], v[105:106], v[101:102]
	v_mul_f64 v[105:106], v[107:108], v[101:102]
	v_fma_f64 v[99:100], -v[99:100], v[105:106], v[107:108]
	v_div_fmas_f64 v[99:100], v[99:100], v[101:102], v[105:106]
	v_div_fixup_f64 v[101:102], v[99:100], v[97:98], 1.0
	v_mul_f64 v[103:104], v[103:104], -v[101:102]
.LBB93_178:
	s_or_b64 exec, exec, s[2:3]
	ds_write2_b64 v127, v[101:102], v[103:104] offset1:1
.LBB93_179:
	s_or_b64 exec, exec, s[4:5]
	s_waitcnt lgkmcnt(0)
	s_barrier
	ds_read2_b64 v[69:72], v127 offset1:1
	v_cmp_lt_u32_e32 vcc, 19, v0
	s_waitcnt lgkmcnt(0)
	buffer_store_dword v69, off, s[20:23], 0 offset:1056 ; 4-byte Folded Spill
	s_nop 0
	buffer_store_dword v70, off, s[20:23], 0 offset:1060 ; 4-byte Folded Spill
	buffer_store_dword v71, off, s[20:23], 0 offset:1064 ; 4-byte Folded Spill
	;; [unrolled: 1-line block ×3, first 2 shown]
	s_and_saveexec_b64 s[2:3], vcc
	s_cbranch_execz .LBB93_181
; %bb.180:
	buffer_load_dword v103, off, s[20:23], 0 offset:64 ; 4-byte Folded Reload
	buffer_load_dword v104, off, s[20:23], 0 offset:68 ; 4-byte Folded Reload
	;; [unrolled: 1-line block ×8, first 2 shown]
	s_waitcnt vmcnt(2)
	v_mul_f64 v[99:100], v[69:70], v[105:106]
	s_waitcnt vmcnt(0)
	v_mul_f64 v[97:98], v[71:72], v[105:106]
	v_fma_f64 v[105:106], v[71:72], v[103:104], v[99:100]
	ds_read2_b64 v[99:102], v125 offset0:40 offset1:41
	v_fma_f64 v[97:98], v[69:70], v[103:104], -v[97:98]
	buffer_load_dword v69, off, s[20:23], 0 offset:48 ; 4-byte Folded Reload
	buffer_load_dword v70, off, s[20:23], 0 offset:52 ; 4-byte Folded Reload
	;; [unrolled: 1-line block ×4, first 2 shown]
	s_waitcnt lgkmcnt(0)
	v_mul_f64 v[103:104], v[101:102], v[105:106]
	v_fma_f64 v[103:104], v[99:100], v[97:98], -v[103:104]
	v_mul_f64 v[99:100], v[99:100], v[105:106]
	v_fma_f64 v[99:100], v[101:102], v[97:98], v[99:100]
	s_waitcnt vmcnt(2)
	v_add_f64 v[69:70], v[69:70], -v[103:104]
	s_waitcnt vmcnt(0)
	v_add_f64 v[71:72], v[71:72], -v[99:100]
	buffer_store_dword v69, off, s[20:23], 0 offset:48 ; 4-byte Folded Spill
	s_nop 0
	buffer_store_dword v70, off, s[20:23], 0 offset:52 ; 4-byte Folded Spill
	buffer_store_dword v71, off, s[20:23], 0 offset:56 ; 4-byte Folded Spill
	;; [unrolled: 1-line block ×3, first 2 shown]
	ds_read2_b64 v[99:102], v125 offset0:42 offset1:43
	v_mov_b32_e32 v69, v73
	v_mov_b32_e32 v70, v74
	;; [unrolled: 1-line block ×4, first 2 shown]
	s_waitcnt lgkmcnt(0)
	v_mul_f64 v[103:104], v[101:102], v[105:106]
	v_fma_f64 v[103:104], v[99:100], v[97:98], -v[103:104]
	v_mul_f64 v[99:100], v[99:100], v[105:106]
	v_add_f64 v[121:122], v[121:122], -v[103:104]
	v_fma_f64 v[99:100], v[101:102], v[97:98], v[99:100]
	v_add_f64 v[123:124], v[123:124], -v[99:100]
	ds_read2_b64 v[99:102], v125 offset0:44 offset1:45
	s_waitcnt lgkmcnt(0)
	v_mul_f64 v[103:104], v[101:102], v[105:106]
	v_fma_f64 v[103:104], v[99:100], v[97:98], -v[103:104]
	v_mul_f64 v[99:100], v[99:100], v[105:106]
	v_add_f64 v[117:118], v[117:118], -v[103:104]
	v_fma_f64 v[99:100], v[101:102], v[97:98], v[99:100]
	v_add_f64 v[119:120], v[119:120], -v[99:100]
	ds_read2_b64 v[99:102], v125 offset0:46 offset1:47
	;; [unrolled: 8-line block ×5, first 2 shown]
	buffer_load_dword v77, off, s[20:23], 0 offset:32 ; 4-byte Folded Reload
	buffer_load_dword v78, off, s[20:23], 0 offset:36 ; 4-byte Folded Reload
	;; [unrolled: 1-line block ×4, first 2 shown]
	s_waitcnt lgkmcnt(0)
	v_mul_f64 v[103:104], v[101:102], v[105:106]
	v_fma_f64 v[103:104], v[99:100], v[97:98], -v[103:104]
	v_mul_f64 v[99:100], v[99:100], v[105:106]
	v_fma_f64 v[99:100], v[101:102], v[97:98], v[99:100]
	s_waitcnt vmcnt(2)
	v_add_f64 v[77:78], v[77:78], -v[103:104]
	s_waitcnt vmcnt(0)
	v_add_f64 v[79:80], v[79:80], -v[99:100]
	buffer_store_dword v77, off, s[20:23], 0 offset:32 ; 4-byte Folded Spill
	s_nop 0
	buffer_store_dword v78, off, s[20:23], 0 offset:36 ; 4-byte Folded Spill
	buffer_store_dword v79, off, s[20:23], 0 offset:40 ; 4-byte Folded Spill
	;; [unrolled: 1-line block ×3, first 2 shown]
	ds_read2_b64 v[99:102], v125 offset0:54 offset1:55
	buffer_load_dword v73, off, s[20:23], 0 offset:16 ; 4-byte Folded Reload
	buffer_load_dword v74, off, s[20:23], 0 offset:20 ; 4-byte Folded Reload
	;; [unrolled: 1-line block ×4, first 2 shown]
	s_waitcnt lgkmcnt(0)
	v_mul_f64 v[103:104], v[101:102], v[105:106]
	v_fma_f64 v[103:104], v[99:100], v[97:98], -v[103:104]
	v_mul_f64 v[99:100], v[99:100], v[105:106]
	v_fma_f64 v[99:100], v[101:102], v[97:98], v[99:100]
	s_waitcnt vmcnt(2)
	v_add_f64 v[73:74], v[73:74], -v[103:104]
	s_waitcnt vmcnt(0)
	v_add_f64 v[75:76], v[75:76], -v[99:100]
	buffer_store_dword v73, off, s[20:23], 0 offset:16 ; 4-byte Folded Spill
	s_nop 0
	buffer_store_dword v74, off, s[20:23], 0 offset:20 ; 4-byte Folded Spill
	buffer_store_dword v75, off, s[20:23], 0 offset:24 ; 4-byte Folded Spill
	;; [unrolled: 1-line block ×3, first 2 shown]
	v_mov_b32_e32 v76, v72
	v_mov_b32_e32 v75, v71
	;; [unrolled: 1-line block ×4, first 2 shown]
	ds_read2_b64 v[99:102], v125 offset0:56 offset1:57
	buffer_load_dword v69, off, s[20:23], 0 ; 4-byte Folded Reload
	buffer_load_dword v70, off, s[20:23], 0 offset:4 ; 4-byte Folded Reload
	buffer_load_dword v71, off, s[20:23], 0 offset:8 ; 4-byte Folded Reload
	;; [unrolled: 1-line block ×3, first 2 shown]
	s_waitcnt lgkmcnt(0)
	v_mul_f64 v[103:104], v[101:102], v[105:106]
	v_fma_f64 v[103:104], v[99:100], v[97:98], -v[103:104]
	v_mul_f64 v[99:100], v[99:100], v[105:106]
	v_fma_f64 v[99:100], v[101:102], v[97:98], v[99:100]
	s_waitcnt vmcnt(2)
	v_add_f64 v[69:70], v[69:70], -v[103:104]
	s_waitcnt vmcnt(0)
	v_add_f64 v[71:72], v[71:72], -v[99:100]
	buffer_store_dword v69, off, s[20:23], 0 ; 4-byte Folded Spill
	s_nop 0
	buffer_store_dword v70, off, s[20:23], 0 offset:4 ; 4-byte Folded Spill
	buffer_store_dword v71, off, s[20:23], 0 offset:8 ; 4-byte Folded Spill
	;; [unrolled: 1-line block ×3, first 2 shown]
	ds_read2_b64 v[99:102], v125 offset0:58 offset1:59
	s_waitcnt lgkmcnt(0)
	v_mul_f64 v[103:104], v[101:102], v[105:106]
	v_fma_f64 v[103:104], v[99:100], v[97:98], -v[103:104]
	v_mul_f64 v[99:100], v[99:100], v[105:106]
	v_add_f64 v[65:66], v[65:66], -v[103:104]
	v_fma_f64 v[99:100], v[101:102], v[97:98], v[99:100]
	v_add_f64 v[67:68], v[67:68], -v[99:100]
	ds_read2_b64 v[99:102], v125 offset0:60 offset1:61
	s_waitcnt lgkmcnt(0)
	v_mul_f64 v[103:104], v[101:102], v[105:106]
	v_fma_f64 v[103:104], v[99:100], v[97:98], -v[103:104]
	v_mul_f64 v[99:100], v[99:100], v[105:106]
	v_add_f64 v[61:62], v[61:62], -v[103:104]
	v_fma_f64 v[99:100], v[101:102], v[97:98], v[99:100]
	v_add_f64 v[63:64], v[63:64], -v[99:100]
	;; [unrolled: 8-line block ×17, first 2 shown]
	ds_read2_b64 v[99:102], v125 offset0:92 offset1:93
	s_waitcnt lgkmcnt(0)
	v_mul_f64 v[103:104], v[101:102], v[105:106]
	v_fma_f64 v[103:104], v[99:100], v[97:98], -v[103:104]
	v_mul_f64 v[99:100], v[99:100], v[105:106]
	v_add_f64 v[73:74], v[73:74], -v[103:104]
	v_fma_f64 v[99:100], v[101:102], v[97:98], v[99:100]
	v_mov_b32_e32 v104, v98
	v_mov_b32_e32 v103, v97
	buffer_store_dword v103, off, s[20:23], 0 offset:64 ; 4-byte Folded Spill
	s_nop 0
	buffer_store_dword v104, off, s[20:23], 0 offset:68 ; 4-byte Folded Spill
	buffer_store_dword v105, off, s[20:23], 0 offset:72 ; 4-byte Folded Spill
	;; [unrolled: 1-line block ×3, first 2 shown]
	v_add_f64 v[75:76], v[75:76], -v[99:100]
.LBB93_181:
	s_or_b64 exec, exec, s[2:3]
	v_cmp_eq_u32_e32 vcc, 20, v0
	s_waitcnt vmcnt(0)
	s_barrier
	s_and_saveexec_b64 s[4:5], vcc
	s_cbranch_execz .LBB93_188
; %bb.182:
	buffer_load_dword v69, off, s[20:23], 0 offset:48 ; 4-byte Folded Reload
	buffer_load_dword v70, off, s[20:23], 0 offset:52 ; 4-byte Folded Reload
	;; [unrolled: 1-line block ×4, first 2 shown]
	s_waitcnt vmcnt(0)
	ds_write2_b64 v127, v[69:70], v[71:72] offset1:1
	ds_write2_b64 v125, v[121:122], v[123:124] offset0:42 offset1:43
	ds_write2_b64 v125, v[117:118], v[119:120] offset0:44 offset1:45
	;; [unrolled: 1-line block ×5, first 2 shown]
	buffer_load_dword v77, off, s[20:23], 0 offset:32 ; 4-byte Folded Reload
	buffer_load_dword v78, off, s[20:23], 0 offset:36 ; 4-byte Folded Reload
	;; [unrolled: 1-line block ×4, first 2 shown]
	v_mov_b32_e32 v69, v73
	v_mov_b32_e32 v70, v74
	;; [unrolled: 1-line block ×4, first 2 shown]
	s_waitcnt vmcnt(0)
	ds_write2_b64 v125, v[77:78], v[79:80] offset0:52 offset1:53
	buffer_load_dword v73, off, s[20:23], 0 offset:16 ; 4-byte Folded Reload
	buffer_load_dword v74, off, s[20:23], 0 offset:20 ; 4-byte Folded Reload
	;; [unrolled: 1-line block ×4, first 2 shown]
	s_waitcnt vmcnt(0)
	ds_write2_b64 v125, v[73:74], v[75:76] offset0:54 offset1:55
	v_mov_b32_e32 v76, v72
	v_mov_b32_e32 v75, v71
	;; [unrolled: 1-line block ×4, first 2 shown]
	buffer_load_dword v69, off, s[20:23], 0 ; 4-byte Folded Reload
	buffer_load_dword v70, off, s[20:23], 0 offset:4 ; 4-byte Folded Reload
	buffer_load_dword v71, off, s[20:23], 0 offset:8 ; 4-byte Folded Reload
	;; [unrolled: 1-line block ×3, first 2 shown]
	s_waitcnt vmcnt(0)
	ds_write2_b64 v125, v[69:70], v[71:72] offset0:56 offset1:57
	ds_write2_b64 v125, v[65:66], v[67:68] offset0:58 offset1:59
	;; [unrolled: 1-line block ×19, first 2 shown]
	ds_read2_b64 v[97:100], v127 offset1:1
	s_waitcnt lgkmcnt(0)
	v_cmp_neq_f64_e32 vcc, 0, v[97:98]
	v_cmp_neq_f64_e64 s[2:3], 0, v[99:100]
	s_or_b64 s[2:3], vcc, s[2:3]
	s_and_b64 exec, exec, s[2:3]
	s_cbranch_execz .LBB93_188
; %bb.183:
	v_cmp_ngt_f64_e64 s[2:3], |v[97:98]|, |v[99:100]|
                                        ; implicit-def: $vgpr101_vgpr102
	s_and_saveexec_b64 s[6:7], s[2:3]
	s_xor_b64 s[2:3], exec, s[6:7]
                                        ; implicit-def: $vgpr103_vgpr104
	s_cbranch_execz .LBB93_185
; %bb.184:
	v_div_scale_f64 v[101:102], s[6:7], v[99:100], v[99:100], v[97:98]
	v_rcp_f64_e32 v[103:104], v[101:102]
	v_fma_f64 v[105:106], -v[101:102], v[103:104], 1.0
	v_fma_f64 v[103:104], v[103:104], v[105:106], v[103:104]
	v_div_scale_f64 v[105:106], vcc, v[97:98], v[99:100], v[97:98]
	v_fma_f64 v[107:108], -v[101:102], v[103:104], 1.0
	v_fma_f64 v[103:104], v[103:104], v[107:108], v[103:104]
	v_mul_f64 v[107:108], v[105:106], v[103:104]
	v_fma_f64 v[101:102], -v[101:102], v[107:108], v[105:106]
	v_div_fmas_f64 v[101:102], v[101:102], v[103:104], v[107:108]
	v_div_fixup_f64 v[101:102], v[101:102], v[99:100], v[97:98]
	v_fma_f64 v[97:98], v[97:98], v[101:102], v[99:100]
	v_div_scale_f64 v[99:100], s[6:7], v[97:98], v[97:98], 1.0
	v_div_scale_f64 v[107:108], vcc, 1.0, v[97:98], 1.0
	v_rcp_f64_e32 v[103:104], v[99:100]
	v_fma_f64 v[105:106], -v[99:100], v[103:104], 1.0
	v_fma_f64 v[103:104], v[103:104], v[105:106], v[103:104]
	v_fma_f64 v[105:106], -v[99:100], v[103:104], 1.0
	v_fma_f64 v[103:104], v[103:104], v[105:106], v[103:104]
	v_mul_f64 v[105:106], v[107:108], v[103:104]
	v_fma_f64 v[99:100], -v[99:100], v[105:106], v[107:108]
	v_div_fmas_f64 v[99:100], v[99:100], v[103:104], v[105:106]
	v_div_fixup_f64 v[103:104], v[99:100], v[97:98], 1.0
                                        ; implicit-def: $vgpr97_vgpr98
	v_mul_f64 v[101:102], v[101:102], v[103:104]
	v_xor_b32_e32 v104, 0x80000000, v104
.LBB93_185:
	s_andn2_saveexec_b64 s[2:3], s[2:3]
	s_cbranch_execz .LBB93_187
; %bb.186:
	v_div_scale_f64 v[101:102], s[6:7], v[97:98], v[97:98], v[99:100]
	v_rcp_f64_e32 v[103:104], v[101:102]
	v_fma_f64 v[105:106], -v[101:102], v[103:104], 1.0
	v_fma_f64 v[103:104], v[103:104], v[105:106], v[103:104]
	v_div_scale_f64 v[105:106], vcc, v[99:100], v[97:98], v[99:100]
	v_fma_f64 v[107:108], -v[101:102], v[103:104], 1.0
	v_fma_f64 v[103:104], v[103:104], v[107:108], v[103:104]
	v_mul_f64 v[107:108], v[105:106], v[103:104]
	v_fma_f64 v[101:102], -v[101:102], v[107:108], v[105:106]
	v_div_fmas_f64 v[101:102], v[101:102], v[103:104], v[107:108]
	v_div_fixup_f64 v[103:104], v[101:102], v[97:98], v[99:100]
	v_fma_f64 v[97:98], v[99:100], v[103:104], v[97:98]
	v_div_scale_f64 v[99:100], s[6:7], v[97:98], v[97:98], 1.0
	v_div_scale_f64 v[107:108], vcc, 1.0, v[97:98], 1.0
	v_rcp_f64_e32 v[101:102], v[99:100]
	v_fma_f64 v[105:106], -v[99:100], v[101:102], 1.0
	v_fma_f64 v[101:102], v[101:102], v[105:106], v[101:102]
	v_fma_f64 v[105:106], -v[99:100], v[101:102], 1.0
	v_fma_f64 v[101:102], v[101:102], v[105:106], v[101:102]
	v_mul_f64 v[105:106], v[107:108], v[101:102]
	v_fma_f64 v[99:100], -v[99:100], v[105:106], v[107:108]
	v_div_fmas_f64 v[99:100], v[99:100], v[101:102], v[105:106]
	v_div_fixup_f64 v[101:102], v[99:100], v[97:98], 1.0
	v_mul_f64 v[103:104], v[103:104], -v[101:102]
.LBB93_187:
	s_or_b64 exec, exec, s[2:3]
	ds_write2_b64 v127, v[101:102], v[103:104] offset1:1
.LBB93_188:
	s_or_b64 exec, exec, s[4:5]
	s_waitcnt lgkmcnt(0)
	s_barrier
	ds_read2_b64 v[69:72], v127 offset1:1
	v_cmp_lt_u32_e32 vcc, 20, v0
	s_waitcnt lgkmcnt(0)
	buffer_store_dword v69, off, s[20:23], 0 offset:1072 ; 4-byte Folded Spill
	s_nop 0
	buffer_store_dword v70, off, s[20:23], 0 offset:1076 ; 4-byte Folded Spill
	buffer_store_dword v71, off, s[20:23], 0 offset:1080 ; 4-byte Folded Spill
	;; [unrolled: 1-line block ×3, first 2 shown]
	s_and_saveexec_b64 s[2:3], vcc
	s_cbranch_execz .LBB93_190
; %bb.189:
	buffer_load_dword v103, off, s[20:23], 0 offset:48 ; 4-byte Folded Reload
	buffer_load_dword v104, off, s[20:23], 0 offset:52 ; 4-byte Folded Reload
	;; [unrolled: 1-line block ×8, first 2 shown]
	s_waitcnt vmcnt(2)
	v_mul_f64 v[99:100], v[69:70], v[105:106]
	s_waitcnt vmcnt(0)
	v_mul_f64 v[97:98], v[71:72], v[105:106]
	v_fma_f64 v[105:106], v[71:72], v[103:104], v[99:100]
	ds_read2_b64 v[99:102], v125 offset0:42 offset1:43
	v_fma_f64 v[97:98], v[69:70], v[103:104], -v[97:98]
	v_mov_b32_e32 v69, v73
	v_mov_b32_e32 v70, v74
	;; [unrolled: 1-line block ×4, first 2 shown]
	s_waitcnt lgkmcnt(0)
	v_mul_f64 v[103:104], v[101:102], v[105:106]
	v_fma_f64 v[103:104], v[99:100], v[97:98], -v[103:104]
	v_mul_f64 v[99:100], v[99:100], v[105:106]
	v_add_f64 v[121:122], v[121:122], -v[103:104]
	v_fma_f64 v[99:100], v[101:102], v[97:98], v[99:100]
	v_add_f64 v[123:124], v[123:124], -v[99:100]
	ds_read2_b64 v[99:102], v125 offset0:44 offset1:45
	s_waitcnt lgkmcnt(0)
	v_mul_f64 v[103:104], v[101:102], v[105:106]
	v_fma_f64 v[103:104], v[99:100], v[97:98], -v[103:104]
	v_mul_f64 v[99:100], v[99:100], v[105:106]
	v_add_f64 v[117:118], v[117:118], -v[103:104]
	v_fma_f64 v[99:100], v[101:102], v[97:98], v[99:100]
	v_add_f64 v[119:120], v[119:120], -v[99:100]
	ds_read2_b64 v[99:102], v125 offset0:46 offset1:47
	s_waitcnt lgkmcnt(0)
	v_mul_f64 v[103:104], v[101:102], v[105:106]
	v_fma_f64 v[103:104], v[99:100], v[97:98], -v[103:104]
	v_mul_f64 v[99:100], v[99:100], v[105:106]
	v_add_f64 v[109:110], v[109:110], -v[103:104]
	v_fma_f64 v[99:100], v[101:102], v[97:98], v[99:100]
	v_add_f64 v[111:112], v[111:112], -v[99:100]
	ds_read2_b64 v[99:102], v125 offset0:48 offset1:49
	s_waitcnt lgkmcnt(0)
	v_mul_f64 v[103:104], v[101:102], v[105:106]
	v_fma_f64 v[103:104], v[99:100], v[97:98], -v[103:104]
	v_mul_f64 v[99:100], v[99:100], v[105:106]
	v_add_f64 v[113:114], v[113:114], -v[103:104]
	v_fma_f64 v[99:100], v[101:102], v[97:98], v[99:100]
	v_add_f64 v[115:116], v[115:116], -v[99:100]
	ds_read2_b64 v[99:102], v125 offset0:50 offset1:51
	s_waitcnt lgkmcnt(0)
	v_mul_f64 v[103:104], v[101:102], v[105:106]
	v_fma_f64 v[103:104], v[99:100], v[97:98], -v[103:104]
	v_mul_f64 v[99:100], v[99:100], v[105:106]
	v_add_f64 v[93:94], v[93:94], -v[103:104]
	v_fma_f64 v[99:100], v[101:102], v[97:98], v[99:100]
	v_add_f64 v[95:96], v[95:96], -v[99:100]
	ds_read2_b64 v[99:102], v125 offset0:52 offset1:53
	buffer_load_dword v77, off, s[20:23], 0 offset:32 ; 4-byte Folded Reload
	buffer_load_dword v78, off, s[20:23], 0 offset:36 ; 4-byte Folded Reload
	;; [unrolled: 1-line block ×4, first 2 shown]
	s_waitcnt lgkmcnt(0)
	v_mul_f64 v[103:104], v[101:102], v[105:106]
	v_fma_f64 v[103:104], v[99:100], v[97:98], -v[103:104]
	v_mul_f64 v[99:100], v[99:100], v[105:106]
	v_fma_f64 v[99:100], v[101:102], v[97:98], v[99:100]
	s_waitcnt vmcnt(2)
	v_add_f64 v[77:78], v[77:78], -v[103:104]
	s_waitcnt vmcnt(0)
	v_add_f64 v[79:80], v[79:80], -v[99:100]
	buffer_store_dword v77, off, s[20:23], 0 offset:32 ; 4-byte Folded Spill
	s_nop 0
	buffer_store_dword v78, off, s[20:23], 0 offset:36 ; 4-byte Folded Spill
	buffer_store_dword v79, off, s[20:23], 0 offset:40 ; 4-byte Folded Spill
	;; [unrolled: 1-line block ×3, first 2 shown]
	ds_read2_b64 v[99:102], v125 offset0:54 offset1:55
	buffer_load_dword v73, off, s[20:23], 0 offset:16 ; 4-byte Folded Reload
	buffer_load_dword v74, off, s[20:23], 0 offset:20 ; 4-byte Folded Reload
	;; [unrolled: 1-line block ×4, first 2 shown]
	s_waitcnt lgkmcnt(0)
	v_mul_f64 v[103:104], v[101:102], v[105:106]
	v_fma_f64 v[103:104], v[99:100], v[97:98], -v[103:104]
	v_mul_f64 v[99:100], v[99:100], v[105:106]
	v_fma_f64 v[99:100], v[101:102], v[97:98], v[99:100]
	s_waitcnt vmcnt(2)
	v_add_f64 v[73:74], v[73:74], -v[103:104]
	s_waitcnt vmcnt(0)
	v_add_f64 v[75:76], v[75:76], -v[99:100]
	buffer_store_dword v73, off, s[20:23], 0 offset:16 ; 4-byte Folded Spill
	s_nop 0
	buffer_store_dword v74, off, s[20:23], 0 offset:20 ; 4-byte Folded Spill
	buffer_store_dword v75, off, s[20:23], 0 offset:24 ; 4-byte Folded Spill
	;; [unrolled: 1-line block ×3, first 2 shown]
	v_mov_b32_e32 v76, v72
	v_mov_b32_e32 v75, v71
	;; [unrolled: 1-line block ×4, first 2 shown]
	ds_read2_b64 v[99:102], v125 offset0:56 offset1:57
	buffer_load_dword v69, off, s[20:23], 0 ; 4-byte Folded Reload
	buffer_load_dword v70, off, s[20:23], 0 offset:4 ; 4-byte Folded Reload
	buffer_load_dword v71, off, s[20:23], 0 offset:8 ; 4-byte Folded Reload
	;; [unrolled: 1-line block ×3, first 2 shown]
	s_waitcnt lgkmcnt(0)
	v_mul_f64 v[103:104], v[101:102], v[105:106]
	v_fma_f64 v[103:104], v[99:100], v[97:98], -v[103:104]
	v_mul_f64 v[99:100], v[99:100], v[105:106]
	v_fma_f64 v[99:100], v[101:102], v[97:98], v[99:100]
	s_waitcnt vmcnt(2)
	v_add_f64 v[69:70], v[69:70], -v[103:104]
	s_waitcnt vmcnt(0)
	v_add_f64 v[71:72], v[71:72], -v[99:100]
	buffer_store_dword v69, off, s[20:23], 0 ; 4-byte Folded Spill
	s_nop 0
	buffer_store_dword v70, off, s[20:23], 0 offset:4 ; 4-byte Folded Spill
	buffer_store_dword v71, off, s[20:23], 0 offset:8 ; 4-byte Folded Spill
	;; [unrolled: 1-line block ×3, first 2 shown]
	ds_read2_b64 v[99:102], v125 offset0:58 offset1:59
	s_waitcnt lgkmcnt(0)
	v_mul_f64 v[103:104], v[101:102], v[105:106]
	v_fma_f64 v[103:104], v[99:100], v[97:98], -v[103:104]
	v_mul_f64 v[99:100], v[99:100], v[105:106]
	v_add_f64 v[65:66], v[65:66], -v[103:104]
	v_fma_f64 v[99:100], v[101:102], v[97:98], v[99:100]
	v_add_f64 v[67:68], v[67:68], -v[99:100]
	ds_read2_b64 v[99:102], v125 offset0:60 offset1:61
	s_waitcnt lgkmcnt(0)
	v_mul_f64 v[103:104], v[101:102], v[105:106]
	v_fma_f64 v[103:104], v[99:100], v[97:98], -v[103:104]
	v_mul_f64 v[99:100], v[99:100], v[105:106]
	v_add_f64 v[61:62], v[61:62], -v[103:104]
	v_fma_f64 v[99:100], v[101:102], v[97:98], v[99:100]
	v_add_f64 v[63:64], v[63:64], -v[99:100]
	;; [unrolled: 8-line block ×17, first 2 shown]
	ds_read2_b64 v[99:102], v125 offset0:92 offset1:93
	s_waitcnt lgkmcnt(0)
	v_mul_f64 v[103:104], v[101:102], v[105:106]
	v_fma_f64 v[103:104], v[99:100], v[97:98], -v[103:104]
	v_mul_f64 v[99:100], v[99:100], v[105:106]
	v_add_f64 v[73:74], v[73:74], -v[103:104]
	v_fma_f64 v[99:100], v[101:102], v[97:98], v[99:100]
	v_mov_b32_e32 v104, v98
	v_mov_b32_e32 v103, v97
	buffer_store_dword v103, off, s[20:23], 0 offset:48 ; 4-byte Folded Spill
	s_nop 0
	buffer_store_dword v104, off, s[20:23], 0 offset:52 ; 4-byte Folded Spill
	buffer_store_dword v105, off, s[20:23], 0 offset:56 ; 4-byte Folded Spill
	;; [unrolled: 1-line block ×3, first 2 shown]
	v_add_f64 v[75:76], v[75:76], -v[99:100]
.LBB93_190:
	s_or_b64 exec, exec, s[2:3]
	v_cmp_eq_u32_e32 vcc, 21, v0
	s_waitcnt vmcnt(0)
	s_barrier
	s_and_saveexec_b64 s[4:5], vcc
	s_cbranch_execz .LBB93_197
; %bb.191:
	ds_write2_b64 v127, v[121:122], v[123:124] offset1:1
	ds_write2_b64 v125, v[117:118], v[119:120] offset0:44 offset1:45
	ds_write2_b64 v125, v[109:110], v[111:112] offset0:46 offset1:47
	;; [unrolled: 1-line block ×4, first 2 shown]
	buffer_load_dword v77, off, s[20:23], 0 offset:32 ; 4-byte Folded Reload
	buffer_load_dword v78, off, s[20:23], 0 offset:36 ; 4-byte Folded Reload
	;; [unrolled: 1-line block ×4, first 2 shown]
	v_mov_b32_e32 v69, v73
	v_mov_b32_e32 v70, v74
	;; [unrolled: 1-line block ×4, first 2 shown]
	s_waitcnt vmcnt(0)
	ds_write2_b64 v125, v[77:78], v[79:80] offset0:52 offset1:53
	buffer_load_dword v73, off, s[20:23], 0 offset:16 ; 4-byte Folded Reload
	buffer_load_dword v74, off, s[20:23], 0 offset:20 ; 4-byte Folded Reload
	;; [unrolled: 1-line block ×4, first 2 shown]
	s_waitcnt vmcnt(0)
	ds_write2_b64 v125, v[73:74], v[75:76] offset0:54 offset1:55
	v_mov_b32_e32 v76, v72
	v_mov_b32_e32 v75, v71
	;; [unrolled: 1-line block ×4, first 2 shown]
	buffer_load_dword v69, off, s[20:23], 0 ; 4-byte Folded Reload
	buffer_load_dword v70, off, s[20:23], 0 offset:4 ; 4-byte Folded Reload
	buffer_load_dword v71, off, s[20:23], 0 offset:8 ; 4-byte Folded Reload
	;; [unrolled: 1-line block ×3, first 2 shown]
	s_waitcnt vmcnt(0)
	ds_write2_b64 v125, v[69:70], v[71:72] offset0:56 offset1:57
	ds_write2_b64 v125, v[65:66], v[67:68] offset0:58 offset1:59
	;; [unrolled: 1-line block ×19, first 2 shown]
	ds_read2_b64 v[97:100], v127 offset1:1
	s_waitcnt lgkmcnt(0)
	v_cmp_neq_f64_e32 vcc, 0, v[97:98]
	v_cmp_neq_f64_e64 s[2:3], 0, v[99:100]
	s_or_b64 s[2:3], vcc, s[2:3]
	s_and_b64 exec, exec, s[2:3]
	s_cbranch_execz .LBB93_197
; %bb.192:
	v_cmp_ngt_f64_e64 s[2:3], |v[97:98]|, |v[99:100]|
                                        ; implicit-def: $vgpr101_vgpr102
	s_and_saveexec_b64 s[6:7], s[2:3]
	s_xor_b64 s[2:3], exec, s[6:7]
                                        ; implicit-def: $vgpr103_vgpr104
	s_cbranch_execz .LBB93_194
; %bb.193:
	v_div_scale_f64 v[101:102], s[6:7], v[99:100], v[99:100], v[97:98]
	v_rcp_f64_e32 v[103:104], v[101:102]
	v_fma_f64 v[105:106], -v[101:102], v[103:104], 1.0
	v_fma_f64 v[103:104], v[103:104], v[105:106], v[103:104]
	v_div_scale_f64 v[105:106], vcc, v[97:98], v[99:100], v[97:98]
	v_fma_f64 v[107:108], -v[101:102], v[103:104], 1.0
	v_fma_f64 v[103:104], v[103:104], v[107:108], v[103:104]
	v_mul_f64 v[107:108], v[105:106], v[103:104]
	v_fma_f64 v[101:102], -v[101:102], v[107:108], v[105:106]
	v_div_fmas_f64 v[101:102], v[101:102], v[103:104], v[107:108]
	v_div_fixup_f64 v[101:102], v[101:102], v[99:100], v[97:98]
	v_fma_f64 v[97:98], v[97:98], v[101:102], v[99:100]
	v_div_scale_f64 v[99:100], s[6:7], v[97:98], v[97:98], 1.0
	v_div_scale_f64 v[107:108], vcc, 1.0, v[97:98], 1.0
	v_rcp_f64_e32 v[103:104], v[99:100]
	v_fma_f64 v[105:106], -v[99:100], v[103:104], 1.0
	v_fma_f64 v[103:104], v[103:104], v[105:106], v[103:104]
	v_fma_f64 v[105:106], -v[99:100], v[103:104], 1.0
	v_fma_f64 v[103:104], v[103:104], v[105:106], v[103:104]
	v_mul_f64 v[105:106], v[107:108], v[103:104]
	v_fma_f64 v[99:100], -v[99:100], v[105:106], v[107:108]
	v_div_fmas_f64 v[99:100], v[99:100], v[103:104], v[105:106]
	v_div_fixup_f64 v[103:104], v[99:100], v[97:98], 1.0
                                        ; implicit-def: $vgpr97_vgpr98
	v_mul_f64 v[101:102], v[101:102], v[103:104]
	v_xor_b32_e32 v104, 0x80000000, v104
.LBB93_194:
	s_andn2_saveexec_b64 s[2:3], s[2:3]
	s_cbranch_execz .LBB93_196
; %bb.195:
	v_div_scale_f64 v[101:102], s[6:7], v[97:98], v[97:98], v[99:100]
	v_rcp_f64_e32 v[103:104], v[101:102]
	v_fma_f64 v[105:106], -v[101:102], v[103:104], 1.0
	v_fma_f64 v[103:104], v[103:104], v[105:106], v[103:104]
	v_div_scale_f64 v[105:106], vcc, v[99:100], v[97:98], v[99:100]
	v_fma_f64 v[107:108], -v[101:102], v[103:104], 1.0
	v_fma_f64 v[103:104], v[103:104], v[107:108], v[103:104]
	v_mul_f64 v[107:108], v[105:106], v[103:104]
	v_fma_f64 v[101:102], -v[101:102], v[107:108], v[105:106]
	v_div_fmas_f64 v[101:102], v[101:102], v[103:104], v[107:108]
	v_div_fixup_f64 v[103:104], v[101:102], v[97:98], v[99:100]
	v_fma_f64 v[97:98], v[99:100], v[103:104], v[97:98]
	v_div_scale_f64 v[99:100], s[6:7], v[97:98], v[97:98], 1.0
	v_div_scale_f64 v[107:108], vcc, 1.0, v[97:98], 1.0
	v_rcp_f64_e32 v[101:102], v[99:100]
	v_fma_f64 v[105:106], -v[99:100], v[101:102], 1.0
	v_fma_f64 v[101:102], v[101:102], v[105:106], v[101:102]
	v_fma_f64 v[105:106], -v[99:100], v[101:102], 1.0
	v_fma_f64 v[101:102], v[101:102], v[105:106], v[101:102]
	v_mul_f64 v[105:106], v[107:108], v[101:102]
	v_fma_f64 v[99:100], -v[99:100], v[105:106], v[107:108]
	v_div_fmas_f64 v[99:100], v[99:100], v[101:102], v[105:106]
	v_div_fixup_f64 v[101:102], v[99:100], v[97:98], 1.0
	v_mul_f64 v[103:104], v[103:104], -v[101:102]
.LBB93_196:
	s_or_b64 exec, exec, s[2:3]
	ds_write2_b64 v127, v[101:102], v[103:104] offset1:1
.LBB93_197:
	s_or_b64 exec, exec, s[4:5]
	s_waitcnt lgkmcnt(0)
	s_barrier
	ds_read2_b64 v[69:72], v127 offset1:1
	v_cmp_lt_u32_e32 vcc, 21, v0
	s_waitcnt lgkmcnt(0)
	buffer_store_dword v69, off, s[20:23], 0 offset:1088 ; 4-byte Folded Spill
	s_nop 0
	buffer_store_dword v70, off, s[20:23], 0 offset:1092 ; 4-byte Folded Spill
	buffer_store_dword v71, off, s[20:23], 0 offset:1096 ; 4-byte Folded Spill
	;; [unrolled: 1-line block ×3, first 2 shown]
	s_and_saveexec_b64 s[2:3], vcc
	s_cbranch_execz .LBB93_199
; %bb.198:
	buffer_load_dword v69, off, s[20:23], 0 offset:1088 ; 4-byte Folded Reload
	buffer_load_dword v70, off, s[20:23], 0 offset:1092 ; 4-byte Folded Reload
	;; [unrolled: 1-line block ×4, first 2 shown]
	s_waitcnt vmcnt(2)
	v_mul_f64 v[99:100], v[69:70], v[123:124]
	s_waitcnt vmcnt(0)
	v_mul_f64 v[97:98], v[71:72], v[123:124]
	v_fma_f64 v[123:124], v[71:72], v[121:122], v[99:100]
	ds_read2_b64 v[99:102], v125 offset0:44 offset1:45
	v_fma_f64 v[97:98], v[69:70], v[121:122], -v[97:98]
	v_mov_b32_e32 v69, v73
	v_mov_b32_e32 v70, v74
	;; [unrolled: 1-line block ×4, first 2 shown]
	s_waitcnt lgkmcnt(0)
	v_mul_f64 v[103:104], v[101:102], v[123:124]
	v_mov_b32_e32 v122, v98
	v_mov_b32_e32 v121, v97
	v_fma_f64 v[103:104], v[99:100], v[97:98], -v[103:104]
	v_mul_f64 v[99:100], v[99:100], v[123:124]
	v_add_f64 v[117:118], v[117:118], -v[103:104]
	v_fma_f64 v[99:100], v[101:102], v[97:98], v[99:100]
	v_add_f64 v[119:120], v[119:120], -v[99:100]
	ds_read2_b64 v[99:102], v125 offset0:46 offset1:47
	s_waitcnt lgkmcnt(0)
	v_mul_f64 v[103:104], v[101:102], v[123:124]
	v_fma_f64 v[103:104], v[99:100], v[97:98], -v[103:104]
	v_mul_f64 v[99:100], v[99:100], v[123:124]
	v_add_f64 v[109:110], v[109:110], -v[103:104]
	v_fma_f64 v[99:100], v[101:102], v[97:98], v[99:100]
	v_add_f64 v[111:112], v[111:112], -v[99:100]
	ds_read2_b64 v[99:102], v125 offset0:48 offset1:49
	s_waitcnt lgkmcnt(0)
	v_mul_f64 v[103:104], v[101:102], v[123:124]
	;; [unrolled: 8-line block ×3, first 2 shown]
	v_fma_f64 v[103:104], v[99:100], v[97:98], -v[103:104]
	v_mul_f64 v[99:100], v[99:100], v[123:124]
	v_add_f64 v[93:94], v[93:94], -v[103:104]
	v_fma_f64 v[99:100], v[101:102], v[97:98], v[99:100]
	v_add_f64 v[95:96], v[95:96], -v[99:100]
	ds_read2_b64 v[99:102], v125 offset0:52 offset1:53
	buffer_load_dword v77, off, s[20:23], 0 offset:32 ; 4-byte Folded Reload
	buffer_load_dword v78, off, s[20:23], 0 offset:36 ; 4-byte Folded Reload
	;; [unrolled: 1-line block ×4, first 2 shown]
	s_waitcnt lgkmcnt(0)
	v_mul_f64 v[103:104], v[101:102], v[123:124]
	v_fma_f64 v[103:104], v[99:100], v[97:98], -v[103:104]
	v_mul_f64 v[99:100], v[99:100], v[123:124]
	v_fma_f64 v[99:100], v[101:102], v[97:98], v[99:100]
	s_waitcnt vmcnt(2)
	v_add_f64 v[77:78], v[77:78], -v[103:104]
	s_waitcnt vmcnt(0)
	v_add_f64 v[79:80], v[79:80], -v[99:100]
	buffer_store_dword v77, off, s[20:23], 0 offset:32 ; 4-byte Folded Spill
	s_nop 0
	buffer_store_dword v78, off, s[20:23], 0 offset:36 ; 4-byte Folded Spill
	buffer_store_dword v79, off, s[20:23], 0 offset:40 ; 4-byte Folded Spill
	;; [unrolled: 1-line block ×3, first 2 shown]
	ds_read2_b64 v[99:102], v125 offset0:54 offset1:55
	buffer_load_dword v73, off, s[20:23], 0 offset:16 ; 4-byte Folded Reload
	buffer_load_dword v74, off, s[20:23], 0 offset:20 ; 4-byte Folded Reload
	;; [unrolled: 1-line block ×4, first 2 shown]
	s_waitcnt lgkmcnt(0)
	v_mul_f64 v[103:104], v[101:102], v[123:124]
	v_fma_f64 v[103:104], v[99:100], v[97:98], -v[103:104]
	v_mul_f64 v[99:100], v[99:100], v[123:124]
	v_fma_f64 v[99:100], v[101:102], v[97:98], v[99:100]
	s_waitcnt vmcnt(2)
	v_add_f64 v[73:74], v[73:74], -v[103:104]
	s_waitcnt vmcnt(0)
	v_add_f64 v[75:76], v[75:76], -v[99:100]
	buffer_store_dword v73, off, s[20:23], 0 offset:16 ; 4-byte Folded Spill
	s_nop 0
	buffer_store_dword v74, off, s[20:23], 0 offset:20 ; 4-byte Folded Spill
	buffer_store_dword v75, off, s[20:23], 0 offset:24 ; 4-byte Folded Spill
	;; [unrolled: 1-line block ×3, first 2 shown]
	v_mov_b32_e32 v76, v72
	v_mov_b32_e32 v75, v71
	;; [unrolled: 1-line block ×4, first 2 shown]
	ds_read2_b64 v[99:102], v125 offset0:56 offset1:57
	buffer_load_dword v69, off, s[20:23], 0 ; 4-byte Folded Reload
	buffer_load_dword v70, off, s[20:23], 0 offset:4 ; 4-byte Folded Reload
	buffer_load_dword v71, off, s[20:23], 0 offset:8 ; 4-byte Folded Reload
	buffer_load_dword v72, off, s[20:23], 0 offset:12 ; 4-byte Folded Reload
	s_waitcnt lgkmcnt(0)
	v_mul_f64 v[103:104], v[101:102], v[123:124]
	v_fma_f64 v[103:104], v[99:100], v[97:98], -v[103:104]
	v_mul_f64 v[99:100], v[99:100], v[123:124]
	v_fma_f64 v[99:100], v[101:102], v[97:98], v[99:100]
	s_waitcnt vmcnt(2)
	v_add_f64 v[69:70], v[69:70], -v[103:104]
	s_waitcnt vmcnt(0)
	v_add_f64 v[71:72], v[71:72], -v[99:100]
	buffer_store_dword v69, off, s[20:23], 0 ; 4-byte Folded Spill
	s_nop 0
	buffer_store_dword v70, off, s[20:23], 0 offset:4 ; 4-byte Folded Spill
	buffer_store_dword v71, off, s[20:23], 0 offset:8 ; 4-byte Folded Spill
	;; [unrolled: 1-line block ×3, first 2 shown]
	ds_read2_b64 v[99:102], v125 offset0:58 offset1:59
	s_waitcnt lgkmcnt(0)
	v_mul_f64 v[103:104], v[101:102], v[123:124]
	v_fma_f64 v[103:104], v[99:100], v[97:98], -v[103:104]
	v_mul_f64 v[99:100], v[99:100], v[123:124]
	v_add_f64 v[65:66], v[65:66], -v[103:104]
	v_fma_f64 v[99:100], v[101:102], v[97:98], v[99:100]
	v_add_f64 v[67:68], v[67:68], -v[99:100]
	ds_read2_b64 v[99:102], v125 offset0:60 offset1:61
	s_waitcnt lgkmcnt(0)
	v_mul_f64 v[103:104], v[101:102], v[123:124]
	v_fma_f64 v[103:104], v[99:100], v[97:98], -v[103:104]
	v_mul_f64 v[99:100], v[99:100], v[123:124]
	v_add_f64 v[61:62], v[61:62], -v[103:104]
	v_fma_f64 v[99:100], v[101:102], v[97:98], v[99:100]
	v_add_f64 v[63:64], v[63:64], -v[99:100]
	;; [unrolled: 8-line block ×18, first 2 shown]
.LBB93_199:
	s_or_b64 exec, exec, s[2:3]
	v_cmp_eq_u32_e32 vcc, 22, v0
	s_waitcnt vmcnt(0)
	s_barrier
	s_and_saveexec_b64 s[4:5], vcc
	s_cbranch_execz .LBB93_206
; %bb.200:
	ds_write2_b64 v127, v[117:118], v[119:120] offset1:1
	ds_write2_b64 v125, v[109:110], v[111:112] offset0:46 offset1:47
	ds_write2_b64 v125, v[113:114], v[115:116] offset0:48 offset1:49
	;; [unrolled: 1-line block ×3, first 2 shown]
	buffer_load_dword v77, off, s[20:23], 0 offset:32 ; 4-byte Folded Reload
	buffer_load_dword v78, off, s[20:23], 0 offset:36 ; 4-byte Folded Reload
	;; [unrolled: 1-line block ×4, first 2 shown]
	v_mov_b32_e32 v69, v73
	v_mov_b32_e32 v70, v74
	;; [unrolled: 1-line block ×4, first 2 shown]
	s_waitcnt vmcnt(0)
	ds_write2_b64 v125, v[77:78], v[79:80] offset0:52 offset1:53
	buffer_load_dword v73, off, s[20:23], 0 offset:16 ; 4-byte Folded Reload
	buffer_load_dword v74, off, s[20:23], 0 offset:20 ; 4-byte Folded Reload
	;; [unrolled: 1-line block ×4, first 2 shown]
	s_waitcnt vmcnt(0)
	ds_write2_b64 v125, v[73:74], v[75:76] offset0:54 offset1:55
	v_mov_b32_e32 v76, v72
	v_mov_b32_e32 v75, v71
	;; [unrolled: 1-line block ×4, first 2 shown]
	buffer_load_dword v69, off, s[20:23], 0 ; 4-byte Folded Reload
	buffer_load_dword v70, off, s[20:23], 0 offset:4 ; 4-byte Folded Reload
	buffer_load_dword v71, off, s[20:23], 0 offset:8 ; 4-byte Folded Reload
	;; [unrolled: 1-line block ×3, first 2 shown]
	s_waitcnt vmcnt(0)
	ds_write2_b64 v125, v[69:70], v[71:72] offset0:56 offset1:57
	ds_write2_b64 v125, v[65:66], v[67:68] offset0:58 offset1:59
	ds_write2_b64 v125, v[61:62], v[63:64] offset0:60 offset1:61
	ds_write2_b64 v125, v[57:58], v[59:60] offset0:62 offset1:63
	ds_write2_b64 v125, v[53:54], v[55:56] offset0:64 offset1:65
	ds_write2_b64 v125, v[49:50], v[51:52] offset0:66 offset1:67
	ds_write2_b64 v125, v[45:46], v[47:48] offset0:68 offset1:69
	ds_write2_b64 v125, v[41:42], v[43:44] offset0:70 offset1:71
	ds_write2_b64 v125, v[37:38], v[39:40] offset0:72 offset1:73
	ds_write2_b64 v125, v[33:34], v[35:36] offset0:74 offset1:75
	ds_write2_b64 v125, v[29:30], v[31:32] offset0:76 offset1:77
	ds_write2_b64 v125, v[25:26], v[27:28] offset0:78 offset1:79
	ds_write2_b64 v125, v[21:22], v[23:24] offset0:80 offset1:81
	ds_write2_b64 v125, v[17:18], v[19:20] offset0:82 offset1:83
	ds_write2_b64 v125, v[13:14], v[15:16] offset0:84 offset1:85
	ds_write2_b64 v125, v[9:10], v[11:12] offset0:86 offset1:87
	ds_write2_b64 v125, v[5:6], v[7:8] offset0:88 offset1:89
	ds_write2_b64 v125, v[1:2], v[3:4] offset0:90 offset1:91
	ds_write2_b64 v125, v[73:74], v[75:76] offset0:92 offset1:93
	ds_read2_b64 v[97:100], v127 offset1:1
	s_waitcnt lgkmcnt(0)
	v_cmp_neq_f64_e32 vcc, 0, v[97:98]
	v_cmp_neq_f64_e64 s[2:3], 0, v[99:100]
	s_or_b64 s[2:3], vcc, s[2:3]
	s_and_b64 exec, exec, s[2:3]
	s_cbranch_execz .LBB93_206
; %bb.201:
	v_cmp_ngt_f64_e64 s[2:3], |v[97:98]|, |v[99:100]|
                                        ; implicit-def: $vgpr101_vgpr102
	s_and_saveexec_b64 s[6:7], s[2:3]
	s_xor_b64 s[2:3], exec, s[6:7]
                                        ; implicit-def: $vgpr103_vgpr104
	s_cbranch_execz .LBB93_203
; %bb.202:
	v_div_scale_f64 v[101:102], s[6:7], v[99:100], v[99:100], v[97:98]
	v_rcp_f64_e32 v[103:104], v[101:102]
	v_fma_f64 v[105:106], -v[101:102], v[103:104], 1.0
	v_fma_f64 v[103:104], v[103:104], v[105:106], v[103:104]
	v_div_scale_f64 v[105:106], vcc, v[97:98], v[99:100], v[97:98]
	v_fma_f64 v[107:108], -v[101:102], v[103:104], 1.0
	v_fma_f64 v[103:104], v[103:104], v[107:108], v[103:104]
	v_mul_f64 v[107:108], v[105:106], v[103:104]
	v_fma_f64 v[101:102], -v[101:102], v[107:108], v[105:106]
	v_div_fmas_f64 v[101:102], v[101:102], v[103:104], v[107:108]
	v_div_fixup_f64 v[101:102], v[101:102], v[99:100], v[97:98]
	v_fma_f64 v[97:98], v[97:98], v[101:102], v[99:100]
	v_div_scale_f64 v[99:100], s[6:7], v[97:98], v[97:98], 1.0
	v_div_scale_f64 v[107:108], vcc, 1.0, v[97:98], 1.0
	v_rcp_f64_e32 v[103:104], v[99:100]
	v_fma_f64 v[105:106], -v[99:100], v[103:104], 1.0
	v_fma_f64 v[103:104], v[103:104], v[105:106], v[103:104]
	v_fma_f64 v[105:106], -v[99:100], v[103:104], 1.0
	v_fma_f64 v[103:104], v[103:104], v[105:106], v[103:104]
	v_mul_f64 v[105:106], v[107:108], v[103:104]
	v_fma_f64 v[99:100], -v[99:100], v[105:106], v[107:108]
	v_div_fmas_f64 v[99:100], v[99:100], v[103:104], v[105:106]
	v_div_fixup_f64 v[103:104], v[99:100], v[97:98], 1.0
                                        ; implicit-def: $vgpr97_vgpr98
	v_mul_f64 v[101:102], v[101:102], v[103:104]
	v_xor_b32_e32 v104, 0x80000000, v104
.LBB93_203:
	s_andn2_saveexec_b64 s[2:3], s[2:3]
	s_cbranch_execz .LBB93_205
; %bb.204:
	v_div_scale_f64 v[101:102], s[6:7], v[97:98], v[97:98], v[99:100]
	v_rcp_f64_e32 v[103:104], v[101:102]
	v_fma_f64 v[105:106], -v[101:102], v[103:104], 1.0
	v_fma_f64 v[103:104], v[103:104], v[105:106], v[103:104]
	v_div_scale_f64 v[105:106], vcc, v[99:100], v[97:98], v[99:100]
	v_fma_f64 v[107:108], -v[101:102], v[103:104], 1.0
	v_fma_f64 v[103:104], v[103:104], v[107:108], v[103:104]
	v_mul_f64 v[107:108], v[105:106], v[103:104]
	v_fma_f64 v[101:102], -v[101:102], v[107:108], v[105:106]
	v_div_fmas_f64 v[101:102], v[101:102], v[103:104], v[107:108]
	v_div_fixup_f64 v[103:104], v[101:102], v[97:98], v[99:100]
	v_fma_f64 v[97:98], v[99:100], v[103:104], v[97:98]
	v_div_scale_f64 v[99:100], s[6:7], v[97:98], v[97:98], 1.0
	v_div_scale_f64 v[107:108], vcc, 1.0, v[97:98], 1.0
	v_rcp_f64_e32 v[101:102], v[99:100]
	v_fma_f64 v[105:106], -v[99:100], v[101:102], 1.0
	v_fma_f64 v[101:102], v[101:102], v[105:106], v[101:102]
	v_fma_f64 v[105:106], -v[99:100], v[101:102], 1.0
	v_fma_f64 v[101:102], v[101:102], v[105:106], v[101:102]
	v_mul_f64 v[105:106], v[107:108], v[101:102]
	v_fma_f64 v[99:100], -v[99:100], v[105:106], v[107:108]
	v_div_fmas_f64 v[99:100], v[99:100], v[101:102], v[105:106]
	v_div_fixup_f64 v[101:102], v[99:100], v[97:98], 1.0
	v_mul_f64 v[103:104], v[103:104], -v[101:102]
.LBB93_205:
	s_or_b64 exec, exec, s[2:3]
	ds_write2_b64 v127, v[101:102], v[103:104] offset1:1
.LBB93_206:
	s_or_b64 exec, exec, s[4:5]
	s_waitcnt lgkmcnt(0)
	s_barrier
	ds_read2_b64 v[69:72], v127 offset1:1
	v_cmp_lt_u32_e32 vcc, 22, v0
	s_waitcnt lgkmcnt(0)
	buffer_store_dword v69, off, s[20:23], 0 offset:1104 ; 4-byte Folded Spill
	s_nop 0
	buffer_store_dword v70, off, s[20:23], 0 offset:1108 ; 4-byte Folded Spill
	buffer_store_dword v71, off, s[20:23], 0 offset:1112 ; 4-byte Folded Spill
	;; [unrolled: 1-line block ×3, first 2 shown]
	s_and_saveexec_b64 s[2:3], vcc
	s_cbranch_execz .LBB93_208
; %bb.207:
	buffer_load_dword v69, off, s[20:23], 0 offset:1104 ; 4-byte Folded Reload
	buffer_load_dword v70, off, s[20:23], 0 offset:1108 ; 4-byte Folded Reload
	;; [unrolled: 1-line block ×4, first 2 shown]
	v_mov_b32_e32 v106, v96
	v_mov_b32_e32 v105, v95
	;; [unrolled: 1-line block ×4, first 2 shown]
	ds_read2_b64 v[99:102], v125 offset0:46 offset1:47
	s_waitcnt vmcnt(2)
	v_mul_f64 v[95:96], v[69:70], v[119:120]
	s_waitcnt vmcnt(0)
	v_mul_f64 v[97:98], v[71:72], v[119:120]
	v_fma_f64 v[119:120], v[71:72], v[117:118], v[95:96]
	v_fma_f64 v[97:98], v[69:70], v[117:118], -v[97:98]
	v_mov_b32_e32 v69, v73
	v_mov_b32_e32 v70, v74
	;; [unrolled: 1-line block ×4, first 2 shown]
	s_waitcnt lgkmcnt(0)
	v_mul_f64 v[93:94], v[101:102], v[119:120]
	v_mov_b32_e32 v118, v98
	v_mov_b32_e32 v117, v97
	v_fma_f64 v[93:94], v[99:100], v[97:98], -v[93:94]
	v_mul_f64 v[99:100], v[99:100], v[119:120]
	v_add_f64 v[109:110], v[109:110], -v[93:94]
	v_fma_f64 v[99:100], v[101:102], v[97:98], v[99:100]
	v_add_f64 v[111:112], v[111:112], -v[99:100]
	ds_read2_b64 v[99:102], v125 offset0:48 offset1:49
	s_waitcnt lgkmcnt(0)
	v_mul_f64 v[93:94], v[101:102], v[119:120]
	v_fma_f64 v[93:94], v[99:100], v[97:98], -v[93:94]
	v_mul_f64 v[99:100], v[99:100], v[119:120]
	v_add_f64 v[113:114], v[113:114], -v[93:94]
	v_fma_f64 v[99:100], v[101:102], v[97:98], v[99:100]
	v_add_f64 v[115:116], v[115:116], -v[99:100]
	ds_read2_b64 v[99:102], v125 offset0:50 offset1:51
	s_waitcnt lgkmcnt(0)
	v_mul_f64 v[93:94], v[101:102], v[119:120]
	v_fma_f64 v[93:94], v[99:100], v[97:98], -v[93:94]
	v_mul_f64 v[99:100], v[99:100], v[119:120]
	v_add_f64 v[103:104], v[103:104], -v[93:94]
	v_fma_f64 v[99:100], v[101:102], v[97:98], v[99:100]
	v_add_f64 v[105:106], v[105:106], -v[99:100]
	ds_read2_b64 v[99:102], v125 offset0:52 offset1:53
	buffer_load_dword v77, off, s[20:23], 0 offset:32 ; 4-byte Folded Reload
	buffer_load_dword v78, off, s[20:23], 0 offset:36 ; 4-byte Folded Reload
	;; [unrolled: 1-line block ×4, first 2 shown]
	s_waitcnt lgkmcnt(0)
	v_mul_f64 v[93:94], v[101:102], v[119:120]
	v_fma_f64 v[93:94], v[99:100], v[97:98], -v[93:94]
	v_mul_f64 v[99:100], v[99:100], v[119:120]
	v_fma_f64 v[99:100], v[101:102], v[97:98], v[99:100]
	s_waitcnt vmcnt(2)
	v_add_f64 v[77:78], v[77:78], -v[93:94]
	s_waitcnt vmcnt(0)
	v_add_f64 v[79:80], v[79:80], -v[99:100]
	buffer_store_dword v77, off, s[20:23], 0 offset:32 ; 4-byte Folded Spill
	s_nop 0
	buffer_store_dword v78, off, s[20:23], 0 offset:36 ; 4-byte Folded Spill
	buffer_store_dword v79, off, s[20:23], 0 offset:40 ; 4-byte Folded Spill
	;; [unrolled: 1-line block ×3, first 2 shown]
	ds_read2_b64 v[99:102], v125 offset0:54 offset1:55
	buffer_load_dword v73, off, s[20:23], 0 offset:16 ; 4-byte Folded Reload
	buffer_load_dword v74, off, s[20:23], 0 offset:20 ; 4-byte Folded Reload
	;; [unrolled: 1-line block ×4, first 2 shown]
	s_waitcnt lgkmcnt(0)
	v_mul_f64 v[93:94], v[101:102], v[119:120]
	v_fma_f64 v[93:94], v[99:100], v[97:98], -v[93:94]
	v_mul_f64 v[99:100], v[99:100], v[119:120]
	v_fma_f64 v[99:100], v[101:102], v[97:98], v[99:100]
	s_waitcnt vmcnt(2)
	v_add_f64 v[73:74], v[73:74], -v[93:94]
	s_waitcnt vmcnt(0)
	v_add_f64 v[75:76], v[75:76], -v[99:100]
	buffer_store_dword v73, off, s[20:23], 0 offset:16 ; 4-byte Folded Spill
	s_nop 0
	buffer_store_dword v74, off, s[20:23], 0 offset:20 ; 4-byte Folded Spill
	buffer_store_dword v75, off, s[20:23], 0 offset:24 ; 4-byte Folded Spill
	;; [unrolled: 1-line block ×3, first 2 shown]
	v_mov_b32_e32 v76, v72
	v_mov_b32_e32 v75, v71
	;; [unrolled: 1-line block ×4, first 2 shown]
	ds_read2_b64 v[99:102], v125 offset0:56 offset1:57
	buffer_load_dword v69, off, s[20:23], 0 ; 4-byte Folded Reload
	buffer_load_dword v70, off, s[20:23], 0 offset:4 ; 4-byte Folded Reload
	buffer_load_dword v71, off, s[20:23], 0 offset:8 ; 4-byte Folded Reload
	;; [unrolled: 1-line block ×3, first 2 shown]
	s_waitcnt lgkmcnt(0)
	v_mul_f64 v[93:94], v[101:102], v[119:120]
	v_fma_f64 v[93:94], v[99:100], v[97:98], -v[93:94]
	v_mul_f64 v[99:100], v[99:100], v[119:120]
	v_fma_f64 v[99:100], v[101:102], v[97:98], v[99:100]
	s_waitcnt vmcnt(2)
	v_add_f64 v[69:70], v[69:70], -v[93:94]
	s_waitcnt vmcnt(0)
	v_add_f64 v[71:72], v[71:72], -v[99:100]
	buffer_store_dword v69, off, s[20:23], 0 ; 4-byte Folded Spill
	s_nop 0
	buffer_store_dword v70, off, s[20:23], 0 offset:4 ; 4-byte Folded Spill
	buffer_store_dword v71, off, s[20:23], 0 offset:8 ; 4-byte Folded Spill
	buffer_store_dword v72, off, s[20:23], 0 offset:12 ; 4-byte Folded Spill
	ds_read2_b64 v[99:102], v125 offset0:58 offset1:59
	s_waitcnt lgkmcnt(0)
	v_mul_f64 v[93:94], v[101:102], v[119:120]
	v_fma_f64 v[93:94], v[99:100], v[97:98], -v[93:94]
	v_mul_f64 v[99:100], v[99:100], v[119:120]
	v_add_f64 v[65:66], v[65:66], -v[93:94]
	v_fma_f64 v[99:100], v[101:102], v[97:98], v[99:100]
	v_add_f64 v[67:68], v[67:68], -v[99:100]
	ds_read2_b64 v[99:102], v125 offset0:60 offset1:61
	s_waitcnt lgkmcnt(0)
	v_mul_f64 v[93:94], v[101:102], v[119:120]
	v_fma_f64 v[93:94], v[99:100], v[97:98], -v[93:94]
	v_mul_f64 v[99:100], v[99:100], v[119:120]
	v_add_f64 v[61:62], v[61:62], -v[93:94]
	v_fma_f64 v[99:100], v[101:102], v[97:98], v[99:100]
	v_add_f64 v[63:64], v[63:64], -v[99:100]
	;; [unrolled: 8-line block ×17, first 2 shown]
	ds_read2_b64 v[99:102], v125 offset0:92 offset1:93
	s_waitcnt lgkmcnt(0)
	v_mul_f64 v[93:94], v[101:102], v[119:120]
	v_fma_f64 v[93:94], v[99:100], v[97:98], -v[93:94]
	v_mul_f64 v[99:100], v[99:100], v[119:120]
	v_add_f64 v[73:74], v[73:74], -v[93:94]
	v_fma_f64 v[99:100], v[101:102], v[97:98], v[99:100]
	v_mov_b32_e32 v93, v103
	v_mov_b32_e32 v94, v104
	;; [unrolled: 1-line block ×4, first 2 shown]
	v_add_f64 v[75:76], v[75:76], -v[99:100]
.LBB93_208:
	s_or_b64 exec, exec, s[2:3]
	v_cmp_eq_u32_e32 vcc, 23, v0
	s_waitcnt vmcnt(0)
	s_barrier
	s_and_saveexec_b64 s[4:5], vcc
	s_cbranch_execz .LBB93_215
; %bb.209:
	ds_write2_b64 v127, v[109:110], v[111:112] offset1:1
	ds_write2_b64 v125, v[113:114], v[115:116] offset0:48 offset1:49
	ds_write2_b64 v125, v[93:94], v[95:96] offset0:50 offset1:51
	buffer_load_dword v77, off, s[20:23], 0 offset:32 ; 4-byte Folded Reload
	buffer_load_dword v78, off, s[20:23], 0 offset:36 ; 4-byte Folded Reload
	;; [unrolled: 1-line block ×4, first 2 shown]
	v_mov_b32_e32 v69, v73
	v_mov_b32_e32 v70, v74
	;; [unrolled: 1-line block ×4, first 2 shown]
	s_waitcnt vmcnt(0)
	ds_write2_b64 v125, v[77:78], v[79:80] offset0:52 offset1:53
	buffer_load_dword v73, off, s[20:23], 0 offset:16 ; 4-byte Folded Reload
	buffer_load_dword v74, off, s[20:23], 0 offset:20 ; 4-byte Folded Reload
	;; [unrolled: 1-line block ×4, first 2 shown]
	s_waitcnt vmcnt(0)
	ds_write2_b64 v125, v[73:74], v[75:76] offset0:54 offset1:55
	v_mov_b32_e32 v76, v72
	v_mov_b32_e32 v75, v71
	;; [unrolled: 1-line block ×4, first 2 shown]
	buffer_load_dword v69, off, s[20:23], 0 ; 4-byte Folded Reload
	buffer_load_dword v70, off, s[20:23], 0 offset:4 ; 4-byte Folded Reload
	buffer_load_dword v71, off, s[20:23], 0 offset:8 ; 4-byte Folded Reload
	;; [unrolled: 1-line block ×3, first 2 shown]
	s_waitcnt vmcnt(0)
	ds_write2_b64 v125, v[69:70], v[71:72] offset0:56 offset1:57
	ds_write2_b64 v125, v[65:66], v[67:68] offset0:58 offset1:59
	;; [unrolled: 1-line block ×19, first 2 shown]
	ds_read2_b64 v[97:100], v127 offset1:1
	s_waitcnt lgkmcnt(0)
	v_cmp_neq_f64_e32 vcc, 0, v[97:98]
	v_cmp_neq_f64_e64 s[2:3], 0, v[99:100]
	s_or_b64 s[2:3], vcc, s[2:3]
	s_and_b64 exec, exec, s[2:3]
	s_cbranch_execz .LBB93_215
; %bb.210:
	v_cmp_ngt_f64_e64 s[2:3], |v[97:98]|, |v[99:100]|
                                        ; implicit-def: $vgpr101_vgpr102
	s_and_saveexec_b64 s[6:7], s[2:3]
	s_xor_b64 s[2:3], exec, s[6:7]
                                        ; implicit-def: $vgpr103_vgpr104
	s_cbranch_execz .LBB93_212
; %bb.211:
	v_div_scale_f64 v[101:102], s[6:7], v[99:100], v[99:100], v[97:98]
	v_rcp_f64_e32 v[103:104], v[101:102]
	v_fma_f64 v[105:106], -v[101:102], v[103:104], 1.0
	v_fma_f64 v[103:104], v[103:104], v[105:106], v[103:104]
	v_div_scale_f64 v[105:106], vcc, v[97:98], v[99:100], v[97:98]
	v_fma_f64 v[107:108], -v[101:102], v[103:104], 1.0
	v_fma_f64 v[103:104], v[103:104], v[107:108], v[103:104]
	v_mul_f64 v[107:108], v[105:106], v[103:104]
	v_fma_f64 v[101:102], -v[101:102], v[107:108], v[105:106]
	v_div_fmas_f64 v[101:102], v[101:102], v[103:104], v[107:108]
	v_div_fixup_f64 v[101:102], v[101:102], v[99:100], v[97:98]
	v_fma_f64 v[97:98], v[97:98], v[101:102], v[99:100]
	v_div_scale_f64 v[99:100], s[6:7], v[97:98], v[97:98], 1.0
	v_div_scale_f64 v[107:108], vcc, 1.0, v[97:98], 1.0
	v_rcp_f64_e32 v[103:104], v[99:100]
	v_fma_f64 v[105:106], -v[99:100], v[103:104], 1.0
	v_fma_f64 v[103:104], v[103:104], v[105:106], v[103:104]
	v_fma_f64 v[105:106], -v[99:100], v[103:104], 1.0
	v_fma_f64 v[103:104], v[103:104], v[105:106], v[103:104]
	v_mul_f64 v[105:106], v[107:108], v[103:104]
	v_fma_f64 v[99:100], -v[99:100], v[105:106], v[107:108]
	v_div_fmas_f64 v[99:100], v[99:100], v[103:104], v[105:106]
	v_div_fixup_f64 v[103:104], v[99:100], v[97:98], 1.0
                                        ; implicit-def: $vgpr97_vgpr98
	v_mul_f64 v[101:102], v[101:102], v[103:104]
	v_xor_b32_e32 v104, 0x80000000, v104
.LBB93_212:
	s_andn2_saveexec_b64 s[2:3], s[2:3]
	s_cbranch_execz .LBB93_214
; %bb.213:
	v_div_scale_f64 v[101:102], s[6:7], v[97:98], v[97:98], v[99:100]
	v_rcp_f64_e32 v[103:104], v[101:102]
	v_fma_f64 v[105:106], -v[101:102], v[103:104], 1.0
	v_fma_f64 v[103:104], v[103:104], v[105:106], v[103:104]
	v_div_scale_f64 v[105:106], vcc, v[99:100], v[97:98], v[99:100]
	v_fma_f64 v[107:108], -v[101:102], v[103:104], 1.0
	v_fma_f64 v[103:104], v[103:104], v[107:108], v[103:104]
	v_mul_f64 v[107:108], v[105:106], v[103:104]
	v_fma_f64 v[101:102], -v[101:102], v[107:108], v[105:106]
	v_div_fmas_f64 v[101:102], v[101:102], v[103:104], v[107:108]
	v_div_fixup_f64 v[103:104], v[101:102], v[97:98], v[99:100]
	v_fma_f64 v[97:98], v[99:100], v[103:104], v[97:98]
	v_div_scale_f64 v[99:100], s[6:7], v[97:98], v[97:98], 1.0
	v_div_scale_f64 v[107:108], vcc, 1.0, v[97:98], 1.0
	v_rcp_f64_e32 v[101:102], v[99:100]
	v_fma_f64 v[105:106], -v[99:100], v[101:102], 1.0
	v_fma_f64 v[101:102], v[101:102], v[105:106], v[101:102]
	v_fma_f64 v[105:106], -v[99:100], v[101:102], 1.0
	v_fma_f64 v[101:102], v[101:102], v[105:106], v[101:102]
	v_mul_f64 v[105:106], v[107:108], v[101:102]
	v_fma_f64 v[99:100], -v[99:100], v[105:106], v[107:108]
	v_div_fmas_f64 v[99:100], v[99:100], v[101:102], v[105:106]
	v_div_fixup_f64 v[101:102], v[99:100], v[97:98], 1.0
	v_mul_f64 v[103:104], v[103:104], -v[101:102]
.LBB93_214:
	s_or_b64 exec, exec, s[2:3]
	ds_write2_b64 v127, v[101:102], v[103:104] offset1:1
.LBB93_215:
	s_or_b64 exec, exec, s[4:5]
	s_waitcnt lgkmcnt(0)
	s_barrier
	ds_read2_b64 v[69:72], v127 offset1:1
	v_cmp_lt_u32_e32 vcc, 23, v0
	s_waitcnt lgkmcnt(0)
	buffer_store_dword v69, off, s[20:23], 0 offset:1120 ; 4-byte Folded Spill
	s_nop 0
	buffer_store_dword v70, off, s[20:23], 0 offset:1124 ; 4-byte Folded Spill
	buffer_store_dword v71, off, s[20:23], 0 offset:1128 ; 4-byte Folded Spill
	buffer_store_dword v72, off, s[20:23], 0 offset:1132 ; 4-byte Folded Spill
	s_and_saveexec_b64 s[2:3], vcc
	s_cbranch_execz .LBB93_217
; %bb.216:
	buffer_load_dword v69, off, s[20:23], 0 offset:1120 ; 4-byte Folded Reload
	buffer_load_dword v70, off, s[20:23], 0 offset:1124 ; 4-byte Folded Reload
	;; [unrolled: 1-line block ×4, first 2 shown]
	v_mov_b32_e32 v89, v91
	v_mov_b32_e32 v90, v92
	ds_read2_b64 v[99:102], v125 offset0:48 offset1:49
	s_waitcnt vmcnt(2)
	v_mul_f64 v[91:92], v[69:70], v[111:112]
	s_waitcnt vmcnt(0)
	v_mul_f64 v[97:98], v[71:72], v[111:112]
	v_fma_f64 v[111:112], v[71:72], v[109:110], v[91:92]
	v_mov_b32_e32 v92, v90
	v_fma_f64 v[97:98], v[69:70], v[109:110], -v[97:98]
	v_mov_b32_e32 v91, v89
	v_mov_b32_e32 v69, v73
	;; [unrolled: 1-line block ×5, first 2 shown]
	s_waitcnt lgkmcnt(0)
	v_mul_f64 v[89:90], v[101:102], v[111:112]
	v_mov_b32_e32 v110, v98
	v_mov_b32_e32 v109, v97
	v_fma_f64 v[89:90], v[99:100], v[97:98], -v[89:90]
	v_mul_f64 v[99:100], v[99:100], v[111:112]
	v_add_f64 v[113:114], v[113:114], -v[89:90]
	v_fma_f64 v[99:100], v[101:102], v[97:98], v[99:100]
	v_add_f64 v[115:116], v[115:116], -v[99:100]
	ds_read2_b64 v[99:102], v125 offset0:50 offset1:51
	s_waitcnt lgkmcnt(0)
	v_mul_f64 v[89:90], v[101:102], v[111:112]
	v_fma_f64 v[89:90], v[99:100], v[97:98], -v[89:90]
	v_mul_f64 v[99:100], v[99:100], v[111:112]
	v_add_f64 v[93:94], v[93:94], -v[89:90]
	v_fma_f64 v[99:100], v[101:102], v[97:98], v[99:100]
	v_add_f64 v[95:96], v[95:96], -v[99:100]
	ds_read2_b64 v[99:102], v125 offset0:52 offset1:53
	buffer_load_dword v77, off, s[20:23], 0 offset:32 ; 4-byte Folded Reload
	buffer_load_dword v78, off, s[20:23], 0 offset:36 ; 4-byte Folded Reload
	;; [unrolled: 1-line block ×4, first 2 shown]
	s_waitcnt lgkmcnt(0)
	v_mul_f64 v[89:90], v[101:102], v[111:112]
	v_fma_f64 v[89:90], v[99:100], v[97:98], -v[89:90]
	v_mul_f64 v[99:100], v[99:100], v[111:112]
	v_fma_f64 v[99:100], v[101:102], v[97:98], v[99:100]
	s_waitcnt vmcnt(2)
	v_add_f64 v[77:78], v[77:78], -v[89:90]
	s_waitcnt vmcnt(0)
	v_add_f64 v[79:80], v[79:80], -v[99:100]
	buffer_store_dword v77, off, s[20:23], 0 offset:32 ; 4-byte Folded Spill
	s_nop 0
	buffer_store_dword v78, off, s[20:23], 0 offset:36 ; 4-byte Folded Spill
	buffer_store_dword v79, off, s[20:23], 0 offset:40 ; 4-byte Folded Spill
	;; [unrolled: 1-line block ×3, first 2 shown]
	ds_read2_b64 v[99:102], v125 offset0:54 offset1:55
	buffer_load_dword v73, off, s[20:23], 0 offset:16 ; 4-byte Folded Reload
	buffer_load_dword v74, off, s[20:23], 0 offset:20 ; 4-byte Folded Reload
	;; [unrolled: 1-line block ×4, first 2 shown]
	s_waitcnt lgkmcnt(0)
	v_mul_f64 v[89:90], v[101:102], v[111:112]
	v_fma_f64 v[89:90], v[99:100], v[97:98], -v[89:90]
	v_mul_f64 v[99:100], v[99:100], v[111:112]
	v_fma_f64 v[99:100], v[101:102], v[97:98], v[99:100]
	s_waitcnt vmcnt(2)
	v_add_f64 v[73:74], v[73:74], -v[89:90]
	s_waitcnt vmcnt(0)
	v_add_f64 v[75:76], v[75:76], -v[99:100]
	buffer_store_dword v73, off, s[20:23], 0 offset:16 ; 4-byte Folded Spill
	s_nop 0
	buffer_store_dword v74, off, s[20:23], 0 offset:20 ; 4-byte Folded Spill
	buffer_store_dword v75, off, s[20:23], 0 offset:24 ; 4-byte Folded Spill
	;; [unrolled: 1-line block ×3, first 2 shown]
	v_mov_b32_e32 v76, v72
	v_mov_b32_e32 v75, v71
	;; [unrolled: 1-line block ×4, first 2 shown]
	ds_read2_b64 v[99:102], v125 offset0:56 offset1:57
	buffer_load_dword v69, off, s[20:23], 0 ; 4-byte Folded Reload
	buffer_load_dword v70, off, s[20:23], 0 offset:4 ; 4-byte Folded Reload
	buffer_load_dword v71, off, s[20:23], 0 offset:8 ; 4-byte Folded Reload
	;; [unrolled: 1-line block ×3, first 2 shown]
	s_waitcnt lgkmcnt(0)
	v_mul_f64 v[89:90], v[101:102], v[111:112]
	v_fma_f64 v[89:90], v[99:100], v[97:98], -v[89:90]
	v_mul_f64 v[99:100], v[99:100], v[111:112]
	v_fma_f64 v[99:100], v[101:102], v[97:98], v[99:100]
	s_waitcnt vmcnt(2)
	v_add_f64 v[69:70], v[69:70], -v[89:90]
	s_waitcnt vmcnt(0)
	v_add_f64 v[71:72], v[71:72], -v[99:100]
	buffer_store_dword v69, off, s[20:23], 0 ; 4-byte Folded Spill
	s_nop 0
	buffer_store_dword v70, off, s[20:23], 0 offset:4 ; 4-byte Folded Spill
	buffer_store_dword v71, off, s[20:23], 0 offset:8 ; 4-byte Folded Spill
	;; [unrolled: 1-line block ×3, first 2 shown]
	ds_read2_b64 v[99:102], v125 offset0:58 offset1:59
	s_waitcnt lgkmcnt(0)
	v_mul_f64 v[89:90], v[101:102], v[111:112]
	v_fma_f64 v[89:90], v[99:100], v[97:98], -v[89:90]
	v_mul_f64 v[99:100], v[99:100], v[111:112]
	v_add_f64 v[65:66], v[65:66], -v[89:90]
	v_fma_f64 v[99:100], v[101:102], v[97:98], v[99:100]
	v_add_f64 v[67:68], v[67:68], -v[99:100]
	ds_read2_b64 v[99:102], v125 offset0:60 offset1:61
	s_waitcnt lgkmcnt(0)
	v_mul_f64 v[89:90], v[101:102], v[111:112]
	v_fma_f64 v[89:90], v[99:100], v[97:98], -v[89:90]
	v_mul_f64 v[99:100], v[99:100], v[111:112]
	v_add_f64 v[61:62], v[61:62], -v[89:90]
	v_fma_f64 v[99:100], v[101:102], v[97:98], v[99:100]
	v_add_f64 v[63:64], v[63:64], -v[99:100]
	;; [unrolled: 8-line block ×18, first 2 shown]
.LBB93_217:
	s_or_b64 exec, exec, s[2:3]
	v_cmp_eq_u32_e32 vcc, 24, v0
	s_waitcnt vmcnt(0)
	s_barrier
	s_and_saveexec_b64 s[4:5], vcc
	s_cbranch_execz .LBB93_224
; %bb.218:
	ds_write2_b64 v127, v[113:114], v[115:116] offset1:1
	ds_write2_b64 v125, v[93:94], v[95:96] offset0:50 offset1:51
	buffer_load_dword v77, off, s[20:23], 0 offset:32 ; 4-byte Folded Reload
	buffer_load_dword v78, off, s[20:23], 0 offset:36 ; 4-byte Folded Reload
	;; [unrolled: 1-line block ×4, first 2 shown]
	v_mov_b32_e32 v69, v73
	v_mov_b32_e32 v70, v74
	;; [unrolled: 1-line block ×4, first 2 shown]
	s_waitcnt vmcnt(0)
	ds_write2_b64 v125, v[77:78], v[79:80] offset0:52 offset1:53
	buffer_load_dword v73, off, s[20:23], 0 offset:16 ; 4-byte Folded Reload
	buffer_load_dword v74, off, s[20:23], 0 offset:20 ; 4-byte Folded Reload
	;; [unrolled: 1-line block ×4, first 2 shown]
	s_waitcnt vmcnt(0)
	ds_write2_b64 v125, v[73:74], v[75:76] offset0:54 offset1:55
	v_mov_b32_e32 v76, v72
	v_mov_b32_e32 v75, v71
	v_mov_b32_e32 v74, v70
	v_mov_b32_e32 v73, v69
	buffer_load_dword v69, off, s[20:23], 0 ; 4-byte Folded Reload
	buffer_load_dword v70, off, s[20:23], 0 offset:4 ; 4-byte Folded Reload
	buffer_load_dword v71, off, s[20:23], 0 offset:8 ; 4-byte Folded Reload
	;; [unrolled: 1-line block ×3, first 2 shown]
	s_waitcnt vmcnt(0)
	ds_write2_b64 v125, v[69:70], v[71:72] offset0:56 offset1:57
	ds_write2_b64 v125, v[65:66], v[67:68] offset0:58 offset1:59
	;; [unrolled: 1-line block ×19, first 2 shown]
	ds_read2_b64 v[97:100], v127 offset1:1
	s_waitcnt lgkmcnt(0)
	v_cmp_neq_f64_e32 vcc, 0, v[97:98]
	v_cmp_neq_f64_e64 s[2:3], 0, v[99:100]
	s_or_b64 s[2:3], vcc, s[2:3]
	s_and_b64 exec, exec, s[2:3]
	s_cbranch_execz .LBB93_224
; %bb.219:
	v_cmp_ngt_f64_e64 s[2:3], |v[97:98]|, |v[99:100]|
                                        ; implicit-def: $vgpr101_vgpr102
	s_and_saveexec_b64 s[6:7], s[2:3]
	s_xor_b64 s[2:3], exec, s[6:7]
                                        ; implicit-def: $vgpr103_vgpr104
	s_cbranch_execz .LBB93_221
; %bb.220:
	v_div_scale_f64 v[101:102], s[6:7], v[99:100], v[99:100], v[97:98]
	v_rcp_f64_e32 v[103:104], v[101:102]
	v_fma_f64 v[105:106], -v[101:102], v[103:104], 1.0
	v_fma_f64 v[103:104], v[103:104], v[105:106], v[103:104]
	v_div_scale_f64 v[105:106], vcc, v[97:98], v[99:100], v[97:98]
	v_fma_f64 v[107:108], -v[101:102], v[103:104], 1.0
	v_fma_f64 v[103:104], v[103:104], v[107:108], v[103:104]
	v_mul_f64 v[107:108], v[105:106], v[103:104]
	v_fma_f64 v[101:102], -v[101:102], v[107:108], v[105:106]
	v_div_fmas_f64 v[101:102], v[101:102], v[103:104], v[107:108]
	v_div_fixup_f64 v[101:102], v[101:102], v[99:100], v[97:98]
	v_fma_f64 v[97:98], v[97:98], v[101:102], v[99:100]
	v_div_scale_f64 v[99:100], s[6:7], v[97:98], v[97:98], 1.0
	v_div_scale_f64 v[107:108], vcc, 1.0, v[97:98], 1.0
	v_rcp_f64_e32 v[103:104], v[99:100]
	v_fma_f64 v[105:106], -v[99:100], v[103:104], 1.0
	v_fma_f64 v[103:104], v[103:104], v[105:106], v[103:104]
	v_fma_f64 v[105:106], -v[99:100], v[103:104], 1.0
	v_fma_f64 v[103:104], v[103:104], v[105:106], v[103:104]
	v_mul_f64 v[105:106], v[107:108], v[103:104]
	v_fma_f64 v[99:100], -v[99:100], v[105:106], v[107:108]
	v_div_fmas_f64 v[99:100], v[99:100], v[103:104], v[105:106]
	v_div_fixup_f64 v[103:104], v[99:100], v[97:98], 1.0
                                        ; implicit-def: $vgpr97_vgpr98
	v_mul_f64 v[101:102], v[101:102], v[103:104]
	v_xor_b32_e32 v104, 0x80000000, v104
.LBB93_221:
	s_andn2_saveexec_b64 s[2:3], s[2:3]
	s_cbranch_execz .LBB93_223
; %bb.222:
	v_div_scale_f64 v[101:102], s[6:7], v[97:98], v[97:98], v[99:100]
	v_rcp_f64_e32 v[103:104], v[101:102]
	v_fma_f64 v[105:106], -v[101:102], v[103:104], 1.0
	v_fma_f64 v[103:104], v[103:104], v[105:106], v[103:104]
	v_div_scale_f64 v[105:106], vcc, v[99:100], v[97:98], v[99:100]
	v_fma_f64 v[107:108], -v[101:102], v[103:104], 1.0
	v_fma_f64 v[103:104], v[103:104], v[107:108], v[103:104]
	v_mul_f64 v[107:108], v[105:106], v[103:104]
	v_fma_f64 v[101:102], -v[101:102], v[107:108], v[105:106]
	v_div_fmas_f64 v[101:102], v[101:102], v[103:104], v[107:108]
	v_div_fixup_f64 v[103:104], v[101:102], v[97:98], v[99:100]
	v_fma_f64 v[97:98], v[99:100], v[103:104], v[97:98]
	v_div_scale_f64 v[99:100], s[6:7], v[97:98], v[97:98], 1.0
	v_div_scale_f64 v[107:108], vcc, 1.0, v[97:98], 1.0
	v_rcp_f64_e32 v[101:102], v[99:100]
	v_fma_f64 v[105:106], -v[99:100], v[101:102], 1.0
	v_fma_f64 v[101:102], v[101:102], v[105:106], v[101:102]
	v_fma_f64 v[105:106], -v[99:100], v[101:102], 1.0
	v_fma_f64 v[101:102], v[101:102], v[105:106], v[101:102]
	v_mul_f64 v[105:106], v[107:108], v[101:102]
	v_fma_f64 v[99:100], -v[99:100], v[105:106], v[107:108]
	v_div_fmas_f64 v[99:100], v[99:100], v[101:102], v[105:106]
	v_div_fixup_f64 v[101:102], v[99:100], v[97:98], 1.0
	v_mul_f64 v[103:104], v[103:104], -v[101:102]
.LBB93_223:
	s_or_b64 exec, exec, s[2:3]
	ds_write2_b64 v127, v[101:102], v[103:104] offset1:1
.LBB93_224:
	s_or_b64 exec, exec, s[4:5]
	s_waitcnt lgkmcnt(0)
	s_barrier
	ds_read2_b64 v[69:72], v127 offset1:1
	v_cmp_lt_u32_e32 vcc, 24, v0
	s_waitcnt lgkmcnt(0)
	buffer_store_dword v69, off, s[20:23], 0 offset:1136 ; 4-byte Folded Spill
	s_nop 0
	buffer_store_dword v70, off, s[20:23], 0 offset:1140 ; 4-byte Folded Spill
	buffer_store_dword v71, off, s[20:23], 0 offset:1144 ; 4-byte Folded Spill
	;; [unrolled: 1-line block ×3, first 2 shown]
	s_and_saveexec_b64 s[2:3], vcc
	s_cbranch_execz .LBB93_226
; %bb.225:
	buffer_load_dword v69, off, s[20:23], 0 offset:1136 ; 4-byte Folded Reload
	buffer_load_dword v70, off, s[20:23], 0 offset:1140 ; 4-byte Folded Reload
	;; [unrolled: 1-line block ×4, first 2 shown]
	v_mov_b32_e32 v90, v86
	v_mov_b32_e32 v89, v85
	;; [unrolled: 1-line block ×4, first 2 shown]
	ds_read2_b64 v[99:102], v125 offset0:50 offset1:51
	s_waitcnt vmcnt(2)
	v_mul_f64 v[87:88], v[69:70], v[115:116]
	s_waitcnt vmcnt(0)
	v_mul_f64 v[97:98], v[71:72], v[115:116]
	v_fma_f64 v[115:116], v[71:72], v[113:114], v[87:88]
	v_mov_b32_e32 v88, v86
	v_fma_f64 v[97:98], v[69:70], v[113:114], -v[97:98]
	v_mov_b32_e32 v87, v85
	v_mov_b32_e32 v69, v73
	v_mov_b32_e32 v70, v74
	v_mov_b32_e32 v71, v75
	v_mov_b32_e32 v72, v76
	s_waitcnt lgkmcnt(0)
	v_mul_f64 v[85:86], v[101:102], v[115:116]
	v_mov_b32_e32 v114, v98
	v_mov_b32_e32 v113, v97
	v_fma_f64 v[85:86], v[99:100], v[97:98], -v[85:86]
	v_mul_f64 v[99:100], v[99:100], v[115:116]
	v_add_f64 v[93:94], v[93:94], -v[85:86]
	v_fma_f64 v[99:100], v[101:102], v[97:98], v[99:100]
	v_add_f64 v[95:96], v[95:96], -v[99:100]
	ds_read2_b64 v[99:102], v125 offset0:52 offset1:53
	buffer_load_dword v77, off, s[20:23], 0 offset:32 ; 4-byte Folded Reload
	buffer_load_dword v78, off, s[20:23], 0 offset:36 ; 4-byte Folded Reload
	;; [unrolled: 1-line block ×4, first 2 shown]
	s_waitcnt lgkmcnt(0)
	v_mul_f64 v[85:86], v[101:102], v[115:116]
	v_fma_f64 v[85:86], v[99:100], v[97:98], -v[85:86]
	v_mul_f64 v[99:100], v[99:100], v[115:116]
	v_fma_f64 v[99:100], v[101:102], v[97:98], v[99:100]
	s_waitcnt vmcnt(2)
	v_add_f64 v[77:78], v[77:78], -v[85:86]
	s_waitcnt vmcnt(0)
	v_add_f64 v[79:80], v[79:80], -v[99:100]
	buffer_store_dword v77, off, s[20:23], 0 offset:32 ; 4-byte Folded Spill
	s_nop 0
	buffer_store_dword v78, off, s[20:23], 0 offset:36 ; 4-byte Folded Spill
	buffer_store_dword v79, off, s[20:23], 0 offset:40 ; 4-byte Folded Spill
	;; [unrolled: 1-line block ×3, first 2 shown]
	ds_read2_b64 v[99:102], v125 offset0:54 offset1:55
	buffer_load_dword v73, off, s[20:23], 0 offset:16 ; 4-byte Folded Reload
	buffer_load_dword v74, off, s[20:23], 0 offset:20 ; 4-byte Folded Reload
	;; [unrolled: 1-line block ×4, first 2 shown]
	s_waitcnt lgkmcnt(0)
	v_mul_f64 v[85:86], v[101:102], v[115:116]
	v_fma_f64 v[85:86], v[99:100], v[97:98], -v[85:86]
	v_mul_f64 v[99:100], v[99:100], v[115:116]
	v_fma_f64 v[99:100], v[101:102], v[97:98], v[99:100]
	s_waitcnt vmcnt(2)
	v_add_f64 v[73:74], v[73:74], -v[85:86]
	s_waitcnt vmcnt(0)
	v_add_f64 v[75:76], v[75:76], -v[99:100]
	buffer_store_dword v73, off, s[20:23], 0 offset:16 ; 4-byte Folded Spill
	s_nop 0
	buffer_store_dword v74, off, s[20:23], 0 offset:20 ; 4-byte Folded Spill
	buffer_store_dword v75, off, s[20:23], 0 offset:24 ; 4-byte Folded Spill
	;; [unrolled: 1-line block ×3, first 2 shown]
	v_mov_b32_e32 v76, v72
	v_mov_b32_e32 v75, v71
	;; [unrolled: 1-line block ×4, first 2 shown]
	ds_read2_b64 v[99:102], v125 offset0:56 offset1:57
	buffer_load_dword v69, off, s[20:23], 0 ; 4-byte Folded Reload
	buffer_load_dword v70, off, s[20:23], 0 offset:4 ; 4-byte Folded Reload
	buffer_load_dword v71, off, s[20:23], 0 offset:8 ; 4-byte Folded Reload
	;; [unrolled: 1-line block ×3, first 2 shown]
	s_waitcnt lgkmcnt(0)
	v_mul_f64 v[85:86], v[101:102], v[115:116]
	v_fma_f64 v[85:86], v[99:100], v[97:98], -v[85:86]
	v_mul_f64 v[99:100], v[99:100], v[115:116]
	v_fma_f64 v[99:100], v[101:102], v[97:98], v[99:100]
	s_waitcnt vmcnt(2)
	v_add_f64 v[69:70], v[69:70], -v[85:86]
	s_waitcnt vmcnt(0)
	v_add_f64 v[71:72], v[71:72], -v[99:100]
	buffer_store_dword v69, off, s[20:23], 0 ; 4-byte Folded Spill
	s_nop 0
	buffer_store_dword v70, off, s[20:23], 0 offset:4 ; 4-byte Folded Spill
	buffer_store_dword v71, off, s[20:23], 0 offset:8 ; 4-byte Folded Spill
	;; [unrolled: 1-line block ×3, first 2 shown]
	ds_read2_b64 v[99:102], v125 offset0:58 offset1:59
	s_waitcnt lgkmcnt(0)
	v_mul_f64 v[85:86], v[101:102], v[115:116]
	v_fma_f64 v[85:86], v[99:100], v[97:98], -v[85:86]
	v_mul_f64 v[99:100], v[99:100], v[115:116]
	v_add_f64 v[65:66], v[65:66], -v[85:86]
	v_fma_f64 v[99:100], v[101:102], v[97:98], v[99:100]
	v_add_f64 v[67:68], v[67:68], -v[99:100]
	ds_read2_b64 v[99:102], v125 offset0:60 offset1:61
	s_waitcnt lgkmcnt(0)
	v_mul_f64 v[85:86], v[101:102], v[115:116]
	v_fma_f64 v[85:86], v[99:100], v[97:98], -v[85:86]
	v_mul_f64 v[99:100], v[99:100], v[115:116]
	v_add_f64 v[61:62], v[61:62], -v[85:86]
	v_fma_f64 v[99:100], v[101:102], v[97:98], v[99:100]
	v_add_f64 v[63:64], v[63:64], -v[99:100]
	;; [unrolled: 8-line block ×17, first 2 shown]
	ds_read2_b64 v[99:102], v125 offset0:92 offset1:93
	s_waitcnt lgkmcnt(0)
	v_mul_f64 v[85:86], v[101:102], v[115:116]
	v_fma_f64 v[85:86], v[99:100], v[97:98], -v[85:86]
	v_mul_f64 v[99:100], v[99:100], v[115:116]
	v_add_f64 v[73:74], v[73:74], -v[85:86]
	v_fma_f64 v[99:100], v[101:102], v[97:98], v[99:100]
	v_mov_b32_e32 v85, v89
	v_mov_b32_e32 v86, v90
	v_add_f64 v[75:76], v[75:76], -v[99:100]
.LBB93_226:
	s_or_b64 exec, exec, s[2:3]
	v_cmp_eq_u32_e32 vcc, 25, v0
	s_waitcnt vmcnt(0)
	s_barrier
	s_and_saveexec_b64 s[4:5], vcc
	s_cbranch_execz .LBB93_233
; %bb.227:
	ds_write2_b64 v127, v[93:94], v[95:96] offset1:1
	buffer_load_dword v77, off, s[20:23], 0 offset:32 ; 4-byte Folded Reload
	buffer_load_dword v78, off, s[20:23], 0 offset:36 ; 4-byte Folded Reload
	;; [unrolled: 1-line block ×4, first 2 shown]
	v_mov_b32_e32 v69, v73
	v_mov_b32_e32 v70, v74
	;; [unrolled: 1-line block ×4, first 2 shown]
	s_waitcnt vmcnt(0)
	ds_write2_b64 v125, v[77:78], v[79:80] offset0:52 offset1:53
	buffer_load_dword v73, off, s[20:23], 0 offset:16 ; 4-byte Folded Reload
	buffer_load_dword v74, off, s[20:23], 0 offset:20 ; 4-byte Folded Reload
	;; [unrolled: 1-line block ×4, first 2 shown]
	s_waitcnt vmcnt(0)
	ds_write2_b64 v125, v[73:74], v[75:76] offset0:54 offset1:55
	v_mov_b32_e32 v76, v72
	v_mov_b32_e32 v75, v71
	;; [unrolled: 1-line block ×4, first 2 shown]
	buffer_load_dword v69, off, s[20:23], 0 ; 4-byte Folded Reload
	buffer_load_dword v70, off, s[20:23], 0 offset:4 ; 4-byte Folded Reload
	buffer_load_dword v71, off, s[20:23], 0 offset:8 ; 4-byte Folded Reload
	;; [unrolled: 1-line block ×3, first 2 shown]
	s_waitcnt vmcnt(0)
	ds_write2_b64 v125, v[69:70], v[71:72] offset0:56 offset1:57
	ds_write2_b64 v125, v[65:66], v[67:68] offset0:58 offset1:59
	;; [unrolled: 1-line block ×19, first 2 shown]
	ds_read2_b64 v[97:100], v127 offset1:1
	s_waitcnt lgkmcnt(0)
	v_cmp_neq_f64_e32 vcc, 0, v[97:98]
	v_cmp_neq_f64_e64 s[2:3], 0, v[99:100]
	s_or_b64 s[2:3], vcc, s[2:3]
	s_and_b64 exec, exec, s[2:3]
	s_cbranch_execz .LBB93_233
; %bb.228:
	v_cmp_ngt_f64_e64 s[2:3], |v[97:98]|, |v[99:100]|
                                        ; implicit-def: $vgpr101_vgpr102
	s_and_saveexec_b64 s[6:7], s[2:3]
	s_xor_b64 s[2:3], exec, s[6:7]
                                        ; implicit-def: $vgpr103_vgpr104
	s_cbranch_execz .LBB93_230
; %bb.229:
	v_div_scale_f64 v[101:102], s[6:7], v[99:100], v[99:100], v[97:98]
	v_rcp_f64_e32 v[103:104], v[101:102]
	v_fma_f64 v[105:106], -v[101:102], v[103:104], 1.0
	v_fma_f64 v[103:104], v[103:104], v[105:106], v[103:104]
	v_div_scale_f64 v[105:106], vcc, v[97:98], v[99:100], v[97:98]
	v_fma_f64 v[107:108], -v[101:102], v[103:104], 1.0
	v_fma_f64 v[103:104], v[103:104], v[107:108], v[103:104]
	v_mul_f64 v[107:108], v[105:106], v[103:104]
	v_fma_f64 v[101:102], -v[101:102], v[107:108], v[105:106]
	v_div_fmas_f64 v[101:102], v[101:102], v[103:104], v[107:108]
	v_div_fixup_f64 v[101:102], v[101:102], v[99:100], v[97:98]
	v_fma_f64 v[97:98], v[97:98], v[101:102], v[99:100]
	v_div_scale_f64 v[99:100], s[6:7], v[97:98], v[97:98], 1.0
	v_div_scale_f64 v[107:108], vcc, 1.0, v[97:98], 1.0
	v_rcp_f64_e32 v[103:104], v[99:100]
	v_fma_f64 v[105:106], -v[99:100], v[103:104], 1.0
	v_fma_f64 v[103:104], v[103:104], v[105:106], v[103:104]
	v_fma_f64 v[105:106], -v[99:100], v[103:104], 1.0
	v_fma_f64 v[103:104], v[103:104], v[105:106], v[103:104]
	v_mul_f64 v[105:106], v[107:108], v[103:104]
	v_fma_f64 v[99:100], -v[99:100], v[105:106], v[107:108]
	v_div_fmas_f64 v[99:100], v[99:100], v[103:104], v[105:106]
	v_div_fixup_f64 v[103:104], v[99:100], v[97:98], 1.0
                                        ; implicit-def: $vgpr97_vgpr98
	v_mul_f64 v[101:102], v[101:102], v[103:104]
	v_xor_b32_e32 v104, 0x80000000, v104
.LBB93_230:
	s_andn2_saveexec_b64 s[2:3], s[2:3]
	s_cbranch_execz .LBB93_232
; %bb.231:
	v_div_scale_f64 v[101:102], s[6:7], v[97:98], v[97:98], v[99:100]
	v_rcp_f64_e32 v[103:104], v[101:102]
	v_fma_f64 v[105:106], -v[101:102], v[103:104], 1.0
	v_fma_f64 v[103:104], v[103:104], v[105:106], v[103:104]
	v_div_scale_f64 v[105:106], vcc, v[99:100], v[97:98], v[99:100]
	v_fma_f64 v[107:108], -v[101:102], v[103:104], 1.0
	v_fma_f64 v[103:104], v[103:104], v[107:108], v[103:104]
	v_mul_f64 v[107:108], v[105:106], v[103:104]
	v_fma_f64 v[101:102], -v[101:102], v[107:108], v[105:106]
	v_div_fmas_f64 v[101:102], v[101:102], v[103:104], v[107:108]
	v_div_fixup_f64 v[103:104], v[101:102], v[97:98], v[99:100]
	v_fma_f64 v[97:98], v[99:100], v[103:104], v[97:98]
	v_div_scale_f64 v[99:100], s[6:7], v[97:98], v[97:98], 1.0
	v_div_scale_f64 v[107:108], vcc, 1.0, v[97:98], 1.0
	v_rcp_f64_e32 v[101:102], v[99:100]
	v_fma_f64 v[105:106], -v[99:100], v[101:102], 1.0
	v_fma_f64 v[101:102], v[101:102], v[105:106], v[101:102]
	v_fma_f64 v[105:106], -v[99:100], v[101:102], 1.0
	v_fma_f64 v[101:102], v[101:102], v[105:106], v[101:102]
	v_mul_f64 v[105:106], v[107:108], v[101:102]
	v_fma_f64 v[99:100], -v[99:100], v[105:106], v[107:108]
	v_div_fmas_f64 v[99:100], v[99:100], v[101:102], v[105:106]
	v_div_fixup_f64 v[101:102], v[99:100], v[97:98], 1.0
	v_mul_f64 v[103:104], v[103:104], -v[101:102]
.LBB93_232:
	s_or_b64 exec, exec, s[2:3]
	ds_write2_b64 v127, v[101:102], v[103:104] offset1:1
.LBB93_233:
	s_or_b64 exec, exec, s[4:5]
	s_waitcnt lgkmcnt(0)
	s_barrier
	ds_read2_b64 v[69:72], v127 offset1:1
	v_cmp_lt_u32_e32 vcc, 25, v0
	s_waitcnt lgkmcnt(0)
	buffer_store_dword v69, off, s[20:23], 0 offset:1152 ; 4-byte Folded Spill
	s_nop 0
	buffer_store_dword v70, off, s[20:23], 0 offset:1156 ; 4-byte Folded Spill
	buffer_store_dword v71, off, s[20:23], 0 offset:1160 ; 4-byte Folded Spill
	;; [unrolled: 1-line block ×3, first 2 shown]
	s_and_saveexec_b64 s[2:3], vcc
	s_cbranch_execz .LBB93_235
; %bb.234:
	buffer_load_dword v69, off, s[20:23], 0 offset:1152 ; 4-byte Folded Reload
	buffer_load_dword v70, off, s[20:23], 0 offset:1156 ; 4-byte Folded Reload
	;; [unrolled: 1-line block ×4, first 2 shown]
	ds_read2_b64 v[99:102], v125 offset0:52 offset1:53
	buffer_load_dword v77, off, s[20:23], 0 offset:32 ; 4-byte Folded Reload
	buffer_load_dword v78, off, s[20:23], 0 offset:36 ; 4-byte Folded Reload
	;; [unrolled: 1-line block ×4, first 2 shown]
	v_mov_b32_e32 v90, v82
	v_mov_b32_e32 v89, v81
	s_waitcnt vmcnt(6)
	v_mul_f64 v[83:84], v[69:70], v[95:96]
	s_waitcnt vmcnt(4)
	v_mul_f64 v[97:98], v[71:72], v[95:96]
	v_fma_f64 v[95:96], v[71:72], v[93:94], v[83:84]
	v_fma_f64 v[97:98], v[69:70], v[93:94], -v[97:98]
	v_mov_b32_e32 v69, v73
	v_mov_b32_e32 v70, v74
	;; [unrolled: 1-line block ×4, first 2 shown]
	s_waitcnt lgkmcnt(0)
	v_mul_f64 v[81:82], v[101:102], v[95:96]
	v_mov_b32_e32 v93, v97
	v_mov_b32_e32 v94, v98
	v_fma_f64 v[81:82], v[99:100], v[97:98], -v[81:82]
	v_mul_f64 v[99:100], v[99:100], v[95:96]
	s_waitcnt vmcnt(2)
	v_add_f64 v[77:78], v[77:78], -v[81:82]
	v_fma_f64 v[99:100], v[101:102], v[97:98], v[99:100]
	s_waitcnt vmcnt(0)
	v_add_f64 v[79:80], v[79:80], -v[99:100]
	buffer_store_dword v77, off, s[20:23], 0 offset:32 ; 4-byte Folded Spill
	s_nop 0
	buffer_store_dword v78, off, s[20:23], 0 offset:36 ; 4-byte Folded Spill
	buffer_store_dword v79, off, s[20:23], 0 offset:40 ; 4-byte Folded Spill
	;; [unrolled: 1-line block ×3, first 2 shown]
	ds_read2_b64 v[99:102], v125 offset0:54 offset1:55
	buffer_load_dword v73, off, s[20:23], 0 offset:16 ; 4-byte Folded Reload
	buffer_load_dword v74, off, s[20:23], 0 offset:20 ; 4-byte Folded Reload
	;; [unrolled: 1-line block ×4, first 2 shown]
	s_waitcnt lgkmcnt(0)
	v_mul_f64 v[81:82], v[101:102], v[95:96]
	v_fma_f64 v[81:82], v[99:100], v[97:98], -v[81:82]
	v_mul_f64 v[99:100], v[99:100], v[95:96]
	v_fma_f64 v[99:100], v[101:102], v[97:98], v[99:100]
	s_waitcnt vmcnt(2)
	v_add_f64 v[73:74], v[73:74], -v[81:82]
	s_waitcnt vmcnt(0)
	v_add_f64 v[75:76], v[75:76], -v[99:100]
	buffer_store_dword v73, off, s[20:23], 0 offset:16 ; 4-byte Folded Spill
	s_nop 0
	buffer_store_dword v74, off, s[20:23], 0 offset:20 ; 4-byte Folded Spill
	buffer_store_dword v75, off, s[20:23], 0 offset:24 ; 4-byte Folded Spill
	;; [unrolled: 1-line block ×3, first 2 shown]
	v_mov_b32_e32 v76, v72
	v_mov_b32_e32 v75, v71
	;; [unrolled: 1-line block ×4, first 2 shown]
	ds_read2_b64 v[99:102], v125 offset0:56 offset1:57
	buffer_load_dword v69, off, s[20:23], 0 ; 4-byte Folded Reload
	buffer_load_dword v70, off, s[20:23], 0 offset:4 ; 4-byte Folded Reload
	buffer_load_dword v71, off, s[20:23], 0 offset:8 ; 4-byte Folded Reload
	;; [unrolled: 1-line block ×3, first 2 shown]
	s_waitcnt lgkmcnt(0)
	v_mul_f64 v[81:82], v[101:102], v[95:96]
	v_fma_f64 v[81:82], v[99:100], v[97:98], -v[81:82]
	v_mul_f64 v[99:100], v[99:100], v[95:96]
	v_fma_f64 v[99:100], v[101:102], v[97:98], v[99:100]
	s_waitcnt vmcnt(2)
	v_add_f64 v[69:70], v[69:70], -v[81:82]
	s_waitcnt vmcnt(0)
	v_add_f64 v[71:72], v[71:72], -v[99:100]
	buffer_store_dword v69, off, s[20:23], 0 ; 4-byte Folded Spill
	s_nop 0
	buffer_store_dword v70, off, s[20:23], 0 offset:4 ; 4-byte Folded Spill
	buffer_store_dword v71, off, s[20:23], 0 offset:8 ; 4-byte Folded Spill
	;; [unrolled: 1-line block ×3, first 2 shown]
	ds_read2_b64 v[99:102], v125 offset0:58 offset1:59
	s_waitcnt lgkmcnt(0)
	v_mul_f64 v[81:82], v[101:102], v[95:96]
	v_fma_f64 v[81:82], v[99:100], v[97:98], -v[81:82]
	v_mul_f64 v[99:100], v[99:100], v[95:96]
	v_add_f64 v[65:66], v[65:66], -v[81:82]
	v_fma_f64 v[99:100], v[101:102], v[97:98], v[99:100]
	v_add_f64 v[67:68], v[67:68], -v[99:100]
	ds_read2_b64 v[99:102], v125 offset0:60 offset1:61
	s_waitcnt lgkmcnt(0)
	v_mul_f64 v[81:82], v[101:102], v[95:96]
	v_fma_f64 v[81:82], v[99:100], v[97:98], -v[81:82]
	v_mul_f64 v[99:100], v[99:100], v[95:96]
	v_add_f64 v[61:62], v[61:62], -v[81:82]
	v_fma_f64 v[99:100], v[101:102], v[97:98], v[99:100]
	v_add_f64 v[63:64], v[63:64], -v[99:100]
	;; [unrolled: 8-line block ×17, first 2 shown]
	ds_read2_b64 v[99:102], v125 offset0:92 offset1:93
	s_waitcnt lgkmcnt(0)
	v_mul_f64 v[81:82], v[101:102], v[95:96]
	v_fma_f64 v[81:82], v[99:100], v[97:98], -v[81:82]
	v_mul_f64 v[99:100], v[99:100], v[95:96]
	v_add_f64 v[73:74], v[73:74], -v[81:82]
	v_fma_f64 v[99:100], v[101:102], v[97:98], v[99:100]
	v_mov_b32_e32 v81, v89
	v_mov_b32_e32 v82, v90
	v_add_f64 v[75:76], v[75:76], -v[99:100]
.LBB93_235:
	s_or_b64 exec, exec, s[2:3]
	v_cmp_eq_u32_e32 vcc, 26, v0
	s_waitcnt vmcnt(0)
	s_barrier
	s_and_saveexec_b64 s[4:5], vcc
	s_cbranch_execz .LBB93_242
; %bb.236:
	buffer_load_dword v77, off, s[20:23], 0 offset:32 ; 4-byte Folded Reload
	buffer_load_dword v78, off, s[20:23], 0 offset:36 ; 4-byte Folded Reload
	;; [unrolled: 1-line block ×4, first 2 shown]
	v_mov_b32_e32 v69, v73
	v_mov_b32_e32 v70, v74
	;; [unrolled: 1-line block ×4, first 2 shown]
	s_waitcnt vmcnt(0)
	ds_write2_b64 v127, v[77:78], v[79:80] offset1:1
	buffer_load_dword v73, off, s[20:23], 0 offset:16 ; 4-byte Folded Reload
	buffer_load_dword v74, off, s[20:23], 0 offset:20 ; 4-byte Folded Reload
	;; [unrolled: 1-line block ×4, first 2 shown]
	s_waitcnt vmcnt(0)
	ds_write2_b64 v125, v[73:74], v[75:76] offset0:54 offset1:55
	v_mov_b32_e32 v76, v72
	v_mov_b32_e32 v75, v71
	;; [unrolled: 1-line block ×4, first 2 shown]
	buffer_load_dword v69, off, s[20:23], 0 ; 4-byte Folded Reload
	buffer_load_dword v70, off, s[20:23], 0 offset:4 ; 4-byte Folded Reload
	buffer_load_dword v71, off, s[20:23], 0 offset:8 ; 4-byte Folded Reload
	;; [unrolled: 1-line block ×3, first 2 shown]
	s_waitcnt vmcnt(0)
	ds_write2_b64 v125, v[69:70], v[71:72] offset0:56 offset1:57
	ds_write2_b64 v125, v[65:66], v[67:68] offset0:58 offset1:59
	;; [unrolled: 1-line block ×19, first 2 shown]
	ds_read2_b64 v[97:100], v127 offset1:1
	s_waitcnt lgkmcnt(0)
	v_cmp_neq_f64_e32 vcc, 0, v[97:98]
	v_cmp_neq_f64_e64 s[2:3], 0, v[99:100]
	s_or_b64 s[2:3], vcc, s[2:3]
	s_and_b64 exec, exec, s[2:3]
	s_cbranch_execz .LBB93_242
; %bb.237:
	v_cmp_ngt_f64_e64 s[2:3], |v[97:98]|, |v[99:100]|
                                        ; implicit-def: $vgpr101_vgpr102
	s_and_saveexec_b64 s[6:7], s[2:3]
	s_xor_b64 s[2:3], exec, s[6:7]
                                        ; implicit-def: $vgpr103_vgpr104
	s_cbranch_execz .LBB93_239
; %bb.238:
	v_div_scale_f64 v[101:102], s[6:7], v[99:100], v[99:100], v[97:98]
	v_rcp_f64_e32 v[103:104], v[101:102]
	v_fma_f64 v[105:106], -v[101:102], v[103:104], 1.0
	v_fma_f64 v[103:104], v[103:104], v[105:106], v[103:104]
	v_div_scale_f64 v[105:106], vcc, v[97:98], v[99:100], v[97:98]
	v_fma_f64 v[107:108], -v[101:102], v[103:104], 1.0
	v_fma_f64 v[103:104], v[103:104], v[107:108], v[103:104]
	v_mul_f64 v[107:108], v[105:106], v[103:104]
	v_fma_f64 v[101:102], -v[101:102], v[107:108], v[105:106]
	v_div_fmas_f64 v[101:102], v[101:102], v[103:104], v[107:108]
	v_div_fixup_f64 v[101:102], v[101:102], v[99:100], v[97:98]
	v_fma_f64 v[97:98], v[97:98], v[101:102], v[99:100]
	v_div_scale_f64 v[99:100], s[6:7], v[97:98], v[97:98], 1.0
	v_div_scale_f64 v[107:108], vcc, 1.0, v[97:98], 1.0
	v_rcp_f64_e32 v[103:104], v[99:100]
	v_fma_f64 v[105:106], -v[99:100], v[103:104], 1.0
	v_fma_f64 v[103:104], v[103:104], v[105:106], v[103:104]
	v_fma_f64 v[105:106], -v[99:100], v[103:104], 1.0
	v_fma_f64 v[103:104], v[103:104], v[105:106], v[103:104]
	v_mul_f64 v[105:106], v[107:108], v[103:104]
	v_fma_f64 v[99:100], -v[99:100], v[105:106], v[107:108]
	v_div_fmas_f64 v[99:100], v[99:100], v[103:104], v[105:106]
	v_div_fixup_f64 v[103:104], v[99:100], v[97:98], 1.0
                                        ; implicit-def: $vgpr97_vgpr98
	v_mul_f64 v[101:102], v[101:102], v[103:104]
	v_xor_b32_e32 v104, 0x80000000, v104
.LBB93_239:
	s_andn2_saveexec_b64 s[2:3], s[2:3]
	s_cbranch_execz .LBB93_241
; %bb.240:
	v_div_scale_f64 v[101:102], s[6:7], v[97:98], v[97:98], v[99:100]
	v_rcp_f64_e32 v[103:104], v[101:102]
	v_fma_f64 v[105:106], -v[101:102], v[103:104], 1.0
	v_fma_f64 v[103:104], v[103:104], v[105:106], v[103:104]
	v_div_scale_f64 v[105:106], vcc, v[99:100], v[97:98], v[99:100]
	v_fma_f64 v[107:108], -v[101:102], v[103:104], 1.0
	v_fma_f64 v[103:104], v[103:104], v[107:108], v[103:104]
	v_mul_f64 v[107:108], v[105:106], v[103:104]
	v_fma_f64 v[101:102], -v[101:102], v[107:108], v[105:106]
	v_div_fmas_f64 v[101:102], v[101:102], v[103:104], v[107:108]
	v_div_fixup_f64 v[103:104], v[101:102], v[97:98], v[99:100]
	v_fma_f64 v[97:98], v[99:100], v[103:104], v[97:98]
	v_div_scale_f64 v[99:100], s[6:7], v[97:98], v[97:98], 1.0
	v_div_scale_f64 v[107:108], vcc, 1.0, v[97:98], 1.0
	v_rcp_f64_e32 v[101:102], v[99:100]
	v_fma_f64 v[105:106], -v[99:100], v[101:102], 1.0
	v_fma_f64 v[101:102], v[101:102], v[105:106], v[101:102]
	v_fma_f64 v[105:106], -v[99:100], v[101:102], 1.0
	v_fma_f64 v[101:102], v[101:102], v[105:106], v[101:102]
	v_mul_f64 v[105:106], v[107:108], v[101:102]
	v_fma_f64 v[99:100], -v[99:100], v[105:106], v[107:108]
	v_div_fmas_f64 v[99:100], v[99:100], v[101:102], v[105:106]
	v_div_fixup_f64 v[101:102], v[99:100], v[97:98], 1.0
	v_mul_f64 v[103:104], v[103:104], -v[101:102]
.LBB93_241:
	s_or_b64 exec, exec, s[2:3]
	ds_write2_b64 v127, v[101:102], v[103:104] offset1:1
.LBB93_242:
	s_or_b64 exec, exec, s[4:5]
	s_waitcnt lgkmcnt(0)
	s_barrier
	ds_read2_b64 v[69:72], v127 offset1:1
	v_cmp_lt_u32_e32 vcc, 26, v0
	s_waitcnt lgkmcnt(0)
	buffer_store_dword v69, off, s[20:23], 0 offset:1168 ; 4-byte Folded Spill
	s_nop 0
	buffer_store_dword v70, off, s[20:23], 0 offset:1172 ; 4-byte Folded Spill
	buffer_store_dword v71, off, s[20:23], 0 offset:1176 ; 4-byte Folded Spill
	;; [unrolled: 1-line block ×3, first 2 shown]
	s_and_saveexec_b64 s[2:3], vcc
	s_cbranch_execz .LBB93_244
; %bb.243:
	buffer_load_dword v77, off, s[20:23], 0 offset:32 ; 4-byte Folded Reload
	buffer_load_dword v78, off, s[20:23], 0 offset:36 ; 4-byte Folded Reload
	;; [unrolled: 1-line block ×8, first 2 shown]
	ds_read2_b64 v[99:102], v125 offset0:54 offset1:55
	s_waitcnt vmcnt(0)
	v_mul_f64 v[97:98], v[71:72], v[79:80]
	v_mul_f64 v[79:80], v[69:70], v[79:80]
	v_fma_f64 v[97:98], v[69:70], v[77:78], -v[97:98]
	v_fma_f64 v[79:80], v[71:72], v[77:78], v[79:80]
	v_mov_b32_e32 v69, v73
	v_mov_b32_e32 v70, v74
	;; [unrolled: 1-line block ×4, first 2 shown]
	buffer_load_dword v73, off, s[20:23], 0 offset:16 ; 4-byte Folded Reload
	buffer_load_dword v74, off, s[20:23], 0 offset:20 ; 4-byte Folded Reload
	;; [unrolled: 1-line block ×4, first 2 shown]
	s_waitcnt lgkmcnt(0)
	v_mul_f64 v[77:78], v[101:102], v[79:80]
	v_fma_f64 v[77:78], v[99:100], v[97:98], -v[77:78]
	v_mul_f64 v[99:100], v[99:100], v[79:80]
	v_fma_f64 v[99:100], v[101:102], v[97:98], v[99:100]
	s_waitcnt vmcnt(2)
	v_add_f64 v[73:74], v[73:74], -v[77:78]
	s_waitcnt vmcnt(0)
	v_add_f64 v[75:76], v[75:76], -v[99:100]
	buffer_store_dword v73, off, s[20:23], 0 offset:16 ; 4-byte Folded Spill
	s_nop 0
	buffer_store_dword v74, off, s[20:23], 0 offset:20 ; 4-byte Folded Spill
	buffer_store_dword v75, off, s[20:23], 0 offset:24 ; 4-byte Folded Spill
	;; [unrolled: 1-line block ×3, first 2 shown]
	v_mov_b32_e32 v76, v72
	v_mov_b32_e32 v75, v71
	;; [unrolled: 1-line block ×4, first 2 shown]
	ds_read2_b64 v[99:102], v125 offset0:56 offset1:57
	buffer_load_dword v69, off, s[20:23], 0 ; 4-byte Folded Reload
	buffer_load_dword v70, off, s[20:23], 0 offset:4 ; 4-byte Folded Reload
	buffer_load_dword v71, off, s[20:23], 0 offset:8 ; 4-byte Folded Reload
	;; [unrolled: 1-line block ×3, first 2 shown]
	s_waitcnt lgkmcnt(0)
	v_mul_f64 v[77:78], v[101:102], v[79:80]
	v_fma_f64 v[77:78], v[99:100], v[97:98], -v[77:78]
	v_mul_f64 v[99:100], v[99:100], v[79:80]
	v_fma_f64 v[99:100], v[101:102], v[97:98], v[99:100]
	s_waitcnt vmcnt(2)
	v_add_f64 v[69:70], v[69:70], -v[77:78]
	s_waitcnt vmcnt(0)
	v_add_f64 v[71:72], v[71:72], -v[99:100]
	buffer_store_dword v69, off, s[20:23], 0 ; 4-byte Folded Spill
	s_nop 0
	buffer_store_dword v70, off, s[20:23], 0 offset:4 ; 4-byte Folded Spill
	buffer_store_dword v71, off, s[20:23], 0 offset:8 ; 4-byte Folded Spill
	;; [unrolled: 1-line block ×3, first 2 shown]
	ds_read2_b64 v[99:102], v125 offset0:58 offset1:59
	s_waitcnt lgkmcnt(0)
	v_mul_f64 v[77:78], v[101:102], v[79:80]
	v_fma_f64 v[77:78], v[99:100], v[97:98], -v[77:78]
	v_mul_f64 v[99:100], v[99:100], v[79:80]
	v_add_f64 v[65:66], v[65:66], -v[77:78]
	v_fma_f64 v[99:100], v[101:102], v[97:98], v[99:100]
	v_add_f64 v[67:68], v[67:68], -v[99:100]
	ds_read2_b64 v[99:102], v125 offset0:60 offset1:61
	s_waitcnt lgkmcnt(0)
	v_mul_f64 v[77:78], v[101:102], v[79:80]
	v_fma_f64 v[77:78], v[99:100], v[97:98], -v[77:78]
	v_mul_f64 v[99:100], v[99:100], v[79:80]
	v_add_f64 v[61:62], v[61:62], -v[77:78]
	v_fma_f64 v[99:100], v[101:102], v[97:98], v[99:100]
	v_add_f64 v[63:64], v[63:64], -v[99:100]
	;; [unrolled: 8-line block ×17, first 2 shown]
	ds_read2_b64 v[99:102], v125 offset0:92 offset1:93
	s_waitcnt lgkmcnt(0)
	v_mul_f64 v[77:78], v[101:102], v[79:80]
	v_fma_f64 v[77:78], v[99:100], v[97:98], -v[77:78]
	v_mul_f64 v[99:100], v[99:100], v[79:80]
	v_add_f64 v[73:74], v[73:74], -v[77:78]
	v_fma_f64 v[99:100], v[101:102], v[97:98], v[99:100]
	v_mov_b32_e32 v77, v97
	v_mov_b32_e32 v78, v98
	buffer_store_dword v77, off, s[20:23], 0 offset:32 ; 4-byte Folded Spill
	s_nop 0
	buffer_store_dword v78, off, s[20:23], 0 offset:36 ; 4-byte Folded Spill
	buffer_store_dword v79, off, s[20:23], 0 offset:40 ; 4-byte Folded Spill
	;; [unrolled: 1-line block ×3, first 2 shown]
	v_add_f64 v[75:76], v[75:76], -v[99:100]
.LBB93_244:
	s_or_b64 exec, exec, s[2:3]
	v_cmp_eq_u32_e32 vcc, 27, v0
	s_waitcnt vmcnt(0)
	s_barrier
	s_and_saveexec_b64 s[4:5], vcc
	s_cbranch_execz .LBB93_251
; %bb.245:
	v_mov_b32_e32 v69, v73
	v_mov_b32_e32 v70, v74
	;; [unrolled: 1-line block ×4, first 2 shown]
	buffer_load_dword v73, off, s[20:23], 0 offset:16 ; 4-byte Folded Reload
	buffer_load_dword v74, off, s[20:23], 0 offset:20 ; 4-byte Folded Reload
	;; [unrolled: 1-line block ×4, first 2 shown]
	s_waitcnt vmcnt(0)
	ds_write2_b64 v127, v[73:74], v[75:76] offset1:1
	v_mov_b32_e32 v76, v72
	v_mov_b32_e32 v75, v71
	;; [unrolled: 1-line block ×4, first 2 shown]
	buffer_load_dword v69, off, s[20:23], 0 ; 4-byte Folded Reload
	buffer_load_dword v70, off, s[20:23], 0 offset:4 ; 4-byte Folded Reload
	buffer_load_dword v71, off, s[20:23], 0 offset:8 ; 4-byte Folded Reload
	;; [unrolled: 1-line block ×3, first 2 shown]
	s_waitcnt vmcnt(0)
	ds_write2_b64 v125, v[69:70], v[71:72] offset0:56 offset1:57
	ds_write2_b64 v125, v[65:66], v[67:68] offset0:58 offset1:59
	;; [unrolled: 1-line block ×19, first 2 shown]
	ds_read2_b64 v[97:100], v127 offset1:1
	s_waitcnt lgkmcnt(0)
	v_cmp_neq_f64_e32 vcc, 0, v[97:98]
	v_cmp_neq_f64_e64 s[2:3], 0, v[99:100]
	s_or_b64 s[2:3], vcc, s[2:3]
	s_and_b64 exec, exec, s[2:3]
	s_cbranch_execz .LBB93_251
; %bb.246:
	v_cmp_ngt_f64_e64 s[2:3], |v[97:98]|, |v[99:100]|
                                        ; implicit-def: $vgpr101_vgpr102
	s_and_saveexec_b64 s[6:7], s[2:3]
	s_xor_b64 s[2:3], exec, s[6:7]
                                        ; implicit-def: $vgpr103_vgpr104
	s_cbranch_execz .LBB93_248
; %bb.247:
	v_div_scale_f64 v[101:102], s[6:7], v[99:100], v[99:100], v[97:98]
	v_rcp_f64_e32 v[103:104], v[101:102]
	v_fma_f64 v[105:106], -v[101:102], v[103:104], 1.0
	v_fma_f64 v[103:104], v[103:104], v[105:106], v[103:104]
	v_div_scale_f64 v[105:106], vcc, v[97:98], v[99:100], v[97:98]
	v_fma_f64 v[107:108], -v[101:102], v[103:104], 1.0
	v_fma_f64 v[103:104], v[103:104], v[107:108], v[103:104]
	v_mul_f64 v[107:108], v[105:106], v[103:104]
	v_fma_f64 v[101:102], -v[101:102], v[107:108], v[105:106]
	v_div_fmas_f64 v[101:102], v[101:102], v[103:104], v[107:108]
	v_div_fixup_f64 v[101:102], v[101:102], v[99:100], v[97:98]
	v_fma_f64 v[97:98], v[97:98], v[101:102], v[99:100]
	v_div_scale_f64 v[99:100], s[6:7], v[97:98], v[97:98], 1.0
	v_div_scale_f64 v[107:108], vcc, 1.0, v[97:98], 1.0
	v_rcp_f64_e32 v[103:104], v[99:100]
	v_fma_f64 v[105:106], -v[99:100], v[103:104], 1.0
	v_fma_f64 v[103:104], v[103:104], v[105:106], v[103:104]
	v_fma_f64 v[105:106], -v[99:100], v[103:104], 1.0
	v_fma_f64 v[103:104], v[103:104], v[105:106], v[103:104]
	v_mul_f64 v[105:106], v[107:108], v[103:104]
	v_fma_f64 v[99:100], -v[99:100], v[105:106], v[107:108]
	v_div_fmas_f64 v[99:100], v[99:100], v[103:104], v[105:106]
	v_div_fixup_f64 v[103:104], v[99:100], v[97:98], 1.0
                                        ; implicit-def: $vgpr97_vgpr98
	v_mul_f64 v[101:102], v[101:102], v[103:104]
	v_xor_b32_e32 v104, 0x80000000, v104
.LBB93_248:
	s_andn2_saveexec_b64 s[2:3], s[2:3]
	s_cbranch_execz .LBB93_250
; %bb.249:
	v_div_scale_f64 v[101:102], s[6:7], v[97:98], v[97:98], v[99:100]
	v_rcp_f64_e32 v[103:104], v[101:102]
	v_fma_f64 v[105:106], -v[101:102], v[103:104], 1.0
	v_fma_f64 v[103:104], v[103:104], v[105:106], v[103:104]
	v_div_scale_f64 v[105:106], vcc, v[99:100], v[97:98], v[99:100]
	v_fma_f64 v[107:108], -v[101:102], v[103:104], 1.0
	v_fma_f64 v[103:104], v[103:104], v[107:108], v[103:104]
	v_mul_f64 v[107:108], v[105:106], v[103:104]
	v_fma_f64 v[101:102], -v[101:102], v[107:108], v[105:106]
	v_div_fmas_f64 v[101:102], v[101:102], v[103:104], v[107:108]
	v_div_fixup_f64 v[103:104], v[101:102], v[97:98], v[99:100]
	v_fma_f64 v[97:98], v[99:100], v[103:104], v[97:98]
	v_div_scale_f64 v[99:100], s[6:7], v[97:98], v[97:98], 1.0
	v_div_scale_f64 v[107:108], vcc, 1.0, v[97:98], 1.0
	v_rcp_f64_e32 v[101:102], v[99:100]
	v_fma_f64 v[105:106], -v[99:100], v[101:102], 1.0
	v_fma_f64 v[101:102], v[101:102], v[105:106], v[101:102]
	v_fma_f64 v[105:106], -v[99:100], v[101:102], 1.0
	v_fma_f64 v[101:102], v[101:102], v[105:106], v[101:102]
	v_mul_f64 v[105:106], v[107:108], v[101:102]
	v_fma_f64 v[99:100], -v[99:100], v[105:106], v[107:108]
	v_div_fmas_f64 v[99:100], v[99:100], v[101:102], v[105:106]
	v_div_fixup_f64 v[101:102], v[99:100], v[97:98], 1.0
	v_mul_f64 v[103:104], v[103:104], -v[101:102]
.LBB93_250:
	s_or_b64 exec, exec, s[2:3]
	ds_write2_b64 v127, v[101:102], v[103:104] offset1:1
.LBB93_251:
	s_or_b64 exec, exec, s[4:5]
	s_waitcnt lgkmcnt(0)
	s_barrier
	ds_read2_b64 v[69:72], v127 offset1:1
	v_cmp_lt_u32_e32 vcc, 27, v0
	s_waitcnt lgkmcnt(0)
	buffer_store_dword v69, off, s[20:23], 0 offset:1184 ; 4-byte Folded Spill
	s_nop 0
	buffer_store_dword v70, off, s[20:23], 0 offset:1188 ; 4-byte Folded Spill
	buffer_store_dword v71, off, s[20:23], 0 offset:1192 ; 4-byte Folded Spill
	;; [unrolled: 1-line block ×3, first 2 shown]
	s_and_saveexec_b64 s[2:3], vcc
	s_cbranch_execz .LBB93_253
; %bb.252:
	v_mov_b32_e32 v80, v76
	v_mov_b32_e32 v79, v75
	;; [unrolled: 1-line block ×4, first 2 shown]
	buffer_load_dword v73, off, s[20:23], 0 offset:16 ; 4-byte Folded Reload
	buffer_load_dword v74, off, s[20:23], 0 offset:20 ; 4-byte Folded Reload
	;; [unrolled: 1-line block ×8, first 2 shown]
	ds_read2_b64 v[99:102], v125 offset0:56 offset1:57
	s_waitcnt vmcnt(0)
	v_mul_f64 v[97:98], v[71:72], v[75:76]
	v_mul_f64 v[75:76], v[69:70], v[75:76]
	v_fma_f64 v[97:98], v[69:70], v[73:74], -v[97:98]
	v_fma_f64 v[75:76], v[71:72], v[73:74], v[75:76]
	buffer_load_dword v69, off, s[20:23], 0 ; 4-byte Folded Reload
	buffer_load_dword v70, off, s[20:23], 0 offset:4 ; 4-byte Folded Reload
	buffer_load_dword v71, off, s[20:23], 0 offset:8 ; 4-byte Folded Reload
	;; [unrolled: 1-line block ×3, first 2 shown]
	s_waitcnt lgkmcnt(0)
	v_mul_f64 v[73:74], v[101:102], v[75:76]
	v_fma_f64 v[73:74], v[99:100], v[97:98], -v[73:74]
	v_mul_f64 v[99:100], v[99:100], v[75:76]
	v_fma_f64 v[99:100], v[101:102], v[97:98], v[99:100]
	s_waitcnt vmcnt(2)
	v_add_f64 v[69:70], v[69:70], -v[73:74]
	s_waitcnt vmcnt(0)
	v_add_f64 v[71:72], v[71:72], -v[99:100]
	buffer_store_dword v69, off, s[20:23], 0 ; 4-byte Folded Spill
	s_nop 0
	buffer_store_dword v70, off, s[20:23], 0 offset:4 ; 4-byte Folded Spill
	buffer_store_dword v71, off, s[20:23], 0 offset:8 ; 4-byte Folded Spill
	;; [unrolled: 1-line block ×3, first 2 shown]
	ds_read2_b64 v[99:102], v125 offset0:58 offset1:59
	s_waitcnt lgkmcnt(0)
	v_mul_f64 v[73:74], v[101:102], v[75:76]
	v_fma_f64 v[73:74], v[99:100], v[97:98], -v[73:74]
	v_mul_f64 v[99:100], v[99:100], v[75:76]
	v_add_f64 v[65:66], v[65:66], -v[73:74]
	v_fma_f64 v[99:100], v[101:102], v[97:98], v[99:100]
	v_add_f64 v[67:68], v[67:68], -v[99:100]
	ds_read2_b64 v[99:102], v125 offset0:60 offset1:61
	s_waitcnt lgkmcnt(0)
	v_mul_f64 v[73:74], v[101:102], v[75:76]
	v_fma_f64 v[73:74], v[99:100], v[97:98], -v[73:74]
	v_mul_f64 v[99:100], v[99:100], v[75:76]
	v_add_f64 v[61:62], v[61:62], -v[73:74]
	v_fma_f64 v[99:100], v[101:102], v[97:98], v[99:100]
	v_add_f64 v[63:64], v[63:64], -v[99:100]
	;; [unrolled: 8-line block ×17, first 2 shown]
	ds_read2_b64 v[99:102], v125 offset0:92 offset1:93
	s_waitcnt lgkmcnt(0)
	v_mul_f64 v[73:74], v[101:102], v[75:76]
	v_fma_f64 v[73:74], v[99:100], v[97:98], -v[73:74]
	v_mul_f64 v[99:100], v[99:100], v[75:76]
	v_add_f64 v[77:78], v[77:78], -v[73:74]
	v_fma_f64 v[99:100], v[101:102], v[97:98], v[99:100]
	v_mov_b32_e32 v73, v97
	v_mov_b32_e32 v74, v98
	buffer_store_dword v73, off, s[20:23], 0 offset:16 ; 4-byte Folded Spill
	s_nop 0
	buffer_store_dword v74, off, s[20:23], 0 offset:20 ; 4-byte Folded Spill
	buffer_store_dword v75, off, s[20:23], 0 offset:24 ; 4-byte Folded Spill
	;; [unrolled: 1-line block ×3, first 2 shown]
	v_add_f64 v[79:80], v[79:80], -v[99:100]
	v_mov_b32_e32 v73, v77
	v_mov_b32_e32 v74, v78
	;; [unrolled: 1-line block ×4, first 2 shown]
.LBB93_253:
	s_or_b64 exec, exec, s[2:3]
	v_cmp_eq_u32_e32 vcc, 28, v0
	s_waitcnt vmcnt(0)
	s_barrier
	s_and_saveexec_b64 s[4:5], vcc
	s_cbranch_execz .LBB93_260
; %bb.254:
	buffer_load_dword v69, off, s[20:23], 0 ; 4-byte Folded Reload
	buffer_load_dword v70, off, s[20:23], 0 offset:4 ; 4-byte Folded Reload
	buffer_load_dword v71, off, s[20:23], 0 offset:8 ; 4-byte Folded Reload
	;; [unrolled: 1-line block ×3, first 2 shown]
	s_waitcnt vmcnt(0)
	ds_write2_b64 v127, v[69:70], v[71:72] offset1:1
	ds_write2_b64 v125, v[65:66], v[67:68] offset0:58 offset1:59
	ds_write2_b64 v125, v[61:62], v[63:64] offset0:60 offset1:61
	;; [unrolled: 1-line block ×18, first 2 shown]
	ds_read2_b64 v[97:100], v127 offset1:1
	s_waitcnt lgkmcnt(0)
	v_cmp_neq_f64_e32 vcc, 0, v[97:98]
	v_cmp_neq_f64_e64 s[2:3], 0, v[99:100]
	s_or_b64 s[2:3], vcc, s[2:3]
	s_and_b64 exec, exec, s[2:3]
	s_cbranch_execz .LBB93_260
; %bb.255:
	v_cmp_ngt_f64_e64 s[2:3], |v[97:98]|, |v[99:100]|
                                        ; implicit-def: $vgpr101_vgpr102
	s_and_saveexec_b64 s[6:7], s[2:3]
	s_xor_b64 s[2:3], exec, s[6:7]
                                        ; implicit-def: $vgpr103_vgpr104
	s_cbranch_execz .LBB93_257
; %bb.256:
	v_div_scale_f64 v[101:102], s[6:7], v[99:100], v[99:100], v[97:98]
	v_rcp_f64_e32 v[103:104], v[101:102]
	v_fma_f64 v[105:106], -v[101:102], v[103:104], 1.0
	v_fma_f64 v[103:104], v[103:104], v[105:106], v[103:104]
	v_div_scale_f64 v[105:106], vcc, v[97:98], v[99:100], v[97:98]
	v_fma_f64 v[107:108], -v[101:102], v[103:104], 1.0
	v_fma_f64 v[103:104], v[103:104], v[107:108], v[103:104]
	v_mul_f64 v[107:108], v[105:106], v[103:104]
	v_fma_f64 v[101:102], -v[101:102], v[107:108], v[105:106]
	v_div_fmas_f64 v[101:102], v[101:102], v[103:104], v[107:108]
	v_div_fixup_f64 v[101:102], v[101:102], v[99:100], v[97:98]
	v_fma_f64 v[97:98], v[97:98], v[101:102], v[99:100]
	v_div_scale_f64 v[99:100], s[6:7], v[97:98], v[97:98], 1.0
	v_div_scale_f64 v[107:108], vcc, 1.0, v[97:98], 1.0
	v_rcp_f64_e32 v[103:104], v[99:100]
	v_fma_f64 v[105:106], -v[99:100], v[103:104], 1.0
	v_fma_f64 v[103:104], v[103:104], v[105:106], v[103:104]
	v_fma_f64 v[105:106], -v[99:100], v[103:104], 1.0
	v_fma_f64 v[103:104], v[103:104], v[105:106], v[103:104]
	v_mul_f64 v[105:106], v[107:108], v[103:104]
	v_fma_f64 v[99:100], -v[99:100], v[105:106], v[107:108]
	v_div_fmas_f64 v[99:100], v[99:100], v[103:104], v[105:106]
	v_div_fixup_f64 v[103:104], v[99:100], v[97:98], 1.0
                                        ; implicit-def: $vgpr97_vgpr98
	v_mul_f64 v[101:102], v[101:102], v[103:104]
	v_xor_b32_e32 v104, 0x80000000, v104
.LBB93_257:
	s_andn2_saveexec_b64 s[2:3], s[2:3]
	s_cbranch_execz .LBB93_259
; %bb.258:
	v_div_scale_f64 v[101:102], s[6:7], v[97:98], v[97:98], v[99:100]
	v_rcp_f64_e32 v[103:104], v[101:102]
	v_fma_f64 v[105:106], -v[101:102], v[103:104], 1.0
	v_fma_f64 v[103:104], v[103:104], v[105:106], v[103:104]
	v_div_scale_f64 v[105:106], vcc, v[99:100], v[97:98], v[99:100]
	v_fma_f64 v[107:108], -v[101:102], v[103:104], 1.0
	v_fma_f64 v[103:104], v[103:104], v[107:108], v[103:104]
	v_mul_f64 v[107:108], v[105:106], v[103:104]
	v_fma_f64 v[101:102], -v[101:102], v[107:108], v[105:106]
	v_div_fmas_f64 v[101:102], v[101:102], v[103:104], v[107:108]
	v_div_fixup_f64 v[103:104], v[101:102], v[97:98], v[99:100]
	v_fma_f64 v[97:98], v[99:100], v[103:104], v[97:98]
	v_div_scale_f64 v[99:100], s[6:7], v[97:98], v[97:98], 1.0
	v_div_scale_f64 v[107:108], vcc, 1.0, v[97:98], 1.0
	v_rcp_f64_e32 v[101:102], v[99:100]
	v_fma_f64 v[105:106], -v[99:100], v[101:102], 1.0
	v_fma_f64 v[101:102], v[101:102], v[105:106], v[101:102]
	v_fma_f64 v[105:106], -v[99:100], v[101:102], 1.0
	v_fma_f64 v[101:102], v[101:102], v[105:106], v[101:102]
	v_mul_f64 v[105:106], v[107:108], v[101:102]
	v_fma_f64 v[99:100], -v[99:100], v[105:106], v[107:108]
	v_div_fmas_f64 v[99:100], v[99:100], v[101:102], v[105:106]
	v_div_fixup_f64 v[101:102], v[99:100], v[97:98], 1.0
	v_mul_f64 v[103:104], v[103:104], -v[101:102]
.LBB93_259:
	s_or_b64 exec, exec, s[2:3]
	ds_write2_b64 v127, v[101:102], v[103:104] offset1:1
.LBB93_260:
	s_or_b64 exec, exec, s[4:5]
	s_waitcnt lgkmcnt(0)
	s_barrier
	ds_read2_b64 v[69:72], v127 offset1:1
	v_cmp_lt_u32_e32 vcc, 28, v0
	s_waitcnt lgkmcnt(0)
	buffer_store_dword v69, off, s[20:23], 0 offset:1200 ; 4-byte Folded Spill
	s_nop 0
	buffer_store_dword v70, off, s[20:23], 0 offset:1204 ; 4-byte Folded Spill
	buffer_store_dword v71, off, s[20:23], 0 offset:1208 ; 4-byte Folded Spill
	;; [unrolled: 1-line block ×3, first 2 shown]
	s_and_saveexec_b64 s[2:3], vcc
	s_cbranch_execz .LBB93_262
; %bb.261:
	buffer_load_dword v69, off, s[20:23], 0 ; 4-byte Folded Reload
	buffer_load_dword v70, off, s[20:23], 0 offset:4 ; 4-byte Folded Reload
	buffer_load_dword v71, off, s[20:23], 0 offset:8 ; 4-byte Folded Reload
	buffer_load_dword v72, off, s[20:23], 0 offset:12 ; 4-byte Folded Reload
	buffer_load_dword v77, off, s[20:23], 0 offset:1200 ; 4-byte Folded Reload
	buffer_load_dword v78, off, s[20:23], 0 offset:1204 ; 4-byte Folded Reload
	buffer_load_dword v79, off, s[20:23], 0 offset:1208 ; 4-byte Folded Reload
	buffer_load_dword v80, off, s[20:23], 0 offset:1212 ; 4-byte Folded Reload
	ds_read2_b64 v[99:102], v125 offset0:58 offset1:59
	s_waitcnt vmcnt(0)
	v_mul_f64 v[97:98], v[79:80], v[71:72]
	v_mul_f64 v[71:72], v[77:78], v[71:72]
	v_fma_f64 v[97:98], v[77:78], v[69:70], -v[97:98]
	v_fma_f64 v[71:72], v[79:80], v[69:70], v[71:72]
	s_waitcnt lgkmcnt(0)
	v_mul_f64 v[69:70], v[101:102], v[71:72]
	v_fma_f64 v[69:70], v[99:100], v[97:98], -v[69:70]
	v_mul_f64 v[99:100], v[99:100], v[71:72]
	v_add_f64 v[65:66], v[65:66], -v[69:70]
	v_fma_f64 v[99:100], v[101:102], v[97:98], v[99:100]
	v_add_f64 v[67:68], v[67:68], -v[99:100]
	ds_read2_b64 v[99:102], v125 offset0:60 offset1:61
	s_waitcnt lgkmcnt(0)
	v_mul_f64 v[69:70], v[101:102], v[71:72]
	v_fma_f64 v[69:70], v[99:100], v[97:98], -v[69:70]
	v_mul_f64 v[99:100], v[99:100], v[71:72]
	v_add_f64 v[61:62], v[61:62], -v[69:70]
	v_fma_f64 v[99:100], v[101:102], v[97:98], v[99:100]
	v_add_f64 v[63:64], v[63:64], -v[99:100]
	ds_read2_b64 v[99:102], v125 offset0:62 offset1:63
	;; [unrolled: 8-line block ×17, first 2 shown]
	s_waitcnt lgkmcnt(0)
	v_mul_f64 v[69:70], v[101:102], v[71:72]
	v_fma_f64 v[69:70], v[99:100], v[97:98], -v[69:70]
	v_mul_f64 v[99:100], v[99:100], v[71:72]
	v_add_f64 v[73:74], v[73:74], -v[69:70]
	v_fma_f64 v[99:100], v[101:102], v[97:98], v[99:100]
	v_mov_b32_e32 v69, v97
	v_mov_b32_e32 v70, v98
	buffer_store_dword v69, off, s[20:23], 0 ; 4-byte Folded Spill
	s_nop 0
	buffer_store_dword v70, off, s[20:23], 0 offset:4 ; 4-byte Folded Spill
	buffer_store_dword v71, off, s[20:23], 0 offset:8 ; 4-byte Folded Spill
	;; [unrolled: 1-line block ×3, first 2 shown]
	v_add_f64 v[75:76], v[75:76], -v[99:100]
.LBB93_262:
	s_or_b64 exec, exec, s[2:3]
	v_cmp_eq_u32_e32 vcc, 29, v0
	s_waitcnt vmcnt(0)
	s_barrier
	s_and_saveexec_b64 s[4:5], vcc
	s_cbranch_execz .LBB93_269
; %bb.263:
	ds_write2_b64 v127, v[65:66], v[67:68] offset1:1
	ds_write2_b64 v125, v[61:62], v[63:64] offset0:60 offset1:61
	ds_write2_b64 v125, v[57:58], v[59:60] offset0:62 offset1:63
	;; [unrolled: 1-line block ×17, first 2 shown]
	ds_read2_b64 v[97:100], v127 offset1:1
	s_waitcnt lgkmcnt(0)
	v_cmp_neq_f64_e32 vcc, 0, v[97:98]
	v_cmp_neq_f64_e64 s[2:3], 0, v[99:100]
	s_or_b64 s[2:3], vcc, s[2:3]
	s_and_b64 exec, exec, s[2:3]
	s_cbranch_execz .LBB93_269
; %bb.264:
	v_cmp_ngt_f64_e64 s[2:3], |v[97:98]|, |v[99:100]|
                                        ; implicit-def: $vgpr101_vgpr102
	s_and_saveexec_b64 s[6:7], s[2:3]
	s_xor_b64 s[2:3], exec, s[6:7]
                                        ; implicit-def: $vgpr103_vgpr104
	s_cbranch_execz .LBB93_266
; %bb.265:
	v_div_scale_f64 v[101:102], s[6:7], v[99:100], v[99:100], v[97:98]
	v_rcp_f64_e32 v[103:104], v[101:102]
	v_fma_f64 v[105:106], -v[101:102], v[103:104], 1.0
	v_fma_f64 v[103:104], v[103:104], v[105:106], v[103:104]
	v_div_scale_f64 v[105:106], vcc, v[97:98], v[99:100], v[97:98]
	v_fma_f64 v[107:108], -v[101:102], v[103:104], 1.0
	v_fma_f64 v[103:104], v[103:104], v[107:108], v[103:104]
	v_mul_f64 v[107:108], v[105:106], v[103:104]
	v_fma_f64 v[101:102], -v[101:102], v[107:108], v[105:106]
	v_div_fmas_f64 v[101:102], v[101:102], v[103:104], v[107:108]
	v_div_fixup_f64 v[101:102], v[101:102], v[99:100], v[97:98]
	v_fma_f64 v[97:98], v[97:98], v[101:102], v[99:100]
	v_div_scale_f64 v[99:100], s[6:7], v[97:98], v[97:98], 1.0
	v_div_scale_f64 v[107:108], vcc, 1.0, v[97:98], 1.0
	v_rcp_f64_e32 v[103:104], v[99:100]
	v_fma_f64 v[105:106], -v[99:100], v[103:104], 1.0
	v_fma_f64 v[103:104], v[103:104], v[105:106], v[103:104]
	v_fma_f64 v[105:106], -v[99:100], v[103:104], 1.0
	v_fma_f64 v[103:104], v[103:104], v[105:106], v[103:104]
	v_mul_f64 v[105:106], v[107:108], v[103:104]
	v_fma_f64 v[99:100], -v[99:100], v[105:106], v[107:108]
	v_div_fmas_f64 v[99:100], v[99:100], v[103:104], v[105:106]
	v_div_fixup_f64 v[103:104], v[99:100], v[97:98], 1.0
                                        ; implicit-def: $vgpr97_vgpr98
	v_mul_f64 v[101:102], v[101:102], v[103:104]
	v_xor_b32_e32 v104, 0x80000000, v104
.LBB93_266:
	s_andn2_saveexec_b64 s[2:3], s[2:3]
	s_cbranch_execz .LBB93_268
; %bb.267:
	v_div_scale_f64 v[101:102], s[6:7], v[97:98], v[97:98], v[99:100]
	v_rcp_f64_e32 v[103:104], v[101:102]
	v_fma_f64 v[105:106], -v[101:102], v[103:104], 1.0
	v_fma_f64 v[103:104], v[103:104], v[105:106], v[103:104]
	v_div_scale_f64 v[105:106], vcc, v[99:100], v[97:98], v[99:100]
	v_fma_f64 v[107:108], -v[101:102], v[103:104], 1.0
	v_fma_f64 v[103:104], v[103:104], v[107:108], v[103:104]
	v_mul_f64 v[107:108], v[105:106], v[103:104]
	v_fma_f64 v[101:102], -v[101:102], v[107:108], v[105:106]
	v_div_fmas_f64 v[101:102], v[101:102], v[103:104], v[107:108]
	v_div_fixup_f64 v[103:104], v[101:102], v[97:98], v[99:100]
	v_fma_f64 v[97:98], v[99:100], v[103:104], v[97:98]
	v_div_scale_f64 v[99:100], s[6:7], v[97:98], v[97:98], 1.0
	v_div_scale_f64 v[107:108], vcc, 1.0, v[97:98], 1.0
	v_rcp_f64_e32 v[101:102], v[99:100]
	v_fma_f64 v[105:106], -v[99:100], v[101:102], 1.0
	v_fma_f64 v[101:102], v[101:102], v[105:106], v[101:102]
	v_fma_f64 v[105:106], -v[99:100], v[101:102], 1.0
	v_fma_f64 v[101:102], v[101:102], v[105:106], v[101:102]
	v_mul_f64 v[105:106], v[107:108], v[101:102]
	v_fma_f64 v[99:100], -v[99:100], v[105:106], v[107:108]
	v_div_fmas_f64 v[99:100], v[99:100], v[101:102], v[105:106]
	v_div_fixup_f64 v[101:102], v[99:100], v[97:98], 1.0
	v_mul_f64 v[103:104], v[103:104], -v[101:102]
.LBB93_268:
	s_or_b64 exec, exec, s[2:3]
	ds_write2_b64 v127, v[101:102], v[103:104] offset1:1
.LBB93_269:
	s_or_b64 exec, exec, s[4:5]
	s_waitcnt lgkmcnt(0)
	s_barrier
	ds_read2_b64 v[69:72], v127 offset1:1
	v_cmp_lt_u32_e32 vcc, 29, v0
	s_waitcnt lgkmcnt(0)
	buffer_store_dword v69, off, s[20:23], 0 offset:1216 ; 4-byte Folded Spill
	s_nop 0
	buffer_store_dword v70, off, s[20:23], 0 offset:1220 ; 4-byte Folded Spill
	buffer_store_dword v71, off, s[20:23], 0 offset:1224 ; 4-byte Folded Spill
	;; [unrolled: 1-line block ×3, first 2 shown]
	s_and_saveexec_b64 s[2:3], vcc
	s_cbranch_execz .LBB93_271
; %bb.270:
	buffer_load_dword v69, off, s[20:23], 0 offset:1216 ; 4-byte Folded Reload
	buffer_load_dword v70, off, s[20:23], 0 offset:1220 ; 4-byte Folded Reload
	;; [unrolled: 1-line block ×4, first 2 shown]
	ds_read2_b64 v[99:102], v125 offset0:60 offset1:61
	s_waitcnt vmcnt(0)
	v_mul_f64 v[97:98], v[71:72], v[67:68]
	v_mul_f64 v[67:68], v[69:70], v[67:68]
	v_fma_f64 v[97:98], v[69:70], v[65:66], -v[97:98]
	v_fma_f64 v[67:68], v[71:72], v[65:66], v[67:68]
	s_waitcnt lgkmcnt(0)
	v_mul_f64 v[65:66], v[101:102], v[67:68]
	v_fma_f64 v[65:66], v[99:100], v[97:98], -v[65:66]
	v_mul_f64 v[99:100], v[99:100], v[67:68]
	v_add_f64 v[61:62], v[61:62], -v[65:66]
	v_fma_f64 v[99:100], v[101:102], v[97:98], v[99:100]
	v_add_f64 v[63:64], v[63:64], -v[99:100]
	ds_read2_b64 v[99:102], v125 offset0:62 offset1:63
	s_waitcnt lgkmcnt(0)
	v_mul_f64 v[65:66], v[101:102], v[67:68]
	v_fma_f64 v[65:66], v[99:100], v[97:98], -v[65:66]
	v_mul_f64 v[99:100], v[99:100], v[67:68]
	v_add_f64 v[57:58], v[57:58], -v[65:66]
	v_fma_f64 v[99:100], v[101:102], v[97:98], v[99:100]
	v_add_f64 v[59:60], v[59:60], -v[99:100]
	ds_read2_b64 v[99:102], v125 offset0:64 offset1:65
	;; [unrolled: 8-line block ×16, first 2 shown]
	s_waitcnt lgkmcnt(0)
	v_mul_f64 v[65:66], v[101:102], v[67:68]
	v_fma_f64 v[65:66], v[99:100], v[97:98], -v[65:66]
	v_mul_f64 v[99:100], v[99:100], v[67:68]
	v_add_f64 v[73:74], v[73:74], -v[65:66]
	v_fma_f64 v[99:100], v[101:102], v[97:98], v[99:100]
	v_mov_b32_e32 v65, v97
	v_mov_b32_e32 v66, v98
	v_add_f64 v[75:76], v[75:76], -v[99:100]
.LBB93_271:
	s_or_b64 exec, exec, s[2:3]
	v_cmp_eq_u32_e32 vcc, 30, v0
	s_waitcnt vmcnt(0)
	s_barrier
	s_and_saveexec_b64 s[4:5], vcc
	s_cbranch_execz .LBB93_278
; %bb.272:
	ds_write2_b64 v127, v[61:62], v[63:64] offset1:1
	ds_write2_b64 v125, v[57:58], v[59:60] offset0:62 offset1:63
	ds_write2_b64 v125, v[53:54], v[55:56] offset0:64 offset1:65
	;; [unrolled: 1-line block ×16, first 2 shown]
	ds_read2_b64 v[97:100], v127 offset1:1
	s_waitcnt lgkmcnt(0)
	v_cmp_neq_f64_e32 vcc, 0, v[97:98]
	v_cmp_neq_f64_e64 s[2:3], 0, v[99:100]
	s_or_b64 s[2:3], vcc, s[2:3]
	s_and_b64 exec, exec, s[2:3]
	s_cbranch_execz .LBB93_278
; %bb.273:
	v_cmp_ngt_f64_e64 s[2:3], |v[97:98]|, |v[99:100]|
                                        ; implicit-def: $vgpr101_vgpr102
	s_and_saveexec_b64 s[6:7], s[2:3]
	s_xor_b64 s[2:3], exec, s[6:7]
                                        ; implicit-def: $vgpr103_vgpr104
	s_cbranch_execz .LBB93_275
; %bb.274:
	v_div_scale_f64 v[101:102], s[6:7], v[99:100], v[99:100], v[97:98]
	v_rcp_f64_e32 v[103:104], v[101:102]
	v_fma_f64 v[105:106], -v[101:102], v[103:104], 1.0
	v_fma_f64 v[103:104], v[103:104], v[105:106], v[103:104]
	v_div_scale_f64 v[105:106], vcc, v[97:98], v[99:100], v[97:98]
	v_fma_f64 v[107:108], -v[101:102], v[103:104], 1.0
	v_fma_f64 v[103:104], v[103:104], v[107:108], v[103:104]
	v_mul_f64 v[107:108], v[105:106], v[103:104]
	v_fma_f64 v[101:102], -v[101:102], v[107:108], v[105:106]
	v_div_fmas_f64 v[101:102], v[101:102], v[103:104], v[107:108]
	v_div_fixup_f64 v[101:102], v[101:102], v[99:100], v[97:98]
	v_fma_f64 v[97:98], v[97:98], v[101:102], v[99:100]
	v_div_scale_f64 v[99:100], s[6:7], v[97:98], v[97:98], 1.0
	v_div_scale_f64 v[107:108], vcc, 1.0, v[97:98], 1.0
	v_rcp_f64_e32 v[103:104], v[99:100]
	v_fma_f64 v[105:106], -v[99:100], v[103:104], 1.0
	v_fma_f64 v[103:104], v[103:104], v[105:106], v[103:104]
	v_fma_f64 v[105:106], -v[99:100], v[103:104], 1.0
	v_fma_f64 v[103:104], v[103:104], v[105:106], v[103:104]
	v_mul_f64 v[105:106], v[107:108], v[103:104]
	v_fma_f64 v[99:100], -v[99:100], v[105:106], v[107:108]
	v_div_fmas_f64 v[99:100], v[99:100], v[103:104], v[105:106]
	v_div_fixup_f64 v[103:104], v[99:100], v[97:98], 1.0
                                        ; implicit-def: $vgpr97_vgpr98
	v_mul_f64 v[101:102], v[101:102], v[103:104]
	v_xor_b32_e32 v104, 0x80000000, v104
.LBB93_275:
	s_andn2_saveexec_b64 s[2:3], s[2:3]
	s_cbranch_execz .LBB93_277
; %bb.276:
	v_div_scale_f64 v[101:102], s[6:7], v[97:98], v[97:98], v[99:100]
	v_rcp_f64_e32 v[103:104], v[101:102]
	v_fma_f64 v[105:106], -v[101:102], v[103:104], 1.0
	v_fma_f64 v[103:104], v[103:104], v[105:106], v[103:104]
	v_div_scale_f64 v[105:106], vcc, v[99:100], v[97:98], v[99:100]
	v_fma_f64 v[107:108], -v[101:102], v[103:104], 1.0
	v_fma_f64 v[103:104], v[103:104], v[107:108], v[103:104]
	v_mul_f64 v[107:108], v[105:106], v[103:104]
	v_fma_f64 v[101:102], -v[101:102], v[107:108], v[105:106]
	v_div_fmas_f64 v[101:102], v[101:102], v[103:104], v[107:108]
	v_div_fixup_f64 v[103:104], v[101:102], v[97:98], v[99:100]
	v_fma_f64 v[97:98], v[99:100], v[103:104], v[97:98]
	v_div_scale_f64 v[99:100], s[6:7], v[97:98], v[97:98], 1.0
	v_div_scale_f64 v[107:108], vcc, 1.0, v[97:98], 1.0
	v_rcp_f64_e32 v[101:102], v[99:100]
	v_fma_f64 v[105:106], -v[99:100], v[101:102], 1.0
	v_fma_f64 v[101:102], v[101:102], v[105:106], v[101:102]
	v_fma_f64 v[105:106], -v[99:100], v[101:102], 1.0
	v_fma_f64 v[101:102], v[101:102], v[105:106], v[101:102]
	v_mul_f64 v[105:106], v[107:108], v[101:102]
	v_fma_f64 v[99:100], -v[99:100], v[105:106], v[107:108]
	v_div_fmas_f64 v[99:100], v[99:100], v[101:102], v[105:106]
	v_div_fixup_f64 v[101:102], v[99:100], v[97:98], 1.0
	v_mul_f64 v[103:104], v[103:104], -v[101:102]
.LBB93_277:
	s_or_b64 exec, exec, s[2:3]
	ds_write2_b64 v127, v[101:102], v[103:104] offset1:1
.LBB93_278:
	s_or_b64 exec, exec, s[4:5]
	s_waitcnt lgkmcnt(0)
	s_barrier
	ds_read2_b64 v[69:72], v127 offset1:1
	v_cmp_lt_u32_e32 vcc, 30, v0
	s_waitcnt lgkmcnt(0)
	buffer_store_dword v69, off, s[20:23], 0 offset:1232 ; 4-byte Folded Spill
	s_nop 0
	buffer_store_dword v70, off, s[20:23], 0 offset:1236 ; 4-byte Folded Spill
	buffer_store_dword v71, off, s[20:23], 0 offset:1240 ; 4-byte Folded Spill
	buffer_store_dword v72, off, s[20:23], 0 offset:1244 ; 4-byte Folded Spill
	s_and_saveexec_b64 s[2:3], vcc
	s_cbranch_execz .LBB93_280
; %bb.279:
	buffer_load_dword v69, off, s[20:23], 0 offset:1232 ; 4-byte Folded Reload
	buffer_load_dword v70, off, s[20:23], 0 offset:1236 ; 4-byte Folded Reload
	;; [unrolled: 1-line block ×4, first 2 shown]
	ds_read2_b64 v[99:102], v125 offset0:62 offset1:63
	s_waitcnt vmcnt(2)
	v_mul_f64 v[97:98], v[69:70], v[63:64]
	s_waitcnt vmcnt(0)
	v_mul_f64 v[63:64], v[71:72], v[63:64]
	v_fma_f64 v[97:98], v[71:72], v[61:62], v[97:98]
	v_fma_f64 v[61:62], v[69:70], v[61:62], -v[63:64]
	s_waitcnt lgkmcnt(0)
	v_mul_f64 v[63:64], v[101:102], v[97:98]
	v_fma_f64 v[63:64], v[99:100], v[61:62], -v[63:64]
	v_mul_f64 v[99:100], v[99:100], v[97:98]
	v_add_f64 v[57:58], v[57:58], -v[63:64]
	v_fma_f64 v[99:100], v[101:102], v[61:62], v[99:100]
	v_add_f64 v[59:60], v[59:60], -v[99:100]
	ds_read2_b64 v[99:102], v125 offset0:64 offset1:65
	s_waitcnt lgkmcnt(0)
	v_mul_f64 v[63:64], v[101:102], v[97:98]
	v_fma_f64 v[63:64], v[99:100], v[61:62], -v[63:64]
	v_mul_f64 v[99:100], v[99:100], v[97:98]
	v_add_f64 v[53:54], v[53:54], -v[63:64]
	v_fma_f64 v[99:100], v[101:102], v[61:62], v[99:100]
	v_add_f64 v[55:56], v[55:56], -v[99:100]
	ds_read2_b64 v[99:102], v125 offset0:66 offset1:67
	s_waitcnt lgkmcnt(0)
	v_mul_f64 v[63:64], v[101:102], v[97:98]
	v_fma_f64 v[63:64], v[99:100], v[61:62], -v[63:64]
	v_mul_f64 v[99:100], v[99:100], v[97:98]
	v_add_f64 v[49:50], v[49:50], -v[63:64]
	v_fma_f64 v[99:100], v[101:102], v[61:62], v[99:100]
	v_add_f64 v[51:52], v[51:52], -v[99:100]
	ds_read2_b64 v[99:102], v125 offset0:68 offset1:69
	s_waitcnt lgkmcnt(0)
	v_mul_f64 v[63:64], v[101:102], v[97:98]
	v_fma_f64 v[63:64], v[99:100], v[61:62], -v[63:64]
	v_mul_f64 v[99:100], v[99:100], v[97:98]
	v_add_f64 v[45:46], v[45:46], -v[63:64]
	v_fma_f64 v[99:100], v[101:102], v[61:62], v[99:100]
	v_add_f64 v[47:48], v[47:48], -v[99:100]
	ds_read2_b64 v[99:102], v125 offset0:70 offset1:71
	s_waitcnt lgkmcnt(0)
	v_mul_f64 v[63:64], v[101:102], v[97:98]
	v_fma_f64 v[63:64], v[99:100], v[61:62], -v[63:64]
	v_mul_f64 v[99:100], v[99:100], v[97:98]
	v_add_f64 v[41:42], v[41:42], -v[63:64]
	v_fma_f64 v[99:100], v[101:102], v[61:62], v[99:100]
	v_add_f64 v[43:44], v[43:44], -v[99:100]
	ds_read2_b64 v[99:102], v125 offset0:72 offset1:73
	s_waitcnt lgkmcnt(0)
	v_mul_f64 v[63:64], v[101:102], v[97:98]
	v_fma_f64 v[63:64], v[99:100], v[61:62], -v[63:64]
	v_mul_f64 v[99:100], v[99:100], v[97:98]
	v_add_f64 v[37:38], v[37:38], -v[63:64]
	v_fma_f64 v[99:100], v[101:102], v[61:62], v[99:100]
	v_add_f64 v[39:40], v[39:40], -v[99:100]
	ds_read2_b64 v[99:102], v125 offset0:74 offset1:75
	s_waitcnt lgkmcnt(0)
	v_mul_f64 v[63:64], v[101:102], v[97:98]
	v_fma_f64 v[63:64], v[99:100], v[61:62], -v[63:64]
	v_mul_f64 v[99:100], v[99:100], v[97:98]
	v_add_f64 v[33:34], v[33:34], -v[63:64]
	v_fma_f64 v[99:100], v[101:102], v[61:62], v[99:100]
	v_add_f64 v[35:36], v[35:36], -v[99:100]
	ds_read2_b64 v[99:102], v125 offset0:76 offset1:77
	s_waitcnt lgkmcnt(0)
	v_mul_f64 v[63:64], v[101:102], v[97:98]
	v_fma_f64 v[63:64], v[99:100], v[61:62], -v[63:64]
	v_mul_f64 v[99:100], v[99:100], v[97:98]
	v_add_f64 v[29:30], v[29:30], -v[63:64]
	v_fma_f64 v[99:100], v[101:102], v[61:62], v[99:100]
	v_add_f64 v[31:32], v[31:32], -v[99:100]
	ds_read2_b64 v[99:102], v125 offset0:78 offset1:79
	s_waitcnt lgkmcnt(0)
	v_mul_f64 v[63:64], v[101:102], v[97:98]
	v_fma_f64 v[63:64], v[99:100], v[61:62], -v[63:64]
	v_mul_f64 v[99:100], v[99:100], v[97:98]
	v_add_f64 v[25:26], v[25:26], -v[63:64]
	v_fma_f64 v[99:100], v[101:102], v[61:62], v[99:100]
	v_add_f64 v[27:28], v[27:28], -v[99:100]
	ds_read2_b64 v[99:102], v125 offset0:80 offset1:81
	s_waitcnt lgkmcnt(0)
	v_mul_f64 v[63:64], v[101:102], v[97:98]
	v_fma_f64 v[63:64], v[99:100], v[61:62], -v[63:64]
	v_mul_f64 v[99:100], v[99:100], v[97:98]
	v_add_f64 v[21:22], v[21:22], -v[63:64]
	v_fma_f64 v[99:100], v[101:102], v[61:62], v[99:100]
	v_add_f64 v[23:24], v[23:24], -v[99:100]
	ds_read2_b64 v[99:102], v125 offset0:82 offset1:83
	s_waitcnt lgkmcnt(0)
	v_mul_f64 v[63:64], v[101:102], v[97:98]
	v_fma_f64 v[63:64], v[99:100], v[61:62], -v[63:64]
	v_mul_f64 v[99:100], v[99:100], v[97:98]
	v_add_f64 v[17:18], v[17:18], -v[63:64]
	v_fma_f64 v[99:100], v[101:102], v[61:62], v[99:100]
	v_add_f64 v[19:20], v[19:20], -v[99:100]
	ds_read2_b64 v[99:102], v125 offset0:84 offset1:85
	s_waitcnt lgkmcnt(0)
	v_mul_f64 v[63:64], v[101:102], v[97:98]
	v_fma_f64 v[63:64], v[99:100], v[61:62], -v[63:64]
	v_mul_f64 v[99:100], v[99:100], v[97:98]
	v_add_f64 v[13:14], v[13:14], -v[63:64]
	v_fma_f64 v[99:100], v[101:102], v[61:62], v[99:100]
	v_add_f64 v[15:16], v[15:16], -v[99:100]
	ds_read2_b64 v[99:102], v125 offset0:86 offset1:87
	s_waitcnt lgkmcnt(0)
	v_mul_f64 v[63:64], v[101:102], v[97:98]
	v_fma_f64 v[63:64], v[99:100], v[61:62], -v[63:64]
	v_mul_f64 v[99:100], v[99:100], v[97:98]
	v_add_f64 v[9:10], v[9:10], -v[63:64]
	v_fma_f64 v[99:100], v[101:102], v[61:62], v[99:100]
	v_add_f64 v[11:12], v[11:12], -v[99:100]
	ds_read2_b64 v[99:102], v125 offset0:88 offset1:89
	s_waitcnt lgkmcnt(0)
	v_mul_f64 v[63:64], v[101:102], v[97:98]
	v_fma_f64 v[63:64], v[99:100], v[61:62], -v[63:64]
	v_mul_f64 v[99:100], v[99:100], v[97:98]
	v_add_f64 v[5:6], v[5:6], -v[63:64]
	v_fma_f64 v[99:100], v[101:102], v[61:62], v[99:100]
	v_add_f64 v[7:8], v[7:8], -v[99:100]
	ds_read2_b64 v[99:102], v125 offset0:90 offset1:91
	s_waitcnt lgkmcnt(0)
	v_mul_f64 v[63:64], v[101:102], v[97:98]
	v_fma_f64 v[63:64], v[99:100], v[61:62], -v[63:64]
	v_mul_f64 v[99:100], v[99:100], v[97:98]
	v_add_f64 v[1:2], v[1:2], -v[63:64]
	v_fma_f64 v[99:100], v[101:102], v[61:62], v[99:100]
	v_add_f64 v[3:4], v[3:4], -v[99:100]
	ds_read2_b64 v[99:102], v125 offset0:92 offset1:93
	s_waitcnt lgkmcnt(0)
	v_mul_f64 v[63:64], v[101:102], v[97:98]
	v_fma_f64 v[63:64], v[99:100], v[61:62], -v[63:64]
	v_mul_f64 v[99:100], v[99:100], v[97:98]
	v_add_f64 v[73:74], v[73:74], -v[63:64]
	v_fma_f64 v[99:100], v[101:102], v[61:62], v[99:100]
	v_mov_b32_e32 v63, v97
	v_mov_b32_e32 v64, v98
	v_add_f64 v[75:76], v[75:76], -v[99:100]
.LBB93_280:
	s_or_b64 exec, exec, s[2:3]
	v_cmp_eq_u32_e32 vcc, 31, v0
	s_waitcnt vmcnt(0)
	s_barrier
	s_and_saveexec_b64 s[4:5], vcc
	s_cbranch_execz .LBB93_287
; %bb.281:
	ds_write2_b64 v127, v[57:58], v[59:60] offset1:1
	ds_write2_b64 v125, v[53:54], v[55:56] offset0:64 offset1:65
	ds_write2_b64 v125, v[49:50], v[51:52] offset0:66 offset1:67
	;; [unrolled: 1-line block ×15, first 2 shown]
	ds_read2_b64 v[97:100], v127 offset1:1
	s_waitcnt lgkmcnt(0)
	v_cmp_neq_f64_e32 vcc, 0, v[97:98]
	v_cmp_neq_f64_e64 s[2:3], 0, v[99:100]
	s_or_b64 s[2:3], vcc, s[2:3]
	s_and_b64 exec, exec, s[2:3]
	s_cbranch_execz .LBB93_287
; %bb.282:
	v_cmp_ngt_f64_e64 s[2:3], |v[97:98]|, |v[99:100]|
                                        ; implicit-def: $vgpr101_vgpr102
	s_and_saveexec_b64 s[6:7], s[2:3]
	s_xor_b64 s[2:3], exec, s[6:7]
                                        ; implicit-def: $vgpr103_vgpr104
	s_cbranch_execz .LBB93_284
; %bb.283:
	v_div_scale_f64 v[101:102], s[6:7], v[99:100], v[99:100], v[97:98]
	v_rcp_f64_e32 v[103:104], v[101:102]
	v_fma_f64 v[105:106], -v[101:102], v[103:104], 1.0
	v_fma_f64 v[103:104], v[103:104], v[105:106], v[103:104]
	v_div_scale_f64 v[105:106], vcc, v[97:98], v[99:100], v[97:98]
	v_fma_f64 v[107:108], -v[101:102], v[103:104], 1.0
	v_fma_f64 v[103:104], v[103:104], v[107:108], v[103:104]
	v_mul_f64 v[107:108], v[105:106], v[103:104]
	v_fma_f64 v[101:102], -v[101:102], v[107:108], v[105:106]
	v_div_fmas_f64 v[101:102], v[101:102], v[103:104], v[107:108]
	v_div_fixup_f64 v[101:102], v[101:102], v[99:100], v[97:98]
	v_fma_f64 v[97:98], v[97:98], v[101:102], v[99:100]
	v_div_scale_f64 v[99:100], s[6:7], v[97:98], v[97:98], 1.0
	v_div_scale_f64 v[107:108], vcc, 1.0, v[97:98], 1.0
	v_rcp_f64_e32 v[103:104], v[99:100]
	v_fma_f64 v[105:106], -v[99:100], v[103:104], 1.0
	v_fma_f64 v[103:104], v[103:104], v[105:106], v[103:104]
	v_fma_f64 v[105:106], -v[99:100], v[103:104], 1.0
	v_fma_f64 v[103:104], v[103:104], v[105:106], v[103:104]
	v_mul_f64 v[105:106], v[107:108], v[103:104]
	v_fma_f64 v[99:100], -v[99:100], v[105:106], v[107:108]
	v_div_fmas_f64 v[99:100], v[99:100], v[103:104], v[105:106]
	v_div_fixup_f64 v[103:104], v[99:100], v[97:98], 1.0
                                        ; implicit-def: $vgpr97_vgpr98
	v_mul_f64 v[101:102], v[101:102], v[103:104]
	v_xor_b32_e32 v104, 0x80000000, v104
.LBB93_284:
	s_andn2_saveexec_b64 s[2:3], s[2:3]
	s_cbranch_execz .LBB93_286
; %bb.285:
	v_div_scale_f64 v[101:102], s[6:7], v[97:98], v[97:98], v[99:100]
	v_rcp_f64_e32 v[103:104], v[101:102]
	v_fma_f64 v[105:106], -v[101:102], v[103:104], 1.0
	v_fma_f64 v[103:104], v[103:104], v[105:106], v[103:104]
	v_div_scale_f64 v[105:106], vcc, v[99:100], v[97:98], v[99:100]
	v_fma_f64 v[107:108], -v[101:102], v[103:104], 1.0
	v_fma_f64 v[103:104], v[103:104], v[107:108], v[103:104]
	v_mul_f64 v[107:108], v[105:106], v[103:104]
	v_fma_f64 v[101:102], -v[101:102], v[107:108], v[105:106]
	v_div_fmas_f64 v[101:102], v[101:102], v[103:104], v[107:108]
	v_div_fixup_f64 v[103:104], v[101:102], v[97:98], v[99:100]
	v_fma_f64 v[97:98], v[99:100], v[103:104], v[97:98]
	v_div_scale_f64 v[99:100], s[6:7], v[97:98], v[97:98], 1.0
	v_div_scale_f64 v[107:108], vcc, 1.0, v[97:98], 1.0
	v_rcp_f64_e32 v[101:102], v[99:100]
	v_fma_f64 v[105:106], -v[99:100], v[101:102], 1.0
	v_fma_f64 v[101:102], v[101:102], v[105:106], v[101:102]
	v_fma_f64 v[105:106], -v[99:100], v[101:102], 1.0
	v_fma_f64 v[101:102], v[101:102], v[105:106], v[101:102]
	v_mul_f64 v[105:106], v[107:108], v[101:102]
	v_fma_f64 v[99:100], -v[99:100], v[105:106], v[107:108]
	v_div_fmas_f64 v[99:100], v[99:100], v[101:102], v[105:106]
	v_div_fixup_f64 v[101:102], v[99:100], v[97:98], 1.0
	v_mul_f64 v[103:104], v[103:104], -v[101:102]
.LBB93_286:
	s_or_b64 exec, exec, s[2:3]
	ds_write2_b64 v127, v[101:102], v[103:104] offset1:1
.LBB93_287:
	s_or_b64 exec, exec, s[4:5]
	s_waitcnt lgkmcnt(0)
	s_barrier
	ds_read2_b64 v[69:72], v127 offset1:1
	v_cmp_lt_u32_e32 vcc, 31, v0
	s_waitcnt lgkmcnt(0)
	buffer_store_dword v69, off, s[20:23], 0 offset:1248 ; 4-byte Folded Spill
	s_nop 0
	buffer_store_dword v70, off, s[20:23], 0 offset:1252 ; 4-byte Folded Spill
	buffer_store_dword v71, off, s[20:23], 0 offset:1256 ; 4-byte Folded Spill
	;; [unrolled: 1-line block ×3, first 2 shown]
	s_and_saveexec_b64 s[2:3], vcc
	s_cbranch_execz .LBB93_289
; %bb.288:
	buffer_load_dword v69, off, s[20:23], 0 offset:1248 ; 4-byte Folded Reload
	buffer_load_dword v70, off, s[20:23], 0 offset:1252 ; 4-byte Folded Reload
	;; [unrolled: 1-line block ×4, first 2 shown]
	ds_read2_b64 v[99:102], v125 offset0:64 offset1:65
	s_waitcnt vmcnt(2)
	v_mul_f64 v[97:98], v[69:70], v[59:60]
	s_waitcnt vmcnt(0)
	v_mul_f64 v[59:60], v[71:72], v[59:60]
	v_fma_f64 v[97:98], v[71:72], v[57:58], v[97:98]
	v_fma_f64 v[57:58], v[69:70], v[57:58], -v[59:60]
	s_waitcnt lgkmcnt(0)
	v_mul_f64 v[59:60], v[101:102], v[97:98]
	v_fma_f64 v[59:60], v[99:100], v[57:58], -v[59:60]
	v_mul_f64 v[99:100], v[99:100], v[97:98]
	v_add_f64 v[53:54], v[53:54], -v[59:60]
	v_fma_f64 v[99:100], v[101:102], v[57:58], v[99:100]
	v_add_f64 v[55:56], v[55:56], -v[99:100]
	ds_read2_b64 v[99:102], v125 offset0:66 offset1:67
	s_waitcnt lgkmcnt(0)
	v_mul_f64 v[59:60], v[101:102], v[97:98]
	v_fma_f64 v[59:60], v[99:100], v[57:58], -v[59:60]
	v_mul_f64 v[99:100], v[99:100], v[97:98]
	v_add_f64 v[49:50], v[49:50], -v[59:60]
	v_fma_f64 v[99:100], v[101:102], v[57:58], v[99:100]
	v_add_f64 v[51:52], v[51:52], -v[99:100]
	ds_read2_b64 v[99:102], v125 offset0:68 offset1:69
	;; [unrolled: 8-line block ×14, first 2 shown]
	s_waitcnt lgkmcnt(0)
	v_mul_f64 v[59:60], v[101:102], v[97:98]
	v_fma_f64 v[59:60], v[99:100], v[57:58], -v[59:60]
	v_mul_f64 v[99:100], v[99:100], v[97:98]
	v_add_f64 v[73:74], v[73:74], -v[59:60]
	v_fma_f64 v[99:100], v[101:102], v[57:58], v[99:100]
	v_mov_b32_e32 v59, v97
	v_mov_b32_e32 v60, v98
	v_add_f64 v[75:76], v[75:76], -v[99:100]
.LBB93_289:
	s_or_b64 exec, exec, s[2:3]
	v_cmp_eq_u32_e32 vcc, 32, v0
	s_waitcnt vmcnt(0)
	s_barrier
	s_and_saveexec_b64 s[4:5], vcc
	s_cbranch_execz .LBB93_296
; %bb.290:
	ds_write2_b64 v127, v[53:54], v[55:56] offset1:1
	ds_write2_b64 v125, v[49:50], v[51:52] offset0:66 offset1:67
	ds_write2_b64 v125, v[45:46], v[47:48] offset0:68 offset1:69
	;; [unrolled: 1-line block ×14, first 2 shown]
	ds_read2_b64 v[97:100], v127 offset1:1
	s_waitcnt lgkmcnt(0)
	v_cmp_neq_f64_e32 vcc, 0, v[97:98]
	v_cmp_neq_f64_e64 s[2:3], 0, v[99:100]
	s_or_b64 s[2:3], vcc, s[2:3]
	s_and_b64 exec, exec, s[2:3]
	s_cbranch_execz .LBB93_296
; %bb.291:
	v_cmp_ngt_f64_e64 s[2:3], |v[97:98]|, |v[99:100]|
                                        ; implicit-def: $vgpr101_vgpr102
	s_and_saveexec_b64 s[6:7], s[2:3]
	s_xor_b64 s[2:3], exec, s[6:7]
                                        ; implicit-def: $vgpr103_vgpr104
	s_cbranch_execz .LBB93_293
; %bb.292:
	v_div_scale_f64 v[101:102], s[6:7], v[99:100], v[99:100], v[97:98]
	v_rcp_f64_e32 v[103:104], v[101:102]
	v_fma_f64 v[105:106], -v[101:102], v[103:104], 1.0
	v_fma_f64 v[103:104], v[103:104], v[105:106], v[103:104]
	v_div_scale_f64 v[105:106], vcc, v[97:98], v[99:100], v[97:98]
	v_fma_f64 v[107:108], -v[101:102], v[103:104], 1.0
	v_fma_f64 v[103:104], v[103:104], v[107:108], v[103:104]
	v_mul_f64 v[107:108], v[105:106], v[103:104]
	v_fma_f64 v[101:102], -v[101:102], v[107:108], v[105:106]
	v_div_fmas_f64 v[101:102], v[101:102], v[103:104], v[107:108]
	v_div_fixup_f64 v[101:102], v[101:102], v[99:100], v[97:98]
	v_fma_f64 v[97:98], v[97:98], v[101:102], v[99:100]
	v_div_scale_f64 v[99:100], s[6:7], v[97:98], v[97:98], 1.0
	v_div_scale_f64 v[107:108], vcc, 1.0, v[97:98], 1.0
	v_rcp_f64_e32 v[103:104], v[99:100]
	v_fma_f64 v[105:106], -v[99:100], v[103:104], 1.0
	v_fma_f64 v[103:104], v[103:104], v[105:106], v[103:104]
	v_fma_f64 v[105:106], -v[99:100], v[103:104], 1.0
	v_fma_f64 v[103:104], v[103:104], v[105:106], v[103:104]
	v_mul_f64 v[105:106], v[107:108], v[103:104]
	v_fma_f64 v[99:100], -v[99:100], v[105:106], v[107:108]
	v_div_fmas_f64 v[99:100], v[99:100], v[103:104], v[105:106]
	v_div_fixup_f64 v[103:104], v[99:100], v[97:98], 1.0
                                        ; implicit-def: $vgpr97_vgpr98
	v_mul_f64 v[101:102], v[101:102], v[103:104]
	v_xor_b32_e32 v104, 0x80000000, v104
.LBB93_293:
	s_andn2_saveexec_b64 s[2:3], s[2:3]
	s_cbranch_execz .LBB93_295
; %bb.294:
	v_div_scale_f64 v[101:102], s[6:7], v[97:98], v[97:98], v[99:100]
	v_rcp_f64_e32 v[103:104], v[101:102]
	v_fma_f64 v[105:106], -v[101:102], v[103:104], 1.0
	v_fma_f64 v[103:104], v[103:104], v[105:106], v[103:104]
	v_div_scale_f64 v[105:106], vcc, v[99:100], v[97:98], v[99:100]
	v_fma_f64 v[107:108], -v[101:102], v[103:104], 1.0
	v_fma_f64 v[103:104], v[103:104], v[107:108], v[103:104]
	v_mul_f64 v[107:108], v[105:106], v[103:104]
	v_fma_f64 v[101:102], -v[101:102], v[107:108], v[105:106]
	v_div_fmas_f64 v[101:102], v[101:102], v[103:104], v[107:108]
	v_div_fixup_f64 v[103:104], v[101:102], v[97:98], v[99:100]
	v_fma_f64 v[97:98], v[99:100], v[103:104], v[97:98]
	v_div_scale_f64 v[99:100], s[6:7], v[97:98], v[97:98], 1.0
	v_div_scale_f64 v[107:108], vcc, 1.0, v[97:98], 1.0
	v_rcp_f64_e32 v[101:102], v[99:100]
	v_fma_f64 v[105:106], -v[99:100], v[101:102], 1.0
	v_fma_f64 v[101:102], v[101:102], v[105:106], v[101:102]
	v_fma_f64 v[105:106], -v[99:100], v[101:102], 1.0
	v_fma_f64 v[101:102], v[101:102], v[105:106], v[101:102]
	v_mul_f64 v[105:106], v[107:108], v[101:102]
	v_fma_f64 v[99:100], -v[99:100], v[105:106], v[107:108]
	v_div_fmas_f64 v[99:100], v[99:100], v[101:102], v[105:106]
	v_div_fixup_f64 v[101:102], v[99:100], v[97:98], 1.0
	v_mul_f64 v[103:104], v[103:104], -v[101:102]
.LBB93_295:
	s_or_b64 exec, exec, s[2:3]
	ds_write2_b64 v127, v[101:102], v[103:104] offset1:1
.LBB93_296:
	s_or_b64 exec, exec, s[4:5]
	s_waitcnt lgkmcnt(0)
	s_barrier
	ds_read2_b64 v[69:72], v127 offset1:1
	v_cmp_lt_u32_e32 vcc, 32, v0
	s_waitcnt lgkmcnt(0)
	buffer_store_dword v69, off, s[20:23], 0 offset:1264 ; 4-byte Folded Spill
	s_nop 0
	buffer_store_dword v70, off, s[20:23], 0 offset:1268 ; 4-byte Folded Spill
	buffer_store_dword v71, off, s[20:23], 0 offset:1272 ; 4-byte Folded Spill
	;; [unrolled: 1-line block ×3, first 2 shown]
	s_and_saveexec_b64 s[2:3], vcc
	s_cbranch_execz .LBB93_298
; %bb.297:
	buffer_load_dword v69, off, s[20:23], 0 offset:1264 ; 4-byte Folded Reload
	buffer_load_dword v70, off, s[20:23], 0 offset:1268 ; 4-byte Folded Reload
	;; [unrolled: 1-line block ×4, first 2 shown]
	ds_read2_b64 v[99:102], v125 offset0:66 offset1:67
	s_waitcnt vmcnt(2)
	v_mul_f64 v[97:98], v[69:70], v[55:56]
	s_waitcnt vmcnt(0)
	v_mul_f64 v[55:56], v[71:72], v[55:56]
	v_fma_f64 v[97:98], v[71:72], v[53:54], v[97:98]
	v_fma_f64 v[53:54], v[69:70], v[53:54], -v[55:56]
	s_waitcnt lgkmcnt(0)
	v_mul_f64 v[55:56], v[101:102], v[97:98]
	v_fma_f64 v[55:56], v[99:100], v[53:54], -v[55:56]
	v_mul_f64 v[99:100], v[99:100], v[97:98]
	v_add_f64 v[49:50], v[49:50], -v[55:56]
	v_fma_f64 v[99:100], v[101:102], v[53:54], v[99:100]
	v_add_f64 v[51:52], v[51:52], -v[99:100]
	ds_read2_b64 v[99:102], v125 offset0:68 offset1:69
	s_waitcnt lgkmcnt(0)
	v_mul_f64 v[55:56], v[101:102], v[97:98]
	v_fma_f64 v[55:56], v[99:100], v[53:54], -v[55:56]
	v_mul_f64 v[99:100], v[99:100], v[97:98]
	v_add_f64 v[45:46], v[45:46], -v[55:56]
	v_fma_f64 v[99:100], v[101:102], v[53:54], v[99:100]
	v_add_f64 v[47:48], v[47:48], -v[99:100]
	ds_read2_b64 v[99:102], v125 offset0:70 offset1:71
	;; [unrolled: 8-line block ×13, first 2 shown]
	s_waitcnt lgkmcnt(0)
	v_mul_f64 v[55:56], v[101:102], v[97:98]
	v_fma_f64 v[55:56], v[99:100], v[53:54], -v[55:56]
	v_mul_f64 v[99:100], v[99:100], v[97:98]
	v_add_f64 v[73:74], v[73:74], -v[55:56]
	v_fma_f64 v[99:100], v[101:102], v[53:54], v[99:100]
	v_mov_b32_e32 v55, v97
	v_mov_b32_e32 v56, v98
	v_add_f64 v[75:76], v[75:76], -v[99:100]
.LBB93_298:
	s_or_b64 exec, exec, s[2:3]
	v_cmp_eq_u32_e32 vcc, 33, v0
	s_waitcnt vmcnt(0)
	s_barrier
	s_and_saveexec_b64 s[4:5], vcc
	s_cbranch_execz .LBB93_305
; %bb.299:
	ds_write2_b64 v127, v[49:50], v[51:52] offset1:1
	ds_write2_b64 v125, v[45:46], v[47:48] offset0:68 offset1:69
	ds_write2_b64 v125, v[41:42], v[43:44] offset0:70 offset1:71
	;; [unrolled: 1-line block ×13, first 2 shown]
	ds_read2_b64 v[97:100], v127 offset1:1
	s_waitcnt lgkmcnt(0)
	v_cmp_neq_f64_e32 vcc, 0, v[97:98]
	v_cmp_neq_f64_e64 s[2:3], 0, v[99:100]
	s_or_b64 s[2:3], vcc, s[2:3]
	s_and_b64 exec, exec, s[2:3]
	s_cbranch_execz .LBB93_305
; %bb.300:
	v_cmp_ngt_f64_e64 s[2:3], |v[97:98]|, |v[99:100]|
                                        ; implicit-def: $vgpr101_vgpr102
	s_and_saveexec_b64 s[6:7], s[2:3]
	s_xor_b64 s[2:3], exec, s[6:7]
                                        ; implicit-def: $vgpr103_vgpr104
	s_cbranch_execz .LBB93_302
; %bb.301:
	v_div_scale_f64 v[101:102], s[6:7], v[99:100], v[99:100], v[97:98]
	v_rcp_f64_e32 v[103:104], v[101:102]
	v_fma_f64 v[105:106], -v[101:102], v[103:104], 1.0
	v_fma_f64 v[103:104], v[103:104], v[105:106], v[103:104]
	v_div_scale_f64 v[105:106], vcc, v[97:98], v[99:100], v[97:98]
	v_fma_f64 v[107:108], -v[101:102], v[103:104], 1.0
	v_fma_f64 v[103:104], v[103:104], v[107:108], v[103:104]
	v_mul_f64 v[107:108], v[105:106], v[103:104]
	v_fma_f64 v[101:102], -v[101:102], v[107:108], v[105:106]
	v_div_fmas_f64 v[101:102], v[101:102], v[103:104], v[107:108]
	v_div_fixup_f64 v[101:102], v[101:102], v[99:100], v[97:98]
	v_fma_f64 v[97:98], v[97:98], v[101:102], v[99:100]
	v_div_scale_f64 v[99:100], s[6:7], v[97:98], v[97:98], 1.0
	v_div_scale_f64 v[107:108], vcc, 1.0, v[97:98], 1.0
	v_rcp_f64_e32 v[103:104], v[99:100]
	v_fma_f64 v[105:106], -v[99:100], v[103:104], 1.0
	v_fma_f64 v[103:104], v[103:104], v[105:106], v[103:104]
	v_fma_f64 v[105:106], -v[99:100], v[103:104], 1.0
	v_fma_f64 v[103:104], v[103:104], v[105:106], v[103:104]
	v_mul_f64 v[105:106], v[107:108], v[103:104]
	v_fma_f64 v[99:100], -v[99:100], v[105:106], v[107:108]
	v_div_fmas_f64 v[99:100], v[99:100], v[103:104], v[105:106]
	v_div_fixup_f64 v[103:104], v[99:100], v[97:98], 1.0
                                        ; implicit-def: $vgpr97_vgpr98
	v_mul_f64 v[101:102], v[101:102], v[103:104]
	v_xor_b32_e32 v104, 0x80000000, v104
.LBB93_302:
	s_andn2_saveexec_b64 s[2:3], s[2:3]
	s_cbranch_execz .LBB93_304
; %bb.303:
	v_div_scale_f64 v[101:102], s[6:7], v[97:98], v[97:98], v[99:100]
	v_rcp_f64_e32 v[103:104], v[101:102]
	v_fma_f64 v[105:106], -v[101:102], v[103:104], 1.0
	v_fma_f64 v[103:104], v[103:104], v[105:106], v[103:104]
	v_div_scale_f64 v[105:106], vcc, v[99:100], v[97:98], v[99:100]
	v_fma_f64 v[107:108], -v[101:102], v[103:104], 1.0
	v_fma_f64 v[103:104], v[103:104], v[107:108], v[103:104]
	v_mul_f64 v[107:108], v[105:106], v[103:104]
	v_fma_f64 v[101:102], -v[101:102], v[107:108], v[105:106]
	v_div_fmas_f64 v[101:102], v[101:102], v[103:104], v[107:108]
	v_div_fixup_f64 v[103:104], v[101:102], v[97:98], v[99:100]
	v_fma_f64 v[97:98], v[99:100], v[103:104], v[97:98]
	v_div_scale_f64 v[99:100], s[6:7], v[97:98], v[97:98], 1.0
	v_div_scale_f64 v[107:108], vcc, 1.0, v[97:98], 1.0
	v_rcp_f64_e32 v[101:102], v[99:100]
	v_fma_f64 v[105:106], -v[99:100], v[101:102], 1.0
	v_fma_f64 v[101:102], v[101:102], v[105:106], v[101:102]
	v_fma_f64 v[105:106], -v[99:100], v[101:102], 1.0
	v_fma_f64 v[101:102], v[101:102], v[105:106], v[101:102]
	v_mul_f64 v[105:106], v[107:108], v[101:102]
	v_fma_f64 v[99:100], -v[99:100], v[105:106], v[107:108]
	v_div_fmas_f64 v[99:100], v[99:100], v[101:102], v[105:106]
	v_div_fixup_f64 v[101:102], v[99:100], v[97:98], 1.0
	v_mul_f64 v[103:104], v[103:104], -v[101:102]
.LBB93_304:
	s_or_b64 exec, exec, s[2:3]
	ds_write2_b64 v127, v[101:102], v[103:104] offset1:1
.LBB93_305:
	s_or_b64 exec, exec, s[4:5]
	s_waitcnt lgkmcnt(0)
	s_barrier
	ds_read2_b64 v[69:72], v127 offset1:1
	v_cmp_lt_u32_e32 vcc, 33, v0
	s_waitcnt lgkmcnt(0)
	buffer_store_dword v69, off, s[20:23], 0 offset:1280 ; 4-byte Folded Spill
	s_nop 0
	buffer_store_dword v70, off, s[20:23], 0 offset:1284 ; 4-byte Folded Spill
	buffer_store_dword v71, off, s[20:23], 0 offset:1288 ; 4-byte Folded Spill
	;; [unrolled: 1-line block ×3, first 2 shown]
	s_and_saveexec_b64 s[2:3], vcc
	s_cbranch_execz .LBB93_307
; %bb.306:
	buffer_load_dword v69, off, s[20:23], 0 offset:1280 ; 4-byte Folded Reload
	buffer_load_dword v70, off, s[20:23], 0 offset:1284 ; 4-byte Folded Reload
	;; [unrolled: 1-line block ×4, first 2 shown]
	ds_read2_b64 v[99:102], v125 offset0:68 offset1:69
	s_waitcnt vmcnt(2)
	v_mul_f64 v[97:98], v[69:70], v[51:52]
	s_waitcnt vmcnt(0)
	v_mul_f64 v[51:52], v[71:72], v[51:52]
	v_fma_f64 v[97:98], v[71:72], v[49:50], v[97:98]
	v_fma_f64 v[49:50], v[69:70], v[49:50], -v[51:52]
	s_waitcnt lgkmcnt(0)
	v_mul_f64 v[51:52], v[101:102], v[97:98]
	v_fma_f64 v[51:52], v[99:100], v[49:50], -v[51:52]
	v_mul_f64 v[99:100], v[99:100], v[97:98]
	v_add_f64 v[45:46], v[45:46], -v[51:52]
	v_fma_f64 v[99:100], v[101:102], v[49:50], v[99:100]
	v_add_f64 v[47:48], v[47:48], -v[99:100]
	ds_read2_b64 v[99:102], v125 offset0:70 offset1:71
	s_waitcnt lgkmcnt(0)
	v_mul_f64 v[51:52], v[101:102], v[97:98]
	v_fma_f64 v[51:52], v[99:100], v[49:50], -v[51:52]
	v_mul_f64 v[99:100], v[99:100], v[97:98]
	v_add_f64 v[41:42], v[41:42], -v[51:52]
	v_fma_f64 v[99:100], v[101:102], v[49:50], v[99:100]
	v_add_f64 v[43:44], v[43:44], -v[99:100]
	ds_read2_b64 v[99:102], v125 offset0:72 offset1:73
	;; [unrolled: 8-line block ×12, first 2 shown]
	s_waitcnt lgkmcnt(0)
	v_mul_f64 v[51:52], v[101:102], v[97:98]
	v_fma_f64 v[51:52], v[99:100], v[49:50], -v[51:52]
	v_mul_f64 v[99:100], v[99:100], v[97:98]
	v_add_f64 v[73:74], v[73:74], -v[51:52]
	v_fma_f64 v[99:100], v[101:102], v[49:50], v[99:100]
	v_mov_b32_e32 v51, v97
	v_mov_b32_e32 v52, v98
	v_add_f64 v[75:76], v[75:76], -v[99:100]
.LBB93_307:
	s_or_b64 exec, exec, s[2:3]
	v_cmp_eq_u32_e32 vcc, 34, v0
	s_waitcnt vmcnt(0)
	s_barrier
	s_and_saveexec_b64 s[4:5], vcc
	s_cbranch_execz .LBB93_314
; %bb.308:
	ds_write2_b64 v127, v[45:46], v[47:48] offset1:1
	ds_write2_b64 v125, v[41:42], v[43:44] offset0:70 offset1:71
	ds_write2_b64 v125, v[37:38], v[39:40] offset0:72 offset1:73
	;; [unrolled: 1-line block ×12, first 2 shown]
	ds_read2_b64 v[97:100], v127 offset1:1
	s_waitcnt lgkmcnt(0)
	v_cmp_neq_f64_e32 vcc, 0, v[97:98]
	v_cmp_neq_f64_e64 s[2:3], 0, v[99:100]
	s_or_b64 s[2:3], vcc, s[2:3]
	s_and_b64 exec, exec, s[2:3]
	s_cbranch_execz .LBB93_314
; %bb.309:
	v_cmp_ngt_f64_e64 s[2:3], |v[97:98]|, |v[99:100]|
                                        ; implicit-def: $vgpr101_vgpr102
	s_and_saveexec_b64 s[6:7], s[2:3]
	s_xor_b64 s[2:3], exec, s[6:7]
                                        ; implicit-def: $vgpr103_vgpr104
	s_cbranch_execz .LBB93_311
; %bb.310:
	v_div_scale_f64 v[101:102], s[6:7], v[99:100], v[99:100], v[97:98]
	v_rcp_f64_e32 v[103:104], v[101:102]
	v_fma_f64 v[105:106], -v[101:102], v[103:104], 1.0
	v_fma_f64 v[103:104], v[103:104], v[105:106], v[103:104]
	v_div_scale_f64 v[105:106], vcc, v[97:98], v[99:100], v[97:98]
	v_fma_f64 v[107:108], -v[101:102], v[103:104], 1.0
	v_fma_f64 v[103:104], v[103:104], v[107:108], v[103:104]
	v_mul_f64 v[107:108], v[105:106], v[103:104]
	v_fma_f64 v[101:102], -v[101:102], v[107:108], v[105:106]
	v_div_fmas_f64 v[101:102], v[101:102], v[103:104], v[107:108]
	v_div_fixup_f64 v[101:102], v[101:102], v[99:100], v[97:98]
	v_fma_f64 v[97:98], v[97:98], v[101:102], v[99:100]
	v_div_scale_f64 v[99:100], s[6:7], v[97:98], v[97:98], 1.0
	v_div_scale_f64 v[107:108], vcc, 1.0, v[97:98], 1.0
	v_rcp_f64_e32 v[103:104], v[99:100]
	v_fma_f64 v[105:106], -v[99:100], v[103:104], 1.0
	v_fma_f64 v[103:104], v[103:104], v[105:106], v[103:104]
	v_fma_f64 v[105:106], -v[99:100], v[103:104], 1.0
	v_fma_f64 v[103:104], v[103:104], v[105:106], v[103:104]
	v_mul_f64 v[105:106], v[107:108], v[103:104]
	v_fma_f64 v[99:100], -v[99:100], v[105:106], v[107:108]
	v_div_fmas_f64 v[99:100], v[99:100], v[103:104], v[105:106]
	v_div_fixup_f64 v[103:104], v[99:100], v[97:98], 1.0
                                        ; implicit-def: $vgpr97_vgpr98
	v_mul_f64 v[101:102], v[101:102], v[103:104]
	v_xor_b32_e32 v104, 0x80000000, v104
.LBB93_311:
	s_andn2_saveexec_b64 s[2:3], s[2:3]
	s_cbranch_execz .LBB93_313
; %bb.312:
	v_div_scale_f64 v[101:102], s[6:7], v[97:98], v[97:98], v[99:100]
	v_rcp_f64_e32 v[103:104], v[101:102]
	v_fma_f64 v[105:106], -v[101:102], v[103:104], 1.0
	v_fma_f64 v[103:104], v[103:104], v[105:106], v[103:104]
	v_div_scale_f64 v[105:106], vcc, v[99:100], v[97:98], v[99:100]
	v_fma_f64 v[107:108], -v[101:102], v[103:104], 1.0
	v_fma_f64 v[103:104], v[103:104], v[107:108], v[103:104]
	v_mul_f64 v[107:108], v[105:106], v[103:104]
	v_fma_f64 v[101:102], -v[101:102], v[107:108], v[105:106]
	v_div_fmas_f64 v[101:102], v[101:102], v[103:104], v[107:108]
	v_div_fixup_f64 v[103:104], v[101:102], v[97:98], v[99:100]
	v_fma_f64 v[97:98], v[99:100], v[103:104], v[97:98]
	v_div_scale_f64 v[99:100], s[6:7], v[97:98], v[97:98], 1.0
	v_div_scale_f64 v[107:108], vcc, 1.0, v[97:98], 1.0
	v_rcp_f64_e32 v[101:102], v[99:100]
	v_fma_f64 v[105:106], -v[99:100], v[101:102], 1.0
	v_fma_f64 v[101:102], v[101:102], v[105:106], v[101:102]
	v_fma_f64 v[105:106], -v[99:100], v[101:102], 1.0
	v_fma_f64 v[101:102], v[101:102], v[105:106], v[101:102]
	v_mul_f64 v[105:106], v[107:108], v[101:102]
	v_fma_f64 v[99:100], -v[99:100], v[105:106], v[107:108]
	v_div_fmas_f64 v[99:100], v[99:100], v[101:102], v[105:106]
	v_div_fixup_f64 v[101:102], v[99:100], v[97:98], 1.0
	v_mul_f64 v[103:104], v[103:104], -v[101:102]
.LBB93_313:
	s_or_b64 exec, exec, s[2:3]
	ds_write2_b64 v127, v[101:102], v[103:104] offset1:1
.LBB93_314:
	s_or_b64 exec, exec, s[4:5]
	s_waitcnt lgkmcnt(0)
	s_barrier
	ds_read2_b64 v[69:72], v127 offset1:1
	v_cmp_lt_u32_e32 vcc, 34, v0
	s_waitcnt lgkmcnt(0)
	buffer_store_dword v69, off, s[20:23], 0 offset:1296 ; 4-byte Folded Spill
	s_nop 0
	buffer_store_dword v70, off, s[20:23], 0 offset:1300 ; 4-byte Folded Spill
	buffer_store_dword v71, off, s[20:23], 0 offset:1304 ; 4-byte Folded Spill
	;; [unrolled: 1-line block ×3, first 2 shown]
	s_and_saveexec_b64 s[2:3], vcc
	s_cbranch_execz .LBB93_316
; %bb.315:
	buffer_load_dword v69, off, s[20:23], 0 offset:1296 ; 4-byte Folded Reload
	buffer_load_dword v70, off, s[20:23], 0 offset:1300 ; 4-byte Folded Reload
	;; [unrolled: 1-line block ×4, first 2 shown]
	ds_read2_b64 v[99:102], v125 offset0:70 offset1:71
	s_waitcnt vmcnt(2)
	v_mul_f64 v[97:98], v[69:70], v[47:48]
	s_waitcnt vmcnt(0)
	v_mul_f64 v[47:48], v[71:72], v[47:48]
	v_fma_f64 v[97:98], v[71:72], v[45:46], v[97:98]
	v_fma_f64 v[45:46], v[69:70], v[45:46], -v[47:48]
	s_waitcnt lgkmcnt(0)
	v_mul_f64 v[47:48], v[101:102], v[97:98]
	v_fma_f64 v[47:48], v[99:100], v[45:46], -v[47:48]
	v_mul_f64 v[99:100], v[99:100], v[97:98]
	v_add_f64 v[41:42], v[41:42], -v[47:48]
	v_fma_f64 v[99:100], v[101:102], v[45:46], v[99:100]
	v_add_f64 v[43:44], v[43:44], -v[99:100]
	ds_read2_b64 v[99:102], v125 offset0:72 offset1:73
	s_waitcnt lgkmcnt(0)
	v_mul_f64 v[47:48], v[101:102], v[97:98]
	v_fma_f64 v[47:48], v[99:100], v[45:46], -v[47:48]
	v_mul_f64 v[99:100], v[99:100], v[97:98]
	v_add_f64 v[37:38], v[37:38], -v[47:48]
	v_fma_f64 v[99:100], v[101:102], v[45:46], v[99:100]
	v_add_f64 v[39:40], v[39:40], -v[99:100]
	ds_read2_b64 v[99:102], v125 offset0:74 offset1:75
	s_waitcnt lgkmcnt(0)
	v_mul_f64 v[47:48], v[101:102], v[97:98]
	v_fma_f64 v[47:48], v[99:100], v[45:46], -v[47:48]
	v_mul_f64 v[99:100], v[99:100], v[97:98]
	v_add_f64 v[33:34], v[33:34], -v[47:48]
	v_fma_f64 v[99:100], v[101:102], v[45:46], v[99:100]
	v_add_f64 v[35:36], v[35:36], -v[99:100]
	ds_read2_b64 v[99:102], v125 offset0:76 offset1:77
	s_waitcnt lgkmcnt(0)
	v_mul_f64 v[47:48], v[101:102], v[97:98]
	v_fma_f64 v[47:48], v[99:100], v[45:46], -v[47:48]
	v_mul_f64 v[99:100], v[99:100], v[97:98]
	v_add_f64 v[29:30], v[29:30], -v[47:48]
	v_fma_f64 v[99:100], v[101:102], v[45:46], v[99:100]
	v_add_f64 v[31:32], v[31:32], -v[99:100]
	ds_read2_b64 v[99:102], v125 offset0:78 offset1:79
	s_waitcnt lgkmcnt(0)
	v_mul_f64 v[47:48], v[101:102], v[97:98]
	v_fma_f64 v[47:48], v[99:100], v[45:46], -v[47:48]
	v_mul_f64 v[99:100], v[99:100], v[97:98]
	v_add_f64 v[25:26], v[25:26], -v[47:48]
	v_fma_f64 v[99:100], v[101:102], v[45:46], v[99:100]
	v_add_f64 v[27:28], v[27:28], -v[99:100]
	ds_read2_b64 v[99:102], v125 offset0:80 offset1:81
	s_waitcnt lgkmcnt(0)
	v_mul_f64 v[47:48], v[101:102], v[97:98]
	v_fma_f64 v[47:48], v[99:100], v[45:46], -v[47:48]
	v_mul_f64 v[99:100], v[99:100], v[97:98]
	v_add_f64 v[21:22], v[21:22], -v[47:48]
	v_fma_f64 v[99:100], v[101:102], v[45:46], v[99:100]
	v_add_f64 v[23:24], v[23:24], -v[99:100]
	ds_read2_b64 v[99:102], v125 offset0:82 offset1:83
	s_waitcnt lgkmcnt(0)
	v_mul_f64 v[47:48], v[101:102], v[97:98]
	v_fma_f64 v[47:48], v[99:100], v[45:46], -v[47:48]
	v_mul_f64 v[99:100], v[99:100], v[97:98]
	v_add_f64 v[17:18], v[17:18], -v[47:48]
	v_fma_f64 v[99:100], v[101:102], v[45:46], v[99:100]
	v_add_f64 v[19:20], v[19:20], -v[99:100]
	ds_read2_b64 v[99:102], v125 offset0:84 offset1:85
	s_waitcnt lgkmcnt(0)
	v_mul_f64 v[47:48], v[101:102], v[97:98]
	v_fma_f64 v[47:48], v[99:100], v[45:46], -v[47:48]
	v_mul_f64 v[99:100], v[99:100], v[97:98]
	v_add_f64 v[13:14], v[13:14], -v[47:48]
	v_fma_f64 v[99:100], v[101:102], v[45:46], v[99:100]
	v_add_f64 v[15:16], v[15:16], -v[99:100]
	ds_read2_b64 v[99:102], v125 offset0:86 offset1:87
	s_waitcnt lgkmcnt(0)
	v_mul_f64 v[47:48], v[101:102], v[97:98]
	v_fma_f64 v[47:48], v[99:100], v[45:46], -v[47:48]
	v_mul_f64 v[99:100], v[99:100], v[97:98]
	v_add_f64 v[9:10], v[9:10], -v[47:48]
	v_fma_f64 v[99:100], v[101:102], v[45:46], v[99:100]
	v_add_f64 v[11:12], v[11:12], -v[99:100]
	ds_read2_b64 v[99:102], v125 offset0:88 offset1:89
	s_waitcnt lgkmcnt(0)
	v_mul_f64 v[47:48], v[101:102], v[97:98]
	v_fma_f64 v[47:48], v[99:100], v[45:46], -v[47:48]
	v_mul_f64 v[99:100], v[99:100], v[97:98]
	v_add_f64 v[5:6], v[5:6], -v[47:48]
	v_fma_f64 v[99:100], v[101:102], v[45:46], v[99:100]
	v_add_f64 v[7:8], v[7:8], -v[99:100]
	ds_read2_b64 v[99:102], v125 offset0:90 offset1:91
	s_waitcnt lgkmcnt(0)
	v_mul_f64 v[47:48], v[101:102], v[97:98]
	v_fma_f64 v[47:48], v[99:100], v[45:46], -v[47:48]
	v_mul_f64 v[99:100], v[99:100], v[97:98]
	v_add_f64 v[1:2], v[1:2], -v[47:48]
	v_fma_f64 v[99:100], v[101:102], v[45:46], v[99:100]
	v_add_f64 v[3:4], v[3:4], -v[99:100]
	ds_read2_b64 v[99:102], v125 offset0:92 offset1:93
	s_waitcnt lgkmcnt(0)
	v_mul_f64 v[47:48], v[101:102], v[97:98]
	v_fma_f64 v[47:48], v[99:100], v[45:46], -v[47:48]
	v_mul_f64 v[99:100], v[99:100], v[97:98]
	v_add_f64 v[73:74], v[73:74], -v[47:48]
	v_fma_f64 v[99:100], v[101:102], v[45:46], v[99:100]
	v_mov_b32_e32 v47, v97
	v_mov_b32_e32 v48, v98
	v_add_f64 v[75:76], v[75:76], -v[99:100]
.LBB93_316:
	s_or_b64 exec, exec, s[2:3]
	v_cmp_eq_u32_e32 vcc, 35, v0
	s_waitcnt vmcnt(0)
	s_barrier
	s_and_saveexec_b64 s[4:5], vcc
	s_cbranch_execz .LBB93_323
; %bb.317:
	ds_write2_b64 v127, v[41:42], v[43:44] offset1:1
	ds_write2_b64 v125, v[37:38], v[39:40] offset0:72 offset1:73
	ds_write2_b64 v125, v[33:34], v[35:36] offset0:74 offset1:75
	ds_write2_b64 v125, v[29:30], v[31:32] offset0:76 offset1:77
	ds_write2_b64 v125, v[25:26], v[27:28] offset0:78 offset1:79
	ds_write2_b64 v125, v[21:22], v[23:24] offset0:80 offset1:81
	ds_write2_b64 v125, v[17:18], v[19:20] offset0:82 offset1:83
	ds_write2_b64 v125, v[13:14], v[15:16] offset0:84 offset1:85
	ds_write2_b64 v125, v[9:10], v[11:12] offset0:86 offset1:87
	ds_write2_b64 v125, v[5:6], v[7:8] offset0:88 offset1:89
	ds_write2_b64 v125, v[1:2], v[3:4] offset0:90 offset1:91
	ds_write2_b64 v125, v[73:74], v[75:76] offset0:92 offset1:93
	ds_read2_b64 v[97:100], v127 offset1:1
	s_waitcnt lgkmcnt(0)
	v_cmp_neq_f64_e32 vcc, 0, v[97:98]
	v_cmp_neq_f64_e64 s[2:3], 0, v[99:100]
	s_or_b64 s[2:3], vcc, s[2:3]
	s_and_b64 exec, exec, s[2:3]
	s_cbranch_execz .LBB93_323
; %bb.318:
	v_cmp_ngt_f64_e64 s[2:3], |v[97:98]|, |v[99:100]|
                                        ; implicit-def: $vgpr101_vgpr102
	s_and_saveexec_b64 s[6:7], s[2:3]
	s_xor_b64 s[2:3], exec, s[6:7]
                                        ; implicit-def: $vgpr103_vgpr104
	s_cbranch_execz .LBB93_320
; %bb.319:
	v_div_scale_f64 v[101:102], s[6:7], v[99:100], v[99:100], v[97:98]
	v_rcp_f64_e32 v[103:104], v[101:102]
	v_fma_f64 v[105:106], -v[101:102], v[103:104], 1.0
	v_fma_f64 v[103:104], v[103:104], v[105:106], v[103:104]
	v_div_scale_f64 v[105:106], vcc, v[97:98], v[99:100], v[97:98]
	v_fma_f64 v[107:108], -v[101:102], v[103:104], 1.0
	v_fma_f64 v[103:104], v[103:104], v[107:108], v[103:104]
	v_mul_f64 v[107:108], v[105:106], v[103:104]
	v_fma_f64 v[101:102], -v[101:102], v[107:108], v[105:106]
	v_div_fmas_f64 v[101:102], v[101:102], v[103:104], v[107:108]
	v_div_fixup_f64 v[101:102], v[101:102], v[99:100], v[97:98]
	v_fma_f64 v[97:98], v[97:98], v[101:102], v[99:100]
	v_div_scale_f64 v[99:100], s[6:7], v[97:98], v[97:98], 1.0
	v_div_scale_f64 v[107:108], vcc, 1.0, v[97:98], 1.0
	v_rcp_f64_e32 v[103:104], v[99:100]
	v_fma_f64 v[105:106], -v[99:100], v[103:104], 1.0
	v_fma_f64 v[103:104], v[103:104], v[105:106], v[103:104]
	v_fma_f64 v[105:106], -v[99:100], v[103:104], 1.0
	v_fma_f64 v[103:104], v[103:104], v[105:106], v[103:104]
	v_mul_f64 v[105:106], v[107:108], v[103:104]
	v_fma_f64 v[99:100], -v[99:100], v[105:106], v[107:108]
	v_div_fmas_f64 v[99:100], v[99:100], v[103:104], v[105:106]
	v_div_fixup_f64 v[103:104], v[99:100], v[97:98], 1.0
                                        ; implicit-def: $vgpr97_vgpr98
	v_mul_f64 v[101:102], v[101:102], v[103:104]
	v_xor_b32_e32 v104, 0x80000000, v104
.LBB93_320:
	s_andn2_saveexec_b64 s[2:3], s[2:3]
	s_cbranch_execz .LBB93_322
; %bb.321:
	v_div_scale_f64 v[101:102], s[6:7], v[97:98], v[97:98], v[99:100]
	v_rcp_f64_e32 v[103:104], v[101:102]
	v_fma_f64 v[105:106], -v[101:102], v[103:104], 1.0
	v_fma_f64 v[103:104], v[103:104], v[105:106], v[103:104]
	v_div_scale_f64 v[105:106], vcc, v[99:100], v[97:98], v[99:100]
	v_fma_f64 v[107:108], -v[101:102], v[103:104], 1.0
	v_fma_f64 v[103:104], v[103:104], v[107:108], v[103:104]
	v_mul_f64 v[107:108], v[105:106], v[103:104]
	v_fma_f64 v[101:102], -v[101:102], v[107:108], v[105:106]
	v_div_fmas_f64 v[101:102], v[101:102], v[103:104], v[107:108]
	v_div_fixup_f64 v[103:104], v[101:102], v[97:98], v[99:100]
	v_fma_f64 v[97:98], v[99:100], v[103:104], v[97:98]
	v_div_scale_f64 v[99:100], s[6:7], v[97:98], v[97:98], 1.0
	v_div_scale_f64 v[107:108], vcc, 1.0, v[97:98], 1.0
	v_rcp_f64_e32 v[101:102], v[99:100]
	v_fma_f64 v[105:106], -v[99:100], v[101:102], 1.0
	v_fma_f64 v[101:102], v[101:102], v[105:106], v[101:102]
	v_fma_f64 v[105:106], -v[99:100], v[101:102], 1.0
	v_fma_f64 v[101:102], v[101:102], v[105:106], v[101:102]
	v_mul_f64 v[105:106], v[107:108], v[101:102]
	v_fma_f64 v[99:100], -v[99:100], v[105:106], v[107:108]
	v_div_fmas_f64 v[99:100], v[99:100], v[101:102], v[105:106]
	v_div_fixup_f64 v[101:102], v[99:100], v[97:98], 1.0
	v_mul_f64 v[103:104], v[103:104], -v[101:102]
.LBB93_322:
	s_or_b64 exec, exec, s[2:3]
	ds_write2_b64 v127, v[101:102], v[103:104] offset1:1
.LBB93_323:
	s_or_b64 exec, exec, s[4:5]
	s_waitcnt lgkmcnt(0)
	s_barrier
	ds_read2_b64 v[69:72], v127 offset1:1
	v_cmp_lt_u32_e32 vcc, 35, v0
	s_waitcnt lgkmcnt(0)
	buffer_store_dword v69, off, s[20:23], 0 offset:1312 ; 4-byte Folded Spill
	s_nop 0
	buffer_store_dword v70, off, s[20:23], 0 offset:1316 ; 4-byte Folded Spill
	buffer_store_dword v71, off, s[20:23], 0 offset:1320 ; 4-byte Folded Spill
	;; [unrolled: 1-line block ×3, first 2 shown]
	s_and_saveexec_b64 s[2:3], vcc
	s_cbranch_execz .LBB93_325
; %bb.324:
	buffer_load_dword v69, off, s[20:23], 0 offset:1312 ; 4-byte Folded Reload
	buffer_load_dword v70, off, s[20:23], 0 offset:1316 ; 4-byte Folded Reload
	;; [unrolled: 1-line block ×4, first 2 shown]
	ds_read2_b64 v[99:102], v125 offset0:72 offset1:73
	s_waitcnt vmcnt(2)
	v_mul_f64 v[97:98], v[69:70], v[43:44]
	s_waitcnt vmcnt(0)
	v_mul_f64 v[43:44], v[71:72], v[43:44]
	v_fma_f64 v[97:98], v[71:72], v[41:42], v[97:98]
	v_fma_f64 v[41:42], v[69:70], v[41:42], -v[43:44]
	s_waitcnt lgkmcnt(0)
	v_mul_f64 v[43:44], v[101:102], v[97:98]
	v_fma_f64 v[43:44], v[99:100], v[41:42], -v[43:44]
	v_mul_f64 v[99:100], v[99:100], v[97:98]
	v_add_f64 v[37:38], v[37:38], -v[43:44]
	v_fma_f64 v[99:100], v[101:102], v[41:42], v[99:100]
	v_add_f64 v[39:40], v[39:40], -v[99:100]
	ds_read2_b64 v[99:102], v125 offset0:74 offset1:75
	s_waitcnt lgkmcnt(0)
	v_mul_f64 v[43:44], v[101:102], v[97:98]
	v_fma_f64 v[43:44], v[99:100], v[41:42], -v[43:44]
	v_mul_f64 v[99:100], v[99:100], v[97:98]
	v_add_f64 v[33:34], v[33:34], -v[43:44]
	v_fma_f64 v[99:100], v[101:102], v[41:42], v[99:100]
	v_add_f64 v[35:36], v[35:36], -v[99:100]
	ds_read2_b64 v[99:102], v125 offset0:76 offset1:77
	s_waitcnt lgkmcnt(0)
	v_mul_f64 v[43:44], v[101:102], v[97:98]
	v_fma_f64 v[43:44], v[99:100], v[41:42], -v[43:44]
	v_mul_f64 v[99:100], v[99:100], v[97:98]
	v_add_f64 v[29:30], v[29:30], -v[43:44]
	v_fma_f64 v[99:100], v[101:102], v[41:42], v[99:100]
	v_add_f64 v[31:32], v[31:32], -v[99:100]
	ds_read2_b64 v[99:102], v125 offset0:78 offset1:79
	s_waitcnt lgkmcnt(0)
	v_mul_f64 v[43:44], v[101:102], v[97:98]
	v_fma_f64 v[43:44], v[99:100], v[41:42], -v[43:44]
	v_mul_f64 v[99:100], v[99:100], v[97:98]
	v_add_f64 v[25:26], v[25:26], -v[43:44]
	v_fma_f64 v[99:100], v[101:102], v[41:42], v[99:100]
	v_add_f64 v[27:28], v[27:28], -v[99:100]
	ds_read2_b64 v[99:102], v125 offset0:80 offset1:81
	s_waitcnt lgkmcnt(0)
	v_mul_f64 v[43:44], v[101:102], v[97:98]
	v_fma_f64 v[43:44], v[99:100], v[41:42], -v[43:44]
	v_mul_f64 v[99:100], v[99:100], v[97:98]
	v_add_f64 v[21:22], v[21:22], -v[43:44]
	v_fma_f64 v[99:100], v[101:102], v[41:42], v[99:100]
	v_add_f64 v[23:24], v[23:24], -v[99:100]
	ds_read2_b64 v[99:102], v125 offset0:82 offset1:83
	s_waitcnt lgkmcnt(0)
	v_mul_f64 v[43:44], v[101:102], v[97:98]
	v_fma_f64 v[43:44], v[99:100], v[41:42], -v[43:44]
	v_mul_f64 v[99:100], v[99:100], v[97:98]
	v_add_f64 v[17:18], v[17:18], -v[43:44]
	v_fma_f64 v[99:100], v[101:102], v[41:42], v[99:100]
	v_add_f64 v[19:20], v[19:20], -v[99:100]
	ds_read2_b64 v[99:102], v125 offset0:84 offset1:85
	s_waitcnt lgkmcnt(0)
	v_mul_f64 v[43:44], v[101:102], v[97:98]
	v_fma_f64 v[43:44], v[99:100], v[41:42], -v[43:44]
	v_mul_f64 v[99:100], v[99:100], v[97:98]
	v_add_f64 v[13:14], v[13:14], -v[43:44]
	v_fma_f64 v[99:100], v[101:102], v[41:42], v[99:100]
	v_add_f64 v[15:16], v[15:16], -v[99:100]
	ds_read2_b64 v[99:102], v125 offset0:86 offset1:87
	s_waitcnt lgkmcnt(0)
	v_mul_f64 v[43:44], v[101:102], v[97:98]
	v_fma_f64 v[43:44], v[99:100], v[41:42], -v[43:44]
	v_mul_f64 v[99:100], v[99:100], v[97:98]
	v_add_f64 v[9:10], v[9:10], -v[43:44]
	v_fma_f64 v[99:100], v[101:102], v[41:42], v[99:100]
	v_add_f64 v[11:12], v[11:12], -v[99:100]
	ds_read2_b64 v[99:102], v125 offset0:88 offset1:89
	s_waitcnt lgkmcnt(0)
	v_mul_f64 v[43:44], v[101:102], v[97:98]
	v_fma_f64 v[43:44], v[99:100], v[41:42], -v[43:44]
	v_mul_f64 v[99:100], v[99:100], v[97:98]
	v_add_f64 v[5:6], v[5:6], -v[43:44]
	v_fma_f64 v[99:100], v[101:102], v[41:42], v[99:100]
	v_add_f64 v[7:8], v[7:8], -v[99:100]
	ds_read2_b64 v[99:102], v125 offset0:90 offset1:91
	s_waitcnt lgkmcnt(0)
	v_mul_f64 v[43:44], v[101:102], v[97:98]
	v_fma_f64 v[43:44], v[99:100], v[41:42], -v[43:44]
	v_mul_f64 v[99:100], v[99:100], v[97:98]
	v_add_f64 v[1:2], v[1:2], -v[43:44]
	v_fma_f64 v[99:100], v[101:102], v[41:42], v[99:100]
	v_add_f64 v[3:4], v[3:4], -v[99:100]
	ds_read2_b64 v[99:102], v125 offset0:92 offset1:93
	s_waitcnt lgkmcnt(0)
	v_mul_f64 v[43:44], v[101:102], v[97:98]
	v_fma_f64 v[43:44], v[99:100], v[41:42], -v[43:44]
	v_mul_f64 v[99:100], v[99:100], v[97:98]
	v_add_f64 v[73:74], v[73:74], -v[43:44]
	v_fma_f64 v[99:100], v[101:102], v[41:42], v[99:100]
	v_mov_b32_e32 v43, v97
	v_mov_b32_e32 v44, v98
	v_add_f64 v[75:76], v[75:76], -v[99:100]
.LBB93_325:
	s_or_b64 exec, exec, s[2:3]
	v_cmp_eq_u32_e32 vcc, 36, v0
	s_waitcnt vmcnt(0)
	s_barrier
	s_and_saveexec_b64 s[4:5], vcc
	s_cbranch_execz .LBB93_332
; %bb.326:
	ds_write2_b64 v127, v[37:38], v[39:40] offset1:1
	ds_write2_b64 v125, v[33:34], v[35:36] offset0:74 offset1:75
	ds_write2_b64 v125, v[29:30], v[31:32] offset0:76 offset1:77
	;; [unrolled: 1-line block ×10, first 2 shown]
	ds_read2_b64 v[97:100], v127 offset1:1
	s_waitcnt lgkmcnt(0)
	v_cmp_neq_f64_e32 vcc, 0, v[97:98]
	v_cmp_neq_f64_e64 s[2:3], 0, v[99:100]
	s_or_b64 s[2:3], vcc, s[2:3]
	s_and_b64 exec, exec, s[2:3]
	s_cbranch_execz .LBB93_332
; %bb.327:
	v_cmp_ngt_f64_e64 s[2:3], |v[97:98]|, |v[99:100]|
                                        ; implicit-def: $vgpr101_vgpr102
	s_and_saveexec_b64 s[6:7], s[2:3]
	s_xor_b64 s[2:3], exec, s[6:7]
                                        ; implicit-def: $vgpr103_vgpr104
	s_cbranch_execz .LBB93_329
; %bb.328:
	v_div_scale_f64 v[101:102], s[6:7], v[99:100], v[99:100], v[97:98]
	v_rcp_f64_e32 v[103:104], v[101:102]
	v_fma_f64 v[105:106], -v[101:102], v[103:104], 1.0
	v_fma_f64 v[103:104], v[103:104], v[105:106], v[103:104]
	v_div_scale_f64 v[105:106], vcc, v[97:98], v[99:100], v[97:98]
	v_fma_f64 v[107:108], -v[101:102], v[103:104], 1.0
	v_fma_f64 v[103:104], v[103:104], v[107:108], v[103:104]
	v_mul_f64 v[107:108], v[105:106], v[103:104]
	v_fma_f64 v[101:102], -v[101:102], v[107:108], v[105:106]
	v_div_fmas_f64 v[101:102], v[101:102], v[103:104], v[107:108]
	v_div_fixup_f64 v[101:102], v[101:102], v[99:100], v[97:98]
	v_fma_f64 v[97:98], v[97:98], v[101:102], v[99:100]
	v_div_scale_f64 v[99:100], s[6:7], v[97:98], v[97:98], 1.0
	v_div_scale_f64 v[107:108], vcc, 1.0, v[97:98], 1.0
	v_rcp_f64_e32 v[103:104], v[99:100]
	v_fma_f64 v[105:106], -v[99:100], v[103:104], 1.0
	v_fma_f64 v[103:104], v[103:104], v[105:106], v[103:104]
	v_fma_f64 v[105:106], -v[99:100], v[103:104], 1.0
	v_fma_f64 v[103:104], v[103:104], v[105:106], v[103:104]
	v_mul_f64 v[105:106], v[107:108], v[103:104]
	v_fma_f64 v[99:100], -v[99:100], v[105:106], v[107:108]
	v_div_fmas_f64 v[99:100], v[99:100], v[103:104], v[105:106]
	v_div_fixup_f64 v[103:104], v[99:100], v[97:98], 1.0
                                        ; implicit-def: $vgpr97_vgpr98
	v_mul_f64 v[101:102], v[101:102], v[103:104]
	v_xor_b32_e32 v104, 0x80000000, v104
.LBB93_329:
	s_andn2_saveexec_b64 s[2:3], s[2:3]
	s_cbranch_execz .LBB93_331
; %bb.330:
	v_div_scale_f64 v[101:102], s[6:7], v[97:98], v[97:98], v[99:100]
	v_rcp_f64_e32 v[103:104], v[101:102]
	v_fma_f64 v[105:106], -v[101:102], v[103:104], 1.0
	v_fma_f64 v[103:104], v[103:104], v[105:106], v[103:104]
	v_div_scale_f64 v[105:106], vcc, v[99:100], v[97:98], v[99:100]
	v_fma_f64 v[107:108], -v[101:102], v[103:104], 1.0
	v_fma_f64 v[103:104], v[103:104], v[107:108], v[103:104]
	v_mul_f64 v[107:108], v[105:106], v[103:104]
	v_fma_f64 v[101:102], -v[101:102], v[107:108], v[105:106]
	v_div_fmas_f64 v[101:102], v[101:102], v[103:104], v[107:108]
	v_div_fixup_f64 v[103:104], v[101:102], v[97:98], v[99:100]
	v_fma_f64 v[97:98], v[99:100], v[103:104], v[97:98]
	v_div_scale_f64 v[99:100], s[6:7], v[97:98], v[97:98], 1.0
	v_div_scale_f64 v[107:108], vcc, 1.0, v[97:98], 1.0
	v_rcp_f64_e32 v[101:102], v[99:100]
	v_fma_f64 v[105:106], -v[99:100], v[101:102], 1.0
	v_fma_f64 v[101:102], v[101:102], v[105:106], v[101:102]
	v_fma_f64 v[105:106], -v[99:100], v[101:102], 1.0
	v_fma_f64 v[101:102], v[101:102], v[105:106], v[101:102]
	v_mul_f64 v[105:106], v[107:108], v[101:102]
	v_fma_f64 v[99:100], -v[99:100], v[105:106], v[107:108]
	v_div_fmas_f64 v[99:100], v[99:100], v[101:102], v[105:106]
	v_div_fixup_f64 v[101:102], v[99:100], v[97:98], 1.0
	v_mul_f64 v[103:104], v[103:104], -v[101:102]
.LBB93_331:
	s_or_b64 exec, exec, s[2:3]
	ds_write2_b64 v127, v[101:102], v[103:104] offset1:1
.LBB93_332:
	s_or_b64 exec, exec, s[4:5]
	s_waitcnt lgkmcnt(0)
	s_barrier
	ds_read2_b64 v[69:72], v127 offset1:1
	v_cmp_lt_u32_e32 vcc, 36, v0
	s_waitcnt lgkmcnt(0)
	buffer_store_dword v69, off, s[20:23], 0 offset:1328 ; 4-byte Folded Spill
	s_nop 0
	buffer_store_dword v70, off, s[20:23], 0 offset:1332 ; 4-byte Folded Spill
	buffer_store_dword v71, off, s[20:23], 0 offset:1336 ; 4-byte Folded Spill
	;; [unrolled: 1-line block ×3, first 2 shown]
	s_and_saveexec_b64 s[2:3], vcc
	s_cbranch_execz .LBB93_334
; %bb.333:
	buffer_load_dword v69, off, s[20:23], 0 offset:1328 ; 4-byte Folded Reload
	buffer_load_dword v70, off, s[20:23], 0 offset:1332 ; 4-byte Folded Reload
	;; [unrolled: 1-line block ×4, first 2 shown]
	ds_read2_b64 v[99:102], v125 offset0:74 offset1:75
	s_waitcnt vmcnt(2)
	v_mul_f64 v[97:98], v[69:70], v[39:40]
	s_waitcnt vmcnt(0)
	v_mul_f64 v[39:40], v[71:72], v[39:40]
	v_fma_f64 v[97:98], v[71:72], v[37:38], v[97:98]
	v_fma_f64 v[37:38], v[69:70], v[37:38], -v[39:40]
	s_waitcnt lgkmcnt(0)
	v_mul_f64 v[39:40], v[101:102], v[97:98]
	v_fma_f64 v[39:40], v[99:100], v[37:38], -v[39:40]
	v_mul_f64 v[99:100], v[99:100], v[97:98]
	v_add_f64 v[33:34], v[33:34], -v[39:40]
	v_fma_f64 v[99:100], v[101:102], v[37:38], v[99:100]
	v_add_f64 v[35:36], v[35:36], -v[99:100]
	ds_read2_b64 v[99:102], v125 offset0:76 offset1:77
	s_waitcnt lgkmcnt(0)
	v_mul_f64 v[39:40], v[101:102], v[97:98]
	v_fma_f64 v[39:40], v[99:100], v[37:38], -v[39:40]
	v_mul_f64 v[99:100], v[99:100], v[97:98]
	v_add_f64 v[29:30], v[29:30], -v[39:40]
	v_fma_f64 v[99:100], v[101:102], v[37:38], v[99:100]
	v_add_f64 v[31:32], v[31:32], -v[99:100]
	ds_read2_b64 v[99:102], v125 offset0:78 offset1:79
	;; [unrolled: 8-line block ×9, first 2 shown]
	s_waitcnt lgkmcnt(0)
	v_mul_f64 v[39:40], v[101:102], v[97:98]
	v_fma_f64 v[39:40], v[99:100], v[37:38], -v[39:40]
	v_mul_f64 v[99:100], v[99:100], v[97:98]
	v_add_f64 v[73:74], v[73:74], -v[39:40]
	v_fma_f64 v[99:100], v[101:102], v[37:38], v[99:100]
	v_mov_b32_e32 v39, v97
	v_mov_b32_e32 v40, v98
	v_add_f64 v[75:76], v[75:76], -v[99:100]
.LBB93_334:
	s_or_b64 exec, exec, s[2:3]
	v_cmp_eq_u32_e32 vcc, 37, v0
	s_waitcnt vmcnt(0)
	s_barrier
	s_and_saveexec_b64 s[4:5], vcc
	s_cbranch_execz .LBB93_341
; %bb.335:
	ds_write2_b64 v127, v[33:34], v[35:36] offset1:1
	ds_write2_b64 v125, v[29:30], v[31:32] offset0:76 offset1:77
	ds_write2_b64 v125, v[25:26], v[27:28] offset0:78 offset1:79
	;; [unrolled: 1-line block ×9, first 2 shown]
	ds_read2_b64 v[97:100], v127 offset1:1
	s_waitcnt lgkmcnt(0)
	v_cmp_neq_f64_e32 vcc, 0, v[97:98]
	v_cmp_neq_f64_e64 s[2:3], 0, v[99:100]
	s_or_b64 s[2:3], vcc, s[2:3]
	s_and_b64 exec, exec, s[2:3]
	s_cbranch_execz .LBB93_341
; %bb.336:
	v_cmp_ngt_f64_e64 s[2:3], |v[97:98]|, |v[99:100]|
                                        ; implicit-def: $vgpr101_vgpr102
	s_and_saveexec_b64 s[6:7], s[2:3]
	s_xor_b64 s[2:3], exec, s[6:7]
                                        ; implicit-def: $vgpr103_vgpr104
	s_cbranch_execz .LBB93_338
; %bb.337:
	v_div_scale_f64 v[101:102], s[6:7], v[99:100], v[99:100], v[97:98]
	v_rcp_f64_e32 v[103:104], v[101:102]
	v_fma_f64 v[105:106], -v[101:102], v[103:104], 1.0
	v_fma_f64 v[103:104], v[103:104], v[105:106], v[103:104]
	v_div_scale_f64 v[105:106], vcc, v[97:98], v[99:100], v[97:98]
	v_fma_f64 v[107:108], -v[101:102], v[103:104], 1.0
	v_fma_f64 v[103:104], v[103:104], v[107:108], v[103:104]
	v_mul_f64 v[107:108], v[105:106], v[103:104]
	v_fma_f64 v[101:102], -v[101:102], v[107:108], v[105:106]
	v_div_fmas_f64 v[101:102], v[101:102], v[103:104], v[107:108]
	v_div_fixup_f64 v[101:102], v[101:102], v[99:100], v[97:98]
	v_fma_f64 v[97:98], v[97:98], v[101:102], v[99:100]
	v_div_scale_f64 v[99:100], s[6:7], v[97:98], v[97:98], 1.0
	v_div_scale_f64 v[107:108], vcc, 1.0, v[97:98], 1.0
	v_rcp_f64_e32 v[103:104], v[99:100]
	v_fma_f64 v[105:106], -v[99:100], v[103:104], 1.0
	v_fma_f64 v[103:104], v[103:104], v[105:106], v[103:104]
	v_fma_f64 v[105:106], -v[99:100], v[103:104], 1.0
	v_fma_f64 v[103:104], v[103:104], v[105:106], v[103:104]
	v_mul_f64 v[105:106], v[107:108], v[103:104]
	v_fma_f64 v[99:100], -v[99:100], v[105:106], v[107:108]
	v_div_fmas_f64 v[99:100], v[99:100], v[103:104], v[105:106]
	v_div_fixup_f64 v[103:104], v[99:100], v[97:98], 1.0
                                        ; implicit-def: $vgpr97_vgpr98
	v_mul_f64 v[101:102], v[101:102], v[103:104]
	v_xor_b32_e32 v104, 0x80000000, v104
.LBB93_338:
	s_andn2_saveexec_b64 s[2:3], s[2:3]
	s_cbranch_execz .LBB93_340
; %bb.339:
	v_div_scale_f64 v[101:102], s[6:7], v[97:98], v[97:98], v[99:100]
	v_rcp_f64_e32 v[103:104], v[101:102]
	v_fma_f64 v[105:106], -v[101:102], v[103:104], 1.0
	v_fma_f64 v[103:104], v[103:104], v[105:106], v[103:104]
	v_div_scale_f64 v[105:106], vcc, v[99:100], v[97:98], v[99:100]
	v_fma_f64 v[107:108], -v[101:102], v[103:104], 1.0
	v_fma_f64 v[103:104], v[103:104], v[107:108], v[103:104]
	v_mul_f64 v[107:108], v[105:106], v[103:104]
	v_fma_f64 v[101:102], -v[101:102], v[107:108], v[105:106]
	v_div_fmas_f64 v[101:102], v[101:102], v[103:104], v[107:108]
	v_div_fixup_f64 v[103:104], v[101:102], v[97:98], v[99:100]
	v_fma_f64 v[97:98], v[99:100], v[103:104], v[97:98]
	v_div_scale_f64 v[99:100], s[6:7], v[97:98], v[97:98], 1.0
	v_div_scale_f64 v[107:108], vcc, 1.0, v[97:98], 1.0
	v_rcp_f64_e32 v[101:102], v[99:100]
	v_fma_f64 v[105:106], -v[99:100], v[101:102], 1.0
	v_fma_f64 v[101:102], v[101:102], v[105:106], v[101:102]
	v_fma_f64 v[105:106], -v[99:100], v[101:102], 1.0
	v_fma_f64 v[101:102], v[101:102], v[105:106], v[101:102]
	v_mul_f64 v[105:106], v[107:108], v[101:102]
	v_fma_f64 v[99:100], -v[99:100], v[105:106], v[107:108]
	v_div_fmas_f64 v[99:100], v[99:100], v[101:102], v[105:106]
	v_div_fixup_f64 v[101:102], v[99:100], v[97:98], 1.0
	v_mul_f64 v[103:104], v[103:104], -v[101:102]
.LBB93_340:
	s_or_b64 exec, exec, s[2:3]
	ds_write2_b64 v127, v[101:102], v[103:104] offset1:1
.LBB93_341:
	s_or_b64 exec, exec, s[4:5]
	s_waitcnt lgkmcnt(0)
	s_barrier
	ds_read2_b64 v[69:72], v127 offset1:1
	v_cmp_lt_u32_e32 vcc, 37, v0
	s_waitcnt lgkmcnt(0)
	buffer_store_dword v69, off, s[20:23], 0 offset:1344 ; 4-byte Folded Spill
	s_nop 0
	buffer_store_dword v70, off, s[20:23], 0 offset:1348 ; 4-byte Folded Spill
	buffer_store_dword v71, off, s[20:23], 0 offset:1352 ; 4-byte Folded Spill
	buffer_store_dword v72, off, s[20:23], 0 offset:1356 ; 4-byte Folded Spill
	s_and_saveexec_b64 s[2:3], vcc
	s_cbranch_execz .LBB93_343
; %bb.342:
	buffer_load_dword v69, off, s[20:23], 0 offset:1344 ; 4-byte Folded Reload
	buffer_load_dword v70, off, s[20:23], 0 offset:1348 ; 4-byte Folded Reload
	;; [unrolled: 1-line block ×4, first 2 shown]
	ds_read2_b64 v[99:102], v125 offset0:76 offset1:77
	s_waitcnt vmcnt(2)
	v_mul_f64 v[97:98], v[69:70], v[35:36]
	s_waitcnt vmcnt(0)
	v_mul_f64 v[35:36], v[71:72], v[35:36]
	v_fma_f64 v[97:98], v[71:72], v[33:34], v[97:98]
	v_fma_f64 v[33:34], v[69:70], v[33:34], -v[35:36]
	s_waitcnt lgkmcnt(0)
	v_mul_f64 v[35:36], v[101:102], v[97:98]
	v_fma_f64 v[35:36], v[99:100], v[33:34], -v[35:36]
	v_mul_f64 v[99:100], v[99:100], v[97:98]
	v_add_f64 v[29:30], v[29:30], -v[35:36]
	v_fma_f64 v[99:100], v[101:102], v[33:34], v[99:100]
	v_add_f64 v[31:32], v[31:32], -v[99:100]
	ds_read2_b64 v[99:102], v125 offset0:78 offset1:79
	s_waitcnt lgkmcnt(0)
	v_mul_f64 v[35:36], v[101:102], v[97:98]
	v_fma_f64 v[35:36], v[99:100], v[33:34], -v[35:36]
	v_mul_f64 v[99:100], v[99:100], v[97:98]
	v_add_f64 v[25:26], v[25:26], -v[35:36]
	v_fma_f64 v[99:100], v[101:102], v[33:34], v[99:100]
	v_add_f64 v[27:28], v[27:28], -v[99:100]
	ds_read2_b64 v[99:102], v125 offset0:80 offset1:81
	;; [unrolled: 8-line block ×8, first 2 shown]
	s_waitcnt lgkmcnt(0)
	v_mul_f64 v[35:36], v[101:102], v[97:98]
	v_fma_f64 v[35:36], v[99:100], v[33:34], -v[35:36]
	v_mul_f64 v[99:100], v[99:100], v[97:98]
	v_add_f64 v[73:74], v[73:74], -v[35:36]
	v_fma_f64 v[99:100], v[101:102], v[33:34], v[99:100]
	v_mov_b32_e32 v35, v97
	v_mov_b32_e32 v36, v98
	v_add_f64 v[75:76], v[75:76], -v[99:100]
.LBB93_343:
	s_or_b64 exec, exec, s[2:3]
	v_cmp_eq_u32_e32 vcc, 38, v0
	s_waitcnt vmcnt(0)
	s_barrier
	s_and_saveexec_b64 s[4:5], vcc
	s_cbranch_execz .LBB93_350
; %bb.344:
	ds_write2_b64 v127, v[29:30], v[31:32] offset1:1
	ds_write2_b64 v125, v[25:26], v[27:28] offset0:78 offset1:79
	ds_write2_b64 v125, v[21:22], v[23:24] offset0:80 offset1:81
	ds_write2_b64 v125, v[17:18], v[19:20] offset0:82 offset1:83
	ds_write2_b64 v125, v[13:14], v[15:16] offset0:84 offset1:85
	ds_write2_b64 v125, v[9:10], v[11:12] offset0:86 offset1:87
	ds_write2_b64 v125, v[5:6], v[7:8] offset0:88 offset1:89
	ds_write2_b64 v125, v[1:2], v[3:4] offset0:90 offset1:91
	ds_write2_b64 v125, v[73:74], v[75:76] offset0:92 offset1:93
	ds_read2_b64 v[97:100], v127 offset1:1
	s_waitcnt lgkmcnt(0)
	v_cmp_neq_f64_e32 vcc, 0, v[97:98]
	v_cmp_neq_f64_e64 s[2:3], 0, v[99:100]
	s_or_b64 s[2:3], vcc, s[2:3]
	s_and_b64 exec, exec, s[2:3]
	s_cbranch_execz .LBB93_350
; %bb.345:
	v_cmp_ngt_f64_e64 s[2:3], |v[97:98]|, |v[99:100]|
                                        ; implicit-def: $vgpr101_vgpr102
	s_and_saveexec_b64 s[6:7], s[2:3]
	s_xor_b64 s[2:3], exec, s[6:7]
                                        ; implicit-def: $vgpr103_vgpr104
	s_cbranch_execz .LBB93_347
; %bb.346:
	v_div_scale_f64 v[101:102], s[6:7], v[99:100], v[99:100], v[97:98]
	v_rcp_f64_e32 v[103:104], v[101:102]
	v_fma_f64 v[105:106], -v[101:102], v[103:104], 1.0
	v_fma_f64 v[103:104], v[103:104], v[105:106], v[103:104]
	v_div_scale_f64 v[105:106], vcc, v[97:98], v[99:100], v[97:98]
	v_fma_f64 v[107:108], -v[101:102], v[103:104], 1.0
	v_fma_f64 v[103:104], v[103:104], v[107:108], v[103:104]
	v_mul_f64 v[107:108], v[105:106], v[103:104]
	v_fma_f64 v[101:102], -v[101:102], v[107:108], v[105:106]
	v_div_fmas_f64 v[101:102], v[101:102], v[103:104], v[107:108]
	v_div_fixup_f64 v[101:102], v[101:102], v[99:100], v[97:98]
	v_fma_f64 v[97:98], v[97:98], v[101:102], v[99:100]
	v_div_scale_f64 v[99:100], s[6:7], v[97:98], v[97:98], 1.0
	v_div_scale_f64 v[107:108], vcc, 1.0, v[97:98], 1.0
	v_rcp_f64_e32 v[103:104], v[99:100]
	v_fma_f64 v[105:106], -v[99:100], v[103:104], 1.0
	v_fma_f64 v[103:104], v[103:104], v[105:106], v[103:104]
	v_fma_f64 v[105:106], -v[99:100], v[103:104], 1.0
	v_fma_f64 v[103:104], v[103:104], v[105:106], v[103:104]
	v_mul_f64 v[105:106], v[107:108], v[103:104]
	v_fma_f64 v[99:100], -v[99:100], v[105:106], v[107:108]
	v_div_fmas_f64 v[99:100], v[99:100], v[103:104], v[105:106]
	v_div_fixup_f64 v[103:104], v[99:100], v[97:98], 1.0
                                        ; implicit-def: $vgpr97_vgpr98
	v_mul_f64 v[101:102], v[101:102], v[103:104]
	v_xor_b32_e32 v104, 0x80000000, v104
.LBB93_347:
	s_andn2_saveexec_b64 s[2:3], s[2:3]
	s_cbranch_execz .LBB93_349
; %bb.348:
	v_div_scale_f64 v[101:102], s[6:7], v[97:98], v[97:98], v[99:100]
	v_rcp_f64_e32 v[103:104], v[101:102]
	v_fma_f64 v[105:106], -v[101:102], v[103:104], 1.0
	v_fma_f64 v[103:104], v[103:104], v[105:106], v[103:104]
	v_div_scale_f64 v[105:106], vcc, v[99:100], v[97:98], v[99:100]
	v_fma_f64 v[107:108], -v[101:102], v[103:104], 1.0
	v_fma_f64 v[103:104], v[103:104], v[107:108], v[103:104]
	v_mul_f64 v[107:108], v[105:106], v[103:104]
	v_fma_f64 v[101:102], -v[101:102], v[107:108], v[105:106]
	v_div_fmas_f64 v[101:102], v[101:102], v[103:104], v[107:108]
	v_div_fixup_f64 v[103:104], v[101:102], v[97:98], v[99:100]
	v_fma_f64 v[97:98], v[99:100], v[103:104], v[97:98]
	v_div_scale_f64 v[99:100], s[6:7], v[97:98], v[97:98], 1.0
	v_div_scale_f64 v[107:108], vcc, 1.0, v[97:98], 1.0
	v_rcp_f64_e32 v[101:102], v[99:100]
	v_fma_f64 v[105:106], -v[99:100], v[101:102], 1.0
	v_fma_f64 v[101:102], v[101:102], v[105:106], v[101:102]
	v_fma_f64 v[105:106], -v[99:100], v[101:102], 1.0
	v_fma_f64 v[101:102], v[101:102], v[105:106], v[101:102]
	v_mul_f64 v[105:106], v[107:108], v[101:102]
	v_fma_f64 v[99:100], -v[99:100], v[105:106], v[107:108]
	v_div_fmas_f64 v[99:100], v[99:100], v[101:102], v[105:106]
	v_div_fixup_f64 v[101:102], v[99:100], v[97:98], 1.0
	v_mul_f64 v[103:104], v[103:104], -v[101:102]
.LBB93_349:
	s_or_b64 exec, exec, s[2:3]
	ds_write2_b64 v127, v[101:102], v[103:104] offset1:1
.LBB93_350:
	s_or_b64 exec, exec, s[4:5]
	s_waitcnt lgkmcnt(0)
	s_barrier
	ds_read2_b64 v[69:72], v127 offset1:1
	v_cmp_lt_u32_e32 vcc, 38, v0
	s_waitcnt lgkmcnt(0)
	buffer_store_dword v69, off, s[20:23], 0 offset:1360 ; 4-byte Folded Spill
	s_nop 0
	buffer_store_dword v70, off, s[20:23], 0 offset:1364 ; 4-byte Folded Spill
	buffer_store_dword v71, off, s[20:23], 0 offset:1368 ; 4-byte Folded Spill
	buffer_store_dword v72, off, s[20:23], 0 offset:1372 ; 4-byte Folded Spill
	s_and_saveexec_b64 s[2:3], vcc
	s_cbranch_execz .LBB93_352
; %bb.351:
	buffer_load_dword v69, off, s[20:23], 0 offset:1360 ; 4-byte Folded Reload
	buffer_load_dword v70, off, s[20:23], 0 offset:1364 ; 4-byte Folded Reload
	buffer_load_dword v71, off, s[20:23], 0 offset:1368 ; 4-byte Folded Reload
	buffer_load_dword v72, off, s[20:23], 0 offset:1372 ; 4-byte Folded Reload
	ds_read2_b64 v[99:102], v125 offset0:78 offset1:79
	s_waitcnt vmcnt(2)
	v_mul_f64 v[97:98], v[69:70], v[31:32]
	s_waitcnt vmcnt(0)
	v_mul_f64 v[31:32], v[71:72], v[31:32]
	v_fma_f64 v[97:98], v[71:72], v[29:30], v[97:98]
	v_fma_f64 v[29:30], v[69:70], v[29:30], -v[31:32]
	s_waitcnt lgkmcnt(0)
	v_mul_f64 v[31:32], v[101:102], v[97:98]
	v_fma_f64 v[31:32], v[99:100], v[29:30], -v[31:32]
	v_mul_f64 v[99:100], v[99:100], v[97:98]
	v_add_f64 v[25:26], v[25:26], -v[31:32]
	v_fma_f64 v[99:100], v[101:102], v[29:30], v[99:100]
	v_add_f64 v[27:28], v[27:28], -v[99:100]
	ds_read2_b64 v[99:102], v125 offset0:80 offset1:81
	s_waitcnt lgkmcnt(0)
	v_mul_f64 v[31:32], v[101:102], v[97:98]
	v_fma_f64 v[31:32], v[99:100], v[29:30], -v[31:32]
	v_mul_f64 v[99:100], v[99:100], v[97:98]
	v_add_f64 v[21:22], v[21:22], -v[31:32]
	v_fma_f64 v[99:100], v[101:102], v[29:30], v[99:100]
	v_add_f64 v[23:24], v[23:24], -v[99:100]
	ds_read2_b64 v[99:102], v125 offset0:82 offset1:83
	;; [unrolled: 8-line block ×7, first 2 shown]
	s_waitcnt lgkmcnt(0)
	v_mul_f64 v[31:32], v[101:102], v[97:98]
	v_fma_f64 v[31:32], v[99:100], v[29:30], -v[31:32]
	v_mul_f64 v[99:100], v[99:100], v[97:98]
	v_add_f64 v[73:74], v[73:74], -v[31:32]
	v_fma_f64 v[99:100], v[101:102], v[29:30], v[99:100]
	v_mov_b32_e32 v31, v97
	v_mov_b32_e32 v32, v98
	v_add_f64 v[75:76], v[75:76], -v[99:100]
.LBB93_352:
	s_or_b64 exec, exec, s[2:3]
	v_cmp_eq_u32_e32 vcc, 39, v0
	s_waitcnt vmcnt(0)
	s_barrier
	s_and_saveexec_b64 s[4:5], vcc
	s_cbranch_execz .LBB93_359
; %bb.353:
	ds_write2_b64 v127, v[25:26], v[27:28] offset1:1
	ds_write2_b64 v125, v[21:22], v[23:24] offset0:80 offset1:81
	ds_write2_b64 v125, v[17:18], v[19:20] offset0:82 offset1:83
	;; [unrolled: 1-line block ×7, first 2 shown]
	ds_read2_b64 v[97:100], v127 offset1:1
	s_waitcnt lgkmcnt(0)
	v_cmp_neq_f64_e32 vcc, 0, v[97:98]
	v_cmp_neq_f64_e64 s[2:3], 0, v[99:100]
	s_or_b64 s[2:3], vcc, s[2:3]
	s_and_b64 exec, exec, s[2:3]
	s_cbranch_execz .LBB93_359
; %bb.354:
	v_cmp_ngt_f64_e64 s[2:3], |v[97:98]|, |v[99:100]|
                                        ; implicit-def: $vgpr101_vgpr102
	s_and_saveexec_b64 s[6:7], s[2:3]
	s_xor_b64 s[2:3], exec, s[6:7]
                                        ; implicit-def: $vgpr103_vgpr104
	s_cbranch_execz .LBB93_356
; %bb.355:
	v_div_scale_f64 v[101:102], s[6:7], v[99:100], v[99:100], v[97:98]
	v_rcp_f64_e32 v[103:104], v[101:102]
	v_fma_f64 v[105:106], -v[101:102], v[103:104], 1.0
	v_fma_f64 v[103:104], v[103:104], v[105:106], v[103:104]
	v_div_scale_f64 v[105:106], vcc, v[97:98], v[99:100], v[97:98]
	v_fma_f64 v[107:108], -v[101:102], v[103:104], 1.0
	v_fma_f64 v[103:104], v[103:104], v[107:108], v[103:104]
	v_mul_f64 v[107:108], v[105:106], v[103:104]
	v_fma_f64 v[101:102], -v[101:102], v[107:108], v[105:106]
	v_div_fmas_f64 v[101:102], v[101:102], v[103:104], v[107:108]
	v_div_fixup_f64 v[101:102], v[101:102], v[99:100], v[97:98]
	v_fma_f64 v[97:98], v[97:98], v[101:102], v[99:100]
	v_div_scale_f64 v[99:100], s[6:7], v[97:98], v[97:98], 1.0
	v_div_scale_f64 v[107:108], vcc, 1.0, v[97:98], 1.0
	v_rcp_f64_e32 v[103:104], v[99:100]
	v_fma_f64 v[105:106], -v[99:100], v[103:104], 1.0
	v_fma_f64 v[103:104], v[103:104], v[105:106], v[103:104]
	v_fma_f64 v[105:106], -v[99:100], v[103:104], 1.0
	v_fma_f64 v[103:104], v[103:104], v[105:106], v[103:104]
	v_mul_f64 v[105:106], v[107:108], v[103:104]
	v_fma_f64 v[99:100], -v[99:100], v[105:106], v[107:108]
	v_div_fmas_f64 v[99:100], v[99:100], v[103:104], v[105:106]
	v_div_fixup_f64 v[103:104], v[99:100], v[97:98], 1.0
                                        ; implicit-def: $vgpr97_vgpr98
	v_mul_f64 v[101:102], v[101:102], v[103:104]
	v_xor_b32_e32 v104, 0x80000000, v104
.LBB93_356:
	s_andn2_saveexec_b64 s[2:3], s[2:3]
	s_cbranch_execz .LBB93_358
; %bb.357:
	v_div_scale_f64 v[101:102], s[6:7], v[97:98], v[97:98], v[99:100]
	v_rcp_f64_e32 v[103:104], v[101:102]
	v_fma_f64 v[105:106], -v[101:102], v[103:104], 1.0
	v_fma_f64 v[103:104], v[103:104], v[105:106], v[103:104]
	v_div_scale_f64 v[105:106], vcc, v[99:100], v[97:98], v[99:100]
	v_fma_f64 v[107:108], -v[101:102], v[103:104], 1.0
	v_fma_f64 v[103:104], v[103:104], v[107:108], v[103:104]
	v_mul_f64 v[107:108], v[105:106], v[103:104]
	v_fma_f64 v[101:102], -v[101:102], v[107:108], v[105:106]
	v_div_fmas_f64 v[101:102], v[101:102], v[103:104], v[107:108]
	v_div_fixup_f64 v[103:104], v[101:102], v[97:98], v[99:100]
	v_fma_f64 v[97:98], v[99:100], v[103:104], v[97:98]
	v_div_scale_f64 v[99:100], s[6:7], v[97:98], v[97:98], 1.0
	v_div_scale_f64 v[107:108], vcc, 1.0, v[97:98], 1.0
	v_rcp_f64_e32 v[101:102], v[99:100]
	v_fma_f64 v[105:106], -v[99:100], v[101:102], 1.0
	v_fma_f64 v[101:102], v[101:102], v[105:106], v[101:102]
	v_fma_f64 v[105:106], -v[99:100], v[101:102], 1.0
	v_fma_f64 v[101:102], v[101:102], v[105:106], v[101:102]
	v_mul_f64 v[105:106], v[107:108], v[101:102]
	v_fma_f64 v[99:100], -v[99:100], v[105:106], v[107:108]
	v_div_fmas_f64 v[99:100], v[99:100], v[101:102], v[105:106]
	v_div_fixup_f64 v[101:102], v[99:100], v[97:98], 1.0
	v_mul_f64 v[103:104], v[103:104], -v[101:102]
.LBB93_358:
	s_or_b64 exec, exec, s[2:3]
	ds_write2_b64 v127, v[101:102], v[103:104] offset1:1
.LBB93_359:
	s_or_b64 exec, exec, s[4:5]
	s_waitcnt lgkmcnt(0)
	s_barrier
	ds_read2_b64 v[69:72], v127 offset1:1
	v_cmp_lt_u32_e32 vcc, 39, v0
	s_waitcnt lgkmcnt(0)
	buffer_store_dword v69, off, s[20:23], 0 offset:1376 ; 4-byte Folded Spill
	s_nop 0
	buffer_store_dword v70, off, s[20:23], 0 offset:1380 ; 4-byte Folded Spill
	buffer_store_dword v71, off, s[20:23], 0 offset:1384 ; 4-byte Folded Spill
	;; [unrolled: 1-line block ×3, first 2 shown]
	s_and_saveexec_b64 s[2:3], vcc
	s_cbranch_execz .LBB93_361
; %bb.360:
	buffer_load_dword v69, off, s[20:23], 0 offset:1376 ; 4-byte Folded Reload
	buffer_load_dword v70, off, s[20:23], 0 offset:1380 ; 4-byte Folded Reload
	;; [unrolled: 1-line block ×4, first 2 shown]
	ds_read2_b64 v[99:102], v125 offset0:80 offset1:81
	s_waitcnt vmcnt(2)
	v_mul_f64 v[97:98], v[69:70], v[27:28]
	s_waitcnt vmcnt(0)
	v_mul_f64 v[27:28], v[71:72], v[27:28]
	v_fma_f64 v[97:98], v[71:72], v[25:26], v[97:98]
	v_fma_f64 v[25:26], v[69:70], v[25:26], -v[27:28]
	s_waitcnt lgkmcnt(0)
	v_mul_f64 v[27:28], v[101:102], v[97:98]
	v_fma_f64 v[27:28], v[99:100], v[25:26], -v[27:28]
	v_mul_f64 v[99:100], v[99:100], v[97:98]
	v_add_f64 v[21:22], v[21:22], -v[27:28]
	v_fma_f64 v[99:100], v[101:102], v[25:26], v[99:100]
	v_add_f64 v[23:24], v[23:24], -v[99:100]
	ds_read2_b64 v[99:102], v125 offset0:82 offset1:83
	s_waitcnt lgkmcnt(0)
	v_mul_f64 v[27:28], v[101:102], v[97:98]
	v_fma_f64 v[27:28], v[99:100], v[25:26], -v[27:28]
	v_mul_f64 v[99:100], v[99:100], v[97:98]
	v_add_f64 v[17:18], v[17:18], -v[27:28]
	v_fma_f64 v[99:100], v[101:102], v[25:26], v[99:100]
	v_add_f64 v[19:20], v[19:20], -v[99:100]
	ds_read2_b64 v[99:102], v125 offset0:84 offset1:85
	;; [unrolled: 8-line block ×6, first 2 shown]
	s_waitcnt lgkmcnt(0)
	v_mul_f64 v[27:28], v[101:102], v[97:98]
	v_fma_f64 v[27:28], v[99:100], v[25:26], -v[27:28]
	v_mul_f64 v[99:100], v[99:100], v[97:98]
	v_add_f64 v[73:74], v[73:74], -v[27:28]
	v_fma_f64 v[99:100], v[101:102], v[25:26], v[99:100]
	v_mov_b32_e32 v27, v97
	v_mov_b32_e32 v28, v98
	v_add_f64 v[75:76], v[75:76], -v[99:100]
.LBB93_361:
	s_or_b64 exec, exec, s[2:3]
	v_cmp_eq_u32_e32 vcc, 40, v0
	s_waitcnt vmcnt(0)
	s_barrier
	s_and_saveexec_b64 s[4:5], vcc
	s_cbranch_execz .LBB93_368
; %bb.362:
	ds_write2_b64 v127, v[21:22], v[23:24] offset1:1
	ds_write2_b64 v125, v[17:18], v[19:20] offset0:82 offset1:83
	ds_write2_b64 v125, v[13:14], v[15:16] offset0:84 offset1:85
	;; [unrolled: 1-line block ×6, first 2 shown]
	ds_read2_b64 v[97:100], v127 offset1:1
	s_waitcnt lgkmcnt(0)
	v_cmp_neq_f64_e32 vcc, 0, v[97:98]
	v_cmp_neq_f64_e64 s[2:3], 0, v[99:100]
	s_or_b64 s[2:3], vcc, s[2:3]
	s_and_b64 exec, exec, s[2:3]
	s_cbranch_execz .LBB93_368
; %bb.363:
	v_cmp_ngt_f64_e64 s[2:3], |v[97:98]|, |v[99:100]|
                                        ; implicit-def: $vgpr101_vgpr102
	s_and_saveexec_b64 s[6:7], s[2:3]
	s_xor_b64 s[2:3], exec, s[6:7]
                                        ; implicit-def: $vgpr103_vgpr104
	s_cbranch_execz .LBB93_365
; %bb.364:
	v_div_scale_f64 v[101:102], s[6:7], v[99:100], v[99:100], v[97:98]
	v_rcp_f64_e32 v[103:104], v[101:102]
	v_fma_f64 v[105:106], -v[101:102], v[103:104], 1.0
	v_fma_f64 v[103:104], v[103:104], v[105:106], v[103:104]
	v_div_scale_f64 v[105:106], vcc, v[97:98], v[99:100], v[97:98]
	v_fma_f64 v[107:108], -v[101:102], v[103:104], 1.0
	v_fma_f64 v[103:104], v[103:104], v[107:108], v[103:104]
	v_mul_f64 v[107:108], v[105:106], v[103:104]
	v_fma_f64 v[101:102], -v[101:102], v[107:108], v[105:106]
	v_div_fmas_f64 v[101:102], v[101:102], v[103:104], v[107:108]
	v_div_fixup_f64 v[101:102], v[101:102], v[99:100], v[97:98]
	v_fma_f64 v[97:98], v[97:98], v[101:102], v[99:100]
	v_div_scale_f64 v[99:100], s[6:7], v[97:98], v[97:98], 1.0
	v_div_scale_f64 v[107:108], vcc, 1.0, v[97:98], 1.0
	v_rcp_f64_e32 v[103:104], v[99:100]
	v_fma_f64 v[105:106], -v[99:100], v[103:104], 1.0
	v_fma_f64 v[103:104], v[103:104], v[105:106], v[103:104]
	v_fma_f64 v[105:106], -v[99:100], v[103:104], 1.0
	v_fma_f64 v[103:104], v[103:104], v[105:106], v[103:104]
	v_mul_f64 v[105:106], v[107:108], v[103:104]
	v_fma_f64 v[99:100], -v[99:100], v[105:106], v[107:108]
	v_div_fmas_f64 v[99:100], v[99:100], v[103:104], v[105:106]
	v_div_fixup_f64 v[103:104], v[99:100], v[97:98], 1.0
                                        ; implicit-def: $vgpr97_vgpr98
	v_mul_f64 v[101:102], v[101:102], v[103:104]
	v_xor_b32_e32 v104, 0x80000000, v104
.LBB93_365:
	s_andn2_saveexec_b64 s[2:3], s[2:3]
	s_cbranch_execz .LBB93_367
; %bb.366:
	v_div_scale_f64 v[101:102], s[6:7], v[97:98], v[97:98], v[99:100]
	v_rcp_f64_e32 v[103:104], v[101:102]
	v_fma_f64 v[105:106], -v[101:102], v[103:104], 1.0
	v_fma_f64 v[103:104], v[103:104], v[105:106], v[103:104]
	v_div_scale_f64 v[105:106], vcc, v[99:100], v[97:98], v[99:100]
	v_fma_f64 v[107:108], -v[101:102], v[103:104], 1.0
	v_fma_f64 v[103:104], v[103:104], v[107:108], v[103:104]
	v_mul_f64 v[107:108], v[105:106], v[103:104]
	v_fma_f64 v[101:102], -v[101:102], v[107:108], v[105:106]
	v_div_fmas_f64 v[101:102], v[101:102], v[103:104], v[107:108]
	v_div_fixup_f64 v[103:104], v[101:102], v[97:98], v[99:100]
	v_fma_f64 v[97:98], v[99:100], v[103:104], v[97:98]
	v_div_scale_f64 v[99:100], s[6:7], v[97:98], v[97:98], 1.0
	v_div_scale_f64 v[107:108], vcc, 1.0, v[97:98], 1.0
	v_rcp_f64_e32 v[101:102], v[99:100]
	v_fma_f64 v[105:106], -v[99:100], v[101:102], 1.0
	v_fma_f64 v[101:102], v[101:102], v[105:106], v[101:102]
	v_fma_f64 v[105:106], -v[99:100], v[101:102], 1.0
	v_fma_f64 v[101:102], v[101:102], v[105:106], v[101:102]
	v_mul_f64 v[105:106], v[107:108], v[101:102]
	v_fma_f64 v[99:100], -v[99:100], v[105:106], v[107:108]
	v_div_fmas_f64 v[99:100], v[99:100], v[101:102], v[105:106]
	v_div_fixup_f64 v[101:102], v[99:100], v[97:98], 1.0
	v_mul_f64 v[103:104], v[103:104], -v[101:102]
.LBB93_367:
	s_or_b64 exec, exec, s[2:3]
	ds_write2_b64 v127, v[101:102], v[103:104] offset1:1
.LBB93_368:
	s_or_b64 exec, exec, s[4:5]
	s_waitcnt lgkmcnt(0)
	s_barrier
	ds_read2_b64 v[69:72], v127 offset1:1
	v_cmp_lt_u32_e32 vcc, 40, v0
	s_waitcnt lgkmcnt(0)
	buffer_store_dword v69, off, s[20:23], 0 offset:1392 ; 4-byte Folded Spill
	s_nop 0
	buffer_store_dword v70, off, s[20:23], 0 offset:1396 ; 4-byte Folded Spill
	buffer_store_dword v71, off, s[20:23], 0 offset:1400 ; 4-byte Folded Spill
	;; [unrolled: 1-line block ×3, first 2 shown]
	s_and_saveexec_b64 s[2:3], vcc
	s_cbranch_execz .LBB93_370
; %bb.369:
	buffer_load_dword v69, off, s[20:23], 0 offset:1392 ; 4-byte Folded Reload
	buffer_load_dword v70, off, s[20:23], 0 offset:1396 ; 4-byte Folded Reload
	buffer_load_dword v71, off, s[20:23], 0 offset:1400 ; 4-byte Folded Reload
	buffer_load_dword v72, off, s[20:23], 0 offset:1404 ; 4-byte Folded Reload
	ds_read2_b64 v[99:102], v125 offset0:82 offset1:83
	s_waitcnt vmcnt(2)
	v_mul_f64 v[97:98], v[69:70], v[23:24]
	s_waitcnt vmcnt(0)
	v_mul_f64 v[23:24], v[71:72], v[23:24]
	v_fma_f64 v[97:98], v[71:72], v[21:22], v[97:98]
	v_fma_f64 v[21:22], v[69:70], v[21:22], -v[23:24]
	s_waitcnt lgkmcnt(0)
	v_mul_f64 v[23:24], v[101:102], v[97:98]
	v_fma_f64 v[23:24], v[99:100], v[21:22], -v[23:24]
	v_mul_f64 v[99:100], v[99:100], v[97:98]
	v_add_f64 v[17:18], v[17:18], -v[23:24]
	v_fma_f64 v[99:100], v[101:102], v[21:22], v[99:100]
	v_add_f64 v[19:20], v[19:20], -v[99:100]
	ds_read2_b64 v[99:102], v125 offset0:84 offset1:85
	s_waitcnt lgkmcnt(0)
	v_mul_f64 v[23:24], v[101:102], v[97:98]
	v_fma_f64 v[23:24], v[99:100], v[21:22], -v[23:24]
	v_mul_f64 v[99:100], v[99:100], v[97:98]
	v_add_f64 v[13:14], v[13:14], -v[23:24]
	v_fma_f64 v[99:100], v[101:102], v[21:22], v[99:100]
	v_add_f64 v[15:16], v[15:16], -v[99:100]
	ds_read2_b64 v[99:102], v125 offset0:86 offset1:87
	;; [unrolled: 8-line block ×5, first 2 shown]
	s_waitcnt lgkmcnt(0)
	v_mul_f64 v[23:24], v[101:102], v[97:98]
	v_fma_f64 v[23:24], v[99:100], v[21:22], -v[23:24]
	v_mul_f64 v[99:100], v[99:100], v[97:98]
	v_add_f64 v[73:74], v[73:74], -v[23:24]
	v_fma_f64 v[99:100], v[101:102], v[21:22], v[99:100]
	v_mov_b32_e32 v23, v97
	v_mov_b32_e32 v24, v98
	v_add_f64 v[75:76], v[75:76], -v[99:100]
.LBB93_370:
	s_or_b64 exec, exec, s[2:3]
	v_cmp_eq_u32_e32 vcc, 41, v0
	s_waitcnt vmcnt(0)
	s_barrier
	s_and_saveexec_b64 s[4:5], vcc
	s_cbranch_execz .LBB93_377
; %bb.371:
	ds_write2_b64 v127, v[17:18], v[19:20] offset1:1
	ds_write2_b64 v125, v[13:14], v[15:16] offset0:84 offset1:85
	ds_write2_b64 v125, v[9:10], v[11:12] offset0:86 offset1:87
	;; [unrolled: 1-line block ×5, first 2 shown]
	ds_read2_b64 v[97:100], v127 offset1:1
	s_waitcnt lgkmcnt(0)
	v_cmp_neq_f64_e32 vcc, 0, v[97:98]
	v_cmp_neq_f64_e64 s[2:3], 0, v[99:100]
	s_or_b64 s[2:3], vcc, s[2:3]
	s_and_b64 exec, exec, s[2:3]
	s_cbranch_execz .LBB93_377
; %bb.372:
	v_cmp_ngt_f64_e64 s[2:3], |v[97:98]|, |v[99:100]|
                                        ; implicit-def: $vgpr101_vgpr102
	s_and_saveexec_b64 s[6:7], s[2:3]
	s_xor_b64 s[2:3], exec, s[6:7]
                                        ; implicit-def: $vgpr103_vgpr104
	s_cbranch_execz .LBB93_374
; %bb.373:
	v_div_scale_f64 v[101:102], s[6:7], v[99:100], v[99:100], v[97:98]
	v_rcp_f64_e32 v[103:104], v[101:102]
	v_fma_f64 v[105:106], -v[101:102], v[103:104], 1.0
	v_fma_f64 v[103:104], v[103:104], v[105:106], v[103:104]
	v_div_scale_f64 v[105:106], vcc, v[97:98], v[99:100], v[97:98]
	v_fma_f64 v[107:108], -v[101:102], v[103:104], 1.0
	v_fma_f64 v[103:104], v[103:104], v[107:108], v[103:104]
	v_mul_f64 v[107:108], v[105:106], v[103:104]
	v_fma_f64 v[101:102], -v[101:102], v[107:108], v[105:106]
	v_div_fmas_f64 v[101:102], v[101:102], v[103:104], v[107:108]
	v_div_fixup_f64 v[101:102], v[101:102], v[99:100], v[97:98]
	v_fma_f64 v[97:98], v[97:98], v[101:102], v[99:100]
	v_div_scale_f64 v[99:100], s[6:7], v[97:98], v[97:98], 1.0
	v_div_scale_f64 v[107:108], vcc, 1.0, v[97:98], 1.0
	v_rcp_f64_e32 v[103:104], v[99:100]
	v_fma_f64 v[105:106], -v[99:100], v[103:104], 1.0
	v_fma_f64 v[103:104], v[103:104], v[105:106], v[103:104]
	v_fma_f64 v[105:106], -v[99:100], v[103:104], 1.0
	v_fma_f64 v[103:104], v[103:104], v[105:106], v[103:104]
	v_mul_f64 v[105:106], v[107:108], v[103:104]
	v_fma_f64 v[99:100], -v[99:100], v[105:106], v[107:108]
	v_div_fmas_f64 v[99:100], v[99:100], v[103:104], v[105:106]
	v_div_fixup_f64 v[103:104], v[99:100], v[97:98], 1.0
                                        ; implicit-def: $vgpr97_vgpr98
	v_mul_f64 v[101:102], v[101:102], v[103:104]
	v_xor_b32_e32 v104, 0x80000000, v104
.LBB93_374:
	s_andn2_saveexec_b64 s[2:3], s[2:3]
	s_cbranch_execz .LBB93_376
; %bb.375:
	v_div_scale_f64 v[101:102], s[6:7], v[97:98], v[97:98], v[99:100]
	v_rcp_f64_e32 v[103:104], v[101:102]
	v_fma_f64 v[105:106], -v[101:102], v[103:104], 1.0
	v_fma_f64 v[103:104], v[103:104], v[105:106], v[103:104]
	v_div_scale_f64 v[105:106], vcc, v[99:100], v[97:98], v[99:100]
	v_fma_f64 v[107:108], -v[101:102], v[103:104], 1.0
	v_fma_f64 v[103:104], v[103:104], v[107:108], v[103:104]
	v_mul_f64 v[107:108], v[105:106], v[103:104]
	v_fma_f64 v[101:102], -v[101:102], v[107:108], v[105:106]
	v_div_fmas_f64 v[101:102], v[101:102], v[103:104], v[107:108]
	v_div_fixup_f64 v[103:104], v[101:102], v[97:98], v[99:100]
	v_fma_f64 v[97:98], v[99:100], v[103:104], v[97:98]
	v_div_scale_f64 v[99:100], s[6:7], v[97:98], v[97:98], 1.0
	v_div_scale_f64 v[107:108], vcc, 1.0, v[97:98], 1.0
	v_rcp_f64_e32 v[101:102], v[99:100]
	v_fma_f64 v[105:106], -v[99:100], v[101:102], 1.0
	v_fma_f64 v[101:102], v[101:102], v[105:106], v[101:102]
	v_fma_f64 v[105:106], -v[99:100], v[101:102], 1.0
	v_fma_f64 v[101:102], v[101:102], v[105:106], v[101:102]
	v_mul_f64 v[105:106], v[107:108], v[101:102]
	v_fma_f64 v[99:100], -v[99:100], v[105:106], v[107:108]
	v_div_fmas_f64 v[99:100], v[99:100], v[101:102], v[105:106]
	v_div_fixup_f64 v[101:102], v[99:100], v[97:98], 1.0
	v_mul_f64 v[103:104], v[103:104], -v[101:102]
.LBB93_376:
	s_or_b64 exec, exec, s[2:3]
	ds_write2_b64 v127, v[101:102], v[103:104] offset1:1
.LBB93_377:
	s_or_b64 exec, exec, s[4:5]
	s_waitcnt lgkmcnt(0)
	s_barrier
	ds_read2_b64 v[69:72], v127 offset1:1
	v_cmp_lt_u32_e32 vcc, 41, v0
	s_waitcnt lgkmcnt(0)
	buffer_store_dword v69, off, s[20:23], 0 offset:1408 ; 4-byte Folded Spill
	s_nop 0
	buffer_store_dword v70, off, s[20:23], 0 offset:1412 ; 4-byte Folded Spill
	buffer_store_dword v71, off, s[20:23], 0 offset:1416 ; 4-byte Folded Spill
	buffer_store_dword v72, off, s[20:23], 0 offset:1420 ; 4-byte Folded Spill
	s_and_saveexec_b64 s[2:3], vcc
	s_cbranch_execz .LBB93_379
; %bb.378:
	buffer_load_dword v69, off, s[20:23], 0 offset:1408 ; 4-byte Folded Reload
	buffer_load_dword v70, off, s[20:23], 0 offset:1412 ; 4-byte Folded Reload
	;; [unrolled: 1-line block ×4, first 2 shown]
	s_waitcnt vmcnt(2)
	v_mul_f64 v[97:98], v[69:70], v[19:20]
	s_waitcnt vmcnt(0)
	v_mul_f64 v[19:20], v[71:72], v[19:20]
	v_fma_f64 v[101:102], v[71:72], v[17:18], v[97:98]
	ds_read2_b64 v[97:100], v125 offset0:84 offset1:85
	v_fma_f64 v[17:18], v[69:70], v[17:18], -v[19:20]
	s_waitcnt lgkmcnt(0)
	v_mul_f64 v[19:20], v[99:100], v[101:102]
	v_fma_f64 v[19:20], v[97:98], v[17:18], -v[19:20]
	v_mul_f64 v[97:98], v[97:98], v[101:102]
	v_add_f64 v[13:14], v[13:14], -v[19:20]
	v_fma_f64 v[97:98], v[99:100], v[17:18], v[97:98]
	v_add_f64 v[15:16], v[15:16], -v[97:98]
	ds_read2_b64 v[97:100], v125 offset0:86 offset1:87
	s_waitcnt lgkmcnt(0)
	v_mul_f64 v[19:20], v[99:100], v[101:102]
	v_fma_f64 v[19:20], v[97:98], v[17:18], -v[19:20]
	v_mul_f64 v[97:98], v[97:98], v[101:102]
	v_add_f64 v[9:10], v[9:10], -v[19:20]
	v_fma_f64 v[97:98], v[99:100], v[17:18], v[97:98]
	v_add_f64 v[11:12], v[11:12], -v[97:98]
	ds_read2_b64 v[97:100], v125 offset0:88 offset1:89
	;; [unrolled: 8-line block ×4, first 2 shown]
	s_waitcnt lgkmcnt(0)
	v_mul_f64 v[19:20], v[99:100], v[101:102]
	v_fma_f64 v[19:20], v[97:98], v[17:18], -v[19:20]
	v_mul_f64 v[97:98], v[97:98], v[101:102]
	v_add_f64 v[73:74], v[73:74], -v[19:20]
	v_fma_f64 v[97:98], v[99:100], v[17:18], v[97:98]
	v_mov_b32_e32 v19, v101
	v_mov_b32_e32 v20, v102
	v_add_f64 v[75:76], v[75:76], -v[97:98]
.LBB93_379:
	s_or_b64 exec, exec, s[2:3]
	v_cmp_eq_u32_e32 vcc, 42, v0
	s_waitcnt vmcnt(0)
	s_barrier
	s_and_saveexec_b64 s[4:5], vcc
	s_cbranch_execz .LBB93_386
; %bb.380:
	ds_write2_b64 v127, v[13:14], v[15:16] offset1:1
	ds_write2_b64 v125, v[9:10], v[11:12] offset0:86 offset1:87
	ds_write2_b64 v125, v[5:6], v[7:8] offset0:88 offset1:89
	;; [unrolled: 1-line block ×4, first 2 shown]
	ds_read2_b64 v[97:100], v127 offset1:1
	s_waitcnt lgkmcnt(0)
	v_cmp_neq_f64_e32 vcc, 0, v[97:98]
	v_cmp_neq_f64_e64 s[2:3], 0, v[99:100]
	s_or_b64 s[2:3], vcc, s[2:3]
	s_and_b64 exec, exec, s[2:3]
	s_cbranch_execz .LBB93_386
; %bb.381:
	v_cmp_ngt_f64_e64 s[2:3], |v[97:98]|, |v[99:100]|
                                        ; implicit-def: $vgpr101_vgpr102
	s_and_saveexec_b64 s[6:7], s[2:3]
	s_xor_b64 s[2:3], exec, s[6:7]
                                        ; implicit-def: $vgpr103_vgpr104
	s_cbranch_execz .LBB93_383
; %bb.382:
	v_div_scale_f64 v[101:102], s[6:7], v[99:100], v[99:100], v[97:98]
	v_rcp_f64_e32 v[103:104], v[101:102]
	v_fma_f64 v[105:106], -v[101:102], v[103:104], 1.0
	v_fma_f64 v[103:104], v[103:104], v[105:106], v[103:104]
	v_div_scale_f64 v[105:106], vcc, v[97:98], v[99:100], v[97:98]
	v_fma_f64 v[107:108], -v[101:102], v[103:104], 1.0
	v_fma_f64 v[103:104], v[103:104], v[107:108], v[103:104]
	v_mul_f64 v[107:108], v[105:106], v[103:104]
	v_fma_f64 v[101:102], -v[101:102], v[107:108], v[105:106]
	v_div_fmas_f64 v[101:102], v[101:102], v[103:104], v[107:108]
	v_div_fixup_f64 v[101:102], v[101:102], v[99:100], v[97:98]
	v_fma_f64 v[97:98], v[97:98], v[101:102], v[99:100]
	v_div_scale_f64 v[99:100], s[6:7], v[97:98], v[97:98], 1.0
	v_div_scale_f64 v[107:108], vcc, 1.0, v[97:98], 1.0
	v_rcp_f64_e32 v[103:104], v[99:100]
	v_fma_f64 v[105:106], -v[99:100], v[103:104], 1.0
	v_fma_f64 v[103:104], v[103:104], v[105:106], v[103:104]
	v_fma_f64 v[105:106], -v[99:100], v[103:104], 1.0
	v_fma_f64 v[103:104], v[103:104], v[105:106], v[103:104]
	v_mul_f64 v[105:106], v[107:108], v[103:104]
	v_fma_f64 v[99:100], -v[99:100], v[105:106], v[107:108]
	v_div_fmas_f64 v[99:100], v[99:100], v[103:104], v[105:106]
	v_div_fixup_f64 v[103:104], v[99:100], v[97:98], 1.0
                                        ; implicit-def: $vgpr97_vgpr98
	v_mul_f64 v[101:102], v[101:102], v[103:104]
	v_xor_b32_e32 v104, 0x80000000, v104
.LBB93_383:
	s_andn2_saveexec_b64 s[2:3], s[2:3]
	s_cbranch_execz .LBB93_385
; %bb.384:
	v_div_scale_f64 v[101:102], s[6:7], v[97:98], v[97:98], v[99:100]
	v_rcp_f64_e32 v[103:104], v[101:102]
	v_fma_f64 v[105:106], -v[101:102], v[103:104], 1.0
	v_fma_f64 v[103:104], v[103:104], v[105:106], v[103:104]
	v_div_scale_f64 v[105:106], vcc, v[99:100], v[97:98], v[99:100]
	v_fma_f64 v[107:108], -v[101:102], v[103:104], 1.0
	v_fma_f64 v[103:104], v[103:104], v[107:108], v[103:104]
	v_mul_f64 v[107:108], v[105:106], v[103:104]
	v_fma_f64 v[101:102], -v[101:102], v[107:108], v[105:106]
	v_div_fmas_f64 v[101:102], v[101:102], v[103:104], v[107:108]
	v_div_fixup_f64 v[103:104], v[101:102], v[97:98], v[99:100]
	v_fma_f64 v[97:98], v[99:100], v[103:104], v[97:98]
	v_div_scale_f64 v[99:100], s[6:7], v[97:98], v[97:98], 1.0
	v_div_scale_f64 v[107:108], vcc, 1.0, v[97:98], 1.0
	v_rcp_f64_e32 v[101:102], v[99:100]
	v_fma_f64 v[105:106], -v[99:100], v[101:102], 1.0
	v_fma_f64 v[101:102], v[101:102], v[105:106], v[101:102]
	v_fma_f64 v[105:106], -v[99:100], v[101:102], 1.0
	v_fma_f64 v[101:102], v[101:102], v[105:106], v[101:102]
	v_mul_f64 v[105:106], v[107:108], v[101:102]
	v_fma_f64 v[99:100], -v[99:100], v[105:106], v[107:108]
	v_div_fmas_f64 v[99:100], v[99:100], v[101:102], v[105:106]
	v_div_fixup_f64 v[101:102], v[99:100], v[97:98], 1.0
	v_mul_f64 v[103:104], v[103:104], -v[101:102]
.LBB93_385:
	s_or_b64 exec, exec, s[2:3]
	ds_write2_b64 v127, v[101:102], v[103:104] offset1:1
.LBB93_386:
	s_or_b64 exec, exec, s[4:5]
	s_waitcnt lgkmcnt(0)
	s_barrier
	ds_read2_b64 v[69:72], v127 offset1:1
	v_cmp_lt_u32_e32 vcc, 42, v0
	s_waitcnt lgkmcnt(0)
	buffer_store_dword v69, off, s[20:23], 0 offset:1424 ; 4-byte Folded Spill
	s_nop 0
	buffer_store_dword v70, off, s[20:23], 0 offset:1428 ; 4-byte Folded Spill
	buffer_store_dword v71, off, s[20:23], 0 offset:1432 ; 4-byte Folded Spill
	;; [unrolled: 1-line block ×3, first 2 shown]
	s_and_saveexec_b64 s[2:3], vcc
	s_cbranch_execz .LBB93_388
; %bb.387:
	buffer_load_dword v69, off, s[20:23], 0 offset:1424 ; 4-byte Folded Reload
	buffer_load_dword v70, off, s[20:23], 0 offset:1428 ; 4-byte Folded Reload
	;; [unrolled: 1-line block ×4, first 2 shown]
	s_waitcnt vmcnt(2)
	v_mul_f64 v[97:98], v[69:70], v[15:16]
	s_waitcnt vmcnt(0)
	v_mul_f64 v[15:16], v[71:72], v[15:16]
	v_fma_f64 v[101:102], v[71:72], v[13:14], v[97:98]
	ds_read2_b64 v[97:100], v125 offset0:86 offset1:87
	v_fma_f64 v[13:14], v[69:70], v[13:14], -v[15:16]
	s_waitcnt lgkmcnt(0)
	v_mul_f64 v[15:16], v[99:100], v[101:102]
	v_fma_f64 v[15:16], v[97:98], v[13:14], -v[15:16]
	v_mul_f64 v[97:98], v[97:98], v[101:102]
	v_add_f64 v[9:10], v[9:10], -v[15:16]
	v_fma_f64 v[97:98], v[99:100], v[13:14], v[97:98]
	v_add_f64 v[11:12], v[11:12], -v[97:98]
	ds_read2_b64 v[97:100], v125 offset0:88 offset1:89
	s_waitcnt lgkmcnt(0)
	v_mul_f64 v[15:16], v[99:100], v[101:102]
	v_fma_f64 v[15:16], v[97:98], v[13:14], -v[15:16]
	v_mul_f64 v[97:98], v[97:98], v[101:102]
	v_add_f64 v[5:6], v[5:6], -v[15:16]
	v_fma_f64 v[97:98], v[99:100], v[13:14], v[97:98]
	v_add_f64 v[7:8], v[7:8], -v[97:98]
	ds_read2_b64 v[97:100], v125 offset0:90 offset1:91
	;; [unrolled: 8-line block ×3, first 2 shown]
	s_waitcnt lgkmcnt(0)
	v_mul_f64 v[15:16], v[99:100], v[101:102]
	v_fma_f64 v[15:16], v[97:98], v[13:14], -v[15:16]
	v_mul_f64 v[97:98], v[97:98], v[101:102]
	v_add_f64 v[73:74], v[73:74], -v[15:16]
	v_fma_f64 v[97:98], v[99:100], v[13:14], v[97:98]
	v_mov_b32_e32 v15, v101
	v_mov_b32_e32 v16, v102
	v_add_f64 v[75:76], v[75:76], -v[97:98]
.LBB93_388:
	s_or_b64 exec, exec, s[2:3]
	v_cmp_eq_u32_e32 vcc, 43, v0
	s_waitcnt vmcnt(0)
	s_barrier
	s_and_saveexec_b64 s[4:5], vcc
	s_cbranch_execz .LBB93_395
; %bb.389:
	ds_write2_b64 v127, v[9:10], v[11:12] offset1:1
	ds_write2_b64 v125, v[5:6], v[7:8] offset0:88 offset1:89
	ds_write2_b64 v125, v[1:2], v[3:4] offset0:90 offset1:91
	;; [unrolled: 1-line block ×3, first 2 shown]
	ds_read2_b64 v[97:100], v127 offset1:1
	s_waitcnt lgkmcnt(0)
	v_cmp_neq_f64_e32 vcc, 0, v[97:98]
	v_cmp_neq_f64_e64 s[2:3], 0, v[99:100]
	s_or_b64 s[2:3], vcc, s[2:3]
	s_and_b64 exec, exec, s[2:3]
	s_cbranch_execz .LBB93_395
; %bb.390:
	v_cmp_ngt_f64_e64 s[2:3], |v[97:98]|, |v[99:100]|
                                        ; implicit-def: $vgpr101_vgpr102
	s_and_saveexec_b64 s[6:7], s[2:3]
	s_xor_b64 s[2:3], exec, s[6:7]
                                        ; implicit-def: $vgpr103_vgpr104
	s_cbranch_execz .LBB93_392
; %bb.391:
	v_div_scale_f64 v[101:102], s[6:7], v[99:100], v[99:100], v[97:98]
	v_rcp_f64_e32 v[103:104], v[101:102]
	v_fma_f64 v[105:106], -v[101:102], v[103:104], 1.0
	v_fma_f64 v[103:104], v[103:104], v[105:106], v[103:104]
	v_div_scale_f64 v[105:106], vcc, v[97:98], v[99:100], v[97:98]
	v_fma_f64 v[107:108], -v[101:102], v[103:104], 1.0
	v_fma_f64 v[103:104], v[103:104], v[107:108], v[103:104]
	v_mul_f64 v[107:108], v[105:106], v[103:104]
	v_fma_f64 v[101:102], -v[101:102], v[107:108], v[105:106]
	v_div_fmas_f64 v[101:102], v[101:102], v[103:104], v[107:108]
	v_div_fixup_f64 v[101:102], v[101:102], v[99:100], v[97:98]
	v_fma_f64 v[97:98], v[97:98], v[101:102], v[99:100]
	v_div_scale_f64 v[99:100], s[6:7], v[97:98], v[97:98], 1.0
	v_div_scale_f64 v[107:108], vcc, 1.0, v[97:98], 1.0
	v_rcp_f64_e32 v[103:104], v[99:100]
	v_fma_f64 v[105:106], -v[99:100], v[103:104], 1.0
	v_fma_f64 v[103:104], v[103:104], v[105:106], v[103:104]
	v_fma_f64 v[105:106], -v[99:100], v[103:104], 1.0
	v_fma_f64 v[103:104], v[103:104], v[105:106], v[103:104]
	v_mul_f64 v[105:106], v[107:108], v[103:104]
	v_fma_f64 v[99:100], -v[99:100], v[105:106], v[107:108]
	v_div_fmas_f64 v[99:100], v[99:100], v[103:104], v[105:106]
	v_div_fixup_f64 v[103:104], v[99:100], v[97:98], 1.0
                                        ; implicit-def: $vgpr97_vgpr98
	v_mul_f64 v[101:102], v[101:102], v[103:104]
	v_xor_b32_e32 v104, 0x80000000, v104
.LBB93_392:
	s_andn2_saveexec_b64 s[2:3], s[2:3]
	s_cbranch_execz .LBB93_394
; %bb.393:
	v_div_scale_f64 v[101:102], s[6:7], v[97:98], v[97:98], v[99:100]
	v_rcp_f64_e32 v[103:104], v[101:102]
	v_fma_f64 v[105:106], -v[101:102], v[103:104], 1.0
	v_fma_f64 v[103:104], v[103:104], v[105:106], v[103:104]
	v_div_scale_f64 v[105:106], vcc, v[99:100], v[97:98], v[99:100]
	v_fma_f64 v[107:108], -v[101:102], v[103:104], 1.0
	v_fma_f64 v[103:104], v[103:104], v[107:108], v[103:104]
	v_mul_f64 v[107:108], v[105:106], v[103:104]
	v_fma_f64 v[101:102], -v[101:102], v[107:108], v[105:106]
	v_div_fmas_f64 v[101:102], v[101:102], v[103:104], v[107:108]
	v_div_fixup_f64 v[103:104], v[101:102], v[97:98], v[99:100]
	v_fma_f64 v[97:98], v[99:100], v[103:104], v[97:98]
	v_div_scale_f64 v[99:100], s[6:7], v[97:98], v[97:98], 1.0
	v_div_scale_f64 v[107:108], vcc, 1.0, v[97:98], 1.0
	v_rcp_f64_e32 v[101:102], v[99:100]
	v_fma_f64 v[105:106], -v[99:100], v[101:102], 1.0
	v_fma_f64 v[101:102], v[101:102], v[105:106], v[101:102]
	v_fma_f64 v[105:106], -v[99:100], v[101:102], 1.0
	v_fma_f64 v[101:102], v[101:102], v[105:106], v[101:102]
	v_mul_f64 v[105:106], v[107:108], v[101:102]
	v_fma_f64 v[99:100], -v[99:100], v[105:106], v[107:108]
	v_div_fmas_f64 v[99:100], v[99:100], v[101:102], v[105:106]
	v_div_fixup_f64 v[101:102], v[99:100], v[97:98], 1.0
	v_mul_f64 v[103:104], v[103:104], -v[101:102]
.LBB93_394:
	s_or_b64 exec, exec, s[2:3]
	ds_write2_b64 v127, v[101:102], v[103:104] offset1:1
.LBB93_395:
	s_or_b64 exec, exec, s[4:5]
	s_waitcnt lgkmcnt(0)
	s_barrier
	ds_read2_b64 v[69:72], v127 offset1:1
	v_cmp_lt_u32_e32 vcc, 43, v0
	s_waitcnt lgkmcnt(0)
	buffer_store_dword v69, off, s[20:23], 0 offset:1440 ; 4-byte Folded Spill
	s_nop 0
	buffer_store_dword v70, off, s[20:23], 0 offset:1444 ; 4-byte Folded Spill
	buffer_store_dword v71, off, s[20:23], 0 offset:1448 ; 4-byte Folded Spill
	;; [unrolled: 1-line block ×3, first 2 shown]
	s_and_saveexec_b64 s[2:3], vcc
	s_cbranch_execz .LBB93_397
; %bb.396:
	buffer_load_dword v69, off, s[20:23], 0 offset:1440 ; 4-byte Folded Reload
	buffer_load_dword v70, off, s[20:23], 0 offset:1444 ; 4-byte Folded Reload
	;; [unrolled: 1-line block ×4, first 2 shown]
	s_waitcnt vmcnt(2)
	v_mul_f64 v[97:98], v[69:70], v[11:12]
	s_waitcnt vmcnt(0)
	v_mul_f64 v[11:12], v[71:72], v[11:12]
	v_fma_f64 v[101:102], v[71:72], v[9:10], v[97:98]
	ds_read2_b64 v[97:100], v125 offset0:88 offset1:89
	v_fma_f64 v[9:10], v[69:70], v[9:10], -v[11:12]
	s_waitcnt lgkmcnt(0)
	v_mul_f64 v[11:12], v[99:100], v[101:102]
	v_fma_f64 v[11:12], v[97:98], v[9:10], -v[11:12]
	v_mul_f64 v[97:98], v[97:98], v[101:102]
	v_add_f64 v[5:6], v[5:6], -v[11:12]
	v_fma_f64 v[97:98], v[99:100], v[9:10], v[97:98]
	v_add_f64 v[7:8], v[7:8], -v[97:98]
	ds_read2_b64 v[97:100], v125 offset0:90 offset1:91
	s_waitcnt lgkmcnt(0)
	v_mul_f64 v[11:12], v[99:100], v[101:102]
	v_fma_f64 v[11:12], v[97:98], v[9:10], -v[11:12]
	v_mul_f64 v[97:98], v[97:98], v[101:102]
	v_add_f64 v[1:2], v[1:2], -v[11:12]
	v_fma_f64 v[97:98], v[99:100], v[9:10], v[97:98]
	v_add_f64 v[3:4], v[3:4], -v[97:98]
	ds_read2_b64 v[97:100], v125 offset0:92 offset1:93
	s_waitcnt lgkmcnt(0)
	v_mul_f64 v[11:12], v[99:100], v[101:102]
	v_fma_f64 v[11:12], v[97:98], v[9:10], -v[11:12]
	v_mul_f64 v[97:98], v[97:98], v[101:102]
	v_add_f64 v[73:74], v[73:74], -v[11:12]
	v_fma_f64 v[97:98], v[99:100], v[9:10], v[97:98]
	v_mov_b32_e32 v11, v101
	v_mov_b32_e32 v12, v102
	v_add_f64 v[75:76], v[75:76], -v[97:98]
.LBB93_397:
	s_or_b64 exec, exec, s[2:3]
	v_cmp_eq_u32_e32 vcc, 44, v0
	s_waitcnt vmcnt(0)
	s_barrier
	s_and_saveexec_b64 s[4:5], vcc
	s_cbranch_execz .LBB93_404
; %bb.398:
	ds_write2_b64 v127, v[5:6], v[7:8] offset1:1
	ds_write2_b64 v125, v[1:2], v[3:4] offset0:90 offset1:91
	ds_write2_b64 v125, v[73:74], v[75:76] offset0:92 offset1:93
	ds_read2_b64 v[97:100], v127 offset1:1
	s_waitcnt lgkmcnt(0)
	v_cmp_neq_f64_e32 vcc, 0, v[97:98]
	v_cmp_neq_f64_e64 s[2:3], 0, v[99:100]
	s_or_b64 s[2:3], vcc, s[2:3]
	s_and_b64 exec, exec, s[2:3]
	s_cbranch_execz .LBB93_404
; %bb.399:
	v_cmp_ngt_f64_e64 s[2:3], |v[97:98]|, |v[99:100]|
                                        ; implicit-def: $vgpr101_vgpr102
	s_and_saveexec_b64 s[6:7], s[2:3]
	s_xor_b64 s[2:3], exec, s[6:7]
                                        ; implicit-def: $vgpr103_vgpr104
	s_cbranch_execz .LBB93_401
; %bb.400:
	v_div_scale_f64 v[101:102], s[6:7], v[99:100], v[99:100], v[97:98]
	v_rcp_f64_e32 v[103:104], v[101:102]
	v_fma_f64 v[105:106], -v[101:102], v[103:104], 1.0
	v_fma_f64 v[103:104], v[103:104], v[105:106], v[103:104]
	v_div_scale_f64 v[105:106], vcc, v[97:98], v[99:100], v[97:98]
	v_fma_f64 v[107:108], -v[101:102], v[103:104], 1.0
	v_fma_f64 v[103:104], v[103:104], v[107:108], v[103:104]
	v_mul_f64 v[107:108], v[105:106], v[103:104]
	v_fma_f64 v[101:102], -v[101:102], v[107:108], v[105:106]
	v_div_fmas_f64 v[101:102], v[101:102], v[103:104], v[107:108]
	v_div_fixup_f64 v[101:102], v[101:102], v[99:100], v[97:98]
	v_fma_f64 v[97:98], v[97:98], v[101:102], v[99:100]
	v_div_scale_f64 v[99:100], s[6:7], v[97:98], v[97:98], 1.0
	v_div_scale_f64 v[107:108], vcc, 1.0, v[97:98], 1.0
	v_rcp_f64_e32 v[103:104], v[99:100]
	v_fma_f64 v[105:106], -v[99:100], v[103:104], 1.0
	v_fma_f64 v[103:104], v[103:104], v[105:106], v[103:104]
	v_fma_f64 v[105:106], -v[99:100], v[103:104], 1.0
	v_fma_f64 v[103:104], v[103:104], v[105:106], v[103:104]
	v_mul_f64 v[105:106], v[107:108], v[103:104]
	v_fma_f64 v[99:100], -v[99:100], v[105:106], v[107:108]
	v_div_fmas_f64 v[99:100], v[99:100], v[103:104], v[105:106]
	v_div_fixup_f64 v[103:104], v[99:100], v[97:98], 1.0
                                        ; implicit-def: $vgpr97_vgpr98
	v_mul_f64 v[101:102], v[101:102], v[103:104]
	v_xor_b32_e32 v104, 0x80000000, v104
.LBB93_401:
	s_andn2_saveexec_b64 s[2:3], s[2:3]
	s_cbranch_execz .LBB93_403
; %bb.402:
	v_div_scale_f64 v[101:102], s[6:7], v[97:98], v[97:98], v[99:100]
	v_rcp_f64_e32 v[103:104], v[101:102]
	v_fma_f64 v[105:106], -v[101:102], v[103:104], 1.0
	v_fma_f64 v[103:104], v[103:104], v[105:106], v[103:104]
	v_div_scale_f64 v[105:106], vcc, v[99:100], v[97:98], v[99:100]
	v_fma_f64 v[107:108], -v[101:102], v[103:104], 1.0
	v_fma_f64 v[103:104], v[103:104], v[107:108], v[103:104]
	v_mul_f64 v[107:108], v[105:106], v[103:104]
	v_fma_f64 v[101:102], -v[101:102], v[107:108], v[105:106]
	v_div_fmas_f64 v[101:102], v[101:102], v[103:104], v[107:108]
	v_div_fixup_f64 v[103:104], v[101:102], v[97:98], v[99:100]
	v_fma_f64 v[97:98], v[99:100], v[103:104], v[97:98]
	v_div_scale_f64 v[99:100], s[6:7], v[97:98], v[97:98], 1.0
	v_div_scale_f64 v[107:108], vcc, 1.0, v[97:98], 1.0
	v_rcp_f64_e32 v[101:102], v[99:100]
	v_fma_f64 v[105:106], -v[99:100], v[101:102], 1.0
	v_fma_f64 v[101:102], v[101:102], v[105:106], v[101:102]
	v_fma_f64 v[105:106], -v[99:100], v[101:102], 1.0
	v_fma_f64 v[101:102], v[101:102], v[105:106], v[101:102]
	v_mul_f64 v[105:106], v[107:108], v[101:102]
	v_fma_f64 v[99:100], -v[99:100], v[105:106], v[107:108]
	v_div_fmas_f64 v[99:100], v[99:100], v[101:102], v[105:106]
	v_div_fixup_f64 v[101:102], v[99:100], v[97:98], 1.0
	v_mul_f64 v[103:104], v[103:104], -v[101:102]
.LBB93_403:
	s_or_b64 exec, exec, s[2:3]
	ds_write2_b64 v127, v[101:102], v[103:104] offset1:1
.LBB93_404:
	s_or_b64 exec, exec, s[4:5]
	s_waitcnt lgkmcnt(0)
	s_barrier
	ds_read2_b64 v[69:72], v127 offset1:1
	v_cmp_lt_u32_e32 vcc, 44, v0
	s_and_saveexec_b64 s[2:3], vcc
	s_cbranch_execz .LBB93_406
; %bb.405:
	s_waitcnt lgkmcnt(0)
	v_mul_f64 v[97:98], v[69:70], v[7:8]
	v_mul_f64 v[7:8], v[71:72], v[7:8]
	v_fma_f64 v[105:106], v[71:72], v[5:6], v[97:98]
	ds_read2_b64 v[97:100], v125 offset0:90 offset1:91
	v_fma_f64 v[5:6], v[69:70], v[5:6], -v[7:8]
	s_waitcnt lgkmcnt(0)
	v_mul_f64 v[7:8], v[99:100], v[105:106]
	v_fma_f64 v[7:8], v[97:98], v[5:6], -v[7:8]
	v_mul_f64 v[97:98], v[97:98], v[105:106]
	v_add_f64 v[1:2], v[1:2], -v[7:8]
	v_fma_f64 v[97:98], v[99:100], v[5:6], v[97:98]
	v_add_f64 v[3:4], v[3:4], -v[97:98]
	ds_read2_b64 v[97:100], v125 offset0:92 offset1:93
	s_waitcnt lgkmcnt(0)
	v_mul_f64 v[7:8], v[99:100], v[105:106]
	v_fma_f64 v[7:8], v[97:98], v[5:6], -v[7:8]
	v_mul_f64 v[97:98], v[97:98], v[105:106]
	v_add_f64 v[73:74], v[73:74], -v[7:8]
	v_fma_f64 v[97:98], v[99:100], v[5:6], v[97:98]
	v_mov_b32_e32 v7, v105
	v_mov_b32_e32 v8, v106
	v_add_f64 v[75:76], v[75:76], -v[97:98]
.LBB93_406:
	s_or_b64 exec, exec, s[2:3]
	v_cmp_eq_u32_e32 vcc, 45, v0
	s_waitcnt lgkmcnt(0)
	s_barrier
	s_and_saveexec_b64 s[4:5], vcc
	s_cbranch_execz .LBB93_413
; %bb.407:
	ds_write2_b64 v127, v[1:2], v[3:4] offset1:1
	ds_write2_b64 v125, v[73:74], v[75:76] offset0:92 offset1:93
	ds_read2_b64 v[97:100], v127 offset1:1
	s_waitcnt lgkmcnt(0)
	v_cmp_neq_f64_e32 vcc, 0, v[97:98]
	v_cmp_neq_f64_e64 s[2:3], 0, v[99:100]
	s_or_b64 s[2:3], vcc, s[2:3]
	s_and_b64 exec, exec, s[2:3]
	s_cbranch_execz .LBB93_413
; %bb.408:
	v_cmp_ngt_f64_e64 s[2:3], |v[97:98]|, |v[99:100]|
                                        ; implicit-def: $vgpr105_vgpr106
	s_and_saveexec_b64 s[6:7], s[2:3]
	s_xor_b64 s[2:3], exec, s[6:7]
                                        ; implicit-def: $vgpr107_vgpr108
	s_cbranch_execz .LBB93_410
; %bb.409:
	v_div_scale_f64 v[105:106], s[6:7], v[99:100], v[99:100], v[97:98]
	v_mov_b32_e32 v77, v93
	v_mov_b32_e32 v78, v94
	;; [unrolled: 1-line block ×4, first 2 shown]
	v_div_scale_f64 v[95:96], vcc, v[97:98], v[99:100], v[97:98]
	v_rcp_f64_e32 v[107:108], v[105:106]
	v_fma_f64 v[93:94], -v[105:106], v[107:108], 1.0
	v_fma_f64 v[93:94], v[107:108], v[93:94], v[107:108]
	v_fma_f64 v[107:108], -v[105:106], v[93:94], 1.0
	v_fma_f64 v[93:94], v[93:94], v[107:108], v[93:94]
	v_mul_f64 v[107:108], v[95:96], v[93:94]
	v_fma_f64 v[95:96], -v[105:106], v[107:108], v[95:96]
	v_div_fmas_f64 v[93:94], v[95:96], v[93:94], v[107:108]
	v_div_fixup_f64 v[93:94], v[93:94], v[99:100], v[97:98]
	v_fma_f64 v[95:96], v[97:98], v[93:94], v[99:100]
	v_div_scale_f64 v[97:98], s[6:7], v[95:96], v[95:96], 1.0
	v_div_scale_f64 v[107:108], vcc, 1.0, v[95:96], 1.0
	v_rcp_f64_e32 v[99:100], v[97:98]
	v_fma_f64 v[105:106], -v[97:98], v[99:100], 1.0
	v_fma_f64 v[99:100], v[99:100], v[105:106], v[99:100]
	v_fma_f64 v[105:106], -v[97:98], v[99:100], 1.0
	v_fma_f64 v[99:100], v[99:100], v[105:106], v[99:100]
	v_mul_f64 v[105:106], v[107:108], v[99:100]
	v_fma_f64 v[97:98], -v[97:98], v[105:106], v[107:108]
	v_div_fmas_f64 v[97:98], v[97:98], v[99:100], v[105:106]
	v_div_fixup_f64 v[107:108], v[97:98], v[95:96], 1.0
                                        ; implicit-def: $vgpr97_vgpr98
	v_mul_f64 v[105:106], v[93:94], v[107:108]
	v_mov_b32_e32 v96, v80
	v_mov_b32_e32 v95, v79
	;; [unrolled: 1-line block ×4, first 2 shown]
	v_xor_b32_e32 v108, 0x80000000, v108
.LBB93_410:
	s_andn2_saveexec_b64 s[2:3], s[2:3]
	s_cbranch_execz .LBB93_412
; %bb.411:
	v_mov_b32_e32 v77, v117
	v_mov_b32_e32 v78, v118
	;; [unrolled: 1-line block ×8, first 2 shown]
	v_div_scale_f64 v[93:94], s[6:7], v[97:98], v[97:98], v[99:100]
	v_rcp_f64_e32 v[95:96], v[93:94]
	v_fma_f64 v[105:106], -v[93:94], v[95:96], 1.0
	v_fma_f64 v[95:96], v[95:96], v[105:106], v[95:96]
	v_div_scale_f64 v[105:106], vcc, v[99:100], v[97:98], v[99:100]
	v_fma_f64 v[107:108], -v[93:94], v[95:96], 1.0
	v_fma_f64 v[95:96], v[95:96], v[107:108], v[95:96]
	v_mul_f64 v[107:108], v[105:106], v[95:96]
	v_fma_f64 v[93:94], -v[93:94], v[107:108], v[105:106]
	v_div_fmas_f64 v[93:94], v[93:94], v[95:96], v[107:108]
	v_div_fixup_f64 v[93:94], v[93:94], v[97:98], v[99:100]
	v_fma_f64 v[95:96], v[99:100], v[93:94], v[97:98]
	v_div_scale_f64 v[97:98], s[6:7], v[95:96], v[95:96], 1.0
	v_div_scale_f64 v[107:108], vcc, 1.0, v[95:96], 1.0
	v_rcp_f64_e32 v[99:100], v[97:98]
	v_fma_f64 v[105:106], -v[97:98], v[99:100], 1.0
	v_fma_f64 v[99:100], v[99:100], v[105:106], v[99:100]
	v_fma_f64 v[105:106], -v[97:98], v[99:100], 1.0
	v_fma_f64 v[99:100], v[99:100], v[105:106], v[99:100]
	v_mul_f64 v[105:106], v[107:108], v[99:100]
	v_fma_f64 v[97:98], -v[97:98], v[105:106], v[107:108]
	v_div_fmas_f64 v[97:98], v[97:98], v[99:100], v[105:106]
	v_div_fixup_f64 v[105:106], v[97:98], v[95:96], 1.0
	v_mul_f64 v[107:108], v[93:94], -v[105:106]
	v_mov_b32_e32 v93, v117
	v_mov_b32_e32 v94, v118
	;; [unrolled: 1-line block ×8, first 2 shown]
.LBB93_412:
	s_or_b64 exec, exec, s[2:3]
	ds_write2_b64 v127, v[105:106], v[107:108] offset1:1
.LBB93_413:
	s_or_b64 exec, exec, s[4:5]
	s_waitcnt lgkmcnt(0)
	s_barrier
	ds_read2_b64 v[97:100], v127 offset1:1
	v_cmp_lt_u32_e32 vcc, 45, v0
	s_and_saveexec_b64 s[2:3], vcc
	s_cbranch_execz .LBB93_415
; %bb.414:
	v_mov_b32_e32 v77, v117
	v_mov_b32_e32 v78, v118
	;; [unrolled: 1-line block ×8, first 2 shown]
	s_waitcnt lgkmcnt(0)
	v_mul_f64 v[93:94], v[97:98], v[3:4]
	v_mul_f64 v[3:4], v[99:100], v[3:4]
	ds_read2_b64 v[105:108], v125 offset0:92 offset1:93
	v_fma_f64 v[93:94], v[99:100], v[1:2], v[93:94]
	v_fma_f64 v[1:2], v[97:98], v[1:2], -v[3:4]
	s_waitcnt lgkmcnt(0)
	v_mul_f64 v[3:4], v[107:108], v[93:94]
	v_mul_f64 v[95:96], v[105:106], v[93:94]
	v_fma_f64 v[3:4], v[105:106], v[1:2], -v[3:4]
	v_fma_f64 v[95:96], v[107:108], v[1:2], v[95:96]
	v_add_f64 v[73:74], v[73:74], -v[3:4]
	v_add_f64 v[75:76], v[75:76], -v[95:96]
	v_mov_b32_e32 v3, v93
	v_mov_b32_e32 v4, v94
	;; [unrolled: 1-line block ×10, first 2 shown]
.LBB93_415:
	s_or_b64 exec, exec, s[2:3]
	s_waitcnt lgkmcnt(0)
	s_barrier
	v_cmp_eq_u32_e32 vcc, 46, v0
	s_mov_b64 s[4:5], exec
	s_and_b64 s[2:3], s[4:5], vcc
	buffer_store_dword v73, off, s[20:23], 0 offset:384 ; 4-byte Folded Spill
	s_nop 0
	buffer_store_dword v74, off, s[20:23], 0 offset:388 ; 4-byte Folded Spill
	buffer_store_dword v75, off, s[20:23], 0 offset:392 ; 4-byte Folded Spill
	;; [unrolled: 1-line block ×3, first 2 shown]
	s_mov_b64 exec, s[2:3]
	s_cbranch_execz .LBB93_422
; %bb.416:
	v_cmp_neq_f64_e32 vcc, 0, v[73:74]
	v_cmp_neq_f64_e64 s[2:3], 0, v[75:76]
	ds_write2_b64 v127, v[73:74], v[75:76] offset1:1
	s_or_b64 s[2:3], vcc, s[2:3]
	s_and_b64 exec, exec, s[2:3]
	s_cbranch_execz .LBB93_422
; %bb.417:
	v_cmp_ngt_f64_e64 s[2:3], |v[73:74]|, |v[75:76]|
                                        ; implicit-def: $vgpr105_vgpr106
	s_and_saveexec_b64 s[6:7], s[2:3]
	s_xor_b64 s[2:3], exec, s[6:7]
                                        ; implicit-def: $vgpr107_vgpr108
	s_cbranch_execz .LBB93_419
; %bb.418:
	v_mov_b32_e32 v77, v93
	v_mov_b32_e32 v78, v94
	;; [unrolled: 1-line block ×4, first 2 shown]
	v_div_scale_f64 v[93:94], s[6:7], v[75:76], v[75:76], v[73:74]
	v_mov_b32_e32 v101, v117
	v_mov_b32_e32 v102, v118
	;; [unrolled: 1-line block ×10, first 2 shown]
	v_rcp_f64_e32 v[95:96], v[93:94]
	v_fma_f64 v[105:106], -v[93:94], v[95:96], 1.0
	v_fma_f64 v[95:96], v[95:96], v[105:106], v[95:96]
	v_div_scale_f64 v[105:106], vcc, v[73:74], v[75:76], v[73:74]
	v_fma_f64 v[107:108], -v[93:94], v[95:96], 1.0
	v_fma_f64 v[95:96], v[95:96], v[107:108], v[95:96]
	v_mul_f64 v[107:108], v[105:106], v[95:96]
	v_fma_f64 v[93:94], -v[93:94], v[107:108], v[105:106]
	v_div_fmas_f64 v[93:94], v[93:94], v[95:96], v[107:108]
	v_div_fixup_f64 v[93:94], v[93:94], v[75:76], v[73:74]
	v_fma_f64 v[95:96], v[73:74], v[93:94], v[75:76]
	v_mov_b32_e32 v73, v121
	v_mov_b32_e32 v74, v122
	;; [unrolled: 1-line block ×25, first 2 shown]
	v_div_scale_f64 v[105:106], s[6:7], v[95:96], v[95:96], 1.0
	v_mov_b32_e32 v14, v18
	v_mov_b32_e32 v15, v19
	;; [unrolled: 1-line block ×60, first 2 shown]
	v_rcp_f64_e32 v[107:108], v[105:106]
	v_mov_b32_e32 v47, v43
	v_mov_b32_e32 v46, v42
	;; [unrolled: 1-line block ×59, first 2 shown]
	buffer_load_dword v73, off, s[20:23], 0 offset:384 ; 4-byte Folded Reload
	buffer_load_dword v74, off, s[20:23], 0 offset:388 ; 4-byte Folded Reload
	;; [unrolled: 1-line block ×4, first 2 shown]
	v_fma_f64 v[125:126], -v[105:106], v[107:108], 1.0
	v_div_scale_f64 v[89:90], vcc, 1.0, v[95:96], 1.0
	v_fma_f64 v[107:108], v[107:108], v[125:126], v[107:108]
	v_fma_f64 v[125:126], -v[105:106], v[107:108], 1.0
	v_fma_f64 v[91:92], v[107:108], v[125:126], v[107:108]
	v_mul_f64 v[107:108], v[89:90], v[91:92]
	v_fma_f64 v[89:90], -v[105:106], v[107:108], v[89:90]
	v_div_fmas_f64 v[89:90], v[89:90], v[91:92], v[107:108]
	v_mov_b32_e32 v91, v117
	v_mov_b32_e32 v92, v118
	;; [unrolled: 1-line block ×6, first 2 shown]
	v_div_fixup_f64 v[107:108], v[89:90], v[95:96], 1.0
	v_mul_f64 v[105:106], v[93:94], v[107:108]
	v_mov_b32_e32 v96, v80
	v_mov_b32_e32 v95, v79
	;; [unrolled: 1-line block ×4, first 2 shown]
	v_xor_b32_e32 v108, 0x80000000, v108
.LBB93_419:
	s_andn2_saveexec_b64 s[2:3], s[2:3]
	s_cbranch_execz .LBB93_421
; %bb.420:
	s_waitcnt vmcnt(0)
	v_div_scale_f64 v[89:90], s[6:7], v[73:74], v[73:74], v[75:76]
	v_mov_b32_e32 v126, v92
	v_mov_b32_e32 v125, v91
	;; [unrolled: 1-line block ×6, first 2 shown]
	v_rcp_f64_e32 v[91:92], v[89:90]
	v_fma_f64 v[93:94], -v[89:90], v[91:92], 1.0
	v_fma_f64 v[91:92], v[91:92], v[93:94], v[91:92]
	v_div_scale_f64 v[93:94], vcc, v[75:76], v[73:74], v[75:76]
	v_fma_f64 v[95:96], -v[89:90], v[91:92], 1.0
	v_fma_f64 v[91:92], v[91:92], v[95:96], v[91:92]
	v_mul_f64 v[95:96], v[93:94], v[91:92]
	v_fma_f64 v[89:90], -v[89:90], v[95:96], v[93:94]
	v_div_fmas_f64 v[89:90], v[89:90], v[91:92], v[95:96]
	v_div_fixup_f64 v[89:90], v[89:90], v[73:74], v[75:76]
	v_fma_f64 v[91:92], v[75:76], v[89:90], v[73:74]
	v_div_scale_f64 v[93:94], s[6:7], v[91:92], v[91:92], 1.0
	v_div_scale_f64 v[107:108], vcc, 1.0, v[91:92], 1.0
	v_rcp_f64_e32 v[95:96], v[93:94]
	v_fma_f64 v[105:106], -v[93:94], v[95:96], 1.0
	v_fma_f64 v[95:96], v[95:96], v[105:106], v[95:96]
	v_fma_f64 v[105:106], -v[93:94], v[95:96], 1.0
	v_fma_f64 v[95:96], v[95:96], v[105:106], v[95:96]
	v_mul_f64 v[105:106], v[107:108], v[95:96]
	v_fma_f64 v[93:94], -v[93:94], v[105:106], v[107:108]
	v_div_fmas_f64 v[93:94], v[93:94], v[95:96], v[105:106]
	v_div_fixup_f64 v[105:106], v[93:94], v[91:92], 1.0
	v_mov_b32_e32 v96, v80
	v_mov_b32_e32 v91, v125
	;; [unrolled: 1-line block ×6, first 2 shown]
	v_mul_f64 v[107:108], v[89:90], -v[105:106]
.LBB93_421:
	s_or_b64 exec, exec, s[2:3]
	ds_write2_b64 v127, v[105:106], v[107:108] offset1:1
.LBB93_422:
	s_or_b64 exec, exec, s[4:5]
	s_waitcnt vmcnt(0) lgkmcnt(0)
	s_barrier
	ds_read2_b64 v[105:108], v127 offset1:1
	s_waitcnt lgkmcnt(0)
	s_barrier
	s_and_saveexec_b64 s[2:3], s[0:1]
	s_cbranch_execz .LBB93_425
; %bb.423:
	buffer_load_dword v73, off, s[20:23], 0 offset:752 ; 4-byte Folded Reload
	buffer_load_dword v74, off, s[20:23], 0 offset:756 ; 4-byte Folded Reload
	;; [unrolled: 1-line block ×4, first 2 shown]
	s_waitcnt vmcnt(2)
	v_cmp_eq_f64_e32 vcc, 0, v[73:74]
	s_waitcnt vmcnt(0)
	v_cmp_eq_f64_e64 s[0:1], 0, v[75:76]
	buffer_load_dword v73, off, s[20:23], 0 offset:768 ; 4-byte Folded Reload
	buffer_load_dword v74, off, s[20:23], 0 offset:772 ; 4-byte Folded Reload
	;; [unrolled: 1-line block ×4, first 2 shown]
	s_and_b64 s[4:5], vcc, s[0:1]
	v_cndmask_b32_e64 v89, 0, 1, s[4:5]
	s_waitcnt vmcnt(2)
	v_cmp_neq_f64_e32 vcc, 0, v[73:74]
	s_waitcnt vmcnt(0)
	v_cmp_neq_f64_e64 s[0:1], 0, v[75:76]
	buffer_load_dword v73, off, s[20:23], 0 offset:784 ; 4-byte Folded Reload
	buffer_load_dword v74, off, s[20:23], 0 offset:788 ; 4-byte Folded Reload
	buffer_load_dword v75, off, s[20:23], 0 offset:792 ; 4-byte Folded Reload
	buffer_load_dword v76, off, s[20:23], 0 offset:796 ; 4-byte Folded Reload
	s_or_b64 s[0:1], vcc, s[0:1]
	s_or_b64 vcc, s[0:1], s[4:5]
	v_cndmask_b32_e32 v89, 2, v89, vcc
	s_waitcnt vmcnt(2)
	v_cmp_eq_f64_e32 vcc, 0, v[73:74]
	s_waitcnt vmcnt(0)
	v_cmp_eq_f64_e64 s[0:1], 0, v[75:76]
	buffer_load_dword v73, off, s[20:23], 0 offset:800 ; 4-byte Folded Reload
	buffer_load_dword v74, off, s[20:23], 0 offset:804 ; 4-byte Folded Reload
	buffer_load_dword v75, off, s[20:23], 0 offset:808 ; 4-byte Folded Reload
	buffer_load_dword v76, off, s[20:23], 0 offset:812 ; 4-byte Folded Reload
	s_and_b64 s[0:1], vcc, s[0:1]
	v_cmp_eq_u32_e32 vcc, 0, v89
	s_and_b64 s[0:1], s[0:1], vcc
	v_cndmask_b32_e64 v89, v89, 3, s[0:1]
	s_waitcnt vmcnt(2)
	v_cmp_eq_f64_e32 vcc, 0, v[73:74]
	s_waitcnt vmcnt(0)
	v_cmp_eq_f64_e64 s[0:1], 0, v[75:76]
	buffer_load_dword v73, off, s[20:23], 0 offset:816 ; 4-byte Folded Reload
	buffer_load_dword v74, off, s[20:23], 0 offset:820 ; 4-byte Folded Reload
	buffer_load_dword v75, off, s[20:23], 0 offset:824 ; 4-byte Folded Reload
	buffer_load_dword v76, off, s[20:23], 0 offset:828 ; 4-byte Folded Reload
	s_and_b64 s[0:1], vcc, s[0:1]
	v_cmp_eq_u32_e32 vcc, 0, v89
	s_and_b64 s[0:1], s[0:1], vcc
	v_cndmask_b32_e64 v89, v89, 4, s[0:1]
	;; [unrolled: 12-line block ×41, first 2 shown]
	s_waitcnt vmcnt(2)
	v_cmp_eq_f64_e32 vcc, 0, v[73:74]
	s_waitcnt vmcnt(0)
	v_cmp_eq_f64_e64 s[0:1], 0, v[75:76]
	s_and_b64 s[0:1], vcc, s[0:1]
	v_cmp_eq_u32_e32 vcc, 0, v89
	s_and_b64 s[0:1], s[0:1], vcc
	v_cndmask_b32_e64 v89, v89, 44, s[0:1]
	v_cmp_eq_f64_e32 vcc, 0, v[69:70]
	v_cmp_eq_f64_e64 s[0:1], 0, v[71:72]
	s_and_b64 s[0:1], vcc, s[0:1]
	v_cmp_eq_u32_e32 vcc, 0, v89
	s_and_b64 s[0:1], s[0:1], vcc
	v_cndmask_b32_e64 v89, v89, 45, s[0:1]
	v_cmp_eq_f64_e32 vcc, 0, v[97:98]
	;; [unrolled: 6-line block ×3, first 2 shown]
	v_cmp_eq_f64_e64 s[0:1], 0, v[107:108]
	s_and_b64 s[0:1], vcc, s[0:1]
	v_cmp_eq_u32_e32 vcc, 0, v89
	s_and_b64 s[0:1], s[0:1], vcc
	v_cndmask_b32_e64 v99, v89, 47, s[0:1]
	v_lshlrev_b64 v[89:90], 2, v[87:88]
	v_cmp_ne_u32_e64 s[0:1], 0, v99
	v_add_co_u32_e32 v97, vcc, s10, v89
	v_mov_b32_e32 v89, s11
	v_addc_co_u32_e32 v98, vcc, v89, v90, vcc
	global_load_dword v89, v[97:98], off
	s_waitcnt vmcnt(0)
	v_cmp_eq_u32_e32 vcc, 0, v89
	s_and_b64 s[0:1], vcc, s[0:1]
	s_and_b64 exec, exec, s[0:1]
	s_cbranch_execz .LBB93_425
; %bb.424:
	v_add_u32_e32 v89, s13, v99
	global_store_dword v[97:98], v89, off
.LBB93_425:
	s_or_b64 exec, exec, s[2:3]
	buffer_load_dword v69, off, s[20:23], 0 offset:736 ; 4-byte Folded Reload
	buffer_load_dword v70, off, s[20:23], 0 offset:740 ; 4-byte Folded Reload
	;; [unrolled: 1-line block ×6, first 2 shown]
	v_cmp_lt_u32_e32 vcc, 46, v0
	s_waitcnt vmcnt(0)
	global_store_dwordx4 v[69:70], v[71:74], off
	buffer_load_dword v69, off, s[20:23], 0 offset:744 ; 4-byte Folded Reload
	s_nop 0
	buffer_load_dword v70, off, s[20:23], 0 offset:748 ; 4-byte Folded Reload
	buffer_load_dword v71, off, s[20:23], 0 offset:352 ; 4-byte Folded Reload
	buffer_load_dword v72, off, s[20:23], 0 offset:356 ; 4-byte Folded Reload
	buffer_load_dword v73, off, s[20:23], 0 offset:360 ; 4-byte Folded Reload
	buffer_load_dword v74, off, s[20:23], 0 offset:364 ; 4-byte Folded Reload
	s_waitcnt vmcnt(0)
	global_store_dwordx4 v[69:70], v[71:74], off
	buffer_load_dword v69, off, s[20:23], 0 offset:336 ; 4-byte Folded Reload
	s_nop 0
	buffer_load_dword v70, off, s[20:23], 0 offset:340 ; 4-byte Folded Reload
	buffer_load_dword v71, off, s[20:23], 0 offset:344 ; 4-byte Folded Reload
	;; [unrolled: 1-line block ×3, first 2 shown]
	s_waitcnt vmcnt(0)
	global_store_dwordx4 v[91:92], v[69:72], off
	buffer_load_dword v77, off, s[20:23], 0 offset:728 ; 4-byte Folded Reload
	buffer_load_dword v78, off, s[20:23], 0 offset:732 ; 4-byte Folded Reload
	s_nop 0
	buffer_load_dword v69, off, s[20:23], 0 offset:320 ; 4-byte Folded Reload
	buffer_load_dword v70, off, s[20:23], 0 offset:324 ; 4-byte Folded Reload
	;; [unrolled: 1-line block ×4, first 2 shown]
	s_waitcnt vmcnt(0)
	global_store_dwordx4 v[77:78], v[69:72], off
	buffer_load_dword v77, off, s[20:23], 0 offset:720 ; 4-byte Folded Reload
	s_nop 0
	buffer_load_dword v78, off, s[20:23], 0 offset:724 ; 4-byte Folded Reload
	buffer_load_dword v69, off, s[20:23], 0 offset:304 ; 4-byte Folded Reload
	;; [unrolled: 1-line block ×5, first 2 shown]
	s_waitcnt vmcnt(0)
	global_store_dwordx4 v[77:78], v[69:72], off
	buffer_load_dword v87, off, s[20:23], 0 offset:400 ; 4-byte Folded Reload
	buffer_load_dword v88, off, s[20:23], 0 offset:404 ; 4-byte Folded Reload
	s_nop 0
	buffer_load_dword v69, off, s[20:23], 0 offset:288 ; 4-byte Folded Reload
	buffer_load_dword v70, off, s[20:23], 0 offset:292 ; 4-byte Folded Reload
	;; [unrolled: 1-line block ×4, first 2 shown]
	s_waitcnt vmcnt(0)
	global_store_dwordx4 v[87:88], v[69:72], off
	buffer_load_dword v69, off, s[20:23], 0 offset:272 ; 4-byte Folded Reload
	s_nop 0
	buffer_load_dword v70, off, s[20:23], 0 offset:276 ; 4-byte Folded Reload
	buffer_load_dword v71, off, s[20:23], 0 offset:280 ; 4-byte Folded Reload
	;; [unrolled: 1-line block ×3, first 2 shown]
	s_waitcnt vmcnt(0)
	global_store_dwordx4 v[85:86], v[69:72], off
	buffer_load_dword v85, off, s[20:23], 0 offset:408 ; 4-byte Folded Reload
	s_nop 0
	buffer_load_dword v86, off, s[20:23], 0 offset:412 ; 4-byte Folded Reload
	buffer_load_dword v69, off, s[20:23], 0 offset:256 ; 4-byte Folded Reload
	;; [unrolled: 1-line block ×5, first 2 shown]
	s_waitcnt vmcnt(0)
	global_store_dwordx4 v[85:86], v[69:72], off
	buffer_load_dword v69, off, s[20:23], 0 offset:384 ; 4-byte Folded Reload
	s_nop 0
	buffer_load_dword v70, off, s[20:23], 0 offset:388 ; 4-byte Folded Reload
	buffer_load_dword v71, off, s[20:23], 0 offset:392 ; 4-byte Folded Reload
	;; [unrolled: 1-line block ×3, first 2 shown]
	s_waitcnt vmcnt(0)
	v_mul_f64 v[89:90], v[105:106], v[71:72]
	v_mul_f64 v[91:92], v[107:108], v[71:72]
	v_fma_f64 v[89:90], v[107:108], v[69:70], v[89:90]
	v_fma_f64 v[91:92], v[105:106], v[69:70], -v[91:92]
	v_cndmask_b32_e32 v100, v72, v90, vcc
	v_cndmask_b32_e32 v99, v71, v89, vcc
	;; [unrolled: 1-line block ×4, first 2 shown]
	buffer_load_dword v85, off, s[20:23], 0 offset:416 ; 4-byte Folded Reload
	buffer_load_dword v86, off, s[20:23], 0 offset:420 ; 4-byte Folded Reload
	;; [unrolled: 1-line block ×6, first 2 shown]
	s_waitcnt vmcnt(0)
	global_store_dwordx4 v[85:86], v[69:72], off
	buffer_load_dword v85, off, s[20:23], 0 offset:424 ; 4-byte Folded Reload
	s_nop 0
	buffer_load_dword v86, off, s[20:23], 0 offset:428 ; 4-byte Folded Reload
	buffer_load_dword v69, off, s[20:23], 0 offset:224 ; 4-byte Folded Reload
	buffer_load_dword v70, off, s[20:23], 0 offset:228 ; 4-byte Folded Reload
	buffer_load_dword v71, off, s[20:23], 0 offset:232 ; 4-byte Folded Reload
	buffer_load_dword v72, off, s[20:23], 0 offset:236 ; 4-byte Folded Reload
	s_waitcnt vmcnt(0)
	global_store_dwordx4 v[85:86], v[69:72], off
	buffer_load_dword v85, off, s[20:23], 0 offset:432 ; 4-byte Folded Reload
	s_nop 0
	buffer_load_dword v86, off, s[20:23], 0 offset:436 ; 4-byte Folded Reload
	buffer_load_dword v69, off, s[20:23], 0 offset:208 ; 4-byte Folded Reload
	buffer_load_dword v70, off, s[20:23], 0 offset:212 ; 4-byte Folded Reload
	buffer_load_dword v71, off, s[20:23], 0 offset:216 ; 4-byte Folded Reload
	buffer_load_dword v72, off, s[20:23], 0 offset:220 ; 4-byte Folded Reload
	;; [unrolled: 9-line block ×12, first 2 shown]
	s_waitcnt vmcnt(0)
	global_store_dwordx4 v[85:86], v[69:72], off
	buffer_load_dword v85, off, s[20:23], 0 offset:520 ; 4-byte Folded Reload
	s_nop 0
	buffer_load_dword v86, off, s[20:23], 0 offset:524 ; 4-byte Folded Reload
	s_waitcnt vmcnt(0)
	global_store_dwordx4 v[85:86], v[121:124], off
	buffer_load_dword v85, off, s[20:23], 0 offset:528 ; 4-byte Folded Reload
	s_nop 0
	buffer_load_dword v86, off, s[20:23], 0 offset:532 ; 4-byte Folded Reload
	s_waitcnt vmcnt(0)
	global_store_dwordx4 v[85:86], v[117:120], off
	buffer_load_dword v83, off, s[20:23], 0 offset:536 ; 4-byte Folded Reload
	buffer_load_dword v84, off, s[20:23], 0 offset:540 ; 4-byte Folded Reload
	s_waitcnt vmcnt(0)
	global_store_dwordx4 v[83:84], v[109:112], off
	global_store_dwordx4 v[81:82], v[113:116], off
	buffer_load_dword v81, off, s[20:23], 0 offset:544 ; 4-byte Folded Reload
	s_nop 0
	buffer_load_dword v82, off, s[20:23], 0 offset:548 ; 4-byte Folded Reload
	s_waitcnt vmcnt(0)
	global_store_dwordx4 v[81:82], v[93:96], off
	buffer_load_dword v81, off, s[20:23], 0 offset:552 ; 4-byte Folded Reload
	s_nop 0
	buffer_load_dword v82, off, s[20:23], 0 offset:556 ; 4-byte Folded Reload
	buffer_load_dword v77, off, s[20:23], 0 offset:32 ; 4-byte Folded Reload
	;; [unrolled: 1-line block ×5, first 2 shown]
	s_waitcnt vmcnt(0)
	global_store_dwordx4 v[81:82], v[77:80], off
	buffer_load_dword v77, off, s[20:23], 0 offset:560 ; 4-byte Folded Reload
	s_nop 0
	buffer_load_dword v78, off, s[20:23], 0 offset:564 ; 4-byte Folded Reload
	buffer_load_dword v73, off, s[20:23], 0 offset:16 ; 4-byte Folded Reload
	;; [unrolled: 1-line block ×5, first 2 shown]
	s_waitcnt vmcnt(0)
	global_store_dwordx4 v[77:78], v[73:76], off
	buffer_load_dword v73, off, s[20:23], 0 offset:568 ; 4-byte Folded Reload
	s_nop 0
	buffer_load_dword v74, off, s[20:23], 0 offset:572 ; 4-byte Folded Reload
	buffer_load_dword v69, off, s[20:23], 0 ; 4-byte Folded Reload
	buffer_load_dword v70, off, s[20:23], 0 offset:4 ; 4-byte Folded Reload
	buffer_load_dword v71, off, s[20:23], 0 offset:8 ; 4-byte Folded Reload
	;; [unrolled: 1-line block ×3, first 2 shown]
	s_waitcnt vmcnt(0)
	global_store_dwordx4 v[73:74], v[69:72], off
	buffer_load_dword v69, off, s[20:23], 0 offset:576 ; 4-byte Folded Reload
	s_nop 0
	buffer_load_dword v70, off, s[20:23], 0 offset:580 ; 4-byte Folded Reload
	s_waitcnt vmcnt(0)
	global_store_dwordx4 v[69:70], v[65:68], off
	buffer_load_dword v65, off, s[20:23], 0 offset:584 ; 4-byte Folded Reload
	s_nop 0
	buffer_load_dword v66, off, s[20:23], 0 offset:588 ; 4-byte Folded Reload
	;; [unrolled: 5-line block ×18, first 2 shown]
	s_waitcnt vmcnt(0)
	global_store_dwordx4 v[0:1], v[97:100], off
.LBB93_426:
	s_endpgm
	.section	.rodata,"a",@progbits
	.p2align	6, 0x0
	.amdhsa_kernel _ZN9rocsolver6v33100L23getf2_npvt_small_kernelILi47E19rocblas_complex_numIdEiiPS3_EEvT1_T3_lS5_lPT2_S5_S5_
		.amdhsa_group_segment_fixed_size 0
		.amdhsa_private_segment_fixed_size 1460
		.amdhsa_kernarg_size 312
		.amdhsa_user_sgpr_count 6
		.amdhsa_user_sgpr_private_segment_buffer 1
		.amdhsa_user_sgpr_dispatch_ptr 0
		.amdhsa_user_sgpr_queue_ptr 0
		.amdhsa_user_sgpr_kernarg_segment_ptr 1
		.amdhsa_user_sgpr_dispatch_id 0
		.amdhsa_user_sgpr_flat_scratch_init 0
		.amdhsa_user_sgpr_private_segment_size 0
		.amdhsa_uses_dynamic_stack 0
		.amdhsa_system_sgpr_private_segment_wavefront_offset 1
		.amdhsa_system_sgpr_workgroup_id_x 1
		.amdhsa_system_sgpr_workgroup_id_y 1
		.amdhsa_system_sgpr_workgroup_id_z 0
		.amdhsa_system_sgpr_workgroup_info 0
		.amdhsa_system_vgpr_workitem_id 1
		.amdhsa_next_free_vgpr 128
		.amdhsa_next_free_sgpr 24
		.amdhsa_reserve_vcc 1
		.amdhsa_reserve_flat_scratch 0
		.amdhsa_float_round_mode_32 0
		.amdhsa_float_round_mode_16_64 0
		.amdhsa_float_denorm_mode_32 3
		.amdhsa_float_denorm_mode_16_64 3
		.amdhsa_dx10_clamp 1
		.amdhsa_ieee_mode 1
		.amdhsa_fp16_overflow 0
		.amdhsa_exception_fp_ieee_invalid_op 0
		.amdhsa_exception_fp_denorm_src 0
		.amdhsa_exception_fp_ieee_div_zero 0
		.amdhsa_exception_fp_ieee_overflow 0
		.amdhsa_exception_fp_ieee_underflow 0
		.amdhsa_exception_fp_ieee_inexact 0
		.amdhsa_exception_int_div_zero 0
	.end_amdhsa_kernel
	.section	.text._ZN9rocsolver6v33100L23getf2_npvt_small_kernelILi47E19rocblas_complex_numIdEiiPS3_EEvT1_T3_lS5_lPT2_S5_S5_,"axG",@progbits,_ZN9rocsolver6v33100L23getf2_npvt_small_kernelILi47E19rocblas_complex_numIdEiiPS3_EEvT1_T3_lS5_lPT2_S5_S5_,comdat
.Lfunc_end93:
	.size	_ZN9rocsolver6v33100L23getf2_npvt_small_kernelILi47E19rocblas_complex_numIdEiiPS3_EEvT1_T3_lS5_lPT2_S5_S5_, .Lfunc_end93-_ZN9rocsolver6v33100L23getf2_npvt_small_kernelILi47E19rocblas_complex_numIdEiiPS3_EEvT1_T3_lS5_lPT2_S5_S5_
                                        ; -- End function
	.set _ZN9rocsolver6v33100L23getf2_npvt_small_kernelILi47E19rocblas_complex_numIdEiiPS3_EEvT1_T3_lS5_lPT2_S5_S5_.num_vgpr, 128
	.set _ZN9rocsolver6v33100L23getf2_npvt_small_kernelILi47E19rocblas_complex_numIdEiiPS3_EEvT1_T3_lS5_lPT2_S5_S5_.num_agpr, 0
	.set _ZN9rocsolver6v33100L23getf2_npvt_small_kernelILi47E19rocblas_complex_numIdEiiPS3_EEvT1_T3_lS5_lPT2_S5_S5_.numbered_sgpr, 24
	.set _ZN9rocsolver6v33100L23getf2_npvt_small_kernelILi47E19rocblas_complex_numIdEiiPS3_EEvT1_T3_lS5_lPT2_S5_S5_.num_named_barrier, 0
	.set _ZN9rocsolver6v33100L23getf2_npvt_small_kernelILi47E19rocblas_complex_numIdEiiPS3_EEvT1_T3_lS5_lPT2_S5_S5_.private_seg_size, 1460
	.set _ZN9rocsolver6v33100L23getf2_npvt_small_kernelILi47E19rocblas_complex_numIdEiiPS3_EEvT1_T3_lS5_lPT2_S5_S5_.uses_vcc, 1
	.set _ZN9rocsolver6v33100L23getf2_npvt_small_kernelILi47E19rocblas_complex_numIdEiiPS3_EEvT1_T3_lS5_lPT2_S5_S5_.uses_flat_scratch, 0
	.set _ZN9rocsolver6v33100L23getf2_npvt_small_kernelILi47E19rocblas_complex_numIdEiiPS3_EEvT1_T3_lS5_lPT2_S5_S5_.has_dyn_sized_stack, 0
	.set _ZN9rocsolver6v33100L23getf2_npvt_small_kernelILi47E19rocblas_complex_numIdEiiPS3_EEvT1_T3_lS5_lPT2_S5_S5_.has_recursion, 0
	.set _ZN9rocsolver6v33100L23getf2_npvt_small_kernelILi47E19rocblas_complex_numIdEiiPS3_EEvT1_T3_lS5_lPT2_S5_S5_.has_indirect_call, 0
	.section	.AMDGPU.csdata,"",@progbits
; Kernel info:
; codeLenInByte = 150552
; TotalNumSgprs: 28
; NumVgprs: 128
; ScratchSize: 1460
; MemoryBound: 1
; FloatMode: 240
; IeeeMode: 1
; LDSByteSize: 0 bytes/workgroup (compile time only)
; SGPRBlocks: 3
; VGPRBlocks: 31
; NumSGPRsForWavesPerEU: 28
; NumVGPRsForWavesPerEU: 128
; Occupancy: 2
; WaveLimiterHint : 0
; COMPUTE_PGM_RSRC2:SCRATCH_EN: 1
; COMPUTE_PGM_RSRC2:USER_SGPR: 6
; COMPUTE_PGM_RSRC2:TRAP_HANDLER: 0
; COMPUTE_PGM_RSRC2:TGID_X_EN: 1
; COMPUTE_PGM_RSRC2:TGID_Y_EN: 1
; COMPUTE_PGM_RSRC2:TGID_Z_EN: 0
; COMPUTE_PGM_RSRC2:TIDIG_COMP_CNT: 1
	.section	.text._ZN9rocsolver6v33100L18getf2_small_kernelILi48E19rocblas_complex_numIdEiiPS3_EEvT1_T3_lS5_lPS5_llPT2_S5_S5_S7_l,"axG",@progbits,_ZN9rocsolver6v33100L18getf2_small_kernelILi48E19rocblas_complex_numIdEiiPS3_EEvT1_T3_lS5_lPS5_llPT2_S5_S5_S7_l,comdat
	.globl	_ZN9rocsolver6v33100L18getf2_small_kernelILi48E19rocblas_complex_numIdEiiPS3_EEvT1_T3_lS5_lPS5_llPT2_S5_S5_S7_l ; -- Begin function _ZN9rocsolver6v33100L18getf2_small_kernelILi48E19rocblas_complex_numIdEiiPS3_EEvT1_T3_lS5_lPS5_llPT2_S5_S5_S7_l
	.p2align	8
	.type	_ZN9rocsolver6v33100L18getf2_small_kernelILi48E19rocblas_complex_numIdEiiPS3_EEvT1_T3_lS5_lPS5_llPT2_S5_S5_S7_l,@function
_ZN9rocsolver6v33100L18getf2_small_kernelILi48E19rocblas_complex_numIdEiiPS3_EEvT1_T3_lS5_lPS5_llPT2_S5_S5_S7_l: ; @_ZN9rocsolver6v33100L18getf2_small_kernelILi48E19rocblas_complex_numIdEiiPS3_EEvT1_T3_lS5_lPS5_llPT2_S5_S5_S7_l
; %bb.0:
	s_mov_b64 s[26:27], s[2:3]
	s_mov_b64 s[24:25], s[0:1]
	s_load_dword s0, s[4:5], 0x6c
	s_load_dwordx2 s[16:17], s[4:5], 0x48
	s_add_u32 s24, s24, s8
	s_addc_u32 s25, s25, 0
	s_waitcnt lgkmcnt(0)
	s_lshr_b32 s0, s0, 16
	s_mul_i32 s7, s7, s0
	v_add_u32_e32 v6, s7, v1
	v_cmp_gt_i32_e32 vcc, s16, v6
	s_and_saveexec_b64 s[0:1], vcc
	s_cbranch_execnz .LBB94_1
; %bb.1010:
	s_getpc_b64 s[28:29]
.Lpost_getpc8:
	s_add_u32 s28, s28, (.LBB94_1009-.Lpost_getpc8)&4294967295
	s_addc_u32 s29, s29, (.LBB94_1009-.Lpost_getpc8)>>32
	s_setpc_b64 s[28:29]
.LBB94_1:
	s_load_dwordx4 s[0:3], s[4:5], 0x50
	v_mov_b32_e32 v2, 0
	v_ashrrev_i32_e32 v7, 31, v6
	v_mov_b32_e32 v3, 0
	buffer_store_dword v2, off, s[24:27], 0 offset:352 ; 4-byte Folded Spill
	s_nop 0
	buffer_store_dword v3, off, s[24:27], 0 offset:356 ; 4-byte Folded Spill
	s_waitcnt lgkmcnt(0)
	s_cmp_eq_u64 s[0:1], 0
	s_cselect_b64 s[6:7], -1, 0
	s_and_b64 vcc, exec, s[6:7]
	s_cbranch_vccnz .LBB94_3
; %bb.2:
	v_mul_lo_u32 v4, s3, v6
	v_mul_lo_u32 v5, s2, v7
	v_mad_u64_u32 v[2:3], s[2:3], s2, v6, 0
	v_add3_u32 v3, v3, v5, v4
	v_lshlrev_b64 v[2:3], 2, v[2:3]
	v_mov_b32_e32 v4, s1
	v_add_co_u32_e32 v2, vcc, s0, v2
	v_addc_co_u32_e32 v3, vcc, v4, v3, vcc
	buffer_store_dword v2, off, s[24:27], 0 offset:352 ; 4-byte Folded Spill
	s_nop 0
	buffer_store_dword v3, off, s[24:27], 0 offset:356 ; 4-byte Folded Spill
.LBB94_3:
	s_load_dwordx8 s[8:15], s[4:5], 0x20
	s_load_dwordx4 s[20:23], s[4:5], 0x8
	s_load_dword s2, s[4:5], 0x18
	v_mov_b32_e32 v86, v7
	v_mov_b32_e32 v85, v6
	s_waitcnt lgkmcnt(0)
	v_mul_lo_u32 v4, s9, v6
	v_mul_lo_u32 v5, s8, v7
	v_mad_u64_u32 v[2:3], s[0:1], s8, v6, 0
	v_mov_b32_e32 v6, s21
	s_lshl_b64 s[0:1], s[22:23], 4
	v_add3_u32 v3, v3, v5, v4
	v_lshlrev_b64 v[2:3], 4, v[2:3]
	v_mov_b32_e32 v4, s1
	v_add_co_u32_e32 v2, vcc, s20, v2
	v_addc_co_u32_e32 v3, vcc, v6, v3, vcc
	v_add_co_u32_e32 v127, vcc, s0, v2
	s_add_i32 s16, s2, s2
	v_addc_co_u32_e32 v89, vcc, v3, v4, vcc
	v_add_u32_e32 v4, s16, v0
	v_ashrrev_i32_e32 v5, 31, v4
	v_lshlrev_b64 v[2:3], 4, v[4:5]
	v_add_u32_e32 v6, s2, v4
	v_ashrrev_i32_e32 v7, 31, v6
	v_add_co_u32_e32 v2, vcc, v127, v2
	v_lshlrev_b64 v[4:5], 4, v[6:7]
	v_add_u32_e32 v8, s2, v6
	v_addc_co_u32_e32 v3, vcc, v89, v3, vcc
	v_ashrrev_i32_e32 v9, 31, v8
	v_add_co_u32_e32 v4, vcc, v127, v4
	v_lshlrev_b64 v[6:7], 4, v[8:9]
	v_add_u32_e32 v10, s2, v8
	v_addc_co_u32_e32 v5, vcc, v89, v5, vcc
	;; [unrolled: 5-line block ×29, first 2 shown]
	v_ashrrev_i32_e32 v63, 31, v62
	v_add_co_u32_e32 v60, vcc, v127, v60
	v_lshlrev_b64 v[63:64], 4, v[62:63]
	v_addc_co_u32_e32 v61, vcc, v89, v61, vcc
	v_add_u32_e32 v62, s2, v62
	v_add_co_u32_e32 v117, vcc, v127, v63
	v_ashrrev_i32_e32 v63, 31, v62
	v_addc_co_u32_e32 v118, vcc, v89, v64, vcc
	v_lshlrev_b64 v[63:64], 4, v[62:63]
	v_add_u32_e32 v62, s2, v62
	v_add_co_u32_e32 v119, vcc, v127, v63
	v_ashrrev_i32_e32 v63, 31, v62
	v_addc_co_u32_e32 v120, vcc, v89, v64, vcc
	v_lshlrev_b64 v[63:64], 4, v[62:63]
	;; [unrolled: 5-line block ×13, first 2 shown]
	v_add_u32_e32 v62, s2, v62
	s_ashr_i32 s3, s2, 31
	v_add_co_u32_e32 v97, vcc, v127, v63
	v_ashrrev_i32_e32 v63, 31, v62
	s_lshl_b64 s[8:9], s[2:3], 4
	s_load_dword s3, s[4:5], 0x0
	v_addc_co_u32_e32 v98, vcc, v89, v64, vcc
	v_lshlrev_b64 v[63:64], 4, v[62:63]
	v_add_u32_e32 v62, s2, v62
	v_add_co_u32_e32 v99, vcc, v127, v63
	v_ashrrev_i32_e32 v63, 31, v62
	v_lshlrev_b64 v[62:63], 4, v[62:63]
	v_addc_co_u32_e32 v100, vcc, v89, v64, vcc
	s_waitcnt lgkmcnt(0)
	s_max_i32 s0, s3, 48
	v_add_co_u32_e32 v93, vcc, v127, v62
	v_mul_lo_u32 v91, s0, v1
	v_addc_co_u32_e32 v94, vcc, v89, v63, vcc
	v_lshlrev_b32_e32 v66, 4, v0
	v_add_co_u32_e32 v64, vcc, v127, v66
	v_addc_co_u32_e32 v65, vcc, 0, v89, vcc
	v_mov_b32_e32 v63, s9
	v_add_co_u32_e32 v62, vcc, s8, v64
	v_lshl_add_u32 v90, v91, 4, 0
	v_addc_co_u32_e32 v63, vcc, v65, v63, vcc
	v_add_u32_e32 v1, v90, v66
	global_load_dwordx4 v[64:67], v[64:65], off
	s_nop 0
	global_load_dwordx4 v[68:71], v[62:63], off
	s_waitcnt vmcnt(0)
	buffer_store_dword v68, off, s[24:27], 0 offset:376 ; 4-byte Folded Spill
	s_nop 0
	buffer_store_dword v69, off, s[24:27], 0 offset:380 ; 4-byte Folded Spill
	buffer_store_dword v70, off, s[24:27], 0 offset:384 ; 4-byte Folded Spill
	buffer_store_dword v71, off, s[24:27], 0 offset:388 ; 4-byte Folded Spill
	buffer_store_dword v64, off, s[24:27], 0 offset:392 ; 4-byte Folded Spill
	s_nop 0
	buffer_store_dword v65, off, s[24:27], 0 offset:396 ; 4-byte Folded Spill
	buffer_store_dword v66, off, s[24:27], 0 offset:400 ; 4-byte Folded Spill
	;; [unrolled: 1-line block ×3, first 2 shown]
	s_load_dwordx2 s[4:5], s[4:5], 0x40
	s_cmp_lt_i32 s3, 2
	ds_write2_b64 v1, v[64:65], v[66:67] offset1:1
	global_load_dwordx4 v[62:65], v[2:3], off
	s_waitcnt vmcnt(0)
	buffer_store_dword v62, off, s[24:27], 0 offset:360 ; 4-byte Folded Spill
	s_nop 0
	buffer_store_dword v63, off, s[24:27], 0 offset:364 ; 4-byte Folded Spill
	buffer_store_dword v64, off, s[24:27], 0 offset:368 ; 4-byte Folded Spill
	buffer_store_dword v65, off, s[24:27], 0 offset:372 ; 4-byte Folded Spill
	global_load_dwordx4 v[1:4], v[4:5], off
	s_waitcnt vmcnt(0)
	buffer_store_dword v1, off, s[24:27], 0 offset:336 ; 4-byte Folded Spill
	s_nop 0
	buffer_store_dword v2, off, s[24:27], 0 offset:340 ; 4-byte Folded Spill
	buffer_store_dword v3, off, s[24:27], 0 offset:344 ; 4-byte Folded Spill
	buffer_store_dword v4, off, s[24:27], 0 offset:348 ; 4-byte Folded Spill
	;; [unrolled: 7-line block ×22, first 2 shown]
	global_load_dwordx4 v[81:84], v[46:47], off
	global_load_dwordx4 v[111:114], v[48:49], off
	s_nop 0
	global_load_dwordx4 v[1:4], v[50:51], off
	s_waitcnt vmcnt(0)
	buffer_store_dword v1, off, s[24:27], 0 ; 4-byte Folded Spill
	s_nop 0
	buffer_store_dword v2, off, s[24:27], 0 offset:4 ; 4-byte Folded Spill
	buffer_store_dword v3, off, s[24:27], 0 offset:8 ; 4-byte Folded Spill
	;; [unrolled: 1-line block ×3, first 2 shown]
	global_load_dwordx4 v[77:80], v[52:53], off
	global_load_dwordx4 v[73:76], v[54:55], off
	;; [unrolled: 1-line block ×4, first 2 shown]
	s_nop 0
	global_load_dwordx4 v[61:64], v[60:61], off
	s_nop 0
	global_load_dwordx4 v[57:60], v[117:118], off
	global_load_dwordx4 v[53:56], v[119:120], off
	;; [unrolled: 1-line block ×16, first 2 shown]
	s_waitcnt vmcnt(0) lgkmcnt(0)
	s_barrier
	ds_read2_b64 v[117:120], v90 offset1:1
	v_lshlrev_b32_e32 v97, 4, v91
	v_mov_b32_e32 v93, 0
	s_cbranch_scc1 .LBB94_6
; %bb.4:
	v_add3_u32 v91, v97, 0, 16
	s_mov_b32 s0, 1
	v_mov_b32_e32 v93, 0
.LBB94_5:                               ; =>This Inner Loop Header: Depth=1
	s_waitcnt lgkmcnt(0)
	v_cmp_gt_f64_e32 vcc, 0, v[117:118]
	v_xor_b32_e32 v92, 0x80000000, v118
	ds_read2_b64 v[98:101], v91 offset1:1
	v_mov_b32_e32 v94, v117
	v_mov_b32_e32 v102, v119
	v_add_u32_e32 v91, 16, v91
	s_waitcnt lgkmcnt(0)
	v_mov_b32_e32 v104, v100
	v_cndmask_b32_e32 v95, v118, v92, vcc
	v_cmp_gt_f64_e32 vcc, 0, v[119:120]
	v_xor_b32_e32 v92, 0x80000000, v120
	v_cndmask_b32_e32 v103, v120, v92, vcc
	v_cmp_gt_f64_e32 vcc, 0, v[98:99]
	v_xor_b32_e32 v92, 0x80000000, v99
	v_add_f64 v[94:95], v[94:95], v[102:103]
	v_mov_b32_e32 v102, v98
	v_cndmask_b32_e32 v103, v99, v92, vcc
	v_cmp_gt_f64_e32 vcc, 0, v[100:101]
	v_xor_b32_e32 v92, 0x80000000, v101
	v_cndmask_b32_e32 v105, v101, v92, vcc
	v_add_f64 v[102:103], v[102:103], v[104:105]
	v_mov_b32_e32 v92, s0
	s_add_i32 s0, s0, 1
	s_cmp_eq_u32 s3, s0
	v_cmp_lt_f64_e32 vcc, v[94:95], v[102:103]
	v_cndmask_b32_e32 v118, v118, v99, vcc
	v_cndmask_b32_e32 v117, v117, v98, vcc
	v_cndmask_b32_e32 v120, v120, v101, vcc
	v_cndmask_b32_e32 v119, v119, v100, vcc
	v_cndmask_b32_e32 v93, v93, v92, vcc
	s_cbranch_scc0 .LBB94_5
.LBB94_6:
	s_waitcnt lgkmcnt(0)
	v_cmp_neq_f64_e32 vcc, 0, v[117:118]
	v_cmp_neq_f64_e64 s[0:1], 0, v[119:120]
	v_mov_b32_e32 v116, v86
	v_mov_b32_e32 v115, v85
	;; [unrolled: 1-line block ×7, first 2 shown]
	s_or_b64 s[18:19], vcc, s[0:1]
	v_mov_b32_e32 v98, 1
	s_and_saveexec_b64 s[0:1], s[18:19]
	s_cbranch_execz .LBB94_12
; %bb.7:
	v_cmp_ngt_f64_e64 s[18:19], |v[117:118]|, |v[119:120]|
	s_and_saveexec_b64 s[20:21], s[18:19]
	s_xor_b64 s[18:19], exec, s[20:21]
	s_cbranch_execz .LBB94_9
; %bb.8:
	v_div_scale_f64 v[91:92], s[20:21], v[119:120], v[119:120], v[117:118]
	v_rcp_f64_e32 v[94:95], v[91:92]
	v_fma_f64 v[98:99], -v[91:92], v[94:95], 1.0
	v_fma_f64 v[94:95], v[94:95], v[98:99], v[94:95]
	v_div_scale_f64 v[98:99], vcc, v[117:118], v[119:120], v[117:118]
	v_fma_f64 v[100:101], -v[91:92], v[94:95], 1.0
	v_fma_f64 v[94:95], v[94:95], v[100:101], v[94:95]
	v_mul_f64 v[100:101], v[98:99], v[94:95]
	v_fma_f64 v[91:92], -v[91:92], v[100:101], v[98:99]
	v_div_fmas_f64 v[91:92], v[91:92], v[94:95], v[100:101]
	v_div_fixup_f64 v[91:92], v[91:92], v[119:120], v[117:118]
	v_fma_f64 v[94:95], v[117:118], v[91:92], v[119:120]
	v_div_scale_f64 v[98:99], s[20:21], v[94:95], v[94:95], 1.0
	v_div_scale_f64 v[104:105], vcc, 1.0, v[94:95], 1.0
	v_rcp_f64_e32 v[100:101], v[98:99]
	v_fma_f64 v[102:103], -v[98:99], v[100:101], 1.0
	v_fma_f64 v[100:101], v[100:101], v[102:103], v[100:101]
	v_fma_f64 v[102:103], -v[98:99], v[100:101], 1.0
	v_fma_f64 v[100:101], v[100:101], v[102:103], v[100:101]
	v_mul_f64 v[102:103], v[104:105], v[100:101]
	v_fma_f64 v[98:99], -v[98:99], v[102:103], v[104:105]
	v_div_fmas_f64 v[98:99], v[98:99], v[100:101], v[102:103]
	v_div_fixup_f64 v[119:120], v[98:99], v[94:95], 1.0
	v_mul_f64 v[117:118], v[91:92], v[119:120]
	v_xor_b32_e32 v120, 0x80000000, v120
.LBB94_9:
	s_andn2_saveexec_b64 s[18:19], s[18:19]
	s_cbranch_execz .LBB94_11
; %bb.10:
	v_div_scale_f64 v[91:92], s[20:21], v[117:118], v[117:118], v[119:120]
	v_rcp_f64_e32 v[94:95], v[91:92]
	v_fma_f64 v[98:99], -v[91:92], v[94:95], 1.0
	v_fma_f64 v[94:95], v[94:95], v[98:99], v[94:95]
	v_div_scale_f64 v[98:99], vcc, v[119:120], v[117:118], v[119:120]
	v_fma_f64 v[100:101], -v[91:92], v[94:95], 1.0
	v_fma_f64 v[94:95], v[94:95], v[100:101], v[94:95]
	v_mul_f64 v[100:101], v[98:99], v[94:95]
	v_fma_f64 v[91:92], -v[91:92], v[100:101], v[98:99]
	v_div_fmas_f64 v[91:92], v[91:92], v[94:95], v[100:101]
	v_div_fixup_f64 v[91:92], v[91:92], v[117:118], v[119:120]
	v_fma_f64 v[94:95], v[119:120], v[91:92], v[117:118]
	v_div_scale_f64 v[98:99], s[20:21], v[94:95], v[94:95], 1.0
	v_div_scale_f64 v[104:105], vcc, 1.0, v[94:95], 1.0
	v_rcp_f64_e32 v[100:101], v[98:99]
	v_fma_f64 v[102:103], -v[98:99], v[100:101], 1.0
	v_fma_f64 v[100:101], v[100:101], v[102:103], v[100:101]
	v_fma_f64 v[102:103], -v[98:99], v[100:101], 1.0
	v_fma_f64 v[100:101], v[100:101], v[102:103], v[100:101]
	v_mul_f64 v[102:103], v[104:105], v[100:101]
	v_fma_f64 v[98:99], -v[98:99], v[102:103], v[104:105]
	v_div_fmas_f64 v[98:99], v[98:99], v[100:101], v[102:103]
	v_div_fixup_f64 v[117:118], v[98:99], v[94:95], 1.0
	v_mul_f64 v[119:120], v[91:92], -v[117:118]
.LBB94_11:
	s_or_b64 exec, exec, s[18:19]
	v_mov_b32_e32 v98, 0
	v_mov_b32_e32 v91, 2
.LBB94_12:
	s_or_b64 exec, exec, s[0:1]
	v_cmp_ne_u32_e32 vcc, v0, v93
	s_and_saveexec_b64 s[0:1], vcc
	s_xor_b64 s[0:1], exec, s[0:1]
	s_cbranch_execz .LBB94_18
; %bb.13:
	v_cmp_eq_u32_e32 vcc, 0, v0
	s_and_saveexec_b64 s[18:19], vcc
	s_cbranch_execz .LBB94_17
; %bb.14:
	v_cmp_ne_u32_e32 vcc, 0, v93
	s_xor_b64 s[20:21], s[6:7], -1
	s_and_b64 s[22:23], s[20:21], vcc
	s_and_saveexec_b64 s[20:21], s[22:23]
	s_cbranch_execz .LBB94_16
; %bb.15:
	buffer_load_dword v85, off, s[24:27], 0 offset:352 ; 4-byte Folded Reload
	buffer_load_dword v86, off, s[24:27], 0 offset:356 ; 4-byte Folded Reload
	v_ashrrev_i32_e32 v94, 31, v93
	v_lshlrev_b64 v[94:95], 2, v[93:94]
	s_waitcnt vmcnt(1)
	v_add_co_u32_e32 v94, vcc, v85, v94
	s_waitcnt vmcnt(0)
	v_addc_co_u32_e32 v95, vcc, v86, v95, vcc
	global_load_dword v0, v[94:95], off
	global_load_dword v92, v[85:86], off
	s_waitcnt vmcnt(1)
	global_store_dword v[85:86], v0, off
	v_mov_b32_e32 v88, v84
	v_mov_b32_e32 v87, v83
	;; [unrolled: 1-line block ×4, first 2 shown]
	s_waitcnt vmcnt(1)
	global_store_dword v[94:95], v92, off
.LBB94_16:
	s_or_b64 exec, exec, s[20:21]
	v_mov_b32_e32 v0, v93
.LBB94_17:
	s_or_b64 exec, exec, s[18:19]
.LBB94_18:
	s_or_saveexec_b64 s[0:1], s[0:1]
	v_mov_b32_e32 v92, v0
	s_xor_b64 exec, exec, s[0:1]
	s_cbranch_execz .LBB94_20
; %bb.19:
	buffer_load_dword v81, off, s[24:27], 0 offset:376 ; 4-byte Folded Reload
	buffer_load_dword v82, off, s[24:27], 0 offset:380 ; 4-byte Folded Reload
	;; [unrolled: 1-line block ×4, first 2 shown]
	v_mov_b32_e32 v92, 0
	s_waitcnt vmcnt(0)
	ds_write2_b64 v90, v[81:82], v[83:84] offset0:2 offset1:3
	buffer_load_dword v81, off, s[24:27], 0 offset:360 ; 4-byte Folded Reload
	buffer_load_dword v82, off, s[24:27], 0 offset:364 ; 4-byte Folded Reload
	buffer_load_dword v83, off, s[24:27], 0 offset:368 ; 4-byte Folded Reload
	buffer_load_dword v84, off, s[24:27], 0 offset:372 ; 4-byte Folded Reload
	s_waitcnt vmcnt(0)
	ds_write2_b64 v90, v[81:82], v[83:84] offset0:4 offset1:5
	buffer_load_dword v81, off, s[24:27], 0 offset:336 ; 4-byte Folded Reload
	buffer_load_dword v82, off, s[24:27], 0 offset:340 ; 4-byte Folded Reload
	buffer_load_dword v83, off, s[24:27], 0 offset:344 ; 4-byte Folded Reload
	buffer_load_dword v84, off, s[24:27], 0 offset:348 ; 4-byte Folded Reload
	;; [unrolled: 6-line block ×22, first 2 shown]
	s_waitcnt vmcnt(0)
	ds_write2_b64 v90, v[81:82], v[83:84] offset0:46 offset1:47
	ds_write2_b64 v90, v[85:86], v[87:88] offset0:48 offset1:49
	;; [unrolled: 1-line block ×3, first 2 shown]
	buffer_load_dword v81, off, s[24:27], 0 ; 4-byte Folded Reload
	buffer_load_dword v82, off, s[24:27], 0 offset:4 ; 4-byte Folded Reload
	buffer_load_dword v83, off, s[24:27], 0 offset:8 ; 4-byte Folded Reload
	;; [unrolled: 1-line block ×3, first 2 shown]
	s_waitcnt vmcnt(0)
	ds_write2_b64 v90, v[81:82], v[83:84] offset0:52 offset1:53
	ds_write2_b64 v90, v[77:78], v[79:80] offset0:54 offset1:55
	ds_write2_b64 v90, v[73:74], v[75:76] offset0:56 offset1:57
	ds_write2_b64 v90, v[69:70], v[71:72] offset0:58 offset1:59
	ds_write2_b64 v90, v[65:66], v[67:68] offset0:60 offset1:61
	ds_write2_b64 v90, v[61:62], v[63:64] offset0:62 offset1:63
	ds_write2_b64 v90, v[57:58], v[59:60] offset0:64 offset1:65
	ds_write2_b64 v90, v[53:54], v[55:56] offset0:66 offset1:67
	ds_write2_b64 v90, v[49:50], v[51:52] offset0:68 offset1:69
	ds_write2_b64 v90, v[45:46], v[47:48] offset0:70 offset1:71
	ds_write2_b64 v90, v[41:42], v[43:44] offset0:72 offset1:73
	ds_write2_b64 v90, v[37:38], v[39:40] offset0:74 offset1:75
	ds_write2_b64 v90, v[33:34], v[35:36] offset0:76 offset1:77
	ds_write2_b64 v90, v[29:30], v[31:32] offset0:78 offset1:79
	ds_write2_b64 v90, v[25:26], v[27:28] offset0:80 offset1:81
	ds_write2_b64 v90, v[21:22], v[23:24] offset0:82 offset1:83
	ds_write2_b64 v90, v[17:18], v[19:20] offset0:84 offset1:85
	ds_write2_b64 v90, v[13:14], v[15:16] offset0:86 offset1:87
	ds_write2_b64 v90, v[9:10], v[11:12] offset0:88 offset1:89
	ds_write2_b64 v90, v[5:6], v[7:8] offset0:90 offset1:91
	ds_write2_b64 v90, v[1:2], v[3:4] offset0:92 offset1:93
	ds_write2_b64 v90, v[121:122], v[123:124] offset0:94 offset1:95
.LBB94_20:
	s_or_b64 exec, exec, s[0:1]
	v_cmp_lt_i32_e32 vcc, 0, v92
	s_waitcnt vmcnt(0) lgkmcnt(0)
	s_barrier
	s_and_saveexec_b64 s[0:1], vcc
	s_cbranch_execz .LBB94_22
; %bb.21:
	buffer_load_dword v101, off, s[24:27], 0 offset:392 ; 4-byte Folded Reload
	buffer_load_dword v102, off, s[24:27], 0 offset:396 ; 4-byte Folded Reload
	;; [unrolled: 1-line block ×4, first 2 shown]
	s_waitcnt vmcnt(0)
	v_mul_f64 v[93:94], v[119:120], v[103:104]
	v_fma_f64 v[125:126], v[117:118], v[101:102], -v[93:94]
	v_mul_f64 v[93:94], v[117:118], v[103:104]
	v_fma_f64 v[103:104], v[119:120], v[101:102], v[93:94]
	ds_read2_b64 v[93:96], v90 offset0:2 offset1:3
	buffer_load_dword v81, off, s[24:27], 0 offset:376 ; 4-byte Folded Reload
	buffer_load_dword v82, off, s[24:27], 0 offset:380 ; 4-byte Folded Reload
	buffer_load_dword v83, off, s[24:27], 0 offset:384 ; 4-byte Folded Reload
	buffer_load_dword v84, off, s[24:27], 0 offset:388 ; 4-byte Folded Reload
	s_waitcnt lgkmcnt(0)
	v_mul_f64 v[99:100], v[95:96], v[103:104]
	v_fma_f64 v[99:100], v[93:94], v[125:126], -v[99:100]
	v_mul_f64 v[93:94], v[93:94], v[103:104]
	v_fma_f64 v[93:94], v[95:96], v[125:126], v[93:94]
	s_waitcnt vmcnt(2)
	v_add_f64 v[81:82], v[81:82], -v[99:100]
	s_waitcnt vmcnt(0)
	v_add_f64 v[83:84], v[83:84], -v[93:94]
	buffer_store_dword v81, off, s[24:27], 0 offset:376 ; 4-byte Folded Spill
	s_nop 0
	buffer_store_dword v82, off, s[24:27], 0 offset:380 ; 4-byte Folded Spill
	buffer_store_dword v83, off, s[24:27], 0 offset:384 ; 4-byte Folded Spill
	buffer_store_dword v84, off, s[24:27], 0 offset:388 ; 4-byte Folded Spill
	ds_read2_b64 v[93:96], v90 offset0:4 offset1:5
	buffer_load_dword v81, off, s[24:27], 0 offset:360 ; 4-byte Folded Reload
	buffer_load_dword v82, off, s[24:27], 0 offset:364 ; 4-byte Folded Reload
	buffer_load_dword v83, off, s[24:27], 0 offset:368 ; 4-byte Folded Reload
	buffer_load_dword v84, off, s[24:27], 0 offset:372 ; 4-byte Folded Reload
	s_waitcnt lgkmcnt(0)
	v_mul_f64 v[99:100], v[95:96], v[103:104]
	v_fma_f64 v[99:100], v[93:94], v[125:126], -v[99:100]
	v_mul_f64 v[93:94], v[93:94], v[103:104]
	v_fma_f64 v[93:94], v[95:96], v[125:126], v[93:94]
	s_waitcnt vmcnt(2)
	v_add_f64 v[81:82], v[81:82], -v[99:100]
	s_waitcnt vmcnt(0)
	v_add_f64 v[83:84], v[83:84], -v[93:94]
	buffer_store_dword v81, off, s[24:27], 0 offset:360 ; 4-byte Folded Spill
	s_nop 0
	buffer_store_dword v82, off, s[24:27], 0 offset:364 ; 4-byte Folded Spill
	buffer_store_dword v83, off, s[24:27], 0 offset:368 ; 4-byte Folded Spill
	buffer_store_dword v84, off, s[24:27], 0 offset:372 ; 4-byte Folded Spill
	;; [unrolled: 19-line block ×23, first 2 shown]
	ds_read2_b64 v[93:96], v90 offset0:48 offset1:49
	s_waitcnt lgkmcnt(0)
	v_mul_f64 v[99:100], v[95:96], v[103:104]
	v_fma_f64 v[99:100], v[93:94], v[125:126], -v[99:100]
	v_mul_f64 v[93:94], v[93:94], v[103:104]
	v_add_f64 v[85:86], v[85:86], -v[99:100]
	v_fma_f64 v[93:94], v[95:96], v[125:126], v[93:94]
	v_add_f64 v[87:88], v[87:88], -v[93:94]
	ds_read2_b64 v[93:96], v90 offset0:50 offset1:51
	s_waitcnt lgkmcnt(0)
	v_mul_f64 v[99:100], v[95:96], v[103:104]
	v_fma_f64 v[99:100], v[93:94], v[125:126], -v[99:100]
	v_mul_f64 v[93:94], v[93:94], v[103:104]
	v_add_f64 v[111:112], v[111:112], -v[99:100]
	v_fma_f64 v[93:94], v[95:96], v[125:126], v[93:94]
	v_add_f64 v[113:114], v[113:114], -v[93:94]
	ds_read2_b64 v[93:96], v90 offset0:52 offset1:53
	buffer_load_dword v81, off, s[24:27], 0 ; 4-byte Folded Reload
	buffer_load_dword v82, off, s[24:27], 0 offset:4 ; 4-byte Folded Reload
	buffer_load_dword v83, off, s[24:27], 0 offset:8 ; 4-byte Folded Reload
	;; [unrolled: 1-line block ×3, first 2 shown]
	s_waitcnt lgkmcnt(0)
	v_mul_f64 v[99:100], v[95:96], v[103:104]
	v_fma_f64 v[99:100], v[93:94], v[125:126], -v[99:100]
	v_mul_f64 v[93:94], v[93:94], v[103:104]
	v_fma_f64 v[93:94], v[95:96], v[125:126], v[93:94]
	s_waitcnt vmcnt(2)
	v_add_f64 v[81:82], v[81:82], -v[99:100]
	s_waitcnt vmcnt(0)
	v_add_f64 v[83:84], v[83:84], -v[93:94]
	buffer_store_dword v81, off, s[24:27], 0 ; 4-byte Folded Spill
	s_nop 0
	buffer_store_dword v82, off, s[24:27], 0 offset:4 ; 4-byte Folded Spill
	buffer_store_dword v83, off, s[24:27], 0 offset:8 ; 4-byte Folded Spill
	;; [unrolled: 1-line block ×3, first 2 shown]
	ds_read2_b64 v[93:96], v90 offset0:54 offset1:55
	s_waitcnt lgkmcnt(0)
	v_mul_f64 v[99:100], v[95:96], v[103:104]
	v_fma_f64 v[99:100], v[93:94], v[125:126], -v[99:100]
	v_mul_f64 v[93:94], v[93:94], v[103:104]
	v_add_f64 v[77:78], v[77:78], -v[99:100]
	v_fma_f64 v[93:94], v[95:96], v[125:126], v[93:94]
	v_add_f64 v[79:80], v[79:80], -v[93:94]
	ds_read2_b64 v[93:96], v90 offset0:56 offset1:57
	s_waitcnt lgkmcnt(0)
	v_mul_f64 v[99:100], v[95:96], v[103:104]
	v_fma_f64 v[99:100], v[93:94], v[125:126], -v[99:100]
	v_mul_f64 v[93:94], v[93:94], v[103:104]
	v_add_f64 v[73:74], v[73:74], -v[99:100]
	v_fma_f64 v[93:94], v[95:96], v[125:126], v[93:94]
	v_add_f64 v[75:76], v[75:76], -v[93:94]
	;; [unrolled: 8-line block ×19, first 2 shown]
	ds_read2_b64 v[93:96], v90 offset0:92 offset1:93
	s_waitcnt lgkmcnt(0)
	v_mul_f64 v[99:100], v[95:96], v[103:104]
	v_fma_f64 v[99:100], v[93:94], v[125:126], -v[99:100]
	v_mul_f64 v[93:94], v[93:94], v[103:104]
	v_add_f64 v[1:2], v[1:2], -v[99:100]
	v_fma_f64 v[93:94], v[95:96], v[125:126], v[93:94]
	ds_read2_b64 v[99:102], v90 offset0:94 offset1:95
	s_waitcnt lgkmcnt(0)
	v_mul_f64 v[95:96], v[99:100], v[103:104]
	v_add_f64 v[3:4], v[3:4], -v[93:94]
	v_mul_f64 v[93:94], v[101:102], v[103:104]
	v_fma_f64 v[95:96], v[101:102], v[125:126], v[95:96]
	v_mov_b32_e32 v101, v125
	v_mov_b32_e32 v102, v126
	v_fma_f64 v[93:94], v[99:100], v[125:126], -v[93:94]
	buffer_store_dword v101, off, s[24:27], 0 offset:392 ; 4-byte Folded Spill
	s_nop 0
	buffer_store_dword v102, off, s[24:27], 0 offset:396 ; 4-byte Folded Spill
	buffer_store_dword v103, off, s[24:27], 0 offset:400 ; 4-byte Folded Spill
	;; [unrolled: 1-line block ×3, first 2 shown]
	v_add_f64 v[123:124], v[123:124], -v[95:96]
	v_add_f64 v[121:122], v[121:122], -v[93:94]
.LBB94_22:
	s_or_b64 exec, exec, s[0:1]
	s_waitcnt vmcnt(0)
	s_barrier
	buffer_load_dword v81, off, s[24:27], 0 offset:376 ; 4-byte Folded Reload
	buffer_load_dword v82, off, s[24:27], 0 offset:380 ; 4-byte Folded Reload
	;; [unrolled: 1-line block ×4, first 2 shown]
	v_lshl_add_u32 v93, v92, 4, v90
	s_cmp_lt_i32 s3, 3
	s_waitcnt vmcnt(0)
	ds_write2_b64 v93, v[81:82], v[83:84] offset1:1
	s_waitcnt lgkmcnt(0)
	s_barrier
	ds_read2_b64 v[117:120], v90 offset0:2 offset1:3
	v_mov_b32_e32 v93, 1
	s_cbranch_scc1 .LBB94_25
; %bb.23:
	v_add3_u32 v94, v97, 0, 32
	s_mov_b32 s0, 2
	v_mov_b32_e32 v93, 1
.LBB94_24:                              ; =>This Inner Loop Header: Depth=1
	s_waitcnt lgkmcnt(0)
	v_cmp_gt_f64_e32 vcc, 0, v[117:118]
	v_xor_b32_e32 v95, 0x80000000, v118
	ds_read2_b64 v[99:102], v94 offset1:1
	v_xor_b32_e32 v103, 0x80000000, v120
	v_add_u32_e32 v94, 16, v94
	s_waitcnt lgkmcnt(0)
	v_xor_b32_e32 v105, 0x80000000, v102
	v_cndmask_b32_e32 v96, v118, v95, vcc
	v_cmp_gt_f64_e32 vcc, 0, v[119:120]
	v_mov_b32_e32 v95, v117
	v_cndmask_b32_e32 v104, v120, v103, vcc
	v_cmp_gt_f64_e32 vcc, 0, v[99:100]
	v_mov_b32_e32 v103, v119
	v_add_f64 v[95:96], v[95:96], v[103:104]
	v_xor_b32_e32 v103, 0x80000000, v100
	v_cndmask_b32_e32 v104, v100, v103, vcc
	v_cmp_gt_f64_e32 vcc, 0, v[101:102]
	v_mov_b32_e32 v103, v99
	v_cndmask_b32_e32 v106, v102, v105, vcc
	v_mov_b32_e32 v105, v101
	v_add_f64 v[103:104], v[103:104], v[105:106]
	v_cmp_lt_f64_e32 vcc, v[95:96], v[103:104]
	v_mov_b32_e32 v95, s0
	s_add_i32 s0, s0, 1
	s_cmp_lg_u32 s3, s0
	v_cndmask_b32_e32 v118, v118, v100, vcc
	v_cndmask_b32_e32 v117, v117, v99, vcc
	;; [unrolled: 1-line block ×5, first 2 shown]
	s_cbranch_scc1 .LBB94_24
.LBB94_25:
	s_waitcnt lgkmcnt(0)
	v_cmp_neq_f64_e32 vcc, 0, v[117:118]
	v_cmp_neq_f64_e64 s[0:1], 0, v[119:120]
	s_or_b64 s[18:19], vcc, s[0:1]
	s_and_saveexec_b64 s[0:1], s[18:19]
	s_cbranch_execz .LBB94_31
; %bb.26:
	v_cmp_ngt_f64_e64 s[18:19], |v[117:118]|, |v[119:120]|
	s_and_saveexec_b64 s[20:21], s[18:19]
	s_xor_b64 s[18:19], exec, s[20:21]
	s_cbranch_execz .LBB94_28
; %bb.27:
	v_div_scale_f64 v[94:95], s[20:21], v[119:120], v[119:120], v[117:118]
	v_rcp_f64_e32 v[99:100], v[94:95]
	v_fma_f64 v[101:102], -v[94:95], v[99:100], 1.0
	v_fma_f64 v[99:100], v[99:100], v[101:102], v[99:100]
	v_div_scale_f64 v[101:102], vcc, v[117:118], v[119:120], v[117:118]
	v_fma_f64 v[103:104], -v[94:95], v[99:100], 1.0
	v_fma_f64 v[99:100], v[99:100], v[103:104], v[99:100]
	v_mul_f64 v[103:104], v[101:102], v[99:100]
	v_fma_f64 v[94:95], -v[94:95], v[103:104], v[101:102]
	v_div_fmas_f64 v[94:95], v[94:95], v[99:100], v[103:104]
	v_div_fixup_f64 v[94:95], v[94:95], v[119:120], v[117:118]
	v_fma_f64 v[99:100], v[117:118], v[94:95], v[119:120]
	v_div_scale_f64 v[101:102], s[20:21], v[99:100], v[99:100], 1.0
	v_div_scale_f64 v[107:108], vcc, 1.0, v[99:100], 1.0
	v_rcp_f64_e32 v[103:104], v[101:102]
	v_fma_f64 v[105:106], -v[101:102], v[103:104], 1.0
	v_fma_f64 v[103:104], v[103:104], v[105:106], v[103:104]
	v_fma_f64 v[105:106], -v[101:102], v[103:104], 1.0
	v_fma_f64 v[103:104], v[103:104], v[105:106], v[103:104]
	v_mul_f64 v[105:106], v[107:108], v[103:104]
	v_fma_f64 v[101:102], -v[101:102], v[105:106], v[107:108]
	v_div_fmas_f64 v[101:102], v[101:102], v[103:104], v[105:106]
	v_div_fixup_f64 v[119:120], v[101:102], v[99:100], 1.0
	v_mul_f64 v[117:118], v[94:95], v[119:120]
	v_xor_b32_e32 v120, 0x80000000, v120
.LBB94_28:
	s_andn2_saveexec_b64 s[18:19], s[18:19]
	s_cbranch_execz .LBB94_30
; %bb.29:
	v_div_scale_f64 v[94:95], s[20:21], v[117:118], v[117:118], v[119:120]
	v_rcp_f64_e32 v[99:100], v[94:95]
	v_fma_f64 v[101:102], -v[94:95], v[99:100], 1.0
	v_fma_f64 v[99:100], v[99:100], v[101:102], v[99:100]
	v_div_scale_f64 v[101:102], vcc, v[119:120], v[117:118], v[119:120]
	v_fma_f64 v[103:104], -v[94:95], v[99:100], 1.0
	v_fma_f64 v[99:100], v[99:100], v[103:104], v[99:100]
	v_mul_f64 v[103:104], v[101:102], v[99:100]
	v_fma_f64 v[94:95], -v[94:95], v[103:104], v[101:102]
	v_div_fmas_f64 v[94:95], v[94:95], v[99:100], v[103:104]
	v_div_fixup_f64 v[94:95], v[94:95], v[117:118], v[119:120]
	v_fma_f64 v[99:100], v[119:120], v[94:95], v[117:118]
	v_div_scale_f64 v[101:102], s[20:21], v[99:100], v[99:100], 1.0
	v_div_scale_f64 v[107:108], vcc, 1.0, v[99:100], 1.0
	v_rcp_f64_e32 v[103:104], v[101:102]
	v_fma_f64 v[105:106], -v[101:102], v[103:104], 1.0
	v_fma_f64 v[103:104], v[103:104], v[105:106], v[103:104]
	v_fma_f64 v[105:106], -v[101:102], v[103:104], 1.0
	v_fma_f64 v[103:104], v[103:104], v[105:106], v[103:104]
	v_mul_f64 v[105:106], v[107:108], v[103:104]
	v_fma_f64 v[101:102], -v[101:102], v[105:106], v[107:108]
	v_div_fmas_f64 v[101:102], v[101:102], v[103:104], v[105:106]
	v_div_fixup_f64 v[117:118], v[101:102], v[99:100], 1.0
	v_mul_f64 v[119:120], v[94:95], -v[117:118]
.LBB94_30:
	s_or_b64 exec, exec, s[18:19]
	v_mov_b32_e32 v91, v98
.LBB94_31:
	s_or_b64 exec, exec, s[0:1]
	v_cmp_ne_u32_e32 vcc, v92, v93
	s_and_saveexec_b64 s[0:1], vcc
	s_xor_b64 s[0:1], exec, s[0:1]
	s_cbranch_execz .LBB94_37
; %bb.32:
	v_cmp_eq_u32_e32 vcc, 1, v92
	s_and_saveexec_b64 s[18:19], vcc
	s_cbranch_execz .LBB94_36
; %bb.33:
	v_cmp_ne_u32_e32 vcc, 1, v93
	s_xor_b64 s[20:21], s[6:7], -1
	s_and_b64 s[22:23], s[20:21], vcc
	s_and_saveexec_b64 s[20:21], s[22:23]
	s_cbranch_execz .LBB94_35
; %bb.34:
	v_mov_b32_e32 v81, v85
	v_mov_b32_e32 v82, v86
	;; [unrolled: 1-line block ×4, first 2 shown]
	buffer_load_dword v85, off, s[24:27], 0 offset:352 ; 4-byte Folded Reload
	buffer_load_dword v86, off, s[24:27], 0 offset:356 ; 4-byte Folded Reload
	v_ashrrev_i32_e32 v94, 31, v93
	v_lshlrev_b64 v[94:95], 2, v[93:94]
	s_waitcnt vmcnt(1)
	v_add_co_u32_e32 v94, vcc, v85, v94
	s_waitcnt vmcnt(0)
	v_addc_co_u32_e32 v95, vcc, v86, v95, vcc
	global_load_dword v0, v[94:95], off
	global_load_dword v92, v[85:86], off offset:4
	s_waitcnt vmcnt(1)
	global_store_dword v[85:86], v0, off offset:4
	v_mov_b32_e32 v88, v84
	v_mov_b32_e32 v87, v83
	v_mov_b32_e32 v86, v82
	v_mov_b32_e32 v85, v81
	s_waitcnt vmcnt(1)
	global_store_dword v[94:95], v92, off
.LBB94_35:
	s_or_b64 exec, exec, s[20:21]
	v_mov_b32_e32 v92, v93
	v_mov_b32_e32 v0, v93
.LBB94_36:
	s_or_b64 exec, exec, s[18:19]
.LBB94_37:
	s_andn2_saveexec_b64 s[0:1], s[0:1]
	s_cbranch_execz .LBB94_39
; %bb.38:
	buffer_load_dword v81, off, s[24:27], 0 offset:360 ; 4-byte Folded Reload
	buffer_load_dword v82, off, s[24:27], 0 offset:364 ; 4-byte Folded Reload
	;; [unrolled: 1-line block ×4, first 2 shown]
	v_mov_b32_e32 v92, 1
	s_waitcnt vmcnt(0)
	ds_write2_b64 v90, v[81:82], v[83:84] offset0:4 offset1:5
	buffer_load_dword v81, off, s[24:27], 0 offset:336 ; 4-byte Folded Reload
	buffer_load_dword v82, off, s[24:27], 0 offset:340 ; 4-byte Folded Reload
	buffer_load_dword v83, off, s[24:27], 0 offset:344 ; 4-byte Folded Reload
	buffer_load_dword v84, off, s[24:27], 0 offset:348 ; 4-byte Folded Reload
	s_waitcnt vmcnt(0)
	ds_write2_b64 v90, v[81:82], v[83:84] offset0:6 offset1:7
	buffer_load_dword v81, off, s[24:27], 0 offset:320 ; 4-byte Folded Reload
	buffer_load_dword v82, off, s[24:27], 0 offset:324 ; 4-byte Folded Reload
	buffer_load_dword v83, off, s[24:27], 0 offset:328 ; 4-byte Folded Reload
	buffer_load_dword v84, off, s[24:27], 0 offset:332 ; 4-byte Folded Reload
	;; [unrolled: 6-line block ×21, first 2 shown]
	s_waitcnt vmcnt(0)
	ds_write2_b64 v90, v[81:82], v[83:84] offset0:46 offset1:47
	ds_write2_b64 v90, v[85:86], v[87:88] offset0:48 offset1:49
	;; [unrolled: 1-line block ×3, first 2 shown]
	buffer_load_dword v81, off, s[24:27], 0 ; 4-byte Folded Reload
	buffer_load_dword v82, off, s[24:27], 0 offset:4 ; 4-byte Folded Reload
	buffer_load_dword v83, off, s[24:27], 0 offset:8 ; 4-byte Folded Reload
	;; [unrolled: 1-line block ×3, first 2 shown]
	s_waitcnt vmcnt(0)
	ds_write2_b64 v90, v[81:82], v[83:84] offset0:52 offset1:53
	ds_write2_b64 v90, v[77:78], v[79:80] offset0:54 offset1:55
	;; [unrolled: 1-line block ×22, first 2 shown]
.LBB94_39:
	s_or_b64 exec, exec, s[0:1]
	v_cmp_lt_i32_e32 vcc, 1, v92
	s_waitcnt vmcnt(0) lgkmcnt(0)
	s_barrier
	s_and_saveexec_b64 s[0:1], vcc
	s_cbranch_execz .LBB94_41
; %bb.40:
	buffer_load_dword v100, off, s[24:27], 0 offset:376 ; 4-byte Folded Reload
	buffer_load_dword v101, off, s[24:27], 0 offset:380 ; 4-byte Folded Reload
	;; [unrolled: 1-line block ×4, first 2 shown]
	s_waitcnt vmcnt(0)
	v_mul_f64 v[93:94], v[119:120], v[102:103]
	v_fma_f64 v[125:126], v[117:118], v[100:101], -v[93:94]
	v_mul_f64 v[93:94], v[117:118], v[102:103]
	v_fma_f64 v[102:103], v[119:120], v[100:101], v[93:94]
	ds_read2_b64 v[93:96], v90 offset0:4 offset1:5
	buffer_load_dword v81, off, s[24:27], 0 offset:360 ; 4-byte Folded Reload
	buffer_load_dword v82, off, s[24:27], 0 offset:364 ; 4-byte Folded Reload
	buffer_load_dword v83, off, s[24:27], 0 offset:368 ; 4-byte Folded Reload
	buffer_load_dword v84, off, s[24:27], 0 offset:372 ; 4-byte Folded Reload
	s_waitcnt lgkmcnt(0)
	v_mul_f64 v[98:99], v[95:96], v[102:103]
	v_fma_f64 v[98:99], v[93:94], v[125:126], -v[98:99]
	v_mul_f64 v[93:94], v[93:94], v[102:103]
	v_fma_f64 v[93:94], v[95:96], v[125:126], v[93:94]
	s_waitcnt vmcnt(2)
	v_add_f64 v[81:82], v[81:82], -v[98:99]
	s_waitcnt vmcnt(0)
	v_add_f64 v[83:84], v[83:84], -v[93:94]
	buffer_store_dword v81, off, s[24:27], 0 offset:360 ; 4-byte Folded Spill
	s_nop 0
	buffer_store_dword v82, off, s[24:27], 0 offset:364 ; 4-byte Folded Spill
	buffer_store_dword v83, off, s[24:27], 0 offset:368 ; 4-byte Folded Spill
	buffer_store_dword v84, off, s[24:27], 0 offset:372 ; 4-byte Folded Spill
	ds_read2_b64 v[93:96], v90 offset0:6 offset1:7
	buffer_load_dword v81, off, s[24:27], 0 offset:336 ; 4-byte Folded Reload
	buffer_load_dword v82, off, s[24:27], 0 offset:340 ; 4-byte Folded Reload
	buffer_load_dword v83, off, s[24:27], 0 offset:344 ; 4-byte Folded Reload
	buffer_load_dword v84, off, s[24:27], 0 offset:348 ; 4-byte Folded Reload
	s_waitcnt lgkmcnt(0)
	v_mul_f64 v[98:99], v[95:96], v[102:103]
	v_fma_f64 v[98:99], v[93:94], v[125:126], -v[98:99]
	v_mul_f64 v[93:94], v[93:94], v[102:103]
	v_fma_f64 v[93:94], v[95:96], v[125:126], v[93:94]
	s_waitcnt vmcnt(2)
	v_add_f64 v[81:82], v[81:82], -v[98:99]
	s_waitcnt vmcnt(0)
	v_add_f64 v[83:84], v[83:84], -v[93:94]
	buffer_store_dword v81, off, s[24:27], 0 offset:336 ; 4-byte Folded Spill
	s_nop 0
	buffer_store_dword v82, off, s[24:27], 0 offset:340 ; 4-byte Folded Spill
	buffer_store_dword v83, off, s[24:27], 0 offset:344 ; 4-byte Folded Spill
	buffer_store_dword v84, off, s[24:27], 0 offset:348 ; 4-byte Folded Spill
	;; [unrolled: 19-line block ×22, first 2 shown]
	ds_read2_b64 v[93:96], v90 offset0:48 offset1:49
	s_waitcnt lgkmcnt(0)
	v_mul_f64 v[98:99], v[95:96], v[102:103]
	v_fma_f64 v[98:99], v[93:94], v[125:126], -v[98:99]
	v_mul_f64 v[93:94], v[93:94], v[102:103]
	v_add_f64 v[85:86], v[85:86], -v[98:99]
	v_fma_f64 v[93:94], v[95:96], v[125:126], v[93:94]
	v_add_f64 v[87:88], v[87:88], -v[93:94]
	ds_read2_b64 v[93:96], v90 offset0:50 offset1:51
	s_waitcnt lgkmcnt(0)
	v_mul_f64 v[98:99], v[95:96], v[102:103]
	v_fma_f64 v[98:99], v[93:94], v[125:126], -v[98:99]
	v_mul_f64 v[93:94], v[93:94], v[102:103]
	v_add_f64 v[111:112], v[111:112], -v[98:99]
	v_fma_f64 v[93:94], v[95:96], v[125:126], v[93:94]
	v_add_f64 v[113:114], v[113:114], -v[93:94]
	ds_read2_b64 v[93:96], v90 offset0:52 offset1:53
	buffer_load_dword v81, off, s[24:27], 0 ; 4-byte Folded Reload
	buffer_load_dword v82, off, s[24:27], 0 offset:4 ; 4-byte Folded Reload
	buffer_load_dword v83, off, s[24:27], 0 offset:8 ; 4-byte Folded Reload
	;; [unrolled: 1-line block ×3, first 2 shown]
	s_waitcnt lgkmcnt(0)
	v_mul_f64 v[98:99], v[95:96], v[102:103]
	v_fma_f64 v[98:99], v[93:94], v[125:126], -v[98:99]
	v_mul_f64 v[93:94], v[93:94], v[102:103]
	v_fma_f64 v[93:94], v[95:96], v[125:126], v[93:94]
	s_waitcnt vmcnt(2)
	v_add_f64 v[81:82], v[81:82], -v[98:99]
	s_waitcnt vmcnt(0)
	v_add_f64 v[83:84], v[83:84], -v[93:94]
	buffer_store_dword v81, off, s[24:27], 0 ; 4-byte Folded Spill
	s_nop 0
	buffer_store_dword v82, off, s[24:27], 0 offset:4 ; 4-byte Folded Spill
	buffer_store_dword v83, off, s[24:27], 0 offset:8 ; 4-byte Folded Spill
	buffer_store_dword v84, off, s[24:27], 0 offset:12 ; 4-byte Folded Spill
	ds_read2_b64 v[93:96], v90 offset0:54 offset1:55
	s_waitcnt lgkmcnt(0)
	v_mul_f64 v[98:99], v[95:96], v[102:103]
	v_fma_f64 v[98:99], v[93:94], v[125:126], -v[98:99]
	v_mul_f64 v[93:94], v[93:94], v[102:103]
	v_add_f64 v[77:78], v[77:78], -v[98:99]
	v_fma_f64 v[93:94], v[95:96], v[125:126], v[93:94]
	v_add_f64 v[79:80], v[79:80], -v[93:94]
	ds_read2_b64 v[93:96], v90 offset0:56 offset1:57
	s_waitcnt lgkmcnt(0)
	v_mul_f64 v[98:99], v[95:96], v[102:103]
	v_fma_f64 v[98:99], v[93:94], v[125:126], -v[98:99]
	v_mul_f64 v[93:94], v[93:94], v[102:103]
	v_add_f64 v[73:74], v[73:74], -v[98:99]
	v_fma_f64 v[93:94], v[95:96], v[125:126], v[93:94]
	v_add_f64 v[75:76], v[75:76], -v[93:94]
	;; [unrolled: 8-line block ×19, first 2 shown]
	ds_read2_b64 v[93:96], v90 offset0:92 offset1:93
	s_waitcnt lgkmcnt(0)
	v_mul_f64 v[98:99], v[95:96], v[102:103]
	v_fma_f64 v[98:99], v[93:94], v[125:126], -v[98:99]
	v_mul_f64 v[93:94], v[93:94], v[102:103]
	v_add_f64 v[1:2], v[1:2], -v[98:99]
	v_fma_f64 v[93:94], v[95:96], v[125:126], v[93:94]
	ds_read2_b64 v[98:101], v90 offset0:94 offset1:95
	s_waitcnt lgkmcnt(0)
	v_mul_f64 v[95:96], v[98:99], v[102:103]
	v_add_f64 v[3:4], v[3:4], -v[93:94]
	v_mul_f64 v[93:94], v[100:101], v[102:103]
	v_fma_f64 v[95:96], v[100:101], v[125:126], v[95:96]
	v_mov_b32_e32 v100, v125
	v_mov_b32_e32 v101, v126
	v_fma_f64 v[93:94], v[98:99], v[125:126], -v[93:94]
	buffer_store_dword v100, off, s[24:27], 0 offset:376 ; 4-byte Folded Spill
	s_nop 0
	buffer_store_dword v101, off, s[24:27], 0 offset:380 ; 4-byte Folded Spill
	buffer_store_dword v102, off, s[24:27], 0 offset:384 ; 4-byte Folded Spill
	;; [unrolled: 1-line block ×3, first 2 shown]
	v_add_f64 v[123:124], v[123:124], -v[95:96]
	v_add_f64 v[121:122], v[121:122], -v[93:94]
.LBB94_41:
	s_or_b64 exec, exec, s[0:1]
	s_waitcnt vmcnt(0)
	s_barrier
	buffer_load_dword v81, off, s[24:27], 0 offset:360 ; 4-byte Folded Reload
	buffer_load_dword v82, off, s[24:27], 0 offset:364 ; 4-byte Folded Reload
	;; [unrolled: 1-line block ×4, first 2 shown]
	v_lshl_add_u32 v93, v92, 4, v90
	s_cmp_lt_i32 s3, 4
	s_waitcnt vmcnt(0)
	ds_write2_b64 v93, v[81:82], v[83:84] offset1:1
	s_waitcnt lgkmcnt(0)
	s_barrier
	ds_read2_b64 v[117:120], v90 offset0:4 offset1:5
	v_mov_b32_e32 v93, 2
	s_cbranch_scc1 .LBB94_44
; %bb.42:
	v_add3_u32 v94, v97, 0, 48
	s_mov_b32 s0, 3
	v_mov_b32_e32 v93, 2
.LBB94_43:                              ; =>This Inner Loop Header: Depth=1
	s_waitcnt lgkmcnt(0)
	v_cmp_gt_f64_e32 vcc, 0, v[117:118]
	v_xor_b32_e32 v95, 0x80000000, v118
	ds_read2_b64 v[98:101], v94 offset1:1
	v_xor_b32_e32 v102, 0x80000000, v120
	v_add_u32_e32 v94, 16, v94
	s_waitcnt lgkmcnt(0)
	v_xor_b32_e32 v104, 0x80000000, v101
	v_cndmask_b32_e32 v96, v118, v95, vcc
	v_cmp_gt_f64_e32 vcc, 0, v[119:120]
	v_mov_b32_e32 v95, v117
	v_cndmask_b32_e32 v103, v120, v102, vcc
	v_cmp_gt_f64_e32 vcc, 0, v[98:99]
	v_mov_b32_e32 v102, v119
	v_add_f64 v[95:96], v[95:96], v[102:103]
	v_xor_b32_e32 v102, 0x80000000, v99
	v_cndmask_b32_e32 v103, v99, v102, vcc
	v_cmp_gt_f64_e32 vcc, 0, v[100:101]
	v_mov_b32_e32 v102, v98
	v_cndmask_b32_e32 v105, v101, v104, vcc
	v_mov_b32_e32 v104, v100
	v_add_f64 v[102:103], v[102:103], v[104:105]
	v_cmp_lt_f64_e32 vcc, v[95:96], v[102:103]
	v_mov_b32_e32 v95, s0
	s_add_i32 s0, s0, 1
	s_cmp_lg_u32 s3, s0
	v_cndmask_b32_e32 v118, v118, v99, vcc
	v_cndmask_b32_e32 v117, v117, v98, vcc
	;; [unrolled: 1-line block ×5, first 2 shown]
	s_cbranch_scc1 .LBB94_43
.LBB94_44:
	s_waitcnt lgkmcnt(0)
	v_cmp_eq_f64_e32 vcc, 0, v[117:118]
	v_cmp_eq_f64_e64 s[0:1], 0, v[119:120]
	s_and_b64 s[0:1], vcc, s[0:1]
	s_and_saveexec_b64 s[18:19], s[0:1]
	s_xor_b64 s[0:1], exec, s[18:19]
; %bb.45:
	v_cmp_ne_u32_e32 vcc, 0, v91
	v_cndmask_b32_e32 v91, 3, v91, vcc
; %bb.46:
	s_andn2_saveexec_b64 s[0:1], s[0:1]
	s_cbranch_execz .LBB94_52
; %bb.47:
	v_cmp_ngt_f64_e64 s[18:19], |v[117:118]|, |v[119:120]|
	s_and_saveexec_b64 s[20:21], s[18:19]
	s_xor_b64 s[18:19], exec, s[20:21]
	s_cbranch_execz .LBB94_49
; %bb.48:
	v_div_scale_f64 v[94:95], s[20:21], v[119:120], v[119:120], v[117:118]
	v_rcp_f64_e32 v[98:99], v[94:95]
	v_fma_f64 v[100:101], -v[94:95], v[98:99], 1.0
	v_fma_f64 v[98:99], v[98:99], v[100:101], v[98:99]
	v_div_scale_f64 v[100:101], vcc, v[117:118], v[119:120], v[117:118]
	v_fma_f64 v[102:103], -v[94:95], v[98:99], 1.0
	v_fma_f64 v[98:99], v[98:99], v[102:103], v[98:99]
	v_mul_f64 v[102:103], v[100:101], v[98:99]
	v_fma_f64 v[94:95], -v[94:95], v[102:103], v[100:101]
	v_div_fmas_f64 v[94:95], v[94:95], v[98:99], v[102:103]
	v_div_fixup_f64 v[94:95], v[94:95], v[119:120], v[117:118]
	v_fma_f64 v[98:99], v[117:118], v[94:95], v[119:120]
	v_div_scale_f64 v[100:101], s[20:21], v[98:99], v[98:99], 1.0
	v_div_scale_f64 v[106:107], vcc, 1.0, v[98:99], 1.0
	v_rcp_f64_e32 v[102:103], v[100:101]
	v_fma_f64 v[104:105], -v[100:101], v[102:103], 1.0
	v_fma_f64 v[102:103], v[102:103], v[104:105], v[102:103]
	v_fma_f64 v[104:105], -v[100:101], v[102:103], 1.0
	v_fma_f64 v[102:103], v[102:103], v[104:105], v[102:103]
	v_mul_f64 v[104:105], v[106:107], v[102:103]
	v_fma_f64 v[100:101], -v[100:101], v[104:105], v[106:107]
	v_div_fmas_f64 v[100:101], v[100:101], v[102:103], v[104:105]
	v_div_fixup_f64 v[119:120], v[100:101], v[98:99], 1.0
	v_mul_f64 v[117:118], v[94:95], v[119:120]
	v_xor_b32_e32 v120, 0x80000000, v120
.LBB94_49:
	s_andn2_saveexec_b64 s[18:19], s[18:19]
	s_cbranch_execz .LBB94_51
; %bb.50:
	v_div_scale_f64 v[94:95], s[20:21], v[117:118], v[117:118], v[119:120]
	v_rcp_f64_e32 v[98:99], v[94:95]
	v_fma_f64 v[100:101], -v[94:95], v[98:99], 1.0
	v_fma_f64 v[98:99], v[98:99], v[100:101], v[98:99]
	v_div_scale_f64 v[100:101], vcc, v[119:120], v[117:118], v[119:120]
	v_fma_f64 v[102:103], -v[94:95], v[98:99], 1.0
	v_fma_f64 v[98:99], v[98:99], v[102:103], v[98:99]
	v_mul_f64 v[102:103], v[100:101], v[98:99]
	v_fma_f64 v[94:95], -v[94:95], v[102:103], v[100:101]
	v_div_fmas_f64 v[94:95], v[94:95], v[98:99], v[102:103]
	v_div_fixup_f64 v[94:95], v[94:95], v[117:118], v[119:120]
	v_fma_f64 v[98:99], v[119:120], v[94:95], v[117:118]
	v_div_scale_f64 v[100:101], s[20:21], v[98:99], v[98:99], 1.0
	v_div_scale_f64 v[106:107], vcc, 1.0, v[98:99], 1.0
	v_rcp_f64_e32 v[102:103], v[100:101]
	v_fma_f64 v[104:105], -v[100:101], v[102:103], 1.0
	v_fma_f64 v[102:103], v[102:103], v[104:105], v[102:103]
	v_fma_f64 v[104:105], -v[100:101], v[102:103], 1.0
	v_fma_f64 v[102:103], v[102:103], v[104:105], v[102:103]
	v_mul_f64 v[104:105], v[106:107], v[102:103]
	v_fma_f64 v[100:101], -v[100:101], v[104:105], v[106:107]
	v_div_fmas_f64 v[100:101], v[100:101], v[102:103], v[104:105]
	v_div_fixup_f64 v[117:118], v[100:101], v[98:99], 1.0
	v_mul_f64 v[119:120], v[94:95], -v[117:118]
.LBB94_51:
	s_or_b64 exec, exec, s[18:19]
.LBB94_52:
	s_or_b64 exec, exec, s[0:1]
	v_cmp_ne_u32_e32 vcc, v92, v93
	s_and_saveexec_b64 s[0:1], vcc
	s_xor_b64 s[0:1], exec, s[0:1]
	s_cbranch_execz .LBB94_58
; %bb.53:
	v_cmp_eq_u32_e32 vcc, 2, v92
	s_and_saveexec_b64 s[18:19], vcc
	s_cbranch_execz .LBB94_57
; %bb.54:
	v_cmp_ne_u32_e32 vcc, 2, v93
	s_xor_b64 s[20:21], s[6:7], -1
	s_and_b64 s[22:23], s[20:21], vcc
	s_and_saveexec_b64 s[20:21], s[22:23]
	s_cbranch_execz .LBB94_56
; %bb.55:
	v_mov_b32_e32 v81, v85
	v_mov_b32_e32 v82, v86
	;; [unrolled: 1-line block ×4, first 2 shown]
	buffer_load_dword v85, off, s[24:27], 0 offset:352 ; 4-byte Folded Reload
	buffer_load_dword v86, off, s[24:27], 0 offset:356 ; 4-byte Folded Reload
	v_ashrrev_i32_e32 v94, 31, v93
	v_lshlrev_b64 v[94:95], 2, v[93:94]
	s_waitcnt vmcnt(1)
	v_add_co_u32_e32 v94, vcc, v85, v94
	s_waitcnt vmcnt(0)
	v_addc_co_u32_e32 v95, vcc, v86, v95, vcc
	global_load_dword v0, v[94:95], off
	global_load_dword v92, v[85:86], off offset:8
	s_waitcnt vmcnt(1)
	global_store_dword v[85:86], v0, off offset:8
	v_mov_b32_e32 v88, v84
	v_mov_b32_e32 v87, v83
	;; [unrolled: 1-line block ×4, first 2 shown]
	s_waitcnt vmcnt(1)
	global_store_dword v[94:95], v92, off
.LBB94_56:
	s_or_b64 exec, exec, s[20:21]
	v_mov_b32_e32 v92, v93
	v_mov_b32_e32 v0, v93
.LBB94_57:
	s_or_b64 exec, exec, s[18:19]
.LBB94_58:
	s_andn2_saveexec_b64 s[0:1], s[0:1]
	s_cbranch_execz .LBB94_60
; %bb.59:
	buffer_load_dword v81, off, s[24:27], 0 offset:336 ; 4-byte Folded Reload
	buffer_load_dword v82, off, s[24:27], 0 offset:340 ; 4-byte Folded Reload
	;; [unrolled: 1-line block ×4, first 2 shown]
	v_mov_b32_e32 v92, 2
	s_waitcnt vmcnt(0)
	ds_write2_b64 v90, v[81:82], v[83:84] offset0:6 offset1:7
	buffer_load_dword v81, off, s[24:27], 0 offset:320 ; 4-byte Folded Reload
	buffer_load_dword v82, off, s[24:27], 0 offset:324 ; 4-byte Folded Reload
	buffer_load_dword v83, off, s[24:27], 0 offset:328 ; 4-byte Folded Reload
	buffer_load_dword v84, off, s[24:27], 0 offset:332 ; 4-byte Folded Reload
	s_waitcnt vmcnt(0)
	ds_write2_b64 v90, v[81:82], v[83:84] offset0:8 offset1:9
	buffer_load_dword v81, off, s[24:27], 0 offset:304 ; 4-byte Folded Reload
	buffer_load_dword v82, off, s[24:27], 0 offset:308 ; 4-byte Folded Reload
	buffer_load_dword v83, off, s[24:27], 0 offset:312 ; 4-byte Folded Reload
	buffer_load_dword v84, off, s[24:27], 0 offset:316 ; 4-byte Folded Reload
	;; [unrolled: 6-line block ×20, first 2 shown]
	s_waitcnt vmcnt(0)
	ds_write2_b64 v90, v[81:82], v[83:84] offset0:46 offset1:47
	ds_write2_b64 v90, v[85:86], v[87:88] offset0:48 offset1:49
	;; [unrolled: 1-line block ×3, first 2 shown]
	buffer_load_dword v81, off, s[24:27], 0 ; 4-byte Folded Reload
	buffer_load_dword v82, off, s[24:27], 0 offset:4 ; 4-byte Folded Reload
	buffer_load_dword v83, off, s[24:27], 0 offset:8 ; 4-byte Folded Reload
	;; [unrolled: 1-line block ×3, first 2 shown]
	s_waitcnt vmcnt(0)
	ds_write2_b64 v90, v[81:82], v[83:84] offset0:52 offset1:53
	ds_write2_b64 v90, v[77:78], v[79:80] offset0:54 offset1:55
	;; [unrolled: 1-line block ×22, first 2 shown]
.LBB94_60:
	s_or_b64 exec, exec, s[0:1]
	v_cmp_lt_i32_e32 vcc, 2, v92
	s_waitcnt vmcnt(0) lgkmcnt(0)
	s_barrier
	s_and_saveexec_b64 s[0:1], vcc
	s_cbranch_execz .LBB94_62
; %bb.61:
	buffer_load_dword v100, off, s[24:27], 0 offset:360 ; 4-byte Folded Reload
	buffer_load_dword v101, off, s[24:27], 0 offset:364 ; 4-byte Folded Reload
	;; [unrolled: 1-line block ×4, first 2 shown]
	s_waitcnt vmcnt(0)
	v_mul_f64 v[93:94], v[119:120], v[102:103]
	v_fma_f64 v[125:126], v[117:118], v[100:101], -v[93:94]
	v_mul_f64 v[93:94], v[117:118], v[102:103]
	v_fma_f64 v[102:103], v[119:120], v[100:101], v[93:94]
	ds_read2_b64 v[93:96], v90 offset0:6 offset1:7
	buffer_load_dword v81, off, s[24:27], 0 offset:336 ; 4-byte Folded Reload
	buffer_load_dword v82, off, s[24:27], 0 offset:340 ; 4-byte Folded Reload
	buffer_load_dword v83, off, s[24:27], 0 offset:344 ; 4-byte Folded Reload
	buffer_load_dword v84, off, s[24:27], 0 offset:348 ; 4-byte Folded Reload
	s_waitcnt lgkmcnt(0)
	v_mul_f64 v[98:99], v[95:96], v[102:103]
	v_fma_f64 v[98:99], v[93:94], v[125:126], -v[98:99]
	v_mul_f64 v[93:94], v[93:94], v[102:103]
	v_fma_f64 v[93:94], v[95:96], v[125:126], v[93:94]
	s_waitcnt vmcnt(2)
	v_add_f64 v[81:82], v[81:82], -v[98:99]
	s_waitcnt vmcnt(0)
	v_add_f64 v[83:84], v[83:84], -v[93:94]
	buffer_store_dword v81, off, s[24:27], 0 offset:336 ; 4-byte Folded Spill
	s_nop 0
	buffer_store_dword v82, off, s[24:27], 0 offset:340 ; 4-byte Folded Spill
	buffer_store_dword v83, off, s[24:27], 0 offset:344 ; 4-byte Folded Spill
	buffer_store_dword v84, off, s[24:27], 0 offset:348 ; 4-byte Folded Spill
	ds_read2_b64 v[93:96], v90 offset0:8 offset1:9
	buffer_load_dword v81, off, s[24:27], 0 offset:320 ; 4-byte Folded Reload
	buffer_load_dword v82, off, s[24:27], 0 offset:324 ; 4-byte Folded Reload
	buffer_load_dword v83, off, s[24:27], 0 offset:328 ; 4-byte Folded Reload
	buffer_load_dword v84, off, s[24:27], 0 offset:332 ; 4-byte Folded Reload
	s_waitcnt lgkmcnt(0)
	v_mul_f64 v[98:99], v[95:96], v[102:103]
	v_fma_f64 v[98:99], v[93:94], v[125:126], -v[98:99]
	v_mul_f64 v[93:94], v[93:94], v[102:103]
	v_fma_f64 v[93:94], v[95:96], v[125:126], v[93:94]
	s_waitcnt vmcnt(2)
	v_add_f64 v[81:82], v[81:82], -v[98:99]
	s_waitcnt vmcnt(0)
	v_add_f64 v[83:84], v[83:84], -v[93:94]
	buffer_store_dword v81, off, s[24:27], 0 offset:320 ; 4-byte Folded Spill
	s_nop 0
	buffer_store_dword v82, off, s[24:27], 0 offset:324 ; 4-byte Folded Spill
	buffer_store_dword v83, off, s[24:27], 0 offset:328 ; 4-byte Folded Spill
	buffer_store_dword v84, off, s[24:27], 0 offset:332 ; 4-byte Folded Spill
	;; [unrolled: 19-line block ×21, first 2 shown]
	ds_read2_b64 v[93:96], v90 offset0:48 offset1:49
	s_waitcnt lgkmcnt(0)
	v_mul_f64 v[98:99], v[95:96], v[102:103]
	v_fma_f64 v[98:99], v[93:94], v[125:126], -v[98:99]
	v_mul_f64 v[93:94], v[93:94], v[102:103]
	v_add_f64 v[85:86], v[85:86], -v[98:99]
	v_fma_f64 v[93:94], v[95:96], v[125:126], v[93:94]
	v_add_f64 v[87:88], v[87:88], -v[93:94]
	ds_read2_b64 v[93:96], v90 offset0:50 offset1:51
	s_waitcnt lgkmcnt(0)
	v_mul_f64 v[98:99], v[95:96], v[102:103]
	v_fma_f64 v[98:99], v[93:94], v[125:126], -v[98:99]
	v_mul_f64 v[93:94], v[93:94], v[102:103]
	v_add_f64 v[111:112], v[111:112], -v[98:99]
	v_fma_f64 v[93:94], v[95:96], v[125:126], v[93:94]
	v_add_f64 v[113:114], v[113:114], -v[93:94]
	ds_read2_b64 v[93:96], v90 offset0:52 offset1:53
	buffer_load_dword v81, off, s[24:27], 0 ; 4-byte Folded Reload
	buffer_load_dword v82, off, s[24:27], 0 offset:4 ; 4-byte Folded Reload
	buffer_load_dword v83, off, s[24:27], 0 offset:8 ; 4-byte Folded Reload
	;; [unrolled: 1-line block ×3, first 2 shown]
	s_waitcnt lgkmcnt(0)
	v_mul_f64 v[98:99], v[95:96], v[102:103]
	v_fma_f64 v[98:99], v[93:94], v[125:126], -v[98:99]
	v_mul_f64 v[93:94], v[93:94], v[102:103]
	v_fma_f64 v[93:94], v[95:96], v[125:126], v[93:94]
	s_waitcnt vmcnt(2)
	v_add_f64 v[81:82], v[81:82], -v[98:99]
	s_waitcnt vmcnt(0)
	v_add_f64 v[83:84], v[83:84], -v[93:94]
	buffer_store_dword v81, off, s[24:27], 0 ; 4-byte Folded Spill
	s_nop 0
	buffer_store_dword v82, off, s[24:27], 0 offset:4 ; 4-byte Folded Spill
	buffer_store_dword v83, off, s[24:27], 0 offset:8 ; 4-byte Folded Spill
	buffer_store_dword v84, off, s[24:27], 0 offset:12 ; 4-byte Folded Spill
	ds_read2_b64 v[93:96], v90 offset0:54 offset1:55
	s_waitcnt lgkmcnt(0)
	v_mul_f64 v[98:99], v[95:96], v[102:103]
	v_fma_f64 v[98:99], v[93:94], v[125:126], -v[98:99]
	v_mul_f64 v[93:94], v[93:94], v[102:103]
	v_add_f64 v[77:78], v[77:78], -v[98:99]
	v_fma_f64 v[93:94], v[95:96], v[125:126], v[93:94]
	v_add_f64 v[79:80], v[79:80], -v[93:94]
	ds_read2_b64 v[93:96], v90 offset0:56 offset1:57
	s_waitcnt lgkmcnt(0)
	v_mul_f64 v[98:99], v[95:96], v[102:103]
	v_fma_f64 v[98:99], v[93:94], v[125:126], -v[98:99]
	v_mul_f64 v[93:94], v[93:94], v[102:103]
	v_add_f64 v[73:74], v[73:74], -v[98:99]
	v_fma_f64 v[93:94], v[95:96], v[125:126], v[93:94]
	v_add_f64 v[75:76], v[75:76], -v[93:94]
	;; [unrolled: 8-line block ×19, first 2 shown]
	ds_read2_b64 v[93:96], v90 offset0:92 offset1:93
	s_waitcnt lgkmcnt(0)
	v_mul_f64 v[98:99], v[95:96], v[102:103]
	v_fma_f64 v[98:99], v[93:94], v[125:126], -v[98:99]
	v_mul_f64 v[93:94], v[93:94], v[102:103]
	v_add_f64 v[1:2], v[1:2], -v[98:99]
	v_fma_f64 v[93:94], v[95:96], v[125:126], v[93:94]
	ds_read2_b64 v[98:101], v90 offset0:94 offset1:95
	s_waitcnt lgkmcnt(0)
	v_mul_f64 v[95:96], v[98:99], v[102:103]
	v_add_f64 v[3:4], v[3:4], -v[93:94]
	v_mul_f64 v[93:94], v[100:101], v[102:103]
	v_fma_f64 v[95:96], v[100:101], v[125:126], v[95:96]
	v_mov_b32_e32 v100, v125
	v_mov_b32_e32 v101, v126
	v_fma_f64 v[93:94], v[98:99], v[125:126], -v[93:94]
	buffer_store_dword v100, off, s[24:27], 0 offset:360 ; 4-byte Folded Spill
	s_nop 0
	buffer_store_dword v101, off, s[24:27], 0 offset:364 ; 4-byte Folded Spill
	buffer_store_dword v102, off, s[24:27], 0 offset:368 ; 4-byte Folded Spill
	buffer_store_dword v103, off, s[24:27], 0 offset:372 ; 4-byte Folded Spill
	v_add_f64 v[123:124], v[123:124], -v[95:96]
	v_add_f64 v[121:122], v[121:122], -v[93:94]
.LBB94_62:
	s_or_b64 exec, exec, s[0:1]
	s_waitcnt vmcnt(0)
	s_barrier
	buffer_load_dword v81, off, s[24:27], 0 offset:336 ; 4-byte Folded Reload
	buffer_load_dword v82, off, s[24:27], 0 offset:340 ; 4-byte Folded Reload
	;; [unrolled: 1-line block ×4, first 2 shown]
	v_lshl_add_u32 v93, v92, 4, v90
	s_mov_b32 s0, 4
	s_cmp_lt_i32 s3, 5
	s_waitcnt vmcnt(0)
	ds_write2_b64 v93, v[81:82], v[83:84] offset1:1
	s_waitcnt lgkmcnt(0)
	s_barrier
	ds_read2_b64 v[117:120], v90 offset0:6 offset1:7
	v_mov_b32_e32 v93, 3
	s_cbranch_scc1 .LBB94_65
; %bb.63:
	v_add3_u32 v94, v97, 0, 64
	v_mov_b32_e32 v93, 3
.LBB94_64:                              ; =>This Inner Loop Header: Depth=1
	s_waitcnt lgkmcnt(0)
	v_cmp_gt_f64_e32 vcc, 0, v[117:118]
	v_xor_b32_e32 v99, 0x80000000, v118
	ds_read2_b64 v[95:98], v94 offset1:1
	v_xor_b32_e32 v101, 0x80000000, v120
	v_add_u32_e32 v94, 16, v94
	s_waitcnt lgkmcnt(0)
	v_xor_b32_e32 v103, 0x80000000, v98
	v_cndmask_b32_e32 v100, v118, v99, vcc
	v_cmp_gt_f64_e32 vcc, 0, v[119:120]
	v_mov_b32_e32 v99, v117
	v_cndmask_b32_e32 v102, v120, v101, vcc
	v_cmp_gt_f64_e32 vcc, 0, v[95:96]
	v_mov_b32_e32 v101, v119
	v_add_f64 v[99:100], v[99:100], v[101:102]
	v_xor_b32_e32 v101, 0x80000000, v96
	v_cndmask_b32_e32 v102, v96, v101, vcc
	v_cmp_gt_f64_e32 vcc, 0, v[97:98]
	v_mov_b32_e32 v101, v95
	v_cndmask_b32_e32 v104, v98, v103, vcc
	v_mov_b32_e32 v103, v97
	v_add_f64 v[101:102], v[101:102], v[103:104]
	v_cmp_lt_f64_e32 vcc, v[99:100], v[101:102]
	v_cndmask_b32_e32 v117, v117, v95, vcc
	v_mov_b32_e32 v95, s0
	s_add_i32 s0, s0, 1
	v_cndmask_b32_e32 v118, v118, v96, vcc
	v_cndmask_b32_e32 v120, v120, v98, vcc
	;; [unrolled: 1-line block ×4, first 2 shown]
	s_cmp_lg_u32 s3, s0
	s_cbranch_scc1 .LBB94_64
.LBB94_65:
	s_waitcnt lgkmcnt(0)
	v_cmp_eq_f64_e32 vcc, 0, v[117:118]
	v_cmp_eq_f64_e64 s[0:1], 0, v[119:120]
	s_and_b64 s[0:1], vcc, s[0:1]
	s_and_saveexec_b64 s[18:19], s[0:1]
	s_xor_b64 s[0:1], exec, s[18:19]
; %bb.66:
	v_cmp_ne_u32_e32 vcc, 0, v91
	v_cndmask_b32_e32 v91, 4, v91, vcc
; %bb.67:
	s_andn2_saveexec_b64 s[0:1], s[0:1]
	s_cbranch_execz .LBB94_73
; %bb.68:
	v_cmp_ngt_f64_e64 s[18:19], |v[117:118]|, |v[119:120]|
	s_and_saveexec_b64 s[20:21], s[18:19]
	s_xor_b64 s[18:19], exec, s[20:21]
	s_cbranch_execz .LBB94_70
; %bb.69:
	v_div_scale_f64 v[94:95], s[20:21], v[119:120], v[119:120], v[117:118]
	v_rcp_f64_e32 v[96:97], v[94:95]
	v_fma_f64 v[98:99], -v[94:95], v[96:97], 1.0
	v_fma_f64 v[96:97], v[96:97], v[98:99], v[96:97]
	v_div_scale_f64 v[98:99], vcc, v[117:118], v[119:120], v[117:118]
	v_fma_f64 v[100:101], -v[94:95], v[96:97], 1.0
	v_fma_f64 v[96:97], v[96:97], v[100:101], v[96:97]
	v_mul_f64 v[100:101], v[98:99], v[96:97]
	v_fma_f64 v[94:95], -v[94:95], v[100:101], v[98:99]
	v_div_fmas_f64 v[94:95], v[94:95], v[96:97], v[100:101]
	v_div_fixup_f64 v[94:95], v[94:95], v[119:120], v[117:118]
	v_fma_f64 v[96:97], v[117:118], v[94:95], v[119:120]
	v_div_scale_f64 v[98:99], s[20:21], v[96:97], v[96:97], 1.0
	v_div_scale_f64 v[104:105], vcc, 1.0, v[96:97], 1.0
	v_rcp_f64_e32 v[100:101], v[98:99]
	v_fma_f64 v[102:103], -v[98:99], v[100:101], 1.0
	v_fma_f64 v[100:101], v[100:101], v[102:103], v[100:101]
	v_fma_f64 v[102:103], -v[98:99], v[100:101], 1.0
	v_fma_f64 v[100:101], v[100:101], v[102:103], v[100:101]
	v_mul_f64 v[102:103], v[104:105], v[100:101]
	v_fma_f64 v[98:99], -v[98:99], v[102:103], v[104:105]
	v_div_fmas_f64 v[98:99], v[98:99], v[100:101], v[102:103]
	v_div_fixup_f64 v[119:120], v[98:99], v[96:97], 1.0
	v_mul_f64 v[117:118], v[94:95], v[119:120]
	v_xor_b32_e32 v120, 0x80000000, v120
.LBB94_70:
	s_andn2_saveexec_b64 s[18:19], s[18:19]
	s_cbranch_execz .LBB94_72
; %bb.71:
	v_div_scale_f64 v[94:95], s[20:21], v[117:118], v[117:118], v[119:120]
	v_rcp_f64_e32 v[96:97], v[94:95]
	v_fma_f64 v[98:99], -v[94:95], v[96:97], 1.0
	v_fma_f64 v[96:97], v[96:97], v[98:99], v[96:97]
	v_div_scale_f64 v[98:99], vcc, v[119:120], v[117:118], v[119:120]
	v_fma_f64 v[100:101], -v[94:95], v[96:97], 1.0
	v_fma_f64 v[96:97], v[96:97], v[100:101], v[96:97]
	v_mul_f64 v[100:101], v[98:99], v[96:97]
	v_fma_f64 v[94:95], -v[94:95], v[100:101], v[98:99]
	v_div_fmas_f64 v[94:95], v[94:95], v[96:97], v[100:101]
	v_div_fixup_f64 v[94:95], v[94:95], v[117:118], v[119:120]
	v_fma_f64 v[96:97], v[119:120], v[94:95], v[117:118]
	v_div_scale_f64 v[98:99], s[20:21], v[96:97], v[96:97], 1.0
	v_div_scale_f64 v[104:105], vcc, 1.0, v[96:97], 1.0
	v_rcp_f64_e32 v[100:101], v[98:99]
	v_fma_f64 v[102:103], -v[98:99], v[100:101], 1.0
	v_fma_f64 v[100:101], v[100:101], v[102:103], v[100:101]
	v_fma_f64 v[102:103], -v[98:99], v[100:101], 1.0
	v_fma_f64 v[100:101], v[100:101], v[102:103], v[100:101]
	v_mul_f64 v[102:103], v[104:105], v[100:101]
	v_fma_f64 v[98:99], -v[98:99], v[102:103], v[104:105]
	v_div_fmas_f64 v[98:99], v[98:99], v[100:101], v[102:103]
	v_div_fixup_f64 v[117:118], v[98:99], v[96:97], 1.0
	v_mul_f64 v[119:120], v[94:95], -v[117:118]
.LBB94_72:
	s_or_b64 exec, exec, s[18:19]
.LBB94_73:
	s_or_b64 exec, exec, s[0:1]
	v_cmp_ne_u32_e32 vcc, v92, v93
	s_and_saveexec_b64 s[0:1], vcc
	s_xor_b64 s[0:1], exec, s[0:1]
	s_cbranch_execz .LBB94_79
; %bb.74:
	v_cmp_eq_u32_e32 vcc, 3, v92
	s_and_saveexec_b64 s[18:19], vcc
	s_cbranch_execz .LBB94_78
; %bb.75:
	v_cmp_ne_u32_e32 vcc, 3, v93
	s_xor_b64 s[20:21], s[6:7], -1
	s_and_b64 s[22:23], s[20:21], vcc
	s_and_saveexec_b64 s[20:21], s[22:23]
	s_cbranch_execz .LBB94_77
; %bb.76:
	v_mov_b32_e32 v81, v85
	v_mov_b32_e32 v82, v86
	;; [unrolled: 1-line block ×4, first 2 shown]
	buffer_load_dword v85, off, s[24:27], 0 offset:352 ; 4-byte Folded Reload
	buffer_load_dword v86, off, s[24:27], 0 offset:356 ; 4-byte Folded Reload
	v_ashrrev_i32_e32 v94, 31, v93
	v_lshlrev_b64 v[94:95], 2, v[93:94]
	s_waitcnt vmcnt(1)
	v_add_co_u32_e32 v94, vcc, v85, v94
	s_waitcnt vmcnt(0)
	v_addc_co_u32_e32 v95, vcc, v86, v95, vcc
	global_load_dword v0, v[94:95], off
	global_load_dword v92, v[85:86], off offset:12
	s_waitcnt vmcnt(1)
	global_store_dword v[85:86], v0, off offset:12
	v_mov_b32_e32 v88, v84
	v_mov_b32_e32 v87, v83
	;; [unrolled: 1-line block ×4, first 2 shown]
	s_waitcnt vmcnt(1)
	global_store_dword v[94:95], v92, off
.LBB94_77:
	s_or_b64 exec, exec, s[20:21]
	v_mov_b32_e32 v92, v93
	v_mov_b32_e32 v0, v93
.LBB94_78:
	s_or_b64 exec, exec, s[18:19]
.LBB94_79:
	s_andn2_saveexec_b64 s[0:1], s[0:1]
	s_cbranch_execz .LBB94_81
; %bb.80:
	buffer_load_dword v81, off, s[24:27], 0 offset:320 ; 4-byte Folded Reload
	buffer_load_dword v82, off, s[24:27], 0 offset:324 ; 4-byte Folded Reload
	;; [unrolled: 1-line block ×4, first 2 shown]
	v_mov_b32_e32 v92, 3
	s_waitcnt vmcnt(0)
	ds_write2_b64 v90, v[81:82], v[83:84] offset0:8 offset1:9
	buffer_load_dword v81, off, s[24:27], 0 offset:304 ; 4-byte Folded Reload
	buffer_load_dword v82, off, s[24:27], 0 offset:308 ; 4-byte Folded Reload
	buffer_load_dword v83, off, s[24:27], 0 offset:312 ; 4-byte Folded Reload
	buffer_load_dword v84, off, s[24:27], 0 offset:316 ; 4-byte Folded Reload
	s_waitcnt vmcnt(0)
	ds_write2_b64 v90, v[81:82], v[83:84] offset0:10 offset1:11
	buffer_load_dword v81, off, s[24:27], 0 offset:288 ; 4-byte Folded Reload
	buffer_load_dword v82, off, s[24:27], 0 offset:292 ; 4-byte Folded Reload
	buffer_load_dword v83, off, s[24:27], 0 offset:296 ; 4-byte Folded Reload
	buffer_load_dword v84, off, s[24:27], 0 offset:300 ; 4-byte Folded Reload
	;; [unrolled: 6-line block ×19, first 2 shown]
	s_waitcnt vmcnt(0)
	ds_write2_b64 v90, v[81:82], v[83:84] offset0:46 offset1:47
	ds_write2_b64 v90, v[85:86], v[87:88] offset0:48 offset1:49
	ds_write2_b64 v90, v[111:112], v[113:114] offset0:50 offset1:51
	buffer_load_dword v81, off, s[24:27], 0 ; 4-byte Folded Reload
	buffer_load_dword v82, off, s[24:27], 0 offset:4 ; 4-byte Folded Reload
	buffer_load_dword v83, off, s[24:27], 0 offset:8 ; 4-byte Folded Reload
	;; [unrolled: 1-line block ×3, first 2 shown]
	s_waitcnt vmcnt(0)
	ds_write2_b64 v90, v[81:82], v[83:84] offset0:52 offset1:53
	ds_write2_b64 v90, v[77:78], v[79:80] offset0:54 offset1:55
	;; [unrolled: 1-line block ×22, first 2 shown]
.LBB94_81:
	s_or_b64 exec, exec, s[0:1]
	v_cmp_lt_i32_e32 vcc, 3, v92
	s_waitcnt vmcnt(0) lgkmcnt(0)
	s_barrier
	s_and_saveexec_b64 s[0:1], vcc
	s_cbranch_execz .LBB94_83
; %bb.82:
	buffer_load_dword v97, off, s[24:27], 0 offset:336 ; 4-byte Folded Reload
	buffer_load_dword v98, off, s[24:27], 0 offset:340 ; 4-byte Folded Reload
	;; [unrolled: 1-line block ×4, first 2 shown]
	s_waitcnt vmcnt(0)
	v_mul_f64 v[93:94], v[119:120], v[99:100]
	v_fma_f64 v[125:126], v[117:118], v[97:98], -v[93:94]
	v_mul_f64 v[93:94], v[117:118], v[99:100]
	v_fma_f64 v[99:100], v[119:120], v[97:98], v[93:94]
	ds_read2_b64 v[93:96], v90 offset0:8 offset1:9
	buffer_load_dword v81, off, s[24:27], 0 offset:320 ; 4-byte Folded Reload
	buffer_load_dword v82, off, s[24:27], 0 offset:324 ; 4-byte Folded Reload
	buffer_load_dword v83, off, s[24:27], 0 offset:328 ; 4-byte Folded Reload
	buffer_load_dword v84, off, s[24:27], 0 offset:332 ; 4-byte Folded Reload
	s_waitcnt lgkmcnt(0)
	v_mul_f64 v[97:98], v[95:96], v[99:100]
	v_fma_f64 v[97:98], v[93:94], v[125:126], -v[97:98]
	v_mul_f64 v[93:94], v[93:94], v[99:100]
	v_fma_f64 v[93:94], v[95:96], v[125:126], v[93:94]
	s_waitcnt vmcnt(2)
	v_add_f64 v[81:82], v[81:82], -v[97:98]
	s_waitcnt vmcnt(0)
	v_add_f64 v[83:84], v[83:84], -v[93:94]
	buffer_store_dword v81, off, s[24:27], 0 offset:320 ; 4-byte Folded Spill
	s_nop 0
	buffer_store_dword v82, off, s[24:27], 0 offset:324 ; 4-byte Folded Spill
	buffer_store_dword v83, off, s[24:27], 0 offset:328 ; 4-byte Folded Spill
	buffer_store_dword v84, off, s[24:27], 0 offset:332 ; 4-byte Folded Spill
	ds_read2_b64 v[93:96], v90 offset0:10 offset1:11
	buffer_load_dword v81, off, s[24:27], 0 offset:304 ; 4-byte Folded Reload
	buffer_load_dword v82, off, s[24:27], 0 offset:308 ; 4-byte Folded Reload
	buffer_load_dword v83, off, s[24:27], 0 offset:312 ; 4-byte Folded Reload
	buffer_load_dword v84, off, s[24:27], 0 offset:316 ; 4-byte Folded Reload
	s_waitcnt lgkmcnt(0)
	v_mul_f64 v[97:98], v[95:96], v[99:100]
	v_fma_f64 v[97:98], v[93:94], v[125:126], -v[97:98]
	v_mul_f64 v[93:94], v[93:94], v[99:100]
	v_fma_f64 v[93:94], v[95:96], v[125:126], v[93:94]
	s_waitcnt vmcnt(2)
	v_add_f64 v[81:82], v[81:82], -v[97:98]
	s_waitcnt vmcnt(0)
	v_add_f64 v[83:84], v[83:84], -v[93:94]
	buffer_store_dword v81, off, s[24:27], 0 offset:304 ; 4-byte Folded Spill
	s_nop 0
	buffer_store_dword v82, off, s[24:27], 0 offset:308 ; 4-byte Folded Spill
	buffer_store_dword v83, off, s[24:27], 0 offset:312 ; 4-byte Folded Spill
	buffer_store_dword v84, off, s[24:27], 0 offset:316 ; 4-byte Folded Spill
	;; [unrolled: 19-line block ×20, first 2 shown]
	ds_read2_b64 v[93:96], v90 offset0:48 offset1:49
	s_waitcnt lgkmcnt(0)
	v_mul_f64 v[97:98], v[95:96], v[99:100]
	v_fma_f64 v[97:98], v[93:94], v[125:126], -v[97:98]
	v_mul_f64 v[93:94], v[93:94], v[99:100]
	v_add_f64 v[85:86], v[85:86], -v[97:98]
	v_fma_f64 v[93:94], v[95:96], v[125:126], v[93:94]
	v_add_f64 v[87:88], v[87:88], -v[93:94]
	ds_read2_b64 v[93:96], v90 offset0:50 offset1:51
	s_waitcnt lgkmcnt(0)
	v_mul_f64 v[97:98], v[95:96], v[99:100]
	v_fma_f64 v[97:98], v[93:94], v[125:126], -v[97:98]
	v_mul_f64 v[93:94], v[93:94], v[99:100]
	v_add_f64 v[111:112], v[111:112], -v[97:98]
	v_fma_f64 v[93:94], v[95:96], v[125:126], v[93:94]
	v_add_f64 v[113:114], v[113:114], -v[93:94]
	ds_read2_b64 v[93:96], v90 offset0:52 offset1:53
	buffer_load_dword v81, off, s[24:27], 0 ; 4-byte Folded Reload
	buffer_load_dword v82, off, s[24:27], 0 offset:4 ; 4-byte Folded Reload
	buffer_load_dword v83, off, s[24:27], 0 offset:8 ; 4-byte Folded Reload
	;; [unrolled: 1-line block ×3, first 2 shown]
	s_waitcnt lgkmcnt(0)
	v_mul_f64 v[97:98], v[95:96], v[99:100]
	v_fma_f64 v[97:98], v[93:94], v[125:126], -v[97:98]
	v_mul_f64 v[93:94], v[93:94], v[99:100]
	v_fma_f64 v[93:94], v[95:96], v[125:126], v[93:94]
	s_waitcnt vmcnt(2)
	v_add_f64 v[81:82], v[81:82], -v[97:98]
	s_waitcnt vmcnt(0)
	v_add_f64 v[83:84], v[83:84], -v[93:94]
	buffer_store_dword v81, off, s[24:27], 0 ; 4-byte Folded Spill
	s_nop 0
	buffer_store_dword v82, off, s[24:27], 0 offset:4 ; 4-byte Folded Spill
	buffer_store_dword v83, off, s[24:27], 0 offset:8 ; 4-byte Folded Spill
	buffer_store_dword v84, off, s[24:27], 0 offset:12 ; 4-byte Folded Spill
	ds_read2_b64 v[93:96], v90 offset0:54 offset1:55
	s_waitcnt lgkmcnt(0)
	v_mul_f64 v[97:98], v[95:96], v[99:100]
	v_fma_f64 v[97:98], v[93:94], v[125:126], -v[97:98]
	v_mul_f64 v[93:94], v[93:94], v[99:100]
	v_add_f64 v[77:78], v[77:78], -v[97:98]
	v_fma_f64 v[93:94], v[95:96], v[125:126], v[93:94]
	v_add_f64 v[79:80], v[79:80], -v[93:94]
	ds_read2_b64 v[93:96], v90 offset0:56 offset1:57
	s_waitcnt lgkmcnt(0)
	v_mul_f64 v[97:98], v[95:96], v[99:100]
	v_fma_f64 v[97:98], v[93:94], v[125:126], -v[97:98]
	v_mul_f64 v[93:94], v[93:94], v[99:100]
	v_add_f64 v[73:74], v[73:74], -v[97:98]
	v_fma_f64 v[93:94], v[95:96], v[125:126], v[93:94]
	v_add_f64 v[75:76], v[75:76], -v[93:94]
	;; [unrolled: 8-line block ×19, first 2 shown]
	ds_read2_b64 v[93:96], v90 offset0:92 offset1:93
	s_waitcnt lgkmcnt(0)
	v_mul_f64 v[97:98], v[95:96], v[99:100]
	v_fma_f64 v[97:98], v[93:94], v[125:126], -v[97:98]
	v_mul_f64 v[93:94], v[93:94], v[99:100]
	v_add_f64 v[1:2], v[1:2], -v[97:98]
	v_fma_f64 v[93:94], v[95:96], v[125:126], v[93:94]
	ds_read2_b64 v[95:98], v90 offset0:94 offset1:95
	v_add_f64 v[3:4], v[3:4], -v[93:94]
	s_waitcnt lgkmcnt(0)
	v_mul_f64 v[93:94], v[97:98], v[99:100]
	v_fma_f64 v[93:94], v[95:96], v[125:126], -v[93:94]
	v_mul_f64 v[95:96], v[95:96], v[99:100]
	v_add_f64 v[121:122], v[121:122], -v[93:94]
	v_fma_f64 v[95:96], v[97:98], v[125:126], v[95:96]
	v_mov_b32_e32 v97, v125
	v_mov_b32_e32 v98, v126
	buffer_store_dword v97, off, s[24:27], 0 offset:336 ; 4-byte Folded Spill
	s_nop 0
	buffer_store_dword v98, off, s[24:27], 0 offset:340 ; 4-byte Folded Spill
	buffer_store_dword v99, off, s[24:27], 0 offset:344 ; 4-byte Folded Spill
	;; [unrolled: 1-line block ×3, first 2 shown]
	v_add_f64 v[123:124], v[123:124], -v[95:96]
.LBB94_83:
	s_or_b64 exec, exec, s[0:1]
	s_waitcnt vmcnt(0)
	s_barrier
	buffer_load_dword v81, off, s[24:27], 0 offset:320 ; 4-byte Folded Reload
	buffer_load_dword v82, off, s[24:27], 0 offset:324 ; 4-byte Folded Reload
	;; [unrolled: 1-line block ×4, first 2 shown]
	v_lshl_add_u32 v93, v92, 4, v90
	s_cmp_lt_i32 s3, 6
	s_waitcnt vmcnt(0)
	ds_write2_b64 v93, v[81:82], v[83:84] offset1:1
	s_waitcnt lgkmcnt(0)
	s_barrier
	ds_read2_b64 v[117:120], v90 offset0:8 offset1:9
	v_mov_b32_e32 v93, 4
	s_cbranch_scc1 .LBB94_86
; %bb.84:
	v_mov_b32_e32 v93, 4
	v_add_u32_e32 v94, 0x50, v90
	s_mov_b32 s0, 5
.LBB94_85:                              ; =>This Inner Loop Header: Depth=1
	s_waitcnt lgkmcnt(0)
	v_cmp_gt_f64_e32 vcc, 0, v[117:118]
	v_xor_b32_e32 v99, 0x80000000, v118
	ds_read2_b64 v[95:98], v94 offset1:1
	v_xor_b32_e32 v101, 0x80000000, v120
	v_add_u32_e32 v94, 16, v94
	s_waitcnt lgkmcnt(0)
	v_xor_b32_e32 v103, 0x80000000, v98
	v_cndmask_b32_e32 v100, v118, v99, vcc
	v_cmp_gt_f64_e32 vcc, 0, v[119:120]
	v_mov_b32_e32 v99, v117
	v_cndmask_b32_e32 v102, v120, v101, vcc
	v_cmp_gt_f64_e32 vcc, 0, v[95:96]
	v_mov_b32_e32 v101, v119
	v_add_f64 v[99:100], v[99:100], v[101:102]
	v_xor_b32_e32 v101, 0x80000000, v96
	v_cndmask_b32_e32 v102, v96, v101, vcc
	v_cmp_gt_f64_e32 vcc, 0, v[97:98]
	v_mov_b32_e32 v101, v95
	v_cndmask_b32_e32 v104, v98, v103, vcc
	v_mov_b32_e32 v103, v97
	v_add_f64 v[101:102], v[101:102], v[103:104]
	v_cmp_lt_f64_e32 vcc, v[99:100], v[101:102]
	v_cndmask_b32_e32 v117, v117, v95, vcc
	v_mov_b32_e32 v95, s0
	s_add_i32 s0, s0, 1
	v_cndmask_b32_e32 v118, v118, v96, vcc
	v_cndmask_b32_e32 v120, v120, v98, vcc
	;; [unrolled: 1-line block ×4, first 2 shown]
	s_cmp_lg_u32 s3, s0
	s_cbranch_scc1 .LBB94_85
.LBB94_86:
	s_waitcnt lgkmcnt(0)
	v_cmp_eq_f64_e32 vcc, 0, v[117:118]
	v_cmp_eq_f64_e64 s[0:1], 0, v[119:120]
	s_and_b64 s[0:1], vcc, s[0:1]
	s_and_saveexec_b64 s[18:19], s[0:1]
	s_xor_b64 s[0:1], exec, s[18:19]
; %bb.87:
	v_cmp_ne_u32_e32 vcc, 0, v91
	v_cndmask_b32_e32 v91, 5, v91, vcc
; %bb.88:
	s_andn2_saveexec_b64 s[0:1], s[0:1]
	s_cbranch_execz .LBB94_94
; %bb.89:
	v_cmp_ngt_f64_e64 s[18:19], |v[117:118]|, |v[119:120]|
	s_and_saveexec_b64 s[20:21], s[18:19]
	s_xor_b64 s[18:19], exec, s[20:21]
	s_cbranch_execz .LBB94_91
; %bb.90:
	v_div_scale_f64 v[94:95], s[20:21], v[119:120], v[119:120], v[117:118]
	v_rcp_f64_e32 v[96:97], v[94:95]
	v_fma_f64 v[98:99], -v[94:95], v[96:97], 1.0
	v_fma_f64 v[96:97], v[96:97], v[98:99], v[96:97]
	v_div_scale_f64 v[98:99], vcc, v[117:118], v[119:120], v[117:118]
	v_fma_f64 v[100:101], -v[94:95], v[96:97], 1.0
	v_fma_f64 v[96:97], v[96:97], v[100:101], v[96:97]
	v_mul_f64 v[100:101], v[98:99], v[96:97]
	v_fma_f64 v[94:95], -v[94:95], v[100:101], v[98:99]
	v_div_fmas_f64 v[94:95], v[94:95], v[96:97], v[100:101]
	v_div_fixup_f64 v[94:95], v[94:95], v[119:120], v[117:118]
	v_fma_f64 v[96:97], v[117:118], v[94:95], v[119:120]
	v_div_scale_f64 v[98:99], s[20:21], v[96:97], v[96:97], 1.0
	v_div_scale_f64 v[104:105], vcc, 1.0, v[96:97], 1.0
	v_rcp_f64_e32 v[100:101], v[98:99]
	v_fma_f64 v[102:103], -v[98:99], v[100:101], 1.0
	v_fma_f64 v[100:101], v[100:101], v[102:103], v[100:101]
	v_fma_f64 v[102:103], -v[98:99], v[100:101], 1.0
	v_fma_f64 v[100:101], v[100:101], v[102:103], v[100:101]
	v_mul_f64 v[102:103], v[104:105], v[100:101]
	v_fma_f64 v[98:99], -v[98:99], v[102:103], v[104:105]
	v_div_fmas_f64 v[98:99], v[98:99], v[100:101], v[102:103]
	v_div_fixup_f64 v[119:120], v[98:99], v[96:97], 1.0
	v_mul_f64 v[117:118], v[94:95], v[119:120]
	v_xor_b32_e32 v120, 0x80000000, v120
.LBB94_91:
	s_andn2_saveexec_b64 s[18:19], s[18:19]
	s_cbranch_execz .LBB94_93
; %bb.92:
	v_div_scale_f64 v[94:95], s[20:21], v[117:118], v[117:118], v[119:120]
	v_rcp_f64_e32 v[96:97], v[94:95]
	v_fma_f64 v[98:99], -v[94:95], v[96:97], 1.0
	v_fma_f64 v[96:97], v[96:97], v[98:99], v[96:97]
	v_div_scale_f64 v[98:99], vcc, v[119:120], v[117:118], v[119:120]
	v_fma_f64 v[100:101], -v[94:95], v[96:97], 1.0
	v_fma_f64 v[96:97], v[96:97], v[100:101], v[96:97]
	v_mul_f64 v[100:101], v[98:99], v[96:97]
	v_fma_f64 v[94:95], -v[94:95], v[100:101], v[98:99]
	v_div_fmas_f64 v[94:95], v[94:95], v[96:97], v[100:101]
	v_div_fixup_f64 v[94:95], v[94:95], v[117:118], v[119:120]
	v_fma_f64 v[96:97], v[119:120], v[94:95], v[117:118]
	v_div_scale_f64 v[98:99], s[20:21], v[96:97], v[96:97], 1.0
	v_div_scale_f64 v[104:105], vcc, 1.0, v[96:97], 1.0
	v_rcp_f64_e32 v[100:101], v[98:99]
	v_fma_f64 v[102:103], -v[98:99], v[100:101], 1.0
	v_fma_f64 v[100:101], v[100:101], v[102:103], v[100:101]
	v_fma_f64 v[102:103], -v[98:99], v[100:101], 1.0
	v_fma_f64 v[100:101], v[100:101], v[102:103], v[100:101]
	v_mul_f64 v[102:103], v[104:105], v[100:101]
	v_fma_f64 v[98:99], -v[98:99], v[102:103], v[104:105]
	v_div_fmas_f64 v[98:99], v[98:99], v[100:101], v[102:103]
	v_div_fixup_f64 v[117:118], v[98:99], v[96:97], 1.0
	v_mul_f64 v[119:120], v[94:95], -v[117:118]
.LBB94_93:
	s_or_b64 exec, exec, s[18:19]
.LBB94_94:
	s_or_b64 exec, exec, s[0:1]
	v_cmp_ne_u32_e32 vcc, v92, v93
	s_and_saveexec_b64 s[0:1], vcc
	s_xor_b64 s[0:1], exec, s[0:1]
	s_cbranch_execz .LBB94_100
; %bb.95:
	v_cmp_eq_u32_e32 vcc, 4, v92
	s_and_saveexec_b64 s[18:19], vcc
	s_cbranch_execz .LBB94_99
; %bb.96:
	v_cmp_ne_u32_e32 vcc, 4, v93
	s_xor_b64 s[20:21], s[6:7], -1
	s_and_b64 s[22:23], s[20:21], vcc
	s_and_saveexec_b64 s[20:21], s[22:23]
	s_cbranch_execz .LBB94_98
; %bb.97:
	v_mov_b32_e32 v81, v85
	v_mov_b32_e32 v82, v86
	;; [unrolled: 1-line block ×4, first 2 shown]
	buffer_load_dword v85, off, s[24:27], 0 offset:352 ; 4-byte Folded Reload
	buffer_load_dword v86, off, s[24:27], 0 offset:356 ; 4-byte Folded Reload
	v_ashrrev_i32_e32 v94, 31, v93
	v_lshlrev_b64 v[94:95], 2, v[93:94]
	s_waitcnt vmcnt(1)
	v_add_co_u32_e32 v94, vcc, v85, v94
	s_waitcnt vmcnt(0)
	v_addc_co_u32_e32 v95, vcc, v86, v95, vcc
	global_load_dword v0, v[94:95], off
	global_load_dword v92, v[85:86], off offset:16
	s_waitcnt vmcnt(1)
	global_store_dword v[85:86], v0, off offset:16
	v_mov_b32_e32 v88, v84
	v_mov_b32_e32 v87, v83
	;; [unrolled: 1-line block ×4, first 2 shown]
	s_waitcnt vmcnt(1)
	global_store_dword v[94:95], v92, off
.LBB94_98:
	s_or_b64 exec, exec, s[20:21]
	v_mov_b32_e32 v92, v93
	v_mov_b32_e32 v0, v93
.LBB94_99:
	s_or_b64 exec, exec, s[18:19]
.LBB94_100:
	s_andn2_saveexec_b64 s[0:1], s[0:1]
	s_cbranch_execz .LBB94_102
; %bb.101:
	buffer_load_dword v81, off, s[24:27], 0 offset:304 ; 4-byte Folded Reload
	buffer_load_dword v82, off, s[24:27], 0 offset:308 ; 4-byte Folded Reload
	;; [unrolled: 1-line block ×4, first 2 shown]
	v_mov_b32_e32 v92, 4
	s_waitcnt vmcnt(0)
	ds_write2_b64 v90, v[81:82], v[83:84] offset0:10 offset1:11
	buffer_load_dword v81, off, s[24:27], 0 offset:288 ; 4-byte Folded Reload
	buffer_load_dword v82, off, s[24:27], 0 offset:292 ; 4-byte Folded Reload
	buffer_load_dword v83, off, s[24:27], 0 offset:296 ; 4-byte Folded Reload
	buffer_load_dword v84, off, s[24:27], 0 offset:300 ; 4-byte Folded Reload
	s_waitcnt vmcnt(0)
	ds_write2_b64 v90, v[81:82], v[83:84] offset0:12 offset1:13
	buffer_load_dword v81, off, s[24:27], 0 offset:272 ; 4-byte Folded Reload
	buffer_load_dword v82, off, s[24:27], 0 offset:276 ; 4-byte Folded Reload
	buffer_load_dword v83, off, s[24:27], 0 offset:280 ; 4-byte Folded Reload
	buffer_load_dword v84, off, s[24:27], 0 offset:284 ; 4-byte Folded Reload
	;; [unrolled: 6-line block ×18, first 2 shown]
	s_waitcnt vmcnt(0)
	ds_write2_b64 v90, v[81:82], v[83:84] offset0:46 offset1:47
	ds_write2_b64 v90, v[85:86], v[87:88] offset0:48 offset1:49
	;; [unrolled: 1-line block ×3, first 2 shown]
	buffer_load_dword v81, off, s[24:27], 0 ; 4-byte Folded Reload
	buffer_load_dword v82, off, s[24:27], 0 offset:4 ; 4-byte Folded Reload
	buffer_load_dword v83, off, s[24:27], 0 offset:8 ; 4-byte Folded Reload
	;; [unrolled: 1-line block ×3, first 2 shown]
	s_waitcnt vmcnt(0)
	ds_write2_b64 v90, v[81:82], v[83:84] offset0:52 offset1:53
	ds_write2_b64 v90, v[77:78], v[79:80] offset0:54 offset1:55
	;; [unrolled: 1-line block ×22, first 2 shown]
.LBB94_102:
	s_or_b64 exec, exec, s[0:1]
	v_cmp_lt_i32_e32 vcc, 4, v92
	s_waitcnt vmcnt(0) lgkmcnt(0)
	s_barrier
	s_and_saveexec_b64 s[0:1], vcc
	s_cbranch_execz .LBB94_104
; %bb.103:
	buffer_load_dword v97, off, s[24:27], 0 offset:320 ; 4-byte Folded Reload
	buffer_load_dword v98, off, s[24:27], 0 offset:324 ; 4-byte Folded Reload
	;; [unrolled: 1-line block ×4, first 2 shown]
	s_waitcnt vmcnt(0)
	v_mul_f64 v[93:94], v[119:120], v[99:100]
	v_fma_f64 v[125:126], v[117:118], v[97:98], -v[93:94]
	v_mul_f64 v[93:94], v[117:118], v[99:100]
	v_fma_f64 v[99:100], v[119:120], v[97:98], v[93:94]
	ds_read2_b64 v[93:96], v90 offset0:10 offset1:11
	buffer_load_dword v81, off, s[24:27], 0 offset:304 ; 4-byte Folded Reload
	buffer_load_dword v82, off, s[24:27], 0 offset:308 ; 4-byte Folded Reload
	buffer_load_dword v83, off, s[24:27], 0 offset:312 ; 4-byte Folded Reload
	buffer_load_dword v84, off, s[24:27], 0 offset:316 ; 4-byte Folded Reload
	s_waitcnt lgkmcnt(0)
	v_mul_f64 v[97:98], v[95:96], v[99:100]
	v_fma_f64 v[97:98], v[93:94], v[125:126], -v[97:98]
	v_mul_f64 v[93:94], v[93:94], v[99:100]
	v_fma_f64 v[93:94], v[95:96], v[125:126], v[93:94]
	s_waitcnt vmcnt(2)
	v_add_f64 v[81:82], v[81:82], -v[97:98]
	s_waitcnt vmcnt(0)
	v_add_f64 v[83:84], v[83:84], -v[93:94]
	buffer_store_dword v81, off, s[24:27], 0 offset:304 ; 4-byte Folded Spill
	s_nop 0
	buffer_store_dword v82, off, s[24:27], 0 offset:308 ; 4-byte Folded Spill
	buffer_store_dword v83, off, s[24:27], 0 offset:312 ; 4-byte Folded Spill
	buffer_store_dword v84, off, s[24:27], 0 offset:316 ; 4-byte Folded Spill
	ds_read2_b64 v[93:96], v90 offset0:12 offset1:13
	buffer_load_dword v81, off, s[24:27], 0 offset:288 ; 4-byte Folded Reload
	buffer_load_dword v82, off, s[24:27], 0 offset:292 ; 4-byte Folded Reload
	buffer_load_dword v83, off, s[24:27], 0 offset:296 ; 4-byte Folded Reload
	buffer_load_dword v84, off, s[24:27], 0 offset:300 ; 4-byte Folded Reload
	s_waitcnt lgkmcnt(0)
	v_mul_f64 v[97:98], v[95:96], v[99:100]
	v_fma_f64 v[97:98], v[93:94], v[125:126], -v[97:98]
	v_mul_f64 v[93:94], v[93:94], v[99:100]
	v_fma_f64 v[93:94], v[95:96], v[125:126], v[93:94]
	s_waitcnt vmcnt(2)
	v_add_f64 v[81:82], v[81:82], -v[97:98]
	s_waitcnt vmcnt(0)
	v_add_f64 v[83:84], v[83:84], -v[93:94]
	buffer_store_dword v81, off, s[24:27], 0 offset:288 ; 4-byte Folded Spill
	s_nop 0
	buffer_store_dword v82, off, s[24:27], 0 offset:292 ; 4-byte Folded Spill
	buffer_store_dword v83, off, s[24:27], 0 offset:296 ; 4-byte Folded Spill
	buffer_store_dword v84, off, s[24:27], 0 offset:300 ; 4-byte Folded Spill
	;; [unrolled: 19-line block ×19, first 2 shown]
	ds_read2_b64 v[93:96], v90 offset0:48 offset1:49
	s_waitcnt lgkmcnt(0)
	v_mul_f64 v[97:98], v[95:96], v[99:100]
	v_fma_f64 v[97:98], v[93:94], v[125:126], -v[97:98]
	v_mul_f64 v[93:94], v[93:94], v[99:100]
	v_add_f64 v[85:86], v[85:86], -v[97:98]
	v_fma_f64 v[93:94], v[95:96], v[125:126], v[93:94]
	v_add_f64 v[87:88], v[87:88], -v[93:94]
	ds_read2_b64 v[93:96], v90 offset0:50 offset1:51
	s_waitcnt lgkmcnt(0)
	v_mul_f64 v[97:98], v[95:96], v[99:100]
	v_fma_f64 v[97:98], v[93:94], v[125:126], -v[97:98]
	v_mul_f64 v[93:94], v[93:94], v[99:100]
	v_add_f64 v[111:112], v[111:112], -v[97:98]
	v_fma_f64 v[93:94], v[95:96], v[125:126], v[93:94]
	v_add_f64 v[113:114], v[113:114], -v[93:94]
	ds_read2_b64 v[93:96], v90 offset0:52 offset1:53
	buffer_load_dword v81, off, s[24:27], 0 ; 4-byte Folded Reload
	buffer_load_dword v82, off, s[24:27], 0 offset:4 ; 4-byte Folded Reload
	buffer_load_dword v83, off, s[24:27], 0 offset:8 ; 4-byte Folded Reload
	buffer_load_dword v84, off, s[24:27], 0 offset:12 ; 4-byte Folded Reload
	s_waitcnt lgkmcnt(0)
	v_mul_f64 v[97:98], v[95:96], v[99:100]
	v_fma_f64 v[97:98], v[93:94], v[125:126], -v[97:98]
	v_mul_f64 v[93:94], v[93:94], v[99:100]
	v_fma_f64 v[93:94], v[95:96], v[125:126], v[93:94]
	s_waitcnt vmcnt(2)
	v_add_f64 v[81:82], v[81:82], -v[97:98]
	s_waitcnt vmcnt(0)
	v_add_f64 v[83:84], v[83:84], -v[93:94]
	buffer_store_dword v81, off, s[24:27], 0 ; 4-byte Folded Spill
	s_nop 0
	buffer_store_dword v82, off, s[24:27], 0 offset:4 ; 4-byte Folded Spill
	buffer_store_dword v83, off, s[24:27], 0 offset:8 ; 4-byte Folded Spill
	;; [unrolled: 1-line block ×3, first 2 shown]
	ds_read2_b64 v[93:96], v90 offset0:54 offset1:55
	s_waitcnt lgkmcnt(0)
	v_mul_f64 v[97:98], v[95:96], v[99:100]
	v_fma_f64 v[97:98], v[93:94], v[125:126], -v[97:98]
	v_mul_f64 v[93:94], v[93:94], v[99:100]
	v_add_f64 v[77:78], v[77:78], -v[97:98]
	v_fma_f64 v[93:94], v[95:96], v[125:126], v[93:94]
	v_add_f64 v[79:80], v[79:80], -v[93:94]
	ds_read2_b64 v[93:96], v90 offset0:56 offset1:57
	s_waitcnt lgkmcnt(0)
	v_mul_f64 v[97:98], v[95:96], v[99:100]
	v_fma_f64 v[97:98], v[93:94], v[125:126], -v[97:98]
	v_mul_f64 v[93:94], v[93:94], v[99:100]
	v_add_f64 v[73:74], v[73:74], -v[97:98]
	v_fma_f64 v[93:94], v[95:96], v[125:126], v[93:94]
	v_add_f64 v[75:76], v[75:76], -v[93:94]
	;; [unrolled: 8-line block ×19, first 2 shown]
	ds_read2_b64 v[93:96], v90 offset0:92 offset1:93
	s_waitcnt lgkmcnt(0)
	v_mul_f64 v[97:98], v[95:96], v[99:100]
	v_fma_f64 v[97:98], v[93:94], v[125:126], -v[97:98]
	v_mul_f64 v[93:94], v[93:94], v[99:100]
	v_add_f64 v[1:2], v[1:2], -v[97:98]
	v_fma_f64 v[93:94], v[95:96], v[125:126], v[93:94]
	ds_read2_b64 v[95:98], v90 offset0:94 offset1:95
	v_add_f64 v[3:4], v[3:4], -v[93:94]
	s_waitcnt lgkmcnt(0)
	v_mul_f64 v[93:94], v[97:98], v[99:100]
	v_fma_f64 v[93:94], v[95:96], v[125:126], -v[93:94]
	v_mul_f64 v[95:96], v[95:96], v[99:100]
	v_add_f64 v[121:122], v[121:122], -v[93:94]
	v_fma_f64 v[95:96], v[97:98], v[125:126], v[95:96]
	v_mov_b32_e32 v97, v125
	v_mov_b32_e32 v98, v126
	buffer_store_dword v97, off, s[24:27], 0 offset:320 ; 4-byte Folded Spill
	s_nop 0
	buffer_store_dword v98, off, s[24:27], 0 offset:324 ; 4-byte Folded Spill
	buffer_store_dword v99, off, s[24:27], 0 offset:328 ; 4-byte Folded Spill
	buffer_store_dword v100, off, s[24:27], 0 offset:332 ; 4-byte Folded Spill
	v_add_f64 v[123:124], v[123:124], -v[95:96]
.LBB94_104:
	s_or_b64 exec, exec, s[0:1]
	s_waitcnt vmcnt(0)
	s_barrier
	buffer_load_dword v81, off, s[24:27], 0 offset:304 ; 4-byte Folded Reload
	buffer_load_dword v82, off, s[24:27], 0 offset:308 ; 4-byte Folded Reload
	;; [unrolled: 1-line block ×4, first 2 shown]
	v_lshl_add_u32 v93, v92, 4, v90
	s_cmp_lt_i32 s3, 7
	s_waitcnt vmcnt(0)
	ds_write2_b64 v93, v[81:82], v[83:84] offset1:1
	s_waitcnt lgkmcnt(0)
	s_barrier
	ds_read2_b64 v[117:120], v90 offset0:10 offset1:11
	v_mov_b32_e32 v93, 5
	s_cbranch_scc1 .LBB94_107
; %bb.105:
	v_add_u32_e32 v94, 0x60, v90
	s_mov_b32 s0, 6
	v_mov_b32_e32 v93, 5
.LBB94_106:                             ; =>This Inner Loop Header: Depth=1
	s_waitcnt lgkmcnt(0)
	v_cmp_gt_f64_e32 vcc, 0, v[117:118]
	v_xor_b32_e32 v99, 0x80000000, v118
	ds_read2_b64 v[95:98], v94 offset1:1
	v_xor_b32_e32 v101, 0x80000000, v120
	v_add_u32_e32 v94, 16, v94
	s_waitcnt lgkmcnt(0)
	v_xor_b32_e32 v103, 0x80000000, v98
	v_cndmask_b32_e32 v100, v118, v99, vcc
	v_cmp_gt_f64_e32 vcc, 0, v[119:120]
	v_mov_b32_e32 v99, v117
	v_cndmask_b32_e32 v102, v120, v101, vcc
	v_cmp_gt_f64_e32 vcc, 0, v[95:96]
	v_mov_b32_e32 v101, v119
	v_add_f64 v[99:100], v[99:100], v[101:102]
	v_xor_b32_e32 v101, 0x80000000, v96
	v_cndmask_b32_e32 v102, v96, v101, vcc
	v_cmp_gt_f64_e32 vcc, 0, v[97:98]
	v_mov_b32_e32 v101, v95
	v_cndmask_b32_e32 v104, v98, v103, vcc
	v_mov_b32_e32 v103, v97
	v_add_f64 v[101:102], v[101:102], v[103:104]
	v_cmp_lt_f64_e32 vcc, v[99:100], v[101:102]
	v_cndmask_b32_e32 v117, v117, v95, vcc
	v_mov_b32_e32 v95, s0
	s_add_i32 s0, s0, 1
	v_cndmask_b32_e32 v118, v118, v96, vcc
	v_cndmask_b32_e32 v120, v120, v98, vcc
	;; [unrolled: 1-line block ×4, first 2 shown]
	s_cmp_lg_u32 s3, s0
	s_cbranch_scc1 .LBB94_106
.LBB94_107:
	s_waitcnt lgkmcnt(0)
	v_cmp_eq_f64_e32 vcc, 0, v[117:118]
	v_cmp_eq_f64_e64 s[0:1], 0, v[119:120]
	s_and_b64 s[0:1], vcc, s[0:1]
	s_and_saveexec_b64 s[18:19], s[0:1]
	s_xor_b64 s[0:1], exec, s[18:19]
; %bb.108:
	v_cmp_ne_u32_e32 vcc, 0, v91
	v_cndmask_b32_e32 v91, 6, v91, vcc
; %bb.109:
	s_andn2_saveexec_b64 s[0:1], s[0:1]
	s_cbranch_execz .LBB94_115
; %bb.110:
	v_cmp_ngt_f64_e64 s[18:19], |v[117:118]|, |v[119:120]|
	s_and_saveexec_b64 s[20:21], s[18:19]
	s_xor_b64 s[18:19], exec, s[20:21]
	s_cbranch_execz .LBB94_112
; %bb.111:
	v_div_scale_f64 v[94:95], s[20:21], v[119:120], v[119:120], v[117:118]
	v_rcp_f64_e32 v[96:97], v[94:95]
	v_fma_f64 v[98:99], -v[94:95], v[96:97], 1.0
	v_fma_f64 v[96:97], v[96:97], v[98:99], v[96:97]
	v_div_scale_f64 v[98:99], vcc, v[117:118], v[119:120], v[117:118]
	v_fma_f64 v[100:101], -v[94:95], v[96:97], 1.0
	v_fma_f64 v[96:97], v[96:97], v[100:101], v[96:97]
	v_mul_f64 v[100:101], v[98:99], v[96:97]
	v_fma_f64 v[94:95], -v[94:95], v[100:101], v[98:99]
	v_div_fmas_f64 v[94:95], v[94:95], v[96:97], v[100:101]
	v_div_fixup_f64 v[94:95], v[94:95], v[119:120], v[117:118]
	v_fma_f64 v[96:97], v[117:118], v[94:95], v[119:120]
	v_div_scale_f64 v[98:99], s[20:21], v[96:97], v[96:97], 1.0
	v_div_scale_f64 v[104:105], vcc, 1.0, v[96:97], 1.0
	v_rcp_f64_e32 v[100:101], v[98:99]
	v_fma_f64 v[102:103], -v[98:99], v[100:101], 1.0
	v_fma_f64 v[100:101], v[100:101], v[102:103], v[100:101]
	v_fma_f64 v[102:103], -v[98:99], v[100:101], 1.0
	v_fma_f64 v[100:101], v[100:101], v[102:103], v[100:101]
	v_mul_f64 v[102:103], v[104:105], v[100:101]
	v_fma_f64 v[98:99], -v[98:99], v[102:103], v[104:105]
	v_div_fmas_f64 v[98:99], v[98:99], v[100:101], v[102:103]
	v_div_fixup_f64 v[119:120], v[98:99], v[96:97], 1.0
	v_mul_f64 v[117:118], v[94:95], v[119:120]
	v_xor_b32_e32 v120, 0x80000000, v120
.LBB94_112:
	s_andn2_saveexec_b64 s[18:19], s[18:19]
	s_cbranch_execz .LBB94_114
; %bb.113:
	v_div_scale_f64 v[94:95], s[20:21], v[117:118], v[117:118], v[119:120]
	v_rcp_f64_e32 v[96:97], v[94:95]
	v_fma_f64 v[98:99], -v[94:95], v[96:97], 1.0
	v_fma_f64 v[96:97], v[96:97], v[98:99], v[96:97]
	v_div_scale_f64 v[98:99], vcc, v[119:120], v[117:118], v[119:120]
	v_fma_f64 v[100:101], -v[94:95], v[96:97], 1.0
	v_fma_f64 v[96:97], v[96:97], v[100:101], v[96:97]
	v_mul_f64 v[100:101], v[98:99], v[96:97]
	v_fma_f64 v[94:95], -v[94:95], v[100:101], v[98:99]
	v_div_fmas_f64 v[94:95], v[94:95], v[96:97], v[100:101]
	v_div_fixup_f64 v[94:95], v[94:95], v[117:118], v[119:120]
	v_fma_f64 v[96:97], v[119:120], v[94:95], v[117:118]
	v_div_scale_f64 v[98:99], s[20:21], v[96:97], v[96:97], 1.0
	v_div_scale_f64 v[104:105], vcc, 1.0, v[96:97], 1.0
	v_rcp_f64_e32 v[100:101], v[98:99]
	v_fma_f64 v[102:103], -v[98:99], v[100:101], 1.0
	v_fma_f64 v[100:101], v[100:101], v[102:103], v[100:101]
	v_fma_f64 v[102:103], -v[98:99], v[100:101], 1.0
	v_fma_f64 v[100:101], v[100:101], v[102:103], v[100:101]
	v_mul_f64 v[102:103], v[104:105], v[100:101]
	v_fma_f64 v[98:99], -v[98:99], v[102:103], v[104:105]
	v_div_fmas_f64 v[98:99], v[98:99], v[100:101], v[102:103]
	v_div_fixup_f64 v[117:118], v[98:99], v[96:97], 1.0
	v_mul_f64 v[119:120], v[94:95], -v[117:118]
.LBB94_114:
	s_or_b64 exec, exec, s[18:19]
.LBB94_115:
	s_or_b64 exec, exec, s[0:1]
	v_cmp_ne_u32_e32 vcc, v92, v93
	s_and_saveexec_b64 s[0:1], vcc
	s_xor_b64 s[0:1], exec, s[0:1]
	s_cbranch_execz .LBB94_121
; %bb.116:
	v_cmp_eq_u32_e32 vcc, 5, v92
	s_and_saveexec_b64 s[18:19], vcc
	s_cbranch_execz .LBB94_120
; %bb.117:
	v_cmp_ne_u32_e32 vcc, 5, v93
	s_xor_b64 s[20:21], s[6:7], -1
	s_and_b64 s[22:23], s[20:21], vcc
	s_and_saveexec_b64 s[20:21], s[22:23]
	s_cbranch_execz .LBB94_119
; %bb.118:
	v_mov_b32_e32 v81, v85
	v_mov_b32_e32 v82, v86
	;; [unrolled: 1-line block ×4, first 2 shown]
	buffer_load_dword v85, off, s[24:27], 0 offset:352 ; 4-byte Folded Reload
	buffer_load_dword v86, off, s[24:27], 0 offset:356 ; 4-byte Folded Reload
	v_ashrrev_i32_e32 v94, 31, v93
	v_lshlrev_b64 v[94:95], 2, v[93:94]
	s_waitcnt vmcnt(1)
	v_add_co_u32_e32 v94, vcc, v85, v94
	s_waitcnt vmcnt(0)
	v_addc_co_u32_e32 v95, vcc, v86, v95, vcc
	global_load_dword v0, v[94:95], off
	global_load_dword v92, v[85:86], off offset:20
	s_waitcnt vmcnt(1)
	global_store_dword v[85:86], v0, off offset:20
	v_mov_b32_e32 v88, v84
	v_mov_b32_e32 v87, v83
	;; [unrolled: 1-line block ×4, first 2 shown]
	s_waitcnt vmcnt(1)
	global_store_dword v[94:95], v92, off
.LBB94_119:
	s_or_b64 exec, exec, s[20:21]
	v_mov_b32_e32 v92, v93
	v_mov_b32_e32 v0, v93
.LBB94_120:
	s_or_b64 exec, exec, s[18:19]
.LBB94_121:
	s_andn2_saveexec_b64 s[0:1], s[0:1]
	s_cbranch_execz .LBB94_123
; %bb.122:
	buffer_load_dword v81, off, s[24:27], 0 offset:288 ; 4-byte Folded Reload
	buffer_load_dword v82, off, s[24:27], 0 offset:292 ; 4-byte Folded Reload
	buffer_load_dword v83, off, s[24:27], 0 offset:296 ; 4-byte Folded Reload
	buffer_load_dword v84, off, s[24:27], 0 offset:300 ; 4-byte Folded Reload
	v_mov_b32_e32 v92, 5
	s_waitcnt vmcnt(0)
	ds_write2_b64 v90, v[81:82], v[83:84] offset0:12 offset1:13
	buffer_load_dword v81, off, s[24:27], 0 offset:272 ; 4-byte Folded Reload
	buffer_load_dword v82, off, s[24:27], 0 offset:276 ; 4-byte Folded Reload
	buffer_load_dword v83, off, s[24:27], 0 offset:280 ; 4-byte Folded Reload
	buffer_load_dword v84, off, s[24:27], 0 offset:284 ; 4-byte Folded Reload
	s_waitcnt vmcnt(0)
	ds_write2_b64 v90, v[81:82], v[83:84] offset0:14 offset1:15
	buffer_load_dword v81, off, s[24:27], 0 offset:256 ; 4-byte Folded Reload
	buffer_load_dword v82, off, s[24:27], 0 offset:260 ; 4-byte Folded Reload
	buffer_load_dword v83, off, s[24:27], 0 offset:264 ; 4-byte Folded Reload
	buffer_load_dword v84, off, s[24:27], 0 offset:268 ; 4-byte Folded Reload
	;; [unrolled: 6-line block ×17, first 2 shown]
	s_waitcnt vmcnt(0)
	ds_write2_b64 v90, v[81:82], v[83:84] offset0:46 offset1:47
	ds_write2_b64 v90, v[85:86], v[87:88] offset0:48 offset1:49
	;; [unrolled: 1-line block ×3, first 2 shown]
	buffer_load_dword v81, off, s[24:27], 0 ; 4-byte Folded Reload
	buffer_load_dword v82, off, s[24:27], 0 offset:4 ; 4-byte Folded Reload
	buffer_load_dword v83, off, s[24:27], 0 offset:8 ; 4-byte Folded Reload
	buffer_load_dword v84, off, s[24:27], 0 offset:12 ; 4-byte Folded Reload
	s_waitcnt vmcnt(0)
	ds_write2_b64 v90, v[81:82], v[83:84] offset0:52 offset1:53
	ds_write2_b64 v90, v[77:78], v[79:80] offset0:54 offset1:55
	;; [unrolled: 1-line block ×22, first 2 shown]
.LBB94_123:
	s_or_b64 exec, exec, s[0:1]
	v_cmp_lt_i32_e32 vcc, 5, v92
	s_waitcnt vmcnt(0) lgkmcnt(0)
	s_barrier
	s_and_saveexec_b64 s[0:1], vcc
	s_cbranch_execz .LBB94_125
; %bb.124:
	buffer_load_dword v97, off, s[24:27], 0 offset:304 ; 4-byte Folded Reload
	buffer_load_dword v98, off, s[24:27], 0 offset:308 ; 4-byte Folded Reload
	;; [unrolled: 1-line block ×4, first 2 shown]
	s_waitcnt vmcnt(0)
	v_mul_f64 v[93:94], v[119:120], v[99:100]
	v_fma_f64 v[125:126], v[117:118], v[97:98], -v[93:94]
	v_mul_f64 v[93:94], v[117:118], v[99:100]
	v_fma_f64 v[99:100], v[119:120], v[97:98], v[93:94]
	ds_read2_b64 v[93:96], v90 offset0:12 offset1:13
	buffer_load_dword v81, off, s[24:27], 0 offset:288 ; 4-byte Folded Reload
	buffer_load_dword v82, off, s[24:27], 0 offset:292 ; 4-byte Folded Reload
	buffer_load_dword v83, off, s[24:27], 0 offset:296 ; 4-byte Folded Reload
	buffer_load_dword v84, off, s[24:27], 0 offset:300 ; 4-byte Folded Reload
	s_waitcnt lgkmcnt(0)
	v_mul_f64 v[97:98], v[95:96], v[99:100]
	v_fma_f64 v[97:98], v[93:94], v[125:126], -v[97:98]
	v_mul_f64 v[93:94], v[93:94], v[99:100]
	v_fma_f64 v[93:94], v[95:96], v[125:126], v[93:94]
	s_waitcnt vmcnt(2)
	v_add_f64 v[81:82], v[81:82], -v[97:98]
	s_waitcnt vmcnt(0)
	v_add_f64 v[83:84], v[83:84], -v[93:94]
	buffer_store_dword v81, off, s[24:27], 0 offset:288 ; 4-byte Folded Spill
	s_nop 0
	buffer_store_dword v82, off, s[24:27], 0 offset:292 ; 4-byte Folded Spill
	buffer_store_dword v83, off, s[24:27], 0 offset:296 ; 4-byte Folded Spill
	buffer_store_dword v84, off, s[24:27], 0 offset:300 ; 4-byte Folded Spill
	ds_read2_b64 v[93:96], v90 offset0:14 offset1:15
	buffer_load_dword v81, off, s[24:27], 0 offset:272 ; 4-byte Folded Reload
	buffer_load_dword v82, off, s[24:27], 0 offset:276 ; 4-byte Folded Reload
	buffer_load_dword v83, off, s[24:27], 0 offset:280 ; 4-byte Folded Reload
	buffer_load_dword v84, off, s[24:27], 0 offset:284 ; 4-byte Folded Reload
	s_waitcnt lgkmcnt(0)
	v_mul_f64 v[97:98], v[95:96], v[99:100]
	v_fma_f64 v[97:98], v[93:94], v[125:126], -v[97:98]
	v_mul_f64 v[93:94], v[93:94], v[99:100]
	v_fma_f64 v[93:94], v[95:96], v[125:126], v[93:94]
	s_waitcnt vmcnt(2)
	v_add_f64 v[81:82], v[81:82], -v[97:98]
	s_waitcnt vmcnt(0)
	v_add_f64 v[83:84], v[83:84], -v[93:94]
	buffer_store_dword v81, off, s[24:27], 0 offset:272 ; 4-byte Folded Spill
	s_nop 0
	buffer_store_dword v82, off, s[24:27], 0 offset:276 ; 4-byte Folded Spill
	buffer_store_dword v83, off, s[24:27], 0 offset:280 ; 4-byte Folded Spill
	buffer_store_dword v84, off, s[24:27], 0 offset:284 ; 4-byte Folded Spill
	;; [unrolled: 19-line block ×18, first 2 shown]
	ds_read2_b64 v[93:96], v90 offset0:48 offset1:49
	s_waitcnt lgkmcnt(0)
	v_mul_f64 v[97:98], v[95:96], v[99:100]
	v_fma_f64 v[97:98], v[93:94], v[125:126], -v[97:98]
	v_mul_f64 v[93:94], v[93:94], v[99:100]
	v_add_f64 v[85:86], v[85:86], -v[97:98]
	v_fma_f64 v[93:94], v[95:96], v[125:126], v[93:94]
	v_add_f64 v[87:88], v[87:88], -v[93:94]
	ds_read2_b64 v[93:96], v90 offset0:50 offset1:51
	s_waitcnt lgkmcnt(0)
	v_mul_f64 v[97:98], v[95:96], v[99:100]
	v_fma_f64 v[97:98], v[93:94], v[125:126], -v[97:98]
	v_mul_f64 v[93:94], v[93:94], v[99:100]
	v_add_f64 v[111:112], v[111:112], -v[97:98]
	v_fma_f64 v[93:94], v[95:96], v[125:126], v[93:94]
	v_add_f64 v[113:114], v[113:114], -v[93:94]
	ds_read2_b64 v[93:96], v90 offset0:52 offset1:53
	buffer_load_dword v81, off, s[24:27], 0 ; 4-byte Folded Reload
	buffer_load_dword v82, off, s[24:27], 0 offset:4 ; 4-byte Folded Reload
	buffer_load_dword v83, off, s[24:27], 0 offset:8 ; 4-byte Folded Reload
	buffer_load_dword v84, off, s[24:27], 0 offset:12 ; 4-byte Folded Reload
	s_waitcnt lgkmcnt(0)
	v_mul_f64 v[97:98], v[95:96], v[99:100]
	v_fma_f64 v[97:98], v[93:94], v[125:126], -v[97:98]
	v_mul_f64 v[93:94], v[93:94], v[99:100]
	v_fma_f64 v[93:94], v[95:96], v[125:126], v[93:94]
	s_waitcnt vmcnt(2)
	v_add_f64 v[81:82], v[81:82], -v[97:98]
	s_waitcnt vmcnt(0)
	v_add_f64 v[83:84], v[83:84], -v[93:94]
	buffer_store_dword v81, off, s[24:27], 0 ; 4-byte Folded Spill
	s_nop 0
	buffer_store_dword v82, off, s[24:27], 0 offset:4 ; 4-byte Folded Spill
	buffer_store_dword v83, off, s[24:27], 0 offset:8 ; 4-byte Folded Spill
	buffer_store_dword v84, off, s[24:27], 0 offset:12 ; 4-byte Folded Spill
	ds_read2_b64 v[93:96], v90 offset0:54 offset1:55
	s_waitcnt lgkmcnt(0)
	v_mul_f64 v[97:98], v[95:96], v[99:100]
	v_fma_f64 v[97:98], v[93:94], v[125:126], -v[97:98]
	v_mul_f64 v[93:94], v[93:94], v[99:100]
	v_add_f64 v[77:78], v[77:78], -v[97:98]
	v_fma_f64 v[93:94], v[95:96], v[125:126], v[93:94]
	v_add_f64 v[79:80], v[79:80], -v[93:94]
	ds_read2_b64 v[93:96], v90 offset0:56 offset1:57
	s_waitcnt lgkmcnt(0)
	v_mul_f64 v[97:98], v[95:96], v[99:100]
	v_fma_f64 v[97:98], v[93:94], v[125:126], -v[97:98]
	v_mul_f64 v[93:94], v[93:94], v[99:100]
	v_add_f64 v[73:74], v[73:74], -v[97:98]
	v_fma_f64 v[93:94], v[95:96], v[125:126], v[93:94]
	v_add_f64 v[75:76], v[75:76], -v[93:94]
	ds_read2_b64 v[93:96], v90 offset0:58 offset1:59
	s_waitcnt lgkmcnt(0)
	v_mul_f64 v[97:98], v[95:96], v[99:100]
	v_fma_f64 v[97:98], v[93:94], v[125:126], -v[97:98]
	v_mul_f64 v[93:94], v[93:94], v[99:100]
	v_add_f64 v[69:70], v[69:70], -v[97:98]
	v_fma_f64 v[93:94], v[95:96], v[125:126], v[93:94]
	v_add_f64 v[71:72], v[71:72], -v[93:94]
	ds_read2_b64 v[93:96], v90 offset0:60 offset1:61
	s_waitcnt lgkmcnt(0)
	v_mul_f64 v[97:98], v[95:96], v[99:100]
	v_fma_f64 v[97:98], v[93:94], v[125:126], -v[97:98]
	v_mul_f64 v[93:94], v[93:94], v[99:100]
	v_add_f64 v[65:66], v[65:66], -v[97:98]
	v_fma_f64 v[93:94], v[95:96], v[125:126], v[93:94]
	v_add_f64 v[67:68], v[67:68], -v[93:94]
	ds_read2_b64 v[93:96], v90 offset0:62 offset1:63
	s_waitcnt lgkmcnt(0)
	v_mul_f64 v[97:98], v[95:96], v[99:100]
	v_fma_f64 v[97:98], v[93:94], v[125:126], -v[97:98]
	v_mul_f64 v[93:94], v[93:94], v[99:100]
	v_add_f64 v[61:62], v[61:62], -v[97:98]
	v_fma_f64 v[93:94], v[95:96], v[125:126], v[93:94]
	v_add_f64 v[63:64], v[63:64], -v[93:94]
	ds_read2_b64 v[93:96], v90 offset0:64 offset1:65
	s_waitcnt lgkmcnt(0)
	v_mul_f64 v[97:98], v[95:96], v[99:100]
	v_fma_f64 v[97:98], v[93:94], v[125:126], -v[97:98]
	v_mul_f64 v[93:94], v[93:94], v[99:100]
	v_add_f64 v[57:58], v[57:58], -v[97:98]
	v_fma_f64 v[93:94], v[95:96], v[125:126], v[93:94]
	v_add_f64 v[59:60], v[59:60], -v[93:94]
	ds_read2_b64 v[93:96], v90 offset0:66 offset1:67
	s_waitcnt lgkmcnt(0)
	v_mul_f64 v[97:98], v[95:96], v[99:100]
	v_fma_f64 v[97:98], v[93:94], v[125:126], -v[97:98]
	v_mul_f64 v[93:94], v[93:94], v[99:100]
	v_add_f64 v[53:54], v[53:54], -v[97:98]
	v_fma_f64 v[93:94], v[95:96], v[125:126], v[93:94]
	v_add_f64 v[55:56], v[55:56], -v[93:94]
	ds_read2_b64 v[93:96], v90 offset0:68 offset1:69
	s_waitcnt lgkmcnt(0)
	v_mul_f64 v[97:98], v[95:96], v[99:100]
	v_fma_f64 v[97:98], v[93:94], v[125:126], -v[97:98]
	v_mul_f64 v[93:94], v[93:94], v[99:100]
	v_add_f64 v[49:50], v[49:50], -v[97:98]
	v_fma_f64 v[93:94], v[95:96], v[125:126], v[93:94]
	v_add_f64 v[51:52], v[51:52], -v[93:94]
	ds_read2_b64 v[93:96], v90 offset0:70 offset1:71
	s_waitcnt lgkmcnt(0)
	v_mul_f64 v[97:98], v[95:96], v[99:100]
	v_fma_f64 v[97:98], v[93:94], v[125:126], -v[97:98]
	v_mul_f64 v[93:94], v[93:94], v[99:100]
	v_add_f64 v[45:46], v[45:46], -v[97:98]
	v_fma_f64 v[93:94], v[95:96], v[125:126], v[93:94]
	v_add_f64 v[47:48], v[47:48], -v[93:94]
	ds_read2_b64 v[93:96], v90 offset0:72 offset1:73
	s_waitcnt lgkmcnt(0)
	v_mul_f64 v[97:98], v[95:96], v[99:100]
	v_fma_f64 v[97:98], v[93:94], v[125:126], -v[97:98]
	v_mul_f64 v[93:94], v[93:94], v[99:100]
	v_add_f64 v[41:42], v[41:42], -v[97:98]
	v_fma_f64 v[93:94], v[95:96], v[125:126], v[93:94]
	v_add_f64 v[43:44], v[43:44], -v[93:94]
	ds_read2_b64 v[93:96], v90 offset0:74 offset1:75
	s_waitcnt lgkmcnt(0)
	v_mul_f64 v[97:98], v[95:96], v[99:100]
	v_fma_f64 v[97:98], v[93:94], v[125:126], -v[97:98]
	v_mul_f64 v[93:94], v[93:94], v[99:100]
	v_add_f64 v[37:38], v[37:38], -v[97:98]
	v_fma_f64 v[93:94], v[95:96], v[125:126], v[93:94]
	v_add_f64 v[39:40], v[39:40], -v[93:94]
	ds_read2_b64 v[93:96], v90 offset0:76 offset1:77
	s_waitcnt lgkmcnt(0)
	v_mul_f64 v[97:98], v[95:96], v[99:100]
	v_fma_f64 v[97:98], v[93:94], v[125:126], -v[97:98]
	v_mul_f64 v[93:94], v[93:94], v[99:100]
	v_add_f64 v[33:34], v[33:34], -v[97:98]
	v_fma_f64 v[93:94], v[95:96], v[125:126], v[93:94]
	v_add_f64 v[35:36], v[35:36], -v[93:94]
	ds_read2_b64 v[93:96], v90 offset0:78 offset1:79
	s_waitcnt lgkmcnt(0)
	v_mul_f64 v[97:98], v[95:96], v[99:100]
	v_fma_f64 v[97:98], v[93:94], v[125:126], -v[97:98]
	v_mul_f64 v[93:94], v[93:94], v[99:100]
	v_add_f64 v[29:30], v[29:30], -v[97:98]
	v_fma_f64 v[93:94], v[95:96], v[125:126], v[93:94]
	v_add_f64 v[31:32], v[31:32], -v[93:94]
	ds_read2_b64 v[93:96], v90 offset0:80 offset1:81
	s_waitcnt lgkmcnt(0)
	v_mul_f64 v[97:98], v[95:96], v[99:100]
	v_fma_f64 v[97:98], v[93:94], v[125:126], -v[97:98]
	v_mul_f64 v[93:94], v[93:94], v[99:100]
	v_add_f64 v[25:26], v[25:26], -v[97:98]
	v_fma_f64 v[93:94], v[95:96], v[125:126], v[93:94]
	v_add_f64 v[27:28], v[27:28], -v[93:94]
	ds_read2_b64 v[93:96], v90 offset0:82 offset1:83
	s_waitcnt lgkmcnt(0)
	v_mul_f64 v[97:98], v[95:96], v[99:100]
	v_fma_f64 v[97:98], v[93:94], v[125:126], -v[97:98]
	v_mul_f64 v[93:94], v[93:94], v[99:100]
	v_add_f64 v[21:22], v[21:22], -v[97:98]
	v_fma_f64 v[93:94], v[95:96], v[125:126], v[93:94]
	v_add_f64 v[23:24], v[23:24], -v[93:94]
	ds_read2_b64 v[93:96], v90 offset0:84 offset1:85
	s_waitcnt lgkmcnt(0)
	v_mul_f64 v[97:98], v[95:96], v[99:100]
	v_fma_f64 v[97:98], v[93:94], v[125:126], -v[97:98]
	v_mul_f64 v[93:94], v[93:94], v[99:100]
	v_add_f64 v[17:18], v[17:18], -v[97:98]
	v_fma_f64 v[93:94], v[95:96], v[125:126], v[93:94]
	v_add_f64 v[19:20], v[19:20], -v[93:94]
	ds_read2_b64 v[93:96], v90 offset0:86 offset1:87
	s_waitcnt lgkmcnt(0)
	v_mul_f64 v[97:98], v[95:96], v[99:100]
	v_fma_f64 v[97:98], v[93:94], v[125:126], -v[97:98]
	v_mul_f64 v[93:94], v[93:94], v[99:100]
	v_add_f64 v[13:14], v[13:14], -v[97:98]
	v_fma_f64 v[93:94], v[95:96], v[125:126], v[93:94]
	v_add_f64 v[15:16], v[15:16], -v[93:94]
	ds_read2_b64 v[93:96], v90 offset0:88 offset1:89
	s_waitcnt lgkmcnt(0)
	v_mul_f64 v[97:98], v[95:96], v[99:100]
	v_fma_f64 v[97:98], v[93:94], v[125:126], -v[97:98]
	v_mul_f64 v[93:94], v[93:94], v[99:100]
	v_add_f64 v[9:10], v[9:10], -v[97:98]
	v_fma_f64 v[93:94], v[95:96], v[125:126], v[93:94]
	v_add_f64 v[11:12], v[11:12], -v[93:94]
	ds_read2_b64 v[93:96], v90 offset0:90 offset1:91
	s_waitcnt lgkmcnt(0)
	v_mul_f64 v[97:98], v[95:96], v[99:100]
	v_fma_f64 v[97:98], v[93:94], v[125:126], -v[97:98]
	v_mul_f64 v[93:94], v[93:94], v[99:100]
	v_add_f64 v[5:6], v[5:6], -v[97:98]
	v_fma_f64 v[93:94], v[95:96], v[125:126], v[93:94]
	v_add_f64 v[7:8], v[7:8], -v[93:94]
	ds_read2_b64 v[93:96], v90 offset0:92 offset1:93
	s_waitcnt lgkmcnt(0)
	v_mul_f64 v[97:98], v[95:96], v[99:100]
	v_fma_f64 v[97:98], v[93:94], v[125:126], -v[97:98]
	v_mul_f64 v[93:94], v[93:94], v[99:100]
	v_add_f64 v[1:2], v[1:2], -v[97:98]
	v_fma_f64 v[93:94], v[95:96], v[125:126], v[93:94]
	v_add_f64 v[3:4], v[3:4], -v[93:94]
	ds_read2_b64 v[93:96], v90 offset0:94 offset1:95
	s_waitcnt lgkmcnt(0)
	v_mul_f64 v[97:98], v[95:96], v[99:100]
	v_fma_f64 v[97:98], v[93:94], v[125:126], -v[97:98]
	v_mul_f64 v[93:94], v[93:94], v[99:100]
	v_add_f64 v[121:122], v[121:122], -v[97:98]
	v_fma_f64 v[93:94], v[95:96], v[125:126], v[93:94]
	v_mov_b32_e32 v97, v125
	v_mov_b32_e32 v98, v126
	buffer_store_dword v97, off, s[24:27], 0 offset:304 ; 4-byte Folded Spill
	s_nop 0
	buffer_store_dword v98, off, s[24:27], 0 offset:308 ; 4-byte Folded Spill
	buffer_store_dword v99, off, s[24:27], 0 offset:312 ; 4-byte Folded Spill
	;; [unrolled: 1-line block ×3, first 2 shown]
	v_add_f64 v[123:124], v[123:124], -v[93:94]
.LBB94_125:
	s_or_b64 exec, exec, s[0:1]
	s_waitcnt vmcnt(0)
	s_barrier
	buffer_load_dword v81, off, s[24:27], 0 offset:288 ; 4-byte Folded Reload
	buffer_load_dword v82, off, s[24:27], 0 offset:292 ; 4-byte Folded Reload
	;; [unrolled: 1-line block ×4, first 2 shown]
	v_lshl_add_u32 v93, v92, 4, v90
	s_cmp_lt_i32 s3, 8
	s_waitcnt vmcnt(0)
	ds_write2_b64 v93, v[81:82], v[83:84] offset1:1
	s_waitcnt lgkmcnt(0)
	s_barrier
	ds_read2_b64 v[117:120], v90 offset0:12 offset1:13
	v_mov_b32_e32 v93, 6
	s_cbranch_scc1 .LBB94_128
; %bb.126:
	v_add_u32_e32 v94, 0x70, v90
	s_mov_b32 s0, 7
	v_mov_b32_e32 v93, 6
.LBB94_127:                             ; =>This Inner Loop Header: Depth=1
	s_waitcnt lgkmcnt(0)
	v_cmp_gt_f64_e32 vcc, 0, v[117:118]
	v_xor_b32_e32 v99, 0x80000000, v118
	ds_read2_b64 v[95:98], v94 offset1:1
	v_xor_b32_e32 v101, 0x80000000, v120
	v_add_u32_e32 v94, 16, v94
	s_waitcnt lgkmcnt(0)
	v_xor_b32_e32 v103, 0x80000000, v98
	v_cndmask_b32_e32 v100, v118, v99, vcc
	v_cmp_gt_f64_e32 vcc, 0, v[119:120]
	v_mov_b32_e32 v99, v117
	v_cndmask_b32_e32 v102, v120, v101, vcc
	v_cmp_gt_f64_e32 vcc, 0, v[95:96]
	v_mov_b32_e32 v101, v119
	v_add_f64 v[99:100], v[99:100], v[101:102]
	v_xor_b32_e32 v101, 0x80000000, v96
	v_cndmask_b32_e32 v102, v96, v101, vcc
	v_cmp_gt_f64_e32 vcc, 0, v[97:98]
	v_mov_b32_e32 v101, v95
	v_cndmask_b32_e32 v104, v98, v103, vcc
	v_mov_b32_e32 v103, v97
	v_add_f64 v[101:102], v[101:102], v[103:104]
	v_cmp_lt_f64_e32 vcc, v[99:100], v[101:102]
	v_cndmask_b32_e32 v117, v117, v95, vcc
	v_mov_b32_e32 v95, s0
	s_add_i32 s0, s0, 1
	v_cndmask_b32_e32 v118, v118, v96, vcc
	v_cndmask_b32_e32 v120, v120, v98, vcc
	;; [unrolled: 1-line block ×4, first 2 shown]
	s_cmp_lg_u32 s3, s0
	s_cbranch_scc1 .LBB94_127
.LBB94_128:
	s_waitcnt lgkmcnt(0)
	v_cmp_eq_f64_e32 vcc, 0, v[117:118]
	v_cmp_eq_f64_e64 s[0:1], 0, v[119:120]
	s_and_b64 s[0:1], vcc, s[0:1]
	s_and_saveexec_b64 s[18:19], s[0:1]
	s_xor_b64 s[0:1], exec, s[18:19]
; %bb.129:
	v_cmp_ne_u32_e32 vcc, 0, v91
	v_cndmask_b32_e32 v91, 7, v91, vcc
; %bb.130:
	s_andn2_saveexec_b64 s[0:1], s[0:1]
	s_cbranch_execz .LBB94_136
; %bb.131:
	v_cmp_ngt_f64_e64 s[18:19], |v[117:118]|, |v[119:120]|
	s_and_saveexec_b64 s[20:21], s[18:19]
	s_xor_b64 s[18:19], exec, s[20:21]
	s_cbranch_execz .LBB94_133
; %bb.132:
	v_div_scale_f64 v[94:95], s[20:21], v[119:120], v[119:120], v[117:118]
	v_rcp_f64_e32 v[96:97], v[94:95]
	v_fma_f64 v[98:99], -v[94:95], v[96:97], 1.0
	v_fma_f64 v[96:97], v[96:97], v[98:99], v[96:97]
	v_div_scale_f64 v[98:99], vcc, v[117:118], v[119:120], v[117:118]
	v_fma_f64 v[100:101], -v[94:95], v[96:97], 1.0
	v_fma_f64 v[96:97], v[96:97], v[100:101], v[96:97]
	v_mul_f64 v[100:101], v[98:99], v[96:97]
	v_fma_f64 v[94:95], -v[94:95], v[100:101], v[98:99]
	v_div_fmas_f64 v[94:95], v[94:95], v[96:97], v[100:101]
	v_div_fixup_f64 v[94:95], v[94:95], v[119:120], v[117:118]
	v_fma_f64 v[96:97], v[117:118], v[94:95], v[119:120]
	v_div_scale_f64 v[98:99], s[20:21], v[96:97], v[96:97], 1.0
	v_div_scale_f64 v[104:105], vcc, 1.0, v[96:97], 1.0
	v_rcp_f64_e32 v[100:101], v[98:99]
	v_fma_f64 v[102:103], -v[98:99], v[100:101], 1.0
	v_fma_f64 v[100:101], v[100:101], v[102:103], v[100:101]
	v_fma_f64 v[102:103], -v[98:99], v[100:101], 1.0
	v_fma_f64 v[100:101], v[100:101], v[102:103], v[100:101]
	v_mul_f64 v[102:103], v[104:105], v[100:101]
	v_fma_f64 v[98:99], -v[98:99], v[102:103], v[104:105]
	v_div_fmas_f64 v[98:99], v[98:99], v[100:101], v[102:103]
	v_div_fixup_f64 v[119:120], v[98:99], v[96:97], 1.0
	v_mul_f64 v[117:118], v[94:95], v[119:120]
	v_xor_b32_e32 v120, 0x80000000, v120
.LBB94_133:
	s_andn2_saveexec_b64 s[18:19], s[18:19]
	s_cbranch_execz .LBB94_135
; %bb.134:
	v_div_scale_f64 v[94:95], s[20:21], v[117:118], v[117:118], v[119:120]
	v_rcp_f64_e32 v[96:97], v[94:95]
	v_fma_f64 v[98:99], -v[94:95], v[96:97], 1.0
	v_fma_f64 v[96:97], v[96:97], v[98:99], v[96:97]
	v_div_scale_f64 v[98:99], vcc, v[119:120], v[117:118], v[119:120]
	v_fma_f64 v[100:101], -v[94:95], v[96:97], 1.0
	v_fma_f64 v[96:97], v[96:97], v[100:101], v[96:97]
	v_mul_f64 v[100:101], v[98:99], v[96:97]
	v_fma_f64 v[94:95], -v[94:95], v[100:101], v[98:99]
	v_div_fmas_f64 v[94:95], v[94:95], v[96:97], v[100:101]
	v_div_fixup_f64 v[94:95], v[94:95], v[117:118], v[119:120]
	v_fma_f64 v[96:97], v[119:120], v[94:95], v[117:118]
	v_div_scale_f64 v[98:99], s[20:21], v[96:97], v[96:97], 1.0
	v_div_scale_f64 v[104:105], vcc, 1.0, v[96:97], 1.0
	v_rcp_f64_e32 v[100:101], v[98:99]
	v_fma_f64 v[102:103], -v[98:99], v[100:101], 1.0
	v_fma_f64 v[100:101], v[100:101], v[102:103], v[100:101]
	v_fma_f64 v[102:103], -v[98:99], v[100:101], 1.0
	v_fma_f64 v[100:101], v[100:101], v[102:103], v[100:101]
	v_mul_f64 v[102:103], v[104:105], v[100:101]
	v_fma_f64 v[98:99], -v[98:99], v[102:103], v[104:105]
	v_div_fmas_f64 v[98:99], v[98:99], v[100:101], v[102:103]
	v_div_fixup_f64 v[117:118], v[98:99], v[96:97], 1.0
	v_mul_f64 v[119:120], v[94:95], -v[117:118]
.LBB94_135:
	s_or_b64 exec, exec, s[18:19]
.LBB94_136:
	s_or_b64 exec, exec, s[0:1]
	v_cmp_ne_u32_e32 vcc, v92, v93
	s_and_saveexec_b64 s[0:1], vcc
	s_xor_b64 s[0:1], exec, s[0:1]
	s_cbranch_execz .LBB94_142
; %bb.137:
	v_cmp_eq_u32_e32 vcc, 6, v92
	s_and_saveexec_b64 s[18:19], vcc
	s_cbranch_execz .LBB94_141
; %bb.138:
	v_cmp_ne_u32_e32 vcc, 6, v93
	s_xor_b64 s[20:21], s[6:7], -1
	s_and_b64 s[22:23], s[20:21], vcc
	s_and_saveexec_b64 s[20:21], s[22:23]
	s_cbranch_execz .LBB94_140
; %bb.139:
	v_mov_b32_e32 v81, v85
	v_mov_b32_e32 v82, v86
	;; [unrolled: 1-line block ×4, first 2 shown]
	buffer_load_dword v85, off, s[24:27], 0 offset:352 ; 4-byte Folded Reload
	buffer_load_dword v86, off, s[24:27], 0 offset:356 ; 4-byte Folded Reload
	v_ashrrev_i32_e32 v94, 31, v93
	v_lshlrev_b64 v[94:95], 2, v[93:94]
	s_waitcnt vmcnt(1)
	v_add_co_u32_e32 v94, vcc, v85, v94
	s_waitcnt vmcnt(0)
	v_addc_co_u32_e32 v95, vcc, v86, v95, vcc
	global_load_dword v0, v[94:95], off
	global_load_dword v92, v[85:86], off offset:24
	s_waitcnt vmcnt(1)
	global_store_dword v[85:86], v0, off offset:24
	v_mov_b32_e32 v88, v84
	v_mov_b32_e32 v87, v83
	;; [unrolled: 1-line block ×4, first 2 shown]
	s_waitcnt vmcnt(1)
	global_store_dword v[94:95], v92, off
.LBB94_140:
	s_or_b64 exec, exec, s[20:21]
	v_mov_b32_e32 v92, v93
	v_mov_b32_e32 v0, v93
.LBB94_141:
	s_or_b64 exec, exec, s[18:19]
.LBB94_142:
	s_andn2_saveexec_b64 s[0:1], s[0:1]
	s_cbranch_execz .LBB94_144
; %bb.143:
	buffer_load_dword v81, off, s[24:27], 0 offset:272 ; 4-byte Folded Reload
	buffer_load_dword v82, off, s[24:27], 0 offset:276 ; 4-byte Folded Reload
	;; [unrolled: 1-line block ×4, first 2 shown]
	v_mov_b32_e32 v92, 6
	s_waitcnt vmcnt(0)
	ds_write2_b64 v90, v[81:82], v[83:84] offset0:14 offset1:15
	buffer_load_dword v81, off, s[24:27], 0 offset:256 ; 4-byte Folded Reload
	buffer_load_dword v82, off, s[24:27], 0 offset:260 ; 4-byte Folded Reload
	buffer_load_dword v83, off, s[24:27], 0 offset:264 ; 4-byte Folded Reload
	buffer_load_dword v84, off, s[24:27], 0 offset:268 ; 4-byte Folded Reload
	s_waitcnt vmcnt(0)
	ds_write2_b64 v90, v[81:82], v[83:84] offset0:16 offset1:17
	buffer_load_dword v81, off, s[24:27], 0 offset:240 ; 4-byte Folded Reload
	buffer_load_dword v82, off, s[24:27], 0 offset:244 ; 4-byte Folded Reload
	buffer_load_dword v83, off, s[24:27], 0 offset:248 ; 4-byte Folded Reload
	buffer_load_dword v84, off, s[24:27], 0 offset:252 ; 4-byte Folded Reload
	;; [unrolled: 6-line block ×16, first 2 shown]
	s_waitcnt vmcnt(0)
	ds_write2_b64 v90, v[81:82], v[83:84] offset0:46 offset1:47
	ds_write2_b64 v90, v[85:86], v[87:88] offset0:48 offset1:49
	;; [unrolled: 1-line block ×3, first 2 shown]
	buffer_load_dword v81, off, s[24:27], 0 ; 4-byte Folded Reload
	buffer_load_dword v82, off, s[24:27], 0 offset:4 ; 4-byte Folded Reload
	buffer_load_dword v83, off, s[24:27], 0 offset:8 ; 4-byte Folded Reload
	;; [unrolled: 1-line block ×3, first 2 shown]
	s_waitcnt vmcnt(0)
	ds_write2_b64 v90, v[81:82], v[83:84] offset0:52 offset1:53
	ds_write2_b64 v90, v[77:78], v[79:80] offset0:54 offset1:55
	;; [unrolled: 1-line block ×22, first 2 shown]
.LBB94_144:
	s_or_b64 exec, exec, s[0:1]
	v_cmp_lt_i32_e32 vcc, 6, v92
	s_waitcnt vmcnt(0) lgkmcnt(0)
	s_barrier
	s_and_saveexec_b64 s[0:1], vcc
	s_cbranch_execz .LBB94_146
; %bb.145:
	buffer_load_dword v97, off, s[24:27], 0 offset:288 ; 4-byte Folded Reload
	buffer_load_dword v98, off, s[24:27], 0 offset:292 ; 4-byte Folded Reload
	;; [unrolled: 1-line block ×4, first 2 shown]
	s_waitcnt vmcnt(0)
	v_mul_f64 v[93:94], v[119:120], v[99:100]
	v_fma_f64 v[125:126], v[117:118], v[97:98], -v[93:94]
	v_mul_f64 v[93:94], v[117:118], v[99:100]
	v_fma_f64 v[99:100], v[119:120], v[97:98], v[93:94]
	ds_read2_b64 v[93:96], v90 offset0:14 offset1:15
	buffer_load_dword v81, off, s[24:27], 0 offset:272 ; 4-byte Folded Reload
	buffer_load_dword v82, off, s[24:27], 0 offset:276 ; 4-byte Folded Reload
	buffer_load_dword v83, off, s[24:27], 0 offset:280 ; 4-byte Folded Reload
	buffer_load_dword v84, off, s[24:27], 0 offset:284 ; 4-byte Folded Reload
	s_waitcnt lgkmcnt(0)
	v_mul_f64 v[97:98], v[95:96], v[99:100]
	v_fma_f64 v[97:98], v[93:94], v[125:126], -v[97:98]
	v_mul_f64 v[93:94], v[93:94], v[99:100]
	v_fma_f64 v[93:94], v[95:96], v[125:126], v[93:94]
	s_waitcnt vmcnt(2)
	v_add_f64 v[81:82], v[81:82], -v[97:98]
	s_waitcnt vmcnt(0)
	v_add_f64 v[83:84], v[83:84], -v[93:94]
	buffer_store_dword v81, off, s[24:27], 0 offset:272 ; 4-byte Folded Spill
	s_nop 0
	buffer_store_dword v82, off, s[24:27], 0 offset:276 ; 4-byte Folded Spill
	buffer_store_dword v83, off, s[24:27], 0 offset:280 ; 4-byte Folded Spill
	buffer_store_dword v84, off, s[24:27], 0 offset:284 ; 4-byte Folded Spill
	ds_read2_b64 v[93:96], v90 offset0:16 offset1:17
	buffer_load_dword v81, off, s[24:27], 0 offset:256 ; 4-byte Folded Reload
	buffer_load_dword v82, off, s[24:27], 0 offset:260 ; 4-byte Folded Reload
	buffer_load_dword v83, off, s[24:27], 0 offset:264 ; 4-byte Folded Reload
	buffer_load_dword v84, off, s[24:27], 0 offset:268 ; 4-byte Folded Reload
	s_waitcnt lgkmcnt(0)
	v_mul_f64 v[97:98], v[95:96], v[99:100]
	v_fma_f64 v[97:98], v[93:94], v[125:126], -v[97:98]
	v_mul_f64 v[93:94], v[93:94], v[99:100]
	v_fma_f64 v[93:94], v[95:96], v[125:126], v[93:94]
	s_waitcnt vmcnt(2)
	v_add_f64 v[81:82], v[81:82], -v[97:98]
	s_waitcnt vmcnt(0)
	v_add_f64 v[83:84], v[83:84], -v[93:94]
	buffer_store_dword v81, off, s[24:27], 0 offset:256 ; 4-byte Folded Spill
	s_nop 0
	buffer_store_dword v82, off, s[24:27], 0 offset:260 ; 4-byte Folded Spill
	buffer_store_dword v83, off, s[24:27], 0 offset:264 ; 4-byte Folded Spill
	buffer_store_dword v84, off, s[24:27], 0 offset:268 ; 4-byte Folded Spill
	;; [unrolled: 19-line block ×17, first 2 shown]
	ds_read2_b64 v[93:96], v90 offset0:48 offset1:49
	s_waitcnt lgkmcnt(0)
	v_mul_f64 v[97:98], v[95:96], v[99:100]
	v_fma_f64 v[97:98], v[93:94], v[125:126], -v[97:98]
	v_mul_f64 v[93:94], v[93:94], v[99:100]
	v_add_f64 v[85:86], v[85:86], -v[97:98]
	v_fma_f64 v[93:94], v[95:96], v[125:126], v[93:94]
	v_add_f64 v[87:88], v[87:88], -v[93:94]
	ds_read2_b64 v[93:96], v90 offset0:50 offset1:51
	s_waitcnt lgkmcnt(0)
	v_mul_f64 v[97:98], v[95:96], v[99:100]
	v_fma_f64 v[97:98], v[93:94], v[125:126], -v[97:98]
	v_mul_f64 v[93:94], v[93:94], v[99:100]
	v_add_f64 v[111:112], v[111:112], -v[97:98]
	v_fma_f64 v[93:94], v[95:96], v[125:126], v[93:94]
	v_add_f64 v[113:114], v[113:114], -v[93:94]
	ds_read2_b64 v[93:96], v90 offset0:52 offset1:53
	buffer_load_dword v81, off, s[24:27], 0 ; 4-byte Folded Reload
	buffer_load_dword v82, off, s[24:27], 0 offset:4 ; 4-byte Folded Reload
	buffer_load_dword v83, off, s[24:27], 0 offset:8 ; 4-byte Folded Reload
	;; [unrolled: 1-line block ×3, first 2 shown]
	s_waitcnt lgkmcnt(0)
	v_mul_f64 v[97:98], v[95:96], v[99:100]
	v_fma_f64 v[97:98], v[93:94], v[125:126], -v[97:98]
	v_mul_f64 v[93:94], v[93:94], v[99:100]
	v_fma_f64 v[93:94], v[95:96], v[125:126], v[93:94]
	s_waitcnt vmcnt(2)
	v_add_f64 v[81:82], v[81:82], -v[97:98]
	s_waitcnt vmcnt(0)
	v_add_f64 v[83:84], v[83:84], -v[93:94]
	buffer_store_dword v81, off, s[24:27], 0 ; 4-byte Folded Spill
	s_nop 0
	buffer_store_dword v82, off, s[24:27], 0 offset:4 ; 4-byte Folded Spill
	buffer_store_dword v83, off, s[24:27], 0 offset:8 ; 4-byte Folded Spill
	;; [unrolled: 1-line block ×3, first 2 shown]
	ds_read2_b64 v[93:96], v90 offset0:54 offset1:55
	s_waitcnt lgkmcnt(0)
	v_mul_f64 v[97:98], v[95:96], v[99:100]
	v_fma_f64 v[97:98], v[93:94], v[125:126], -v[97:98]
	v_mul_f64 v[93:94], v[93:94], v[99:100]
	v_add_f64 v[77:78], v[77:78], -v[97:98]
	v_fma_f64 v[93:94], v[95:96], v[125:126], v[93:94]
	v_add_f64 v[79:80], v[79:80], -v[93:94]
	ds_read2_b64 v[93:96], v90 offset0:56 offset1:57
	s_waitcnt lgkmcnt(0)
	v_mul_f64 v[97:98], v[95:96], v[99:100]
	v_fma_f64 v[97:98], v[93:94], v[125:126], -v[97:98]
	v_mul_f64 v[93:94], v[93:94], v[99:100]
	v_add_f64 v[73:74], v[73:74], -v[97:98]
	v_fma_f64 v[93:94], v[95:96], v[125:126], v[93:94]
	v_add_f64 v[75:76], v[75:76], -v[93:94]
	;; [unrolled: 8-line block ×20, first 2 shown]
	ds_read2_b64 v[93:96], v90 offset0:94 offset1:95
	s_waitcnt lgkmcnt(0)
	v_mul_f64 v[97:98], v[95:96], v[99:100]
	v_fma_f64 v[97:98], v[93:94], v[125:126], -v[97:98]
	v_mul_f64 v[93:94], v[93:94], v[99:100]
	v_add_f64 v[121:122], v[121:122], -v[97:98]
	v_fma_f64 v[93:94], v[95:96], v[125:126], v[93:94]
	v_mov_b32_e32 v97, v125
	v_mov_b32_e32 v98, v126
	buffer_store_dword v97, off, s[24:27], 0 offset:288 ; 4-byte Folded Spill
	s_nop 0
	buffer_store_dword v98, off, s[24:27], 0 offset:292 ; 4-byte Folded Spill
	buffer_store_dword v99, off, s[24:27], 0 offset:296 ; 4-byte Folded Spill
	buffer_store_dword v100, off, s[24:27], 0 offset:300 ; 4-byte Folded Spill
	v_add_f64 v[123:124], v[123:124], -v[93:94]
.LBB94_146:
	s_or_b64 exec, exec, s[0:1]
	s_waitcnt vmcnt(0)
	s_barrier
	buffer_load_dword v81, off, s[24:27], 0 offset:272 ; 4-byte Folded Reload
	buffer_load_dword v82, off, s[24:27], 0 offset:276 ; 4-byte Folded Reload
	;; [unrolled: 1-line block ×4, first 2 shown]
	v_lshl_add_u32 v93, v92, 4, v90
	s_cmp_lt_i32 s3, 9
	s_waitcnt vmcnt(0)
	ds_write2_b64 v93, v[81:82], v[83:84] offset1:1
	s_waitcnt lgkmcnt(0)
	s_barrier
	ds_read2_b64 v[117:120], v90 offset0:14 offset1:15
	v_mov_b32_e32 v93, 7
	s_cbranch_scc1 .LBB94_149
; %bb.147:
	v_add_u32_e32 v94, 0x80, v90
	s_mov_b32 s0, 8
	v_mov_b32_e32 v93, 7
.LBB94_148:                             ; =>This Inner Loop Header: Depth=1
	s_waitcnt lgkmcnt(0)
	v_cmp_gt_f64_e32 vcc, 0, v[117:118]
	v_xor_b32_e32 v99, 0x80000000, v118
	ds_read2_b64 v[95:98], v94 offset1:1
	v_xor_b32_e32 v101, 0x80000000, v120
	v_add_u32_e32 v94, 16, v94
	s_waitcnt lgkmcnt(0)
	v_xor_b32_e32 v103, 0x80000000, v98
	v_cndmask_b32_e32 v100, v118, v99, vcc
	v_cmp_gt_f64_e32 vcc, 0, v[119:120]
	v_mov_b32_e32 v99, v117
	v_cndmask_b32_e32 v102, v120, v101, vcc
	v_cmp_gt_f64_e32 vcc, 0, v[95:96]
	v_mov_b32_e32 v101, v119
	v_add_f64 v[99:100], v[99:100], v[101:102]
	v_xor_b32_e32 v101, 0x80000000, v96
	v_cndmask_b32_e32 v102, v96, v101, vcc
	v_cmp_gt_f64_e32 vcc, 0, v[97:98]
	v_mov_b32_e32 v101, v95
	v_cndmask_b32_e32 v104, v98, v103, vcc
	v_mov_b32_e32 v103, v97
	v_add_f64 v[101:102], v[101:102], v[103:104]
	v_cmp_lt_f64_e32 vcc, v[99:100], v[101:102]
	v_cndmask_b32_e32 v117, v117, v95, vcc
	v_mov_b32_e32 v95, s0
	s_add_i32 s0, s0, 1
	v_cndmask_b32_e32 v118, v118, v96, vcc
	v_cndmask_b32_e32 v120, v120, v98, vcc
	;; [unrolled: 1-line block ×4, first 2 shown]
	s_cmp_lg_u32 s3, s0
	s_cbranch_scc1 .LBB94_148
.LBB94_149:
	s_waitcnt lgkmcnt(0)
	v_cmp_eq_f64_e32 vcc, 0, v[117:118]
	v_cmp_eq_f64_e64 s[0:1], 0, v[119:120]
	s_and_b64 s[0:1], vcc, s[0:1]
	s_and_saveexec_b64 s[18:19], s[0:1]
	s_xor_b64 s[0:1], exec, s[18:19]
; %bb.150:
	v_cmp_ne_u32_e32 vcc, 0, v91
	v_cndmask_b32_e32 v91, 8, v91, vcc
; %bb.151:
	s_andn2_saveexec_b64 s[0:1], s[0:1]
	s_cbranch_execz .LBB94_157
; %bb.152:
	v_cmp_ngt_f64_e64 s[18:19], |v[117:118]|, |v[119:120]|
	s_and_saveexec_b64 s[20:21], s[18:19]
	s_xor_b64 s[18:19], exec, s[20:21]
	s_cbranch_execz .LBB94_154
; %bb.153:
	v_div_scale_f64 v[94:95], s[20:21], v[119:120], v[119:120], v[117:118]
	v_rcp_f64_e32 v[96:97], v[94:95]
	v_fma_f64 v[98:99], -v[94:95], v[96:97], 1.0
	v_fma_f64 v[96:97], v[96:97], v[98:99], v[96:97]
	v_div_scale_f64 v[98:99], vcc, v[117:118], v[119:120], v[117:118]
	v_fma_f64 v[100:101], -v[94:95], v[96:97], 1.0
	v_fma_f64 v[96:97], v[96:97], v[100:101], v[96:97]
	v_mul_f64 v[100:101], v[98:99], v[96:97]
	v_fma_f64 v[94:95], -v[94:95], v[100:101], v[98:99]
	v_div_fmas_f64 v[94:95], v[94:95], v[96:97], v[100:101]
	v_div_fixup_f64 v[94:95], v[94:95], v[119:120], v[117:118]
	v_fma_f64 v[96:97], v[117:118], v[94:95], v[119:120]
	v_div_scale_f64 v[98:99], s[20:21], v[96:97], v[96:97], 1.0
	v_div_scale_f64 v[104:105], vcc, 1.0, v[96:97], 1.0
	v_rcp_f64_e32 v[100:101], v[98:99]
	v_fma_f64 v[102:103], -v[98:99], v[100:101], 1.0
	v_fma_f64 v[100:101], v[100:101], v[102:103], v[100:101]
	v_fma_f64 v[102:103], -v[98:99], v[100:101], 1.0
	v_fma_f64 v[100:101], v[100:101], v[102:103], v[100:101]
	v_mul_f64 v[102:103], v[104:105], v[100:101]
	v_fma_f64 v[98:99], -v[98:99], v[102:103], v[104:105]
	v_div_fmas_f64 v[98:99], v[98:99], v[100:101], v[102:103]
	v_div_fixup_f64 v[119:120], v[98:99], v[96:97], 1.0
	v_mul_f64 v[117:118], v[94:95], v[119:120]
	v_xor_b32_e32 v120, 0x80000000, v120
.LBB94_154:
	s_andn2_saveexec_b64 s[18:19], s[18:19]
	s_cbranch_execz .LBB94_156
; %bb.155:
	v_div_scale_f64 v[94:95], s[20:21], v[117:118], v[117:118], v[119:120]
	v_rcp_f64_e32 v[96:97], v[94:95]
	v_fma_f64 v[98:99], -v[94:95], v[96:97], 1.0
	v_fma_f64 v[96:97], v[96:97], v[98:99], v[96:97]
	v_div_scale_f64 v[98:99], vcc, v[119:120], v[117:118], v[119:120]
	v_fma_f64 v[100:101], -v[94:95], v[96:97], 1.0
	v_fma_f64 v[96:97], v[96:97], v[100:101], v[96:97]
	v_mul_f64 v[100:101], v[98:99], v[96:97]
	v_fma_f64 v[94:95], -v[94:95], v[100:101], v[98:99]
	v_div_fmas_f64 v[94:95], v[94:95], v[96:97], v[100:101]
	v_div_fixup_f64 v[94:95], v[94:95], v[117:118], v[119:120]
	v_fma_f64 v[96:97], v[119:120], v[94:95], v[117:118]
	v_div_scale_f64 v[98:99], s[20:21], v[96:97], v[96:97], 1.0
	v_div_scale_f64 v[104:105], vcc, 1.0, v[96:97], 1.0
	v_rcp_f64_e32 v[100:101], v[98:99]
	v_fma_f64 v[102:103], -v[98:99], v[100:101], 1.0
	v_fma_f64 v[100:101], v[100:101], v[102:103], v[100:101]
	v_fma_f64 v[102:103], -v[98:99], v[100:101], 1.0
	v_fma_f64 v[100:101], v[100:101], v[102:103], v[100:101]
	v_mul_f64 v[102:103], v[104:105], v[100:101]
	v_fma_f64 v[98:99], -v[98:99], v[102:103], v[104:105]
	v_div_fmas_f64 v[98:99], v[98:99], v[100:101], v[102:103]
	v_div_fixup_f64 v[117:118], v[98:99], v[96:97], 1.0
	v_mul_f64 v[119:120], v[94:95], -v[117:118]
.LBB94_156:
	s_or_b64 exec, exec, s[18:19]
.LBB94_157:
	s_or_b64 exec, exec, s[0:1]
	v_cmp_ne_u32_e32 vcc, v92, v93
	s_and_saveexec_b64 s[0:1], vcc
	s_xor_b64 s[0:1], exec, s[0:1]
	s_cbranch_execz .LBB94_163
; %bb.158:
	v_cmp_eq_u32_e32 vcc, 7, v92
	s_and_saveexec_b64 s[18:19], vcc
	s_cbranch_execz .LBB94_162
; %bb.159:
	v_cmp_ne_u32_e32 vcc, 7, v93
	s_xor_b64 s[20:21], s[6:7], -1
	s_and_b64 s[22:23], s[20:21], vcc
	s_and_saveexec_b64 s[20:21], s[22:23]
	s_cbranch_execz .LBB94_161
; %bb.160:
	v_mov_b32_e32 v81, v85
	v_mov_b32_e32 v82, v86
	;; [unrolled: 1-line block ×4, first 2 shown]
	buffer_load_dword v85, off, s[24:27], 0 offset:352 ; 4-byte Folded Reload
	buffer_load_dword v86, off, s[24:27], 0 offset:356 ; 4-byte Folded Reload
	v_ashrrev_i32_e32 v94, 31, v93
	v_lshlrev_b64 v[94:95], 2, v[93:94]
	s_waitcnt vmcnt(1)
	v_add_co_u32_e32 v94, vcc, v85, v94
	s_waitcnt vmcnt(0)
	v_addc_co_u32_e32 v95, vcc, v86, v95, vcc
	global_load_dword v0, v[94:95], off
	global_load_dword v92, v[85:86], off offset:28
	s_waitcnt vmcnt(1)
	global_store_dword v[85:86], v0, off offset:28
	v_mov_b32_e32 v88, v84
	v_mov_b32_e32 v87, v83
	;; [unrolled: 1-line block ×4, first 2 shown]
	s_waitcnt vmcnt(1)
	global_store_dword v[94:95], v92, off
.LBB94_161:
	s_or_b64 exec, exec, s[20:21]
	v_mov_b32_e32 v92, v93
	v_mov_b32_e32 v0, v93
.LBB94_162:
	s_or_b64 exec, exec, s[18:19]
.LBB94_163:
	s_andn2_saveexec_b64 s[0:1], s[0:1]
	s_cbranch_execz .LBB94_165
; %bb.164:
	buffer_load_dword v81, off, s[24:27], 0 offset:256 ; 4-byte Folded Reload
	buffer_load_dword v82, off, s[24:27], 0 offset:260 ; 4-byte Folded Reload
	;; [unrolled: 1-line block ×4, first 2 shown]
	v_mov_b32_e32 v92, 7
	s_waitcnt vmcnt(0)
	ds_write2_b64 v90, v[81:82], v[83:84] offset0:16 offset1:17
	buffer_load_dword v81, off, s[24:27], 0 offset:240 ; 4-byte Folded Reload
	buffer_load_dword v82, off, s[24:27], 0 offset:244 ; 4-byte Folded Reload
	buffer_load_dword v83, off, s[24:27], 0 offset:248 ; 4-byte Folded Reload
	buffer_load_dword v84, off, s[24:27], 0 offset:252 ; 4-byte Folded Reload
	s_waitcnt vmcnt(0)
	ds_write2_b64 v90, v[81:82], v[83:84] offset0:18 offset1:19
	buffer_load_dword v81, off, s[24:27], 0 offset:224 ; 4-byte Folded Reload
	buffer_load_dword v82, off, s[24:27], 0 offset:228 ; 4-byte Folded Reload
	buffer_load_dword v83, off, s[24:27], 0 offset:232 ; 4-byte Folded Reload
	buffer_load_dword v84, off, s[24:27], 0 offset:236 ; 4-byte Folded Reload
	;; [unrolled: 6-line block ×15, first 2 shown]
	s_waitcnt vmcnt(0)
	ds_write2_b64 v90, v[81:82], v[83:84] offset0:46 offset1:47
	ds_write2_b64 v90, v[85:86], v[87:88] offset0:48 offset1:49
	ds_write2_b64 v90, v[111:112], v[113:114] offset0:50 offset1:51
	buffer_load_dword v81, off, s[24:27], 0 ; 4-byte Folded Reload
	buffer_load_dword v82, off, s[24:27], 0 offset:4 ; 4-byte Folded Reload
	buffer_load_dword v83, off, s[24:27], 0 offset:8 ; 4-byte Folded Reload
	;; [unrolled: 1-line block ×3, first 2 shown]
	s_waitcnt vmcnt(0)
	ds_write2_b64 v90, v[81:82], v[83:84] offset0:52 offset1:53
	ds_write2_b64 v90, v[77:78], v[79:80] offset0:54 offset1:55
	ds_write2_b64 v90, v[73:74], v[75:76] offset0:56 offset1:57
	ds_write2_b64 v90, v[69:70], v[71:72] offset0:58 offset1:59
	ds_write2_b64 v90, v[65:66], v[67:68] offset0:60 offset1:61
	ds_write2_b64 v90, v[61:62], v[63:64] offset0:62 offset1:63
	ds_write2_b64 v90, v[57:58], v[59:60] offset0:64 offset1:65
	ds_write2_b64 v90, v[53:54], v[55:56] offset0:66 offset1:67
	ds_write2_b64 v90, v[49:50], v[51:52] offset0:68 offset1:69
	ds_write2_b64 v90, v[45:46], v[47:48] offset0:70 offset1:71
	ds_write2_b64 v90, v[41:42], v[43:44] offset0:72 offset1:73
	ds_write2_b64 v90, v[37:38], v[39:40] offset0:74 offset1:75
	ds_write2_b64 v90, v[33:34], v[35:36] offset0:76 offset1:77
	ds_write2_b64 v90, v[29:30], v[31:32] offset0:78 offset1:79
	ds_write2_b64 v90, v[25:26], v[27:28] offset0:80 offset1:81
	ds_write2_b64 v90, v[21:22], v[23:24] offset0:82 offset1:83
	ds_write2_b64 v90, v[17:18], v[19:20] offset0:84 offset1:85
	ds_write2_b64 v90, v[13:14], v[15:16] offset0:86 offset1:87
	ds_write2_b64 v90, v[9:10], v[11:12] offset0:88 offset1:89
	ds_write2_b64 v90, v[5:6], v[7:8] offset0:90 offset1:91
	ds_write2_b64 v90, v[1:2], v[3:4] offset0:92 offset1:93
	ds_write2_b64 v90, v[121:122], v[123:124] offset0:94 offset1:95
.LBB94_165:
	s_or_b64 exec, exec, s[0:1]
	v_cmp_lt_i32_e32 vcc, 7, v92
	s_waitcnt vmcnt(0) lgkmcnt(0)
	s_barrier
	s_and_saveexec_b64 s[0:1], vcc
	s_cbranch_execz .LBB94_167
; %bb.166:
	buffer_load_dword v97, off, s[24:27], 0 offset:272 ; 4-byte Folded Reload
	buffer_load_dword v98, off, s[24:27], 0 offset:276 ; 4-byte Folded Reload
	;; [unrolled: 1-line block ×4, first 2 shown]
	s_waitcnt vmcnt(0)
	v_mul_f64 v[93:94], v[119:120], v[99:100]
	v_fma_f64 v[125:126], v[117:118], v[97:98], -v[93:94]
	v_mul_f64 v[93:94], v[117:118], v[99:100]
	v_fma_f64 v[99:100], v[119:120], v[97:98], v[93:94]
	ds_read2_b64 v[93:96], v90 offset0:16 offset1:17
	buffer_load_dword v81, off, s[24:27], 0 offset:256 ; 4-byte Folded Reload
	buffer_load_dword v82, off, s[24:27], 0 offset:260 ; 4-byte Folded Reload
	buffer_load_dword v83, off, s[24:27], 0 offset:264 ; 4-byte Folded Reload
	buffer_load_dword v84, off, s[24:27], 0 offset:268 ; 4-byte Folded Reload
	s_waitcnt lgkmcnt(0)
	v_mul_f64 v[97:98], v[95:96], v[99:100]
	v_fma_f64 v[97:98], v[93:94], v[125:126], -v[97:98]
	v_mul_f64 v[93:94], v[93:94], v[99:100]
	v_fma_f64 v[93:94], v[95:96], v[125:126], v[93:94]
	s_waitcnt vmcnt(2)
	v_add_f64 v[81:82], v[81:82], -v[97:98]
	s_waitcnt vmcnt(0)
	v_add_f64 v[83:84], v[83:84], -v[93:94]
	buffer_store_dword v81, off, s[24:27], 0 offset:256 ; 4-byte Folded Spill
	s_nop 0
	buffer_store_dword v82, off, s[24:27], 0 offset:260 ; 4-byte Folded Spill
	buffer_store_dword v83, off, s[24:27], 0 offset:264 ; 4-byte Folded Spill
	buffer_store_dword v84, off, s[24:27], 0 offset:268 ; 4-byte Folded Spill
	ds_read2_b64 v[93:96], v90 offset0:18 offset1:19
	buffer_load_dword v81, off, s[24:27], 0 offset:240 ; 4-byte Folded Reload
	buffer_load_dword v82, off, s[24:27], 0 offset:244 ; 4-byte Folded Reload
	buffer_load_dword v83, off, s[24:27], 0 offset:248 ; 4-byte Folded Reload
	buffer_load_dword v84, off, s[24:27], 0 offset:252 ; 4-byte Folded Reload
	s_waitcnt lgkmcnt(0)
	v_mul_f64 v[97:98], v[95:96], v[99:100]
	v_fma_f64 v[97:98], v[93:94], v[125:126], -v[97:98]
	v_mul_f64 v[93:94], v[93:94], v[99:100]
	v_fma_f64 v[93:94], v[95:96], v[125:126], v[93:94]
	s_waitcnt vmcnt(2)
	v_add_f64 v[81:82], v[81:82], -v[97:98]
	s_waitcnt vmcnt(0)
	v_add_f64 v[83:84], v[83:84], -v[93:94]
	buffer_store_dword v81, off, s[24:27], 0 offset:240 ; 4-byte Folded Spill
	s_nop 0
	buffer_store_dword v82, off, s[24:27], 0 offset:244 ; 4-byte Folded Spill
	buffer_store_dword v83, off, s[24:27], 0 offset:248 ; 4-byte Folded Spill
	buffer_store_dword v84, off, s[24:27], 0 offset:252 ; 4-byte Folded Spill
	;; [unrolled: 19-line block ×16, first 2 shown]
	ds_read2_b64 v[93:96], v90 offset0:48 offset1:49
	s_waitcnt lgkmcnt(0)
	v_mul_f64 v[97:98], v[95:96], v[99:100]
	v_fma_f64 v[97:98], v[93:94], v[125:126], -v[97:98]
	v_mul_f64 v[93:94], v[93:94], v[99:100]
	v_add_f64 v[85:86], v[85:86], -v[97:98]
	v_fma_f64 v[93:94], v[95:96], v[125:126], v[93:94]
	v_add_f64 v[87:88], v[87:88], -v[93:94]
	ds_read2_b64 v[93:96], v90 offset0:50 offset1:51
	s_waitcnt lgkmcnt(0)
	v_mul_f64 v[97:98], v[95:96], v[99:100]
	v_fma_f64 v[97:98], v[93:94], v[125:126], -v[97:98]
	v_mul_f64 v[93:94], v[93:94], v[99:100]
	v_add_f64 v[111:112], v[111:112], -v[97:98]
	v_fma_f64 v[93:94], v[95:96], v[125:126], v[93:94]
	v_add_f64 v[113:114], v[113:114], -v[93:94]
	ds_read2_b64 v[93:96], v90 offset0:52 offset1:53
	buffer_load_dword v81, off, s[24:27], 0 ; 4-byte Folded Reload
	buffer_load_dword v82, off, s[24:27], 0 offset:4 ; 4-byte Folded Reload
	buffer_load_dword v83, off, s[24:27], 0 offset:8 ; 4-byte Folded Reload
	;; [unrolled: 1-line block ×3, first 2 shown]
	s_waitcnt lgkmcnt(0)
	v_mul_f64 v[97:98], v[95:96], v[99:100]
	v_fma_f64 v[97:98], v[93:94], v[125:126], -v[97:98]
	v_mul_f64 v[93:94], v[93:94], v[99:100]
	v_fma_f64 v[93:94], v[95:96], v[125:126], v[93:94]
	s_waitcnt vmcnt(2)
	v_add_f64 v[81:82], v[81:82], -v[97:98]
	s_waitcnt vmcnt(0)
	v_add_f64 v[83:84], v[83:84], -v[93:94]
	buffer_store_dword v81, off, s[24:27], 0 ; 4-byte Folded Spill
	s_nop 0
	buffer_store_dword v82, off, s[24:27], 0 offset:4 ; 4-byte Folded Spill
	buffer_store_dword v83, off, s[24:27], 0 offset:8 ; 4-byte Folded Spill
	;; [unrolled: 1-line block ×3, first 2 shown]
	ds_read2_b64 v[93:96], v90 offset0:54 offset1:55
	s_waitcnt lgkmcnt(0)
	v_mul_f64 v[97:98], v[95:96], v[99:100]
	v_fma_f64 v[97:98], v[93:94], v[125:126], -v[97:98]
	v_mul_f64 v[93:94], v[93:94], v[99:100]
	v_add_f64 v[77:78], v[77:78], -v[97:98]
	v_fma_f64 v[93:94], v[95:96], v[125:126], v[93:94]
	v_add_f64 v[79:80], v[79:80], -v[93:94]
	ds_read2_b64 v[93:96], v90 offset0:56 offset1:57
	s_waitcnt lgkmcnt(0)
	v_mul_f64 v[97:98], v[95:96], v[99:100]
	v_fma_f64 v[97:98], v[93:94], v[125:126], -v[97:98]
	v_mul_f64 v[93:94], v[93:94], v[99:100]
	v_add_f64 v[73:74], v[73:74], -v[97:98]
	v_fma_f64 v[93:94], v[95:96], v[125:126], v[93:94]
	v_add_f64 v[75:76], v[75:76], -v[93:94]
	;; [unrolled: 8-line block ×20, first 2 shown]
	ds_read2_b64 v[93:96], v90 offset0:94 offset1:95
	s_waitcnt lgkmcnt(0)
	v_mul_f64 v[97:98], v[95:96], v[99:100]
	v_fma_f64 v[97:98], v[93:94], v[125:126], -v[97:98]
	v_mul_f64 v[93:94], v[93:94], v[99:100]
	v_add_f64 v[121:122], v[121:122], -v[97:98]
	v_fma_f64 v[93:94], v[95:96], v[125:126], v[93:94]
	v_mov_b32_e32 v97, v125
	v_mov_b32_e32 v98, v126
	buffer_store_dword v97, off, s[24:27], 0 offset:272 ; 4-byte Folded Spill
	s_nop 0
	buffer_store_dword v98, off, s[24:27], 0 offset:276 ; 4-byte Folded Spill
	buffer_store_dword v99, off, s[24:27], 0 offset:280 ; 4-byte Folded Spill
	;; [unrolled: 1-line block ×3, first 2 shown]
	v_add_f64 v[123:124], v[123:124], -v[93:94]
.LBB94_167:
	s_or_b64 exec, exec, s[0:1]
	s_waitcnt vmcnt(0)
	s_barrier
	buffer_load_dword v81, off, s[24:27], 0 offset:256 ; 4-byte Folded Reload
	buffer_load_dword v82, off, s[24:27], 0 offset:260 ; 4-byte Folded Reload
	;; [unrolled: 1-line block ×4, first 2 shown]
	v_lshl_add_u32 v93, v92, 4, v90
	s_cmp_lt_i32 s3, 10
	s_waitcnt vmcnt(0)
	ds_write2_b64 v93, v[81:82], v[83:84] offset1:1
	s_waitcnt lgkmcnt(0)
	s_barrier
	ds_read2_b64 v[117:120], v90 offset0:16 offset1:17
	v_mov_b32_e32 v93, 8
	s_cbranch_scc1 .LBB94_170
; %bb.168:
	v_add_u32_e32 v94, 0x90, v90
	s_mov_b32 s0, 9
	v_mov_b32_e32 v93, 8
.LBB94_169:                             ; =>This Inner Loop Header: Depth=1
	s_waitcnt lgkmcnt(0)
	v_cmp_gt_f64_e32 vcc, 0, v[117:118]
	v_xor_b32_e32 v99, 0x80000000, v118
	ds_read2_b64 v[95:98], v94 offset1:1
	v_xor_b32_e32 v101, 0x80000000, v120
	v_add_u32_e32 v94, 16, v94
	s_waitcnt lgkmcnt(0)
	v_xor_b32_e32 v103, 0x80000000, v98
	v_cndmask_b32_e32 v100, v118, v99, vcc
	v_cmp_gt_f64_e32 vcc, 0, v[119:120]
	v_mov_b32_e32 v99, v117
	v_cndmask_b32_e32 v102, v120, v101, vcc
	v_cmp_gt_f64_e32 vcc, 0, v[95:96]
	v_mov_b32_e32 v101, v119
	v_add_f64 v[99:100], v[99:100], v[101:102]
	v_xor_b32_e32 v101, 0x80000000, v96
	v_cndmask_b32_e32 v102, v96, v101, vcc
	v_cmp_gt_f64_e32 vcc, 0, v[97:98]
	v_mov_b32_e32 v101, v95
	v_cndmask_b32_e32 v104, v98, v103, vcc
	v_mov_b32_e32 v103, v97
	v_add_f64 v[101:102], v[101:102], v[103:104]
	v_cmp_lt_f64_e32 vcc, v[99:100], v[101:102]
	v_cndmask_b32_e32 v117, v117, v95, vcc
	v_mov_b32_e32 v95, s0
	s_add_i32 s0, s0, 1
	v_cndmask_b32_e32 v118, v118, v96, vcc
	v_cndmask_b32_e32 v120, v120, v98, vcc
	;; [unrolled: 1-line block ×4, first 2 shown]
	s_cmp_lg_u32 s3, s0
	s_cbranch_scc1 .LBB94_169
.LBB94_170:
	s_waitcnt lgkmcnt(0)
	v_cmp_eq_f64_e32 vcc, 0, v[117:118]
	v_cmp_eq_f64_e64 s[0:1], 0, v[119:120]
	s_and_b64 s[0:1], vcc, s[0:1]
	s_and_saveexec_b64 s[18:19], s[0:1]
	s_xor_b64 s[0:1], exec, s[18:19]
; %bb.171:
	v_cmp_ne_u32_e32 vcc, 0, v91
	v_cndmask_b32_e32 v91, 9, v91, vcc
; %bb.172:
	s_andn2_saveexec_b64 s[0:1], s[0:1]
	s_cbranch_execz .LBB94_178
; %bb.173:
	v_cmp_ngt_f64_e64 s[18:19], |v[117:118]|, |v[119:120]|
	s_and_saveexec_b64 s[20:21], s[18:19]
	s_xor_b64 s[18:19], exec, s[20:21]
	s_cbranch_execz .LBB94_175
; %bb.174:
	v_div_scale_f64 v[94:95], s[20:21], v[119:120], v[119:120], v[117:118]
	v_rcp_f64_e32 v[96:97], v[94:95]
	v_fma_f64 v[98:99], -v[94:95], v[96:97], 1.0
	v_fma_f64 v[96:97], v[96:97], v[98:99], v[96:97]
	v_div_scale_f64 v[98:99], vcc, v[117:118], v[119:120], v[117:118]
	v_fma_f64 v[100:101], -v[94:95], v[96:97], 1.0
	v_fma_f64 v[96:97], v[96:97], v[100:101], v[96:97]
	v_mul_f64 v[100:101], v[98:99], v[96:97]
	v_fma_f64 v[94:95], -v[94:95], v[100:101], v[98:99]
	v_div_fmas_f64 v[94:95], v[94:95], v[96:97], v[100:101]
	v_div_fixup_f64 v[94:95], v[94:95], v[119:120], v[117:118]
	v_fma_f64 v[96:97], v[117:118], v[94:95], v[119:120]
	v_div_scale_f64 v[98:99], s[20:21], v[96:97], v[96:97], 1.0
	v_div_scale_f64 v[104:105], vcc, 1.0, v[96:97], 1.0
	v_rcp_f64_e32 v[100:101], v[98:99]
	v_fma_f64 v[102:103], -v[98:99], v[100:101], 1.0
	v_fma_f64 v[100:101], v[100:101], v[102:103], v[100:101]
	v_fma_f64 v[102:103], -v[98:99], v[100:101], 1.0
	v_fma_f64 v[100:101], v[100:101], v[102:103], v[100:101]
	v_mul_f64 v[102:103], v[104:105], v[100:101]
	v_fma_f64 v[98:99], -v[98:99], v[102:103], v[104:105]
	v_div_fmas_f64 v[98:99], v[98:99], v[100:101], v[102:103]
	v_div_fixup_f64 v[119:120], v[98:99], v[96:97], 1.0
	v_mul_f64 v[117:118], v[94:95], v[119:120]
	v_xor_b32_e32 v120, 0x80000000, v120
.LBB94_175:
	s_andn2_saveexec_b64 s[18:19], s[18:19]
	s_cbranch_execz .LBB94_177
; %bb.176:
	v_div_scale_f64 v[94:95], s[20:21], v[117:118], v[117:118], v[119:120]
	v_rcp_f64_e32 v[96:97], v[94:95]
	v_fma_f64 v[98:99], -v[94:95], v[96:97], 1.0
	v_fma_f64 v[96:97], v[96:97], v[98:99], v[96:97]
	v_div_scale_f64 v[98:99], vcc, v[119:120], v[117:118], v[119:120]
	v_fma_f64 v[100:101], -v[94:95], v[96:97], 1.0
	v_fma_f64 v[96:97], v[96:97], v[100:101], v[96:97]
	v_mul_f64 v[100:101], v[98:99], v[96:97]
	v_fma_f64 v[94:95], -v[94:95], v[100:101], v[98:99]
	v_div_fmas_f64 v[94:95], v[94:95], v[96:97], v[100:101]
	v_div_fixup_f64 v[94:95], v[94:95], v[117:118], v[119:120]
	v_fma_f64 v[96:97], v[119:120], v[94:95], v[117:118]
	v_div_scale_f64 v[98:99], s[20:21], v[96:97], v[96:97], 1.0
	v_div_scale_f64 v[104:105], vcc, 1.0, v[96:97], 1.0
	v_rcp_f64_e32 v[100:101], v[98:99]
	v_fma_f64 v[102:103], -v[98:99], v[100:101], 1.0
	v_fma_f64 v[100:101], v[100:101], v[102:103], v[100:101]
	v_fma_f64 v[102:103], -v[98:99], v[100:101], 1.0
	v_fma_f64 v[100:101], v[100:101], v[102:103], v[100:101]
	v_mul_f64 v[102:103], v[104:105], v[100:101]
	v_fma_f64 v[98:99], -v[98:99], v[102:103], v[104:105]
	v_div_fmas_f64 v[98:99], v[98:99], v[100:101], v[102:103]
	v_div_fixup_f64 v[117:118], v[98:99], v[96:97], 1.0
	v_mul_f64 v[119:120], v[94:95], -v[117:118]
.LBB94_177:
	s_or_b64 exec, exec, s[18:19]
.LBB94_178:
	s_or_b64 exec, exec, s[0:1]
	v_cmp_ne_u32_e32 vcc, v92, v93
	s_and_saveexec_b64 s[0:1], vcc
	s_xor_b64 s[0:1], exec, s[0:1]
	s_cbranch_execz .LBB94_184
; %bb.179:
	v_cmp_eq_u32_e32 vcc, 8, v92
	s_and_saveexec_b64 s[18:19], vcc
	s_cbranch_execz .LBB94_183
; %bb.180:
	v_cmp_ne_u32_e32 vcc, 8, v93
	s_xor_b64 s[20:21], s[6:7], -1
	s_and_b64 s[22:23], s[20:21], vcc
	s_and_saveexec_b64 s[20:21], s[22:23]
	s_cbranch_execz .LBB94_182
; %bb.181:
	v_mov_b32_e32 v81, v85
	v_mov_b32_e32 v82, v86
	;; [unrolled: 1-line block ×4, first 2 shown]
	buffer_load_dword v85, off, s[24:27], 0 offset:352 ; 4-byte Folded Reload
	buffer_load_dword v86, off, s[24:27], 0 offset:356 ; 4-byte Folded Reload
	v_ashrrev_i32_e32 v94, 31, v93
	v_lshlrev_b64 v[94:95], 2, v[93:94]
	s_waitcnt vmcnt(1)
	v_add_co_u32_e32 v94, vcc, v85, v94
	s_waitcnt vmcnt(0)
	v_addc_co_u32_e32 v95, vcc, v86, v95, vcc
	global_load_dword v0, v[94:95], off
	global_load_dword v92, v[85:86], off offset:32
	s_waitcnt vmcnt(1)
	global_store_dword v[85:86], v0, off offset:32
	v_mov_b32_e32 v88, v84
	v_mov_b32_e32 v87, v83
	;; [unrolled: 1-line block ×4, first 2 shown]
	s_waitcnt vmcnt(1)
	global_store_dword v[94:95], v92, off
.LBB94_182:
	s_or_b64 exec, exec, s[20:21]
	v_mov_b32_e32 v92, v93
	v_mov_b32_e32 v0, v93
.LBB94_183:
	s_or_b64 exec, exec, s[18:19]
.LBB94_184:
	s_andn2_saveexec_b64 s[0:1], s[0:1]
	s_cbranch_execz .LBB94_186
; %bb.185:
	buffer_load_dword v81, off, s[24:27], 0 offset:240 ; 4-byte Folded Reload
	buffer_load_dword v82, off, s[24:27], 0 offset:244 ; 4-byte Folded Reload
	;; [unrolled: 1-line block ×4, first 2 shown]
	v_mov_b32_e32 v92, 8
	s_waitcnt vmcnt(0)
	ds_write2_b64 v90, v[81:82], v[83:84] offset0:18 offset1:19
	buffer_load_dword v81, off, s[24:27], 0 offset:224 ; 4-byte Folded Reload
	buffer_load_dword v82, off, s[24:27], 0 offset:228 ; 4-byte Folded Reload
	buffer_load_dword v83, off, s[24:27], 0 offset:232 ; 4-byte Folded Reload
	buffer_load_dword v84, off, s[24:27], 0 offset:236 ; 4-byte Folded Reload
	s_waitcnt vmcnt(0)
	ds_write2_b64 v90, v[81:82], v[83:84] offset0:20 offset1:21
	buffer_load_dword v81, off, s[24:27], 0 offset:208 ; 4-byte Folded Reload
	buffer_load_dword v82, off, s[24:27], 0 offset:212 ; 4-byte Folded Reload
	buffer_load_dword v83, off, s[24:27], 0 offset:216 ; 4-byte Folded Reload
	buffer_load_dword v84, off, s[24:27], 0 offset:220 ; 4-byte Folded Reload
	;; [unrolled: 6-line block ×14, first 2 shown]
	s_waitcnt vmcnt(0)
	ds_write2_b64 v90, v[81:82], v[83:84] offset0:46 offset1:47
	ds_write2_b64 v90, v[85:86], v[87:88] offset0:48 offset1:49
	;; [unrolled: 1-line block ×3, first 2 shown]
	buffer_load_dword v81, off, s[24:27], 0 ; 4-byte Folded Reload
	buffer_load_dword v82, off, s[24:27], 0 offset:4 ; 4-byte Folded Reload
	buffer_load_dword v83, off, s[24:27], 0 offset:8 ; 4-byte Folded Reload
	;; [unrolled: 1-line block ×3, first 2 shown]
	s_waitcnt vmcnt(0)
	ds_write2_b64 v90, v[81:82], v[83:84] offset0:52 offset1:53
	ds_write2_b64 v90, v[77:78], v[79:80] offset0:54 offset1:55
	;; [unrolled: 1-line block ×22, first 2 shown]
.LBB94_186:
	s_or_b64 exec, exec, s[0:1]
	v_cmp_lt_i32_e32 vcc, 8, v92
	s_waitcnt vmcnt(0) lgkmcnt(0)
	s_barrier
	s_and_saveexec_b64 s[0:1], vcc
	s_cbranch_execz .LBB94_188
; %bb.187:
	buffer_load_dword v97, off, s[24:27], 0 offset:256 ; 4-byte Folded Reload
	buffer_load_dword v98, off, s[24:27], 0 offset:260 ; 4-byte Folded Reload
	;; [unrolled: 1-line block ×4, first 2 shown]
	s_waitcnt vmcnt(0)
	v_mul_f64 v[93:94], v[119:120], v[99:100]
	v_fma_f64 v[125:126], v[117:118], v[97:98], -v[93:94]
	v_mul_f64 v[93:94], v[117:118], v[99:100]
	v_fma_f64 v[99:100], v[119:120], v[97:98], v[93:94]
	ds_read2_b64 v[93:96], v90 offset0:18 offset1:19
	buffer_load_dword v81, off, s[24:27], 0 offset:240 ; 4-byte Folded Reload
	buffer_load_dword v82, off, s[24:27], 0 offset:244 ; 4-byte Folded Reload
	buffer_load_dword v83, off, s[24:27], 0 offset:248 ; 4-byte Folded Reload
	buffer_load_dword v84, off, s[24:27], 0 offset:252 ; 4-byte Folded Reload
	s_waitcnt lgkmcnt(0)
	v_mul_f64 v[97:98], v[95:96], v[99:100]
	v_fma_f64 v[97:98], v[93:94], v[125:126], -v[97:98]
	v_mul_f64 v[93:94], v[93:94], v[99:100]
	v_fma_f64 v[93:94], v[95:96], v[125:126], v[93:94]
	s_waitcnt vmcnt(2)
	v_add_f64 v[81:82], v[81:82], -v[97:98]
	s_waitcnt vmcnt(0)
	v_add_f64 v[83:84], v[83:84], -v[93:94]
	buffer_store_dword v81, off, s[24:27], 0 offset:240 ; 4-byte Folded Spill
	s_nop 0
	buffer_store_dword v82, off, s[24:27], 0 offset:244 ; 4-byte Folded Spill
	buffer_store_dword v83, off, s[24:27], 0 offset:248 ; 4-byte Folded Spill
	buffer_store_dword v84, off, s[24:27], 0 offset:252 ; 4-byte Folded Spill
	ds_read2_b64 v[93:96], v90 offset0:20 offset1:21
	buffer_load_dword v81, off, s[24:27], 0 offset:224 ; 4-byte Folded Reload
	buffer_load_dword v82, off, s[24:27], 0 offset:228 ; 4-byte Folded Reload
	buffer_load_dword v83, off, s[24:27], 0 offset:232 ; 4-byte Folded Reload
	buffer_load_dword v84, off, s[24:27], 0 offset:236 ; 4-byte Folded Reload
	s_waitcnt lgkmcnt(0)
	v_mul_f64 v[97:98], v[95:96], v[99:100]
	v_fma_f64 v[97:98], v[93:94], v[125:126], -v[97:98]
	v_mul_f64 v[93:94], v[93:94], v[99:100]
	v_fma_f64 v[93:94], v[95:96], v[125:126], v[93:94]
	s_waitcnt vmcnt(2)
	v_add_f64 v[81:82], v[81:82], -v[97:98]
	s_waitcnt vmcnt(0)
	v_add_f64 v[83:84], v[83:84], -v[93:94]
	buffer_store_dword v81, off, s[24:27], 0 offset:224 ; 4-byte Folded Spill
	s_nop 0
	buffer_store_dword v82, off, s[24:27], 0 offset:228 ; 4-byte Folded Spill
	buffer_store_dword v83, off, s[24:27], 0 offset:232 ; 4-byte Folded Spill
	buffer_store_dword v84, off, s[24:27], 0 offset:236 ; 4-byte Folded Spill
	;; [unrolled: 19-line block ×15, first 2 shown]
	ds_read2_b64 v[93:96], v90 offset0:48 offset1:49
	s_waitcnt lgkmcnt(0)
	v_mul_f64 v[97:98], v[95:96], v[99:100]
	v_fma_f64 v[97:98], v[93:94], v[125:126], -v[97:98]
	v_mul_f64 v[93:94], v[93:94], v[99:100]
	v_add_f64 v[85:86], v[85:86], -v[97:98]
	v_fma_f64 v[93:94], v[95:96], v[125:126], v[93:94]
	v_add_f64 v[87:88], v[87:88], -v[93:94]
	ds_read2_b64 v[93:96], v90 offset0:50 offset1:51
	s_waitcnt lgkmcnt(0)
	v_mul_f64 v[97:98], v[95:96], v[99:100]
	v_fma_f64 v[97:98], v[93:94], v[125:126], -v[97:98]
	v_mul_f64 v[93:94], v[93:94], v[99:100]
	v_add_f64 v[111:112], v[111:112], -v[97:98]
	v_fma_f64 v[93:94], v[95:96], v[125:126], v[93:94]
	v_add_f64 v[113:114], v[113:114], -v[93:94]
	ds_read2_b64 v[93:96], v90 offset0:52 offset1:53
	buffer_load_dword v81, off, s[24:27], 0 ; 4-byte Folded Reload
	buffer_load_dword v82, off, s[24:27], 0 offset:4 ; 4-byte Folded Reload
	buffer_load_dword v83, off, s[24:27], 0 offset:8 ; 4-byte Folded Reload
	;; [unrolled: 1-line block ×3, first 2 shown]
	s_waitcnt lgkmcnt(0)
	v_mul_f64 v[97:98], v[95:96], v[99:100]
	v_fma_f64 v[97:98], v[93:94], v[125:126], -v[97:98]
	v_mul_f64 v[93:94], v[93:94], v[99:100]
	v_fma_f64 v[93:94], v[95:96], v[125:126], v[93:94]
	s_waitcnt vmcnt(2)
	v_add_f64 v[81:82], v[81:82], -v[97:98]
	s_waitcnt vmcnt(0)
	v_add_f64 v[83:84], v[83:84], -v[93:94]
	buffer_store_dword v81, off, s[24:27], 0 ; 4-byte Folded Spill
	s_nop 0
	buffer_store_dword v82, off, s[24:27], 0 offset:4 ; 4-byte Folded Spill
	buffer_store_dword v83, off, s[24:27], 0 offset:8 ; 4-byte Folded Spill
	;; [unrolled: 1-line block ×3, first 2 shown]
	ds_read2_b64 v[93:96], v90 offset0:54 offset1:55
	s_waitcnt lgkmcnt(0)
	v_mul_f64 v[97:98], v[95:96], v[99:100]
	v_fma_f64 v[97:98], v[93:94], v[125:126], -v[97:98]
	v_mul_f64 v[93:94], v[93:94], v[99:100]
	v_add_f64 v[77:78], v[77:78], -v[97:98]
	v_fma_f64 v[93:94], v[95:96], v[125:126], v[93:94]
	v_add_f64 v[79:80], v[79:80], -v[93:94]
	ds_read2_b64 v[93:96], v90 offset0:56 offset1:57
	s_waitcnt lgkmcnt(0)
	v_mul_f64 v[97:98], v[95:96], v[99:100]
	v_fma_f64 v[97:98], v[93:94], v[125:126], -v[97:98]
	v_mul_f64 v[93:94], v[93:94], v[99:100]
	v_add_f64 v[73:74], v[73:74], -v[97:98]
	v_fma_f64 v[93:94], v[95:96], v[125:126], v[93:94]
	v_add_f64 v[75:76], v[75:76], -v[93:94]
	;; [unrolled: 8-line block ×20, first 2 shown]
	ds_read2_b64 v[93:96], v90 offset0:94 offset1:95
	s_waitcnt lgkmcnt(0)
	v_mul_f64 v[97:98], v[95:96], v[99:100]
	v_fma_f64 v[97:98], v[93:94], v[125:126], -v[97:98]
	v_mul_f64 v[93:94], v[93:94], v[99:100]
	v_add_f64 v[121:122], v[121:122], -v[97:98]
	v_fma_f64 v[93:94], v[95:96], v[125:126], v[93:94]
	v_mov_b32_e32 v97, v125
	v_mov_b32_e32 v98, v126
	buffer_store_dword v97, off, s[24:27], 0 offset:256 ; 4-byte Folded Spill
	s_nop 0
	buffer_store_dword v98, off, s[24:27], 0 offset:260 ; 4-byte Folded Spill
	buffer_store_dword v99, off, s[24:27], 0 offset:264 ; 4-byte Folded Spill
	;; [unrolled: 1-line block ×3, first 2 shown]
	v_add_f64 v[123:124], v[123:124], -v[93:94]
.LBB94_188:
	s_or_b64 exec, exec, s[0:1]
	s_waitcnt vmcnt(0)
	s_barrier
	buffer_load_dword v81, off, s[24:27], 0 offset:240 ; 4-byte Folded Reload
	buffer_load_dword v82, off, s[24:27], 0 offset:244 ; 4-byte Folded Reload
	;; [unrolled: 1-line block ×4, first 2 shown]
	v_lshl_add_u32 v93, v92, 4, v90
	s_cmp_lt_i32 s3, 11
	s_waitcnt vmcnt(0)
	ds_write2_b64 v93, v[81:82], v[83:84] offset1:1
	s_waitcnt lgkmcnt(0)
	s_barrier
	ds_read2_b64 v[117:120], v90 offset0:18 offset1:19
	v_mov_b32_e32 v93, 9
	s_cbranch_scc1 .LBB94_191
; %bb.189:
	v_add_u32_e32 v94, 0xa0, v90
	s_mov_b32 s0, 10
	v_mov_b32_e32 v93, 9
.LBB94_190:                             ; =>This Inner Loop Header: Depth=1
	s_waitcnt lgkmcnt(0)
	v_cmp_gt_f64_e32 vcc, 0, v[117:118]
	v_xor_b32_e32 v99, 0x80000000, v118
	ds_read2_b64 v[95:98], v94 offset1:1
	v_xor_b32_e32 v101, 0x80000000, v120
	v_add_u32_e32 v94, 16, v94
	s_waitcnt lgkmcnt(0)
	v_xor_b32_e32 v103, 0x80000000, v98
	v_cndmask_b32_e32 v100, v118, v99, vcc
	v_cmp_gt_f64_e32 vcc, 0, v[119:120]
	v_mov_b32_e32 v99, v117
	v_cndmask_b32_e32 v102, v120, v101, vcc
	v_cmp_gt_f64_e32 vcc, 0, v[95:96]
	v_mov_b32_e32 v101, v119
	v_add_f64 v[99:100], v[99:100], v[101:102]
	v_xor_b32_e32 v101, 0x80000000, v96
	v_cndmask_b32_e32 v102, v96, v101, vcc
	v_cmp_gt_f64_e32 vcc, 0, v[97:98]
	v_mov_b32_e32 v101, v95
	v_cndmask_b32_e32 v104, v98, v103, vcc
	v_mov_b32_e32 v103, v97
	v_add_f64 v[101:102], v[101:102], v[103:104]
	v_cmp_lt_f64_e32 vcc, v[99:100], v[101:102]
	v_cndmask_b32_e32 v117, v117, v95, vcc
	v_mov_b32_e32 v95, s0
	s_add_i32 s0, s0, 1
	v_cndmask_b32_e32 v118, v118, v96, vcc
	v_cndmask_b32_e32 v120, v120, v98, vcc
	;; [unrolled: 1-line block ×4, first 2 shown]
	s_cmp_lg_u32 s3, s0
	s_cbranch_scc1 .LBB94_190
.LBB94_191:
	s_waitcnt lgkmcnt(0)
	v_cmp_eq_f64_e32 vcc, 0, v[117:118]
	v_cmp_eq_f64_e64 s[0:1], 0, v[119:120]
	s_and_b64 s[0:1], vcc, s[0:1]
	s_and_saveexec_b64 s[18:19], s[0:1]
	s_xor_b64 s[0:1], exec, s[18:19]
; %bb.192:
	v_cmp_ne_u32_e32 vcc, 0, v91
	v_cndmask_b32_e32 v91, 10, v91, vcc
; %bb.193:
	s_andn2_saveexec_b64 s[0:1], s[0:1]
	s_cbranch_execz .LBB94_199
; %bb.194:
	v_cmp_ngt_f64_e64 s[18:19], |v[117:118]|, |v[119:120]|
	s_and_saveexec_b64 s[20:21], s[18:19]
	s_xor_b64 s[18:19], exec, s[20:21]
	s_cbranch_execz .LBB94_196
; %bb.195:
	v_div_scale_f64 v[94:95], s[20:21], v[119:120], v[119:120], v[117:118]
	v_rcp_f64_e32 v[96:97], v[94:95]
	v_fma_f64 v[98:99], -v[94:95], v[96:97], 1.0
	v_fma_f64 v[96:97], v[96:97], v[98:99], v[96:97]
	v_div_scale_f64 v[98:99], vcc, v[117:118], v[119:120], v[117:118]
	v_fma_f64 v[100:101], -v[94:95], v[96:97], 1.0
	v_fma_f64 v[96:97], v[96:97], v[100:101], v[96:97]
	v_mul_f64 v[100:101], v[98:99], v[96:97]
	v_fma_f64 v[94:95], -v[94:95], v[100:101], v[98:99]
	v_div_fmas_f64 v[94:95], v[94:95], v[96:97], v[100:101]
	v_div_fixup_f64 v[94:95], v[94:95], v[119:120], v[117:118]
	v_fma_f64 v[96:97], v[117:118], v[94:95], v[119:120]
	v_div_scale_f64 v[98:99], s[20:21], v[96:97], v[96:97], 1.0
	v_div_scale_f64 v[104:105], vcc, 1.0, v[96:97], 1.0
	v_rcp_f64_e32 v[100:101], v[98:99]
	v_fma_f64 v[102:103], -v[98:99], v[100:101], 1.0
	v_fma_f64 v[100:101], v[100:101], v[102:103], v[100:101]
	v_fma_f64 v[102:103], -v[98:99], v[100:101], 1.0
	v_fma_f64 v[100:101], v[100:101], v[102:103], v[100:101]
	v_mul_f64 v[102:103], v[104:105], v[100:101]
	v_fma_f64 v[98:99], -v[98:99], v[102:103], v[104:105]
	v_div_fmas_f64 v[98:99], v[98:99], v[100:101], v[102:103]
	v_div_fixup_f64 v[119:120], v[98:99], v[96:97], 1.0
	v_mul_f64 v[117:118], v[94:95], v[119:120]
	v_xor_b32_e32 v120, 0x80000000, v120
.LBB94_196:
	s_andn2_saveexec_b64 s[18:19], s[18:19]
	s_cbranch_execz .LBB94_198
; %bb.197:
	v_div_scale_f64 v[94:95], s[20:21], v[117:118], v[117:118], v[119:120]
	v_rcp_f64_e32 v[96:97], v[94:95]
	v_fma_f64 v[98:99], -v[94:95], v[96:97], 1.0
	v_fma_f64 v[96:97], v[96:97], v[98:99], v[96:97]
	v_div_scale_f64 v[98:99], vcc, v[119:120], v[117:118], v[119:120]
	v_fma_f64 v[100:101], -v[94:95], v[96:97], 1.0
	v_fma_f64 v[96:97], v[96:97], v[100:101], v[96:97]
	v_mul_f64 v[100:101], v[98:99], v[96:97]
	v_fma_f64 v[94:95], -v[94:95], v[100:101], v[98:99]
	v_div_fmas_f64 v[94:95], v[94:95], v[96:97], v[100:101]
	v_div_fixup_f64 v[94:95], v[94:95], v[117:118], v[119:120]
	v_fma_f64 v[96:97], v[119:120], v[94:95], v[117:118]
	v_div_scale_f64 v[98:99], s[20:21], v[96:97], v[96:97], 1.0
	v_div_scale_f64 v[104:105], vcc, 1.0, v[96:97], 1.0
	v_rcp_f64_e32 v[100:101], v[98:99]
	v_fma_f64 v[102:103], -v[98:99], v[100:101], 1.0
	v_fma_f64 v[100:101], v[100:101], v[102:103], v[100:101]
	v_fma_f64 v[102:103], -v[98:99], v[100:101], 1.0
	v_fma_f64 v[100:101], v[100:101], v[102:103], v[100:101]
	v_mul_f64 v[102:103], v[104:105], v[100:101]
	v_fma_f64 v[98:99], -v[98:99], v[102:103], v[104:105]
	v_div_fmas_f64 v[98:99], v[98:99], v[100:101], v[102:103]
	v_div_fixup_f64 v[117:118], v[98:99], v[96:97], 1.0
	v_mul_f64 v[119:120], v[94:95], -v[117:118]
.LBB94_198:
	s_or_b64 exec, exec, s[18:19]
.LBB94_199:
	s_or_b64 exec, exec, s[0:1]
	v_cmp_ne_u32_e32 vcc, v92, v93
	s_and_saveexec_b64 s[0:1], vcc
	s_xor_b64 s[0:1], exec, s[0:1]
	s_cbranch_execz .LBB94_205
; %bb.200:
	v_cmp_eq_u32_e32 vcc, 9, v92
	s_and_saveexec_b64 s[18:19], vcc
	s_cbranch_execz .LBB94_204
; %bb.201:
	v_cmp_ne_u32_e32 vcc, 9, v93
	s_xor_b64 s[20:21], s[6:7], -1
	s_and_b64 s[22:23], s[20:21], vcc
	s_and_saveexec_b64 s[20:21], s[22:23]
	s_cbranch_execz .LBB94_203
; %bb.202:
	v_mov_b32_e32 v81, v85
	v_mov_b32_e32 v82, v86
	v_mov_b32_e32 v83, v87
	v_mov_b32_e32 v84, v88
	buffer_load_dword v85, off, s[24:27], 0 offset:352 ; 4-byte Folded Reload
	buffer_load_dword v86, off, s[24:27], 0 offset:356 ; 4-byte Folded Reload
	v_ashrrev_i32_e32 v94, 31, v93
	v_lshlrev_b64 v[94:95], 2, v[93:94]
	s_waitcnt vmcnt(1)
	v_add_co_u32_e32 v94, vcc, v85, v94
	s_waitcnt vmcnt(0)
	v_addc_co_u32_e32 v95, vcc, v86, v95, vcc
	global_load_dword v0, v[94:95], off
	global_load_dword v92, v[85:86], off offset:36
	s_waitcnt vmcnt(1)
	global_store_dword v[85:86], v0, off offset:36
	v_mov_b32_e32 v88, v84
	v_mov_b32_e32 v87, v83
	;; [unrolled: 1-line block ×4, first 2 shown]
	s_waitcnt vmcnt(1)
	global_store_dword v[94:95], v92, off
.LBB94_203:
	s_or_b64 exec, exec, s[20:21]
	v_mov_b32_e32 v92, v93
	v_mov_b32_e32 v0, v93
.LBB94_204:
	s_or_b64 exec, exec, s[18:19]
.LBB94_205:
	s_andn2_saveexec_b64 s[0:1], s[0:1]
	s_cbranch_execz .LBB94_207
; %bb.206:
	buffer_load_dword v81, off, s[24:27], 0 offset:224 ; 4-byte Folded Reload
	buffer_load_dword v82, off, s[24:27], 0 offset:228 ; 4-byte Folded Reload
	;; [unrolled: 1-line block ×4, first 2 shown]
	v_mov_b32_e32 v92, 9
	s_waitcnt vmcnt(0)
	ds_write2_b64 v90, v[81:82], v[83:84] offset0:20 offset1:21
	buffer_load_dword v81, off, s[24:27], 0 offset:208 ; 4-byte Folded Reload
	buffer_load_dword v82, off, s[24:27], 0 offset:212 ; 4-byte Folded Reload
	buffer_load_dword v83, off, s[24:27], 0 offset:216 ; 4-byte Folded Reload
	buffer_load_dword v84, off, s[24:27], 0 offset:220 ; 4-byte Folded Reload
	s_waitcnt vmcnt(0)
	ds_write2_b64 v90, v[81:82], v[83:84] offset0:22 offset1:23
	buffer_load_dword v81, off, s[24:27], 0 offset:192 ; 4-byte Folded Reload
	buffer_load_dword v82, off, s[24:27], 0 offset:196 ; 4-byte Folded Reload
	buffer_load_dword v83, off, s[24:27], 0 offset:200 ; 4-byte Folded Reload
	buffer_load_dword v84, off, s[24:27], 0 offset:204 ; 4-byte Folded Reload
	;; [unrolled: 6-line block ×13, first 2 shown]
	s_waitcnt vmcnt(0)
	ds_write2_b64 v90, v[81:82], v[83:84] offset0:46 offset1:47
	ds_write2_b64 v90, v[85:86], v[87:88] offset0:48 offset1:49
	;; [unrolled: 1-line block ×3, first 2 shown]
	buffer_load_dword v81, off, s[24:27], 0 ; 4-byte Folded Reload
	buffer_load_dword v82, off, s[24:27], 0 offset:4 ; 4-byte Folded Reload
	buffer_load_dword v83, off, s[24:27], 0 offset:8 ; 4-byte Folded Reload
	;; [unrolled: 1-line block ×3, first 2 shown]
	s_waitcnt vmcnt(0)
	ds_write2_b64 v90, v[81:82], v[83:84] offset0:52 offset1:53
	ds_write2_b64 v90, v[77:78], v[79:80] offset0:54 offset1:55
	;; [unrolled: 1-line block ×22, first 2 shown]
.LBB94_207:
	s_or_b64 exec, exec, s[0:1]
	v_cmp_lt_i32_e32 vcc, 9, v92
	s_waitcnt vmcnt(0) lgkmcnt(0)
	s_barrier
	s_and_saveexec_b64 s[0:1], vcc
	s_cbranch_execz .LBB94_209
; %bb.208:
	buffer_load_dword v97, off, s[24:27], 0 offset:240 ; 4-byte Folded Reload
	buffer_load_dword v98, off, s[24:27], 0 offset:244 ; 4-byte Folded Reload
	;; [unrolled: 1-line block ×4, first 2 shown]
	s_waitcnt vmcnt(0)
	v_mul_f64 v[93:94], v[119:120], v[99:100]
	v_fma_f64 v[125:126], v[117:118], v[97:98], -v[93:94]
	v_mul_f64 v[93:94], v[117:118], v[99:100]
	v_fma_f64 v[99:100], v[119:120], v[97:98], v[93:94]
	ds_read2_b64 v[93:96], v90 offset0:20 offset1:21
	buffer_load_dword v81, off, s[24:27], 0 offset:224 ; 4-byte Folded Reload
	buffer_load_dword v82, off, s[24:27], 0 offset:228 ; 4-byte Folded Reload
	buffer_load_dword v83, off, s[24:27], 0 offset:232 ; 4-byte Folded Reload
	buffer_load_dword v84, off, s[24:27], 0 offset:236 ; 4-byte Folded Reload
	s_waitcnt lgkmcnt(0)
	v_mul_f64 v[97:98], v[95:96], v[99:100]
	v_fma_f64 v[97:98], v[93:94], v[125:126], -v[97:98]
	v_mul_f64 v[93:94], v[93:94], v[99:100]
	v_fma_f64 v[93:94], v[95:96], v[125:126], v[93:94]
	s_waitcnt vmcnt(2)
	v_add_f64 v[81:82], v[81:82], -v[97:98]
	s_waitcnt vmcnt(0)
	v_add_f64 v[83:84], v[83:84], -v[93:94]
	buffer_store_dword v81, off, s[24:27], 0 offset:224 ; 4-byte Folded Spill
	s_nop 0
	buffer_store_dword v82, off, s[24:27], 0 offset:228 ; 4-byte Folded Spill
	buffer_store_dword v83, off, s[24:27], 0 offset:232 ; 4-byte Folded Spill
	buffer_store_dword v84, off, s[24:27], 0 offset:236 ; 4-byte Folded Spill
	ds_read2_b64 v[93:96], v90 offset0:22 offset1:23
	buffer_load_dword v81, off, s[24:27], 0 offset:208 ; 4-byte Folded Reload
	buffer_load_dword v82, off, s[24:27], 0 offset:212 ; 4-byte Folded Reload
	buffer_load_dword v83, off, s[24:27], 0 offset:216 ; 4-byte Folded Reload
	buffer_load_dword v84, off, s[24:27], 0 offset:220 ; 4-byte Folded Reload
	s_waitcnt lgkmcnt(0)
	v_mul_f64 v[97:98], v[95:96], v[99:100]
	v_fma_f64 v[97:98], v[93:94], v[125:126], -v[97:98]
	v_mul_f64 v[93:94], v[93:94], v[99:100]
	v_fma_f64 v[93:94], v[95:96], v[125:126], v[93:94]
	s_waitcnt vmcnt(2)
	v_add_f64 v[81:82], v[81:82], -v[97:98]
	s_waitcnt vmcnt(0)
	v_add_f64 v[83:84], v[83:84], -v[93:94]
	buffer_store_dword v81, off, s[24:27], 0 offset:208 ; 4-byte Folded Spill
	s_nop 0
	buffer_store_dword v82, off, s[24:27], 0 offset:212 ; 4-byte Folded Spill
	buffer_store_dword v83, off, s[24:27], 0 offset:216 ; 4-byte Folded Spill
	buffer_store_dword v84, off, s[24:27], 0 offset:220 ; 4-byte Folded Spill
	;; [unrolled: 19-line block ×14, first 2 shown]
	ds_read2_b64 v[93:96], v90 offset0:48 offset1:49
	s_waitcnt lgkmcnt(0)
	v_mul_f64 v[97:98], v[95:96], v[99:100]
	v_fma_f64 v[97:98], v[93:94], v[125:126], -v[97:98]
	v_mul_f64 v[93:94], v[93:94], v[99:100]
	v_add_f64 v[85:86], v[85:86], -v[97:98]
	v_fma_f64 v[93:94], v[95:96], v[125:126], v[93:94]
	v_add_f64 v[87:88], v[87:88], -v[93:94]
	ds_read2_b64 v[93:96], v90 offset0:50 offset1:51
	s_waitcnt lgkmcnt(0)
	v_mul_f64 v[97:98], v[95:96], v[99:100]
	v_fma_f64 v[97:98], v[93:94], v[125:126], -v[97:98]
	v_mul_f64 v[93:94], v[93:94], v[99:100]
	v_add_f64 v[111:112], v[111:112], -v[97:98]
	v_fma_f64 v[93:94], v[95:96], v[125:126], v[93:94]
	v_add_f64 v[113:114], v[113:114], -v[93:94]
	ds_read2_b64 v[93:96], v90 offset0:52 offset1:53
	buffer_load_dword v81, off, s[24:27], 0 ; 4-byte Folded Reload
	buffer_load_dword v82, off, s[24:27], 0 offset:4 ; 4-byte Folded Reload
	buffer_load_dword v83, off, s[24:27], 0 offset:8 ; 4-byte Folded Reload
	;; [unrolled: 1-line block ×3, first 2 shown]
	s_waitcnt lgkmcnt(0)
	v_mul_f64 v[97:98], v[95:96], v[99:100]
	v_fma_f64 v[97:98], v[93:94], v[125:126], -v[97:98]
	v_mul_f64 v[93:94], v[93:94], v[99:100]
	v_fma_f64 v[93:94], v[95:96], v[125:126], v[93:94]
	s_waitcnt vmcnt(2)
	v_add_f64 v[81:82], v[81:82], -v[97:98]
	s_waitcnt vmcnt(0)
	v_add_f64 v[83:84], v[83:84], -v[93:94]
	buffer_store_dword v81, off, s[24:27], 0 ; 4-byte Folded Spill
	s_nop 0
	buffer_store_dword v82, off, s[24:27], 0 offset:4 ; 4-byte Folded Spill
	buffer_store_dword v83, off, s[24:27], 0 offset:8 ; 4-byte Folded Spill
	;; [unrolled: 1-line block ×3, first 2 shown]
	ds_read2_b64 v[93:96], v90 offset0:54 offset1:55
	s_waitcnt lgkmcnt(0)
	v_mul_f64 v[97:98], v[95:96], v[99:100]
	v_fma_f64 v[97:98], v[93:94], v[125:126], -v[97:98]
	v_mul_f64 v[93:94], v[93:94], v[99:100]
	v_add_f64 v[77:78], v[77:78], -v[97:98]
	v_fma_f64 v[93:94], v[95:96], v[125:126], v[93:94]
	v_add_f64 v[79:80], v[79:80], -v[93:94]
	ds_read2_b64 v[93:96], v90 offset0:56 offset1:57
	s_waitcnt lgkmcnt(0)
	v_mul_f64 v[97:98], v[95:96], v[99:100]
	v_fma_f64 v[97:98], v[93:94], v[125:126], -v[97:98]
	v_mul_f64 v[93:94], v[93:94], v[99:100]
	v_add_f64 v[73:74], v[73:74], -v[97:98]
	v_fma_f64 v[93:94], v[95:96], v[125:126], v[93:94]
	v_add_f64 v[75:76], v[75:76], -v[93:94]
	;; [unrolled: 8-line block ×20, first 2 shown]
	ds_read2_b64 v[93:96], v90 offset0:94 offset1:95
	s_waitcnt lgkmcnt(0)
	v_mul_f64 v[97:98], v[95:96], v[99:100]
	v_fma_f64 v[97:98], v[93:94], v[125:126], -v[97:98]
	v_mul_f64 v[93:94], v[93:94], v[99:100]
	v_add_f64 v[121:122], v[121:122], -v[97:98]
	v_fma_f64 v[93:94], v[95:96], v[125:126], v[93:94]
	v_mov_b32_e32 v97, v125
	v_mov_b32_e32 v98, v126
	buffer_store_dword v97, off, s[24:27], 0 offset:240 ; 4-byte Folded Spill
	s_nop 0
	buffer_store_dword v98, off, s[24:27], 0 offset:244 ; 4-byte Folded Spill
	buffer_store_dword v99, off, s[24:27], 0 offset:248 ; 4-byte Folded Spill
	;; [unrolled: 1-line block ×3, first 2 shown]
	v_add_f64 v[123:124], v[123:124], -v[93:94]
.LBB94_209:
	s_or_b64 exec, exec, s[0:1]
	s_waitcnt vmcnt(0)
	s_barrier
	buffer_load_dword v81, off, s[24:27], 0 offset:224 ; 4-byte Folded Reload
	buffer_load_dword v82, off, s[24:27], 0 offset:228 ; 4-byte Folded Reload
	;; [unrolled: 1-line block ×4, first 2 shown]
	v_lshl_add_u32 v93, v92, 4, v90
	s_cmp_lt_i32 s3, 12
	s_waitcnt vmcnt(0)
	ds_write2_b64 v93, v[81:82], v[83:84] offset1:1
	s_waitcnt lgkmcnt(0)
	s_barrier
	ds_read2_b64 v[117:120], v90 offset0:20 offset1:21
	v_mov_b32_e32 v93, 10
	s_cbranch_scc1 .LBB94_212
; %bb.210:
	v_add_u32_e32 v94, 0xb0, v90
	s_mov_b32 s0, 11
	v_mov_b32_e32 v93, 10
.LBB94_211:                             ; =>This Inner Loop Header: Depth=1
	s_waitcnt lgkmcnt(0)
	v_cmp_gt_f64_e32 vcc, 0, v[117:118]
	v_xor_b32_e32 v99, 0x80000000, v118
	ds_read2_b64 v[95:98], v94 offset1:1
	v_xor_b32_e32 v101, 0x80000000, v120
	v_add_u32_e32 v94, 16, v94
	s_waitcnt lgkmcnt(0)
	v_xor_b32_e32 v103, 0x80000000, v98
	v_cndmask_b32_e32 v100, v118, v99, vcc
	v_cmp_gt_f64_e32 vcc, 0, v[119:120]
	v_mov_b32_e32 v99, v117
	v_cndmask_b32_e32 v102, v120, v101, vcc
	v_cmp_gt_f64_e32 vcc, 0, v[95:96]
	v_mov_b32_e32 v101, v119
	v_add_f64 v[99:100], v[99:100], v[101:102]
	v_xor_b32_e32 v101, 0x80000000, v96
	v_cndmask_b32_e32 v102, v96, v101, vcc
	v_cmp_gt_f64_e32 vcc, 0, v[97:98]
	v_mov_b32_e32 v101, v95
	v_cndmask_b32_e32 v104, v98, v103, vcc
	v_mov_b32_e32 v103, v97
	v_add_f64 v[101:102], v[101:102], v[103:104]
	v_cmp_lt_f64_e32 vcc, v[99:100], v[101:102]
	v_cndmask_b32_e32 v117, v117, v95, vcc
	v_mov_b32_e32 v95, s0
	s_add_i32 s0, s0, 1
	v_cndmask_b32_e32 v118, v118, v96, vcc
	v_cndmask_b32_e32 v120, v120, v98, vcc
	;; [unrolled: 1-line block ×4, first 2 shown]
	s_cmp_lg_u32 s3, s0
	s_cbranch_scc1 .LBB94_211
.LBB94_212:
	s_waitcnt lgkmcnt(0)
	v_cmp_eq_f64_e32 vcc, 0, v[117:118]
	v_cmp_eq_f64_e64 s[0:1], 0, v[119:120]
	s_and_b64 s[0:1], vcc, s[0:1]
	s_and_saveexec_b64 s[18:19], s[0:1]
	s_xor_b64 s[0:1], exec, s[18:19]
; %bb.213:
	v_cmp_ne_u32_e32 vcc, 0, v91
	v_cndmask_b32_e32 v91, 11, v91, vcc
; %bb.214:
	s_andn2_saveexec_b64 s[0:1], s[0:1]
	s_cbranch_execz .LBB94_220
; %bb.215:
	v_cmp_ngt_f64_e64 s[18:19], |v[117:118]|, |v[119:120]|
	s_and_saveexec_b64 s[20:21], s[18:19]
	s_xor_b64 s[18:19], exec, s[20:21]
	s_cbranch_execz .LBB94_217
; %bb.216:
	v_div_scale_f64 v[94:95], s[20:21], v[119:120], v[119:120], v[117:118]
	v_rcp_f64_e32 v[96:97], v[94:95]
	v_fma_f64 v[98:99], -v[94:95], v[96:97], 1.0
	v_fma_f64 v[96:97], v[96:97], v[98:99], v[96:97]
	v_div_scale_f64 v[98:99], vcc, v[117:118], v[119:120], v[117:118]
	v_fma_f64 v[100:101], -v[94:95], v[96:97], 1.0
	v_fma_f64 v[96:97], v[96:97], v[100:101], v[96:97]
	v_mul_f64 v[100:101], v[98:99], v[96:97]
	v_fma_f64 v[94:95], -v[94:95], v[100:101], v[98:99]
	v_div_fmas_f64 v[94:95], v[94:95], v[96:97], v[100:101]
	v_div_fixup_f64 v[94:95], v[94:95], v[119:120], v[117:118]
	v_fma_f64 v[96:97], v[117:118], v[94:95], v[119:120]
	v_div_scale_f64 v[98:99], s[20:21], v[96:97], v[96:97], 1.0
	v_div_scale_f64 v[104:105], vcc, 1.0, v[96:97], 1.0
	v_rcp_f64_e32 v[100:101], v[98:99]
	v_fma_f64 v[102:103], -v[98:99], v[100:101], 1.0
	v_fma_f64 v[100:101], v[100:101], v[102:103], v[100:101]
	v_fma_f64 v[102:103], -v[98:99], v[100:101], 1.0
	v_fma_f64 v[100:101], v[100:101], v[102:103], v[100:101]
	v_mul_f64 v[102:103], v[104:105], v[100:101]
	v_fma_f64 v[98:99], -v[98:99], v[102:103], v[104:105]
	v_div_fmas_f64 v[98:99], v[98:99], v[100:101], v[102:103]
	v_div_fixup_f64 v[119:120], v[98:99], v[96:97], 1.0
	v_mul_f64 v[117:118], v[94:95], v[119:120]
	v_xor_b32_e32 v120, 0x80000000, v120
.LBB94_217:
	s_andn2_saveexec_b64 s[18:19], s[18:19]
	s_cbranch_execz .LBB94_219
; %bb.218:
	v_div_scale_f64 v[94:95], s[20:21], v[117:118], v[117:118], v[119:120]
	v_rcp_f64_e32 v[96:97], v[94:95]
	v_fma_f64 v[98:99], -v[94:95], v[96:97], 1.0
	v_fma_f64 v[96:97], v[96:97], v[98:99], v[96:97]
	v_div_scale_f64 v[98:99], vcc, v[119:120], v[117:118], v[119:120]
	v_fma_f64 v[100:101], -v[94:95], v[96:97], 1.0
	v_fma_f64 v[96:97], v[96:97], v[100:101], v[96:97]
	v_mul_f64 v[100:101], v[98:99], v[96:97]
	v_fma_f64 v[94:95], -v[94:95], v[100:101], v[98:99]
	v_div_fmas_f64 v[94:95], v[94:95], v[96:97], v[100:101]
	v_div_fixup_f64 v[94:95], v[94:95], v[117:118], v[119:120]
	v_fma_f64 v[96:97], v[119:120], v[94:95], v[117:118]
	v_div_scale_f64 v[98:99], s[20:21], v[96:97], v[96:97], 1.0
	v_div_scale_f64 v[104:105], vcc, 1.0, v[96:97], 1.0
	v_rcp_f64_e32 v[100:101], v[98:99]
	v_fma_f64 v[102:103], -v[98:99], v[100:101], 1.0
	v_fma_f64 v[100:101], v[100:101], v[102:103], v[100:101]
	v_fma_f64 v[102:103], -v[98:99], v[100:101], 1.0
	v_fma_f64 v[100:101], v[100:101], v[102:103], v[100:101]
	v_mul_f64 v[102:103], v[104:105], v[100:101]
	v_fma_f64 v[98:99], -v[98:99], v[102:103], v[104:105]
	v_div_fmas_f64 v[98:99], v[98:99], v[100:101], v[102:103]
	v_div_fixup_f64 v[117:118], v[98:99], v[96:97], 1.0
	v_mul_f64 v[119:120], v[94:95], -v[117:118]
.LBB94_219:
	s_or_b64 exec, exec, s[18:19]
.LBB94_220:
	s_or_b64 exec, exec, s[0:1]
	v_cmp_ne_u32_e32 vcc, v92, v93
	s_and_saveexec_b64 s[0:1], vcc
	s_xor_b64 s[0:1], exec, s[0:1]
	s_cbranch_execz .LBB94_226
; %bb.221:
	v_cmp_eq_u32_e32 vcc, 10, v92
	s_and_saveexec_b64 s[18:19], vcc
	s_cbranch_execz .LBB94_225
; %bb.222:
	v_cmp_ne_u32_e32 vcc, 10, v93
	s_xor_b64 s[20:21], s[6:7], -1
	s_and_b64 s[22:23], s[20:21], vcc
	s_and_saveexec_b64 s[20:21], s[22:23]
	s_cbranch_execz .LBB94_224
; %bb.223:
	v_mov_b32_e32 v81, v85
	v_mov_b32_e32 v82, v86
	;; [unrolled: 1-line block ×4, first 2 shown]
	buffer_load_dword v85, off, s[24:27], 0 offset:352 ; 4-byte Folded Reload
	buffer_load_dword v86, off, s[24:27], 0 offset:356 ; 4-byte Folded Reload
	v_ashrrev_i32_e32 v94, 31, v93
	v_lshlrev_b64 v[94:95], 2, v[93:94]
	s_waitcnt vmcnt(1)
	v_add_co_u32_e32 v94, vcc, v85, v94
	s_waitcnt vmcnt(0)
	v_addc_co_u32_e32 v95, vcc, v86, v95, vcc
	global_load_dword v0, v[94:95], off
	global_load_dword v92, v[85:86], off offset:40
	s_waitcnt vmcnt(1)
	global_store_dword v[85:86], v0, off offset:40
	v_mov_b32_e32 v88, v84
	v_mov_b32_e32 v87, v83
	;; [unrolled: 1-line block ×4, first 2 shown]
	s_waitcnt vmcnt(1)
	global_store_dword v[94:95], v92, off
.LBB94_224:
	s_or_b64 exec, exec, s[20:21]
	v_mov_b32_e32 v92, v93
	v_mov_b32_e32 v0, v93
.LBB94_225:
	s_or_b64 exec, exec, s[18:19]
.LBB94_226:
	s_andn2_saveexec_b64 s[0:1], s[0:1]
	s_cbranch_execz .LBB94_228
; %bb.227:
	buffer_load_dword v81, off, s[24:27], 0 offset:208 ; 4-byte Folded Reload
	buffer_load_dword v82, off, s[24:27], 0 offset:212 ; 4-byte Folded Reload
	buffer_load_dword v83, off, s[24:27], 0 offset:216 ; 4-byte Folded Reload
	buffer_load_dword v84, off, s[24:27], 0 offset:220 ; 4-byte Folded Reload
	v_mov_b32_e32 v92, 10
	s_waitcnt vmcnt(0)
	ds_write2_b64 v90, v[81:82], v[83:84] offset0:22 offset1:23
	buffer_load_dword v81, off, s[24:27], 0 offset:192 ; 4-byte Folded Reload
	buffer_load_dword v82, off, s[24:27], 0 offset:196 ; 4-byte Folded Reload
	buffer_load_dword v83, off, s[24:27], 0 offset:200 ; 4-byte Folded Reload
	buffer_load_dword v84, off, s[24:27], 0 offset:204 ; 4-byte Folded Reload
	s_waitcnt vmcnt(0)
	ds_write2_b64 v90, v[81:82], v[83:84] offset0:24 offset1:25
	buffer_load_dword v81, off, s[24:27], 0 offset:176 ; 4-byte Folded Reload
	buffer_load_dword v82, off, s[24:27], 0 offset:180 ; 4-byte Folded Reload
	buffer_load_dword v83, off, s[24:27], 0 offset:184 ; 4-byte Folded Reload
	buffer_load_dword v84, off, s[24:27], 0 offset:188 ; 4-byte Folded Reload
	;; [unrolled: 6-line block ×12, first 2 shown]
	s_waitcnt vmcnt(0)
	ds_write2_b64 v90, v[81:82], v[83:84] offset0:46 offset1:47
	ds_write2_b64 v90, v[85:86], v[87:88] offset0:48 offset1:49
	;; [unrolled: 1-line block ×3, first 2 shown]
	buffer_load_dword v81, off, s[24:27], 0 ; 4-byte Folded Reload
	buffer_load_dword v82, off, s[24:27], 0 offset:4 ; 4-byte Folded Reload
	buffer_load_dword v83, off, s[24:27], 0 offset:8 ; 4-byte Folded Reload
	;; [unrolled: 1-line block ×3, first 2 shown]
	s_waitcnt vmcnt(0)
	ds_write2_b64 v90, v[81:82], v[83:84] offset0:52 offset1:53
	ds_write2_b64 v90, v[77:78], v[79:80] offset0:54 offset1:55
	;; [unrolled: 1-line block ×22, first 2 shown]
.LBB94_228:
	s_or_b64 exec, exec, s[0:1]
	v_cmp_lt_i32_e32 vcc, 10, v92
	s_waitcnt vmcnt(0) lgkmcnt(0)
	s_barrier
	s_and_saveexec_b64 s[0:1], vcc
	s_cbranch_execz .LBB94_230
; %bb.229:
	buffer_load_dword v97, off, s[24:27], 0 offset:224 ; 4-byte Folded Reload
	buffer_load_dword v98, off, s[24:27], 0 offset:228 ; 4-byte Folded Reload
	;; [unrolled: 1-line block ×4, first 2 shown]
	s_waitcnt vmcnt(0)
	v_mul_f64 v[93:94], v[119:120], v[99:100]
	v_fma_f64 v[125:126], v[117:118], v[97:98], -v[93:94]
	v_mul_f64 v[93:94], v[117:118], v[99:100]
	v_fma_f64 v[99:100], v[119:120], v[97:98], v[93:94]
	ds_read2_b64 v[93:96], v90 offset0:22 offset1:23
	buffer_load_dword v81, off, s[24:27], 0 offset:208 ; 4-byte Folded Reload
	buffer_load_dword v82, off, s[24:27], 0 offset:212 ; 4-byte Folded Reload
	buffer_load_dword v83, off, s[24:27], 0 offset:216 ; 4-byte Folded Reload
	buffer_load_dword v84, off, s[24:27], 0 offset:220 ; 4-byte Folded Reload
	s_waitcnt lgkmcnt(0)
	v_mul_f64 v[97:98], v[95:96], v[99:100]
	v_fma_f64 v[97:98], v[93:94], v[125:126], -v[97:98]
	v_mul_f64 v[93:94], v[93:94], v[99:100]
	v_fma_f64 v[93:94], v[95:96], v[125:126], v[93:94]
	s_waitcnt vmcnt(2)
	v_add_f64 v[81:82], v[81:82], -v[97:98]
	s_waitcnt vmcnt(0)
	v_add_f64 v[83:84], v[83:84], -v[93:94]
	buffer_store_dword v81, off, s[24:27], 0 offset:208 ; 4-byte Folded Spill
	s_nop 0
	buffer_store_dword v82, off, s[24:27], 0 offset:212 ; 4-byte Folded Spill
	buffer_store_dword v83, off, s[24:27], 0 offset:216 ; 4-byte Folded Spill
	buffer_store_dword v84, off, s[24:27], 0 offset:220 ; 4-byte Folded Spill
	ds_read2_b64 v[93:96], v90 offset0:24 offset1:25
	buffer_load_dword v81, off, s[24:27], 0 offset:192 ; 4-byte Folded Reload
	buffer_load_dword v82, off, s[24:27], 0 offset:196 ; 4-byte Folded Reload
	buffer_load_dword v83, off, s[24:27], 0 offset:200 ; 4-byte Folded Reload
	buffer_load_dword v84, off, s[24:27], 0 offset:204 ; 4-byte Folded Reload
	s_waitcnt lgkmcnt(0)
	v_mul_f64 v[97:98], v[95:96], v[99:100]
	v_fma_f64 v[97:98], v[93:94], v[125:126], -v[97:98]
	v_mul_f64 v[93:94], v[93:94], v[99:100]
	v_fma_f64 v[93:94], v[95:96], v[125:126], v[93:94]
	s_waitcnt vmcnt(2)
	v_add_f64 v[81:82], v[81:82], -v[97:98]
	s_waitcnt vmcnt(0)
	v_add_f64 v[83:84], v[83:84], -v[93:94]
	buffer_store_dword v81, off, s[24:27], 0 offset:192 ; 4-byte Folded Spill
	s_nop 0
	buffer_store_dword v82, off, s[24:27], 0 offset:196 ; 4-byte Folded Spill
	buffer_store_dword v83, off, s[24:27], 0 offset:200 ; 4-byte Folded Spill
	buffer_store_dword v84, off, s[24:27], 0 offset:204 ; 4-byte Folded Spill
	;; [unrolled: 19-line block ×13, first 2 shown]
	ds_read2_b64 v[93:96], v90 offset0:48 offset1:49
	s_waitcnt lgkmcnt(0)
	v_mul_f64 v[97:98], v[95:96], v[99:100]
	v_fma_f64 v[97:98], v[93:94], v[125:126], -v[97:98]
	v_mul_f64 v[93:94], v[93:94], v[99:100]
	v_add_f64 v[85:86], v[85:86], -v[97:98]
	v_fma_f64 v[93:94], v[95:96], v[125:126], v[93:94]
	v_add_f64 v[87:88], v[87:88], -v[93:94]
	ds_read2_b64 v[93:96], v90 offset0:50 offset1:51
	s_waitcnt lgkmcnt(0)
	v_mul_f64 v[97:98], v[95:96], v[99:100]
	v_fma_f64 v[97:98], v[93:94], v[125:126], -v[97:98]
	v_mul_f64 v[93:94], v[93:94], v[99:100]
	v_add_f64 v[111:112], v[111:112], -v[97:98]
	v_fma_f64 v[93:94], v[95:96], v[125:126], v[93:94]
	v_add_f64 v[113:114], v[113:114], -v[93:94]
	ds_read2_b64 v[93:96], v90 offset0:52 offset1:53
	buffer_load_dword v81, off, s[24:27], 0 ; 4-byte Folded Reload
	buffer_load_dword v82, off, s[24:27], 0 offset:4 ; 4-byte Folded Reload
	buffer_load_dword v83, off, s[24:27], 0 offset:8 ; 4-byte Folded Reload
	;; [unrolled: 1-line block ×3, first 2 shown]
	s_waitcnt lgkmcnt(0)
	v_mul_f64 v[97:98], v[95:96], v[99:100]
	v_fma_f64 v[97:98], v[93:94], v[125:126], -v[97:98]
	v_mul_f64 v[93:94], v[93:94], v[99:100]
	v_fma_f64 v[93:94], v[95:96], v[125:126], v[93:94]
	s_waitcnt vmcnt(2)
	v_add_f64 v[81:82], v[81:82], -v[97:98]
	s_waitcnt vmcnt(0)
	v_add_f64 v[83:84], v[83:84], -v[93:94]
	buffer_store_dword v81, off, s[24:27], 0 ; 4-byte Folded Spill
	s_nop 0
	buffer_store_dword v82, off, s[24:27], 0 offset:4 ; 4-byte Folded Spill
	buffer_store_dword v83, off, s[24:27], 0 offset:8 ; 4-byte Folded Spill
	;; [unrolled: 1-line block ×3, first 2 shown]
	ds_read2_b64 v[93:96], v90 offset0:54 offset1:55
	s_waitcnt lgkmcnt(0)
	v_mul_f64 v[97:98], v[95:96], v[99:100]
	v_fma_f64 v[97:98], v[93:94], v[125:126], -v[97:98]
	v_mul_f64 v[93:94], v[93:94], v[99:100]
	v_add_f64 v[77:78], v[77:78], -v[97:98]
	v_fma_f64 v[93:94], v[95:96], v[125:126], v[93:94]
	v_add_f64 v[79:80], v[79:80], -v[93:94]
	ds_read2_b64 v[93:96], v90 offset0:56 offset1:57
	s_waitcnt lgkmcnt(0)
	v_mul_f64 v[97:98], v[95:96], v[99:100]
	v_fma_f64 v[97:98], v[93:94], v[125:126], -v[97:98]
	v_mul_f64 v[93:94], v[93:94], v[99:100]
	v_add_f64 v[73:74], v[73:74], -v[97:98]
	v_fma_f64 v[93:94], v[95:96], v[125:126], v[93:94]
	v_add_f64 v[75:76], v[75:76], -v[93:94]
	;; [unrolled: 8-line block ×20, first 2 shown]
	ds_read2_b64 v[93:96], v90 offset0:94 offset1:95
	s_waitcnt lgkmcnt(0)
	v_mul_f64 v[97:98], v[95:96], v[99:100]
	v_fma_f64 v[97:98], v[93:94], v[125:126], -v[97:98]
	v_mul_f64 v[93:94], v[93:94], v[99:100]
	v_add_f64 v[121:122], v[121:122], -v[97:98]
	v_fma_f64 v[93:94], v[95:96], v[125:126], v[93:94]
	v_mov_b32_e32 v97, v125
	v_mov_b32_e32 v98, v126
	buffer_store_dword v97, off, s[24:27], 0 offset:224 ; 4-byte Folded Spill
	s_nop 0
	buffer_store_dword v98, off, s[24:27], 0 offset:228 ; 4-byte Folded Spill
	buffer_store_dword v99, off, s[24:27], 0 offset:232 ; 4-byte Folded Spill
	buffer_store_dword v100, off, s[24:27], 0 offset:236 ; 4-byte Folded Spill
	v_add_f64 v[123:124], v[123:124], -v[93:94]
.LBB94_230:
	s_or_b64 exec, exec, s[0:1]
	s_waitcnt vmcnt(0)
	s_barrier
	buffer_load_dword v81, off, s[24:27], 0 offset:208 ; 4-byte Folded Reload
	buffer_load_dword v82, off, s[24:27], 0 offset:212 ; 4-byte Folded Reload
	;; [unrolled: 1-line block ×4, first 2 shown]
	v_lshl_add_u32 v93, v92, 4, v90
	s_cmp_lt_i32 s3, 13
	s_waitcnt vmcnt(0)
	ds_write2_b64 v93, v[81:82], v[83:84] offset1:1
	s_waitcnt lgkmcnt(0)
	s_barrier
	ds_read2_b64 v[117:120], v90 offset0:22 offset1:23
	v_mov_b32_e32 v93, 11
	s_cbranch_scc1 .LBB94_233
; %bb.231:
	v_add_u32_e32 v94, 0xc0, v90
	s_mov_b32 s0, 12
	v_mov_b32_e32 v93, 11
.LBB94_232:                             ; =>This Inner Loop Header: Depth=1
	s_waitcnt lgkmcnt(0)
	v_cmp_gt_f64_e32 vcc, 0, v[117:118]
	v_xor_b32_e32 v99, 0x80000000, v118
	ds_read2_b64 v[95:98], v94 offset1:1
	v_xor_b32_e32 v101, 0x80000000, v120
	v_add_u32_e32 v94, 16, v94
	s_waitcnt lgkmcnt(0)
	v_xor_b32_e32 v103, 0x80000000, v98
	v_cndmask_b32_e32 v100, v118, v99, vcc
	v_cmp_gt_f64_e32 vcc, 0, v[119:120]
	v_mov_b32_e32 v99, v117
	v_cndmask_b32_e32 v102, v120, v101, vcc
	v_cmp_gt_f64_e32 vcc, 0, v[95:96]
	v_mov_b32_e32 v101, v119
	v_add_f64 v[99:100], v[99:100], v[101:102]
	v_xor_b32_e32 v101, 0x80000000, v96
	v_cndmask_b32_e32 v102, v96, v101, vcc
	v_cmp_gt_f64_e32 vcc, 0, v[97:98]
	v_mov_b32_e32 v101, v95
	v_cndmask_b32_e32 v104, v98, v103, vcc
	v_mov_b32_e32 v103, v97
	v_add_f64 v[101:102], v[101:102], v[103:104]
	v_cmp_lt_f64_e32 vcc, v[99:100], v[101:102]
	v_cndmask_b32_e32 v117, v117, v95, vcc
	v_mov_b32_e32 v95, s0
	s_add_i32 s0, s0, 1
	v_cndmask_b32_e32 v118, v118, v96, vcc
	v_cndmask_b32_e32 v120, v120, v98, vcc
	;; [unrolled: 1-line block ×4, first 2 shown]
	s_cmp_lg_u32 s3, s0
	s_cbranch_scc1 .LBB94_232
.LBB94_233:
	s_waitcnt lgkmcnt(0)
	v_cmp_eq_f64_e32 vcc, 0, v[117:118]
	v_cmp_eq_f64_e64 s[0:1], 0, v[119:120]
	s_and_b64 s[0:1], vcc, s[0:1]
	s_and_saveexec_b64 s[18:19], s[0:1]
	s_xor_b64 s[0:1], exec, s[18:19]
; %bb.234:
	v_cmp_ne_u32_e32 vcc, 0, v91
	v_cndmask_b32_e32 v91, 12, v91, vcc
; %bb.235:
	s_andn2_saveexec_b64 s[0:1], s[0:1]
	s_cbranch_execz .LBB94_241
; %bb.236:
	v_cmp_ngt_f64_e64 s[18:19], |v[117:118]|, |v[119:120]|
	s_and_saveexec_b64 s[20:21], s[18:19]
	s_xor_b64 s[18:19], exec, s[20:21]
	s_cbranch_execz .LBB94_238
; %bb.237:
	v_div_scale_f64 v[94:95], s[20:21], v[119:120], v[119:120], v[117:118]
	v_rcp_f64_e32 v[96:97], v[94:95]
	v_fma_f64 v[98:99], -v[94:95], v[96:97], 1.0
	v_fma_f64 v[96:97], v[96:97], v[98:99], v[96:97]
	v_div_scale_f64 v[98:99], vcc, v[117:118], v[119:120], v[117:118]
	v_fma_f64 v[100:101], -v[94:95], v[96:97], 1.0
	v_fma_f64 v[96:97], v[96:97], v[100:101], v[96:97]
	v_mul_f64 v[100:101], v[98:99], v[96:97]
	v_fma_f64 v[94:95], -v[94:95], v[100:101], v[98:99]
	v_div_fmas_f64 v[94:95], v[94:95], v[96:97], v[100:101]
	v_div_fixup_f64 v[94:95], v[94:95], v[119:120], v[117:118]
	v_fma_f64 v[96:97], v[117:118], v[94:95], v[119:120]
	v_div_scale_f64 v[98:99], s[20:21], v[96:97], v[96:97], 1.0
	v_div_scale_f64 v[104:105], vcc, 1.0, v[96:97], 1.0
	v_rcp_f64_e32 v[100:101], v[98:99]
	v_fma_f64 v[102:103], -v[98:99], v[100:101], 1.0
	v_fma_f64 v[100:101], v[100:101], v[102:103], v[100:101]
	v_fma_f64 v[102:103], -v[98:99], v[100:101], 1.0
	v_fma_f64 v[100:101], v[100:101], v[102:103], v[100:101]
	v_mul_f64 v[102:103], v[104:105], v[100:101]
	v_fma_f64 v[98:99], -v[98:99], v[102:103], v[104:105]
	v_div_fmas_f64 v[98:99], v[98:99], v[100:101], v[102:103]
	v_div_fixup_f64 v[119:120], v[98:99], v[96:97], 1.0
	v_mul_f64 v[117:118], v[94:95], v[119:120]
	v_xor_b32_e32 v120, 0x80000000, v120
.LBB94_238:
	s_andn2_saveexec_b64 s[18:19], s[18:19]
	s_cbranch_execz .LBB94_240
; %bb.239:
	v_div_scale_f64 v[94:95], s[20:21], v[117:118], v[117:118], v[119:120]
	v_rcp_f64_e32 v[96:97], v[94:95]
	v_fma_f64 v[98:99], -v[94:95], v[96:97], 1.0
	v_fma_f64 v[96:97], v[96:97], v[98:99], v[96:97]
	v_div_scale_f64 v[98:99], vcc, v[119:120], v[117:118], v[119:120]
	v_fma_f64 v[100:101], -v[94:95], v[96:97], 1.0
	v_fma_f64 v[96:97], v[96:97], v[100:101], v[96:97]
	v_mul_f64 v[100:101], v[98:99], v[96:97]
	v_fma_f64 v[94:95], -v[94:95], v[100:101], v[98:99]
	v_div_fmas_f64 v[94:95], v[94:95], v[96:97], v[100:101]
	v_div_fixup_f64 v[94:95], v[94:95], v[117:118], v[119:120]
	v_fma_f64 v[96:97], v[119:120], v[94:95], v[117:118]
	v_div_scale_f64 v[98:99], s[20:21], v[96:97], v[96:97], 1.0
	v_div_scale_f64 v[104:105], vcc, 1.0, v[96:97], 1.0
	v_rcp_f64_e32 v[100:101], v[98:99]
	v_fma_f64 v[102:103], -v[98:99], v[100:101], 1.0
	v_fma_f64 v[100:101], v[100:101], v[102:103], v[100:101]
	v_fma_f64 v[102:103], -v[98:99], v[100:101], 1.0
	v_fma_f64 v[100:101], v[100:101], v[102:103], v[100:101]
	v_mul_f64 v[102:103], v[104:105], v[100:101]
	v_fma_f64 v[98:99], -v[98:99], v[102:103], v[104:105]
	v_div_fmas_f64 v[98:99], v[98:99], v[100:101], v[102:103]
	v_div_fixup_f64 v[117:118], v[98:99], v[96:97], 1.0
	v_mul_f64 v[119:120], v[94:95], -v[117:118]
.LBB94_240:
	s_or_b64 exec, exec, s[18:19]
.LBB94_241:
	s_or_b64 exec, exec, s[0:1]
	v_cmp_ne_u32_e32 vcc, v92, v93
	s_and_saveexec_b64 s[0:1], vcc
	s_xor_b64 s[0:1], exec, s[0:1]
	s_cbranch_execz .LBB94_247
; %bb.242:
	v_cmp_eq_u32_e32 vcc, 11, v92
	s_and_saveexec_b64 s[18:19], vcc
	s_cbranch_execz .LBB94_246
; %bb.243:
	v_cmp_ne_u32_e32 vcc, 11, v93
	s_xor_b64 s[20:21], s[6:7], -1
	s_and_b64 s[22:23], s[20:21], vcc
	s_and_saveexec_b64 s[20:21], s[22:23]
	s_cbranch_execz .LBB94_245
; %bb.244:
	v_mov_b32_e32 v81, v85
	v_mov_b32_e32 v82, v86
	;; [unrolled: 1-line block ×4, first 2 shown]
	buffer_load_dword v85, off, s[24:27], 0 offset:352 ; 4-byte Folded Reload
	buffer_load_dword v86, off, s[24:27], 0 offset:356 ; 4-byte Folded Reload
	v_ashrrev_i32_e32 v94, 31, v93
	v_lshlrev_b64 v[94:95], 2, v[93:94]
	s_waitcnt vmcnt(1)
	v_add_co_u32_e32 v94, vcc, v85, v94
	s_waitcnt vmcnt(0)
	v_addc_co_u32_e32 v95, vcc, v86, v95, vcc
	global_load_dword v0, v[94:95], off
	global_load_dword v92, v[85:86], off offset:44
	s_waitcnt vmcnt(1)
	global_store_dword v[85:86], v0, off offset:44
	v_mov_b32_e32 v88, v84
	v_mov_b32_e32 v87, v83
	;; [unrolled: 1-line block ×4, first 2 shown]
	s_waitcnt vmcnt(1)
	global_store_dword v[94:95], v92, off
.LBB94_245:
	s_or_b64 exec, exec, s[20:21]
	v_mov_b32_e32 v92, v93
	v_mov_b32_e32 v0, v93
.LBB94_246:
	s_or_b64 exec, exec, s[18:19]
.LBB94_247:
	s_andn2_saveexec_b64 s[0:1], s[0:1]
	s_cbranch_execz .LBB94_249
; %bb.248:
	buffer_load_dword v81, off, s[24:27], 0 offset:192 ; 4-byte Folded Reload
	buffer_load_dword v82, off, s[24:27], 0 offset:196 ; 4-byte Folded Reload
	;; [unrolled: 1-line block ×4, first 2 shown]
	v_mov_b32_e32 v92, 11
	s_waitcnt vmcnt(0)
	ds_write2_b64 v90, v[81:82], v[83:84] offset0:24 offset1:25
	buffer_load_dword v81, off, s[24:27], 0 offset:176 ; 4-byte Folded Reload
	buffer_load_dword v82, off, s[24:27], 0 offset:180 ; 4-byte Folded Reload
	buffer_load_dword v83, off, s[24:27], 0 offset:184 ; 4-byte Folded Reload
	buffer_load_dword v84, off, s[24:27], 0 offset:188 ; 4-byte Folded Reload
	s_waitcnt vmcnt(0)
	ds_write2_b64 v90, v[81:82], v[83:84] offset0:26 offset1:27
	buffer_load_dword v81, off, s[24:27], 0 offset:160 ; 4-byte Folded Reload
	buffer_load_dword v82, off, s[24:27], 0 offset:164 ; 4-byte Folded Reload
	buffer_load_dword v83, off, s[24:27], 0 offset:168 ; 4-byte Folded Reload
	buffer_load_dword v84, off, s[24:27], 0 offset:172 ; 4-byte Folded Reload
	;; [unrolled: 6-line block ×11, first 2 shown]
	s_waitcnt vmcnt(0)
	ds_write2_b64 v90, v[81:82], v[83:84] offset0:46 offset1:47
	ds_write2_b64 v90, v[85:86], v[87:88] offset0:48 offset1:49
	ds_write2_b64 v90, v[111:112], v[113:114] offset0:50 offset1:51
	buffer_load_dword v81, off, s[24:27], 0 ; 4-byte Folded Reload
	buffer_load_dword v82, off, s[24:27], 0 offset:4 ; 4-byte Folded Reload
	buffer_load_dword v83, off, s[24:27], 0 offset:8 ; 4-byte Folded Reload
	;; [unrolled: 1-line block ×3, first 2 shown]
	s_waitcnt vmcnt(0)
	ds_write2_b64 v90, v[81:82], v[83:84] offset0:52 offset1:53
	ds_write2_b64 v90, v[77:78], v[79:80] offset0:54 offset1:55
	;; [unrolled: 1-line block ×22, first 2 shown]
.LBB94_249:
	s_or_b64 exec, exec, s[0:1]
	v_cmp_lt_i32_e32 vcc, 11, v92
	s_waitcnt vmcnt(0) lgkmcnt(0)
	s_barrier
	s_and_saveexec_b64 s[0:1], vcc
	s_cbranch_execz .LBB94_251
; %bb.250:
	buffer_load_dword v97, off, s[24:27], 0 offset:208 ; 4-byte Folded Reload
	buffer_load_dword v98, off, s[24:27], 0 offset:212 ; 4-byte Folded Reload
	buffer_load_dword v99, off, s[24:27], 0 offset:216 ; 4-byte Folded Reload
	buffer_load_dword v100, off, s[24:27], 0 offset:220 ; 4-byte Folded Reload
	s_waitcnt vmcnt(0)
	v_mul_f64 v[93:94], v[119:120], v[99:100]
	v_fma_f64 v[125:126], v[117:118], v[97:98], -v[93:94]
	v_mul_f64 v[93:94], v[117:118], v[99:100]
	v_fma_f64 v[99:100], v[119:120], v[97:98], v[93:94]
	ds_read2_b64 v[93:96], v90 offset0:24 offset1:25
	buffer_load_dword v81, off, s[24:27], 0 offset:192 ; 4-byte Folded Reload
	buffer_load_dword v82, off, s[24:27], 0 offset:196 ; 4-byte Folded Reload
	buffer_load_dword v83, off, s[24:27], 0 offset:200 ; 4-byte Folded Reload
	buffer_load_dword v84, off, s[24:27], 0 offset:204 ; 4-byte Folded Reload
	s_waitcnt lgkmcnt(0)
	v_mul_f64 v[97:98], v[95:96], v[99:100]
	v_fma_f64 v[97:98], v[93:94], v[125:126], -v[97:98]
	v_mul_f64 v[93:94], v[93:94], v[99:100]
	v_fma_f64 v[93:94], v[95:96], v[125:126], v[93:94]
	s_waitcnt vmcnt(2)
	v_add_f64 v[81:82], v[81:82], -v[97:98]
	s_waitcnt vmcnt(0)
	v_add_f64 v[83:84], v[83:84], -v[93:94]
	buffer_store_dword v81, off, s[24:27], 0 offset:192 ; 4-byte Folded Spill
	s_nop 0
	buffer_store_dword v82, off, s[24:27], 0 offset:196 ; 4-byte Folded Spill
	buffer_store_dword v83, off, s[24:27], 0 offset:200 ; 4-byte Folded Spill
	buffer_store_dword v84, off, s[24:27], 0 offset:204 ; 4-byte Folded Spill
	ds_read2_b64 v[93:96], v90 offset0:26 offset1:27
	buffer_load_dword v81, off, s[24:27], 0 offset:176 ; 4-byte Folded Reload
	buffer_load_dword v82, off, s[24:27], 0 offset:180 ; 4-byte Folded Reload
	buffer_load_dword v83, off, s[24:27], 0 offset:184 ; 4-byte Folded Reload
	buffer_load_dword v84, off, s[24:27], 0 offset:188 ; 4-byte Folded Reload
	s_waitcnt lgkmcnt(0)
	v_mul_f64 v[97:98], v[95:96], v[99:100]
	v_fma_f64 v[97:98], v[93:94], v[125:126], -v[97:98]
	v_mul_f64 v[93:94], v[93:94], v[99:100]
	v_fma_f64 v[93:94], v[95:96], v[125:126], v[93:94]
	s_waitcnt vmcnt(2)
	v_add_f64 v[81:82], v[81:82], -v[97:98]
	s_waitcnt vmcnt(0)
	v_add_f64 v[83:84], v[83:84], -v[93:94]
	buffer_store_dword v81, off, s[24:27], 0 offset:176 ; 4-byte Folded Spill
	s_nop 0
	buffer_store_dword v82, off, s[24:27], 0 offset:180 ; 4-byte Folded Spill
	buffer_store_dword v83, off, s[24:27], 0 offset:184 ; 4-byte Folded Spill
	buffer_store_dword v84, off, s[24:27], 0 offset:188 ; 4-byte Folded Spill
	;; [unrolled: 19-line block ×12, first 2 shown]
	ds_read2_b64 v[93:96], v90 offset0:48 offset1:49
	s_waitcnt lgkmcnt(0)
	v_mul_f64 v[97:98], v[95:96], v[99:100]
	v_fma_f64 v[97:98], v[93:94], v[125:126], -v[97:98]
	v_mul_f64 v[93:94], v[93:94], v[99:100]
	v_add_f64 v[85:86], v[85:86], -v[97:98]
	v_fma_f64 v[93:94], v[95:96], v[125:126], v[93:94]
	v_add_f64 v[87:88], v[87:88], -v[93:94]
	ds_read2_b64 v[93:96], v90 offset0:50 offset1:51
	s_waitcnt lgkmcnt(0)
	v_mul_f64 v[97:98], v[95:96], v[99:100]
	v_fma_f64 v[97:98], v[93:94], v[125:126], -v[97:98]
	v_mul_f64 v[93:94], v[93:94], v[99:100]
	v_add_f64 v[111:112], v[111:112], -v[97:98]
	v_fma_f64 v[93:94], v[95:96], v[125:126], v[93:94]
	v_add_f64 v[113:114], v[113:114], -v[93:94]
	ds_read2_b64 v[93:96], v90 offset0:52 offset1:53
	buffer_load_dword v81, off, s[24:27], 0 ; 4-byte Folded Reload
	buffer_load_dword v82, off, s[24:27], 0 offset:4 ; 4-byte Folded Reload
	buffer_load_dword v83, off, s[24:27], 0 offset:8 ; 4-byte Folded Reload
	;; [unrolled: 1-line block ×3, first 2 shown]
	s_waitcnt lgkmcnt(0)
	v_mul_f64 v[97:98], v[95:96], v[99:100]
	v_fma_f64 v[97:98], v[93:94], v[125:126], -v[97:98]
	v_mul_f64 v[93:94], v[93:94], v[99:100]
	v_fma_f64 v[93:94], v[95:96], v[125:126], v[93:94]
	s_waitcnt vmcnt(2)
	v_add_f64 v[81:82], v[81:82], -v[97:98]
	s_waitcnt vmcnt(0)
	v_add_f64 v[83:84], v[83:84], -v[93:94]
	buffer_store_dword v81, off, s[24:27], 0 ; 4-byte Folded Spill
	s_nop 0
	buffer_store_dword v82, off, s[24:27], 0 offset:4 ; 4-byte Folded Spill
	buffer_store_dword v83, off, s[24:27], 0 offset:8 ; 4-byte Folded Spill
	;; [unrolled: 1-line block ×3, first 2 shown]
	ds_read2_b64 v[93:96], v90 offset0:54 offset1:55
	s_waitcnt lgkmcnt(0)
	v_mul_f64 v[97:98], v[95:96], v[99:100]
	v_fma_f64 v[97:98], v[93:94], v[125:126], -v[97:98]
	v_mul_f64 v[93:94], v[93:94], v[99:100]
	v_add_f64 v[77:78], v[77:78], -v[97:98]
	v_fma_f64 v[93:94], v[95:96], v[125:126], v[93:94]
	v_add_f64 v[79:80], v[79:80], -v[93:94]
	ds_read2_b64 v[93:96], v90 offset0:56 offset1:57
	s_waitcnt lgkmcnt(0)
	v_mul_f64 v[97:98], v[95:96], v[99:100]
	v_fma_f64 v[97:98], v[93:94], v[125:126], -v[97:98]
	v_mul_f64 v[93:94], v[93:94], v[99:100]
	v_add_f64 v[73:74], v[73:74], -v[97:98]
	v_fma_f64 v[93:94], v[95:96], v[125:126], v[93:94]
	v_add_f64 v[75:76], v[75:76], -v[93:94]
	;; [unrolled: 8-line block ×20, first 2 shown]
	ds_read2_b64 v[93:96], v90 offset0:94 offset1:95
	s_waitcnt lgkmcnt(0)
	v_mul_f64 v[97:98], v[95:96], v[99:100]
	v_fma_f64 v[97:98], v[93:94], v[125:126], -v[97:98]
	v_mul_f64 v[93:94], v[93:94], v[99:100]
	v_add_f64 v[121:122], v[121:122], -v[97:98]
	v_fma_f64 v[93:94], v[95:96], v[125:126], v[93:94]
	v_mov_b32_e32 v97, v125
	v_mov_b32_e32 v98, v126
	buffer_store_dword v97, off, s[24:27], 0 offset:208 ; 4-byte Folded Spill
	s_nop 0
	buffer_store_dword v98, off, s[24:27], 0 offset:212 ; 4-byte Folded Spill
	buffer_store_dword v99, off, s[24:27], 0 offset:216 ; 4-byte Folded Spill
	;; [unrolled: 1-line block ×3, first 2 shown]
	v_add_f64 v[123:124], v[123:124], -v[93:94]
.LBB94_251:
	s_or_b64 exec, exec, s[0:1]
	s_waitcnt vmcnt(0)
	s_barrier
	buffer_load_dword v81, off, s[24:27], 0 offset:192 ; 4-byte Folded Reload
	buffer_load_dword v82, off, s[24:27], 0 offset:196 ; 4-byte Folded Reload
	;; [unrolled: 1-line block ×4, first 2 shown]
	v_lshl_add_u32 v93, v92, 4, v90
	s_cmp_lt_i32 s3, 14
	s_waitcnt vmcnt(0)
	ds_write2_b64 v93, v[81:82], v[83:84] offset1:1
	s_waitcnt lgkmcnt(0)
	s_barrier
	ds_read2_b64 v[117:120], v90 offset0:24 offset1:25
	v_mov_b32_e32 v93, 12
	s_cbranch_scc1 .LBB94_254
; %bb.252:
	v_add_u32_e32 v94, 0xd0, v90
	s_mov_b32 s0, 13
	v_mov_b32_e32 v93, 12
.LBB94_253:                             ; =>This Inner Loop Header: Depth=1
	s_waitcnt lgkmcnt(0)
	v_cmp_gt_f64_e32 vcc, 0, v[117:118]
	v_xor_b32_e32 v99, 0x80000000, v118
	ds_read2_b64 v[95:98], v94 offset1:1
	v_xor_b32_e32 v101, 0x80000000, v120
	v_add_u32_e32 v94, 16, v94
	s_waitcnt lgkmcnt(0)
	v_xor_b32_e32 v103, 0x80000000, v98
	v_cndmask_b32_e32 v100, v118, v99, vcc
	v_cmp_gt_f64_e32 vcc, 0, v[119:120]
	v_mov_b32_e32 v99, v117
	v_cndmask_b32_e32 v102, v120, v101, vcc
	v_cmp_gt_f64_e32 vcc, 0, v[95:96]
	v_mov_b32_e32 v101, v119
	v_add_f64 v[99:100], v[99:100], v[101:102]
	v_xor_b32_e32 v101, 0x80000000, v96
	v_cndmask_b32_e32 v102, v96, v101, vcc
	v_cmp_gt_f64_e32 vcc, 0, v[97:98]
	v_mov_b32_e32 v101, v95
	v_cndmask_b32_e32 v104, v98, v103, vcc
	v_mov_b32_e32 v103, v97
	v_add_f64 v[101:102], v[101:102], v[103:104]
	v_cmp_lt_f64_e32 vcc, v[99:100], v[101:102]
	v_cndmask_b32_e32 v117, v117, v95, vcc
	v_mov_b32_e32 v95, s0
	s_add_i32 s0, s0, 1
	v_cndmask_b32_e32 v118, v118, v96, vcc
	v_cndmask_b32_e32 v120, v120, v98, vcc
	v_cndmask_b32_e32 v119, v119, v97, vcc
	v_cndmask_b32_e32 v93, v93, v95, vcc
	s_cmp_lg_u32 s3, s0
	s_cbranch_scc1 .LBB94_253
.LBB94_254:
	s_waitcnt lgkmcnt(0)
	v_cmp_eq_f64_e32 vcc, 0, v[117:118]
	v_cmp_eq_f64_e64 s[0:1], 0, v[119:120]
	s_and_b64 s[0:1], vcc, s[0:1]
	s_and_saveexec_b64 s[18:19], s[0:1]
	s_xor_b64 s[0:1], exec, s[18:19]
; %bb.255:
	v_cmp_ne_u32_e32 vcc, 0, v91
	v_cndmask_b32_e32 v91, 13, v91, vcc
; %bb.256:
	s_andn2_saveexec_b64 s[0:1], s[0:1]
	s_cbranch_execz .LBB94_262
; %bb.257:
	v_cmp_ngt_f64_e64 s[18:19], |v[117:118]|, |v[119:120]|
	s_and_saveexec_b64 s[20:21], s[18:19]
	s_xor_b64 s[18:19], exec, s[20:21]
	s_cbranch_execz .LBB94_259
; %bb.258:
	v_div_scale_f64 v[94:95], s[20:21], v[119:120], v[119:120], v[117:118]
	v_rcp_f64_e32 v[96:97], v[94:95]
	v_fma_f64 v[98:99], -v[94:95], v[96:97], 1.0
	v_fma_f64 v[96:97], v[96:97], v[98:99], v[96:97]
	v_div_scale_f64 v[98:99], vcc, v[117:118], v[119:120], v[117:118]
	v_fma_f64 v[100:101], -v[94:95], v[96:97], 1.0
	v_fma_f64 v[96:97], v[96:97], v[100:101], v[96:97]
	v_mul_f64 v[100:101], v[98:99], v[96:97]
	v_fma_f64 v[94:95], -v[94:95], v[100:101], v[98:99]
	v_div_fmas_f64 v[94:95], v[94:95], v[96:97], v[100:101]
	v_div_fixup_f64 v[94:95], v[94:95], v[119:120], v[117:118]
	v_fma_f64 v[96:97], v[117:118], v[94:95], v[119:120]
	v_div_scale_f64 v[98:99], s[20:21], v[96:97], v[96:97], 1.0
	v_div_scale_f64 v[104:105], vcc, 1.0, v[96:97], 1.0
	v_rcp_f64_e32 v[100:101], v[98:99]
	v_fma_f64 v[102:103], -v[98:99], v[100:101], 1.0
	v_fma_f64 v[100:101], v[100:101], v[102:103], v[100:101]
	v_fma_f64 v[102:103], -v[98:99], v[100:101], 1.0
	v_fma_f64 v[100:101], v[100:101], v[102:103], v[100:101]
	v_mul_f64 v[102:103], v[104:105], v[100:101]
	v_fma_f64 v[98:99], -v[98:99], v[102:103], v[104:105]
	v_div_fmas_f64 v[98:99], v[98:99], v[100:101], v[102:103]
	v_div_fixup_f64 v[119:120], v[98:99], v[96:97], 1.0
	v_mul_f64 v[117:118], v[94:95], v[119:120]
	v_xor_b32_e32 v120, 0x80000000, v120
.LBB94_259:
	s_andn2_saveexec_b64 s[18:19], s[18:19]
	s_cbranch_execz .LBB94_261
; %bb.260:
	v_div_scale_f64 v[94:95], s[20:21], v[117:118], v[117:118], v[119:120]
	v_rcp_f64_e32 v[96:97], v[94:95]
	v_fma_f64 v[98:99], -v[94:95], v[96:97], 1.0
	v_fma_f64 v[96:97], v[96:97], v[98:99], v[96:97]
	v_div_scale_f64 v[98:99], vcc, v[119:120], v[117:118], v[119:120]
	v_fma_f64 v[100:101], -v[94:95], v[96:97], 1.0
	v_fma_f64 v[96:97], v[96:97], v[100:101], v[96:97]
	v_mul_f64 v[100:101], v[98:99], v[96:97]
	v_fma_f64 v[94:95], -v[94:95], v[100:101], v[98:99]
	v_div_fmas_f64 v[94:95], v[94:95], v[96:97], v[100:101]
	v_div_fixup_f64 v[94:95], v[94:95], v[117:118], v[119:120]
	v_fma_f64 v[96:97], v[119:120], v[94:95], v[117:118]
	v_div_scale_f64 v[98:99], s[20:21], v[96:97], v[96:97], 1.0
	v_div_scale_f64 v[104:105], vcc, 1.0, v[96:97], 1.0
	v_rcp_f64_e32 v[100:101], v[98:99]
	v_fma_f64 v[102:103], -v[98:99], v[100:101], 1.0
	v_fma_f64 v[100:101], v[100:101], v[102:103], v[100:101]
	v_fma_f64 v[102:103], -v[98:99], v[100:101], 1.0
	v_fma_f64 v[100:101], v[100:101], v[102:103], v[100:101]
	v_mul_f64 v[102:103], v[104:105], v[100:101]
	v_fma_f64 v[98:99], -v[98:99], v[102:103], v[104:105]
	v_div_fmas_f64 v[98:99], v[98:99], v[100:101], v[102:103]
	v_div_fixup_f64 v[117:118], v[98:99], v[96:97], 1.0
	v_mul_f64 v[119:120], v[94:95], -v[117:118]
.LBB94_261:
	s_or_b64 exec, exec, s[18:19]
.LBB94_262:
	s_or_b64 exec, exec, s[0:1]
	v_cmp_ne_u32_e32 vcc, v92, v93
	s_and_saveexec_b64 s[0:1], vcc
	s_xor_b64 s[0:1], exec, s[0:1]
	s_cbranch_execz .LBB94_268
; %bb.263:
	v_cmp_eq_u32_e32 vcc, 12, v92
	s_and_saveexec_b64 s[18:19], vcc
	s_cbranch_execz .LBB94_267
; %bb.264:
	v_cmp_ne_u32_e32 vcc, 12, v93
	s_xor_b64 s[20:21], s[6:7], -1
	s_and_b64 s[22:23], s[20:21], vcc
	s_and_saveexec_b64 s[20:21], s[22:23]
	s_cbranch_execz .LBB94_266
; %bb.265:
	v_mov_b32_e32 v81, v85
	v_mov_b32_e32 v82, v86
	;; [unrolled: 1-line block ×4, first 2 shown]
	buffer_load_dword v85, off, s[24:27], 0 offset:352 ; 4-byte Folded Reload
	buffer_load_dword v86, off, s[24:27], 0 offset:356 ; 4-byte Folded Reload
	v_ashrrev_i32_e32 v94, 31, v93
	v_lshlrev_b64 v[94:95], 2, v[93:94]
	s_waitcnt vmcnt(1)
	v_add_co_u32_e32 v94, vcc, v85, v94
	s_waitcnt vmcnt(0)
	v_addc_co_u32_e32 v95, vcc, v86, v95, vcc
	global_load_dword v0, v[94:95], off
	global_load_dword v92, v[85:86], off offset:48
	s_waitcnt vmcnt(1)
	global_store_dword v[85:86], v0, off offset:48
	v_mov_b32_e32 v88, v84
	v_mov_b32_e32 v87, v83
	;; [unrolled: 1-line block ×4, first 2 shown]
	s_waitcnt vmcnt(1)
	global_store_dword v[94:95], v92, off
.LBB94_266:
	s_or_b64 exec, exec, s[20:21]
	v_mov_b32_e32 v92, v93
	v_mov_b32_e32 v0, v93
.LBB94_267:
	s_or_b64 exec, exec, s[18:19]
.LBB94_268:
	s_andn2_saveexec_b64 s[0:1], s[0:1]
	s_cbranch_execz .LBB94_270
; %bb.269:
	buffer_load_dword v81, off, s[24:27], 0 offset:176 ; 4-byte Folded Reload
	buffer_load_dword v82, off, s[24:27], 0 offset:180 ; 4-byte Folded Reload
	;; [unrolled: 1-line block ×4, first 2 shown]
	v_mov_b32_e32 v92, 12
	s_waitcnt vmcnt(0)
	ds_write2_b64 v90, v[81:82], v[83:84] offset0:26 offset1:27
	buffer_load_dword v81, off, s[24:27], 0 offset:160 ; 4-byte Folded Reload
	buffer_load_dword v82, off, s[24:27], 0 offset:164 ; 4-byte Folded Reload
	buffer_load_dword v83, off, s[24:27], 0 offset:168 ; 4-byte Folded Reload
	buffer_load_dword v84, off, s[24:27], 0 offset:172 ; 4-byte Folded Reload
	s_waitcnt vmcnt(0)
	ds_write2_b64 v90, v[81:82], v[83:84] offset0:28 offset1:29
	buffer_load_dword v81, off, s[24:27], 0 offset:144 ; 4-byte Folded Reload
	buffer_load_dword v82, off, s[24:27], 0 offset:148 ; 4-byte Folded Reload
	buffer_load_dword v83, off, s[24:27], 0 offset:152 ; 4-byte Folded Reload
	buffer_load_dword v84, off, s[24:27], 0 offset:156 ; 4-byte Folded Reload
	;; [unrolled: 6-line block ×10, first 2 shown]
	s_waitcnt vmcnt(0)
	ds_write2_b64 v90, v[81:82], v[83:84] offset0:46 offset1:47
	ds_write2_b64 v90, v[85:86], v[87:88] offset0:48 offset1:49
	;; [unrolled: 1-line block ×3, first 2 shown]
	buffer_load_dword v81, off, s[24:27], 0 ; 4-byte Folded Reload
	buffer_load_dword v82, off, s[24:27], 0 offset:4 ; 4-byte Folded Reload
	buffer_load_dword v83, off, s[24:27], 0 offset:8 ; 4-byte Folded Reload
	;; [unrolled: 1-line block ×3, first 2 shown]
	s_waitcnt vmcnt(0)
	ds_write2_b64 v90, v[81:82], v[83:84] offset0:52 offset1:53
	ds_write2_b64 v90, v[77:78], v[79:80] offset0:54 offset1:55
	;; [unrolled: 1-line block ×22, first 2 shown]
.LBB94_270:
	s_or_b64 exec, exec, s[0:1]
	v_cmp_lt_i32_e32 vcc, 12, v92
	s_waitcnt vmcnt(0) lgkmcnt(0)
	s_barrier
	s_and_saveexec_b64 s[0:1], vcc
	s_cbranch_execz .LBB94_272
; %bb.271:
	buffer_load_dword v97, off, s[24:27], 0 offset:192 ; 4-byte Folded Reload
	buffer_load_dword v98, off, s[24:27], 0 offset:196 ; 4-byte Folded Reload
	;; [unrolled: 1-line block ×4, first 2 shown]
	s_waitcnt vmcnt(0)
	v_mul_f64 v[93:94], v[119:120], v[99:100]
	v_fma_f64 v[125:126], v[117:118], v[97:98], -v[93:94]
	v_mul_f64 v[93:94], v[117:118], v[99:100]
	v_fma_f64 v[99:100], v[119:120], v[97:98], v[93:94]
	ds_read2_b64 v[93:96], v90 offset0:26 offset1:27
	buffer_load_dword v81, off, s[24:27], 0 offset:176 ; 4-byte Folded Reload
	buffer_load_dword v82, off, s[24:27], 0 offset:180 ; 4-byte Folded Reload
	buffer_load_dword v83, off, s[24:27], 0 offset:184 ; 4-byte Folded Reload
	buffer_load_dword v84, off, s[24:27], 0 offset:188 ; 4-byte Folded Reload
	s_waitcnt lgkmcnt(0)
	v_mul_f64 v[97:98], v[95:96], v[99:100]
	v_fma_f64 v[97:98], v[93:94], v[125:126], -v[97:98]
	v_mul_f64 v[93:94], v[93:94], v[99:100]
	v_fma_f64 v[93:94], v[95:96], v[125:126], v[93:94]
	s_waitcnt vmcnt(2)
	v_add_f64 v[81:82], v[81:82], -v[97:98]
	s_waitcnt vmcnt(0)
	v_add_f64 v[83:84], v[83:84], -v[93:94]
	buffer_store_dword v81, off, s[24:27], 0 offset:176 ; 4-byte Folded Spill
	s_nop 0
	buffer_store_dword v82, off, s[24:27], 0 offset:180 ; 4-byte Folded Spill
	buffer_store_dword v83, off, s[24:27], 0 offset:184 ; 4-byte Folded Spill
	buffer_store_dword v84, off, s[24:27], 0 offset:188 ; 4-byte Folded Spill
	ds_read2_b64 v[93:96], v90 offset0:28 offset1:29
	buffer_load_dword v81, off, s[24:27], 0 offset:160 ; 4-byte Folded Reload
	buffer_load_dword v82, off, s[24:27], 0 offset:164 ; 4-byte Folded Reload
	buffer_load_dword v83, off, s[24:27], 0 offset:168 ; 4-byte Folded Reload
	buffer_load_dword v84, off, s[24:27], 0 offset:172 ; 4-byte Folded Reload
	s_waitcnt lgkmcnt(0)
	v_mul_f64 v[97:98], v[95:96], v[99:100]
	v_fma_f64 v[97:98], v[93:94], v[125:126], -v[97:98]
	v_mul_f64 v[93:94], v[93:94], v[99:100]
	v_fma_f64 v[93:94], v[95:96], v[125:126], v[93:94]
	s_waitcnt vmcnt(2)
	v_add_f64 v[81:82], v[81:82], -v[97:98]
	s_waitcnt vmcnt(0)
	v_add_f64 v[83:84], v[83:84], -v[93:94]
	buffer_store_dword v81, off, s[24:27], 0 offset:160 ; 4-byte Folded Spill
	s_nop 0
	buffer_store_dword v82, off, s[24:27], 0 offset:164 ; 4-byte Folded Spill
	buffer_store_dword v83, off, s[24:27], 0 offset:168 ; 4-byte Folded Spill
	buffer_store_dword v84, off, s[24:27], 0 offset:172 ; 4-byte Folded Spill
	;; [unrolled: 19-line block ×11, first 2 shown]
	ds_read2_b64 v[93:96], v90 offset0:48 offset1:49
	s_waitcnt lgkmcnt(0)
	v_mul_f64 v[97:98], v[95:96], v[99:100]
	v_fma_f64 v[97:98], v[93:94], v[125:126], -v[97:98]
	v_mul_f64 v[93:94], v[93:94], v[99:100]
	v_add_f64 v[85:86], v[85:86], -v[97:98]
	v_fma_f64 v[93:94], v[95:96], v[125:126], v[93:94]
	v_add_f64 v[87:88], v[87:88], -v[93:94]
	ds_read2_b64 v[93:96], v90 offset0:50 offset1:51
	s_waitcnt lgkmcnt(0)
	v_mul_f64 v[97:98], v[95:96], v[99:100]
	v_fma_f64 v[97:98], v[93:94], v[125:126], -v[97:98]
	v_mul_f64 v[93:94], v[93:94], v[99:100]
	v_add_f64 v[111:112], v[111:112], -v[97:98]
	v_fma_f64 v[93:94], v[95:96], v[125:126], v[93:94]
	v_add_f64 v[113:114], v[113:114], -v[93:94]
	ds_read2_b64 v[93:96], v90 offset0:52 offset1:53
	buffer_load_dword v81, off, s[24:27], 0 ; 4-byte Folded Reload
	buffer_load_dword v82, off, s[24:27], 0 offset:4 ; 4-byte Folded Reload
	buffer_load_dword v83, off, s[24:27], 0 offset:8 ; 4-byte Folded Reload
	;; [unrolled: 1-line block ×3, first 2 shown]
	s_waitcnt lgkmcnt(0)
	v_mul_f64 v[97:98], v[95:96], v[99:100]
	v_fma_f64 v[97:98], v[93:94], v[125:126], -v[97:98]
	v_mul_f64 v[93:94], v[93:94], v[99:100]
	v_fma_f64 v[93:94], v[95:96], v[125:126], v[93:94]
	s_waitcnt vmcnt(2)
	v_add_f64 v[81:82], v[81:82], -v[97:98]
	s_waitcnt vmcnt(0)
	v_add_f64 v[83:84], v[83:84], -v[93:94]
	buffer_store_dword v81, off, s[24:27], 0 ; 4-byte Folded Spill
	s_nop 0
	buffer_store_dword v82, off, s[24:27], 0 offset:4 ; 4-byte Folded Spill
	buffer_store_dword v83, off, s[24:27], 0 offset:8 ; 4-byte Folded Spill
	;; [unrolled: 1-line block ×3, first 2 shown]
	ds_read2_b64 v[93:96], v90 offset0:54 offset1:55
	s_waitcnt lgkmcnt(0)
	v_mul_f64 v[97:98], v[95:96], v[99:100]
	v_fma_f64 v[97:98], v[93:94], v[125:126], -v[97:98]
	v_mul_f64 v[93:94], v[93:94], v[99:100]
	v_add_f64 v[77:78], v[77:78], -v[97:98]
	v_fma_f64 v[93:94], v[95:96], v[125:126], v[93:94]
	v_add_f64 v[79:80], v[79:80], -v[93:94]
	ds_read2_b64 v[93:96], v90 offset0:56 offset1:57
	s_waitcnt lgkmcnt(0)
	v_mul_f64 v[97:98], v[95:96], v[99:100]
	v_fma_f64 v[97:98], v[93:94], v[125:126], -v[97:98]
	v_mul_f64 v[93:94], v[93:94], v[99:100]
	v_add_f64 v[73:74], v[73:74], -v[97:98]
	v_fma_f64 v[93:94], v[95:96], v[125:126], v[93:94]
	v_add_f64 v[75:76], v[75:76], -v[93:94]
	;; [unrolled: 8-line block ×20, first 2 shown]
	ds_read2_b64 v[93:96], v90 offset0:94 offset1:95
	s_waitcnt lgkmcnt(0)
	v_mul_f64 v[97:98], v[95:96], v[99:100]
	v_fma_f64 v[97:98], v[93:94], v[125:126], -v[97:98]
	v_mul_f64 v[93:94], v[93:94], v[99:100]
	v_add_f64 v[121:122], v[121:122], -v[97:98]
	v_fma_f64 v[93:94], v[95:96], v[125:126], v[93:94]
	v_mov_b32_e32 v97, v125
	v_mov_b32_e32 v98, v126
	buffer_store_dword v97, off, s[24:27], 0 offset:192 ; 4-byte Folded Spill
	s_nop 0
	buffer_store_dword v98, off, s[24:27], 0 offset:196 ; 4-byte Folded Spill
	buffer_store_dword v99, off, s[24:27], 0 offset:200 ; 4-byte Folded Spill
	;; [unrolled: 1-line block ×3, first 2 shown]
	v_add_f64 v[123:124], v[123:124], -v[93:94]
.LBB94_272:
	s_or_b64 exec, exec, s[0:1]
	s_waitcnt vmcnt(0)
	s_barrier
	buffer_load_dword v81, off, s[24:27], 0 offset:176 ; 4-byte Folded Reload
	buffer_load_dword v82, off, s[24:27], 0 offset:180 ; 4-byte Folded Reload
	;; [unrolled: 1-line block ×4, first 2 shown]
	v_lshl_add_u32 v93, v92, 4, v90
	s_cmp_lt_i32 s3, 15
	s_waitcnt vmcnt(0)
	ds_write2_b64 v93, v[81:82], v[83:84] offset1:1
	s_waitcnt lgkmcnt(0)
	s_barrier
	ds_read2_b64 v[117:120], v90 offset0:26 offset1:27
	v_mov_b32_e32 v93, 13
	s_cbranch_scc1 .LBB94_275
; %bb.273:
	v_add_u32_e32 v94, 0xe0, v90
	s_mov_b32 s0, 14
	v_mov_b32_e32 v93, 13
.LBB94_274:                             ; =>This Inner Loop Header: Depth=1
	s_waitcnt lgkmcnt(0)
	v_cmp_gt_f64_e32 vcc, 0, v[117:118]
	v_xor_b32_e32 v99, 0x80000000, v118
	ds_read2_b64 v[95:98], v94 offset1:1
	v_xor_b32_e32 v101, 0x80000000, v120
	v_add_u32_e32 v94, 16, v94
	s_waitcnt lgkmcnt(0)
	v_xor_b32_e32 v103, 0x80000000, v98
	v_cndmask_b32_e32 v100, v118, v99, vcc
	v_cmp_gt_f64_e32 vcc, 0, v[119:120]
	v_mov_b32_e32 v99, v117
	v_cndmask_b32_e32 v102, v120, v101, vcc
	v_cmp_gt_f64_e32 vcc, 0, v[95:96]
	v_mov_b32_e32 v101, v119
	v_add_f64 v[99:100], v[99:100], v[101:102]
	v_xor_b32_e32 v101, 0x80000000, v96
	v_cndmask_b32_e32 v102, v96, v101, vcc
	v_cmp_gt_f64_e32 vcc, 0, v[97:98]
	v_mov_b32_e32 v101, v95
	v_cndmask_b32_e32 v104, v98, v103, vcc
	v_mov_b32_e32 v103, v97
	v_add_f64 v[101:102], v[101:102], v[103:104]
	v_cmp_lt_f64_e32 vcc, v[99:100], v[101:102]
	v_cndmask_b32_e32 v117, v117, v95, vcc
	v_mov_b32_e32 v95, s0
	s_add_i32 s0, s0, 1
	v_cndmask_b32_e32 v118, v118, v96, vcc
	v_cndmask_b32_e32 v120, v120, v98, vcc
	;; [unrolled: 1-line block ×4, first 2 shown]
	s_cmp_lg_u32 s3, s0
	s_cbranch_scc1 .LBB94_274
.LBB94_275:
	s_waitcnt lgkmcnt(0)
	v_cmp_eq_f64_e32 vcc, 0, v[117:118]
	v_cmp_eq_f64_e64 s[0:1], 0, v[119:120]
	s_and_b64 s[0:1], vcc, s[0:1]
	s_and_saveexec_b64 s[18:19], s[0:1]
	s_xor_b64 s[0:1], exec, s[18:19]
; %bb.276:
	v_cmp_ne_u32_e32 vcc, 0, v91
	v_cndmask_b32_e32 v91, 14, v91, vcc
; %bb.277:
	s_andn2_saveexec_b64 s[0:1], s[0:1]
	s_cbranch_execz .LBB94_283
; %bb.278:
	v_cmp_ngt_f64_e64 s[18:19], |v[117:118]|, |v[119:120]|
	s_and_saveexec_b64 s[20:21], s[18:19]
	s_xor_b64 s[18:19], exec, s[20:21]
	s_cbranch_execz .LBB94_280
; %bb.279:
	v_div_scale_f64 v[94:95], s[20:21], v[119:120], v[119:120], v[117:118]
	v_rcp_f64_e32 v[96:97], v[94:95]
	v_fma_f64 v[98:99], -v[94:95], v[96:97], 1.0
	v_fma_f64 v[96:97], v[96:97], v[98:99], v[96:97]
	v_div_scale_f64 v[98:99], vcc, v[117:118], v[119:120], v[117:118]
	v_fma_f64 v[100:101], -v[94:95], v[96:97], 1.0
	v_fma_f64 v[96:97], v[96:97], v[100:101], v[96:97]
	v_mul_f64 v[100:101], v[98:99], v[96:97]
	v_fma_f64 v[94:95], -v[94:95], v[100:101], v[98:99]
	v_div_fmas_f64 v[94:95], v[94:95], v[96:97], v[100:101]
	v_div_fixup_f64 v[94:95], v[94:95], v[119:120], v[117:118]
	v_fma_f64 v[96:97], v[117:118], v[94:95], v[119:120]
	v_div_scale_f64 v[98:99], s[20:21], v[96:97], v[96:97], 1.0
	v_div_scale_f64 v[104:105], vcc, 1.0, v[96:97], 1.0
	v_rcp_f64_e32 v[100:101], v[98:99]
	v_fma_f64 v[102:103], -v[98:99], v[100:101], 1.0
	v_fma_f64 v[100:101], v[100:101], v[102:103], v[100:101]
	v_fma_f64 v[102:103], -v[98:99], v[100:101], 1.0
	v_fma_f64 v[100:101], v[100:101], v[102:103], v[100:101]
	v_mul_f64 v[102:103], v[104:105], v[100:101]
	v_fma_f64 v[98:99], -v[98:99], v[102:103], v[104:105]
	v_div_fmas_f64 v[98:99], v[98:99], v[100:101], v[102:103]
	v_div_fixup_f64 v[119:120], v[98:99], v[96:97], 1.0
	v_mul_f64 v[117:118], v[94:95], v[119:120]
	v_xor_b32_e32 v120, 0x80000000, v120
.LBB94_280:
	s_andn2_saveexec_b64 s[18:19], s[18:19]
	s_cbranch_execz .LBB94_282
; %bb.281:
	v_div_scale_f64 v[94:95], s[20:21], v[117:118], v[117:118], v[119:120]
	v_rcp_f64_e32 v[96:97], v[94:95]
	v_fma_f64 v[98:99], -v[94:95], v[96:97], 1.0
	v_fma_f64 v[96:97], v[96:97], v[98:99], v[96:97]
	v_div_scale_f64 v[98:99], vcc, v[119:120], v[117:118], v[119:120]
	v_fma_f64 v[100:101], -v[94:95], v[96:97], 1.0
	v_fma_f64 v[96:97], v[96:97], v[100:101], v[96:97]
	v_mul_f64 v[100:101], v[98:99], v[96:97]
	v_fma_f64 v[94:95], -v[94:95], v[100:101], v[98:99]
	v_div_fmas_f64 v[94:95], v[94:95], v[96:97], v[100:101]
	v_div_fixup_f64 v[94:95], v[94:95], v[117:118], v[119:120]
	v_fma_f64 v[96:97], v[119:120], v[94:95], v[117:118]
	v_div_scale_f64 v[98:99], s[20:21], v[96:97], v[96:97], 1.0
	v_div_scale_f64 v[104:105], vcc, 1.0, v[96:97], 1.0
	v_rcp_f64_e32 v[100:101], v[98:99]
	v_fma_f64 v[102:103], -v[98:99], v[100:101], 1.0
	v_fma_f64 v[100:101], v[100:101], v[102:103], v[100:101]
	v_fma_f64 v[102:103], -v[98:99], v[100:101], 1.0
	v_fma_f64 v[100:101], v[100:101], v[102:103], v[100:101]
	v_mul_f64 v[102:103], v[104:105], v[100:101]
	v_fma_f64 v[98:99], -v[98:99], v[102:103], v[104:105]
	v_div_fmas_f64 v[98:99], v[98:99], v[100:101], v[102:103]
	v_div_fixup_f64 v[117:118], v[98:99], v[96:97], 1.0
	v_mul_f64 v[119:120], v[94:95], -v[117:118]
.LBB94_282:
	s_or_b64 exec, exec, s[18:19]
.LBB94_283:
	s_or_b64 exec, exec, s[0:1]
	v_cmp_ne_u32_e32 vcc, v92, v93
	s_and_saveexec_b64 s[0:1], vcc
	s_xor_b64 s[0:1], exec, s[0:1]
	s_cbranch_execz .LBB94_289
; %bb.284:
	v_cmp_eq_u32_e32 vcc, 13, v92
	s_and_saveexec_b64 s[18:19], vcc
	s_cbranch_execz .LBB94_288
; %bb.285:
	v_cmp_ne_u32_e32 vcc, 13, v93
	s_xor_b64 s[20:21], s[6:7], -1
	s_and_b64 s[22:23], s[20:21], vcc
	s_and_saveexec_b64 s[20:21], s[22:23]
	s_cbranch_execz .LBB94_287
; %bb.286:
	v_mov_b32_e32 v81, v85
	v_mov_b32_e32 v82, v86
	;; [unrolled: 1-line block ×4, first 2 shown]
	buffer_load_dword v85, off, s[24:27], 0 offset:352 ; 4-byte Folded Reload
	buffer_load_dword v86, off, s[24:27], 0 offset:356 ; 4-byte Folded Reload
	v_ashrrev_i32_e32 v94, 31, v93
	v_lshlrev_b64 v[94:95], 2, v[93:94]
	s_waitcnt vmcnt(1)
	v_add_co_u32_e32 v94, vcc, v85, v94
	s_waitcnt vmcnt(0)
	v_addc_co_u32_e32 v95, vcc, v86, v95, vcc
	global_load_dword v0, v[94:95], off
	global_load_dword v92, v[85:86], off offset:52
	s_waitcnt vmcnt(1)
	global_store_dword v[85:86], v0, off offset:52
	v_mov_b32_e32 v88, v84
	v_mov_b32_e32 v87, v83
	v_mov_b32_e32 v86, v82
	v_mov_b32_e32 v85, v81
	s_waitcnt vmcnt(1)
	global_store_dword v[94:95], v92, off
.LBB94_287:
	s_or_b64 exec, exec, s[20:21]
	v_mov_b32_e32 v92, v93
	v_mov_b32_e32 v0, v93
.LBB94_288:
	s_or_b64 exec, exec, s[18:19]
.LBB94_289:
	s_andn2_saveexec_b64 s[0:1], s[0:1]
	s_cbranch_execz .LBB94_291
; %bb.290:
	buffer_load_dword v81, off, s[24:27], 0 offset:160 ; 4-byte Folded Reload
	buffer_load_dword v82, off, s[24:27], 0 offset:164 ; 4-byte Folded Reload
	;; [unrolled: 1-line block ×4, first 2 shown]
	v_mov_b32_e32 v92, 13
	s_waitcnt vmcnt(0)
	ds_write2_b64 v90, v[81:82], v[83:84] offset0:28 offset1:29
	buffer_load_dword v81, off, s[24:27], 0 offset:144 ; 4-byte Folded Reload
	buffer_load_dword v82, off, s[24:27], 0 offset:148 ; 4-byte Folded Reload
	buffer_load_dword v83, off, s[24:27], 0 offset:152 ; 4-byte Folded Reload
	buffer_load_dword v84, off, s[24:27], 0 offset:156 ; 4-byte Folded Reload
	s_waitcnt vmcnt(0)
	ds_write2_b64 v90, v[81:82], v[83:84] offset0:30 offset1:31
	buffer_load_dword v81, off, s[24:27], 0 offset:128 ; 4-byte Folded Reload
	buffer_load_dword v82, off, s[24:27], 0 offset:132 ; 4-byte Folded Reload
	buffer_load_dword v83, off, s[24:27], 0 offset:136 ; 4-byte Folded Reload
	buffer_load_dword v84, off, s[24:27], 0 offset:140 ; 4-byte Folded Reload
	;; [unrolled: 6-line block ×9, first 2 shown]
	s_waitcnt vmcnt(0)
	ds_write2_b64 v90, v[81:82], v[83:84] offset0:46 offset1:47
	ds_write2_b64 v90, v[85:86], v[87:88] offset0:48 offset1:49
	;; [unrolled: 1-line block ×3, first 2 shown]
	buffer_load_dword v81, off, s[24:27], 0 ; 4-byte Folded Reload
	buffer_load_dword v82, off, s[24:27], 0 offset:4 ; 4-byte Folded Reload
	buffer_load_dword v83, off, s[24:27], 0 offset:8 ; 4-byte Folded Reload
	;; [unrolled: 1-line block ×3, first 2 shown]
	s_waitcnt vmcnt(0)
	ds_write2_b64 v90, v[81:82], v[83:84] offset0:52 offset1:53
	ds_write2_b64 v90, v[77:78], v[79:80] offset0:54 offset1:55
	;; [unrolled: 1-line block ×22, first 2 shown]
.LBB94_291:
	s_or_b64 exec, exec, s[0:1]
	v_cmp_lt_i32_e32 vcc, 13, v92
	s_waitcnt vmcnt(0) lgkmcnt(0)
	s_barrier
	s_and_saveexec_b64 s[0:1], vcc
	s_cbranch_execz .LBB94_293
; %bb.292:
	buffer_load_dword v97, off, s[24:27], 0 offset:176 ; 4-byte Folded Reload
	buffer_load_dword v98, off, s[24:27], 0 offset:180 ; 4-byte Folded Reload
	;; [unrolled: 1-line block ×4, first 2 shown]
	s_waitcnt vmcnt(0)
	v_mul_f64 v[93:94], v[119:120], v[99:100]
	v_fma_f64 v[125:126], v[117:118], v[97:98], -v[93:94]
	v_mul_f64 v[93:94], v[117:118], v[99:100]
	v_fma_f64 v[99:100], v[119:120], v[97:98], v[93:94]
	ds_read2_b64 v[93:96], v90 offset0:28 offset1:29
	buffer_load_dword v81, off, s[24:27], 0 offset:160 ; 4-byte Folded Reload
	buffer_load_dword v82, off, s[24:27], 0 offset:164 ; 4-byte Folded Reload
	buffer_load_dword v83, off, s[24:27], 0 offset:168 ; 4-byte Folded Reload
	buffer_load_dword v84, off, s[24:27], 0 offset:172 ; 4-byte Folded Reload
	s_waitcnt lgkmcnt(0)
	v_mul_f64 v[97:98], v[95:96], v[99:100]
	v_fma_f64 v[97:98], v[93:94], v[125:126], -v[97:98]
	v_mul_f64 v[93:94], v[93:94], v[99:100]
	v_fma_f64 v[93:94], v[95:96], v[125:126], v[93:94]
	s_waitcnt vmcnt(2)
	v_add_f64 v[81:82], v[81:82], -v[97:98]
	s_waitcnt vmcnt(0)
	v_add_f64 v[83:84], v[83:84], -v[93:94]
	buffer_store_dword v81, off, s[24:27], 0 offset:160 ; 4-byte Folded Spill
	s_nop 0
	buffer_store_dword v82, off, s[24:27], 0 offset:164 ; 4-byte Folded Spill
	buffer_store_dword v83, off, s[24:27], 0 offset:168 ; 4-byte Folded Spill
	buffer_store_dword v84, off, s[24:27], 0 offset:172 ; 4-byte Folded Spill
	ds_read2_b64 v[93:96], v90 offset0:30 offset1:31
	buffer_load_dword v81, off, s[24:27], 0 offset:144 ; 4-byte Folded Reload
	buffer_load_dword v82, off, s[24:27], 0 offset:148 ; 4-byte Folded Reload
	buffer_load_dword v83, off, s[24:27], 0 offset:152 ; 4-byte Folded Reload
	buffer_load_dword v84, off, s[24:27], 0 offset:156 ; 4-byte Folded Reload
	s_waitcnt lgkmcnt(0)
	v_mul_f64 v[97:98], v[95:96], v[99:100]
	v_fma_f64 v[97:98], v[93:94], v[125:126], -v[97:98]
	v_mul_f64 v[93:94], v[93:94], v[99:100]
	v_fma_f64 v[93:94], v[95:96], v[125:126], v[93:94]
	s_waitcnt vmcnt(2)
	v_add_f64 v[81:82], v[81:82], -v[97:98]
	s_waitcnt vmcnt(0)
	v_add_f64 v[83:84], v[83:84], -v[93:94]
	buffer_store_dword v81, off, s[24:27], 0 offset:144 ; 4-byte Folded Spill
	s_nop 0
	buffer_store_dword v82, off, s[24:27], 0 offset:148 ; 4-byte Folded Spill
	buffer_store_dword v83, off, s[24:27], 0 offset:152 ; 4-byte Folded Spill
	buffer_store_dword v84, off, s[24:27], 0 offset:156 ; 4-byte Folded Spill
	;; [unrolled: 19-line block ×10, first 2 shown]
	ds_read2_b64 v[93:96], v90 offset0:48 offset1:49
	s_waitcnt lgkmcnt(0)
	v_mul_f64 v[97:98], v[95:96], v[99:100]
	v_fma_f64 v[97:98], v[93:94], v[125:126], -v[97:98]
	v_mul_f64 v[93:94], v[93:94], v[99:100]
	v_add_f64 v[85:86], v[85:86], -v[97:98]
	v_fma_f64 v[93:94], v[95:96], v[125:126], v[93:94]
	v_add_f64 v[87:88], v[87:88], -v[93:94]
	ds_read2_b64 v[93:96], v90 offset0:50 offset1:51
	s_waitcnt lgkmcnt(0)
	v_mul_f64 v[97:98], v[95:96], v[99:100]
	v_fma_f64 v[97:98], v[93:94], v[125:126], -v[97:98]
	v_mul_f64 v[93:94], v[93:94], v[99:100]
	v_add_f64 v[111:112], v[111:112], -v[97:98]
	v_fma_f64 v[93:94], v[95:96], v[125:126], v[93:94]
	v_add_f64 v[113:114], v[113:114], -v[93:94]
	ds_read2_b64 v[93:96], v90 offset0:52 offset1:53
	buffer_load_dword v81, off, s[24:27], 0 ; 4-byte Folded Reload
	buffer_load_dword v82, off, s[24:27], 0 offset:4 ; 4-byte Folded Reload
	buffer_load_dword v83, off, s[24:27], 0 offset:8 ; 4-byte Folded Reload
	buffer_load_dword v84, off, s[24:27], 0 offset:12 ; 4-byte Folded Reload
	s_waitcnt lgkmcnt(0)
	v_mul_f64 v[97:98], v[95:96], v[99:100]
	v_fma_f64 v[97:98], v[93:94], v[125:126], -v[97:98]
	v_mul_f64 v[93:94], v[93:94], v[99:100]
	v_fma_f64 v[93:94], v[95:96], v[125:126], v[93:94]
	s_waitcnt vmcnt(2)
	v_add_f64 v[81:82], v[81:82], -v[97:98]
	s_waitcnt vmcnt(0)
	v_add_f64 v[83:84], v[83:84], -v[93:94]
	buffer_store_dword v81, off, s[24:27], 0 ; 4-byte Folded Spill
	s_nop 0
	buffer_store_dword v82, off, s[24:27], 0 offset:4 ; 4-byte Folded Spill
	buffer_store_dword v83, off, s[24:27], 0 offset:8 ; 4-byte Folded Spill
	;; [unrolled: 1-line block ×3, first 2 shown]
	ds_read2_b64 v[93:96], v90 offset0:54 offset1:55
	s_waitcnt lgkmcnt(0)
	v_mul_f64 v[97:98], v[95:96], v[99:100]
	v_fma_f64 v[97:98], v[93:94], v[125:126], -v[97:98]
	v_mul_f64 v[93:94], v[93:94], v[99:100]
	v_add_f64 v[77:78], v[77:78], -v[97:98]
	v_fma_f64 v[93:94], v[95:96], v[125:126], v[93:94]
	v_add_f64 v[79:80], v[79:80], -v[93:94]
	ds_read2_b64 v[93:96], v90 offset0:56 offset1:57
	s_waitcnt lgkmcnt(0)
	v_mul_f64 v[97:98], v[95:96], v[99:100]
	v_fma_f64 v[97:98], v[93:94], v[125:126], -v[97:98]
	v_mul_f64 v[93:94], v[93:94], v[99:100]
	v_add_f64 v[73:74], v[73:74], -v[97:98]
	v_fma_f64 v[93:94], v[95:96], v[125:126], v[93:94]
	v_add_f64 v[75:76], v[75:76], -v[93:94]
	;; [unrolled: 8-line block ×20, first 2 shown]
	ds_read2_b64 v[93:96], v90 offset0:94 offset1:95
	s_waitcnt lgkmcnt(0)
	v_mul_f64 v[97:98], v[95:96], v[99:100]
	v_fma_f64 v[97:98], v[93:94], v[125:126], -v[97:98]
	v_mul_f64 v[93:94], v[93:94], v[99:100]
	v_add_f64 v[121:122], v[121:122], -v[97:98]
	v_fma_f64 v[93:94], v[95:96], v[125:126], v[93:94]
	v_mov_b32_e32 v97, v125
	v_mov_b32_e32 v98, v126
	buffer_store_dword v97, off, s[24:27], 0 offset:176 ; 4-byte Folded Spill
	s_nop 0
	buffer_store_dword v98, off, s[24:27], 0 offset:180 ; 4-byte Folded Spill
	buffer_store_dword v99, off, s[24:27], 0 offset:184 ; 4-byte Folded Spill
	;; [unrolled: 1-line block ×3, first 2 shown]
	v_add_f64 v[123:124], v[123:124], -v[93:94]
.LBB94_293:
	s_or_b64 exec, exec, s[0:1]
	s_waitcnt vmcnt(0)
	s_barrier
	buffer_load_dword v81, off, s[24:27], 0 offset:160 ; 4-byte Folded Reload
	buffer_load_dword v82, off, s[24:27], 0 offset:164 ; 4-byte Folded Reload
	;; [unrolled: 1-line block ×4, first 2 shown]
	v_lshl_add_u32 v93, v92, 4, v90
	s_cmp_lt_i32 s3, 16
	s_waitcnt vmcnt(0)
	ds_write2_b64 v93, v[81:82], v[83:84] offset1:1
	s_waitcnt lgkmcnt(0)
	s_barrier
	ds_read2_b64 v[117:120], v90 offset0:28 offset1:29
	v_mov_b32_e32 v93, 14
	s_cbranch_scc1 .LBB94_296
; %bb.294:
	v_add_u32_e32 v94, 0xf0, v90
	s_mov_b32 s0, 15
	v_mov_b32_e32 v93, 14
.LBB94_295:                             ; =>This Inner Loop Header: Depth=1
	s_waitcnt lgkmcnt(0)
	v_cmp_gt_f64_e32 vcc, 0, v[117:118]
	v_xor_b32_e32 v99, 0x80000000, v118
	ds_read2_b64 v[95:98], v94 offset1:1
	v_xor_b32_e32 v101, 0x80000000, v120
	v_add_u32_e32 v94, 16, v94
	s_waitcnt lgkmcnt(0)
	v_xor_b32_e32 v103, 0x80000000, v98
	v_cndmask_b32_e32 v100, v118, v99, vcc
	v_cmp_gt_f64_e32 vcc, 0, v[119:120]
	v_mov_b32_e32 v99, v117
	v_cndmask_b32_e32 v102, v120, v101, vcc
	v_cmp_gt_f64_e32 vcc, 0, v[95:96]
	v_mov_b32_e32 v101, v119
	v_add_f64 v[99:100], v[99:100], v[101:102]
	v_xor_b32_e32 v101, 0x80000000, v96
	v_cndmask_b32_e32 v102, v96, v101, vcc
	v_cmp_gt_f64_e32 vcc, 0, v[97:98]
	v_mov_b32_e32 v101, v95
	v_cndmask_b32_e32 v104, v98, v103, vcc
	v_mov_b32_e32 v103, v97
	v_add_f64 v[101:102], v[101:102], v[103:104]
	v_cmp_lt_f64_e32 vcc, v[99:100], v[101:102]
	v_cndmask_b32_e32 v117, v117, v95, vcc
	v_mov_b32_e32 v95, s0
	s_add_i32 s0, s0, 1
	v_cndmask_b32_e32 v118, v118, v96, vcc
	v_cndmask_b32_e32 v120, v120, v98, vcc
	;; [unrolled: 1-line block ×4, first 2 shown]
	s_cmp_lg_u32 s3, s0
	s_cbranch_scc1 .LBB94_295
.LBB94_296:
	s_waitcnt lgkmcnt(0)
	v_cmp_eq_f64_e32 vcc, 0, v[117:118]
	v_cmp_eq_f64_e64 s[0:1], 0, v[119:120]
	s_and_b64 s[0:1], vcc, s[0:1]
	s_and_saveexec_b64 s[18:19], s[0:1]
	s_xor_b64 s[0:1], exec, s[18:19]
; %bb.297:
	v_cmp_ne_u32_e32 vcc, 0, v91
	v_cndmask_b32_e32 v91, 15, v91, vcc
; %bb.298:
	s_andn2_saveexec_b64 s[0:1], s[0:1]
	s_cbranch_execz .LBB94_304
; %bb.299:
	v_cmp_ngt_f64_e64 s[18:19], |v[117:118]|, |v[119:120]|
	s_and_saveexec_b64 s[20:21], s[18:19]
	s_xor_b64 s[18:19], exec, s[20:21]
	s_cbranch_execz .LBB94_301
; %bb.300:
	v_div_scale_f64 v[94:95], s[20:21], v[119:120], v[119:120], v[117:118]
	v_rcp_f64_e32 v[96:97], v[94:95]
	v_fma_f64 v[98:99], -v[94:95], v[96:97], 1.0
	v_fma_f64 v[96:97], v[96:97], v[98:99], v[96:97]
	v_div_scale_f64 v[98:99], vcc, v[117:118], v[119:120], v[117:118]
	v_fma_f64 v[100:101], -v[94:95], v[96:97], 1.0
	v_fma_f64 v[96:97], v[96:97], v[100:101], v[96:97]
	v_mul_f64 v[100:101], v[98:99], v[96:97]
	v_fma_f64 v[94:95], -v[94:95], v[100:101], v[98:99]
	v_div_fmas_f64 v[94:95], v[94:95], v[96:97], v[100:101]
	v_div_fixup_f64 v[94:95], v[94:95], v[119:120], v[117:118]
	v_fma_f64 v[96:97], v[117:118], v[94:95], v[119:120]
	v_div_scale_f64 v[98:99], s[20:21], v[96:97], v[96:97], 1.0
	v_div_scale_f64 v[104:105], vcc, 1.0, v[96:97], 1.0
	v_rcp_f64_e32 v[100:101], v[98:99]
	v_fma_f64 v[102:103], -v[98:99], v[100:101], 1.0
	v_fma_f64 v[100:101], v[100:101], v[102:103], v[100:101]
	v_fma_f64 v[102:103], -v[98:99], v[100:101], 1.0
	v_fma_f64 v[100:101], v[100:101], v[102:103], v[100:101]
	v_mul_f64 v[102:103], v[104:105], v[100:101]
	v_fma_f64 v[98:99], -v[98:99], v[102:103], v[104:105]
	v_div_fmas_f64 v[98:99], v[98:99], v[100:101], v[102:103]
	v_div_fixup_f64 v[119:120], v[98:99], v[96:97], 1.0
	v_mul_f64 v[117:118], v[94:95], v[119:120]
	v_xor_b32_e32 v120, 0x80000000, v120
.LBB94_301:
	s_andn2_saveexec_b64 s[18:19], s[18:19]
	s_cbranch_execz .LBB94_303
; %bb.302:
	v_div_scale_f64 v[94:95], s[20:21], v[117:118], v[117:118], v[119:120]
	v_rcp_f64_e32 v[96:97], v[94:95]
	v_fma_f64 v[98:99], -v[94:95], v[96:97], 1.0
	v_fma_f64 v[96:97], v[96:97], v[98:99], v[96:97]
	v_div_scale_f64 v[98:99], vcc, v[119:120], v[117:118], v[119:120]
	v_fma_f64 v[100:101], -v[94:95], v[96:97], 1.0
	v_fma_f64 v[96:97], v[96:97], v[100:101], v[96:97]
	v_mul_f64 v[100:101], v[98:99], v[96:97]
	v_fma_f64 v[94:95], -v[94:95], v[100:101], v[98:99]
	v_div_fmas_f64 v[94:95], v[94:95], v[96:97], v[100:101]
	v_div_fixup_f64 v[94:95], v[94:95], v[117:118], v[119:120]
	v_fma_f64 v[96:97], v[119:120], v[94:95], v[117:118]
	v_div_scale_f64 v[98:99], s[20:21], v[96:97], v[96:97], 1.0
	v_div_scale_f64 v[104:105], vcc, 1.0, v[96:97], 1.0
	v_rcp_f64_e32 v[100:101], v[98:99]
	v_fma_f64 v[102:103], -v[98:99], v[100:101], 1.0
	v_fma_f64 v[100:101], v[100:101], v[102:103], v[100:101]
	v_fma_f64 v[102:103], -v[98:99], v[100:101], 1.0
	v_fma_f64 v[100:101], v[100:101], v[102:103], v[100:101]
	v_mul_f64 v[102:103], v[104:105], v[100:101]
	v_fma_f64 v[98:99], -v[98:99], v[102:103], v[104:105]
	v_div_fmas_f64 v[98:99], v[98:99], v[100:101], v[102:103]
	v_div_fixup_f64 v[117:118], v[98:99], v[96:97], 1.0
	v_mul_f64 v[119:120], v[94:95], -v[117:118]
.LBB94_303:
	s_or_b64 exec, exec, s[18:19]
.LBB94_304:
	s_or_b64 exec, exec, s[0:1]
	v_cmp_ne_u32_e32 vcc, v92, v93
	s_and_saveexec_b64 s[0:1], vcc
	s_xor_b64 s[0:1], exec, s[0:1]
	s_cbranch_execz .LBB94_310
; %bb.305:
	v_cmp_eq_u32_e32 vcc, 14, v92
	s_and_saveexec_b64 s[18:19], vcc
	s_cbranch_execz .LBB94_309
; %bb.306:
	v_cmp_ne_u32_e32 vcc, 14, v93
	s_xor_b64 s[20:21], s[6:7], -1
	s_and_b64 s[22:23], s[20:21], vcc
	s_and_saveexec_b64 s[20:21], s[22:23]
	s_cbranch_execz .LBB94_308
; %bb.307:
	v_mov_b32_e32 v81, v85
	v_mov_b32_e32 v82, v86
	;; [unrolled: 1-line block ×4, first 2 shown]
	buffer_load_dword v85, off, s[24:27], 0 offset:352 ; 4-byte Folded Reload
	buffer_load_dword v86, off, s[24:27], 0 offset:356 ; 4-byte Folded Reload
	v_ashrrev_i32_e32 v94, 31, v93
	v_lshlrev_b64 v[94:95], 2, v[93:94]
	s_waitcnt vmcnt(1)
	v_add_co_u32_e32 v94, vcc, v85, v94
	s_waitcnt vmcnt(0)
	v_addc_co_u32_e32 v95, vcc, v86, v95, vcc
	global_load_dword v0, v[94:95], off
	global_load_dword v92, v[85:86], off offset:56
	s_waitcnt vmcnt(1)
	global_store_dword v[85:86], v0, off offset:56
	v_mov_b32_e32 v88, v84
	v_mov_b32_e32 v87, v83
	;; [unrolled: 1-line block ×4, first 2 shown]
	s_waitcnt vmcnt(1)
	global_store_dword v[94:95], v92, off
.LBB94_308:
	s_or_b64 exec, exec, s[20:21]
	v_mov_b32_e32 v92, v93
	v_mov_b32_e32 v0, v93
.LBB94_309:
	s_or_b64 exec, exec, s[18:19]
.LBB94_310:
	s_andn2_saveexec_b64 s[0:1], s[0:1]
	s_cbranch_execz .LBB94_312
; %bb.311:
	buffer_load_dword v81, off, s[24:27], 0 offset:144 ; 4-byte Folded Reload
	buffer_load_dword v82, off, s[24:27], 0 offset:148 ; 4-byte Folded Reload
	;; [unrolled: 1-line block ×4, first 2 shown]
	v_mov_b32_e32 v92, 14
	s_waitcnt vmcnt(0)
	ds_write2_b64 v90, v[81:82], v[83:84] offset0:30 offset1:31
	buffer_load_dword v81, off, s[24:27], 0 offset:128 ; 4-byte Folded Reload
	buffer_load_dword v82, off, s[24:27], 0 offset:132 ; 4-byte Folded Reload
	buffer_load_dword v83, off, s[24:27], 0 offset:136 ; 4-byte Folded Reload
	buffer_load_dword v84, off, s[24:27], 0 offset:140 ; 4-byte Folded Reload
	s_waitcnt vmcnt(0)
	ds_write2_b64 v90, v[81:82], v[83:84] offset0:32 offset1:33
	buffer_load_dword v81, off, s[24:27], 0 offset:112 ; 4-byte Folded Reload
	buffer_load_dword v82, off, s[24:27], 0 offset:116 ; 4-byte Folded Reload
	buffer_load_dword v83, off, s[24:27], 0 offset:120 ; 4-byte Folded Reload
	buffer_load_dword v84, off, s[24:27], 0 offset:124 ; 4-byte Folded Reload
	;; [unrolled: 6-line block ×8, first 2 shown]
	s_waitcnt vmcnt(0)
	ds_write2_b64 v90, v[81:82], v[83:84] offset0:46 offset1:47
	ds_write2_b64 v90, v[85:86], v[87:88] offset0:48 offset1:49
	;; [unrolled: 1-line block ×3, first 2 shown]
	buffer_load_dword v81, off, s[24:27], 0 ; 4-byte Folded Reload
	buffer_load_dword v82, off, s[24:27], 0 offset:4 ; 4-byte Folded Reload
	buffer_load_dword v83, off, s[24:27], 0 offset:8 ; 4-byte Folded Reload
	;; [unrolled: 1-line block ×3, first 2 shown]
	s_waitcnt vmcnt(0)
	ds_write2_b64 v90, v[81:82], v[83:84] offset0:52 offset1:53
	ds_write2_b64 v90, v[77:78], v[79:80] offset0:54 offset1:55
	;; [unrolled: 1-line block ×22, first 2 shown]
.LBB94_312:
	s_or_b64 exec, exec, s[0:1]
	v_cmp_lt_i32_e32 vcc, 14, v92
	s_waitcnt vmcnt(0) lgkmcnt(0)
	s_barrier
	s_and_saveexec_b64 s[0:1], vcc
	s_cbranch_execz .LBB94_314
; %bb.313:
	buffer_load_dword v97, off, s[24:27], 0 offset:160 ; 4-byte Folded Reload
	buffer_load_dword v98, off, s[24:27], 0 offset:164 ; 4-byte Folded Reload
	;; [unrolled: 1-line block ×4, first 2 shown]
	s_waitcnt vmcnt(0)
	v_mul_f64 v[93:94], v[119:120], v[99:100]
	v_fma_f64 v[125:126], v[117:118], v[97:98], -v[93:94]
	v_mul_f64 v[93:94], v[117:118], v[99:100]
	v_fma_f64 v[99:100], v[119:120], v[97:98], v[93:94]
	ds_read2_b64 v[93:96], v90 offset0:30 offset1:31
	buffer_load_dword v81, off, s[24:27], 0 offset:144 ; 4-byte Folded Reload
	buffer_load_dword v82, off, s[24:27], 0 offset:148 ; 4-byte Folded Reload
	buffer_load_dword v83, off, s[24:27], 0 offset:152 ; 4-byte Folded Reload
	buffer_load_dword v84, off, s[24:27], 0 offset:156 ; 4-byte Folded Reload
	s_waitcnt lgkmcnt(0)
	v_mul_f64 v[97:98], v[95:96], v[99:100]
	v_fma_f64 v[97:98], v[93:94], v[125:126], -v[97:98]
	v_mul_f64 v[93:94], v[93:94], v[99:100]
	v_fma_f64 v[93:94], v[95:96], v[125:126], v[93:94]
	s_waitcnt vmcnt(2)
	v_add_f64 v[81:82], v[81:82], -v[97:98]
	s_waitcnt vmcnt(0)
	v_add_f64 v[83:84], v[83:84], -v[93:94]
	buffer_store_dword v81, off, s[24:27], 0 offset:144 ; 4-byte Folded Spill
	s_nop 0
	buffer_store_dword v82, off, s[24:27], 0 offset:148 ; 4-byte Folded Spill
	buffer_store_dword v83, off, s[24:27], 0 offset:152 ; 4-byte Folded Spill
	buffer_store_dword v84, off, s[24:27], 0 offset:156 ; 4-byte Folded Spill
	ds_read2_b64 v[93:96], v90 offset0:32 offset1:33
	buffer_load_dword v81, off, s[24:27], 0 offset:128 ; 4-byte Folded Reload
	buffer_load_dword v82, off, s[24:27], 0 offset:132 ; 4-byte Folded Reload
	buffer_load_dword v83, off, s[24:27], 0 offset:136 ; 4-byte Folded Reload
	buffer_load_dword v84, off, s[24:27], 0 offset:140 ; 4-byte Folded Reload
	s_waitcnt lgkmcnt(0)
	v_mul_f64 v[97:98], v[95:96], v[99:100]
	v_fma_f64 v[97:98], v[93:94], v[125:126], -v[97:98]
	v_mul_f64 v[93:94], v[93:94], v[99:100]
	v_fma_f64 v[93:94], v[95:96], v[125:126], v[93:94]
	s_waitcnt vmcnt(2)
	v_add_f64 v[81:82], v[81:82], -v[97:98]
	s_waitcnt vmcnt(0)
	v_add_f64 v[83:84], v[83:84], -v[93:94]
	buffer_store_dword v81, off, s[24:27], 0 offset:128 ; 4-byte Folded Spill
	s_nop 0
	buffer_store_dword v82, off, s[24:27], 0 offset:132 ; 4-byte Folded Spill
	buffer_store_dword v83, off, s[24:27], 0 offset:136 ; 4-byte Folded Spill
	buffer_store_dword v84, off, s[24:27], 0 offset:140 ; 4-byte Folded Spill
	;; [unrolled: 19-line block ×9, first 2 shown]
	ds_read2_b64 v[93:96], v90 offset0:48 offset1:49
	s_waitcnt lgkmcnt(0)
	v_mul_f64 v[97:98], v[95:96], v[99:100]
	v_fma_f64 v[97:98], v[93:94], v[125:126], -v[97:98]
	v_mul_f64 v[93:94], v[93:94], v[99:100]
	v_add_f64 v[85:86], v[85:86], -v[97:98]
	v_fma_f64 v[93:94], v[95:96], v[125:126], v[93:94]
	v_add_f64 v[87:88], v[87:88], -v[93:94]
	ds_read2_b64 v[93:96], v90 offset0:50 offset1:51
	s_waitcnt lgkmcnt(0)
	v_mul_f64 v[97:98], v[95:96], v[99:100]
	v_fma_f64 v[97:98], v[93:94], v[125:126], -v[97:98]
	v_mul_f64 v[93:94], v[93:94], v[99:100]
	v_add_f64 v[111:112], v[111:112], -v[97:98]
	v_fma_f64 v[93:94], v[95:96], v[125:126], v[93:94]
	v_add_f64 v[113:114], v[113:114], -v[93:94]
	ds_read2_b64 v[93:96], v90 offset0:52 offset1:53
	buffer_load_dword v81, off, s[24:27], 0 ; 4-byte Folded Reload
	buffer_load_dword v82, off, s[24:27], 0 offset:4 ; 4-byte Folded Reload
	buffer_load_dword v83, off, s[24:27], 0 offset:8 ; 4-byte Folded Reload
	;; [unrolled: 1-line block ×3, first 2 shown]
	s_waitcnt lgkmcnt(0)
	v_mul_f64 v[97:98], v[95:96], v[99:100]
	v_fma_f64 v[97:98], v[93:94], v[125:126], -v[97:98]
	v_mul_f64 v[93:94], v[93:94], v[99:100]
	v_fma_f64 v[93:94], v[95:96], v[125:126], v[93:94]
	s_waitcnt vmcnt(2)
	v_add_f64 v[81:82], v[81:82], -v[97:98]
	s_waitcnt vmcnt(0)
	v_add_f64 v[83:84], v[83:84], -v[93:94]
	buffer_store_dword v81, off, s[24:27], 0 ; 4-byte Folded Spill
	s_nop 0
	buffer_store_dword v82, off, s[24:27], 0 offset:4 ; 4-byte Folded Spill
	buffer_store_dword v83, off, s[24:27], 0 offset:8 ; 4-byte Folded Spill
	;; [unrolled: 1-line block ×3, first 2 shown]
	ds_read2_b64 v[93:96], v90 offset0:54 offset1:55
	s_waitcnt lgkmcnt(0)
	v_mul_f64 v[97:98], v[95:96], v[99:100]
	v_fma_f64 v[97:98], v[93:94], v[125:126], -v[97:98]
	v_mul_f64 v[93:94], v[93:94], v[99:100]
	v_add_f64 v[77:78], v[77:78], -v[97:98]
	v_fma_f64 v[93:94], v[95:96], v[125:126], v[93:94]
	v_add_f64 v[79:80], v[79:80], -v[93:94]
	ds_read2_b64 v[93:96], v90 offset0:56 offset1:57
	s_waitcnt lgkmcnt(0)
	v_mul_f64 v[97:98], v[95:96], v[99:100]
	v_fma_f64 v[97:98], v[93:94], v[125:126], -v[97:98]
	v_mul_f64 v[93:94], v[93:94], v[99:100]
	v_add_f64 v[73:74], v[73:74], -v[97:98]
	v_fma_f64 v[93:94], v[95:96], v[125:126], v[93:94]
	v_add_f64 v[75:76], v[75:76], -v[93:94]
	;; [unrolled: 8-line block ×20, first 2 shown]
	ds_read2_b64 v[93:96], v90 offset0:94 offset1:95
	s_waitcnt lgkmcnt(0)
	v_mul_f64 v[97:98], v[95:96], v[99:100]
	v_fma_f64 v[97:98], v[93:94], v[125:126], -v[97:98]
	v_mul_f64 v[93:94], v[93:94], v[99:100]
	v_add_f64 v[121:122], v[121:122], -v[97:98]
	v_fma_f64 v[93:94], v[95:96], v[125:126], v[93:94]
	v_mov_b32_e32 v97, v125
	v_mov_b32_e32 v98, v126
	buffer_store_dword v97, off, s[24:27], 0 offset:160 ; 4-byte Folded Spill
	s_nop 0
	buffer_store_dword v98, off, s[24:27], 0 offset:164 ; 4-byte Folded Spill
	buffer_store_dword v99, off, s[24:27], 0 offset:168 ; 4-byte Folded Spill
	;; [unrolled: 1-line block ×3, first 2 shown]
	v_add_f64 v[123:124], v[123:124], -v[93:94]
.LBB94_314:
	s_or_b64 exec, exec, s[0:1]
	s_waitcnt vmcnt(0)
	s_barrier
	buffer_load_dword v81, off, s[24:27], 0 offset:144 ; 4-byte Folded Reload
	buffer_load_dword v82, off, s[24:27], 0 offset:148 ; 4-byte Folded Reload
	;; [unrolled: 1-line block ×4, first 2 shown]
	v_lshl_add_u32 v93, v92, 4, v90
	s_cmp_lt_i32 s3, 17
	s_waitcnt vmcnt(0)
	ds_write2_b64 v93, v[81:82], v[83:84] offset1:1
	s_waitcnt lgkmcnt(0)
	s_barrier
	ds_read2_b64 v[117:120], v90 offset0:30 offset1:31
	v_mov_b32_e32 v93, 15
	s_cbranch_scc1 .LBB94_317
; %bb.315:
	v_add_u32_e32 v94, 0x100, v90
	s_mov_b32 s0, 16
	v_mov_b32_e32 v93, 15
.LBB94_316:                             ; =>This Inner Loop Header: Depth=1
	s_waitcnt lgkmcnt(0)
	v_cmp_gt_f64_e32 vcc, 0, v[117:118]
	v_xor_b32_e32 v99, 0x80000000, v118
	ds_read2_b64 v[95:98], v94 offset1:1
	v_xor_b32_e32 v101, 0x80000000, v120
	v_add_u32_e32 v94, 16, v94
	s_waitcnt lgkmcnt(0)
	v_xor_b32_e32 v103, 0x80000000, v98
	v_cndmask_b32_e32 v100, v118, v99, vcc
	v_cmp_gt_f64_e32 vcc, 0, v[119:120]
	v_mov_b32_e32 v99, v117
	v_cndmask_b32_e32 v102, v120, v101, vcc
	v_cmp_gt_f64_e32 vcc, 0, v[95:96]
	v_mov_b32_e32 v101, v119
	v_add_f64 v[99:100], v[99:100], v[101:102]
	v_xor_b32_e32 v101, 0x80000000, v96
	v_cndmask_b32_e32 v102, v96, v101, vcc
	v_cmp_gt_f64_e32 vcc, 0, v[97:98]
	v_mov_b32_e32 v101, v95
	v_cndmask_b32_e32 v104, v98, v103, vcc
	v_mov_b32_e32 v103, v97
	v_add_f64 v[101:102], v[101:102], v[103:104]
	v_cmp_lt_f64_e32 vcc, v[99:100], v[101:102]
	v_cndmask_b32_e32 v117, v117, v95, vcc
	v_mov_b32_e32 v95, s0
	s_add_i32 s0, s0, 1
	v_cndmask_b32_e32 v118, v118, v96, vcc
	v_cndmask_b32_e32 v120, v120, v98, vcc
	;; [unrolled: 1-line block ×4, first 2 shown]
	s_cmp_lg_u32 s3, s0
	s_cbranch_scc1 .LBB94_316
.LBB94_317:
	s_waitcnt lgkmcnt(0)
	v_cmp_eq_f64_e32 vcc, 0, v[117:118]
	v_cmp_eq_f64_e64 s[0:1], 0, v[119:120]
	s_and_b64 s[0:1], vcc, s[0:1]
	s_and_saveexec_b64 s[18:19], s[0:1]
	s_xor_b64 s[0:1], exec, s[18:19]
; %bb.318:
	v_cmp_ne_u32_e32 vcc, 0, v91
	v_cndmask_b32_e32 v91, 16, v91, vcc
; %bb.319:
	s_andn2_saveexec_b64 s[0:1], s[0:1]
	s_cbranch_execz .LBB94_325
; %bb.320:
	v_cmp_ngt_f64_e64 s[18:19], |v[117:118]|, |v[119:120]|
	s_and_saveexec_b64 s[20:21], s[18:19]
	s_xor_b64 s[18:19], exec, s[20:21]
	s_cbranch_execz .LBB94_322
; %bb.321:
	v_div_scale_f64 v[94:95], s[20:21], v[119:120], v[119:120], v[117:118]
	v_rcp_f64_e32 v[96:97], v[94:95]
	v_fma_f64 v[98:99], -v[94:95], v[96:97], 1.0
	v_fma_f64 v[96:97], v[96:97], v[98:99], v[96:97]
	v_div_scale_f64 v[98:99], vcc, v[117:118], v[119:120], v[117:118]
	v_fma_f64 v[100:101], -v[94:95], v[96:97], 1.0
	v_fma_f64 v[96:97], v[96:97], v[100:101], v[96:97]
	v_mul_f64 v[100:101], v[98:99], v[96:97]
	v_fma_f64 v[94:95], -v[94:95], v[100:101], v[98:99]
	v_div_fmas_f64 v[94:95], v[94:95], v[96:97], v[100:101]
	v_div_fixup_f64 v[94:95], v[94:95], v[119:120], v[117:118]
	v_fma_f64 v[96:97], v[117:118], v[94:95], v[119:120]
	v_div_scale_f64 v[98:99], s[20:21], v[96:97], v[96:97], 1.0
	v_div_scale_f64 v[104:105], vcc, 1.0, v[96:97], 1.0
	v_rcp_f64_e32 v[100:101], v[98:99]
	v_fma_f64 v[102:103], -v[98:99], v[100:101], 1.0
	v_fma_f64 v[100:101], v[100:101], v[102:103], v[100:101]
	v_fma_f64 v[102:103], -v[98:99], v[100:101], 1.0
	v_fma_f64 v[100:101], v[100:101], v[102:103], v[100:101]
	v_mul_f64 v[102:103], v[104:105], v[100:101]
	v_fma_f64 v[98:99], -v[98:99], v[102:103], v[104:105]
	v_div_fmas_f64 v[98:99], v[98:99], v[100:101], v[102:103]
	v_div_fixup_f64 v[119:120], v[98:99], v[96:97], 1.0
	v_mul_f64 v[117:118], v[94:95], v[119:120]
	v_xor_b32_e32 v120, 0x80000000, v120
.LBB94_322:
	s_andn2_saveexec_b64 s[18:19], s[18:19]
	s_cbranch_execz .LBB94_324
; %bb.323:
	v_div_scale_f64 v[94:95], s[20:21], v[117:118], v[117:118], v[119:120]
	v_rcp_f64_e32 v[96:97], v[94:95]
	v_fma_f64 v[98:99], -v[94:95], v[96:97], 1.0
	v_fma_f64 v[96:97], v[96:97], v[98:99], v[96:97]
	v_div_scale_f64 v[98:99], vcc, v[119:120], v[117:118], v[119:120]
	v_fma_f64 v[100:101], -v[94:95], v[96:97], 1.0
	v_fma_f64 v[96:97], v[96:97], v[100:101], v[96:97]
	v_mul_f64 v[100:101], v[98:99], v[96:97]
	v_fma_f64 v[94:95], -v[94:95], v[100:101], v[98:99]
	v_div_fmas_f64 v[94:95], v[94:95], v[96:97], v[100:101]
	v_div_fixup_f64 v[94:95], v[94:95], v[117:118], v[119:120]
	v_fma_f64 v[96:97], v[119:120], v[94:95], v[117:118]
	v_div_scale_f64 v[98:99], s[20:21], v[96:97], v[96:97], 1.0
	v_div_scale_f64 v[104:105], vcc, 1.0, v[96:97], 1.0
	v_rcp_f64_e32 v[100:101], v[98:99]
	v_fma_f64 v[102:103], -v[98:99], v[100:101], 1.0
	v_fma_f64 v[100:101], v[100:101], v[102:103], v[100:101]
	v_fma_f64 v[102:103], -v[98:99], v[100:101], 1.0
	v_fma_f64 v[100:101], v[100:101], v[102:103], v[100:101]
	v_mul_f64 v[102:103], v[104:105], v[100:101]
	v_fma_f64 v[98:99], -v[98:99], v[102:103], v[104:105]
	v_div_fmas_f64 v[98:99], v[98:99], v[100:101], v[102:103]
	v_div_fixup_f64 v[117:118], v[98:99], v[96:97], 1.0
	v_mul_f64 v[119:120], v[94:95], -v[117:118]
.LBB94_324:
	s_or_b64 exec, exec, s[18:19]
.LBB94_325:
	s_or_b64 exec, exec, s[0:1]
	v_cmp_ne_u32_e32 vcc, v92, v93
	s_and_saveexec_b64 s[0:1], vcc
	s_xor_b64 s[0:1], exec, s[0:1]
	s_cbranch_execz .LBB94_331
; %bb.326:
	v_cmp_eq_u32_e32 vcc, 15, v92
	s_and_saveexec_b64 s[18:19], vcc
	s_cbranch_execz .LBB94_330
; %bb.327:
	v_cmp_ne_u32_e32 vcc, 15, v93
	s_xor_b64 s[20:21], s[6:7], -1
	s_and_b64 s[22:23], s[20:21], vcc
	s_and_saveexec_b64 s[20:21], s[22:23]
	s_cbranch_execz .LBB94_329
; %bb.328:
	v_mov_b32_e32 v81, v85
	v_mov_b32_e32 v82, v86
	;; [unrolled: 1-line block ×4, first 2 shown]
	buffer_load_dword v85, off, s[24:27], 0 offset:352 ; 4-byte Folded Reload
	buffer_load_dword v86, off, s[24:27], 0 offset:356 ; 4-byte Folded Reload
	v_ashrrev_i32_e32 v94, 31, v93
	v_lshlrev_b64 v[94:95], 2, v[93:94]
	s_waitcnt vmcnt(1)
	v_add_co_u32_e32 v94, vcc, v85, v94
	s_waitcnt vmcnt(0)
	v_addc_co_u32_e32 v95, vcc, v86, v95, vcc
	global_load_dword v0, v[94:95], off
	global_load_dword v92, v[85:86], off offset:60
	s_waitcnt vmcnt(1)
	global_store_dword v[85:86], v0, off offset:60
	v_mov_b32_e32 v88, v84
	v_mov_b32_e32 v87, v83
	v_mov_b32_e32 v86, v82
	v_mov_b32_e32 v85, v81
	s_waitcnt vmcnt(1)
	global_store_dword v[94:95], v92, off
.LBB94_329:
	s_or_b64 exec, exec, s[20:21]
	v_mov_b32_e32 v92, v93
	v_mov_b32_e32 v0, v93
.LBB94_330:
	s_or_b64 exec, exec, s[18:19]
.LBB94_331:
	s_andn2_saveexec_b64 s[0:1], s[0:1]
	s_cbranch_execz .LBB94_333
; %bb.332:
	buffer_load_dword v81, off, s[24:27], 0 offset:128 ; 4-byte Folded Reload
	buffer_load_dword v82, off, s[24:27], 0 offset:132 ; 4-byte Folded Reload
	;; [unrolled: 1-line block ×4, first 2 shown]
	v_mov_b32_e32 v92, 15
	s_waitcnt vmcnt(0)
	ds_write2_b64 v90, v[81:82], v[83:84] offset0:32 offset1:33
	buffer_load_dword v81, off, s[24:27], 0 offset:112 ; 4-byte Folded Reload
	buffer_load_dword v82, off, s[24:27], 0 offset:116 ; 4-byte Folded Reload
	buffer_load_dword v83, off, s[24:27], 0 offset:120 ; 4-byte Folded Reload
	buffer_load_dword v84, off, s[24:27], 0 offset:124 ; 4-byte Folded Reload
	s_waitcnt vmcnt(0)
	ds_write2_b64 v90, v[81:82], v[83:84] offset0:34 offset1:35
	buffer_load_dword v81, off, s[24:27], 0 offset:96 ; 4-byte Folded Reload
	buffer_load_dword v82, off, s[24:27], 0 offset:100 ; 4-byte Folded Reload
	buffer_load_dword v83, off, s[24:27], 0 offset:104 ; 4-byte Folded Reload
	buffer_load_dword v84, off, s[24:27], 0 offset:108 ; 4-byte Folded Reload
	;; [unrolled: 6-line block ×7, first 2 shown]
	s_waitcnt vmcnt(0)
	ds_write2_b64 v90, v[81:82], v[83:84] offset0:46 offset1:47
	ds_write2_b64 v90, v[85:86], v[87:88] offset0:48 offset1:49
	;; [unrolled: 1-line block ×3, first 2 shown]
	buffer_load_dword v81, off, s[24:27], 0 ; 4-byte Folded Reload
	buffer_load_dword v82, off, s[24:27], 0 offset:4 ; 4-byte Folded Reload
	buffer_load_dword v83, off, s[24:27], 0 offset:8 ; 4-byte Folded Reload
	;; [unrolled: 1-line block ×3, first 2 shown]
	s_waitcnt vmcnt(0)
	ds_write2_b64 v90, v[81:82], v[83:84] offset0:52 offset1:53
	ds_write2_b64 v90, v[77:78], v[79:80] offset0:54 offset1:55
	;; [unrolled: 1-line block ×22, first 2 shown]
.LBB94_333:
	s_or_b64 exec, exec, s[0:1]
	v_cmp_lt_i32_e32 vcc, 15, v92
	s_waitcnt vmcnt(0) lgkmcnt(0)
	s_barrier
	s_and_saveexec_b64 s[0:1], vcc
	s_cbranch_execz .LBB94_335
; %bb.334:
	buffer_load_dword v97, off, s[24:27], 0 offset:144 ; 4-byte Folded Reload
	buffer_load_dword v98, off, s[24:27], 0 offset:148 ; 4-byte Folded Reload
	;; [unrolled: 1-line block ×4, first 2 shown]
	s_waitcnt vmcnt(0)
	v_mul_f64 v[93:94], v[119:120], v[99:100]
	v_fma_f64 v[125:126], v[117:118], v[97:98], -v[93:94]
	v_mul_f64 v[93:94], v[117:118], v[99:100]
	v_fma_f64 v[99:100], v[119:120], v[97:98], v[93:94]
	ds_read2_b64 v[93:96], v90 offset0:32 offset1:33
	buffer_load_dword v81, off, s[24:27], 0 offset:128 ; 4-byte Folded Reload
	buffer_load_dword v82, off, s[24:27], 0 offset:132 ; 4-byte Folded Reload
	buffer_load_dword v83, off, s[24:27], 0 offset:136 ; 4-byte Folded Reload
	buffer_load_dword v84, off, s[24:27], 0 offset:140 ; 4-byte Folded Reload
	s_waitcnt lgkmcnt(0)
	v_mul_f64 v[97:98], v[95:96], v[99:100]
	v_fma_f64 v[97:98], v[93:94], v[125:126], -v[97:98]
	v_mul_f64 v[93:94], v[93:94], v[99:100]
	v_fma_f64 v[93:94], v[95:96], v[125:126], v[93:94]
	s_waitcnt vmcnt(2)
	v_add_f64 v[81:82], v[81:82], -v[97:98]
	s_waitcnt vmcnt(0)
	v_add_f64 v[83:84], v[83:84], -v[93:94]
	buffer_store_dword v81, off, s[24:27], 0 offset:128 ; 4-byte Folded Spill
	s_nop 0
	buffer_store_dword v82, off, s[24:27], 0 offset:132 ; 4-byte Folded Spill
	buffer_store_dword v83, off, s[24:27], 0 offset:136 ; 4-byte Folded Spill
	buffer_store_dword v84, off, s[24:27], 0 offset:140 ; 4-byte Folded Spill
	ds_read2_b64 v[93:96], v90 offset0:34 offset1:35
	buffer_load_dword v81, off, s[24:27], 0 offset:112 ; 4-byte Folded Reload
	buffer_load_dword v82, off, s[24:27], 0 offset:116 ; 4-byte Folded Reload
	buffer_load_dword v83, off, s[24:27], 0 offset:120 ; 4-byte Folded Reload
	buffer_load_dword v84, off, s[24:27], 0 offset:124 ; 4-byte Folded Reload
	s_waitcnt lgkmcnt(0)
	v_mul_f64 v[97:98], v[95:96], v[99:100]
	v_fma_f64 v[97:98], v[93:94], v[125:126], -v[97:98]
	v_mul_f64 v[93:94], v[93:94], v[99:100]
	v_fma_f64 v[93:94], v[95:96], v[125:126], v[93:94]
	s_waitcnt vmcnt(2)
	v_add_f64 v[81:82], v[81:82], -v[97:98]
	s_waitcnt vmcnt(0)
	v_add_f64 v[83:84], v[83:84], -v[93:94]
	buffer_store_dword v81, off, s[24:27], 0 offset:112 ; 4-byte Folded Spill
	s_nop 0
	buffer_store_dword v82, off, s[24:27], 0 offset:116 ; 4-byte Folded Spill
	buffer_store_dword v83, off, s[24:27], 0 offset:120 ; 4-byte Folded Spill
	buffer_store_dword v84, off, s[24:27], 0 offset:124 ; 4-byte Folded Spill
	;; [unrolled: 19-line block ×8, first 2 shown]
	ds_read2_b64 v[93:96], v90 offset0:48 offset1:49
	s_waitcnt lgkmcnt(0)
	v_mul_f64 v[97:98], v[95:96], v[99:100]
	v_fma_f64 v[97:98], v[93:94], v[125:126], -v[97:98]
	v_mul_f64 v[93:94], v[93:94], v[99:100]
	v_add_f64 v[85:86], v[85:86], -v[97:98]
	v_fma_f64 v[93:94], v[95:96], v[125:126], v[93:94]
	v_add_f64 v[87:88], v[87:88], -v[93:94]
	ds_read2_b64 v[93:96], v90 offset0:50 offset1:51
	s_waitcnt lgkmcnt(0)
	v_mul_f64 v[97:98], v[95:96], v[99:100]
	v_fma_f64 v[97:98], v[93:94], v[125:126], -v[97:98]
	v_mul_f64 v[93:94], v[93:94], v[99:100]
	v_add_f64 v[111:112], v[111:112], -v[97:98]
	v_fma_f64 v[93:94], v[95:96], v[125:126], v[93:94]
	v_add_f64 v[113:114], v[113:114], -v[93:94]
	ds_read2_b64 v[93:96], v90 offset0:52 offset1:53
	buffer_load_dword v81, off, s[24:27], 0 ; 4-byte Folded Reload
	buffer_load_dword v82, off, s[24:27], 0 offset:4 ; 4-byte Folded Reload
	buffer_load_dword v83, off, s[24:27], 0 offset:8 ; 4-byte Folded Reload
	;; [unrolled: 1-line block ×3, first 2 shown]
	s_waitcnt lgkmcnt(0)
	v_mul_f64 v[97:98], v[95:96], v[99:100]
	v_fma_f64 v[97:98], v[93:94], v[125:126], -v[97:98]
	v_mul_f64 v[93:94], v[93:94], v[99:100]
	v_fma_f64 v[93:94], v[95:96], v[125:126], v[93:94]
	s_waitcnt vmcnt(2)
	v_add_f64 v[81:82], v[81:82], -v[97:98]
	s_waitcnt vmcnt(0)
	v_add_f64 v[83:84], v[83:84], -v[93:94]
	buffer_store_dword v81, off, s[24:27], 0 ; 4-byte Folded Spill
	s_nop 0
	buffer_store_dword v82, off, s[24:27], 0 offset:4 ; 4-byte Folded Spill
	buffer_store_dword v83, off, s[24:27], 0 offset:8 ; 4-byte Folded Spill
	;; [unrolled: 1-line block ×3, first 2 shown]
	ds_read2_b64 v[93:96], v90 offset0:54 offset1:55
	s_waitcnt lgkmcnt(0)
	v_mul_f64 v[97:98], v[95:96], v[99:100]
	v_fma_f64 v[97:98], v[93:94], v[125:126], -v[97:98]
	v_mul_f64 v[93:94], v[93:94], v[99:100]
	v_add_f64 v[77:78], v[77:78], -v[97:98]
	v_fma_f64 v[93:94], v[95:96], v[125:126], v[93:94]
	v_add_f64 v[79:80], v[79:80], -v[93:94]
	ds_read2_b64 v[93:96], v90 offset0:56 offset1:57
	s_waitcnt lgkmcnt(0)
	v_mul_f64 v[97:98], v[95:96], v[99:100]
	v_fma_f64 v[97:98], v[93:94], v[125:126], -v[97:98]
	v_mul_f64 v[93:94], v[93:94], v[99:100]
	v_add_f64 v[73:74], v[73:74], -v[97:98]
	v_fma_f64 v[93:94], v[95:96], v[125:126], v[93:94]
	v_add_f64 v[75:76], v[75:76], -v[93:94]
	;; [unrolled: 8-line block ×20, first 2 shown]
	ds_read2_b64 v[93:96], v90 offset0:94 offset1:95
	s_waitcnt lgkmcnt(0)
	v_mul_f64 v[97:98], v[95:96], v[99:100]
	v_fma_f64 v[97:98], v[93:94], v[125:126], -v[97:98]
	v_mul_f64 v[93:94], v[93:94], v[99:100]
	v_add_f64 v[121:122], v[121:122], -v[97:98]
	v_fma_f64 v[93:94], v[95:96], v[125:126], v[93:94]
	v_mov_b32_e32 v97, v125
	v_mov_b32_e32 v98, v126
	buffer_store_dword v97, off, s[24:27], 0 offset:144 ; 4-byte Folded Spill
	s_nop 0
	buffer_store_dword v98, off, s[24:27], 0 offset:148 ; 4-byte Folded Spill
	buffer_store_dword v99, off, s[24:27], 0 offset:152 ; 4-byte Folded Spill
	;; [unrolled: 1-line block ×3, first 2 shown]
	v_add_f64 v[123:124], v[123:124], -v[93:94]
.LBB94_335:
	s_or_b64 exec, exec, s[0:1]
	s_waitcnt vmcnt(0)
	s_barrier
	buffer_load_dword v81, off, s[24:27], 0 offset:128 ; 4-byte Folded Reload
	buffer_load_dword v82, off, s[24:27], 0 offset:132 ; 4-byte Folded Reload
	;; [unrolled: 1-line block ×4, first 2 shown]
	v_lshl_add_u32 v93, v92, 4, v90
	s_cmp_lt_i32 s3, 18
	s_waitcnt vmcnt(0)
	ds_write2_b64 v93, v[81:82], v[83:84] offset1:1
	s_waitcnt lgkmcnt(0)
	s_barrier
	ds_read2_b64 v[117:120], v90 offset0:32 offset1:33
	v_mov_b32_e32 v93, 16
	s_cbranch_scc1 .LBB94_338
; %bb.336:
	v_add_u32_e32 v94, 0x110, v90
	s_mov_b32 s0, 17
	v_mov_b32_e32 v93, 16
.LBB94_337:                             ; =>This Inner Loop Header: Depth=1
	s_waitcnt lgkmcnt(0)
	v_cmp_gt_f64_e32 vcc, 0, v[117:118]
	v_xor_b32_e32 v99, 0x80000000, v118
	ds_read2_b64 v[95:98], v94 offset1:1
	v_xor_b32_e32 v101, 0x80000000, v120
	v_add_u32_e32 v94, 16, v94
	s_waitcnt lgkmcnt(0)
	v_xor_b32_e32 v103, 0x80000000, v98
	v_cndmask_b32_e32 v100, v118, v99, vcc
	v_cmp_gt_f64_e32 vcc, 0, v[119:120]
	v_mov_b32_e32 v99, v117
	v_cndmask_b32_e32 v102, v120, v101, vcc
	v_cmp_gt_f64_e32 vcc, 0, v[95:96]
	v_mov_b32_e32 v101, v119
	v_add_f64 v[99:100], v[99:100], v[101:102]
	v_xor_b32_e32 v101, 0x80000000, v96
	v_cndmask_b32_e32 v102, v96, v101, vcc
	v_cmp_gt_f64_e32 vcc, 0, v[97:98]
	v_mov_b32_e32 v101, v95
	v_cndmask_b32_e32 v104, v98, v103, vcc
	v_mov_b32_e32 v103, v97
	v_add_f64 v[101:102], v[101:102], v[103:104]
	v_cmp_lt_f64_e32 vcc, v[99:100], v[101:102]
	v_cndmask_b32_e32 v117, v117, v95, vcc
	v_mov_b32_e32 v95, s0
	s_add_i32 s0, s0, 1
	v_cndmask_b32_e32 v118, v118, v96, vcc
	v_cndmask_b32_e32 v120, v120, v98, vcc
	;; [unrolled: 1-line block ×4, first 2 shown]
	s_cmp_lg_u32 s3, s0
	s_cbranch_scc1 .LBB94_337
.LBB94_338:
	s_waitcnt lgkmcnt(0)
	v_cmp_eq_f64_e32 vcc, 0, v[117:118]
	v_cmp_eq_f64_e64 s[0:1], 0, v[119:120]
	s_and_b64 s[0:1], vcc, s[0:1]
	s_and_saveexec_b64 s[18:19], s[0:1]
	s_xor_b64 s[0:1], exec, s[18:19]
; %bb.339:
	v_cmp_ne_u32_e32 vcc, 0, v91
	v_cndmask_b32_e32 v91, 17, v91, vcc
; %bb.340:
	s_andn2_saveexec_b64 s[0:1], s[0:1]
	s_cbranch_execz .LBB94_346
; %bb.341:
	v_cmp_ngt_f64_e64 s[18:19], |v[117:118]|, |v[119:120]|
	s_and_saveexec_b64 s[20:21], s[18:19]
	s_xor_b64 s[18:19], exec, s[20:21]
	s_cbranch_execz .LBB94_343
; %bb.342:
	v_div_scale_f64 v[94:95], s[20:21], v[119:120], v[119:120], v[117:118]
	v_rcp_f64_e32 v[96:97], v[94:95]
	v_fma_f64 v[98:99], -v[94:95], v[96:97], 1.0
	v_fma_f64 v[96:97], v[96:97], v[98:99], v[96:97]
	v_div_scale_f64 v[98:99], vcc, v[117:118], v[119:120], v[117:118]
	v_fma_f64 v[100:101], -v[94:95], v[96:97], 1.0
	v_fma_f64 v[96:97], v[96:97], v[100:101], v[96:97]
	v_mul_f64 v[100:101], v[98:99], v[96:97]
	v_fma_f64 v[94:95], -v[94:95], v[100:101], v[98:99]
	v_div_fmas_f64 v[94:95], v[94:95], v[96:97], v[100:101]
	v_div_fixup_f64 v[94:95], v[94:95], v[119:120], v[117:118]
	v_fma_f64 v[96:97], v[117:118], v[94:95], v[119:120]
	v_div_scale_f64 v[98:99], s[20:21], v[96:97], v[96:97], 1.0
	v_div_scale_f64 v[104:105], vcc, 1.0, v[96:97], 1.0
	v_rcp_f64_e32 v[100:101], v[98:99]
	v_fma_f64 v[102:103], -v[98:99], v[100:101], 1.0
	v_fma_f64 v[100:101], v[100:101], v[102:103], v[100:101]
	v_fma_f64 v[102:103], -v[98:99], v[100:101], 1.0
	v_fma_f64 v[100:101], v[100:101], v[102:103], v[100:101]
	v_mul_f64 v[102:103], v[104:105], v[100:101]
	v_fma_f64 v[98:99], -v[98:99], v[102:103], v[104:105]
	v_div_fmas_f64 v[98:99], v[98:99], v[100:101], v[102:103]
	v_div_fixup_f64 v[119:120], v[98:99], v[96:97], 1.0
	v_mul_f64 v[117:118], v[94:95], v[119:120]
	v_xor_b32_e32 v120, 0x80000000, v120
.LBB94_343:
	s_andn2_saveexec_b64 s[18:19], s[18:19]
	s_cbranch_execz .LBB94_345
; %bb.344:
	v_div_scale_f64 v[94:95], s[20:21], v[117:118], v[117:118], v[119:120]
	v_rcp_f64_e32 v[96:97], v[94:95]
	v_fma_f64 v[98:99], -v[94:95], v[96:97], 1.0
	v_fma_f64 v[96:97], v[96:97], v[98:99], v[96:97]
	v_div_scale_f64 v[98:99], vcc, v[119:120], v[117:118], v[119:120]
	v_fma_f64 v[100:101], -v[94:95], v[96:97], 1.0
	v_fma_f64 v[96:97], v[96:97], v[100:101], v[96:97]
	v_mul_f64 v[100:101], v[98:99], v[96:97]
	v_fma_f64 v[94:95], -v[94:95], v[100:101], v[98:99]
	v_div_fmas_f64 v[94:95], v[94:95], v[96:97], v[100:101]
	v_div_fixup_f64 v[94:95], v[94:95], v[117:118], v[119:120]
	v_fma_f64 v[96:97], v[119:120], v[94:95], v[117:118]
	v_div_scale_f64 v[98:99], s[20:21], v[96:97], v[96:97], 1.0
	v_div_scale_f64 v[104:105], vcc, 1.0, v[96:97], 1.0
	v_rcp_f64_e32 v[100:101], v[98:99]
	v_fma_f64 v[102:103], -v[98:99], v[100:101], 1.0
	v_fma_f64 v[100:101], v[100:101], v[102:103], v[100:101]
	v_fma_f64 v[102:103], -v[98:99], v[100:101], 1.0
	v_fma_f64 v[100:101], v[100:101], v[102:103], v[100:101]
	v_mul_f64 v[102:103], v[104:105], v[100:101]
	v_fma_f64 v[98:99], -v[98:99], v[102:103], v[104:105]
	v_div_fmas_f64 v[98:99], v[98:99], v[100:101], v[102:103]
	v_div_fixup_f64 v[117:118], v[98:99], v[96:97], 1.0
	v_mul_f64 v[119:120], v[94:95], -v[117:118]
.LBB94_345:
	s_or_b64 exec, exec, s[18:19]
.LBB94_346:
	s_or_b64 exec, exec, s[0:1]
	v_cmp_ne_u32_e32 vcc, v92, v93
	s_and_saveexec_b64 s[0:1], vcc
	s_xor_b64 s[0:1], exec, s[0:1]
	s_cbranch_execz .LBB94_352
; %bb.347:
	v_cmp_eq_u32_e32 vcc, 16, v92
	s_and_saveexec_b64 s[18:19], vcc
	s_cbranch_execz .LBB94_351
; %bb.348:
	v_cmp_ne_u32_e32 vcc, 16, v93
	s_xor_b64 s[20:21], s[6:7], -1
	s_and_b64 s[22:23], s[20:21], vcc
	s_and_saveexec_b64 s[20:21], s[22:23]
	s_cbranch_execz .LBB94_350
; %bb.349:
	v_mov_b32_e32 v81, v85
	v_mov_b32_e32 v82, v86
	;; [unrolled: 1-line block ×4, first 2 shown]
	buffer_load_dword v85, off, s[24:27], 0 offset:352 ; 4-byte Folded Reload
	buffer_load_dword v86, off, s[24:27], 0 offset:356 ; 4-byte Folded Reload
	v_ashrrev_i32_e32 v94, 31, v93
	v_lshlrev_b64 v[94:95], 2, v[93:94]
	s_waitcnt vmcnt(1)
	v_add_co_u32_e32 v94, vcc, v85, v94
	s_waitcnt vmcnt(0)
	v_addc_co_u32_e32 v95, vcc, v86, v95, vcc
	global_load_dword v0, v[94:95], off
	global_load_dword v92, v[85:86], off offset:64
	s_waitcnt vmcnt(1)
	global_store_dword v[85:86], v0, off offset:64
	v_mov_b32_e32 v88, v84
	v_mov_b32_e32 v87, v83
	;; [unrolled: 1-line block ×4, first 2 shown]
	s_waitcnt vmcnt(1)
	global_store_dword v[94:95], v92, off
.LBB94_350:
	s_or_b64 exec, exec, s[20:21]
	v_mov_b32_e32 v92, v93
	v_mov_b32_e32 v0, v93
.LBB94_351:
	s_or_b64 exec, exec, s[18:19]
.LBB94_352:
	s_andn2_saveexec_b64 s[0:1], s[0:1]
	s_cbranch_execz .LBB94_354
; %bb.353:
	buffer_load_dword v81, off, s[24:27], 0 offset:112 ; 4-byte Folded Reload
	buffer_load_dword v82, off, s[24:27], 0 offset:116 ; 4-byte Folded Reload
	;; [unrolled: 1-line block ×4, first 2 shown]
	v_mov_b32_e32 v92, 16
	s_waitcnt vmcnt(0)
	ds_write2_b64 v90, v[81:82], v[83:84] offset0:34 offset1:35
	buffer_load_dword v81, off, s[24:27], 0 offset:96 ; 4-byte Folded Reload
	buffer_load_dword v82, off, s[24:27], 0 offset:100 ; 4-byte Folded Reload
	buffer_load_dword v83, off, s[24:27], 0 offset:104 ; 4-byte Folded Reload
	buffer_load_dword v84, off, s[24:27], 0 offset:108 ; 4-byte Folded Reload
	s_waitcnt vmcnt(0)
	ds_write2_b64 v90, v[81:82], v[83:84] offset0:36 offset1:37
	buffer_load_dword v81, off, s[24:27], 0 offset:80 ; 4-byte Folded Reload
	buffer_load_dword v82, off, s[24:27], 0 offset:84 ; 4-byte Folded Reload
	buffer_load_dword v83, off, s[24:27], 0 offset:88 ; 4-byte Folded Reload
	buffer_load_dword v84, off, s[24:27], 0 offset:92 ; 4-byte Folded Reload
	;; [unrolled: 6-line block ×6, first 2 shown]
	s_waitcnt vmcnt(0)
	ds_write2_b64 v90, v[81:82], v[83:84] offset0:46 offset1:47
	ds_write2_b64 v90, v[85:86], v[87:88] offset0:48 offset1:49
	;; [unrolled: 1-line block ×3, first 2 shown]
	buffer_load_dword v81, off, s[24:27], 0 ; 4-byte Folded Reload
	buffer_load_dword v82, off, s[24:27], 0 offset:4 ; 4-byte Folded Reload
	buffer_load_dword v83, off, s[24:27], 0 offset:8 ; 4-byte Folded Reload
	;; [unrolled: 1-line block ×3, first 2 shown]
	s_waitcnt vmcnt(0)
	ds_write2_b64 v90, v[81:82], v[83:84] offset0:52 offset1:53
	ds_write2_b64 v90, v[77:78], v[79:80] offset0:54 offset1:55
	;; [unrolled: 1-line block ×22, first 2 shown]
.LBB94_354:
	s_or_b64 exec, exec, s[0:1]
	v_cmp_lt_i32_e32 vcc, 16, v92
	s_waitcnt vmcnt(0) lgkmcnt(0)
	s_barrier
	s_and_saveexec_b64 s[0:1], vcc
	s_cbranch_execz .LBB94_356
; %bb.355:
	buffer_load_dword v97, off, s[24:27], 0 offset:128 ; 4-byte Folded Reload
	buffer_load_dword v98, off, s[24:27], 0 offset:132 ; 4-byte Folded Reload
	;; [unrolled: 1-line block ×4, first 2 shown]
	s_waitcnt vmcnt(0)
	v_mul_f64 v[93:94], v[119:120], v[99:100]
	v_fma_f64 v[125:126], v[117:118], v[97:98], -v[93:94]
	v_mul_f64 v[93:94], v[117:118], v[99:100]
	v_fma_f64 v[99:100], v[119:120], v[97:98], v[93:94]
	ds_read2_b64 v[93:96], v90 offset0:34 offset1:35
	buffer_load_dword v81, off, s[24:27], 0 offset:112 ; 4-byte Folded Reload
	buffer_load_dword v82, off, s[24:27], 0 offset:116 ; 4-byte Folded Reload
	buffer_load_dword v83, off, s[24:27], 0 offset:120 ; 4-byte Folded Reload
	buffer_load_dword v84, off, s[24:27], 0 offset:124 ; 4-byte Folded Reload
	s_waitcnt lgkmcnt(0)
	v_mul_f64 v[97:98], v[95:96], v[99:100]
	v_fma_f64 v[97:98], v[93:94], v[125:126], -v[97:98]
	v_mul_f64 v[93:94], v[93:94], v[99:100]
	v_fma_f64 v[93:94], v[95:96], v[125:126], v[93:94]
	s_waitcnt vmcnt(2)
	v_add_f64 v[81:82], v[81:82], -v[97:98]
	s_waitcnt vmcnt(0)
	v_add_f64 v[83:84], v[83:84], -v[93:94]
	buffer_store_dword v81, off, s[24:27], 0 offset:112 ; 4-byte Folded Spill
	s_nop 0
	buffer_store_dword v82, off, s[24:27], 0 offset:116 ; 4-byte Folded Spill
	buffer_store_dword v83, off, s[24:27], 0 offset:120 ; 4-byte Folded Spill
	buffer_store_dword v84, off, s[24:27], 0 offset:124 ; 4-byte Folded Spill
	ds_read2_b64 v[93:96], v90 offset0:36 offset1:37
	buffer_load_dword v81, off, s[24:27], 0 offset:96 ; 4-byte Folded Reload
	buffer_load_dword v82, off, s[24:27], 0 offset:100 ; 4-byte Folded Reload
	buffer_load_dword v83, off, s[24:27], 0 offset:104 ; 4-byte Folded Reload
	buffer_load_dword v84, off, s[24:27], 0 offset:108 ; 4-byte Folded Reload
	s_waitcnt lgkmcnt(0)
	v_mul_f64 v[97:98], v[95:96], v[99:100]
	v_fma_f64 v[97:98], v[93:94], v[125:126], -v[97:98]
	v_mul_f64 v[93:94], v[93:94], v[99:100]
	v_fma_f64 v[93:94], v[95:96], v[125:126], v[93:94]
	s_waitcnt vmcnt(2)
	v_add_f64 v[81:82], v[81:82], -v[97:98]
	s_waitcnt vmcnt(0)
	v_add_f64 v[83:84], v[83:84], -v[93:94]
	buffer_store_dword v81, off, s[24:27], 0 offset:96 ; 4-byte Folded Spill
	s_nop 0
	buffer_store_dword v82, off, s[24:27], 0 offset:100 ; 4-byte Folded Spill
	buffer_store_dword v83, off, s[24:27], 0 offset:104 ; 4-byte Folded Spill
	buffer_store_dword v84, off, s[24:27], 0 offset:108 ; 4-byte Folded Spill
	;; [unrolled: 19-line block ×7, first 2 shown]
	ds_read2_b64 v[93:96], v90 offset0:48 offset1:49
	s_waitcnt lgkmcnt(0)
	v_mul_f64 v[97:98], v[95:96], v[99:100]
	v_fma_f64 v[97:98], v[93:94], v[125:126], -v[97:98]
	v_mul_f64 v[93:94], v[93:94], v[99:100]
	v_add_f64 v[85:86], v[85:86], -v[97:98]
	v_fma_f64 v[93:94], v[95:96], v[125:126], v[93:94]
	v_add_f64 v[87:88], v[87:88], -v[93:94]
	ds_read2_b64 v[93:96], v90 offset0:50 offset1:51
	s_waitcnt lgkmcnt(0)
	v_mul_f64 v[97:98], v[95:96], v[99:100]
	v_fma_f64 v[97:98], v[93:94], v[125:126], -v[97:98]
	v_mul_f64 v[93:94], v[93:94], v[99:100]
	v_add_f64 v[111:112], v[111:112], -v[97:98]
	v_fma_f64 v[93:94], v[95:96], v[125:126], v[93:94]
	v_add_f64 v[113:114], v[113:114], -v[93:94]
	ds_read2_b64 v[93:96], v90 offset0:52 offset1:53
	buffer_load_dword v81, off, s[24:27], 0 ; 4-byte Folded Reload
	buffer_load_dword v82, off, s[24:27], 0 offset:4 ; 4-byte Folded Reload
	buffer_load_dword v83, off, s[24:27], 0 offset:8 ; 4-byte Folded Reload
	;; [unrolled: 1-line block ×3, first 2 shown]
	s_waitcnt lgkmcnt(0)
	v_mul_f64 v[97:98], v[95:96], v[99:100]
	v_fma_f64 v[97:98], v[93:94], v[125:126], -v[97:98]
	v_mul_f64 v[93:94], v[93:94], v[99:100]
	v_fma_f64 v[93:94], v[95:96], v[125:126], v[93:94]
	s_waitcnt vmcnt(2)
	v_add_f64 v[81:82], v[81:82], -v[97:98]
	s_waitcnt vmcnt(0)
	v_add_f64 v[83:84], v[83:84], -v[93:94]
	buffer_store_dword v81, off, s[24:27], 0 ; 4-byte Folded Spill
	s_nop 0
	buffer_store_dword v82, off, s[24:27], 0 offset:4 ; 4-byte Folded Spill
	buffer_store_dword v83, off, s[24:27], 0 offset:8 ; 4-byte Folded Spill
	;; [unrolled: 1-line block ×3, first 2 shown]
	ds_read2_b64 v[93:96], v90 offset0:54 offset1:55
	s_waitcnt lgkmcnt(0)
	v_mul_f64 v[97:98], v[95:96], v[99:100]
	v_fma_f64 v[97:98], v[93:94], v[125:126], -v[97:98]
	v_mul_f64 v[93:94], v[93:94], v[99:100]
	v_add_f64 v[77:78], v[77:78], -v[97:98]
	v_fma_f64 v[93:94], v[95:96], v[125:126], v[93:94]
	v_add_f64 v[79:80], v[79:80], -v[93:94]
	ds_read2_b64 v[93:96], v90 offset0:56 offset1:57
	s_waitcnt lgkmcnt(0)
	v_mul_f64 v[97:98], v[95:96], v[99:100]
	v_fma_f64 v[97:98], v[93:94], v[125:126], -v[97:98]
	v_mul_f64 v[93:94], v[93:94], v[99:100]
	v_add_f64 v[73:74], v[73:74], -v[97:98]
	v_fma_f64 v[93:94], v[95:96], v[125:126], v[93:94]
	v_add_f64 v[75:76], v[75:76], -v[93:94]
	;; [unrolled: 8-line block ×20, first 2 shown]
	ds_read2_b64 v[93:96], v90 offset0:94 offset1:95
	s_waitcnt lgkmcnt(0)
	v_mul_f64 v[97:98], v[95:96], v[99:100]
	v_fma_f64 v[97:98], v[93:94], v[125:126], -v[97:98]
	v_mul_f64 v[93:94], v[93:94], v[99:100]
	v_add_f64 v[121:122], v[121:122], -v[97:98]
	v_fma_f64 v[93:94], v[95:96], v[125:126], v[93:94]
	v_mov_b32_e32 v97, v125
	v_mov_b32_e32 v98, v126
	buffer_store_dword v97, off, s[24:27], 0 offset:128 ; 4-byte Folded Spill
	s_nop 0
	buffer_store_dword v98, off, s[24:27], 0 offset:132 ; 4-byte Folded Spill
	buffer_store_dword v99, off, s[24:27], 0 offset:136 ; 4-byte Folded Spill
	;; [unrolled: 1-line block ×3, first 2 shown]
	v_add_f64 v[123:124], v[123:124], -v[93:94]
.LBB94_356:
	s_or_b64 exec, exec, s[0:1]
	s_waitcnt vmcnt(0)
	s_barrier
	buffer_load_dword v81, off, s[24:27], 0 offset:112 ; 4-byte Folded Reload
	buffer_load_dword v82, off, s[24:27], 0 offset:116 ; 4-byte Folded Reload
	;; [unrolled: 1-line block ×4, first 2 shown]
	v_lshl_add_u32 v93, v92, 4, v90
	s_cmp_lt_i32 s3, 19
	s_waitcnt vmcnt(0)
	ds_write2_b64 v93, v[81:82], v[83:84] offset1:1
	s_waitcnt lgkmcnt(0)
	s_barrier
	ds_read2_b64 v[117:120], v90 offset0:34 offset1:35
	v_mov_b32_e32 v93, 17
	s_cbranch_scc1 .LBB94_359
; %bb.357:
	v_add_u32_e32 v94, 0x120, v90
	s_mov_b32 s0, 18
	v_mov_b32_e32 v93, 17
.LBB94_358:                             ; =>This Inner Loop Header: Depth=1
	s_waitcnt lgkmcnt(0)
	v_cmp_gt_f64_e32 vcc, 0, v[117:118]
	v_xor_b32_e32 v99, 0x80000000, v118
	ds_read2_b64 v[95:98], v94 offset1:1
	v_xor_b32_e32 v101, 0x80000000, v120
	v_add_u32_e32 v94, 16, v94
	s_waitcnt lgkmcnt(0)
	v_xor_b32_e32 v103, 0x80000000, v98
	v_cndmask_b32_e32 v100, v118, v99, vcc
	v_cmp_gt_f64_e32 vcc, 0, v[119:120]
	v_mov_b32_e32 v99, v117
	v_cndmask_b32_e32 v102, v120, v101, vcc
	v_cmp_gt_f64_e32 vcc, 0, v[95:96]
	v_mov_b32_e32 v101, v119
	v_add_f64 v[99:100], v[99:100], v[101:102]
	v_xor_b32_e32 v101, 0x80000000, v96
	v_cndmask_b32_e32 v102, v96, v101, vcc
	v_cmp_gt_f64_e32 vcc, 0, v[97:98]
	v_mov_b32_e32 v101, v95
	v_cndmask_b32_e32 v104, v98, v103, vcc
	v_mov_b32_e32 v103, v97
	v_add_f64 v[101:102], v[101:102], v[103:104]
	v_cmp_lt_f64_e32 vcc, v[99:100], v[101:102]
	v_cndmask_b32_e32 v117, v117, v95, vcc
	v_mov_b32_e32 v95, s0
	s_add_i32 s0, s0, 1
	v_cndmask_b32_e32 v118, v118, v96, vcc
	v_cndmask_b32_e32 v120, v120, v98, vcc
	;; [unrolled: 1-line block ×4, first 2 shown]
	s_cmp_lg_u32 s3, s0
	s_cbranch_scc1 .LBB94_358
.LBB94_359:
	s_waitcnt lgkmcnt(0)
	v_cmp_eq_f64_e32 vcc, 0, v[117:118]
	v_cmp_eq_f64_e64 s[0:1], 0, v[119:120]
	s_and_b64 s[0:1], vcc, s[0:1]
	s_and_saveexec_b64 s[18:19], s[0:1]
	s_xor_b64 s[0:1], exec, s[18:19]
; %bb.360:
	v_cmp_ne_u32_e32 vcc, 0, v91
	v_cndmask_b32_e32 v91, 18, v91, vcc
; %bb.361:
	s_andn2_saveexec_b64 s[0:1], s[0:1]
	s_cbranch_execz .LBB94_367
; %bb.362:
	v_cmp_ngt_f64_e64 s[18:19], |v[117:118]|, |v[119:120]|
	s_and_saveexec_b64 s[20:21], s[18:19]
	s_xor_b64 s[18:19], exec, s[20:21]
	s_cbranch_execz .LBB94_364
; %bb.363:
	v_div_scale_f64 v[94:95], s[20:21], v[119:120], v[119:120], v[117:118]
	v_rcp_f64_e32 v[96:97], v[94:95]
	v_fma_f64 v[98:99], -v[94:95], v[96:97], 1.0
	v_fma_f64 v[96:97], v[96:97], v[98:99], v[96:97]
	v_div_scale_f64 v[98:99], vcc, v[117:118], v[119:120], v[117:118]
	v_fma_f64 v[100:101], -v[94:95], v[96:97], 1.0
	v_fma_f64 v[96:97], v[96:97], v[100:101], v[96:97]
	v_mul_f64 v[100:101], v[98:99], v[96:97]
	v_fma_f64 v[94:95], -v[94:95], v[100:101], v[98:99]
	v_div_fmas_f64 v[94:95], v[94:95], v[96:97], v[100:101]
	v_div_fixup_f64 v[94:95], v[94:95], v[119:120], v[117:118]
	v_fma_f64 v[96:97], v[117:118], v[94:95], v[119:120]
	v_div_scale_f64 v[98:99], s[20:21], v[96:97], v[96:97], 1.0
	v_div_scale_f64 v[104:105], vcc, 1.0, v[96:97], 1.0
	v_rcp_f64_e32 v[100:101], v[98:99]
	v_fma_f64 v[102:103], -v[98:99], v[100:101], 1.0
	v_fma_f64 v[100:101], v[100:101], v[102:103], v[100:101]
	v_fma_f64 v[102:103], -v[98:99], v[100:101], 1.0
	v_fma_f64 v[100:101], v[100:101], v[102:103], v[100:101]
	v_mul_f64 v[102:103], v[104:105], v[100:101]
	v_fma_f64 v[98:99], -v[98:99], v[102:103], v[104:105]
	v_div_fmas_f64 v[98:99], v[98:99], v[100:101], v[102:103]
	v_div_fixup_f64 v[119:120], v[98:99], v[96:97], 1.0
	v_mul_f64 v[117:118], v[94:95], v[119:120]
	v_xor_b32_e32 v120, 0x80000000, v120
.LBB94_364:
	s_andn2_saveexec_b64 s[18:19], s[18:19]
	s_cbranch_execz .LBB94_366
; %bb.365:
	v_div_scale_f64 v[94:95], s[20:21], v[117:118], v[117:118], v[119:120]
	v_rcp_f64_e32 v[96:97], v[94:95]
	v_fma_f64 v[98:99], -v[94:95], v[96:97], 1.0
	v_fma_f64 v[96:97], v[96:97], v[98:99], v[96:97]
	v_div_scale_f64 v[98:99], vcc, v[119:120], v[117:118], v[119:120]
	v_fma_f64 v[100:101], -v[94:95], v[96:97], 1.0
	v_fma_f64 v[96:97], v[96:97], v[100:101], v[96:97]
	v_mul_f64 v[100:101], v[98:99], v[96:97]
	v_fma_f64 v[94:95], -v[94:95], v[100:101], v[98:99]
	v_div_fmas_f64 v[94:95], v[94:95], v[96:97], v[100:101]
	v_div_fixup_f64 v[94:95], v[94:95], v[117:118], v[119:120]
	v_fma_f64 v[96:97], v[119:120], v[94:95], v[117:118]
	v_div_scale_f64 v[98:99], s[20:21], v[96:97], v[96:97], 1.0
	v_div_scale_f64 v[104:105], vcc, 1.0, v[96:97], 1.0
	v_rcp_f64_e32 v[100:101], v[98:99]
	v_fma_f64 v[102:103], -v[98:99], v[100:101], 1.0
	v_fma_f64 v[100:101], v[100:101], v[102:103], v[100:101]
	v_fma_f64 v[102:103], -v[98:99], v[100:101], 1.0
	v_fma_f64 v[100:101], v[100:101], v[102:103], v[100:101]
	v_mul_f64 v[102:103], v[104:105], v[100:101]
	v_fma_f64 v[98:99], -v[98:99], v[102:103], v[104:105]
	v_div_fmas_f64 v[98:99], v[98:99], v[100:101], v[102:103]
	v_div_fixup_f64 v[117:118], v[98:99], v[96:97], 1.0
	v_mul_f64 v[119:120], v[94:95], -v[117:118]
.LBB94_366:
	s_or_b64 exec, exec, s[18:19]
.LBB94_367:
	s_or_b64 exec, exec, s[0:1]
	v_cmp_ne_u32_e32 vcc, v92, v93
	s_and_saveexec_b64 s[0:1], vcc
	s_xor_b64 s[0:1], exec, s[0:1]
	s_cbranch_execz .LBB94_373
; %bb.368:
	v_cmp_eq_u32_e32 vcc, 17, v92
	s_and_saveexec_b64 s[18:19], vcc
	s_cbranch_execz .LBB94_372
; %bb.369:
	v_cmp_ne_u32_e32 vcc, 17, v93
	s_xor_b64 s[20:21], s[6:7], -1
	s_and_b64 s[22:23], s[20:21], vcc
	s_and_saveexec_b64 s[20:21], s[22:23]
	s_cbranch_execz .LBB94_371
; %bb.370:
	v_mov_b32_e32 v81, v85
	v_mov_b32_e32 v82, v86
	;; [unrolled: 1-line block ×4, first 2 shown]
	buffer_load_dword v85, off, s[24:27], 0 offset:352 ; 4-byte Folded Reload
	buffer_load_dword v86, off, s[24:27], 0 offset:356 ; 4-byte Folded Reload
	v_ashrrev_i32_e32 v94, 31, v93
	v_lshlrev_b64 v[94:95], 2, v[93:94]
	s_waitcnt vmcnt(1)
	v_add_co_u32_e32 v94, vcc, v85, v94
	s_waitcnt vmcnt(0)
	v_addc_co_u32_e32 v95, vcc, v86, v95, vcc
	global_load_dword v0, v[94:95], off
	global_load_dword v92, v[85:86], off offset:68
	s_waitcnt vmcnt(1)
	global_store_dword v[85:86], v0, off offset:68
	v_mov_b32_e32 v88, v84
	v_mov_b32_e32 v87, v83
	;; [unrolled: 1-line block ×4, first 2 shown]
	s_waitcnt vmcnt(1)
	global_store_dword v[94:95], v92, off
.LBB94_371:
	s_or_b64 exec, exec, s[20:21]
	v_mov_b32_e32 v92, v93
	v_mov_b32_e32 v0, v93
.LBB94_372:
	s_or_b64 exec, exec, s[18:19]
.LBB94_373:
	s_andn2_saveexec_b64 s[0:1], s[0:1]
	s_cbranch_execz .LBB94_375
; %bb.374:
	buffer_load_dword v81, off, s[24:27], 0 offset:96 ; 4-byte Folded Reload
	buffer_load_dword v82, off, s[24:27], 0 offset:100 ; 4-byte Folded Reload
	;; [unrolled: 1-line block ×4, first 2 shown]
	v_mov_b32_e32 v92, 17
	s_waitcnt vmcnt(0)
	ds_write2_b64 v90, v[81:82], v[83:84] offset0:36 offset1:37
	buffer_load_dword v81, off, s[24:27], 0 offset:80 ; 4-byte Folded Reload
	buffer_load_dword v82, off, s[24:27], 0 offset:84 ; 4-byte Folded Reload
	buffer_load_dword v83, off, s[24:27], 0 offset:88 ; 4-byte Folded Reload
	buffer_load_dword v84, off, s[24:27], 0 offset:92 ; 4-byte Folded Reload
	s_waitcnt vmcnt(0)
	ds_write2_b64 v90, v[81:82], v[83:84] offset0:38 offset1:39
	buffer_load_dword v81, off, s[24:27], 0 offset:64 ; 4-byte Folded Reload
	buffer_load_dword v82, off, s[24:27], 0 offset:68 ; 4-byte Folded Reload
	buffer_load_dword v83, off, s[24:27], 0 offset:72 ; 4-byte Folded Reload
	buffer_load_dword v84, off, s[24:27], 0 offset:76 ; 4-byte Folded Reload
	s_waitcnt vmcnt(0)
	ds_write2_b64 v90, v[81:82], v[83:84] offset0:40 offset1:41
	buffer_load_dword v81, off, s[24:27], 0 offset:48 ; 4-byte Folded Reload
	buffer_load_dword v82, off, s[24:27], 0 offset:52 ; 4-byte Folded Reload
	buffer_load_dword v83, off, s[24:27], 0 offset:56 ; 4-byte Folded Reload
	buffer_load_dword v84, off, s[24:27], 0 offset:60 ; 4-byte Folded Reload
	s_waitcnt vmcnt(0)
	ds_write2_b64 v90, v[81:82], v[83:84] offset0:42 offset1:43
	buffer_load_dword v81, off, s[24:27], 0 offset:32 ; 4-byte Folded Reload
	buffer_load_dword v82, off, s[24:27], 0 offset:36 ; 4-byte Folded Reload
	buffer_load_dword v83, off, s[24:27], 0 offset:40 ; 4-byte Folded Reload
	buffer_load_dword v84, off, s[24:27], 0 offset:44 ; 4-byte Folded Reload
	s_waitcnt vmcnt(0)
	ds_write2_b64 v90, v[81:82], v[83:84] offset0:44 offset1:45
	buffer_load_dword v81, off, s[24:27], 0 offset:16 ; 4-byte Folded Reload
	buffer_load_dword v82, off, s[24:27], 0 offset:20 ; 4-byte Folded Reload
	buffer_load_dword v83, off, s[24:27], 0 offset:24 ; 4-byte Folded Reload
	buffer_load_dword v84, off, s[24:27], 0 offset:28 ; 4-byte Folded Reload
	s_waitcnt vmcnt(0)
	ds_write2_b64 v90, v[81:82], v[83:84] offset0:46 offset1:47
	ds_write2_b64 v90, v[85:86], v[87:88] offset0:48 offset1:49
	ds_write2_b64 v90, v[111:112], v[113:114] offset0:50 offset1:51
	buffer_load_dword v81, off, s[24:27], 0 ; 4-byte Folded Reload
	buffer_load_dword v82, off, s[24:27], 0 offset:4 ; 4-byte Folded Reload
	buffer_load_dword v83, off, s[24:27], 0 offset:8 ; 4-byte Folded Reload
	;; [unrolled: 1-line block ×3, first 2 shown]
	s_waitcnt vmcnt(0)
	ds_write2_b64 v90, v[81:82], v[83:84] offset0:52 offset1:53
	ds_write2_b64 v90, v[77:78], v[79:80] offset0:54 offset1:55
	;; [unrolled: 1-line block ×22, first 2 shown]
.LBB94_375:
	s_or_b64 exec, exec, s[0:1]
	v_cmp_lt_i32_e32 vcc, 17, v92
	s_waitcnt vmcnt(0) lgkmcnt(0)
	s_barrier
	s_and_saveexec_b64 s[0:1], vcc
	s_cbranch_execz .LBB94_377
; %bb.376:
	buffer_load_dword v97, off, s[24:27], 0 offset:112 ; 4-byte Folded Reload
	buffer_load_dword v98, off, s[24:27], 0 offset:116 ; 4-byte Folded Reload
	;; [unrolled: 1-line block ×4, first 2 shown]
	s_waitcnt vmcnt(0)
	v_mul_f64 v[93:94], v[119:120], v[99:100]
	v_fma_f64 v[125:126], v[117:118], v[97:98], -v[93:94]
	v_mul_f64 v[93:94], v[117:118], v[99:100]
	v_fma_f64 v[99:100], v[119:120], v[97:98], v[93:94]
	ds_read2_b64 v[93:96], v90 offset0:36 offset1:37
	buffer_load_dword v81, off, s[24:27], 0 offset:96 ; 4-byte Folded Reload
	buffer_load_dword v82, off, s[24:27], 0 offset:100 ; 4-byte Folded Reload
	buffer_load_dword v83, off, s[24:27], 0 offset:104 ; 4-byte Folded Reload
	buffer_load_dword v84, off, s[24:27], 0 offset:108 ; 4-byte Folded Reload
	s_waitcnt lgkmcnt(0)
	v_mul_f64 v[97:98], v[95:96], v[99:100]
	v_fma_f64 v[97:98], v[93:94], v[125:126], -v[97:98]
	v_mul_f64 v[93:94], v[93:94], v[99:100]
	v_fma_f64 v[93:94], v[95:96], v[125:126], v[93:94]
	s_waitcnt vmcnt(2)
	v_add_f64 v[81:82], v[81:82], -v[97:98]
	s_waitcnt vmcnt(0)
	v_add_f64 v[83:84], v[83:84], -v[93:94]
	buffer_store_dword v81, off, s[24:27], 0 offset:96 ; 4-byte Folded Spill
	s_nop 0
	buffer_store_dword v82, off, s[24:27], 0 offset:100 ; 4-byte Folded Spill
	buffer_store_dword v83, off, s[24:27], 0 offset:104 ; 4-byte Folded Spill
	buffer_store_dword v84, off, s[24:27], 0 offset:108 ; 4-byte Folded Spill
	ds_read2_b64 v[93:96], v90 offset0:38 offset1:39
	buffer_load_dword v81, off, s[24:27], 0 offset:80 ; 4-byte Folded Reload
	buffer_load_dword v82, off, s[24:27], 0 offset:84 ; 4-byte Folded Reload
	buffer_load_dword v83, off, s[24:27], 0 offset:88 ; 4-byte Folded Reload
	buffer_load_dword v84, off, s[24:27], 0 offset:92 ; 4-byte Folded Reload
	s_waitcnt lgkmcnt(0)
	v_mul_f64 v[97:98], v[95:96], v[99:100]
	v_fma_f64 v[97:98], v[93:94], v[125:126], -v[97:98]
	v_mul_f64 v[93:94], v[93:94], v[99:100]
	v_fma_f64 v[93:94], v[95:96], v[125:126], v[93:94]
	s_waitcnt vmcnt(2)
	v_add_f64 v[81:82], v[81:82], -v[97:98]
	s_waitcnt vmcnt(0)
	v_add_f64 v[83:84], v[83:84], -v[93:94]
	buffer_store_dword v81, off, s[24:27], 0 offset:80 ; 4-byte Folded Spill
	s_nop 0
	buffer_store_dword v82, off, s[24:27], 0 offset:84 ; 4-byte Folded Spill
	buffer_store_dword v83, off, s[24:27], 0 offset:88 ; 4-byte Folded Spill
	buffer_store_dword v84, off, s[24:27], 0 offset:92 ; 4-byte Folded Spill
	;; [unrolled: 19-line block ×6, first 2 shown]
	ds_read2_b64 v[93:96], v90 offset0:48 offset1:49
	s_waitcnt lgkmcnt(0)
	v_mul_f64 v[97:98], v[95:96], v[99:100]
	v_fma_f64 v[97:98], v[93:94], v[125:126], -v[97:98]
	v_mul_f64 v[93:94], v[93:94], v[99:100]
	v_add_f64 v[85:86], v[85:86], -v[97:98]
	v_fma_f64 v[93:94], v[95:96], v[125:126], v[93:94]
	v_add_f64 v[87:88], v[87:88], -v[93:94]
	ds_read2_b64 v[93:96], v90 offset0:50 offset1:51
	s_waitcnt lgkmcnt(0)
	v_mul_f64 v[97:98], v[95:96], v[99:100]
	v_fma_f64 v[97:98], v[93:94], v[125:126], -v[97:98]
	v_mul_f64 v[93:94], v[93:94], v[99:100]
	v_add_f64 v[111:112], v[111:112], -v[97:98]
	v_fma_f64 v[93:94], v[95:96], v[125:126], v[93:94]
	v_add_f64 v[113:114], v[113:114], -v[93:94]
	ds_read2_b64 v[93:96], v90 offset0:52 offset1:53
	buffer_load_dword v81, off, s[24:27], 0 ; 4-byte Folded Reload
	buffer_load_dword v82, off, s[24:27], 0 offset:4 ; 4-byte Folded Reload
	buffer_load_dword v83, off, s[24:27], 0 offset:8 ; 4-byte Folded Reload
	;; [unrolled: 1-line block ×3, first 2 shown]
	s_waitcnt lgkmcnt(0)
	v_mul_f64 v[97:98], v[95:96], v[99:100]
	v_fma_f64 v[97:98], v[93:94], v[125:126], -v[97:98]
	v_mul_f64 v[93:94], v[93:94], v[99:100]
	v_fma_f64 v[93:94], v[95:96], v[125:126], v[93:94]
	s_waitcnt vmcnt(2)
	v_add_f64 v[81:82], v[81:82], -v[97:98]
	s_waitcnt vmcnt(0)
	v_add_f64 v[83:84], v[83:84], -v[93:94]
	buffer_store_dword v81, off, s[24:27], 0 ; 4-byte Folded Spill
	s_nop 0
	buffer_store_dword v82, off, s[24:27], 0 offset:4 ; 4-byte Folded Spill
	buffer_store_dword v83, off, s[24:27], 0 offset:8 ; 4-byte Folded Spill
	buffer_store_dword v84, off, s[24:27], 0 offset:12 ; 4-byte Folded Spill
	ds_read2_b64 v[93:96], v90 offset0:54 offset1:55
	s_waitcnt lgkmcnt(0)
	v_mul_f64 v[97:98], v[95:96], v[99:100]
	v_fma_f64 v[97:98], v[93:94], v[125:126], -v[97:98]
	v_mul_f64 v[93:94], v[93:94], v[99:100]
	v_add_f64 v[77:78], v[77:78], -v[97:98]
	v_fma_f64 v[93:94], v[95:96], v[125:126], v[93:94]
	v_add_f64 v[79:80], v[79:80], -v[93:94]
	ds_read2_b64 v[93:96], v90 offset0:56 offset1:57
	s_waitcnt lgkmcnt(0)
	v_mul_f64 v[97:98], v[95:96], v[99:100]
	v_fma_f64 v[97:98], v[93:94], v[125:126], -v[97:98]
	v_mul_f64 v[93:94], v[93:94], v[99:100]
	v_add_f64 v[73:74], v[73:74], -v[97:98]
	v_fma_f64 v[93:94], v[95:96], v[125:126], v[93:94]
	v_add_f64 v[75:76], v[75:76], -v[93:94]
	;; [unrolled: 8-line block ×20, first 2 shown]
	ds_read2_b64 v[93:96], v90 offset0:94 offset1:95
	s_waitcnt lgkmcnt(0)
	v_mul_f64 v[97:98], v[95:96], v[99:100]
	v_fma_f64 v[97:98], v[93:94], v[125:126], -v[97:98]
	v_mul_f64 v[93:94], v[93:94], v[99:100]
	v_add_f64 v[121:122], v[121:122], -v[97:98]
	v_fma_f64 v[93:94], v[95:96], v[125:126], v[93:94]
	v_mov_b32_e32 v97, v125
	v_mov_b32_e32 v98, v126
	buffer_store_dword v97, off, s[24:27], 0 offset:112 ; 4-byte Folded Spill
	s_nop 0
	buffer_store_dword v98, off, s[24:27], 0 offset:116 ; 4-byte Folded Spill
	buffer_store_dword v99, off, s[24:27], 0 offset:120 ; 4-byte Folded Spill
	;; [unrolled: 1-line block ×3, first 2 shown]
	v_add_f64 v[123:124], v[123:124], -v[93:94]
.LBB94_377:
	s_or_b64 exec, exec, s[0:1]
	s_waitcnt vmcnt(0)
	s_barrier
	buffer_load_dword v81, off, s[24:27], 0 offset:96 ; 4-byte Folded Reload
	buffer_load_dword v82, off, s[24:27], 0 offset:100 ; 4-byte Folded Reload
	;; [unrolled: 1-line block ×4, first 2 shown]
	v_lshl_add_u32 v93, v92, 4, v90
	s_cmp_lt_i32 s3, 20
	s_waitcnt vmcnt(0)
	ds_write2_b64 v93, v[81:82], v[83:84] offset1:1
	s_waitcnt lgkmcnt(0)
	s_barrier
	ds_read2_b64 v[117:120], v90 offset0:36 offset1:37
	v_mov_b32_e32 v93, 18
	s_cbranch_scc1 .LBB94_380
; %bb.378:
	v_add_u32_e32 v94, 0x130, v90
	s_mov_b32 s0, 19
	v_mov_b32_e32 v93, 18
.LBB94_379:                             ; =>This Inner Loop Header: Depth=1
	s_waitcnt lgkmcnt(0)
	v_cmp_gt_f64_e32 vcc, 0, v[117:118]
	v_xor_b32_e32 v99, 0x80000000, v118
	ds_read2_b64 v[95:98], v94 offset1:1
	v_xor_b32_e32 v101, 0x80000000, v120
	v_add_u32_e32 v94, 16, v94
	s_waitcnt lgkmcnt(0)
	v_xor_b32_e32 v103, 0x80000000, v98
	v_cndmask_b32_e32 v100, v118, v99, vcc
	v_cmp_gt_f64_e32 vcc, 0, v[119:120]
	v_mov_b32_e32 v99, v117
	v_cndmask_b32_e32 v102, v120, v101, vcc
	v_cmp_gt_f64_e32 vcc, 0, v[95:96]
	v_mov_b32_e32 v101, v119
	v_add_f64 v[99:100], v[99:100], v[101:102]
	v_xor_b32_e32 v101, 0x80000000, v96
	v_cndmask_b32_e32 v102, v96, v101, vcc
	v_cmp_gt_f64_e32 vcc, 0, v[97:98]
	v_mov_b32_e32 v101, v95
	v_cndmask_b32_e32 v104, v98, v103, vcc
	v_mov_b32_e32 v103, v97
	v_add_f64 v[101:102], v[101:102], v[103:104]
	v_cmp_lt_f64_e32 vcc, v[99:100], v[101:102]
	v_cndmask_b32_e32 v117, v117, v95, vcc
	v_mov_b32_e32 v95, s0
	s_add_i32 s0, s0, 1
	v_cndmask_b32_e32 v118, v118, v96, vcc
	v_cndmask_b32_e32 v120, v120, v98, vcc
	;; [unrolled: 1-line block ×4, first 2 shown]
	s_cmp_lg_u32 s3, s0
	s_cbranch_scc1 .LBB94_379
.LBB94_380:
	s_waitcnt lgkmcnt(0)
	v_cmp_eq_f64_e32 vcc, 0, v[117:118]
	v_cmp_eq_f64_e64 s[0:1], 0, v[119:120]
	s_and_b64 s[0:1], vcc, s[0:1]
	s_and_saveexec_b64 s[18:19], s[0:1]
	s_xor_b64 s[0:1], exec, s[18:19]
; %bb.381:
	v_cmp_ne_u32_e32 vcc, 0, v91
	v_cndmask_b32_e32 v91, 19, v91, vcc
; %bb.382:
	s_andn2_saveexec_b64 s[0:1], s[0:1]
	s_cbranch_execz .LBB94_388
; %bb.383:
	v_cmp_ngt_f64_e64 s[18:19], |v[117:118]|, |v[119:120]|
	s_and_saveexec_b64 s[20:21], s[18:19]
	s_xor_b64 s[18:19], exec, s[20:21]
	s_cbranch_execz .LBB94_385
; %bb.384:
	v_div_scale_f64 v[94:95], s[20:21], v[119:120], v[119:120], v[117:118]
	v_rcp_f64_e32 v[96:97], v[94:95]
	v_fma_f64 v[98:99], -v[94:95], v[96:97], 1.0
	v_fma_f64 v[96:97], v[96:97], v[98:99], v[96:97]
	v_div_scale_f64 v[98:99], vcc, v[117:118], v[119:120], v[117:118]
	v_fma_f64 v[100:101], -v[94:95], v[96:97], 1.0
	v_fma_f64 v[96:97], v[96:97], v[100:101], v[96:97]
	v_mul_f64 v[100:101], v[98:99], v[96:97]
	v_fma_f64 v[94:95], -v[94:95], v[100:101], v[98:99]
	v_div_fmas_f64 v[94:95], v[94:95], v[96:97], v[100:101]
	v_div_fixup_f64 v[94:95], v[94:95], v[119:120], v[117:118]
	v_fma_f64 v[96:97], v[117:118], v[94:95], v[119:120]
	v_div_scale_f64 v[98:99], s[20:21], v[96:97], v[96:97], 1.0
	v_div_scale_f64 v[104:105], vcc, 1.0, v[96:97], 1.0
	v_rcp_f64_e32 v[100:101], v[98:99]
	v_fma_f64 v[102:103], -v[98:99], v[100:101], 1.0
	v_fma_f64 v[100:101], v[100:101], v[102:103], v[100:101]
	v_fma_f64 v[102:103], -v[98:99], v[100:101], 1.0
	v_fma_f64 v[100:101], v[100:101], v[102:103], v[100:101]
	v_mul_f64 v[102:103], v[104:105], v[100:101]
	v_fma_f64 v[98:99], -v[98:99], v[102:103], v[104:105]
	v_div_fmas_f64 v[98:99], v[98:99], v[100:101], v[102:103]
	v_div_fixup_f64 v[119:120], v[98:99], v[96:97], 1.0
	v_mul_f64 v[117:118], v[94:95], v[119:120]
	v_xor_b32_e32 v120, 0x80000000, v120
.LBB94_385:
	s_andn2_saveexec_b64 s[18:19], s[18:19]
	s_cbranch_execz .LBB94_387
; %bb.386:
	v_div_scale_f64 v[94:95], s[20:21], v[117:118], v[117:118], v[119:120]
	v_rcp_f64_e32 v[96:97], v[94:95]
	v_fma_f64 v[98:99], -v[94:95], v[96:97], 1.0
	v_fma_f64 v[96:97], v[96:97], v[98:99], v[96:97]
	v_div_scale_f64 v[98:99], vcc, v[119:120], v[117:118], v[119:120]
	v_fma_f64 v[100:101], -v[94:95], v[96:97], 1.0
	v_fma_f64 v[96:97], v[96:97], v[100:101], v[96:97]
	v_mul_f64 v[100:101], v[98:99], v[96:97]
	v_fma_f64 v[94:95], -v[94:95], v[100:101], v[98:99]
	v_div_fmas_f64 v[94:95], v[94:95], v[96:97], v[100:101]
	v_div_fixup_f64 v[94:95], v[94:95], v[117:118], v[119:120]
	v_fma_f64 v[96:97], v[119:120], v[94:95], v[117:118]
	v_div_scale_f64 v[98:99], s[20:21], v[96:97], v[96:97], 1.0
	v_div_scale_f64 v[104:105], vcc, 1.0, v[96:97], 1.0
	v_rcp_f64_e32 v[100:101], v[98:99]
	v_fma_f64 v[102:103], -v[98:99], v[100:101], 1.0
	v_fma_f64 v[100:101], v[100:101], v[102:103], v[100:101]
	v_fma_f64 v[102:103], -v[98:99], v[100:101], 1.0
	v_fma_f64 v[100:101], v[100:101], v[102:103], v[100:101]
	v_mul_f64 v[102:103], v[104:105], v[100:101]
	v_fma_f64 v[98:99], -v[98:99], v[102:103], v[104:105]
	v_div_fmas_f64 v[98:99], v[98:99], v[100:101], v[102:103]
	v_div_fixup_f64 v[117:118], v[98:99], v[96:97], 1.0
	v_mul_f64 v[119:120], v[94:95], -v[117:118]
.LBB94_387:
	s_or_b64 exec, exec, s[18:19]
.LBB94_388:
	s_or_b64 exec, exec, s[0:1]
	v_cmp_ne_u32_e32 vcc, v92, v93
	s_and_saveexec_b64 s[0:1], vcc
	s_xor_b64 s[0:1], exec, s[0:1]
	s_cbranch_execz .LBB94_394
; %bb.389:
	v_cmp_eq_u32_e32 vcc, 18, v92
	s_and_saveexec_b64 s[18:19], vcc
	s_cbranch_execz .LBB94_393
; %bb.390:
	v_cmp_ne_u32_e32 vcc, 18, v93
	s_xor_b64 s[20:21], s[6:7], -1
	s_and_b64 s[22:23], s[20:21], vcc
	s_and_saveexec_b64 s[20:21], s[22:23]
	s_cbranch_execz .LBB94_392
; %bb.391:
	v_mov_b32_e32 v81, v85
	v_mov_b32_e32 v82, v86
	;; [unrolled: 1-line block ×4, first 2 shown]
	buffer_load_dword v85, off, s[24:27], 0 offset:352 ; 4-byte Folded Reload
	buffer_load_dword v86, off, s[24:27], 0 offset:356 ; 4-byte Folded Reload
	v_ashrrev_i32_e32 v94, 31, v93
	v_lshlrev_b64 v[94:95], 2, v[93:94]
	s_waitcnt vmcnt(1)
	v_add_co_u32_e32 v94, vcc, v85, v94
	s_waitcnt vmcnt(0)
	v_addc_co_u32_e32 v95, vcc, v86, v95, vcc
	global_load_dword v0, v[94:95], off
	global_load_dword v92, v[85:86], off offset:72
	s_waitcnt vmcnt(1)
	global_store_dword v[85:86], v0, off offset:72
	v_mov_b32_e32 v88, v84
	v_mov_b32_e32 v87, v83
	;; [unrolled: 1-line block ×4, first 2 shown]
	s_waitcnt vmcnt(1)
	global_store_dword v[94:95], v92, off
.LBB94_392:
	s_or_b64 exec, exec, s[20:21]
	v_mov_b32_e32 v92, v93
	v_mov_b32_e32 v0, v93
.LBB94_393:
	s_or_b64 exec, exec, s[18:19]
.LBB94_394:
	s_andn2_saveexec_b64 s[0:1], s[0:1]
	s_cbranch_execz .LBB94_396
; %bb.395:
	buffer_load_dword v81, off, s[24:27], 0 offset:80 ; 4-byte Folded Reload
	buffer_load_dword v82, off, s[24:27], 0 offset:84 ; 4-byte Folded Reload
	;; [unrolled: 1-line block ×4, first 2 shown]
	v_mov_b32_e32 v92, 18
	s_waitcnt vmcnt(0)
	ds_write2_b64 v90, v[81:82], v[83:84] offset0:38 offset1:39
	buffer_load_dword v81, off, s[24:27], 0 offset:64 ; 4-byte Folded Reload
	buffer_load_dword v82, off, s[24:27], 0 offset:68 ; 4-byte Folded Reload
	buffer_load_dword v83, off, s[24:27], 0 offset:72 ; 4-byte Folded Reload
	buffer_load_dword v84, off, s[24:27], 0 offset:76 ; 4-byte Folded Reload
	s_waitcnt vmcnt(0)
	ds_write2_b64 v90, v[81:82], v[83:84] offset0:40 offset1:41
	buffer_load_dword v81, off, s[24:27], 0 offset:48 ; 4-byte Folded Reload
	buffer_load_dword v82, off, s[24:27], 0 offset:52 ; 4-byte Folded Reload
	buffer_load_dword v83, off, s[24:27], 0 offset:56 ; 4-byte Folded Reload
	buffer_load_dword v84, off, s[24:27], 0 offset:60 ; 4-byte Folded Reload
	;; [unrolled: 6-line block ×4, first 2 shown]
	s_waitcnt vmcnt(0)
	ds_write2_b64 v90, v[81:82], v[83:84] offset0:46 offset1:47
	ds_write2_b64 v90, v[85:86], v[87:88] offset0:48 offset1:49
	;; [unrolled: 1-line block ×3, first 2 shown]
	buffer_load_dword v81, off, s[24:27], 0 ; 4-byte Folded Reload
	buffer_load_dword v82, off, s[24:27], 0 offset:4 ; 4-byte Folded Reload
	buffer_load_dword v83, off, s[24:27], 0 offset:8 ; 4-byte Folded Reload
	;; [unrolled: 1-line block ×3, first 2 shown]
	s_waitcnt vmcnt(0)
	ds_write2_b64 v90, v[81:82], v[83:84] offset0:52 offset1:53
	ds_write2_b64 v90, v[77:78], v[79:80] offset0:54 offset1:55
	;; [unrolled: 1-line block ×22, first 2 shown]
.LBB94_396:
	s_or_b64 exec, exec, s[0:1]
	v_cmp_lt_i32_e32 vcc, 18, v92
	s_waitcnt vmcnt(0) lgkmcnt(0)
	s_barrier
	s_and_saveexec_b64 s[0:1], vcc
	s_cbranch_execz .LBB94_398
; %bb.397:
	buffer_load_dword v99, off, s[24:27], 0 offset:96 ; 4-byte Folded Reload
	buffer_load_dword v100, off, s[24:27], 0 offset:100 ; 4-byte Folded Reload
	;; [unrolled: 1-line block ×4, first 2 shown]
	s_waitcnt vmcnt(0)
	v_mul_f64 v[95:96], v[117:118], v[101:102]
	v_mul_f64 v[93:94], v[119:120], v[101:102]
	v_fma_f64 v[101:102], v[119:120], v[99:100], v[95:96]
	ds_read2_b64 v[95:98], v90 offset0:38 offset1:39
	buffer_load_dword v81, off, s[24:27], 0 offset:80 ; 4-byte Folded Reload
	buffer_load_dword v82, off, s[24:27], 0 offset:84 ; 4-byte Folded Reload
	;; [unrolled: 1-line block ×4, first 2 shown]
	v_fma_f64 v[93:94], v[117:118], v[99:100], -v[93:94]
	s_waitcnt lgkmcnt(0)
	v_mul_f64 v[99:100], v[97:98], v[101:102]
	v_fma_f64 v[99:100], v[95:96], v[93:94], -v[99:100]
	v_mul_f64 v[95:96], v[95:96], v[101:102]
	v_fma_f64 v[95:96], v[97:98], v[93:94], v[95:96]
	s_waitcnt vmcnt(2)
	v_add_f64 v[81:82], v[81:82], -v[99:100]
	s_waitcnt vmcnt(0)
	v_add_f64 v[83:84], v[83:84], -v[95:96]
	buffer_store_dword v81, off, s[24:27], 0 offset:80 ; 4-byte Folded Spill
	s_nop 0
	buffer_store_dword v82, off, s[24:27], 0 offset:84 ; 4-byte Folded Spill
	buffer_store_dword v83, off, s[24:27], 0 offset:88 ; 4-byte Folded Spill
	buffer_store_dword v84, off, s[24:27], 0 offset:92 ; 4-byte Folded Spill
	ds_read2_b64 v[95:98], v90 offset0:40 offset1:41
	buffer_load_dword v81, off, s[24:27], 0 offset:64 ; 4-byte Folded Reload
	buffer_load_dword v82, off, s[24:27], 0 offset:68 ; 4-byte Folded Reload
	buffer_load_dword v83, off, s[24:27], 0 offset:72 ; 4-byte Folded Reload
	buffer_load_dword v84, off, s[24:27], 0 offset:76 ; 4-byte Folded Reload
	s_waitcnt lgkmcnt(0)
	v_mul_f64 v[99:100], v[97:98], v[101:102]
	v_fma_f64 v[99:100], v[95:96], v[93:94], -v[99:100]
	v_mul_f64 v[95:96], v[95:96], v[101:102]
	v_fma_f64 v[95:96], v[97:98], v[93:94], v[95:96]
	s_waitcnt vmcnt(2)
	v_add_f64 v[81:82], v[81:82], -v[99:100]
	s_waitcnt vmcnt(0)
	v_add_f64 v[83:84], v[83:84], -v[95:96]
	buffer_store_dword v81, off, s[24:27], 0 offset:64 ; 4-byte Folded Spill
	s_nop 0
	buffer_store_dword v82, off, s[24:27], 0 offset:68 ; 4-byte Folded Spill
	buffer_store_dword v83, off, s[24:27], 0 offset:72 ; 4-byte Folded Spill
	buffer_store_dword v84, off, s[24:27], 0 offset:76 ; 4-byte Folded Spill
	ds_read2_b64 v[95:98], v90 offset0:42 offset1:43
	buffer_load_dword v81, off, s[24:27], 0 offset:48 ; 4-byte Folded Reload
	buffer_load_dword v82, off, s[24:27], 0 offset:52 ; 4-byte Folded Reload
	buffer_load_dword v83, off, s[24:27], 0 offset:56 ; 4-byte Folded Reload
	buffer_load_dword v84, off, s[24:27], 0 offset:60 ; 4-byte Folded Reload
	;; [unrolled: 19-line block ×4, first 2 shown]
	s_waitcnt lgkmcnt(0)
	v_mul_f64 v[99:100], v[97:98], v[101:102]
	v_fma_f64 v[99:100], v[95:96], v[93:94], -v[99:100]
	v_mul_f64 v[95:96], v[95:96], v[101:102]
	v_fma_f64 v[95:96], v[97:98], v[93:94], v[95:96]
	s_waitcnt vmcnt(2)
	v_add_f64 v[81:82], v[81:82], -v[99:100]
	s_waitcnt vmcnt(0)
	v_add_f64 v[83:84], v[83:84], -v[95:96]
	buffer_store_dword v81, off, s[24:27], 0 offset:16 ; 4-byte Folded Spill
	s_nop 0
	buffer_store_dword v82, off, s[24:27], 0 offset:20 ; 4-byte Folded Spill
	buffer_store_dword v83, off, s[24:27], 0 offset:24 ; 4-byte Folded Spill
	;; [unrolled: 1-line block ×3, first 2 shown]
	ds_read2_b64 v[95:98], v90 offset0:48 offset1:49
	s_waitcnt lgkmcnt(0)
	v_mul_f64 v[99:100], v[97:98], v[101:102]
	v_fma_f64 v[99:100], v[95:96], v[93:94], -v[99:100]
	v_mul_f64 v[95:96], v[95:96], v[101:102]
	v_add_f64 v[85:86], v[85:86], -v[99:100]
	v_fma_f64 v[95:96], v[97:98], v[93:94], v[95:96]
	v_add_f64 v[87:88], v[87:88], -v[95:96]
	ds_read2_b64 v[95:98], v90 offset0:50 offset1:51
	s_waitcnt lgkmcnt(0)
	v_mul_f64 v[99:100], v[97:98], v[101:102]
	v_fma_f64 v[99:100], v[95:96], v[93:94], -v[99:100]
	v_mul_f64 v[95:96], v[95:96], v[101:102]
	v_add_f64 v[111:112], v[111:112], -v[99:100]
	v_fma_f64 v[95:96], v[97:98], v[93:94], v[95:96]
	v_add_f64 v[113:114], v[113:114], -v[95:96]
	ds_read2_b64 v[95:98], v90 offset0:52 offset1:53
	buffer_load_dword v81, off, s[24:27], 0 ; 4-byte Folded Reload
	buffer_load_dword v82, off, s[24:27], 0 offset:4 ; 4-byte Folded Reload
	buffer_load_dword v83, off, s[24:27], 0 offset:8 ; 4-byte Folded Reload
	;; [unrolled: 1-line block ×3, first 2 shown]
	s_waitcnt lgkmcnt(0)
	v_mul_f64 v[99:100], v[97:98], v[101:102]
	v_fma_f64 v[99:100], v[95:96], v[93:94], -v[99:100]
	v_mul_f64 v[95:96], v[95:96], v[101:102]
	v_fma_f64 v[95:96], v[97:98], v[93:94], v[95:96]
	s_waitcnt vmcnt(2)
	v_add_f64 v[81:82], v[81:82], -v[99:100]
	s_waitcnt vmcnt(0)
	v_add_f64 v[83:84], v[83:84], -v[95:96]
	buffer_store_dword v81, off, s[24:27], 0 ; 4-byte Folded Spill
	s_nop 0
	buffer_store_dword v82, off, s[24:27], 0 offset:4 ; 4-byte Folded Spill
	buffer_store_dword v83, off, s[24:27], 0 offset:8 ; 4-byte Folded Spill
	;; [unrolled: 1-line block ×3, first 2 shown]
	ds_read2_b64 v[95:98], v90 offset0:54 offset1:55
	s_waitcnt lgkmcnt(0)
	v_mul_f64 v[99:100], v[97:98], v[101:102]
	v_fma_f64 v[99:100], v[95:96], v[93:94], -v[99:100]
	v_mul_f64 v[95:96], v[95:96], v[101:102]
	v_add_f64 v[77:78], v[77:78], -v[99:100]
	v_fma_f64 v[95:96], v[97:98], v[93:94], v[95:96]
	v_add_f64 v[79:80], v[79:80], -v[95:96]
	ds_read2_b64 v[95:98], v90 offset0:56 offset1:57
	s_waitcnt lgkmcnt(0)
	v_mul_f64 v[99:100], v[97:98], v[101:102]
	v_fma_f64 v[99:100], v[95:96], v[93:94], -v[99:100]
	v_mul_f64 v[95:96], v[95:96], v[101:102]
	v_add_f64 v[73:74], v[73:74], -v[99:100]
	v_fma_f64 v[95:96], v[97:98], v[93:94], v[95:96]
	v_add_f64 v[75:76], v[75:76], -v[95:96]
	;; [unrolled: 8-line block ×20, first 2 shown]
	ds_read2_b64 v[95:98], v90 offset0:94 offset1:95
	s_waitcnt lgkmcnt(0)
	v_mul_f64 v[99:100], v[97:98], v[101:102]
	v_fma_f64 v[99:100], v[95:96], v[93:94], -v[99:100]
	v_mul_f64 v[95:96], v[95:96], v[101:102]
	v_add_f64 v[121:122], v[121:122], -v[99:100]
	v_fma_f64 v[95:96], v[97:98], v[93:94], v[95:96]
	v_mov_b32_e32 v100, v94
	v_mov_b32_e32 v99, v93
	buffer_store_dword v99, off, s[24:27], 0 offset:96 ; 4-byte Folded Spill
	s_nop 0
	buffer_store_dword v100, off, s[24:27], 0 offset:100 ; 4-byte Folded Spill
	buffer_store_dword v101, off, s[24:27], 0 offset:104 ; 4-byte Folded Spill
	buffer_store_dword v102, off, s[24:27], 0 offset:108 ; 4-byte Folded Spill
	v_add_f64 v[123:124], v[123:124], -v[95:96]
.LBB94_398:
	s_or_b64 exec, exec, s[0:1]
	s_waitcnt vmcnt(0)
	s_barrier
	buffer_load_dword v81, off, s[24:27], 0 offset:80 ; 4-byte Folded Reload
	buffer_load_dword v82, off, s[24:27], 0 offset:84 ; 4-byte Folded Reload
	;; [unrolled: 1-line block ×4, first 2 shown]
	v_lshl_add_u32 v93, v92, 4, v90
	s_cmp_lt_i32 s3, 21
	s_waitcnt vmcnt(0)
	ds_write2_b64 v93, v[81:82], v[83:84] offset1:1
	s_waitcnt lgkmcnt(0)
	s_barrier
	ds_read2_b64 v[117:120], v90 offset0:38 offset1:39
	v_mov_b32_e32 v93, 19
	s_cbranch_scc1 .LBB94_401
; %bb.399:
	v_add_u32_e32 v94, 0x140, v90
	s_mov_b32 s0, 20
	v_mov_b32_e32 v93, 19
.LBB94_400:                             ; =>This Inner Loop Header: Depth=1
	s_waitcnt lgkmcnt(0)
	v_cmp_gt_f64_e32 vcc, 0, v[117:118]
	v_xor_b32_e32 v99, 0x80000000, v118
	ds_read2_b64 v[95:98], v94 offset1:1
	v_xor_b32_e32 v101, 0x80000000, v120
	v_add_u32_e32 v94, 16, v94
	s_waitcnt lgkmcnt(0)
	v_xor_b32_e32 v103, 0x80000000, v98
	v_cndmask_b32_e32 v100, v118, v99, vcc
	v_cmp_gt_f64_e32 vcc, 0, v[119:120]
	v_mov_b32_e32 v99, v117
	v_cndmask_b32_e32 v102, v120, v101, vcc
	v_cmp_gt_f64_e32 vcc, 0, v[95:96]
	v_mov_b32_e32 v101, v119
	v_add_f64 v[99:100], v[99:100], v[101:102]
	v_xor_b32_e32 v101, 0x80000000, v96
	v_cndmask_b32_e32 v102, v96, v101, vcc
	v_cmp_gt_f64_e32 vcc, 0, v[97:98]
	v_mov_b32_e32 v101, v95
	v_cndmask_b32_e32 v104, v98, v103, vcc
	v_mov_b32_e32 v103, v97
	v_add_f64 v[101:102], v[101:102], v[103:104]
	v_cmp_lt_f64_e32 vcc, v[99:100], v[101:102]
	v_cndmask_b32_e32 v117, v117, v95, vcc
	v_mov_b32_e32 v95, s0
	s_add_i32 s0, s0, 1
	v_cndmask_b32_e32 v118, v118, v96, vcc
	v_cndmask_b32_e32 v120, v120, v98, vcc
	;; [unrolled: 1-line block ×4, first 2 shown]
	s_cmp_lg_u32 s3, s0
	s_cbranch_scc1 .LBB94_400
.LBB94_401:
	s_waitcnt lgkmcnt(0)
	v_cmp_eq_f64_e32 vcc, 0, v[117:118]
	v_cmp_eq_f64_e64 s[0:1], 0, v[119:120]
	s_and_b64 s[0:1], vcc, s[0:1]
	s_and_saveexec_b64 s[18:19], s[0:1]
	s_xor_b64 s[0:1], exec, s[18:19]
; %bb.402:
	v_cmp_ne_u32_e32 vcc, 0, v91
	v_cndmask_b32_e32 v91, 20, v91, vcc
; %bb.403:
	s_andn2_saveexec_b64 s[0:1], s[0:1]
	s_cbranch_execz .LBB94_409
; %bb.404:
	v_cmp_ngt_f64_e64 s[18:19], |v[117:118]|, |v[119:120]|
	s_and_saveexec_b64 s[20:21], s[18:19]
	s_xor_b64 s[18:19], exec, s[20:21]
	s_cbranch_execz .LBB94_406
; %bb.405:
	v_div_scale_f64 v[94:95], s[20:21], v[119:120], v[119:120], v[117:118]
	v_rcp_f64_e32 v[96:97], v[94:95]
	v_fma_f64 v[98:99], -v[94:95], v[96:97], 1.0
	v_fma_f64 v[96:97], v[96:97], v[98:99], v[96:97]
	v_div_scale_f64 v[98:99], vcc, v[117:118], v[119:120], v[117:118]
	v_fma_f64 v[100:101], -v[94:95], v[96:97], 1.0
	v_fma_f64 v[96:97], v[96:97], v[100:101], v[96:97]
	v_mul_f64 v[100:101], v[98:99], v[96:97]
	v_fma_f64 v[94:95], -v[94:95], v[100:101], v[98:99]
	v_div_fmas_f64 v[94:95], v[94:95], v[96:97], v[100:101]
	v_div_fixup_f64 v[94:95], v[94:95], v[119:120], v[117:118]
	v_fma_f64 v[96:97], v[117:118], v[94:95], v[119:120]
	v_div_scale_f64 v[98:99], s[20:21], v[96:97], v[96:97], 1.0
	v_div_scale_f64 v[104:105], vcc, 1.0, v[96:97], 1.0
	v_rcp_f64_e32 v[100:101], v[98:99]
	v_fma_f64 v[102:103], -v[98:99], v[100:101], 1.0
	v_fma_f64 v[100:101], v[100:101], v[102:103], v[100:101]
	v_fma_f64 v[102:103], -v[98:99], v[100:101], 1.0
	v_fma_f64 v[100:101], v[100:101], v[102:103], v[100:101]
	v_mul_f64 v[102:103], v[104:105], v[100:101]
	v_fma_f64 v[98:99], -v[98:99], v[102:103], v[104:105]
	v_div_fmas_f64 v[98:99], v[98:99], v[100:101], v[102:103]
	v_div_fixup_f64 v[119:120], v[98:99], v[96:97], 1.0
	v_mul_f64 v[117:118], v[94:95], v[119:120]
	v_xor_b32_e32 v120, 0x80000000, v120
.LBB94_406:
	s_andn2_saveexec_b64 s[18:19], s[18:19]
	s_cbranch_execz .LBB94_408
; %bb.407:
	v_div_scale_f64 v[94:95], s[20:21], v[117:118], v[117:118], v[119:120]
	v_rcp_f64_e32 v[96:97], v[94:95]
	v_fma_f64 v[98:99], -v[94:95], v[96:97], 1.0
	v_fma_f64 v[96:97], v[96:97], v[98:99], v[96:97]
	v_div_scale_f64 v[98:99], vcc, v[119:120], v[117:118], v[119:120]
	v_fma_f64 v[100:101], -v[94:95], v[96:97], 1.0
	v_fma_f64 v[96:97], v[96:97], v[100:101], v[96:97]
	v_mul_f64 v[100:101], v[98:99], v[96:97]
	v_fma_f64 v[94:95], -v[94:95], v[100:101], v[98:99]
	v_div_fmas_f64 v[94:95], v[94:95], v[96:97], v[100:101]
	v_div_fixup_f64 v[94:95], v[94:95], v[117:118], v[119:120]
	v_fma_f64 v[96:97], v[119:120], v[94:95], v[117:118]
	v_div_scale_f64 v[98:99], s[20:21], v[96:97], v[96:97], 1.0
	v_div_scale_f64 v[104:105], vcc, 1.0, v[96:97], 1.0
	v_rcp_f64_e32 v[100:101], v[98:99]
	v_fma_f64 v[102:103], -v[98:99], v[100:101], 1.0
	v_fma_f64 v[100:101], v[100:101], v[102:103], v[100:101]
	v_fma_f64 v[102:103], -v[98:99], v[100:101], 1.0
	v_fma_f64 v[100:101], v[100:101], v[102:103], v[100:101]
	v_mul_f64 v[102:103], v[104:105], v[100:101]
	v_fma_f64 v[98:99], -v[98:99], v[102:103], v[104:105]
	v_div_fmas_f64 v[98:99], v[98:99], v[100:101], v[102:103]
	v_div_fixup_f64 v[117:118], v[98:99], v[96:97], 1.0
	v_mul_f64 v[119:120], v[94:95], -v[117:118]
.LBB94_408:
	s_or_b64 exec, exec, s[18:19]
.LBB94_409:
	s_or_b64 exec, exec, s[0:1]
	v_cmp_ne_u32_e32 vcc, v92, v93
	s_and_saveexec_b64 s[0:1], vcc
	s_xor_b64 s[0:1], exec, s[0:1]
	s_cbranch_execz .LBB94_415
; %bb.410:
	v_cmp_eq_u32_e32 vcc, 19, v92
	s_and_saveexec_b64 s[18:19], vcc
	s_cbranch_execz .LBB94_414
; %bb.411:
	v_cmp_ne_u32_e32 vcc, 19, v93
	s_xor_b64 s[20:21], s[6:7], -1
	s_and_b64 s[22:23], s[20:21], vcc
	s_and_saveexec_b64 s[20:21], s[22:23]
	s_cbranch_execz .LBB94_413
; %bb.412:
	v_mov_b32_e32 v81, v85
	v_mov_b32_e32 v82, v86
	;; [unrolled: 1-line block ×4, first 2 shown]
	buffer_load_dword v85, off, s[24:27], 0 offset:352 ; 4-byte Folded Reload
	buffer_load_dword v86, off, s[24:27], 0 offset:356 ; 4-byte Folded Reload
	v_ashrrev_i32_e32 v94, 31, v93
	v_lshlrev_b64 v[94:95], 2, v[93:94]
	s_waitcnt vmcnt(1)
	v_add_co_u32_e32 v94, vcc, v85, v94
	s_waitcnt vmcnt(0)
	v_addc_co_u32_e32 v95, vcc, v86, v95, vcc
	global_load_dword v0, v[94:95], off
	global_load_dword v92, v[85:86], off offset:76
	s_waitcnt vmcnt(1)
	global_store_dword v[85:86], v0, off offset:76
	v_mov_b32_e32 v88, v84
	v_mov_b32_e32 v87, v83
	;; [unrolled: 1-line block ×4, first 2 shown]
	s_waitcnt vmcnt(1)
	global_store_dword v[94:95], v92, off
.LBB94_413:
	s_or_b64 exec, exec, s[20:21]
	v_mov_b32_e32 v92, v93
	v_mov_b32_e32 v0, v93
.LBB94_414:
	s_or_b64 exec, exec, s[18:19]
.LBB94_415:
	s_andn2_saveexec_b64 s[0:1], s[0:1]
	s_cbranch_execz .LBB94_417
; %bb.416:
	buffer_load_dword v81, off, s[24:27], 0 offset:64 ; 4-byte Folded Reload
	buffer_load_dword v82, off, s[24:27], 0 offset:68 ; 4-byte Folded Reload
	;; [unrolled: 1-line block ×4, first 2 shown]
	v_mov_b32_e32 v92, 19
	s_waitcnt vmcnt(0)
	ds_write2_b64 v90, v[81:82], v[83:84] offset0:40 offset1:41
	buffer_load_dword v81, off, s[24:27], 0 offset:48 ; 4-byte Folded Reload
	buffer_load_dword v82, off, s[24:27], 0 offset:52 ; 4-byte Folded Reload
	buffer_load_dword v83, off, s[24:27], 0 offset:56 ; 4-byte Folded Reload
	buffer_load_dword v84, off, s[24:27], 0 offset:60 ; 4-byte Folded Reload
	s_waitcnt vmcnt(0)
	ds_write2_b64 v90, v[81:82], v[83:84] offset0:42 offset1:43
	buffer_load_dword v81, off, s[24:27], 0 offset:32 ; 4-byte Folded Reload
	buffer_load_dword v82, off, s[24:27], 0 offset:36 ; 4-byte Folded Reload
	buffer_load_dword v83, off, s[24:27], 0 offset:40 ; 4-byte Folded Reload
	buffer_load_dword v84, off, s[24:27], 0 offset:44 ; 4-byte Folded Reload
	;; [unrolled: 6-line block ×3, first 2 shown]
	s_waitcnt vmcnt(0)
	ds_write2_b64 v90, v[81:82], v[83:84] offset0:46 offset1:47
	ds_write2_b64 v90, v[85:86], v[87:88] offset0:48 offset1:49
	;; [unrolled: 1-line block ×3, first 2 shown]
	buffer_load_dword v81, off, s[24:27], 0 ; 4-byte Folded Reload
	buffer_load_dword v82, off, s[24:27], 0 offset:4 ; 4-byte Folded Reload
	buffer_load_dword v83, off, s[24:27], 0 offset:8 ; 4-byte Folded Reload
	;; [unrolled: 1-line block ×3, first 2 shown]
	s_waitcnt vmcnt(0)
	ds_write2_b64 v90, v[81:82], v[83:84] offset0:52 offset1:53
	ds_write2_b64 v90, v[77:78], v[79:80] offset0:54 offset1:55
	;; [unrolled: 1-line block ×22, first 2 shown]
.LBB94_417:
	s_or_b64 exec, exec, s[0:1]
	v_cmp_lt_i32_e32 vcc, 19, v92
	s_waitcnt vmcnt(0) lgkmcnt(0)
	s_barrier
	s_and_saveexec_b64 s[0:1], vcc
	s_cbranch_execz .LBB94_419
; %bb.418:
	buffer_load_dword v99, off, s[24:27], 0 offset:80 ; 4-byte Folded Reload
	buffer_load_dword v100, off, s[24:27], 0 offset:84 ; 4-byte Folded Reload
	;; [unrolled: 1-line block ×4, first 2 shown]
	s_waitcnt vmcnt(0)
	v_mul_f64 v[95:96], v[117:118], v[101:102]
	v_mul_f64 v[93:94], v[119:120], v[101:102]
	v_fma_f64 v[101:102], v[119:120], v[99:100], v[95:96]
	ds_read2_b64 v[95:98], v90 offset0:40 offset1:41
	buffer_load_dword v81, off, s[24:27], 0 offset:64 ; 4-byte Folded Reload
	buffer_load_dword v82, off, s[24:27], 0 offset:68 ; 4-byte Folded Reload
	;; [unrolled: 1-line block ×4, first 2 shown]
	v_fma_f64 v[93:94], v[117:118], v[99:100], -v[93:94]
	s_waitcnt lgkmcnt(0)
	v_mul_f64 v[99:100], v[97:98], v[101:102]
	v_fma_f64 v[99:100], v[95:96], v[93:94], -v[99:100]
	v_mul_f64 v[95:96], v[95:96], v[101:102]
	v_fma_f64 v[95:96], v[97:98], v[93:94], v[95:96]
	s_waitcnt vmcnt(2)
	v_add_f64 v[81:82], v[81:82], -v[99:100]
	s_waitcnt vmcnt(0)
	v_add_f64 v[83:84], v[83:84], -v[95:96]
	buffer_store_dword v81, off, s[24:27], 0 offset:64 ; 4-byte Folded Spill
	s_nop 0
	buffer_store_dword v82, off, s[24:27], 0 offset:68 ; 4-byte Folded Spill
	buffer_store_dword v83, off, s[24:27], 0 offset:72 ; 4-byte Folded Spill
	buffer_store_dword v84, off, s[24:27], 0 offset:76 ; 4-byte Folded Spill
	ds_read2_b64 v[95:98], v90 offset0:42 offset1:43
	buffer_load_dword v81, off, s[24:27], 0 offset:48 ; 4-byte Folded Reload
	buffer_load_dword v82, off, s[24:27], 0 offset:52 ; 4-byte Folded Reload
	buffer_load_dword v83, off, s[24:27], 0 offset:56 ; 4-byte Folded Reload
	buffer_load_dword v84, off, s[24:27], 0 offset:60 ; 4-byte Folded Reload
	s_waitcnt lgkmcnt(0)
	v_mul_f64 v[99:100], v[97:98], v[101:102]
	v_fma_f64 v[99:100], v[95:96], v[93:94], -v[99:100]
	v_mul_f64 v[95:96], v[95:96], v[101:102]
	v_fma_f64 v[95:96], v[97:98], v[93:94], v[95:96]
	s_waitcnt vmcnt(2)
	v_add_f64 v[81:82], v[81:82], -v[99:100]
	s_waitcnt vmcnt(0)
	v_add_f64 v[83:84], v[83:84], -v[95:96]
	buffer_store_dword v81, off, s[24:27], 0 offset:48 ; 4-byte Folded Spill
	s_nop 0
	buffer_store_dword v82, off, s[24:27], 0 offset:52 ; 4-byte Folded Spill
	buffer_store_dword v83, off, s[24:27], 0 offset:56 ; 4-byte Folded Spill
	buffer_store_dword v84, off, s[24:27], 0 offset:60 ; 4-byte Folded Spill
	ds_read2_b64 v[95:98], v90 offset0:44 offset1:45
	buffer_load_dword v81, off, s[24:27], 0 offset:32 ; 4-byte Folded Reload
	buffer_load_dword v82, off, s[24:27], 0 offset:36 ; 4-byte Folded Reload
	buffer_load_dword v83, off, s[24:27], 0 offset:40 ; 4-byte Folded Reload
	buffer_load_dword v84, off, s[24:27], 0 offset:44 ; 4-byte Folded Reload
	;; [unrolled: 19-line block ×3, first 2 shown]
	s_waitcnt lgkmcnt(0)
	v_mul_f64 v[99:100], v[97:98], v[101:102]
	v_fma_f64 v[99:100], v[95:96], v[93:94], -v[99:100]
	v_mul_f64 v[95:96], v[95:96], v[101:102]
	v_fma_f64 v[95:96], v[97:98], v[93:94], v[95:96]
	s_waitcnt vmcnt(2)
	v_add_f64 v[81:82], v[81:82], -v[99:100]
	s_waitcnt vmcnt(0)
	v_add_f64 v[83:84], v[83:84], -v[95:96]
	buffer_store_dword v81, off, s[24:27], 0 offset:16 ; 4-byte Folded Spill
	s_nop 0
	buffer_store_dword v82, off, s[24:27], 0 offset:20 ; 4-byte Folded Spill
	buffer_store_dword v83, off, s[24:27], 0 offset:24 ; 4-byte Folded Spill
	;; [unrolled: 1-line block ×3, first 2 shown]
	ds_read2_b64 v[95:98], v90 offset0:48 offset1:49
	s_waitcnt lgkmcnt(0)
	v_mul_f64 v[99:100], v[97:98], v[101:102]
	v_fma_f64 v[99:100], v[95:96], v[93:94], -v[99:100]
	v_mul_f64 v[95:96], v[95:96], v[101:102]
	v_add_f64 v[85:86], v[85:86], -v[99:100]
	v_fma_f64 v[95:96], v[97:98], v[93:94], v[95:96]
	v_add_f64 v[87:88], v[87:88], -v[95:96]
	ds_read2_b64 v[95:98], v90 offset0:50 offset1:51
	s_waitcnt lgkmcnt(0)
	v_mul_f64 v[99:100], v[97:98], v[101:102]
	v_fma_f64 v[99:100], v[95:96], v[93:94], -v[99:100]
	v_mul_f64 v[95:96], v[95:96], v[101:102]
	v_add_f64 v[111:112], v[111:112], -v[99:100]
	v_fma_f64 v[95:96], v[97:98], v[93:94], v[95:96]
	v_add_f64 v[113:114], v[113:114], -v[95:96]
	ds_read2_b64 v[95:98], v90 offset0:52 offset1:53
	buffer_load_dword v81, off, s[24:27], 0 ; 4-byte Folded Reload
	buffer_load_dword v82, off, s[24:27], 0 offset:4 ; 4-byte Folded Reload
	buffer_load_dword v83, off, s[24:27], 0 offset:8 ; 4-byte Folded Reload
	;; [unrolled: 1-line block ×3, first 2 shown]
	s_waitcnt lgkmcnt(0)
	v_mul_f64 v[99:100], v[97:98], v[101:102]
	v_fma_f64 v[99:100], v[95:96], v[93:94], -v[99:100]
	v_mul_f64 v[95:96], v[95:96], v[101:102]
	v_fma_f64 v[95:96], v[97:98], v[93:94], v[95:96]
	s_waitcnt vmcnt(2)
	v_add_f64 v[81:82], v[81:82], -v[99:100]
	s_waitcnt vmcnt(0)
	v_add_f64 v[83:84], v[83:84], -v[95:96]
	buffer_store_dword v81, off, s[24:27], 0 ; 4-byte Folded Spill
	s_nop 0
	buffer_store_dword v82, off, s[24:27], 0 offset:4 ; 4-byte Folded Spill
	buffer_store_dword v83, off, s[24:27], 0 offset:8 ; 4-byte Folded Spill
	;; [unrolled: 1-line block ×3, first 2 shown]
	ds_read2_b64 v[95:98], v90 offset0:54 offset1:55
	s_waitcnt lgkmcnt(0)
	v_mul_f64 v[99:100], v[97:98], v[101:102]
	v_fma_f64 v[99:100], v[95:96], v[93:94], -v[99:100]
	v_mul_f64 v[95:96], v[95:96], v[101:102]
	v_add_f64 v[77:78], v[77:78], -v[99:100]
	v_fma_f64 v[95:96], v[97:98], v[93:94], v[95:96]
	v_add_f64 v[79:80], v[79:80], -v[95:96]
	ds_read2_b64 v[95:98], v90 offset0:56 offset1:57
	s_waitcnt lgkmcnt(0)
	v_mul_f64 v[99:100], v[97:98], v[101:102]
	v_fma_f64 v[99:100], v[95:96], v[93:94], -v[99:100]
	v_mul_f64 v[95:96], v[95:96], v[101:102]
	v_add_f64 v[73:74], v[73:74], -v[99:100]
	v_fma_f64 v[95:96], v[97:98], v[93:94], v[95:96]
	v_add_f64 v[75:76], v[75:76], -v[95:96]
	;; [unrolled: 8-line block ×20, first 2 shown]
	ds_read2_b64 v[95:98], v90 offset0:94 offset1:95
	s_waitcnt lgkmcnt(0)
	v_mul_f64 v[99:100], v[97:98], v[101:102]
	v_fma_f64 v[99:100], v[95:96], v[93:94], -v[99:100]
	v_mul_f64 v[95:96], v[95:96], v[101:102]
	v_add_f64 v[121:122], v[121:122], -v[99:100]
	v_fma_f64 v[95:96], v[97:98], v[93:94], v[95:96]
	v_mov_b32_e32 v100, v94
	v_mov_b32_e32 v99, v93
	buffer_store_dword v99, off, s[24:27], 0 offset:80 ; 4-byte Folded Spill
	s_nop 0
	buffer_store_dword v100, off, s[24:27], 0 offset:84 ; 4-byte Folded Spill
	buffer_store_dword v101, off, s[24:27], 0 offset:88 ; 4-byte Folded Spill
	;; [unrolled: 1-line block ×3, first 2 shown]
	v_add_f64 v[123:124], v[123:124], -v[95:96]
.LBB94_419:
	s_or_b64 exec, exec, s[0:1]
	s_waitcnt vmcnt(0)
	s_barrier
	buffer_load_dword v81, off, s[24:27], 0 offset:64 ; 4-byte Folded Reload
	buffer_load_dword v82, off, s[24:27], 0 offset:68 ; 4-byte Folded Reload
	;; [unrolled: 1-line block ×4, first 2 shown]
	v_lshl_add_u32 v93, v92, 4, v90
	s_cmp_lt_i32 s3, 22
	s_waitcnt vmcnt(0)
	ds_write2_b64 v93, v[81:82], v[83:84] offset1:1
	s_waitcnt lgkmcnt(0)
	s_barrier
	ds_read2_b64 v[117:120], v90 offset0:40 offset1:41
	v_mov_b32_e32 v93, 20
	s_cbranch_scc1 .LBB94_422
; %bb.420:
	v_add_u32_e32 v94, 0x150, v90
	s_mov_b32 s0, 21
	v_mov_b32_e32 v93, 20
.LBB94_421:                             ; =>This Inner Loop Header: Depth=1
	s_waitcnt lgkmcnt(0)
	v_cmp_gt_f64_e32 vcc, 0, v[117:118]
	v_xor_b32_e32 v99, 0x80000000, v118
	ds_read2_b64 v[95:98], v94 offset1:1
	v_xor_b32_e32 v101, 0x80000000, v120
	v_add_u32_e32 v94, 16, v94
	s_waitcnt lgkmcnt(0)
	v_xor_b32_e32 v103, 0x80000000, v98
	v_cndmask_b32_e32 v100, v118, v99, vcc
	v_cmp_gt_f64_e32 vcc, 0, v[119:120]
	v_mov_b32_e32 v99, v117
	v_cndmask_b32_e32 v102, v120, v101, vcc
	v_cmp_gt_f64_e32 vcc, 0, v[95:96]
	v_mov_b32_e32 v101, v119
	v_add_f64 v[99:100], v[99:100], v[101:102]
	v_xor_b32_e32 v101, 0x80000000, v96
	v_cndmask_b32_e32 v102, v96, v101, vcc
	v_cmp_gt_f64_e32 vcc, 0, v[97:98]
	v_mov_b32_e32 v101, v95
	v_cndmask_b32_e32 v104, v98, v103, vcc
	v_mov_b32_e32 v103, v97
	v_add_f64 v[101:102], v[101:102], v[103:104]
	v_cmp_lt_f64_e32 vcc, v[99:100], v[101:102]
	v_cndmask_b32_e32 v117, v117, v95, vcc
	v_mov_b32_e32 v95, s0
	s_add_i32 s0, s0, 1
	v_cndmask_b32_e32 v118, v118, v96, vcc
	v_cndmask_b32_e32 v120, v120, v98, vcc
	;; [unrolled: 1-line block ×4, first 2 shown]
	s_cmp_lg_u32 s3, s0
	s_cbranch_scc1 .LBB94_421
.LBB94_422:
	s_waitcnt lgkmcnt(0)
	v_cmp_eq_f64_e32 vcc, 0, v[117:118]
	v_cmp_eq_f64_e64 s[0:1], 0, v[119:120]
	s_and_b64 s[0:1], vcc, s[0:1]
	s_and_saveexec_b64 s[18:19], s[0:1]
	s_xor_b64 s[0:1], exec, s[18:19]
; %bb.423:
	v_cmp_ne_u32_e32 vcc, 0, v91
	v_cndmask_b32_e32 v91, 21, v91, vcc
; %bb.424:
	s_andn2_saveexec_b64 s[0:1], s[0:1]
	s_cbranch_execz .LBB94_430
; %bb.425:
	v_cmp_ngt_f64_e64 s[18:19], |v[117:118]|, |v[119:120]|
	s_and_saveexec_b64 s[20:21], s[18:19]
	s_xor_b64 s[18:19], exec, s[20:21]
	s_cbranch_execz .LBB94_427
; %bb.426:
	v_div_scale_f64 v[94:95], s[20:21], v[119:120], v[119:120], v[117:118]
	v_rcp_f64_e32 v[96:97], v[94:95]
	v_fma_f64 v[98:99], -v[94:95], v[96:97], 1.0
	v_fma_f64 v[96:97], v[96:97], v[98:99], v[96:97]
	v_div_scale_f64 v[98:99], vcc, v[117:118], v[119:120], v[117:118]
	v_fma_f64 v[100:101], -v[94:95], v[96:97], 1.0
	v_fma_f64 v[96:97], v[96:97], v[100:101], v[96:97]
	v_mul_f64 v[100:101], v[98:99], v[96:97]
	v_fma_f64 v[94:95], -v[94:95], v[100:101], v[98:99]
	v_div_fmas_f64 v[94:95], v[94:95], v[96:97], v[100:101]
	v_div_fixup_f64 v[94:95], v[94:95], v[119:120], v[117:118]
	v_fma_f64 v[96:97], v[117:118], v[94:95], v[119:120]
	v_div_scale_f64 v[98:99], s[20:21], v[96:97], v[96:97], 1.0
	v_div_scale_f64 v[104:105], vcc, 1.0, v[96:97], 1.0
	v_rcp_f64_e32 v[100:101], v[98:99]
	v_fma_f64 v[102:103], -v[98:99], v[100:101], 1.0
	v_fma_f64 v[100:101], v[100:101], v[102:103], v[100:101]
	v_fma_f64 v[102:103], -v[98:99], v[100:101], 1.0
	v_fma_f64 v[100:101], v[100:101], v[102:103], v[100:101]
	v_mul_f64 v[102:103], v[104:105], v[100:101]
	v_fma_f64 v[98:99], -v[98:99], v[102:103], v[104:105]
	v_div_fmas_f64 v[98:99], v[98:99], v[100:101], v[102:103]
	v_div_fixup_f64 v[119:120], v[98:99], v[96:97], 1.0
	v_mul_f64 v[117:118], v[94:95], v[119:120]
	v_xor_b32_e32 v120, 0x80000000, v120
.LBB94_427:
	s_andn2_saveexec_b64 s[18:19], s[18:19]
	s_cbranch_execz .LBB94_429
; %bb.428:
	v_div_scale_f64 v[94:95], s[20:21], v[117:118], v[117:118], v[119:120]
	v_rcp_f64_e32 v[96:97], v[94:95]
	v_fma_f64 v[98:99], -v[94:95], v[96:97], 1.0
	v_fma_f64 v[96:97], v[96:97], v[98:99], v[96:97]
	v_div_scale_f64 v[98:99], vcc, v[119:120], v[117:118], v[119:120]
	v_fma_f64 v[100:101], -v[94:95], v[96:97], 1.0
	v_fma_f64 v[96:97], v[96:97], v[100:101], v[96:97]
	v_mul_f64 v[100:101], v[98:99], v[96:97]
	v_fma_f64 v[94:95], -v[94:95], v[100:101], v[98:99]
	v_div_fmas_f64 v[94:95], v[94:95], v[96:97], v[100:101]
	v_div_fixup_f64 v[94:95], v[94:95], v[117:118], v[119:120]
	v_fma_f64 v[96:97], v[119:120], v[94:95], v[117:118]
	v_div_scale_f64 v[98:99], s[20:21], v[96:97], v[96:97], 1.0
	v_div_scale_f64 v[104:105], vcc, 1.0, v[96:97], 1.0
	v_rcp_f64_e32 v[100:101], v[98:99]
	v_fma_f64 v[102:103], -v[98:99], v[100:101], 1.0
	v_fma_f64 v[100:101], v[100:101], v[102:103], v[100:101]
	v_fma_f64 v[102:103], -v[98:99], v[100:101], 1.0
	v_fma_f64 v[100:101], v[100:101], v[102:103], v[100:101]
	v_mul_f64 v[102:103], v[104:105], v[100:101]
	v_fma_f64 v[98:99], -v[98:99], v[102:103], v[104:105]
	v_div_fmas_f64 v[98:99], v[98:99], v[100:101], v[102:103]
	v_div_fixup_f64 v[117:118], v[98:99], v[96:97], 1.0
	v_mul_f64 v[119:120], v[94:95], -v[117:118]
.LBB94_429:
	s_or_b64 exec, exec, s[18:19]
.LBB94_430:
	s_or_b64 exec, exec, s[0:1]
	v_cmp_ne_u32_e32 vcc, v92, v93
	s_and_saveexec_b64 s[0:1], vcc
	s_xor_b64 s[0:1], exec, s[0:1]
	s_cbranch_execz .LBB94_436
; %bb.431:
	v_cmp_eq_u32_e32 vcc, 20, v92
	s_and_saveexec_b64 s[18:19], vcc
	s_cbranch_execz .LBB94_435
; %bb.432:
	v_cmp_ne_u32_e32 vcc, 20, v93
	s_xor_b64 s[20:21], s[6:7], -1
	s_and_b64 s[22:23], s[20:21], vcc
	s_and_saveexec_b64 s[20:21], s[22:23]
	s_cbranch_execz .LBB94_434
; %bb.433:
	v_mov_b32_e32 v81, v85
	v_mov_b32_e32 v82, v86
	v_mov_b32_e32 v83, v87
	v_mov_b32_e32 v84, v88
	buffer_load_dword v85, off, s[24:27], 0 offset:352 ; 4-byte Folded Reload
	buffer_load_dword v86, off, s[24:27], 0 offset:356 ; 4-byte Folded Reload
	v_ashrrev_i32_e32 v94, 31, v93
	v_lshlrev_b64 v[94:95], 2, v[93:94]
	s_waitcnt vmcnt(1)
	v_add_co_u32_e32 v94, vcc, v85, v94
	s_waitcnt vmcnt(0)
	v_addc_co_u32_e32 v95, vcc, v86, v95, vcc
	global_load_dword v0, v[94:95], off
	global_load_dword v92, v[85:86], off offset:80
	s_waitcnt vmcnt(1)
	global_store_dword v[85:86], v0, off offset:80
	v_mov_b32_e32 v88, v84
	v_mov_b32_e32 v87, v83
	;; [unrolled: 1-line block ×4, first 2 shown]
	s_waitcnt vmcnt(1)
	global_store_dword v[94:95], v92, off
.LBB94_434:
	s_or_b64 exec, exec, s[20:21]
	v_mov_b32_e32 v92, v93
	v_mov_b32_e32 v0, v93
.LBB94_435:
	s_or_b64 exec, exec, s[18:19]
.LBB94_436:
	s_andn2_saveexec_b64 s[0:1], s[0:1]
	s_cbranch_execz .LBB94_438
; %bb.437:
	buffer_load_dword v81, off, s[24:27], 0 offset:48 ; 4-byte Folded Reload
	buffer_load_dword v82, off, s[24:27], 0 offset:52 ; 4-byte Folded Reload
	;; [unrolled: 1-line block ×4, first 2 shown]
	v_mov_b32_e32 v92, 20
	s_waitcnt vmcnt(0)
	ds_write2_b64 v90, v[81:82], v[83:84] offset0:42 offset1:43
	buffer_load_dword v81, off, s[24:27], 0 offset:32 ; 4-byte Folded Reload
	buffer_load_dword v82, off, s[24:27], 0 offset:36 ; 4-byte Folded Reload
	;; [unrolled: 1-line block ×4, first 2 shown]
	s_waitcnt vmcnt(0)
	ds_write2_b64 v90, v[81:82], v[83:84] offset0:44 offset1:45
	buffer_load_dword v81, off, s[24:27], 0 offset:16 ; 4-byte Folded Reload
	buffer_load_dword v82, off, s[24:27], 0 offset:20 ; 4-byte Folded Reload
	;; [unrolled: 1-line block ×4, first 2 shown]
	s_waitcnt vmcnt(0)
	ds_write2_b64 v90, v[81:82], v[83:84] offset0:46 offset1:47
	ds_write2_b64 v90, v[85:86], v[87:88] offset0:48 offset1:49
	ds_write2_b64 v90, v[111:112], v[113:114] offset0:50 offset1:51
	buffer_load_dword v81, off, s[24:27], 0 ; 4-byte Folded Reload
	buffer_load_dword v82, off, s[24:27], 0 offset:4 ; 4-byte Folded Reload
	buffer_load_dword v83, off, s[24:27], 0 offset:8 ; 4-byte Folded Reload
	;; [unrolled: 1-line block ×3, first 2 shown]
	s_waitcnt vmcnt(0)
	ds_write2_b64 v90, v[81:82], v[83:84] offset0:52 offset1:53
	ds_write2_b64 v90, v[77:78], v[79:80] offset0:54 offset1:55
	;; [unrolled: 1-line block ×22, first 2 shown]
.LBB94_438:
	s_or_b64 exec, exec, s[0:1]
	v_cmp_lt_i32_e32 vcc, 20, v92
	s_waitcnt vmcnt(0) lgkmcnt(0)
	s_barrier
	s_and_saveexec_b64 s[0:1], vcc
	s_cbranch_execz .LBB94_440
; %bb.439:
	buffer_load_dword v99, off, s[24:27], 0 offset:64 ; 4-byte Folded Reload
	buffer_load_dword v100, off, s[24:27], 0 offset:68 ; 4-byte Folded Reload
	;; [unrolled: 1-line block ×4, first 2 shown]
	s_waitcnt vmcnt(0)
	v_mul_f64 v[95:96], v[117:118], v[101:102]
	v_mul_f64 v[93:94], v[119:120], v[101:102]
	v_fma_f64 v[101:102], v[119:120], v[99:100], v[95:96]
	ds_read2_b64 v[95:98], v90 offset0:42 offset1:43
	buffer_load_dword v81, off, s[24:27], 0 offset:48 ; 4-byte Folded Reload
	buffer_load_dword v82, off, s[24:27], 0 offset:52 ; 4-byte Folded Reload
	;; [unrolled: 1-line block ×4, first 2 shown]
	v_fma_f64 v[93:94], v[117:118], v[99:100], -v[93:94]
	s_waitcnt lgkmcnt(0)
	v_mul_f64 v[99:100], v[97:98], v[101:102]
	v_fma_f64 v[99:100], v[95:96], v[93:94], -v[99:100]
	v_mul_f64 v[95:96], v[95:96], v[101:102]
	v_fma_f64 v[95:96], v[97:98], v[93:94], v[95:96]
	s_waitcnt vmcnt(2)
	v_add_f64 v[81:82], v[81:82], -v[99:100]
	s_waitcnt vmcnt(0)
	v_add_f64 v[83:84], v[83:84], -v[95:96]
	buffer_store_dword v81, off, s[24:27], 0 offset:48 ; 4-byte Folded Spill
	s_nop 0
	buffer_store_dword v82, off, s[24:27], 0 offset:52 ; 4-byte Folded Spill
	buffer_store_dword v83, off, s[24:27], 0 offset:56 ; 4-byte Folded Spill
	;; [unrolled: 1-line block ×3, first 2 shown]
	ds_read2_b64 v[95:98], v90 offset0:44 offset1:45
	buffer_load_dword v81, off, s[24:27], 0 offset:32 ; 4-byte Folded Reload
	buffer_load_dword v82, off, s[24:27], 0 offset:36 ; 4-byte Folded Reload
	;; [unrolled: 1-line block ×4, first 2 shown]
	s_waitcnt lgkmcnt(0)
	v_mul_f64 v[99:100], v[97:98], v[101:102]
	v_fma_f64 v[99:100], v[95:96], v[93:94], -v[99:100]
	v_mul_f64 v[95:96], v[95:96], v[101:102]
	v_fma_f64 v[95:96], v[97:98], v[93:94], v[95:96]
	s_waitcnt vmcnt(2)
	v_add_f64 v[81:82], v[81:82], -v[99:100]
	s_waitcnt vmcnt(0)
	v_add_f64 v[83:84], v[83:84], -v[95:96]
	buffer_store_dword v81, off, s[24:27], 0 offset:32 ; 4-byte Folded Spill
	s_nop 0
	buffer_store_dword v82, off, s[24:27], 0 offset:36 ; 4-byte Folded Spill
	buffer_store_dword v83, off, s[24:27], 0 offset:40 ; 4-byte Folded Spill
	;; [unrolled: 1-line block ×3, first 2 shown]
	ds_read2_b64 v[95:98], v90 offset0:46 offset1:47
	buffer_load_dword v81, off, s[24:27], 0 offset:16 ; 4-byte Folded Reload
	buffer_load_dword v82, off, s[24:27], 0 offset:20 ; 4-byte Folded Reload
	;; [unrolled: 1-line block ×4, first 2 shown]
	s_waitcnt lgkmcnt(0)
	v_mul_f64 v[99:100], v[97:98], v[101:102]
	v_fma_f64 v[99:100], v[95:96], v[93:94], -v[99:100]
	v_mul_f64 v[95:96], v[95:96], v[101:102]
	v_fma_f64 v[95:96], v[97:98], v[93:94], v[95:96]
	s_waitcnt vmcnt(2)
	v_add_f64 v[81:82], v[81:82], -v[99:100]
	s_waitcnt vmcnt(0)
	v_add_f64 v[83:84], v[83:84], -v[95:96]
	buffer_store_dword v81, off, s[24:27], 0 offset:16 ; 4-byte Folded Spill
	s_nop 0
	buffer_store_dword v82, off, s[24:27], 0 offset:20 ; 4-byte Folded Spill
	buffer_store_dword v83, off, s[24:27], 0 offset:24 ; 4-byte Folded Spill
	;; [unrolled: 1-line block ×3, first 2 shown]
	ds_read2_b64 v[95:98], v90 offset0:48 offset1:49
	s_waitcnt lgkmcnt(0)
	v_mul_f64 v[99:100], v[97:98], v[101:102]
	v_fma_f64 v[99:100], v[95:96], v[93:94], -v[99:100]
	v_mul_f64 v[95:96], v[95:96], v[101:102]
	v_add_f64 v[85:86], v[85:86], -v[99:100]
	v_fma_f64 v[95:96], v[97:98], v[93:94], v[95:96]
	v_add_f64 v[87:88], v[87:88], -v[95:96]
	ds_read2_b64 v[95:98], v90 offset0:50 offset1:51
	s_waitcnt lgkmcnt(0)
	v_mul_f64 v[99:100], v[97:98], v[101:102]
	v_fma_f64 v[99:100], v[95:96], v[93:94], -v[99:100]
	v_mul_f64 v[95:96], v[95:96], v[101:102]
	v_add_f64 v[111:112], v[111:112], -v[99:100]
	v_fma_f64 v[95:96], v[97:98], v[93:94], v[95:96]
	v_add_f64 v[113:114], v[113:114], -v[95:96]
	ds_read2_b64 v[95:98], v90 offset0:52 offset1:53
	buffer_load_dword v81, off, s[24:27], 0 ; 4-byte Folded Reload
	buffer_load_dword v82, off, s[24:27], 0 offset:4 ; 4-byte Folded Reload
	buffer_load_dword v83, off, s[24:27], 0 offset:8 ; 4-byte Folded Reload
	buffer_load_dword v84, off, s[24:27], 0 offset:12 ; 4-byte Folded Reload
	s_waitcnt lgkmcnt(0)
	v_mul_f64 v[99:100], v[97:98], v[101:102]
	v_fma_f64 v[99:100], v[95:96], v[93:94], -v[99:100]
	v_mul_f64 v[95:96], v[95:96], v[101:102]
	v_fma_f64 v[95:96], v[97:98], v[93:94], v[95:96]
	s_waitcnt vmcnt(2)
	v_add_f64 v[81:82], v[81:82], -v[99:100]
	s_waitcnt vmcnt(0)
	v_add_f64 v[83:84], v[83:84], -v[95:96]
	buffer_store_dword v81, off, s[24:27], 0 ; 4-byte Folded Spill
	s_nop 0
	buffer_store_dword v82, off, s[24:27], 0 offset:4 ; 4-byte Folded Spill
	buffer_store_dword v83, off, s[24:27], 0 offset:8 ; 4-byte Folded Spill
	;; [unrolled: 1-line block ×3, first 2 shown]
	ds_read2_b64 v[95:98], v90 offset0:54 offset1:55
	s_waitcnt lgkmcnt(0)
	v_mul_f64 v[99:100], v[97:98], v[101:102]
	v_fma_f64 v[99:100], v[95:96], v[93:94], -v[99:100]
	v_mul_f64 v[95:96], v[95:96], v[101:102]
	v_add_f64 v[77:78], v[77:78], -v[99:100]
	v_fma_f64 v[95:96], v[97:98], v[93:94], v[95:96]
	v_add_f64 v[79:80], v[79:80], -v[95:96]
	ds_read2_b64 v[95:98], v90 offset0:56 offset1:57
	s_waitcnt lgkmcnt(0)
	v_mul_f64 v[99:100], v[97:98], v[101:102]
	v_fma_f64 v[99:100], v[95:96], v[93:94], -v[99:100]
	v_mul_f64 v[95:96], v[95:96], v[101:102]
	v_add_f64 v[73:74], v[73:74], -v[99:100]
	v_fma_f64 v[95:96], v[97:98], v[93:94], v[95:96]
	v_add_f64 v[75:76], v[75:76], -v[95:96]
	;; [unrolled: 8-line block ×20, first 2 shown]
	ds_read2_b64 v[95:98], v90 offset0:94 offset1:95
	s_waitcnt lgkmcnt(0)
	v_mul_f64 v[99:100], v[97:98], v[101:102]
	v_fma_f64 v[99:100], v[95:96], v[93:94], -v[99:100]
	v_mul_f64 v[95:96], v[95:96], v[101:102]
	v_add_f64 v[121:122], v[121:122], -v[99:100]
	v_fma_f64 v[95:96], v[97:98], v[93:94], v[95:96]
	v_mov_b32_e32 v100, v94
	v_mov_b32_e32 v99, v93
	buffer_store_dword v99, off, s[24:27], 0 offset:64 ; 4-byte Folded Spill
	s_nop 0
	buffer_store_dword v100, off, s[24:27], 0 offset:68 ; 4-byte Folded Spill
	buffer_store_dword v101, off, s[24:27], 0 offset:72 ; 4-byte Folded Spill
	;; [unrolled: 1-line block ×3, first 2 shown]
	v_add_f64 v[123:124], v[123:124], -v[95:96]
.LBB94_440:
	s_or_b64 exec, exec, s[0:1]
	s_waitcnt vmcnt(0)
	s_barrier
	buffer_load_dword v81, off, s[24:27], 0 offset:48 ; 4-byte Folded Reload
	buffer_load_dword v82, off, s[24:27], 0 offset:52 ; 4-byte Folded Reload
	;; [unrolled: 1-line block ×4, first 2 shown]
	v_lshl_add_u32 v93, v92, 4, v90
	s_cmp_lt_i32 s3, 23
	s_waitcnt vmcnt(0)
	ds_write2_b64 v93, v[81:82], v[83:84] offset1:1
	s_waitcnt lgkmcnt(0)
	s_barrier
	ds_read2_b64 v[117:120], v90 offset0:42 offset1:43
	v_mov_b32_e32 v93, 21
	s_cbranch_scc1 .LBB94_443
; %bb.441:
	v_add_u32_e32 v94, 0x160, v90
	s_mov_b32 s0, 22
	v_mov_b32_e32 v93, 21
.LBB94_442:                             ; =>This Inner Loop Header: Depth=1
	s_waitcnt lgkmcnt(0)
	v_cmp_gt_f64_e32 vcc, 0, v[117:118]
	v_xor_b32_e32 v99, 0x80000000, v118
	ds_read2_b64 v[95:98], v94 offset1:1
	v_xor_b32_e32 v101, 0x80000000, v120
	v_add_u32_e32 v94, 16, v94
	s_waitcnt lgkmcnt(0)
	v_xor_b32_e32 v103, 0x80000000, v98
	v_cndmask_b32_e32 v100, v118, v99, vcc
	v_cmp_gt_f64_e32 vcc, 0, v[119:120]
	v_mov_b32_e32 v99, v117
	v_cndmask_b32_e32 v102, v120, v101, vcc
	v_cmp_gt_f64_e32 vcc, 0, v[95:96]
	v_mov_b32_e32 v101, v119
	v_add_f64 v[99:100], v[99:100], v[101:102]
	v_xor_b32_e32 v101, 0x80000000, v96
	v_cndmask_b32_e32 v102, v96, v101, vcc
	v_cmp_gt_f64_e32 vcc, 0, v[97:98]
	v_mov_b32_e32 v101, v95
	v_cndmask_b32_e32 v104, v98, v103, vcc
	v_mov_b32_e32 v103, v97
	v_add_f64 v[101:102], v[101:102], v[103:104]
	v_cmp_lt_f64_e32 vcc, v[99:100], v[101:102]
	v_cndmask_b32_e32 v117, v117, v95, vcc
	v_mov_b32_e32 v95, s0
	s_add_i32 s0, s0, 1
	v_cndmask_b32_e32 v118, v118, v96, vcc
	v_cndmask_b32_e32 v120, v120, v98, vcc
	;; [unrolled: 1-line block ×4, first 2 shown]
	s_cmp_lg_u32 s3, s0
	s_cbranch_scc1 .LBB94_442
.LBB94_443:
	s_waitcnt lgkmcnt(0)
	v_cmp_eq_f64_e32 vcc, 0, v[117:118]
	v_cmp_eq_f64_e64 s[0:1], 0, v[119:120]
	s_and_b64 s[0:1], vcc, s[0:1]
	s_and_saveexec_b64 s[18:19], s[0:1]
	s_xor_b64 s[0:1], exec, s[18:19]
; %bb.444:
	v_cmp_ne_u32_e32 vcc, 0, v91
	v_cndmask_b32_e32 v91, 22, v91, vcc
; %bb.445:
	s_andn2_saveexec_b64 s[0:1], s[0:1]
	s_cbranch_execz .LBB94_451
; %bb.446:
	v_cmp_ngt_f64_e64 s[18:19], |v[117:118]|, |v[119:120]|
	s_and_saveexec_b64 s[20:21], s[18:19]
	s_xor_b64 s[18:19], exec, s[20:21]
	s_cbranch_execz .LBB94_448
; %bb.447:
	v_div_scale_f64 v[94:95], s[20:21], v[119:120], v[119:120], v[117:118]
	v_rcp_f64_e32 v[96:97], v[94:95]
	v_fma_f64 v[98:99], -v[94:95], v[96:97], 1.0
	v_fma_f64 v[96:97], v[96:97], v[98:99], v[96:97]
	v_div_scale_f64 v[98:99], vcc, v[117:118], v[119:120], v[117:118]
	v_fma_f64 v[100:101], -v[94:95], v[96:97], 1.0
	v_fma_f64 v[96:97], v[96:97], v[100:101], v[96:97]
	v_mul_f64 v[100:101], v[98:99], v[96:97]
	v_fma_f64 v[94:95], -v[94:95], v[100:101], v[98:99]
	v_div_fmas_f64 v[94:95], v[94:95], v[96:97], v[100:101]
	v_div_fixup_f64 v[94:95], v[94:95], v[119:120], v[117:118]
	v_fma_f64 v[96:97], v[117:118], v[94:95], v[119:120]
	v_div_scale_f64 v[98:99], s[20:21], v[96:97], v[96:97], 1.0
	v_div_scale_f64 v[104:105], vcc, 1.0, v[96:97], 1.0
	v_rcp_f64_e32 v[100:101], v[98:99]
	v_fma_f64 v[102:103], -v[98:99], v[100:101], 1.0
	v_fma_f64 v[100:101], v[100:101], v[102:103], v[100:101]
	v_fma_f64 v[102:103], -v[98:99], v[100:101], 1.0
	v_fma_f64 v[100:101], v[100:101], v[102:103], v[100:101]
	v_mul_f64 v[102:103], v[104:105], v[100:101]
	v_fma_f64 v[98:99], -v[98:99], v[102:103], v[104:105]
	v_div_fmas_f64 v[98:99], v[98:99], v[100:101], v[102:103]
	v_div_fixup_f64 v[119:120], v[98:99], v[96:97], 1.0
	v_mul_f64 v[117:118], v[94:95], v[119:120]
	v_xor_b32_e32 v120, 0x80000000, v120
.LBB94_448:
	s_andn2_saveexec_b64 s[18:19], s[18:19]
	s_cbranch_execz .LBB94_450
; %bb.449:
	v_div_scale_f64 v[94:95], s[20:21], v[117:118], v[117:118], v[119:120]
	v_rcp_f64_e32 v[96:97], v[94:95]
	v_fma_f64 v[98:99], -v[94:95], v[96:97], 1.0
	v_fma_f64 v[96:97], v[96:97], v[98:99], v[96:97]
	v_div_scale_f64 v[98:99], vcc, v[119:120], v[117:118], v[119:120]
	v_fma_f64 v[100:101], -v[94:95], v[96:97], 1.0
	v_fma_f64 v[96:97], v[96:97], v[100:101], v[96:97]
	v_mul_f64 v[100:101], v[98:99], v[96:97]
	v_fma_f64 v[94:95], -v[94:95], v[100:101], v[98:99]
	v_div_fmas_f64 v[94:95], v[94:95], v[96:97], v[100:101]
	v_div_fixup_f64 v[94:95], v[94:95], v[117:118], v[119:120]
	v_fma_f64 v[96:97], v[119:120], v[94:95], v[117:118]
	v_div_scale_f64 v[98:99], s[20:21], v[96:97], v[96:97], 1.0
	v_div_scale_f64 v[104:105], vcc, 1.0, v[96:97], 1.0
	v_rcp_f64_e32 v[100:101], v[98:99]
	v_fma_f64 v[102:103], -v[98:99], v[100:101], 1.0
	v_fma_f64 v[100:101], v[100:101], v[102:103], v[100:101]
	v_fma_f64 v[102:103], -v[98:99], v[100:101], 1.0
	v_fma_f64 v[100:101], v[100:101], v[102:103], v[100:101]
	v_mul_f64 v[102:103], v[104:105], v[100:101]
	v_fma_f64 v[98:99], -v[98:99], v[102:103], v[104:105]
	v_div_fmas_f64 v[98:99], v[98:99], v[100:101], v[102:103]
	v_div_fixup_f64 v[117:118], v[98:99], v[96:97], 1.0
	v_mul_f64 v[119:120], v[94:95], -v[117:118]
.LBB94_450:
	s_or_b64 exec, exec, s[18:19]
.LBB94_451:
	s_or_b64 exec, exec, s[0:1]
	v_cmp_ne_u32_e32 vcc, v92, v93
	s_and_saveexec_b64 s[0:1], vcc
	s_xor_b64 s[0:1], exec, s[0:1]
	s_cbranch_execz .LBB94_457
; %bb.452:
	v_cmp_eq_u32_e32 vcc, 21, v92
	s_and_saveexec_b64 s[18:19], vcc
	s_cbranch_execz .LBB94_456
; %bb.453:
	v_cmp_ne_u32_e32 vcc, 21, v93
	s_xor_b64 s[20:21], s[6:7], -1
	s_and_b64 s[22:23], s[20:21], vcc
	s_and_saveexec_b64 s[20:21], s[22:23]
	s_cbranch_execz .LBB94_455
; %bb.454:
	v_mov_b32_e32 v81, v85
	v_mov_b32_e32 v82, v86
	;; [unrolled: 1-line block ×4, first 2 shown]
	buffer_load_dword v85, off, s[24:27], 0 offset:352 ; 4-byte Folded Reload
	buffer_load_dword v86, off, s[24:27], 0 offset:356 ; 4-byte Folded Reload
	v_ashrrev_i32_e32 v94, 31, v93
	v_lshlrev_b64 v[94:95], 2, v[93:94]
	s_waitcnt vmcnt(1)
	v_add_co_u32_e32 v94, vcc, v85, v94
	s_waitcnt vmcnt(0)
	v_addc_co_u32_e32 v95, vcc, v86, v95, vcc
	global_load_dword v0, v[94:95], off
	global_load_dword v92, v[85:86], off offset:84
	s_waitcnt vmcnt(1)
	global_store_dword v[85:86], v0, off offset:84
	v_mov_b32_e32 v88, v84
	v_mov_b32_e32 v87, v83
	;; [unrolled: 1-line block ×4, first 2 shown]
	s_waitcnt vmcnt(1)
	global_store_dword v[94:95], v92, off
.LBB94_455:
	s_or_b64 exec, exec, s[20:21]
	v_mov_b32_e32 v92, v93
	v_mov_b32_e32 v0, v93
.LBB94_456:
	s_or_b64 exec, exec, s[18:19]
.LBB94_457:
	s_andn2_saveexec_b64 s[0:1], s[0:1]
	s_cbranch_execz .LBB94_459
; %bb.458:
	buffer_load_dword v81, off, s[24:27], 0 offset:32 ; 4-byte Folded Reload
	buffer_load_dword v82, off, s[24:27], 0 offset:36 ; 4-byte Folded Reload
	buffer_load_dword v83, off, s[24:27], 0 offset:40 ; 4-byte Folded Reload
	buffer_load_dword v84, off, s[24:27], 0 offset:44 ; 4-byte Folded Reload
	v_mov_b32_e32 v92, 21
	s_waitcnt vmcnt(0)
	ds_write2_b64 v90, v[81:82], v[83:84] offset0:44 offset1:45
	buffer_load_dword v81, off, s[24:27], 0 offset:16 ; 4-byte Folded Reload
	buffer_load_dword v82, off, s[24:27], 0 offset:20 ; 4-byte Folded Reload
	;; [unrolled: 1-line block ×4, first 2 shown]
	s_waitcnt vmcnt(0)
	ds_write2_b64 v90, v[81:82], v[83:84] offset0:46 offset1:47
	ds_write2_b64 v90, v[85:86], v[87:88] offset0:48 offset1:49
	;; [unrolled: 1-line block ×3, first 2 shown]
	buffer_load_dword v81, off, s[24:27], 0 ; 4-byte Folded Reload
	buffer_load_dword v82, off, s[24:27], 0 offset:4 ; 4-byte Folded Reload
	buffer_load_dword v83, off, s[24:27], 0 offset:8 ; 4-byte Folded Reload
	;; [unrolled: 1-line block ×3, first 2 shown]
	s_waitcnt vmcnt(0)
	ds_write2_b64 v90, v[81:82], v[83:84] offset0:52 offset1:53
	ds_write2_b64 v90, v[77:78], v[79:80] offset0:54 offset1:55
	;; [unrolled: 1-line block ×22, first 2 shown]
.LBB94_459:
	s_or_b64 exec, exec, s[0:1]
	v_cmp_lt_i32_e32 vcc, 21, v92
	s_waitcnt vmcnt(0) lgkmcnt(0)
	s_barrier
	s_and_saveexec_b64 s[0:1], vcc
	s_cbranch_execz .LBB94_461
; %bb.460:
	buffer_load_dword v99, off, s[24:27], 0 offset:48 ; 4-byte Folded Reload
	buffer_load_dword v100, off, s[24:27], 0 offset:52 ; 4-byte Folded Reload
	;; [unrolled: 1-line block ×4, first 2 shown]
	s_waitcnt vmcnt(0)
	v_mul_f64 v[95:96], v[117:118], v[101:102]
	v_mul_f64 v[93:94], v[119:120], v[101:102]
	v_fma_f64 v[101:102], v[119:120], v[99:100], v[95:96]
	ds_read2_b64 v[95:98], v90 offset0:44 offset1:45
	buffer_load_dword v81, off, s[24:27], 0 offset:32 ; 4-byte Folded Reload
	buffer_load_dword v82, off, s[24:27], 0 offset:36 ; 4-byte Folded Reload
	;; [unrolled: 1-line block ×4, first 2 shown]
	v_fma_f64 v[93:94], v[117:118], v[99:100], -v[93:94]
	s_waitcnt lgkmcnt(0)
	v_mul_f64 v[99:100], v[97:98], v[101:102]
	v_fma_f64 v[99:100], v[95:96], v[93:94], -v[99:100]
	v_mul_f64 v[95:96], v[95:96], v[101:102]
	v_fma_f64 v[95:96], v[97:98], v[93:94], v[95:96]
	s_waitcnt vmcnt(2)
	v_add_f64 v[81:82], v[81:82], -v[99:100]
	s_waitcnt vmcnt(0)
	v_add_f64 v[83:84], v[83:84], -v[95:96]
	buffer_store_dword v81, off, s[24:27], 0 offset:32 ; 4-byte Folded Spill
	s_nop 0
	buffer_store_dword v82, off, s[24:27], 0 offset:36 ; 4-byte Folded Spill
	buffer_store_dword v83, off, s[24:27], 0 offset:40 ; 4-byte Folded Spill
	;; [unrolled: 1-line block ×3, first 2 shown]
	ds_read2_b64 v[95:98], v90 offset0:46 offset1:47
	buffer_load_dword v81, off, s[24:27], 0 offset:16 ; 4-byte Folded Reload
	buffer_load_dword v82, off, s[24:27], 0 offset:20 ; 4-byte Folded Reload
	;; [unrolled: 1-line block ×4, first 2 shown]
	s_waitcnt lgkmcnt(0)
	v_mul_f64 v[99:100], v[97:98], v[101:102]
	v_fma_f64 v[99:100], v[95:96], v[93:94], -v[99:100]
	v_mul_f64 v[95:96], v[95:96], v[101:102]
	v_fma_f64 v[95:96], v[97:98], v[93:94], v[95:96]
	s_waitcnt vmcnt(2)
	v_add_f64 v[81:82], v[81:82], -v[99:100]
	s_waitcnt vmcnt(0)
	v_add_f64 v[83:84], v[83:84], -v[95:96]
	buffer_store_dword v81, off, s[24:27], 0 offset:16 ; 4-byte Folded Spill
	s_nop 0
	buffer_store_dword v82, off, s[24:27], 0 offset:20 ; 4-byte Folded Spill
	buffer_store_dword v83, off, s[24:27], 0 offset:24 ; 4-byte Folded Spill
	buffer_store_dword v84, off, s[24:27], 0 offset:28 ; 4-byte Folded Spill
	ds_read2_b64 v[95:98], v90 offset0:48 offset1:49
	s_waitcnt lgkmcnt(0)
	v_mul_f64 v[99:100], v[97:98], v[101:102]
	v_fma_f64 v[99:100], v[95:96], v[93:94], -v[99:100]
	v_mul_f64 v[95:96], v[95:96], v[101:102]
	v_add_f64 v[85:86], v[85:86], -v[99:100]
	v_fma_f64 v[95:96], v[97:98], v[93:94], v[95:96]
	v_add_f64 v[87:88], v[87:88], -v[95:96]
	ds_read2_b64 v[95:98], v90 offset0:50 offset1:51
	s_waitcnt lgkmcnt(0)
	v_mul_f64 v[99:100], v[97:98], v[101:102]
	v_fma_f64 v[99:100], v[95:96], v[93:94], -v[99:100]
	v_mul_f64 v[95:96], v[95:96], v[101:102]
	v_add_f64 v[111:112], v[111:112], -v[99:100]
	v_fma_f64 v[95:96], v[97:98], v[93:94], v[95:96]
	v_add_f64 v[113:114], v[113:114], -v[95:96]
	ds_read2_b64 v[95:98], v90 offset0:52 offset1:53
	buffer_load_dword v81, off, s[24:27], 0 ; 4-byte Folded Reload
	buffer_load_dword v82, off, s[24:27], 0 offset:4 ; 4-byte Folded Reload
	buffer_load_dword v83, off, s[24:27], 0 offset:8 ; 4-byte Folded Reload
	;; [unrolled: 1-line block ×3, first 2 shown]
	s_waitcnt lgkmcnt(0)
	v_mul_f64 v[99:100], v[97:98], v[101:102]
	v_fma_f64 v[99:100], v[95:96], v[93:94], -v[99:100]
	v_mul_f64 v[95:96], v[95:96], v[101:102]
	v_fma_f64 v[95:96], v[97:98], v[93:94], v[95:96]
	s_waitcnt vmcnt(2)
	v_add_f64 v[81:82], v[81:82], -v[99:100]
	s_waitcnt vmcnt(0)
	v_add_f64 v[83:84], v[83:84], -v[95:96]
	buffer_store_dword v81, off, s[24:27], 0 ; 4-byte Folded Spill
	s_nop 0
	buffer_store_dword v82, off, s[24:27], 0 offset:4 ; 4-byte Folded Spill
	buffer_store_dword v83, off, s[24:27], 0 offset:8 ; 4-byte Folded Spill
	;; [unrolled: 1-line block ×3, first 2 shown]
	ds_read2_b64 v[95:98], v90 offset0:54 offset1:55
	s_waitcnt lgkmcnt(0)
	v_mul_f64 v[99:100], v[97:98], v[101:102]
	v_fma_f64 v[99:100], v[95:96], v[93:94], -v[99:100]
	v_mul_f64 v[95:96], v[95:96], v[101:102]
	v_add_f64 v[77:78], v[77:78], -v[99:100]
	v_fma_f64 v[95:96], v[97:98], v[93:94], v[95:96]
	v_add_f64 v[79:80], v[79:80], -v[95:96]
	ds_read2_b64 v[95:98], v90 offset0:56 offset1:57
	s_waitcnt lgkmcnt(0)
	v_mul_f64 v[99:100], v[97:98], v[101:102]
	v_fma_f64 v[99:100], v[95:96], v[93:94], -v[99:100]
	v_mul_f64 v[95:96], v[95:96], v[101:102]
	v_add_f64 v[73:74], v[73:74], -v[99:100]
	v_fma_f64 v[95:96], v[97:98], v[93:94], v[95:96]
	v_add_f64 v[75:76], v[75:76], -v[95:96]
	;; [unrolled: 8-line block ×20, first 2 shown]
	ds_read2_b64 v[95:98], v90 offset0:94 offset1:95
	s_waitcnt lgkmcnt(0)
	v_mul_f64 v[99:100], v[97:98], v[101:102]
	v_fma_f64 v[99:100], v[95:96], v[93:94], -v[99:100]
	v_mul_f64 v[95:96], v[95:96], v[101:102]
	v_add_f64 v[121:122], v[121:122], -v[99:100]
	v_fma_f64 v[95:96], v[97:98], v[93:94], v[95:96]
	v_mov_b32_e32 v100, v94
	v_mov_b32_e32 v99, v93
	buffer_store_dword v99, off, s[24:27], 0 offset:48 ; 4-byte Folded Spill
	s_nop 0
	buffer_store_dword v100, off, s[24:27], 0 offset:52 ; 4-byte Folded Spill
	buffer_store_dword v101, off, s[24:27], 0 offset:56 ; 4-byte Folded Spill
	;; [unrolled: 1-line block ×3, first 2 shown]
	v_add_f64 v[123:124], v[123:124], -v[95:96]
.LBB94_461:
	s_or_b64 exec, exec, s[0:1]
	s_waitcnt vmcnt(0)
	s_barrier
	buffer_load_dword v81, off, s[24:27], 0 offset:32 ; 4-byte Folded Reload
	buffer_load_dword v82, off, s[24:27], 0 offset:36 ; 4-byte Folded Reload
	;; [unrolled: 1-line block ×4, first 2 shown]
	v_lshl_add_u32 v93, v92, 4, v90
	s_cmp_lt_i32 s3, 24
	s_waitcnt vmcnt(0)
	ds_write2_b64 v93, v[81:82], v[83:84] offset1:1
	s_waitcnt lgkmcnt(0)
	s_barrier
	ds_read2_b64 v[117:120], v90 offset0:44 offset1:45
	v_mov_b32_e32 v93, 22
	s_cbranch_scc1 .LBB94_464
; %bb.462:
	v_add_u32_e32 v94, 0x170, v90
	s_mov_b32 s0, 23
	v_mov_b32_e32 v93, 22
.LBB94_463:                             ; =>This Inner Loop Header: Depth=1
	s_waitcnt lgkmcnt(0)
	v_cmp_gt_f64_e32 vcc, 0, v[117:118]
	v_xor_b32_e32 v99, 0x80000000, v118
	ds_read2_b64 v[95:98], v94 offset1:1
	v_xor_b32_e32 v101, 0x80000000, v120
	v_add_u32_e32 v94, 16, v94
	s_waitcnt lgkmcnt(0)
	v_xor_b32_e32 v103, 0x80000000, v98
	v_cndmask_b32_e32 v100, v118, v99, vcc
	v_cmp_gt_f64_e32 vcc, 0, v[119:120]
	v_mov_b32_e32 v99, v117
	v_cndmask_b32_e32 v102, v120, v101, vcc
	v_cmp_gt_f64_e32 vcc, 0, v[95:96]
	v_mov_b32_e32 v101, v119
	v_add_f64 v[99:100], v[99:100], v[101:102]
	v_xor_b32_e32 v101, 0x80000000, v96
	v_cndmask_b32_e32 v102, v96, v101, vcc
	v_cmp_gt_f64_e32 vcc, 0, v[97:98]
	v_mov_b32_e32 v101, v95
	v_cndmask_b32_e32 v104, v98, v103, vcc
	v_mov_b32_e32 v103, v97
	v_add_f64 v[101:102], v[101:102], v[103:104]
	v_cmp_lt_f64_e32 vcc, v[99:100], v[101:102]
	v_cndmask_b32_e32 v117, v117, v95, vcc
	v_mov_b32_e32 v95, s0
	s_add_i32 s0, s0, 1
	v_cndmask_b32_e32 v118, v118, v96, vcc
	v_cndmask_b32_e32 v120, v120, v98, vcc
	;; [unrolled: 1-line block ×4, first 2 shown]
	s_cmp_lg_u32 s3, s0
	s_cbranch_scc1 .LBB94_463
.LBB94_464:
	s_waitcnt lgkmcnt(0)
	v_cmp_eq_f64_e32 vcc, 0, v[117:118]
	v_cmp_eq_f64_e64 s[0:1], 0, v[119:120]
	s_and_b64 s[0:1], vcc, s[0:1]
	s_and_saveexec_b64 s[18:19], s[0:1]
	s_xor_b64 s[0:1], exec, s[18:19]
; %bb.465:
	v_cmp_ne_u32_e32 vcc, 0, v91
	v_cndmask_b32_e32 v91, 23, v91, vcc
; %bb.466:
	s_andn2_saveexec_b64 s[0:1], s[0:1]
	s_cbranch_execz .LBB94_472
; %bb.467:
	v_cmp_ngt_f64_e64 s[18:19], |v[117:118]|, |v[119:120]|
	s_and_saveexec_b64 s[20:21], s[18:19]
	s_xor_b64 s[18:19], exec, s[20:21]
	s_cbranch_execz .LBB94_469
; %bb.468:
	v_div_scale_f64 v[94:95], s[20:21], v[119:120], v[119:120], v[117:118]
	v_rcp_f64_e32 v[96:97], v[94:95]
	v_fma_f64 v[98:99], -v[94:95], v[96:97], 1.0
	v_fma_f64 v[96:97], v[96:97], v[98:99], v[96:97]
	v_div_scale_f64 v[98:99], vcc, v[117:118], v[119:120], v[117:118]
	v_fma_f64 v[100:101], -v[94:95], v[96:97], 1.0
	v_fma_f64 v[96:97], v[96:97], v[100:101], v[96:97]
	v_mul_f64 v[100:101], v[98:99], v[96:97]
	v_fma_f64 v[94:95], -v[94:95], v[100:101], v[98:99]
	v_div_fmas_f64 v[94:95], v[94:95], v[96:97], v[100:101]
	v_div_fixup_f64 v[94:95], v[94:95], v[119:120], v[117:118]
	v_fma_f64 v[96:97], v[117:118], v[94:95], v[119:120]
	v_div_scale_f64 v[98:99], s[20:21], v[96:97], v[96:97], 1.0
	v_div_scale_f64 v[104:105], vcc, 1.0, v[96:97], 1.0
	v_rcp_f64_e32 v[100:101], v[98:99]
	v_fma_f64 v[102:103], -v[98:99], v[100:101], 1.0
	v_fma_f64 v[100:101], v[100:101], v[102:103], v[100:101]
	v_fma_f64 v[102:103], -v[98:99], v[100:101], 1.0
	v_fma_f64 v[100:101], v[100:101], v[102:103], v[100:101]
	v_mul_f64 v[102:103], v[104:105], v[100:101]
	v_fma_f64 v[98:99], -v[98:99], v[102:103], v[104:105]
	v_div_fmas_f64 v[98:99], v[98:99], v[100:101], v[102:103]
	v_div_fixup_f64 v[119:120], v[98:99], v[96:97], 1.0
	v_mul_f64 v[117:118], v[94:95], v[119:120]
	v_xor_b32_e32 v120, 0x80000000, v120
.LBB94_469:
	s_andn2_saveexec_b64 s[18:19], s[18:19]
	s_cbranch_execz .LBB94_471
; %bb.470:
	v_div_scale_f64 v[94:95], s[20:21], v[117:118], v[117:118], v[119:120]
	v_rcp_f64_e32 v[96:97], v[94:95]
	v_fma_f64 v[98:99], -v[94:95], v[96:97], 1.0
	v_fma_f64 v[96:97], v[96:97], v[98:99], v[96:97]
	v_div_scale_f64 v[98:99], vcc, v[119:120], v[117:118], v[119:120]
	v_fma_f64 v[100:101], -v[94:95], v[96:97], 1.0
	v_fma_f64 v[96:97], v[96:97], v[100:101], v[96:97]
	v_mul_f64 v[100:101], v[98:99], v[96:97]
	v_fma_f64 v[94:95], -v[94:95], v[100:101], v[98:99]
	v_div_fmas_f64 v[94:95], v[94:95], v[96:97], v[100:101]
	v_div_fixup_f64 v[94:95], v[94:95], v[117:118], v[119:120]
	v_fma_f64 v[96:97], v[119:120], v[94:95], v[117:118]
	v_div_scale_f64 v[98:99], s[20:21], v[96:97], v[96:97], 1.0
	v_div_scale_f64 v[104:105], vcc, 1.0, v[96:97], 1.0
	v_rcp_f64_e32 v[100:101], v[98:99]
	v_fma_f64 v[102:103], -v[98:99], v[100:101], 1.0
	v_fma_f64 v[100:101], v[100:101], v[102:103], v[100:101]
	v_fma_f64 v[102:103], -v[98:99], v[100:101], 1.0
	v_fma_f64 v[100:101], v[100:101], v[102:103], v[100:101]
	v_mul_f64 v[102:103], v[104:105], v[100:101]
	v_fma_f64 v[98:99], -v[98:99], v[102:103], v[104:105]
	v_div_fmas_f64 v[98:99], v[98:99], v[100:101], v[102:103]
	v_div_fixup_f64 v[117:118], v[98:99], v[96:97], 1.0
	v_mul_f64 v[119:120], v[94:95], -v[117:118]
.LBB94_471:
	s_or_b64 exec, exec, s[18:19]
.LBB94_472:
	s_or_b64 exec, exec, s[0:1]
	v_cmp_ne_u32_e32 vcc, v92, v93
	s_and_saveexec_b64 s[0:1], vcc
	s_xor_b64 s[0:1], exec, s[0:1]
	s_cbranch_execz .LBB94_478
; %bb.473:
	v_cmp_eq_u32_e32 vcc, 22, v92
	s_and_saveexec_b64 s[18:19], vcc
	s_cbranch_execz .LBB94_477
; %bb.474:
	v_cmp_ne_u32_e32 vcc, 22, v93
	s_xor_b64 s[20:21], s[6:7], -1
	s_and_b64 s[22:23], s[20:21], vcc
	s_and_saveexec_b64 s[20:21], s[22:23]
	s_cbranch_execz .LBB94_476
; %bb.475:
	v_mov_b32_e32 v81, v85
	v_mov_b32_e32 v82, v86
	;; [unrolled: 1-line block ×4, first 2 shown]
	buffer_load_dword v85, off, s[24:27], 0 offset:352 ; 4-byte Folded Reload
	buffer_load_dword v86, off, s[24:27], 0 offset:356 ; 4-byte Folded Reload
	v_ashrrev_i32_e32 v94, 31, v93
	v_lshlrev_b64 v[94:95], 2, v[93:94]
	s_waitcnt vmcnt(1)
	v_add_co_u32_e32 v94, vcc, v85, v94
	s_waitcnt vmcnt(0)
	v_addc_co_u32_e32 v95, vcc, v86, v95, vcc
	global_load_dword v0, v[94:95], off
	global_load_dword v92, v[85:86], off offset:88
	s_waitcnt vmcnt(1)
	global_store_dword v[85:86], v0, off offset:88
	v_mov_b32_e32 v88, v84
	v_mov_b32_e32 v87, v83
	;; [unrolled: 1-line block ×4, first 2 shown]
	s_waitcnt vmcnt(1)
	global_store_dword v[94:95], v92, off
.LBB94_476:
	s_or_b64 exec, exec, s[20:21]
	v_mov_b32_e32 v92, v93
	v_mov_b32_e32 v0, v93
.LBB94_477:
	s_or_b64 exec, exec, s[18:19]
.LBB94_478:
	s_andn2_saveexec_b64 s[0:1], s[0:1]
	s_cbranch_execz .LBB94_480
; %bb.479:
	buffer_load_dword v81, off, s[24:27], 0 offset:16 ; 4-byte Folded Reload
	buffer_load_dword v82, off, s[24:27], 0 offset:20 ; 4-byte Folded Reload
	;; [unrolled: 1-line block ×4, first 2 shown]
	v_mov_b32_e32 v92, 22
	s_waitcnt vmcnt(0)
	ds_write2_b64 v90, v[81:82], v[83:84] offset0:46 offset1:47
	ds_write2_b64 v90, v[85:86], v[87:88] offset0:48 offset1:49
	;; [unrolled: 1-line block ×3, first 2 shown]
	buffer_load_dword v81, off, s[24:27], 0 ; 4-byte Folded Reload
	buffer_load_dword v82, off, s[24:27], 0 offset:4 ; 4-byte Folded Reload
	buffer_load_dword v83, off, s[24:27], 0 offset:8 ; 4-byte Folded Reload
	;; [unrolled: 1-line block ×3, first 2 shown]
	s_waitcnt vmcnt(0)
	ds_write2_b64 v90, v[81:82], v[83:84] offset0:52 offset1:53
	ds_write2_b64 v90, v[77:78], v[79:80] offset0:54 offset1:55
	;; [unrolled: 1-line block ×22, first 2 shown]
.LBB94_480:
	s_or_b64 exec, exec, s[0:1]
	v_cmp_lt_i32_e32 vcc, 22, v92
	s_waitcnt vmcnt(0) lgkmcnt(0)
	s_barrier
	s_and_saveexec_b64 s[0:1], vcc
	s_cbranch_execz .LBB94_482
; %bb.481:
	buffer_load_dword v99, off, s[24:27], 0 offset:32 ; 4-byte Folded Reload
	buffer_load_dword v100, off, s[24:27], 0 offset:36 ; 4-byte Folded Reload
	;; [unrolled: 1-line block ×4, first 2 shown]
	s_waitcnt vmcnt(0)
	v_mul_f64 v[95:96], v[117:118], v[101:102]
	v_mul_f64 v[93:94], v[119:120], v[101:102]
	v_fma_f64 v[101:102], v[119:120], v[99:100], v[95:96]
	ds_read2_b64 v[95:98], v90 offset0:46 offset1:47
	buffer_load_dword v81, off, s[24:27], 0 offset:16 ; 4-byte Folded Reload
	buffer_load_dword v82, off, s[24:27], 0 offset:20 ; 4-byte Folded Reload
	;; [unrolled: 1-line block ×4, first 2 shown]
	v_fma_f64 v[93:94], v[117:118], v[99:100], -v[93:94]
	s_waitcnt lgkmcnt(0)
	v_mul_f64 v[99:100], v[97:98], v[101:102]
	v_fma_f64 v[99:100], v[95:96], v[93:94], -v[99:100]
	v_mul_f64 v[95:96], v[95:96], v[101:102]
	v_fma_f64 v[95:96], v[97:98], v[93:94], v[95:96]
	s_waitcnt vmcnt(2)
	v_add_f64 v[81:82], v[81:82], -v[99:100]
	s_waitcnt vmcnt(0)
	v_add_f64 v[83:84], v[83:84], -v[95:96]
	buffer_store_dword v81, off, s[24:27], 0 offset:16 ; 4-byte Folded Spill
	s_nop 0
	buffer_store_dword v82, off, s[24:27], 0 offset:20 ; 4-byte Folded Spill
	buffer_store_dword v83, off, s[24:27], 0 offset:24 ; 4-byte Folded Spill
	;; [unrolled: 1-line block ×3, first 2 shown]
	ds_read2_b64 v[95:98], v90 offset0:48 offset1:49
	s_waitcnt lgkmcnt(0)
	v_mul_f64 v[99:100], v[97:98], v[101:102]
	v_fma_f64 v[99:100], v[95:96], v[93:94], -v[99:100]
	v_mul_f64 v[95:96], v[95:96], v[101:102]
	v_add_f64 v[85:86], v[85:86], -v[99:100]
	v_fma_f64 v[95:96], v[97:98], v[93:94], v[95:96]
	v_add_f64 v[87:88], v[87:88], -v[95:96]
	ds_read2_b64 v[95:98], v90 offset0:50 offset1:51
	s_waitcnt lgkmcnt(0)
	v_mul_f64 v[99:100], v[97:98], v[101:102]
	v_fma_f64 v[99:100], v[95:96], v[93:94], -v[99:100]
	v_mul_f64 v[95:96], v[95:96], v[101:102]
	v_add_f64 v[111:112], v[111:112], -v[99:100]
	v_fma_f64 v[95:96], v[97:98], v[93:94], v[95:96]
	v_add_f64 v[113:114], v[113:114], -v[95:96]
	ds_read2_b64 v[95:98], v90 offset0:52 offset1:53
	buffer_load_dword v81, off, s[24:27], 0 ; 4-byte Folded Reload
	buffer_load_dword v82, off, s[24:27], 0 offset:4 ; 4-byte Folded Reload
	buffer_load_dword v83, off, s[24:27], 0 offset:8 ; 4-byte Folded Reload
	;; [unrolled: 1-line block ×3, first 2 shown]
	s_waitcnt lgkmcnt(0)
	v_mul_f64 v[99:100], v[97:98], v[101:102]
	v_fma_f64 v[99:100], v[95:96], v[93:94], -v[99:100]
	v_mul_f64 v[95:96], v[95:96], v[101:102]
	v_fma_f64 v[95:96], v[97:98], v[93:94], v[95:96]
	s_waitcnt vmcnt(2)
	v_add_f64 v[81:82], v[81:82], -v[99:100]
	s_waitcnt vmcnt(0)
	v_add_f64 v[83:84], v[83:84], -v[95:96]
	buffer_store_dword v81, off, s[24:27], 0 ; 4-byte Folded Spill
	s_nop 0
	buffer_store_dword v82, off, s[24:27], 0 offset:4 ; 4-byte Folded Spill
	buffer_store_dword v83, off, s[24:27], 0 offset:8 ; 4-byte Folded Spill
	;; [unrolled: 1-line block ×3, first 2 shown]
	ds_read2_b64 v[95:98], v90 offset0:54 offset1:55
	s_waitcnt lgkmcnt(0)
	v_mul_f64 v[99:100], v[97:98], v[101:102]
	v_fma_f64 v[99:100], v[95:96], v[93:94], -v[99:100]
	v_mul_f64 v[95:96], v[95:96], v[101:102]
	v_add_f64 v[77:78], v[77:78], -v[99:100]
	v_fma_f64 v[95:96], v[97:98], v[93:94], v[95:96]
	v_add_f64 v[79:80], v[79:80], -v[95:96]
	ds_read2_b64 v[95:98], v90 offset0:56 offset1:57
	s_waitcnt lgkmcnt(0)
	v_mul_f64 v[99:100], v[97:98], v[101:102]
	v_fma_f64 v[99:100], v[95:96], v[93:94], -v[99:100]
	v_mul_f64 v[95:96], v[95:96], v[101:102]
	v_add_f64 v[73:74], v[73:74], -v[99:100]
	v_fma_f64 v[95:96], v[97:98], v[93:94], v[95:96]
	v_add_f64 v[75:76], v[75:76], -v[95:96]
	ds_read2_b64 v[95:98], v90 offset0:58 offset1:59
	s_waitcnt lgkmcnt(0)
	v_mul_f64 v[99:100], v[97:98], v[101:102]
	v_fma_f64 v[99:100], v[95:96], v[93:94], -v[99:100]
	v_mul_f64 v[95:96], v[95:96], v[101:102]
	v_add_f64 v[69:70], v[69:70], -v[99:100]
	v_fma_f64 v[95:96], v[97:98], v[93:94], v[95:96]
	v_add_f64 v[71:72], v[71:72], -v[95:96]
	ds_read2_b64 v[95:98], v90 offset0:60 offset1:61
	s_waitcnt lgkmcnt(0)
	v_mul_f64 v[99:100], v[97:98], v[101:102]
	v_fma_f64 v[99:100], v[95:96], v[93:94], -v[99:100]
	v_mul_f64 v[95:96], v[95:96], v[101:102]
	v_add_f64 v[65:66], v[65:66], -v[99:100]
	v_fma_f64 v[95:96], v[97:98], v[93:94], v[95:96]
	v_add_f64 v[67:68], v[67:68], -v[95:96]
	ds_read2_b64 v[95:98], v90 offset0:62 offset1:63
	s_waitcnt lgkmcnt(0)
	v_mul_f64 v[99:100], v[97:98], v[101:102]
	v_fma_f64 v[99:100], v[95:96], v[93:94], -v[99:100]
	v_mul_f64 v[95:96], v[95:96], v[101:102]
	v_add_f64 v[61:62], v[61:62], -v[99:100]
	v_fma_f64 v[95:96], v[97:98], v[93:94], v[95:96]
	v_add_f64 v[63:64], v[63:64], -v[95:96]
	ds_read2_b64 v[95:98], v90 offset0:64 offset1:65
	s_waitcnt lgkmcnt(0)
	v_mul_f64 v[99:100], v[97:98], v[101:102]
	v_fma_f64 v[99:100], v[95:96], v[93:94], -v[99:100]
	v_mul_f64 v[95:96], v[95:96], v[101:102]
	v_add_f64 v[57:58], v[57:58], -v[99:100]
	v_fma_f64 v[95:96], v[97:98], v[93:94], v[95:96]
	v_add_f64 v[59:60], v[59:60], -v[95:96]
	ds_read2_b64 v[95:98], v90 offset0:66 offset1:67
	s_waitcnt lgkmcnt(0)
	v_mul_f64 v[99:100], v[97:98], v[101:102]
	v_fma_f64 v[99:100], v[95:96], v[93:94], -v[99:100]
	v_mul_f64 v[95:96], v[95:96], v[101:102]
	v_add_f64 v[53:54], v[53:54], -v[99:100]
	v_fma_f64 v[95:96], v[97:98], v[93:94], v[95:96]
	v_add_f64 v[55:56], v[55:56], -v[95:96]
	ds_read2_b64 v[95:98], v90 offset0:68 offset1:69
	s_waitcnt lgkmcnt(0)
	v_mul_f64 v[99:100], v[97:98], v[101:102]
	v_fma_f64 v[99:100], v[95:96], v[93:94], -v[99:100]
	v_mul_f64 v[95:96], v[95:96], v[101:102]
	v_add_f64 v[49:50], v[49:50], -v[99:100]
	v_fma_f64 v[95:96], v[97:98], v[93:94], v[95:96]
	v_add_f64 v[51:52], v[51:52], -v[95:96]
	ds_read2_b64 v[95:98], v90 offset0:70 offset1:71
	s_waitcnt lgkmcnt(0)
	v_mul_f64 v[99:100], v[97:98], v[101:102]
	v_fma_f64 v[99:100], v[95:96], v[93:94], -v[99:100]
	v_mul_f64 v[95:96], v[95:96], v[101:102]
	v_add_f64 v[45:46], v[45:46], -v[99:100]
	v_fma_f64 v[95:96], v[97:98], v[93:94], v[95:96]
	v_add_f64 v[47:48], v[47:48], -v[95:96]
	ds_read2_b64 v[95:98], v90 offset0:72 offset1:73
	s_waitcnt lgkmcnt(0)
	v_mul_f64 v[99:100], v[97:98], v[101:102]
	v_fma_f64 v[99:100], v[95:96], v[93:94], -v[99:100]
	v_mul_f64 v[95:96], v[95:96], v[101:102]
	v_add_f64 v[41:42], v[41:42], -v[99:100]
	v_fma_f64 v[95:96], v[97:98], v[93:94], v[95:96]
	v_add_f64 v[43:44], v[43:44], -v[95:96]
	ds_read2_b64 v[95:98], v90 offset0:74 offset1:75
	s_waitcnt lgkmcnt(0)
	v_mul_f64 v[99:100], v[97:98], v[101:102]
	v_fma_f64 v[99:100], v[95:96], v[93:94], -v[99:100]
	v_mul_f64 v[95:96], v[95:96], v[101:102]
	v_add_f64 v[37:38], v[37:38], -v[99:100]
	v_fma_f64 v[95:96], v[97:98], v[93:94], v[95:96]
	v_add_f64 v[39:40], v[39:40], -v[95:96]
	ds_read2_b64 v[95:98], v90 offset0:76 offset1:77
	s_waitcnt lgkmcnt(0)
	v_mul_f64 v[99:100], v[97:98], v[101:102]
	v_fma_f64 v[99:100], v[95:96], v[93:94], -v[99:100]
	v_mul_f64 v[95:96], v[95:96], v[101:102]
	v_add_f64 v[33:34], v[33:34], -v[99:100]
	v_fma_f64 v[95:96], v[97:98], v[93:94], v[95:96]
	v_add_f64 v[35:36], v[35:36], -v[95:96]
	ds_read2_b64 v[95:98], v90 offset0:78 offset1:79
	s_waitcnt lgkmcnt(0)
	v_mul_f64 v[99:100], v[97:98], v[101:102]
	v_fma_f64 v[99:100], v[95:96], v[93:94], -v[99:100]
	v_mul_f64 v[95:96], v[95:96], v[101:102]
	v_add_f64 v[29:30], v[29:30], -v[99:100]
	v_fma_f64 v[95:96], v[97:98], v[93:94], v[95:96]
	v_add_f64 v[31:32], v[31:32], -v[95:96]
	ds_read2_b64 v[95:98], v90 offset0:80 offset1:81
	s_waitcnt lgkmcnt(0)
	v_mul_f64 v[99:100], v[97:98], v[101:102]
	v_fma_f64 v[99:100], v[95:96], v[93:94], -v[99:100]
	v_mul_f64 v[95:96], v[95:96], v[101:102]
	v_add_f64 v[25:26], v[25:26], -v[99:100]
	v_fma_f64 v[95:96], v[97:98], v[93:94], v[95:96]
	v_add_f64 v[27:28], v[27:28], -v[95:96]
	ds_read2_b64 v[95:98], v90 offset0:82 offset1:83
	s_waitcnt lgkmcnt(0)
	v_mul_f64 v[99:100], v[97:98], v[101:102]
	v_fma_f64 v[99:100], v[95:96], v[93:94], -v[99:100]
	v_mul_f64 v[95:96], v[95:96], v[101:102]
	v_add_f64 v[21:22], v[21:22], -v[99:100]
	v_fma_f64 v[95:96], v[97:98], v[93:94], v[95:96]
	v_add_f64 v[23:24], v[23:24], -v[95:96]
	ds_read2_b64 v[95:98], v90 offset0:84 offset1:85
	s_waitcnt lgkmcnt(0)
	v_mul_f64 v[99:100], v[97:98], v[101:102]
	v_fma_f64 v[99:100], v[95:96], v[93:94], -v[99:100]
	v_mul_f64 v[95:96], v[95:96], v[101:102]
	v_add_f64 v[17:18], v[17:18], -v[99:100]
	v_fma_f64 v[95:96], v[97:98], v[93:94], v[95:96]
	v_add_f64 v[19:20], v[19:20], -v[95:96]
	ds_read2_b64 v[95:98], v90 offset0:86 offset1:87
	s_waitcnt lgkmcnt(0)
	v_mul_f64 v[99:100], v[97:98], v[101:102]
	v_fma_f64 v[99:100], v[95:96], v[93:94], -v[99:100]
	v_mul_f64 v[95:96], v[95:96], v[101:102]
	v_add_f64 v[13:14], v[13:14], -v[99:100]
	v_fma_f64 v[95:96], v[97:98], v[93:94], v[95:96]
	v_add_f64 v[15:16], v[15:16], -v[95:96]
	ds_read2_b64 v[95:98], v90 offset0:88 offset1:89
	s_waitcnt lgkmcnt(0)
	v_mul_f64 v[99:100], v[97:98], v[101:102]
	v_fma_f64 v[99:100], v[95:96], v[93:94], -v[99:100]
	v_mul_f64 v[95:96], v[95:96], v[101:102]
	v_add_f64 v[9:10], v[9:10], -v[99:100]
	v_fma_f64 v[95:96], v[97:98], v[93:94], v[95:96]
	v_add_f64 v[11:12], v[11:12], -v[95:96]
	ds_read2_b64 v[95:98], v90 offset0:90 offset1:91
	s_waitcnt lgkmcnt(0)
	v_mul_f64 v[99:100], v[97:98], v[101:102]
	v_fma_f64 v[99:100], v[95:96], v[93:94], -v[99:100]
	v_mul_f64 v[95:96], v[95:96], v[101:102]
	v_add_f64 v[5:6], v[5:6], -v[99:100]
	v_fma_f64 v[95:96], v[97:98], v[93:94], v[95:96]
	v_add_f64 v[7:8], v[7:8], -v[95:96]
	ds_read2_b64 v[95:98], v90 offset0:92 offset1:93
	s_waitcnt lgkmcnt(0)
	v_mul_f64 v[99:100], v[97:98], v[101:102]
	v_fma_f64 v[99:100], v[95:96], v[93:94], -v[99:100]
	v_mul_f64 v[95:96], v[95:96], v[101:102]
	v_add_f64 v[1:2], v[1:2], -v[99:100]
	v_fma_f64 v[95:96], v[97:98], v[93:94], v[95:96]
	v_add_f64 v[3:4], v[3:4], -v[95:96]
	ds_read2_b64 v[95:98], v90 offset0:94 offset1:95
	s_waitcnt lgkmcnt(0)
	v_mul_f64 v[99:100], v[97:98], v[101:102]
	v_fma_f64 v[99:100], v[95:96], v[93:94], -v[99:100]
	v_mul_f64 v[95:96], v[95:96], v[101:102]
	v_add_f64 v[121:122], v[121:122], -v[99:100]
	v_fma_f64 v[95:96], v[97:98], v[93:94], v[95:96]
	v_mov_b32_e32 v100, v94
	v_mov_b32_e32 v99, v93
	buffer_store_dword v99, off, s[24:27], 0 offset:32 ; 4-byte Folded Spill
	s_nop 0
	buffer_store_dword v100, off, s[24:27], 0 offset:36 ; 4-byte Folded Spill
	buffer_store_dword v101, off, s[24:27], 0 offset:40 ; 4-byte Folded Spill
	;; [unrolled: 1-line block ×3, first 2 shown]
	v_add_f64 v[123:124], v[123:124], -v[95:96]
.LBB94_482:
	s_or_b64 exec, exec, s[0:1]
	s_waitcnt vmcnt(0)
	s_barrier
	buffer_load_dword v81, off, s[24:27], 0 offset:16 ; 4-byte Folded Reload
	buffer_load_dword v82, off, s[24:27], 0 offset:20 ; 4-byte Folded Reload
	;; [unrolled: 1-line block ×4, first 2 shown]
	v_lshl_add_u32 v93, v92, 4, v90
	s_cmp_lt_i32 s3, 25
	s_waitcnt vmcnt(0)
	ds_write2_b64 v93, v[81:82], v[83:84] offset1:1
	s_waitcnt lgkmcnt(0)
	s_barrier
	ds_read2_b64 v[117:120], v90 offset0:46 offset1:47
	v_mov_b32_e32 v93, 23
	s_cbranch_scc1 .LBB94_485
; %bb.483:
	v_add_u32_e32 v94, 0x180, v90
	s_mov_b32 s0, 24
	v_mov_b32_e32 v93, 23
.LBB94_484:                             ; =>This Inner Loop Header: Depth=1
	s_waitcnt lgkmcnt(0)
	v_cmp_gt_f64_e32 vcc, 0, v[117:118]
	v_xor_b32_e32 v99, 0x80000000, v118
	ds_read2_b64 v[95:98], v94 offset1:1
	v_xor_b32_e32 v101, 0x80000000, v120
	v_add_u32_e32 v94, 16, v94
	s_waitcnt lgkmcnt(0)
	v_xor_b32_e32 v103, 0x80000000, v98
	v_cndmask_b32_e32 v100, v118, v99, vcc
	v_cmp_gt_f64_e32 vcc, 0, v[119:120]
	v_mov_b32_e32 v99, v117
	v_cndmask_b32_e32 v102, v120, v101, vcc
	v_cmp_gt_f64_e32 vcc, 0, v[95:96]
	v_mov_b32_e32 v101, v119
	v_add_f64 v[99:100], v[99:100], v[101:102]
	v_xor_b32_e32 v101, 0x80000000, v96
	v_cndmask_b32_e32 v102, v96, v101, vcc
	v_cmp_gt_f64_e32 vcc, 0, v[97:98]
	v_mov_b32_e32 v101, v95
	v_cndmask_b32_e32 v104, v98, v103, vcc
	v_mov_b32_e32 v103, v97
	v_add_f64 v[101:102], v[101:102], v[103:104]
	v_cmp_lt_f64_e32 vcc, v[99:100], v[101:102]
	v_cndmask_b32_e32 v117, v117, v95, vcc
	v_mov_b32_e32 v95, s0
	s_add_i32 s0, s0, 1
	v_cndmask_b32_e32 v118, v118, v96, vcc
	v_cndmask_b32_e32 v120, v120, v98, vcc
	v_cndmask_b32_e32 v119, v119, v97, vcc
	v_cndmask_b32_e32 v93, v93, v95, vcc
	s_cmp_lg_u32 s3, s0
	s_cbranch_scc1 .LBB94_484
.LBB94_485:
	s_waitcnt lgkmcnt(0)
	v_cmp_eq_f64_e32 vcc, 0, v[117:118]
	v_cmp_eq_f64_e64 s[0:1], 0, v[119:120]
	s_and_b64 s[0:1], vcc, s[0:1]
	s_and_saveexec_b64 s[18:19], s[0:1]
	s_xor_b64 s[0:1], exec, s[18:19]
; %bb.486:
	v_cmp_ne_u32_e32 vcc, 0, v91
	v_cndmask_b32_e32 v91, 24, v91, vcc
; %bb.487:
	s_andn2_saveexec_b64 s[0:1], s[0:1]
	s_cbranch_execz .LBB94_493
; %bb.488:
	v_cmp_ngt_f64_e64 s[18:19], |v[117:118]|, |v[119:120]|
	s_and_saveexec_b64 s[20:21], s[18:19]
	s_xor_b64 s[18:19], exec, s[20:21]
	s_cbranch_execz .LBB94_490
; %bb.489:
	v_div_scale_f64 v[94:95], s[20:21], v[119:120], v[119:120], v[117:118]
	v_rcp_f64_e32 v[96:97], v[94:95]
	v_fma_f64 v[98:99], -v[94:95], v[96:97], 1.0
	v_fma_f64 v[96:97], v[96:97], v[98:99], v[96:97]
	v_div_scale_f64 v[98:99], vcc, v[117:118], v[119:120], v[117:118]
	v_fma_f64 v[100:101], -v[94:95], v[96:97], 1.0
	v_fma_f64 v[96:97], v[96:97], v[100:101], v[96:97]
	v_mul_f64 v[100:101], v[98:99], v[96:97]
	v_fma_f64 v[94:95], -v[94:95], v[100:101], v[98:99]
	v_div_fmas_f64 v[94:95], v[94:95], v[96:97], v[100:101]
	v_div_fixup_f64 v[94:95], v[94:95], v[119:120], v[117:118]
	v_fma_f64 v[96:97], v[117:118], v[94:95], v[119:120]
	v_div_scale_f64 v[98:99], s[20:21], v[96:97], v[96:97], 1.0
	v_div_scale_f64 v[104:105], vcc, 1.0, v[96:97], 1.0
	v_rcp_f64_e32 v[100:101], v[98:99]
	v_fma_f64 v[102:103], -v[98:99], v[100:101], 1.0
	v_fma_f64 v[100:101], v[100:101], v[102:103], v[100:101]
	v_fma_f64 v[102:103], -v[98:99], v[100:101], 1.0
	v_fma_f64 v[100:101], v[100:101], v[102:103], v[100:101]
	v_mul_f64 v[102:103], v[104:105], v[100:101]
	v_fma_f64 v[98:99], -v[98:99], v[102:103], v[104:105]
	v_div_fmas_f64 v[98:99], v[98:99], v[100:101], v[102:103]
	v_div_fixup_f64 v[119:120], v[98:99], v[96:97], 1.0
	v_mul_f64 v[117:118], v[94:95], v[119:120]
	v_xor_b32_e32 v120, 0x80000000, v120
.LBB94_490:
	s_andn2_saveexec_b64 s[18:19], s[18:19]
	s_cbranch_execz .LBB94_492
; %bb.491:
	v_div_scale_f64 v[94:95], s[20:21], v[117:118], v[117:118], v[119:120]
	v_rcp_f64_e32 v[96:97], v[94:95]
	v_fma_f64 v[98:99], -v[94:95], v[96:97], 1.0
	v_fma_f64 v[96:97], v[96:97], v[98:99], v[96:97]
	v_div_scale_f64 v[98:99], vcc, v[119:120], v[117:118], v[119:120]
	v_fma_f64 v[100:101], -v[94:95], v[96:97], 1.0
	v_fma_f64 v[96:97], v[96:97], v[100:101], v[96:97]
	v_mul_f64 v[100:101], v[98:99], v[96:97]
	v_fma_f64 v[94:95], -v[94:95], v[100:101], v[98:99]
	v_div_fmas_f64 v[94:95], v[94:95], v[96:97], v[100:101]
	v_div_fixup_f64 v[94:95], v[94:95], v[117:118], v[119:120]
	v_fma_f64 v[96:97], v[119:120], v[94:95], v[117:118]
	v_div_scale_f64 v[98:99], s[20:21], v[96:97], v[96:97], 1.0
	v_div_scale_f64 v[104:105], vcc, 1.0, v[96:97], 1.0
	v_rcp_f64_e32 v[100:101], v[98:99]
	v_fma_f64 v[102:103], -v[98:99], v[100:101], 1.0
	v_fma_f64 v[100:101], v[100:101], v[102:103], v[100:101]
	v_fma_f64 v[102:103], -v[98:99], v[100:101], 1.0
	v_fma_f64 v[100:101], v[100:101], v[102:103], v[100:101]
	v_mul_f64 v[102:103], v[104:105], v[100:101]
	v_fma_f64 v[98:99], -v[98:99], v[102:103], v[104:105]
	v_div_fmas_f64 v[98:99], v[98:99], v[100:101], v[102:103]
	v_div_fixup_f64 v[117:118], v[98:99], v[96:97], 1.0
	v_mul_f64 v[119:120], v[94:95], -v[117:118]
.LBB94_492:
	s_or_b64 exec, exec, s[18:19]
.LBB94_493:
	s_or_b64 exec, exec, s[0:1]
	v_cmp_ne_u32_e32 vcc, v92, v93
	s_and_saveexec_b64 s[0:1], vcc
	s_xor_b64 s[0:1], exec, s[0:1]
	s_cbranch_execz .LBB94_499
; %bb.494:
	v_cmp_eq_u32_e32 vcc, 23, v92
	s_and_saveexec_b64 s[18:19], vcc
	s_cbranch_execz .LBB94_498
; %bb.495:
	v_cmp_ne_u32_e32 vcc, 23, v93
	s_xor_b64 s[20:21], s[6:7], -1
	s_and_b64 s[22:23], s[20:21], vcc
	s_and_saveexec_b64 s[20:21], s[22:23]
	s_cbranch_execz .LBB94_497
; %bb.496:
	v_mov_b32_e32 v81, v85
	v_mov_b32_e32 v82, v86
	;; [unrolled: 1-line block ×4, first 2 shown]
	buffer_load_dword v85, off, s[24:27], 0 offset:352 ; 4-byte Folded Reload
	buffer_load_dword v86, off, s[24:27], 0 offset:356 ; 4-byte Folded Reload
	v_ashrrev_i32_e32 v94, 31, v93
	v_lshlrev_b64 v[94:95], 2, v[93:94]
	s_waitcnt vmcnt(1)
	v_add_co_u32_e32 v94, vcc, v85, v94
	s_waitcnt vmcnt(0)
	v_addc_co_u32_e32 v95, vcc, v86, v95, vcc
	global_load_dword v0, v[94:95], off
	global_load_dword v92, v[85:86], off offset:92
	s_waitcnt vmcnt(1)
	global_store_dword v[85:86], v0, off offset:92
	v_mov_b32_e32 v88, v84
	v_mov_b32_e32 v87, v83
	;; [unrolled: 1-line block ×4, first 2 shown]
	s_waitcnt vmcnt(1)
	global_store_dword v[94:95], v92, off
.LBB94_497:
	s_or_b64 exec, exec, s[20:21]
	v_mov_b32_e32 v92, v93
	v_mov_b32_e32 v0, v93
.LBB94_498:
	s_or_b64 exec, exec, s[18:19]
.LBB94_499:
	s_andn2_saveexec_b64 s[0:1], s[0:1]
	s_cbranch_execz .LBB94_501
; %bb.500:
	ds_write2_b64 v90, v[85:86], v[87:88] offset0:48 offset1:49
	ds_write2_b64 v90, v[111:112], v[113:114] offset0:50 offset1:51
	buffer_load_dword v81, off, s[24:27], 0 ; 4-byte Folded Reload
	buffer_load_dword v82, off, s[24:27], 0 offset:4 ; 4-byte Folded Reload
	buffer_load_dword v83, off, s[24:27], 0 offset:8 ; 4-byte Folded Reload
	;; [unrolled: 1-line block ×3, first 2 shown]
	v_mov_b32_e32 v92, 23
	s_waitcnt vmcnt(0)
	ds_write2_b64 v90, v[81:82], v[83:84] offset0:52 offset1:53
	ds_write2_b64 v90, v[77:78], v[79:80] offset0:54 offset1:55
	;; [unrolled: 1-line block ×22, first 2 shown]
.LBB94_501:
	s_or_b64 exec, exec, s[0:1]
	v_cmp_lt_i32_e32 vcc, 23, v92
	s_waitcnt vmcnt(0) lgkmcnt(0)
	s_barrier
	s_and_saveexec_b64 s[0:1], vcc
	s_cbranch_execz .LBB94_503
; %bb.502:
	buffer_load_dword v99, off, s[24:27], 0 offset:16 ; 4-byte Folded Reload
	buffer_load_dword v100, off, s[24:27], 0 offset:20 ; 4-byte Folded Reload
	;; [unrolled: 1-line block ×4, first 2 shown]
	s_waitcnt vmcnt(0)
	v_mul_f64 v[95:96], v[117:118], v[101:102]
	v_mul_f64 v[93:94], v[119:120], v[101:102]
	v_fma_f64 v[101:102], v[119:120], v[99:100], v[95:96]
	ds_read2_b64 v[95:98], v90 offset0:48 offset1:49
	v_fma_f64 v[93:94], v[117:118], v[99:100], -v[93:94]
	s_waitcnt lgkmcnt(0)
	v_mul_f64 v[99:100], v[97:98], v[101:102]
	v_fma_f64 v[99:100], v[95:96], v[93:94], -v[99:100]
	v_mul_f64 v[95:96], v[95:96], v[101:102]
	v_add_f64 v[85:86], v[85:86], -v[99:100]
	v_fma_f64 v[95:96], v[97:98], v[93:94], v[95:96]
	v_add_f64 v[87:88], v[87:88], -v[95:96]
	ds_read2_b64 v[95:98], v90 offset0:50 offset1:51
	s_waitcnt lgkmcnt(0)
	v_mul_f64 v[99:100], v[97:98], v[101:102]
	v_fma_f64 v[99:100], v[95:96], v[93:94], -v[99:100]
	v_mul_f64 v[95:96], v[95:96], v[101:102]
	v_add_f64 v[111:112], v[111:112], -v[99:100]
	v_fma_f64 v[95:96], v[97:98], v[93:94], v[95:96]
	v_add_f64 v[113:114], v[113:114], -v[95:96]
	ds_read2_b64 v[95:98], v90 offset0:52 offset1:53
	buffer_load_dword v81, off, s[24:27], 0 ; 4-byte Folded Reload
	buffer_load_dword v82, off, s[24:27], 0 offset:4 ; 4-byte Folded Reload
	buffer_load_dword v83, off, s[24:27], 0 offset:8 ; 4-byte Folded Reload
	;; [unrolled: 1-line block ×3, first 2 shown]
	s_waitcnt lgkmcnt(0)
	v_mul_f64 v[99:100], v[97:98], v[101:102]
	v_fma_f64 v[99:100], v[95:96], v[93:94], -v[99:100]
	v_mul_f64 v[95:96], v[95:96], v[101:102]
	v_fma_f64 v[95:96], v[97:98], v[93:94], v[95:96]
	s_waitcnt vmcnt(2)
	v_add_f64 v[81:82], v[81:82], -v[99:100]
	s_waitcnt vmcnt(0)
	v_add_f64 v[83:84], v[83:84], -v[95:96]
	buffer_store_dword v81, off, s[24:27], 0 ; 4-byte Folded Spill
	s_nop 0
	buffer_store_dword v82, off, s[24:27], 0 offset:4 ; 4-byte Folded Spill
	buffer_store_dword v83, off, s[24:27], 0 offset:8 ; 4-byte Folded Spill
	;; [unrolled: 1-line block ×3, first 2 shown]
	ds_read2_b64 v[95:98], v90 offset0:54 offset1:55
	s_waitcnt lgkmcnt(0)
	v_mul_f64 v[99:100], v[97:98], v[101:102]
	v_fma_f64 v[99:100], v[95:96], v[93:94], -v[99:100]
	v_mul_f64 v[95:96], v[95:96], v[101:102]
	v_add_f64 v[77:78], v[77:78], -v[99:100]
	v_fma_f64 v[95:96], v[97:98], v[93:94], v[95:96]
	v_add_f64 v[79:80], v[79:80], -v[95:96]
	ds_read2_b64 v[95:98], v90 offset0:56 offset1:57
	s_waitcnt lgkmcnt(0)
	v_mul_f64 v[99:100], v[97:98], v[101:102]
	v_fma_f64 v[99:100], v[95:96], v[93:94], -v[99:100]
	v_mul_f64 v[95:96], v[95:96], v[101:102]
	v_add_f64 v[73:74], v[73:74], -v[99:100]
	v_fma_f64 v[95:96], v[97:98], v[93:94], v[95:96]
	v_add_f64 v[75:76], v[75:76], -v[95:96]
	;; [unrolled: 8-line block ×20, first 2 shown]
	ds_read2_b64 v[95:98], v90 offset0:94 offset1:95
	s_waitcnt lgkmcnt(0)
	v_mul_f64 v[99:100], v[97:98], v[101:102]
	v_fma_f64 v[99:100], v[95:96], v[93:94], -v[99:100]
	v_mul_f64 v[95:96], v[95:96], v[101:102]
	v_add_f64 v[121:122], v[121:122], -v[99:100]
	v_fma_f64 v[95:96], v[97:98], v[93:94], v[95:96]
	v_mov_b32_e32 v100, v94
	v_mov_b32_e32 v99, v93
	buffer_store_dword v99, off, s[24:27], 0 offset:16 ; 4-byte Folded Spill
	s_nop 0
	buffer_store_dword v100, off, s[24:27], 0 offset:20 ; 4-byte Folded Spill
	buffer_store_dword v101, off, s[24:27], 0 offset:24 ; 4-byte Folded Spill
	;; [unrolled: 1-line block ×3, first 2 shown]
	v_add_f64 v[123:124], v[123:124], -v[95:96]
.LBB94_503:
	s_or_b64 exec, exec, s[0:1]
	v_lshl_add_u32 v93, v92, 4, v90
	s_waitcnt vmcnt(0)
	s_barrier
	ds_write2_b64 v93, v[85:86], v[87:88] offset1:1
	s_waitcnt lgkmcnt(0)
	s_barrier
	ds_read2_b64 v[117:120], v90 offset0:48 offset1:49
	s_cmp_lt_i32 s3, 26
	v_mov_b32_e32 v93, 24
	s_cbranch_scc1 .LBB94_506
; %bb.504:
	v_add_u32_e32 v94, 0x190, v90
	s_mov_b32 s0, 25
	v_mov_b32_e32 v93, 24
.LBB94_505:                             ; =>This Inner Loop Header: Depth=1
	s_waitcnt lgkmcnt(0)
	v_cmp_gt_f64_e32 vcc, 0, v[117:118]
	v_xor_b32_e32 v99, 0x80000000, v118
	ds_read2_b64 v[95:98], v94 offset1:1
	v_xor_b32_e32 v101, 0x80000000, v120
	v_add_u32_e32 v94, 16, v94
	s_waitcnt lgkmcnt(0)
	v_xor_b32_e32 v103, 0x80000000, v98
	v_cndmask_b32_e32 v100, v118, v99, vcc
	v_cmp_gt_f64_e32 vcc, 0, v[119:120]
	v_mov_b32_e32 v99, v117
	v_cndmask_b32_e32 v102, v120, v101, vcc
	v_cmp_gt_f64_e32 vcc, 0, v[95:96]
	v_mov_b32_e32 v101, v119
	v_add_f64 v[99:100], v[99:100], v[101:102]
	v_xor_b32_e32 v101, 0x80000000, v96
	v_cndmask_b32_e32 v102, v96, v101, vcc
	v_cmp_gt_f64_e32 vcc, 0, v[97:98]
	v_mov_b32_e32 v101, v95
	v_cndmask_b32_e32 v104, v98, v103, vcc
	v_mov_b32_e32 v103, v97
	v_add_f64 v[101:102], v[101:102], v[103:104]
	v_cmp_lt_f64_e32 vcc, v[99:100], v[101:102]
	v_cndmask_b32_e32 v117, v117, v95, vcc
	v_mov_b32_e32 v95, s0
	s_add_i32 s0, s0, 1
	v_cndmask_b32_e32 v118, v118, v96, vcc
	v_cndmask_b32_e32 v120, v120, v98, vcc
	;; [unrolled: 1-line block ×4, first 2 shown]
	s_cmp_lg_u32 s3, s0
	s_cbranch_scc1 .LBB94_505
.LBB94_506:
	s_waitcnt lgkmcnt(0)
	v_cmp_eq_f64_e32 vcc, 0, v[117:118]
	v_cmp_eq_f64_e64 s[0:1], 0, v[119:120]
	s_and_b64 s[0:1], vcc, s[0:1]
	s_and_saveexec_b64 s[18:19], s[0:1]
	s_xor_b64 s[0:1], exec, s[18:19]
; %bb.507:
	v_cmp_ne_u32_e32 vcc, 0, v91
	v_cndmask_b32_e32 v91, 25, v91, vcc
; %bb.508:
	s_andn2_saveexec_b64 s[0:1], s[0:1]
	s_cbranch_execz .LBB94_514
; %bb.509:
	v_cmp_ngt_f64_e64 s[18:19], |v[117:118]|, |v[119:120]|
	s_and_saveexec_b64 s[20:21], s[18:19]
	s_xor_b64 s[18:19], exec, s[20:21]
	s_cbranch_execz .LBB94_511
; %bb.510:
	v_div_scale_f64 v[94:95], s[20:21], v[119:120], v[119:120], v[117:118]
	v_rcp_f64_e32 v[96:97], v[94:95]
	v_fma_f64 v[98:99], -v[94:95], v[96:97], 1.0
	v_fma_f64 v[96:97], v[96:97], v[98:99], v[96:97]
	v_div_scale_f64 v[98:99], vcc, v[117:118], v[119:120], v[117:118]
	v_fma_f64 v[100:101], -v[94:95], v[96:97], 1.0
	v_fma_f64 v[96:97], v[96:97], v[100:101], v[96:97]
	v_mul_f64 v[100:101], v[98:99], v[96:97]
	v_fma_f64 v[94:95], -v[94:95], v[100:101], v[98:99]
	v_div_fmas_f64 v[94:95], v[94:95], v[96:97], v[100:101]
	v_div_fixup_f64 v[94:95], v[94:95], v[119:120], v[117:118]
	v_fma_f64 v[96:97], v[117:118], v[94:95], v[119:120]
	v_div_scale_f64 v[98:99], s[20:21], v[96:97], v[96:97], 1.0
	v_div_scale_f64 v[104:105], vcc, 1.0, v[96:97], 1.0
	v_rcp_f64_e32 v[100:101], v[98:99]
	v_fma_f64 v[102:103], -v[98:99], v[100:101], 1.0
	v_fma_f64 v[100:101], v[100:101], v[102:103], v[100:101]
	v_fma_f64 v[102:103], -v[98:99], v[100:101], 1.0
	v_fma_f64 v[100:101], v[100:101], v[102:103], v[100:101]
	v_mul_f64 v[102:103], v[104:105], v[100:101]
	v_fma_f64 v[98:99], -v[98:99], v[102:103], v[104:105]
	v_div_fmas_f64 v[98:99], v[98:99], v[100:101], v[102:103]
	v_div_fixup_f64 v[119:120], v[98:99], v[96:97], 1.0
	v_mul_f64 v[117:118], v[94:95], v[119:120]
	v_xor_b32_e32 v120, 0x80000000, v120
.LBB94_511:
	s_andn2_saveexec_b64 s[18:19], s[18:19]
	s_cbranch_execz .LBB94_513
; %bb.512:
	v_div_scale_f64 v[94:95], s[20:21], v[117:118], v[117:118], v[119:120]
	v_rcp_f64_e32 v[96:97], v[94:95]
	v_fma_f64 v[98:99], -v[94:95], v[96:97], 1.0
	v_fma_f64 v[96:97], v[96:97], v[98:99], v[96:97]
	v_div_scale_f64 v[98:99], vcc, v[119:120], v[117:118], v[119:120]
	v_fma_f64 v[100:101], -v[94:95], v[96:97], 1.0
	v_fma_f64 v[96:97], v[96:97], v[100:101], v[96:97]
	v_mul_f64 v[100:101], v[98:99], v[96:97]
	v_fma_f64 v[94:95], -v[94:95], v[100:101], v[98:99]
	v_div_fmas_f64 v[94:95], v[94:95], v[96:97], v[100:101]
	v_div_fixup_f64 v[94:95], v[94:95], v[117:118], v[119:120]
	v_fma_f64 v[96:97], v[119:120], v[94:95], v[117:118]
	v_div_scale_f64 v[98:99], s[20:21], v[96:97], v[96:97], 1.0
	v_div_scale_f64 v[104:105], vcc, 1.0, v[96:97], 1.0
	v_rcp_f64_e32 v[100:101], v[98:99]
	v_fma_f64 v[102:103], -v[98:99], v[100:101], 1.0
	v_fma_f64 v[100:101], v[100:101], v[102:103], v[100:101]
	v_fma_f64 v[102:103], -v[98:99], v[100:101], 1.0
	v_fma_f64 v[100:101], v[100:101], v[102:103], v[100:101]
	v_mul_f64 v[102:103], v[104:105], v[100:101]
	v_fma_f64 v[98:99], -v[98:99], v[102:103], v[104:105]
	v_div_fmas_f64 v[98:99], v[98:99], v[100:101], v[102:103]
	v_div_fixup_f64 v[117:118], v[98:99], v[96:97], 1.0
	v_mul_f64 v[119:120], v[94:95], -v[117:118]
.LBB94_513:
	s_or_b64 exec, exec, s[18:19]
.LBB94_514:
	s_or_b64 exec, exec, s[0:1]
	v_cmp_ne_u32_e32 vcc, v92, v93
	s_and_saveexec_b64 s[0:1], vcc
	s_xor_b64 s[0:1], exec, s[0:1]
	s_cbranch_execz .LBB94_520
; %bb.515:
	v_cmp_eq_u32_e32 vcc, 24, v92
	s_and_saveexec_b64 s[18:19], vcc
	s_cbranch_execz .LBB94_519
; %bb.516:
	v_cmp_ne_u32_e32 vcc, 24, v93
	s_xor_b64 s[20:21], s[6:7], -1
	s_and_b64 s[22:23], s[20:21], vcc
	s_and_saveexec_b64 s[20:21], s[22:23]
	s_cbranch_execz .LBB94_518
; %bb.517:
	v_mov_b32_e32 v81, v85
	v_mov_b32_e32 v82, v86
	;; [unrolled: 1-line block ×4, first 2 shown]
	buffer_load_dword v85, off, s[24:27], 0 offset:352 ; 4-byte Folded Reload
	buffer_load_dword v86, off, s[24:27], 0 offset:356 ; 4-byte Folded Reload
	v_ashrrev_i32_e32 v94, 31, v93
	v_lshlrev_b64 v[94:95], 2, v[93:94]
	s_waitcnt vmcnt(1)
	v_add_co_u32_e32 v94, vcc, v85, v94
	s_waitcnt vmcnt(0)
	v_addc_co_u32_e32 v95, vcc, v86, v95, vcc
	global_load_dword v0, v[94:95], off
	global_load_dword v92, v[85:86], off offset:96
	s_waitcnt vmcnt(1)
	global_store_dword v[85:86], v0, off offset:96
	v_mov_b32_e32 v88, v84
	v_mov_b32_e32 v87, v83
	;; [unrolled: 1-line block ×4, first 2 shown]
	s_waitcnt vmcnt(1)
	global_store_dword v[94:95], v92, off
.LBB94_518:
	s_or_b64 exec, exec, s[20:21]
	v_mov_b32_e32 v92, v93
	v_mov_b32_e32 v0, v93
.LBB94_519:
	s_or_b64 exec, exec, s[18:19]
.LBB94_520:
	s_andn2_saveexec_b64 s[0:1], s[0:1]
	s_cbranch_execz .LBB94_522
; %bb.521:
	ds_write2_b64 v90, v[111:112], v[113:114] offset0:50 offset1:51
	buffer_load_dword v81, off, s[24:27], 0 ; 4-byte Folded Reload
	buffer_load_dword v82, off, s[24:27], 0 offset:4 ; 4-byte Folded Reload
	buffer_load_dword v83, off, s[24:27], 0 offset:8 ; 4-byte Folded Reload
	;; [unrolled: 1-line block ×3, first 2 shown]
	v_mov_b32_e32 v92, 24
	s_waitcnt vmcnt(0)
	ds_write2_b64 v90, v[81:82], v[83:84] offset0:52 offset1:53
	ds_write2_b64 v90, v[77:78], v[79:80] offset0:54 offset1:55
	;; [unrolled: 1-line block ×22, first 2 shown]
.LBB94_522:
	s_or_b64 exec, exec, s[0:1]
	v_cmp_lt_i32_e32 vcc, 24, v92
	s_waitcnt vmcnt(0) lgkmcnt(0)
	s_barrier
	s_and_saveexec_b64 s[0:1], vcc
	s_cbranch_execz .LBB94_524
; %bb.523:
	v_mul_f64 v[95:96], v[117:118], v[87:88]
	v_mul_f64 v[93:94], v[119:120], v[87:88]
	v_fma_f64 v[87:88], v[119:120], v[85:86], v[95:96]
	ds_read2_b64 v[95:98], v90 offset0:50 offset1:51
	v_fma_f64 v[93:94], v[117:118], v[85:86], -v[93:94]
	s_waitcnt lgkmcnt(0)
	v_mul_f64 v[99:100], v[97:98], v[87:88]
	v_mov_b32_e32 v85, v93
	v_mov_b32_e32 v86, v94
	v_fma_f64 v[99:100], v[95:96], v[93:94], -v[99:100]
	v_mul_f64 v[95:96], v[95:96], v[87:88]
	v_add_f64 v[111:112], v[111:112], -v[99:100]
	v_fma_f64 v[95:96], v[97:98], v[93:94], v[95:96]
	v_add_f64 v[113:114], v[113:114], -v[95:96]
	ds_read2_b64 v[95:98], v90 offset0:52 offset1:53
	buffer_load_dword v81, off, s[24:27], 0 ; 4-byte Folded Reload
	buffer_load_dword v82, off, s[24:27], 0 offset:4 ; 4-byte Folded Reload
	buffer_load_dword v83, off, s[24:27], 0 offset:8 ; 4-byte Folded Reload
	;; [unrolled: 1-line block ×3, first 2 shown]
	s_waitcnt lgkmcnt(0)
	v_mul_f64 v[99:100], v[97:98], v[87:88]
	v_fma_f64 v[99:100], v[95:96], v[93:94], -v[99:100]
	v_mul_f64 v[95:96], v[95:96], v[87:88]
	v_fma_f64 v[95:96], v[97:98], v[93:94], v[95:96]
	s_waitcnt vmcnt(2)
	v_add_f64 v[81:82], v[81:82], -v[99:100]
	s_waitcnt vmcnt(0)
	v_add_f64 v[83:84], v[83:84], -v[95:96]
	buffer_store_dword v81, off, s[24:27], 0 ; 4-byte Folded Spill
	s_nop 0
	buffer_store_dword v82, off, s[24:27], 0 offset:4 ; 4-byte Folded Spill
	buffer_store_dword v83, off, s[24:27], 0 offset:8 ; 4-byte Folded Spill
	;; [unrolled: 1-line block ×3, first 2 shown]
	ds_read2_b64 v[95:98], v90 offset0:54 offset1:55
	s_waitcnt lgkmcnt(0)
	v_mul_f64 v[99:100], v[97:98], v[87:88]
	v_fma_f64 v[99:100], v[95:96], v[93:94], -v[99:100]
	v_mul_f64 v[95:96], v[95:96], v[87:88]
	v_add_f64 v[77:78], v[77:78], -v[99:100]
	v_fma_f64 v[95:96], v[97:98], v[93:94], v[95:96]
	v_add_f64 v[79:80], v[79:80], -v[95:96]
	ds_read2_b64 v[95:98], v90 offset0:56 offset1:57
	s_waitcnt lgkmcnt(0)
	v_mul_f64 v[99:100], v[97:98], v[87:88]
	v_fma_f64 v[99:100], v[95:96], v[93:94], -v[99:100]
	v_mul_f64 v[95:96], v[95:96], v[87:88]
	v_add_f64 v[73:74], v[73:74], -v[99:100]
	v_fma_f64 v[95:96], v[97:98], v[93:94], v[95:96]
	v_add_f64 v[75:76], v[75:76], -v[95:96]
	;; [unrolled: 8-line block ×21, first 2 shown]
.LBB94_524:
	s_or_b64 exec, exec, s[0:1]
	v_lshl_add_u32 v93, v92, 4, v90
	s_waitcnt vmcnt(0)
	s_barrier
	ds_write2_b64 v93, v[111:112], v[113:114] offset1:1
	s_waitcnt lgkmcnt(0)
	s_barrier
	ds_read2_b64 v[117:120], v90 offset0:50 offset1:51
	s_cmp_lt_i32 s3, 27
	v_mov_b32_e32 v93, 25
	s_cbranch_scc1 .LBB94_527
; %bb.525:
	v_add_u32_e32 v94, 0x1a0, v90
	s_mov_b32 s0, 26
	v_mov_b32_e32 v93, 25
.LBB94_526:                             ; =>This Inner Loop Header: Depth=1
	s_waitcnt lgkmcnt(0)
	v_cmp_gt_f64_e32 vcc, 0, v[117:118]
	v_xor_b32_e32 v99, 0x80000000, v118
	ds_read2_b64 v[95:98], v94 offset1:1
	v_xor_b32_e32 v101, 0x80000000, v120
	v_add_u32_e32 v94, 16, v94
	s_waitcnt lgkmcnt(0)
	v_xor_b32_e32 v103, 0x80000000, v98
	v_cndmask_b32_e32 v100, v118, v99, vcc
	v_cmp_gt_f64_e32 vcc, 0, v[119:120]
	v_mov_b32_e32 v99, v117
	v_cndmask_b32_e32 v102, v120, v101, vcc
	v_cmp_gt_f64_e32 vcc, 0, v[95:96]
	v_mov_b32_e32 v101, v119
	v_add_f64 v[99:100], v[99:100], v[101:102]
	v_xor_b32_e32 v101, 0x80000000, v96
	v_cndmask_b32_e32 v102, v96, v101, vcc
	v_cmp_gt_f64_e32 vcc, 0, v[97:98]
	v_mov_b32_e32 v101, v95
	v_cndmask_b32_e32 v104, v98, v103, vcc
	v_mov_b32_e32 v103, v97
	v_add_f64 v[101:102], v[101:102], v[103:104]
	v_cmp_lt_f64_e32 vcc, v[99:100], v[101:102]
	v_cndmask_b32_e32 v117, v117, v95, vcc
	v_mov_b32_e32 v95, s0
	s_add_i32 s0, s0, 1
	v_cndmask_b32_e32 v118, v118, v96, vcc
	v_cndmask_b32_e32 v120, v120, v98, vcc
	;; [unrolled: 1-line block ×4, first 2 shown]
	s_cmp_lg_u32 s3, s0
	s_cbranch_scc1 .LBB94_526
.LBB94_527:
	s_waitcnt lgkmcnt(0)
	v_cmp_eq_f64_e32 vcc, 0, v[117:118]
	v_cmp_eq_f64_e64 s[0:1], 0, v[119:120]
	s_and_b64 s[0:1], vcc, s[0:1]
	s_and_saveexec_b64 s[18:19], s[0:1]
	s_xor_b64 s[0:1], exec, s[18:19]
; %bb.528:
	v_cmp_ne_u32_e32 vcc, 0, v91
	v_cndmask_b32_e32 v91, 26, v91, vcc
; %bb.529:
	s_andn2_saveexec_b64 s[0:1], s[0:1]
	s_cbranch_execz .LBB94_535
; %bb.530:
	v_cmp_ngt_f64_e64 s[18:19], |v[117:118]|, |v[119:120]|
	s_and_saveexec_b64 s[20:21], s[18:19]
	s_xor_b64 s[18:19], exec, s[20:21]
	s_cbranch_execz .LBB94_532
; %bb.531:
	v_div_scale_f64 v[94:95], s[20:21], v[119:120], v[119:120], v[117:118]
	v_rcp_f64_e32 v[96:97], v[94:95]
	v_fma_f64 v[98:99], -v[94:95], v[96:97], 1.0
	v_fma_f64 v[96:97], v[96:97], v[98:99], v[96:97]
	v_div_scale_f64 v[98:99], vcc, v[117:118], v[119:120], v[117:118]
	v_fma_f64 v[100:101], -v[94:95], v[96:97], 1.0
	v_fma_f64 v[96:97], v[96:97], v[100:101], v[96:97]
	v_mul_f64 v[100:101], v[98:99], v[96:97]
	v_fma_f64 v[94:95], -v[94:95], v[100:101], v[98:99]
	v_div_fmas_f64 v[94:95], v[94:95], v[96:97], v[100:101]
	v_div_fixup_f64 v[94:95], v[94:95], v[119:120], v[117:118]
	v_fma_f64 v[96:97], v[117:118], v[94:95], v[119:120]
	v_div_scale_f64 v[98:99], s[20:21], v[96:97], v[96:97], 1.0
	v_div_scale_f64 v[104:105], vcc, 1.0, v[96:97], 1.0
	v_rcp_f64_e32 v[100:101], v[98:99]
	v_fma_f64 v[102:103], -v[98:99], v[100:101], 1.0
	v_fma_f64 v[100:101], v[100:101], v[102:103], v[100:101]
	v_fma_f64 v[102:103], -v[98:99], v[100:101], 1.0
	v_fma_f64 v[100:101], v[100:101], v[102:103], v[100:101]
	v_mul_f64 v[102:103], v[104:105], v[100:101]
	v_fma_f64 v[98:99], -v[98:99], v[102:103], v[104:105]
	v_div_fmas_f64 v[98:99], v[98:99], v[100:101], v[102:103]
	v_div_fixup_f64 v[119:120], v[98:99], v[96:97], 1.0
	v_mul_f64 v[117:118], v[94:95], v[119:120]
	v_xor_b32_e32 v120, 0x80000000, v120
.LBB94_532:
	s_andn2_saveexec_b64 s[18:19], s[18:19]
	s_cbranch_execz .LBB94_534
; %bb.533:
	v_div_scale_f64 v[94:95], s[20:21], v[117:118], v[117:118], v[119:120]
	v_rcp_f64_e32 v[96:97], v[94:95]
	v_fma_f64 v[98:99], -v[94:95], v[96:97], 1.0
	v_fma_f64 v[96:97], v[96:97], v[98:99], v[96:97]
	v_div_scale_f64 v[98:99], vcc, v[119:120], v[117:118], v[119:120]
	v_fma_f64 v[100:101], -v[94:95], v[96:97], 1.0
	v_fma_f64 v[96:97], v[96:97], v[100:101], v[96:97]
	v_mul_f64 v[100:101], v[98:99], v[96:97]
	v_fma_f64 v[94:95], -v[94:95], v[100:101], v[98:99]
	v_div_fmas_f64 v[94:95], v[94:95], v[96:97], v[100:101]
	v_div_fixup_f64 v[94:95], v[94:95], v[117:118], v[119:120]
	v_fma_f64 v[96:97], v[119:120], v[94:95], v[117:118]
	v_div_scale_f64 v[98:99], s[20:21], v[96:97], v[96:97], 1.0
	v_div_scale_f64 v[104:105], vcc, 1.0, v[96:97], 1.0
	v_rcp_f64_e32 v[100:101], v[98:99]
	v_fma_f64 v[102:103], -v[98:99], v[100:101], 1.0
	v_fma_f64 v[100:101], v[100:101], v[102:103], v[100:101]
	v_fma_f64 v[102:103], -v[98:99], v[100:101], 1.0
	v_fma_f64 v[100:101], v[100:101], v[102:103], v[100:101]
	v_mul_f64 v[102:103], v[104:105], v[100:101]
	v_fma_f64 v[98:99], -v[98:99], v[102:103], v[104:105]
	v_div_fmas_f64 v[98:99], v[98:99], v[100:101], v[102:103]
	v_div_fixup_f64 v[117:118], v[98:99], v[96:97], 1.0
	v_mul_f64 v[119:120], v[94:95], -v[117:118]
.LBB94_534:
	s_or_b64 exec, exec, s[18:19]
.LBB94_535:
	s_or_b64 exec, exec, s[0:1]
	v_cmp_ne_u32_e32 vcc, v92, v93
	s_mov_b64 s[0:1], exec
	s_and_b64 s[18:19], s[0:1], vcc
	v_mov_b32_e32 v110, v88
	s_xor_b64 s[0:1], s[18:19], s[0:1]
	v_mov_b32_e32 v109, v87
	v_mov_b32_e32 v108, v86
	;; [unrolled: 1-line block ×3, first 2 shown]
	s_mov_b64 exec, s[18:19]
	s_cbranch_execz .LBB94_541
; %bb.536:
	v_cmp_eq_u32_e32 vcc, 25, v92
	s_and_saveexec_b64 s[18:19], vcc
	s_cbranch_execz .LBB94_540
; %bb.537:
	v_cmp_ne_u32_e32 vcc, 25, v93
	s_xor_b64 s[20:21], s[6:7], -1
	s_and_b64 s[22:23], s[20:21], vcc
	s_and_saveexec_b64 s[20:21], s[22:23]
	s_cbranch_execz .LBB94_539
; %bb.538:
	buffer_load_dword v85, off, s[24:27], 0 offset:352 ; 4-byte Folded Reload
	buffer_load_dword v86, off, s[24:27], 0 offset:356 ; 4-byte Folded Reload
	v_ashrrev_i32_e32 v94, 31, v93
	v_lshlrev_b64 v[94:95], 2, v[93:94]
	s_waitcnt vmcnt(1)
	v_add_co_u32_e32 v94, vcc, v85, v94
	s_waitcnt vmcnt(0)
	v_addc_co_u32_e32 v95, vcc, v86, v95, vcc
	global_load_dword v0, v[94:95], off
	global_load_dword v92, v[85:86], off offset:100
	s_waitcnt vmcnt(1)
	global_store_dword v[85:86], v0, off offset:100
	v_mov_b32_e32 v85, v107
	v_mov_b32_e32 v86, v108
	;; [unrolled: 1-line block ×4, first 2 shown]
	s_waitcnt vmcnt(1)
	global_store_dword v[94:95], v92, off
.LBB94_539:
	s_or_b64 exec, exec, s[20:21]
	v_mov_b32_e32 v92, v93
	v_mov_b32_e32 v0, v93
.LBB94_540:
	s_or_b64 exec, exec, s[18:19]
.LBB94_541:
	s_andn2_saveexec_b64 s[0:1], s[0:1]
	s_cbranch_execz .LBB94_543
; %bb.542:
	buffer_load_dword v81, off, s[24:27], 0 ; 4-byte Folded Reload
	buffer_load_dword v82, off, s[24:27], 0 offset:4 ; 4-byte Folded Reload
	buffer_load_dword v83, off, s[24:27], 0 offset:8 ; 4-byte Folded Reload
	;; [unrolled: 1-line block ×3, first 2 shown]
	v_mov_b32_e32 v92, 25
	s_waitcnt vmcnt(0)
	ds_write2_b64 v90, v[81:82], v[83:84] offset0:52 offset1:53
	ds_write2_b64 v90, v[77:78], v[79:80] offset0:54 offset1:55
	;; [unrolled: 1-line block ×22, first 2 shown]
.LBB94_543:
	s_or_b64 exec, exec, s[0:1]
	v_cmp_lt_i32_e32 vcc, 25, v92
	s_waitcnt vmcnt(0) lgkmcnt(0)
	s_barrier
	s_and_saveexec_b64 s[0:1], vcc
	s_cbranch_execz .LBB94_545
; %bb.544:
	v_mov_b32_e32 v95, v111
	v_mov_b32_e32 v97, v113
	;; [unrolled: 1-line block ×3, first 2 shown]
	v_mul_f64 v[93:94], v[119:120], v[113:114]
	v_mul_f64 v[87:88], v[117:118], v[97:98]
	v_mov_b32_e32 v96, v112
	v_fma_f64 v[113:114], v[117:118], v[95:96], -v[93:94]
	v_fma_f64 v[97:98], v[119:120], v[95:96], v[87:88]
	ds_read2_b64 v[93:96], v90 offset0:52 offset1:53
	buffer_load_dword v81, off, s[24:27], 0 ; 4-byte Folded Reload
	buffer_load_dword v82, off, s[24:27], 0 offset:4 ; 4-byte Folded Reload
	buffer_load_dword v83, off, s[24:27], 0 offset:8 ; 4-byte Folded Reload
	buffer_load_dword v84, off, s[24:27], 0 offset:12 ; 4-byte Folded Reload
	s_waitcnt lgkmcnt(0)
	v_mul_f64 v[85:86], v[95:96], v[97:98]
	v_fma_f64 v[85:86], v[93:94], v[113:114], -v[85:86]
	v_mul_f64 v[93:94], v[93:94], v[97:98]
	v_fma_f64 v[93:94], v[95:96], v[113:114], v[93:94]
	s_waitcnt vmcnt(2)
	v_add_f64 v[81:82], v[81:82], -v[85:86]
	s_waitcnt vmcnt(0)
	v_add_f64 v[83:84], v[83:84], -v[93:94]
	buffer_store_dword v81, off, s[24:27], 0 ; 4-byte Folded Spill
	s_nop 0
	buffer_store_dword v82, off, s[24:27], 0 offset:4 ; 4-byte Folded Spill
	buffer_store_dword v83, off, s[24:27], 0 offset:8 ; 4-byte Folded Spill
	;; [unrolled: 1-line block ×3, first 2 shown]
	ds_read2_b64 v[93:96], v90 offset0:54 offset1:55
	s_waitcnt lgkmcnt(0)
	v_mul_f64 v[85:86], v[95:96], v[97:98]
	v_fma_f64 v[85:86], v[93:94], v[113:114], -v[85:86]
	v_mul_f64 v[93:94], v[93:94], v[97:98]
	v_add_f64 v[77:78], v[77:78], -v[85:86]
	v_fma_f64 v[93:94], v[95:96], v[113:114], v[93:94]
	v_add_f64 v[79:80], v[79:80], -v[93:94]
	ds_read2_b64 v[93:96], v90 offset0:56 offset1:57
	s_waitcnt lgkmcnt(0)
	v_mul_f64 v[85:86], v[95:96], v[97:98]
	v_fma_f64 v[85:86], v[93:94], v[113:114], -v[85:86]
	v_mul_f64 v[93:94], v[93:94], v[97:98]
	v_add_f64 v[73:74], v[73:74], -v[85:86]
	v_fma_f64 v[93:94], v[95:96], v[113:114], v[93:94]
	v_add_f64 v[75:76], v[75:76], -v[93:94]
	;; [unrolled: 8-line block ×20, first 2 shown]
	ds_read2_b64 v[93:96], v90 offset0:94 offset1:95
	s_waitcnt lgkmcnt(0)
	v_mul_f64 v[85:86], v[95:96], v[97:98]
	v_fma_f64 v[85:86], v[93:94], v[113:114], -v[85:86]
	v_mul_f64 v[93:94], v[93:94], v[97:98]
	v_add_f64 v[121:122], v[121:122], -v[85:86]
	v_fma_f64 v[93:94], v[95:96], v[113:114], v[93:94]
	v_mov_b32_e32 v95, v113
	v_mov_b32_e32 v85, v107
	;; [unrolled: 1-line block ×7, first 2 shown]
	v_add_f64 v[123:124], v[123:124], -v[93:94]
	v_mov_b32_e32 v113, v97
	v_mov_b32_e32 v112, v96
	;; [unrolled: 1-line block ×3, first 2 shown]
.LBB94_545:
	s_or_b64 exec, exec, s[0:1]
	s_waitcnt vmcnt(0)
	s_barrier
	buffer_load_dword v81, off, s[24:27], 0 ; 4-byte Folded Reload
	buffer_load_dword v82, off, s[24:27], 0 offset:4 ; 4-byte Folded Reload
	buffer_load_dword v83, off, s[24:27], 0 offset:8 ; 4-byte Folded Reload
	;; [unrolled: 1-line block ×3, first 2 shown]
	v_lshl_add_u32 v93, v92, 4, v90
	s_cmp_lt_i32 s3, 28
	s_waitcnt vmcnt(0)
	ds_write2_b64 v93, v[81:82], v[83:84] offset1:1
	s_waitcnt lgkmcnt(0)
	s_barrier
	ds_read2_b64 v[117:120], v90 offset0:52 offset1:53
	v_mov_b32_e32 v93, 26
	s_cbranch_scc1 .LBB94_548
; %bb.546:
	v_add_u32_e32 v94, 0x1b0, v90
	s_mov_b32 s0, 27
	v_mov_b32_e32 v93, 26
.LBB94_547:                             ; =>This Inner Loop Header: Depth=1
	s_waitcnt lgkmcnt(0)
	v_cmp_gt_f64_e32 vcc, 0, v[117:118]
	v_xor_b32_e32 v99, 0x80000000, v118
	ds_read2_b64 v[95:98], v94 offset1:1
	v_xor_b32_e32 v101, 0x80000000, v120
	v_add_u32_e32 v94, 16, v94
	s_waitcnt lgkmcnt(0)
	v_xor_b32_e32 v103, 0x80000000, v98
	v_cndmask_b32_e32 v100, v118, v99, vcc
	v_cmp_gt_f64_e32 vcc, 0, v[119:120]
	v_mov_b32_e32 v99, v117
	v_cndmask_b32_e32 v102, v120, v101, vcc
	v_cmp_gt_f64_e32 vcc, 0, v[95:96]
	v_mov_b32_e32 v101, v119
	v_add_f64 v[99:100], v[99:100], v[101:102]
	v_xor_b32_e32 v101, 0x80000000, v96
	v_cndmask_b32_e32 v102, v96, v101, vcc
	v_cmp_gt_f64_e32 vcc, 0, v[97:98]
	v_mov_b32_e32 v101, v95
	v_cndmask_b32_e32 v104, v98, v103, vcc
	v_mov_b32_e32 v103, v97
	v_add_f64 v[101:102], v[101:102], v[103:104]
	v_cmp_lt_f64_e32 vcc, v[99:100], v[101:102]
	v_cndmask_b32_e32 v117, v117, v95, vcc
	v_mov_b32_e32 v95, s0
	s_add_i32 s0, s0, 1
	v_cndmask_b32_e32 v118, v118, v96, vcc
	v_cndmask_b32_e32 v120, v120, v98, vcc
	;; [unrolled: 1-line block ×4, first 2 shown]
	s_cmp_lg_u32 s3, s0
	s_cbranch_scc1 .LBB94_547
.LBB94_548:
	s_waitcnt lgkmcnt(0)
	v_cmp_eq_f64_e32 vcc, 0, v[117:118]
	v_cmp_eq_f64_e64 s[0:1], 0, v[119:120]
	s_and_b64 s[0:1], vcc, s[0:1]
	s_and_saveexec_b64 s[18:19], s[0:1]
	s_xor_b64 s[0:1], exec, s[18:19]
; %bb.549:
	v_cmp_ne_u32_e32 vcc, 0, v91
	v_cndmask_b32_e32 v91, 27, v91, vcc
; %bb.550:
	s_andn2_saveexec_b64 s[0:1], s[0:1]
	s_cbranch_execz .LBB94_556
; %bb.551:
	v_cmp_ngt_f64_e64 s[18:19], |v[117:118]|, |v[119:120]|
	s_and_saveexec_b64 s[20:21], s[18:19]
	s_xor_b64 s[18:19], exec, s[20:21]
	s_cbranch_execz .LBB94_553
; %bb.552:
	v_div_scale_f64 v[94:95], s[20:21], v[119:120], v[119:120], v[117:118]
	v_rcp_f64_e32 v[96:97], v[94:95]
	v_fma_f64 v[98:99], -v[94:95], v[96:97], 1.0
	v_fma_f64 v[96:97], v[96:97], v[98:99], v[96:97]
	v_div_scale_f64 v[98:99], vcc, v[117:118], v[119:120], v[117:118]
	v_fma_f64 v[100:101], -v[94:95], v[96:97], 1.0
	v_fma_f64 v[96:97], v[96:97], v[100:101], v[96:97]
	v_mul_f64 v[100:101], v[98:99], v[96:97]
	v_fma_f64 v[94:95], -v[94:95], v[100:101], v[98:99]
	v_div_fmas_f64 v[94:95], v[94:95], v[96:97], v[100:101]
	v_div_fixup_f64 v[94:95], v[94:95], v[119:120], v[117:118]
	v_fma_f64 v[96:97], v[117:118], v[94:95], v[119:120]
	v_div_scale_f64 v[98:99], s[20:21], v[96:97], v[96:97], 1.0
	v_div_scale_f64 v[104:105], vcc, 1.0, v[96:97], 1.0
	v_rcp_f64_e32 v[100:101], v[98:99]
	v_fma_f64 v[102:103], -v[98:99], v[100:101], 1.0
	v_fma_f64 v[100:101], v[100:101], v[102:103], v[100:101]
	v_fma_f64 v[102:103], -v[98:99], v[100:101], 1.0
	v_fma_f64 v[100:101], v[100:101], v[102:103], v[100:101]
	v_mul_f64 v[102:103], v[104:105], v[100:101]
	v_fma_f64 v[98:99], -v[98:99], v[102:103], v[104:105]
	v_div_fmas_f64 v[98:99], v[98:99], v[100:101], v[102:103]
	v_div_fixup_f64 v[119:120], v[98:99], v[96:97], 1.0
	v_mul_f64 v[117:118], v[94:95], v[119:120]
	v_xor_b32_e32 v120, 0x80000000, v120
.LBB94_553:
	s_andn2_saveexec_b64 s[18:19], s[18:19]
	s_cbranch_execz .LBB94_555
; %bb.554:
	v_div_scale_f64 v[94:95], s[20:21], v[117:118], v[117:118], v[119:120]
	v_rcp_f64_e32 v[96:97], v[94:95]
	v_fma_f64 v[98:99], -v[94:95], v[96:97], 1.0
	v_fma_f64 v[96:97], v[96:97], v[98:99], v[96:97]
	v_div_scale_f64 v[98:99], vcc, v[119:120], v[117:118], v[119:120]
	v_fma_f64 v[100:101], -v[94:95], v[96:97], 1.0
	v_fma_f64 v[96:97], v[96:97], v[100:101], v[96:97]
	v_mul_f64 v[100:101], v[98:99], v[96:97]
	v_fma_f64 v[94:95], -v[94:95], v[100:101], v[98:99]
	v_div_fmas_f64 v[94:95], v[94:95], v[96:97], v[100:101]
	v_div_fixup_f64 v[94:95], v[94:95], v[117:118], v[119:120]
	v_fma_f64 v[96:97], v[119:120], v[94:95], v[117:118]
	v_div_scale_f64 v[98:99], s[20:21], v[96:97], v[96:97], 1.0
	v_div_scale_f64 v[104:105], vcc, 1.0, v[96:97], 1.0
	v_rcp_f64_e32 v[100:101], v[98:99]
	v_fma_f64 v[102:103], -v[98:99], v[100:101], 1.0
	v_fma_f64 v[100:101], v[100:101], v[102:103], v[100:101]
	v_fma_f64 v[102:103], -v[98:99], v[100:101], 1.0
	v_fma_f64 v[100:101], v[100:101], v[102:103], v[100:101]
	v_mul_f64 v[102:103], v[104:105], v[100:101]
	v_fma_f64 v[98:99], -v[98:99], v[102:103], v[104:105]
	v_div_fmas_f64 v[98:99], v[98:99], v[100:101], v[102:103]
	v_div_fixup_f64 v[117:118], v[98:99], v[96:97], 1.0
	v_mul_f64 v[119:120], v[94:95], -v[117:118]
.LBB94_555:
	s_or_b64 exec, exec, s[18:19]
.LBB94_556:
	s_or_b64 exec, exec, s[0:1]
	v_cmp_ne_u32_e32 vcc, v92, v93
	s_and_saveexec_b64 s[0:1], vcc
	s_xor_b64 s[0:1], exec, s[0:1]
	s_cbranch_execz .LBB94_562
; %bb.557:
	v_cmp_eq_u32_e32 vcc, 26, v92
	s_and_saveexec_b64 s[18:19], vcc
	s_cbranch_execz .LBB94_561
; %bb.558:
	v_cmp_ne_u32_e32 vcc, 26, v93
	s_xor_b64 s[20:21], s[6:7], -1
	s_and_b64 s[22:23], s[20:21], vcc
	s_and_saveexec_b64 s[20:21], s[22:23]
	s_cbranch_execz .LBB94_560
; %bb.559:
	buffer_load_dword v85, off, s[24:27], 0 offset:352 ; 4-byte Folded Reload
	buffer_load_dword v86, off, s[24:27], 0 offset:356 ; 4-byte Folded Reload
	v_ashrrev_i32_e32 v94, 31, v93
	v_lshlrev_b64 v[94:95], 2, v[93:94]
	s_waitcnt vmcnt(1)
	v_add_co_u32_e32 v94, vcc, v85, v94
	s_waitcnt vmcnt(0)
	v_addc_co_u32_e32 v95, vcc, v86, v95, vcc
	global_load_dword v0, v[94:95], off
	global_load_dword v92, v[85:86], off offset:104
	s_waitcnt vmcnt(1)
	global_store_dword v[85:86], v0, off offset:104
	v_mov_b32_e32 v85, v107
	v_mov_b32_e32 v86, v108
	;; [unrolled: 1-line block ×4, first 2 shown]
	s_waitcnt vmcnt(1)
	global_store_dword v[94:95], v92, off
.LBB94_560:
	s_or_b64 exec, exec, s[20:21]
	v_mov_b32_e32 v92, v93
	v_mov_b32_e32 v0, v93
.LBB94_561:
	s_or_b64 exec, exec, s[18:19]
.LBB94_562:
	s_andn2_saveexec_b64 s[0:1], s[0:1]
	s_cbranch_execz .LBB94_564
; %bb.563:
	v_mov_b32_e32 v92, 26
	ds_write2_b64 v90, v[77:78], v[79:80] offset0:54 offset1:55
	ds_write2_b64 v90, v[73:74], v[75:76] offset0:56 offset1:57
	;; [unrolled: 1-line block ×21, first 2 shown]
.LBB94_564:
	s_or_b64 exec, exec, s[0:1]
	v_cmp_lt_i32_e32 vcc, 26, v92
	s_waitcnt vmcnt(0) lgkmcnt(0)
	s_barrier
	s_and_saveexec_b64 s[0:1], vcc
	s_cbranch_execz .LBB94_566
; %bb.565:
	buffer_load_dword v81, off, s[24:27], 0 ; 4-byte Folded Reload
	buffer_load_dword v82, off, s[24:27], 0 offset:4 ; 4-byte Folded Reload
	buffer_load_dword v83, off, s[24:27], 0 offset:8 ; 4-byte Folded Reload
	;; [unrolled: 1-line block ×3, first 2 shown]
	s_waitcnt vmcnt(0)
	v_mul_f64 v[93:94], v[119:120], v[83:84]
	v_mul_f64 v[83:84], v[117:118], v[83:84]
	v_fma_f64 v[105:106], v[117:118], v[81:82], -v[93:94]
	v_fma_f64 v[83:84], v[119:120], v[81:82], v[83:84]
	ds_read2_b64 v[93:96], v90 offset0:54 offset1:55
	s_waitcnt lgkmcnt(0)
	v_mul_f64 v[81:82], v[95:96], v[83:84]
	v_fma_f64 v[81:82], v[93:94], v[105:106], -v[81:82]
	v_mul_f64 v[93:94], v[93:94], v[83:84]
	v_add_f64 v[77:78], v[77:78], -v[81:82]
	v_fma_f64 v[93:94], v[95:96], v[105:106], v[93:94]
	v_add_f64 v[79:80], v[79:80], -v[93:94]
	ds_read2_b64 v[93:96], v90 offset0:56 offset1:57
	s_waitcnt lgkmcnt(0)
	v_mul_f64 v[81:82], v[95:96], v[83:84]
	v_fma_f64 v[81:82], v[93:94], v[105:106], -v[81:82]
	v_mul_f64 v[93:94], v[93:94], v[83:84]
	v_add_f64 v[73:74], v[73:74], -v[81:82]
	v_fma_f64 v[93:94], v[95:96], v[105:106], v[93:94]
	v_add_f64 v[75:76], v[75:76], -v[93:94]
	;; [unrolled: 8-line block ×20, first 2 shown]
	ds_read2_b64 v[93:96], v90 offset0:94 offset1:95
	s_waitcnt lgkmcnt(0)
	v_mul_f64 v[81:82], v[95:96], v[83:84]
	v_fma_f64 v[81:82], v[93:94], v[105:106], -v[81:82]
	v_mul_f64 v[93:94], v[93:94], v[83:84]
	v_add_f64 v[121:122], v[121:122], -v[81:82]
	v_fma_f64 v[93:94], v[95:96], v[105:106], v[93:94]
	v_mov_b32_e32 v81, v105
	v_mov_b32_e32 v82, v106
	buffer_store_dword v81, off, s[24:27], 0 ; 4-byte Folded Spill
	s_nop 0
	buffer_store_dword v82, off, s[24:27], 0 offset:4 ; 4-byte Folded Spill
	buffer_store_dword v83, off, s[24:27], 0 offset:8 ; 4-byte Folded Spill
	;; [unrolled: 1-line block ×3, first 2 shown]
	v_add_f64 v[123:124], v[123:124], -v[93:94]
.LBB94_566:
	s_or_b64 exec, exec, s[0:1]
	v_lshl_add_u32 v93, v92, 4, v90
	s_waitcnt vmcnt(0)
	s_barrier
	ds_write2_b64 v93, v[77:78], v[79:80] offset1:1
	s_waitcnt lgkmcnt(0)
	s_barrier
	ds_read2_b64 v[117:120], v90 offset0:54 offset1:55
	s_cmp_lt_i32 s3, 29
	v_mov_b32_e32 v93, 27
	s_cbranch_scc1 .LBB94_569
; %bb.567:
	v_add_u32_e32 v94, 0x1c0, v90
	s_mov_b32 s0, 28
	v_mov_b32_e32 v93, 27
.LBB94_568:                             ; =>This Inner Loop Header: Depth=1
	s_waitcnt lgkmcnt(0)
	v_cmp_gt_f64_e32 vcc, 0, v[117:118]
	v_xor_b32_e32 v99, 0x80000000, v118
	ds_read2_b64 v[95:98], v94 offset1:1
	v_xor_b32_e32 v101, 0x80000000, v120
	v_add_u32_e32 v94, 16, v94
	s_waitcnt lgkmcnt(0)
	v_xor_b32_e32 v103, 0x80000000, v98
	v_cndmask_b32_e32 v100, v118, v99, vcc
	v_cmp_gt_f64_e32 vcc, 0, v[119:120]
	v_mov_b32_e32 v99, v117
	v_cndmask_b32_e32 v102, v120, v101, vcc
	v_cmp_gt_f64_e32 vcc, 0, v[95:96]
	v_mov_b32_e32 v101, v119
	v_add_f64 v[99:100], v[99:100], v[101:102]
	v_xor_b32_e32 v101, 0x80000000, v96
	v_cndmask_b32_e32 v102, v96, v101, vcc
	v_cmp_gt_f64_e32 vcc, 0, v[97:98]
	v_mov_b32_e32 v101, v95
	v_cndmask_b32_e32 v104, v98, v103, vcc
	v_mov_b32_e32 v103, v97
	v_add_f64 v[101:102], v[101:102], v[103:104]
	v_cmp_lt_f64_e32 vcc, v[99:100], v[101:102]
	v_cndmask_b32_e32 v117, v117, v95, vcc
	v_mov_b32_e32 v95, s0
	s_add_i32 s0, s0, 1
	v_cndmask_b32_e32 v118, v118, v96, vcc
	v_cndmask_b32_e32 v120, v120, v98, vcc
	;; [unrolled: 1-line block ×4, first 2 shown]
	s_cmp_lg_u32 s3, s0
	s_cbranch_scc1 .LBB94_568
.LBB94_569:
	s_waitcnt lgkmcnt(0)
	v_cmp_eq_f64_e32 vcc, 0, v[117:118]
	v_cmp_eq_f64_e64 s[0:1], 0, v[119:120]
	s_and_b64 s[0:1], vcc, s[0:1]
	s_and_saveexec_b64 s[18:19], s[0:1]
	s_xor_b64 s[0:1], exec, s[18:19]
; %bb.570:
	v_cmp_ne_u32_e32 vcc, 0, v91
	v_cndmask_b32_e32 v91, 28, v91, vcc
; %bb.571:
	s_andn2_saveexec_b64 s[0:1], s[0:1]
	s_cbranch_execz .LBB94_577
; %bb.572:
	v_cmp_ngt_f64_e64 s[18:19], |v[117:118]|, |v[119:120]|
	s_and_saveexec_b64 s[20:21], s[18:19]
	s_xor_b64 s[18:19], exec, s[20:21]
	s_cbranch_execz .LBB94_574
; %bb.573:
	v_div_scale_f64 v[94:95], s[20:21], v[119:120], v[119:120], v[117:118]
	v_rcp_f64_e32 v[96:97], v[94:95]
	v_fma_f64 v[98:99], -v[94:95], v[96:97], 1.0
	v_fma_f64 v[96:97], v[96:97], v[98:99], v[96:97]
	v_div_scale_f64 v[98:99], vcc, v[117:118], v[119:120], v[117:118]
	v_fma_f64 v[100:101], -v[94:95], v[96:97], 1.0
	v_fma_f64 v[96:97], v[96:97], v[100:101], v[96:97]
	v_mul_f64 v[100:101], v[98:99], v[96:97]
	v_fma_f64 v[94:95], -v[94:95], v[100:101], v[98:99]
	v_div_fmas_f64 v[94:95], v[94:95], v[96:97], v[100:101]
	v_div_fixup_f64 v[94:95], v[94:95], v[119:120], v[117:118]
	v_fma_f64 v[96:97], v[117:118], v[94:95], v[119:120]
	v_div_scale_f64 v[98:99], s[20:21], v[96:97], v[96:97], 1.0
	v_div_scale_f64 v[104:105], vcc, 1.0, v[96:97], 1.0
	v_rcp_f64_e32 v[100:101], v[98:99]
	v_fma_f64 v[102:103], -v[98:99], v[100:101], 1.0
	v_fma_f64 v[100:101], v[100:101], v[102:103], v[100:101]
	v_fma_f64 v[102:103], -v[98:99], v[100:101], 1.0
	v_fma_f64 v[100:101], v[100:101], v[102:103], v[100:101]
	v_mul_f64 v[102:103], v[104:105], v[100:101]
	v_fma_f64 v[98:99], -v[98:99], v[102:103], v[104:105]
	v_div_fmas_f64 v[98:99], v[98:99], v[100:101], v[102:103]
	v_div_fixup_f64 v[119:120], v[98:99], v[96:97], 1.0
	v_mul_f64 v[117:118], v[94:95], v[119:120]
	v_xor_b32_e32 v120, 0x80000000, v120
.LBB94_574:
	s_andn2_saveexec_b64 s[18:19], s[18:19]
	s_cbranch_execz .LBB94_576
; %bb.575:
	v_div_scale_f64 v[94:95], s[20:21], v[117:118], v[117:118], v[119:120]
	v_rcp_f64_e32 v[96:97], v[94:95]
	v_fma_f64 v[98:99], -v[94:95], v[96:97], 1.0
	v_fma_f64 v[96:97], v[96:97], v[98:99], v[96:97]
	v_div_scale_f64 v[98:99], vcc, v[119:120], v[117:118], v[119:120]
	v_fma_f64 v[100:101], -v[94:95], v[96:97], 1.0
	v_fma_f64 v[96:97], v[96:97], v[100:101], v[96:97]
	v_mul_f64 v[100:101], v[98:99], v[96:97]
	v_fma_f64 v[94:95], -v[94:95], v[100:101], v[98:99]
	v_div_fmas_f64 v[94:95], v[94:95], v[96:97], v[100:101]
	v_div_fixup_f64 v[94:95], v[94:95], v[117:118], v[119:120]
	v_fma_f64 v[96:97], v[119:120], v[94:95], v[117:118]
	v_div_scale_f64 v[98:99], s[20:21], v[96:97], v[96:97], 1.0
	v_div_scale_f64 v[104:105], vcc, 1.0, v[96:97], 1.0
	v_rcp_f64_e32 v[100:101], v[98:99]
	v_fma_f64 v[102:103], -v[98:99], v[100:101], 1.0
	v_fma_f64 v[100:101], v[100:101], v[102:103], v[100:101]
	v_fma_f64 v[102:103], -v[98:99], v[100:101], 1.0
	v_fma_f64 v[100:101], v[100:101], v[102:103], v[100:101]
	v_mul_f64 v[102:103], v[104:105], v[100:101]
	v_fma_f64 v[98:99], -v[98:99], v[102:103], v[104:105]
	v_div_fmas_f64 v[98:99], v[98:99], v[100:101], v[102:103]
	v_div_fixup_f64 v[117:118], v[98:99], v[96:97], 1.0
	v_mul_f64 v[119:120], v[94:95], -v[117:118]
.LBB94_576:
	s_or_b64 exec, exec, s[18:19]
.LBB94_577:
	s_or_b64 exec, exec, s[0:1]
	v_cmp_ne_u32_e32 vcc, v92, v93
	s_and_saveexec_b64 s[0:1], vcc
	s_xor_b64 s[0:1], exec, s[0:1]
	s_cbranch_execz .LBB94_583
; %bb.578:
	v_cmp_eq_u32_e32 vcc, 27, v92
	s_and_saveexec_b64 s[18:19], vcc
	s_cbranch_execz .LBB94_582
; %bb.579:
	v_cmp_ne_u32_e32 vcc, 27, v93
	s_xor_b64 s[20:21], s[6:7], -1
	s_and_b64 s[22:23], s[20:21], vcc
	s_and_saveexec_b64 s[20:21], s[22:23]
	s_cbranch_execz .LBB94_581
; %bb.580:
	buffer_load_dword v85, off, s[24:27], 0 offset:352 ; 4-byte Folded Reload
	buffer_load_dword v86, off, s[24:27], 0 offset:356 ; 4-byte Folded Reload
	v_ashrrev_i32_e32 v94, 31, v93
	v_lshlrev_b64 v[94:95], 2, v[93:94]
	s_waitcnt vmcnt(1)
	v_add_co_u32_e32 v94, vcc, v85, v94
	s_waitcnt vmcnt(0)
	v_addc_co_u32_e32 v95, vcc, v86, v95, vcc
	global_load_dword v0, v[94:95], off
	global_load_dword v92, v[85:86], off offset:108
	s_waitcnt vmcnt(1)
	global_store_dword v[85:86], v0, off offset:108
	v_mov_b32_e32 v85, v107
	v_mov_b32_e32 v86, v108
	v_mov_b32_e32 v87, v109
	v_mov_b32_e32 v88, v110
	s_waitcnt vmcnt(1)
	global_store_dword v[94:95], v92, off
.LBB94_581:
	s_or_b64 exec, exec, s[20:21]
	v_mov_b32_e32 v92, v93
	v_mov_b32_e32 v0, v93
.LBB94_582:
	s_or_b64 exec, exec, s[18:19]
.LBB94_583:
	s_andn2_saveexec_b64 s[0:1], s[0:1]
	s_cbranch_execz .LBB94_585
; %bb.584:
	v_mov_b32_e32 v92, 27
	ds_write2_b64 v90, v[73:74], v[75:76] offset0:56 offset1:57
	ds_write2_b64 v90, v[69:70], v[71:72] offset0:58 offset1:59
	;; [unrolled: 1-line block ×20, first 2 shown]
.LBB94_585:
	s_or_b64 exec, exec, s[0:1]
	v_cmp_lt_i32_e32 vcc, 27, v92
	s_waitcnt vmcnt(0) lgkmcnt(0)
	s_barrier
	s_and_saveexec_b64 s[0:1], vcc
	s_cbranch_execz .LBB94_587
; %bb.586:
	v_mul_f64 v[93:94], v[119:120], v[79:80]
	v_mul_f64 v[79:80], v[117:118], v[79:80]
	ds_read2_b64 v[95:98], v90 offset0:56 offset1:57
	v_fma_f64 v[93:94], v[117:118], v[77:78], -v[93:94]
	v_fma_f64 v[79:80], v[119:120], v[77:78], v[79:80]
	s_waitcnt lgkmcnt(0)
	v_mul_f64 v[77:78], v[97:98], v[79:80]
	v_fma_f64 v[77:78], v[95:96], v[93:94], -v[77:78]
	v_mul_f64 v[95:96], v[95:96], v[79:80]
	v_add_f64 v[73:74], v[73:74], -v[77:78]
	v_fma_f64 v[95:96], v[97:98], v[93:94], v[95:96]
	v_add_f64 v[75:76], v[75:76], -v[95:96]
	ds_read2_b64 v[95:98], v90 offset0:58 offset1:59
	s_waitcnt lgkmcnt(0)
	v_mul_f64 v[77:78], v[97:98], v[79:80]
	v_fma_f64 v[77:78], v[95:96], v[93:94], -v[77:78]
	v_mul_f64 v[95:96], v[95:96], v[79:80]
	v_add_f64 v[69:70], v[69:70], -v[77:78]
	v_fma_f64 v[95:96], v[97:98], v[93:94], v[95:96]
	v_add_f64 v[71:72], v[71:72], -v[95:96]
	ds_read2_b64 v[95:98], v90 offset0:60 offset1:61
	;; [unrolled: 8-line block ×19, first 2 shown]
	s_waitcnt lgkmcnt(0)
	v_mul_f64 v[77:78], v[97:98], v[79:80]
	v_fma_f64 v[77:78], v[95:96], v[93:94], -v[77:78]
	v_mul_f64 v[95:96], v[95:96], v[79:80]
	v_add_f64 v[121:122], v[121:122], -v[77:78]
	v_fma_f64 v[95:96], v[97:98], v[93:94], v[95:96]
	v_mov_b32_e32 v77, v93
	v_mov_b32_e32 v78, v94
	v_add_f64 v[123:124], v[123:124], -v[95:96]
.LBB94_587:
	s_or_b64 exec, exec, s[0:1]
	v_lshl_add_u32 v93, v92, 4, v90
	s_barrier
	ds_write2_b64 v93, v[73:74], v[75:76] offset1:1
	s_waitcnt lgkmcnt(0)
	s_barrier
	ds_read2_b64 v[117:120], v90 offset0:56 offset1:57
	s_cmp_lt_i32 s3, 30
	v_mov_b32_e32 v93, 28
	s_cbranch_scc1 .LBB94_590
; %bb.588:
	v_add_u32_e32 v94, 0x1d0, v90
	s_mov_b32 s0, 29
	v_mov_b32_e32 v93, 28
.LBB94_589:                             ; =>This Inner Loop Header: Depth=1
	s_waitcnt lgkmcnt(0)
	v_cmp_gt_f64_e32 vcc, 0, v[117:118]
	v_xor_b32_e32 v99, 0x80000000, v118
	ds_read2_b64 v[95:98], v94 offset1:1
	v_xor_b32_e32 v101, 0x80000000, v120
	v_add_u32_e32 v94, 16, v94
	s_waitcnt lgkmcnt(0)
	v_xor_b32_e32 v103, 0x80000000, v98
	v_cndmask_b32_e32 v100, v118, v99, vcc
	v_cmp_gt_f64_e32 vcc, 0, v[119:120]
	v_mov_b32_e32 v99, v117
	v_cndmask_b32_e32 v102, v120, v101, vcc
	v_cmp_gt_f64_e32 vcc, 0, v[95:96]
	v_mov_b32_e32 v101, v119
	v_add_f64 v[99:100], v[99:100], v[101:102]
	v_xor_b32_e32 v101, 0x80000000, v96
	v_cndmask_b32_e32 v102, v96, v101, vcc
	v_cmp_gt_f64_e32 vcc, 0, v[97:98]
	v_mov_b32_e32 v101, v95
	v_cndmask_b32_e32 v104, v98, v103, vcc
	v_mov_b32_e32 v103, v97
	v_add_f64 v[101:102], v[101:102], v[103:104]
	v_cmp_lt_f64_e32 vcc, v[99:100], v[101:102]
	v_cndmask_b32_e32 v117, v117, v95, vcc
	v_mov_b32_e32 v95, s0
	s_add_i32 s0, s0, 1
	v_cndmask_b32_e32 v118, v118, v96, vcc
	v_cndmask_b32_e32 v120, v120, v98, vcc
	;; [unrolled: 1-line block ×4, first 2 shown]
	s_cmp_lg_u32 s3, s0
	s_cbranch_scc1 .LBB94_589
.LBB94_590:
	s_waitcnt lgkmcnt(0)
	v_cmp_eq_f64_e32 vcc, 0, v[117:118]
	v_cmp_eq_f64_e64 s[0:1], 0, v[119:120]
	s_and_b64 s[0:1], vcc, s[0:1]
	s_and_saveexec_b64 s[18:19], s[0:1]
	s_xor_b64 s[0:1], exec, s[18:19]
; %bb.591:
	v_cmp_ne_u32_e32 vcc, 0, v91
	v_cndmask_b32_e32 v91, 29, v91, vcc
; %bb.592:
	s_andn2_saveexec_b64 s[0:1], s[0:1]
	s_cbranch_execz .LBB94_598
; %bb.593:
	v_cmp_ngt_f64_e64 s[18:19], |v[117:118]|, |v[119:120]|
	s_and_saveexec_b64 s[20:21], s[18:19]
	s_xor_b64 s[18:19], exec, s[20:21]
	s_cbranch_execz .LBB94_595
; %bb.594:
	v_div_scale_f64 v[94:95], s[20:21], v[119:120], v[119:120], v[117:118]
	v_rcp_f64_e32 v[96:97], v[94:95]
	v_fma_f64 v[98:99], -v[94:95], v[96:97], 1.0
	v_fma_f64 v[96:97], v[96:97], v[98:99], v[96:97]
	v_div_scale_f64 v[98:99], vcc, v[117:118], v[119:120], v[117:118]
	v_fma_f64 v[100:101], -v[94:95], v[96:97], 1.0
	v_fma_f64 v[96:97], v[96:97], v[100:101], v[96:97]
	v_mul_f64 v[100:101], v[98:99], v[96:97]
	v_fma_f64 v[94:95], -v[94:95], v[100:101], v[98:99]
	v_div_fmas_f64 v[94:95], v[94:95], v[96:97], v[100:101]
	v_div_fixup_f64 v[94:95], v[94:95], v[119:120], v[117:118]
	v_fma_f64 v[96:97], v[117:118], v[94:95], v[119:120]
	v_div_scale_f64 v[98:99], s[20:21], v[96:97], v[96:97], 1.0
	v_div_scale_f64 v[104:105], vcc, 1.0, v[96:97], 1.0
	v_rcp_f64_e32 v[100:101], v[98:99]
	v_fma_f64 v[102:103], -v[98:99], v[100:101], 1.0
	v_fma_f64 v[100:101], v[100:101], v[102:103], v[100:101]
	v_fma_f64 v[102:103], -v[98:99], v[100:101], 1.0
	v_fma_f64 v[100:101], v[100:101], v[102:103], v[100:101]
	v_mul_f64 v[102:103], v[104:105], v[100:101]
	v_fma_f64 v[98:99], -v[98:99], v[102:103], v[104:105]
	v_div_fmas_f64 v[98:99], v[98:99], v[100:101], v[102:103]
	v_div_fixup_f64 v[119:120], v[98:99], v[96:97], 1.0
	v_mul_f64 v[117:118], v[94:95], v[119:120]
	v_xor_b32_e32 v120, 0x80000000, v120
.LBB94_595:
	s_andn2_saveexec_b64 s[18:19], s[18:19]
	s_cbranch_execz .LBB94_597
; %bb.596:
	v_div_scale_f64 v[94:95], s[20:21], v[117:118], v[117:118], v[119:120]
	v_rcp_f64_e32 v[96:97], v[94:95]
	v_fma_f64 v[98:99], -v[94:95], v[96:97], 1.0
	v_fma_f64 v[96:97], v[96:97], v[98:99], v[96:97]
	v_div_scale_f64 v[98:99], vcc, v[119:120], v[117:118], v[119:120]
	v_fma_f64 v[100:101], -v[94:95], v[96:97], 1.0
	v_fma_f64 v[96:97], v[96:97], v[100:101], v[96:97]
	v_mul_f64 v[100:101], v[98:99], v[96:97]
	v_fma_f64 v[94:95], -v[94:95], v[100:101], v[98:99]
	v_div_fmas_f64 v[94:95], v[94:95], v[96:97], v[100:101]
	v_div_fixup_f64 v[94:95], v[94:95], v[117:118], v[119:120]
	v_fma_f64 v[96:97], v[119:120], v[94:95], v[117:118]
	v_div_scale_f64 v[98:99], s[20:21], v[96:97], v[96:97], 1.0
	v_div_scale_f64 v[104:105], vcc, 1.0, v[96:97], 1.0
	v_rcp_f64_e32 v[100:101], v[98:99]
	v_fma_f64 v[102:103], -v[98:99], v[100:101], 1.0
	v_fma_f64 v[100:101], v[100:101], v[102:103], v[100:101]
	v_fma_f64 v[102:103], -v[98:99], v[100:101], 1.0
	v_fma_f64 v[100:101], v[100:101], v[102:103], v[100:101]
	v_mul_f64 v[102:103], v[104:105], v[100:101]
	v_fma_f64 v[98:99], -v[98:99], v[102:103], v[104:105]
	v_div_fmas_f64 v[98:99], v[98:99], v[100:101], v[102:103]
	v_div_fixup_f64 v[117:118], v[98:99], v[96:97], 1.0
	v_mul_f64 v[119:120], v[94:95], -v[117:118]
.LBB94_597:
	s_or_b64 exec, exec, s[18:19]
.LBB94_598:
	s_or_b64 exec, exec, s[0:1]
	v_cmp_ne_u32_e32 vcc, v92, v93
	s_and_saveexec_b64 s[0:1], vcc
	s_xor_b64 s[0:1], exec, s[0:1]
	s_cbranch_execz .LBB94_604
; %bb.599:
	v_cmp_eq_u32_e32 vcc, 28, v92
	s_and_saveexec_b64 s[18:19], vcc
	s_cbranch_execz .LBB94_603
; %bb.600:
	v_cmp_ne_u32_e32 vcc, 28, v93
	s_xor_b64 s[20:21], s[6:7], -1
	s_and_b64 s[22:23], s[20:21], vcc
	s_and_saveexec_b64 s[20:21], s[22:23]
	s_cbranch_execz .LBB94_602
; %bb.601:
	buffer_load_dword v85, off, s[24:27], 0 offset:352 ; 4-byte Folded Reload
	buffer_load_dword v86, off, s[24:27], 0 offset:356 ; 4-byte Folded Reload
	v_ashrrev_i32_e32 v94, 31, v93
	v_lshlrev_b64 v[94:95], 2, v[93:94]
	s_waitcnt vmcnt(1)
	v_add_co_u32_e32 v94, vcc, v85, v94
	s_waitcnt vmcnt(0)
	v_addc_co_u32_e32 v95, vcc, v86, v95, vcc
	global_load_dword v0, v[94:95], off
	global_load_dword v92, v[85:86], off offset:112
	s_waitcnt vmcnt(1)
	global_store_dword v[85:86], v0, off offset:112
	v_mov_b32_e32 v85, v107
	v_mov_b32_e32 v86, v108
	;; [unrolled: 1-line block ×4, first 2 shown]
	s_waitcnt vmcnt(1)
	global_store_dword v[94:95], v92, off
.LBB94_602:
	s_or_b64 exec, exec, s[20:21]
	v_mov_b32_e32 v92, v93
	v_mov_b32_e32 v0, v93
.LBB94_603:
	s_or_b64 exec, exec, s[18:19]
.LBB94_604:
	s_andn2_saveexec_b64 s[0:1], s[0:1]
	s_cbranch_execz .LBB94_606
; %bb.605:
	v_mov_b32_e32 v92, 28
	ds_write2_b64 v90, v[69:70], v[71:72] offset0:58 offset1:59
	ds_write2_b64 v90, v[65:66], v[67:68] offset0:60 offset1:61
	;; [unrolled: 1-line block ×19, first 2 shown]
.LBB94_606:
	s_or_b64 exec, exec, s[0:1]
	v_cmp_lt_i32_e32 vcc, 28, v92
	s_waitcnt vmcnt(0) lgkmcnt(0)
	s_barrier
	s_and_saveexec_b64 s[0:1], vcc
	s_cbranch_execz .LBB94_608
; %bb.607:
	v_mul_f64 v[93:94], v[119:120], v[75:76]
	v_mul_f64 v[75:76], v[117:118], v[75:76]
	ds_read2_b64 v[95:98], v90 offset0:58 offset1:59
	v_fma_f64 v[93:94], v[117:118], v[73:74], -v[93:94]
	v_fma_f64 v[75:76], v[119:120], v[73:74], v[75:76]
	s_waitcnt lgkmcnt(0)
	v_mul_f64 v[73:74], v[97:98], v[75:76]
	v_fma_f64 v[73:74], v[95:96], v[93:94], -v[73:74]
	v_mul_f64 v[95:96], v[95:96], v[75:76]
	v_add_f64 v[69:70], v[69:70], -v[73:74]
	v_fma_f64 v[95:96], v[97:98], v[93:94], v[95:96]
	v_add_f64 v[71:72], v[71:72], -v[95:96]
	ds_read2_b64 v[95:98], v90 offset0:60 offset1:61
	s_waitcnt lgkmcnt(0)
	v_mul_f64 v[73:74], v[97:98], v[75:76]
	v_fma_f64 v[73:74], v[95:96], v[93:94], -v[73:74]
	v_mul_f64 v[95:96], v[95:96], v[75:76]
	v_add_f64 v[65:66], v[65:66], -v[73:74]
	v_fma_f64 v[95:96], v[97:98], v[93:94], v[95:96]
	v_add_f64 v[67:68], v[67:68], -v[95:96]
	ds_read2_b64 v[95:98], v90 offset0:62 offset1:63
	;; [unrolled: 8-line block ×18, first 2 shown]
	s_waitcnt lgkmcnt(0)
	v_mul_f64 v[73:74], v[97:98], v[75:76]
	v_fma_f64 v[73:74], v[95:96], v[93:94], -v[73:74]
	v_mul_f64 v[95:96], v[95:96], v[75:76]
	v_add_f64 v[121:122], v[121:122], -v[73:74]
	v_fma_f64 v[95:96], v[97:98], v[93:94], v[95:96]
	v_mov_b32_e32 v73, v93
	v_mov_b32_e32 v74, v94
	v_add_f64 v[123:124], v[123:124], -v[95:96]
.LBB94_608:
	s_or_b64 exec, exec, s[0:1]
	v_lshl_add_u32 v93, v92, 4, v90
	s_barrier
	ds_write2_b64 v93, v[69:70], v[71:72] offset1:1
	s_waitcnt lgkmcnt(0)
	s_barrier
	ds_read2_b64 v[117:120], v90 offset0:58 offset1:59
	s_cmp_lt_i32 s3, 31
	v_mov_b32_e32 v93, 29
	s_cbranch_scc1 .LBB94_611
; %bb.609:
	v_add_u32_e32 v94, 0x1e0, v90
	s_mov_b32 s0, 30
	v_mov_b32_e32 v93, 29
.LBB94_610:                             ; =>This Inner Loop Header: Depth=1
	s_waitcnt lgkmcnt(0)
	v_cmp_gt_f64_e32 vcc, 0, v[117:118]
	v_xor_b32_e32 v99, 0x80000000, v118
	ds_read2_b64 v[95:98], v94 offset1:1
	v_xor_b32_e32 v101, 0x80000000, v120
	v_add_u32_e32 v94, 16, v94
	s_waitcnt lgkmcnt(0)
	v_xor_b32_e32 v103, 0x80000000, v98
	v_cndmask_b32_e32 v100, v118, v99, vcc
	v_cmp_gt_f64_e32 vcc, 0, v[119:120]
	v_mov_b32_e32 v99, v117
	v_cndmask_b32_e32 v102, v120, v101, vcc
	v_cmp_gt_f64_e32 vcc, 0, v[95:96]
	v_mov_b32_e32 v101, v119
	v_add_f64 v[99:100], v[99:100], v[101:102]
	v_xor_b32_e32 v101, 0x80000000, v96
	v_cndmask_b32_e32 v102, v96, v101, vcc
	v_cmp_gt_f64_e32 vcc, 0, v[97:98]
	v_mov_b32_e32 v101, v95
	v_cndmask_b32_e32 v104, v98, v103, vcc
	v_mov_b32_e32 v103, v97
	v_add_f64 v[101:102], v[101:102], v[103:104]
	v_cmp_lt_f64_e32 vcc, v[99:100], v[101:102]
	v_cndmask_b32_e32 v117, v117, v95, vcc
	v_mov_b32_e32 v95, s0
	s_add_i32 s0, s0, 1
	v_cndmask_b32_e32 v118, v118, v96, vcc
	v_cndmask_b32_e32 v120, v120, v98, vcc
	;; [unrolled: 1-line block ×4, first 2 shown]
	s_cmp_lg_u32 s3, s0
	s_cbranch_scc1 .LBB94_610
.LBB94_611:
	s_waitcnt lgkmcnt(0)
	v_cmp_eq_f64_e32 vcc, 0, v[117:118]
	v_cmp_eq_f64_e64 s[0:1], 0, v[119:120]
	s_and_b64 s[0:1], vcc, s[0:1]
	s_and_saveexec_b64 s[18:19], s[0:1]
	s_xor_b64 s[0:1], exec, s[18:19]
; %bb.612:
	v_cmp_ne_u32_e32 vcc, 0, v91
	v_cndmask_b32_e32 v91, 30, v91, vcc
; %bb.613:
	s_andn2_saveexec_b64 s[0:1], s[0:1]
	s_cbranch_execz .LBB94_619
; %bb.614:
	v_cmp_ngt_f64_e64 s[18:19], |v[117:118]|, |v[119:120]|
	s_and_saveexec_b64 s[20:21], s[18:19]
	s_xor_b64 s[18:19], exec, s[20:21]
	s_cbranch_execz .LBB94_616
; %bb.615:
	v_div_scale_f64 v[94:95], s[20:21], v[119:120], v[119:120], v[117:118]
	v_rcp_f64_e32 v[96:97], v[94:95]
	v_fma_f64 v[98:99], -v[94:95], v[96:97], 1.0
	v_fma_f64 v[96:97], v[96:97], v[98:99], v[96:97]
	v_div_scale_f64 v[98:99], vcc, v[117:118], v[119:120], v[117:118]
	v_fma_f64 v[100:101], -v[94:95], v[96:97], 1.0
	v_fma_f64 v[96:97], v[96:97], v[100:101], v[96:97]
	v_mul_f64 v[100:101], v[98:99], v[96:97]
	v_fma_f64 v[94:95], -v[94:95], v[100:101], v[98:99]
	v_div_fmas_f64 v[94:95], v[94:95], v[96:97], v[100:101]
	v_div_fixup_f64 v[94:95], v[94:95], v[119:120], v[117:118]
	v_fma_f64 v[96:97], v[117:118], v[94:95], v[119:120]
	v_div_scale_f64 v[98:99], s[20:21], v[96:97], v[96:97], 1.0
	v_div_scale_f64 v[104:105], vcc, 1.0, v[96:97], 1.0
	v_rcp_f64_e32 v[100:101], v[98:99]
	v_fma_f64 v[102:103], -v[98:99], v[100:101], 1.0
	v_fma_f64 v[100:101], v[100:101], v[102:103], v[100:101]
	v_fma_f64 v[102:103], -v[98:99], v[100:101], 1.0
	v_fma_f64 v[100:101], v[100:101], v[102:103], v[100:101]
	v_mul_f64 v[102:103], v[104:105], v[100:101]
	v_fma_f64 v[98:99], -v[98:99], v[102:103], v[104:105]
	v_div_fmas_f64 v[98:99], v[98:99], v[100:101], v[102:103]
	v_div_fixup_f64 v[119:120], v[98:99], v[96:97], 1.0
	v_mul_f64 v[117:118], v[94:95], v[119:120]
	v_xor_b32_e32 v120, 0x80000000, v120
.LBB94_616:
	s_andn2_saveexec_b64 s[18:19], s[18:19]
	s_cbranch_execz .LBB94_618
; %bb.617:
	v_div_scale_f64 v[94:95], s[20:21], v[117:118], v[117:118], v[119:120]
	v_rcp_f64_e32 v[96:97], v[94:95]
	v_fma_f64 v[98:99], -v[94:95], v[96:97], 1.0
	v_fma_f64 v[96:97], v[96:97], v[98:99], v[96:97]
	v_div_scale_f64 v[98:99], vcc, v[119:120], v[117:118], v[119:120]
	v_fma_f64 v[100:101], -v[94:95], v[96:97], 1.0
	v_fma_f64 v[96:97], v[96:97], v[100:101], v[96:97]
	v_mul_f64 v[100:101], v[98:99], v[96:97]
	v_fma_f64 v[94:95], -v[94:95], v[100:101], v[98:99]
	v_div_fmas_f64 v[94:95], v[94:95], v[96:97], v[100:101]
	v_div_fixup_f64 v[94:95], v[94:95], v[117:118], v[119:120]
	v_fma_f64 v[96:97], v[119:120], v[94:95], v[117:118]
	v_div_scale_f64 v[98:99], s[20:21], v[96:97], v[96:97], 1.0
	v_div_scale_f64 v[104:105], vcc, 1.0, v[96:97], 1.0
	v_rcp_f64_e32 v[100:101], v[98:99]
	v_fma_f64 v[102:103], -v[98:99], v[100:101], 1.0
	v_fma_f64 v[100:101], v[100:101], v[102:103], v[100:101]
	v_fma_f64 v[102:103], -v[98:99], v[100:101], 1.0
	v_fma_f64 v[100:101], v[100:101], v[102:103], v[100:101]
	v_mul_f64 v[102:103], v[104:105], v[100:101]
	v_fma_f64 v[98:99], -v[98:99], v[102:103], v[104:105]
	v_div_fmas_f64 v[98:99], v[98:99], v[100:101], v[102:103]
	v_div_fixup_f64 v[117:118], v[98:99], v[96:97], 1.0
	v_mul_f64 v[119:120], v[94:95], -v[117:118]
.LBB94_618:
	s_or_b64 exec, exec, s[18:19]
.LBB94_619:
	s_or_b64 exec, exec, s[0:1]
	v_cmp_ne_u32_e32 vcc, v92, v93
	s_and_saveexec_b64 s[0:1], vcc
	s_xor_b64 s[0:1], exec, s[0:1]
	s_cbranch_execz .LBB94_625
; %bb.620:
	v_cmp_eq_u32_e32 vcc, 29, v92
	s_and_saveexec_b64 s[18:19], vcc
	s_cbranch_execz .LBB94_624
; %bb.621:
	v_cmp_ne_u32_e32 vcc, 29, v93
	s_xor_b64 s[20:21], s[6:7], -1
	s_and_b64 s[22:23], s[20:21], vcc
	s_and_saveexec_b64 s[20:21], s[22:23]
	s_cbranch_execz .LBB94_623
; %bb.622:
	buffer_load_dword v85, off, s[24:27], 0 offset:352 ; 4-byte Folded Reload
	buffer_load_dword v86, off, s[24:27], 0 offset:356 ; 4-byte Folded Reload
	v_ashrrev_i32_e32 v94, 31, v93
	v_lshlrev_b64 v[94:95], 2, v[93:94]
	s_waitcnt vmcnt(1)
	v_add_co_u32_e32 v94, vcc, v85, v94
	s_waitcnt vmcnt(0)
	v_addc_co_u32_e32 v95, vcc, v86, v95, vcc
	global_load_dword v0, v[94:95], off
	global_load_dword v92, v[85:86], off offset:116
	s_waitcnt vmcnt(1)
	global_store_dword v[85:86], v0, off offset:116
	v_mov_b32_e32 v85, v107
	v_mov_b32_e32 v86, v108
	;; [unrolled: 1-line block ×4, first 2 shown]
	s_waitcnt vmcnt(1)
	global_store_dword v[94:95], v92, off
.LBB94_623:
	s_or_b64 exec, exec, s[20:21]
	v_mov_b32_e32 v92, v93
	v_mov_b32_e32 v0, v93
.LBB94_624:
	s_or_b64 exec, exec, s[18:19]
.LBB94_625:
	s_andn2_saveexec_b64 s[0:1], s[0:1]
	s_cbranch_execz .LBB94_627
; %bb.626:
	v_mov_b32_e32 v92, 29
	ds_write2_b64 v90, v[65:66], v[67:68] offset0:60 offset1:61
	ds_write2_b64 v90, v[61:62], v[63:64] offset0:62 offset1:63
	;; [unrolled: 1-line block ×18, first 2 shown]
.LBB94_627:
	s_or_b64 exec, exec, s[0:1]
	v_cmp_lt_i32_e32 vcc, 29, v92
	s_waitcnt vmcnt(0) lgkmcnt(0)
	s_barrier
	s_and_saveexec_b64 s[0:1], vcc
	s_cbranch_execz .LBB94_629
; %bb.628:
	v_mul_f64 v[93:94], v[119:120], v[71:72]
	v_mul_f64 v[71:72], v[117:118], v[71:72]
	ds_read2_b64 v[95:98], v90 offset0:60 offset1:61
	v_fma_f64 v[93:94], v[117:118], v[69:70], -v[93:94]
	v_fma_f64 v[71:72], v[119:120], v[69:70], v[71:72]
	s_waitcnt lgkmcnt(0)
	v_mul_f64 v[69:70], v[97:98], v[71:72]
	v_fma_f64 v[69:70], v[95:96], v[93:94], -v[69:70]
	v_mul_f64 v[95:96], v[95:96], v[71:72]
	v_add_f64 v[65:66], v[65:66], -v[69:70]
	v_fma_f64 v[95:96], v[97:98], v[93:94], v[95:96]
	v_add_f64 v[67:68], v[67:68], -v[95:96]
	ds_read2_b64 v[95:98], v90 offset0:62 offset1:63
	s_waitcnt lgkmcnt(0)
	v_mul_f64 v[69:70], v[97:98], v[71:72]
	v_fma_f64 v[69:70], v[95:96], v[93:94], -v[69:70]
	v_mul_f64 v[95:96], v[95:96], v[71:72]
	v_add_f64 v[61:62], v[61:62], -v[69:70]
	v_fma_f64 v[95:96], v[97:98], v[93:94], v[95:96]
	v_add_f64 v[63:64], v[63:64], -v[95:96]
	ds_read2_b64 v[95:98], v90 offset0:64 offset1:65
	;; [unrolled: 8-line block ×17, first 2 shown]
	s_waitcnt lgkmcnt(0)
	v_mul_f64 v[69:70], v[97:98], v[71:72]
	v_fma_f64 v[69:70], v[95:96], v[93:94], -v[69:70]
	v_mul_f64 v[95:96], v[95:96], v[71:72]
	v_add_f64 v[121:122], v[121:122], -v[69:70]
	v_fma_f64 v[95:96], v[97:98], v[93:94], v[95:96]
	v_mov_b32_e32 v69, v93
	v_mov_b32_e32 v70, v94
	v_add_f64 v[123:124], v[123:124], -v[95:96]
.LBB94_629:
	s_or_b64 exec, exec, s[0:1]
	v_lshl_add_u32 v93, v92, 4, v90
	s_barrier
	ds_write2_b64 v93, v[65:66], v[67:68] offset1:1
	s_waitcnt lgkmcnt(0)
	s_barrier
	ds_read2_b64 v[117:120], v90 offset0:60 offset1:61
	s_cmp_lt_i32 s3, 32
	v_mov_b32_e32 v93, 30
	s_cbranch_scc1 .LBB94_632
; %bb.630:
	v_add_u32_e32 v94, 0x1f0, v90
	s_mov_b32 s0, 31
	v_mov_b32_e32 v93, 30
.LBB94_631:                             ; =>This Inner Loop Header: Depth=1
	s_waitcnt lgkmcnt(0)
	v_cmp_gt_f64_e32 vcc, 0, v[117:118]
	v_xor_b32_e32 v99, 0x80000000, v118
	ds_read2_b64 v[95:98], v94 offset1:1
	v_xor_b32_e32 v101, 0x80000000, v120
	v_add_u32_e32 v94, 16, v94
	s_waitcnt lgkmcnt(0)
	v_xor_b32_e32 v103, 0x80000000, v98
	v_cndmask_b32_e32 v100, v118, v99, vcc
	v_cmp_gt_f64_e32 vcc, 0, v[119:120]
	v_mov_b32_e32 v99, v117
	v_cndmask_b32_e32 v102, v120, v101, vcc
	v_cmp_gt_f64_e32 vcc, 0, v[95:96]
	v_mov_b32_e32 v101, v119
	v_add_f64 v[99:100], v[99:100], v[101:102]
	v_xor_b32_e32 v101, 0x80000000, v96
	v_cndmask_b32_e32 v102, v96, v101, vcc
	v_cmp_gt_f64_e32 vcc, 0, v[97:98]
	v_mov_b32_e32 v101, v95
	v_cndmask_b32_e32 v104, v98, v103, vcc
	v_mov_b32_e32 v103, v97
	v_add_f64 v[101:102], v[101:102], v[103:104]
	v_cmp_lt_f64_e32 vcc, v[99:100], v[101:102]
	v_cndmask_b32_e32 v117, v117, v95, vcc
	v_mov_b32_e32 v95, s0
	s_add_i32 s0, s0, 1
	v_cndmask_b32_e32 v118, v118, v96, vcc
	v_cndmask_b32_e32 v120, v120, v98, vcc
	;; [unrolled: 1-line block ×4, first 2 shown]
	s_cmp_lg_u32 s3, s0
	s_cbranch_scc1 .LBB94_631
.LBB94_632:
	s_waitcnt lgkmcnt(0)
	v_cmp_eq_f64_e32 vcc, 0, v[117:118]
	v_cmp_eq_f64_e64 s[0:1], 0, v[119:120]
	s_and_b64 s[0:1], vcc, s[0:1]
	s_and_saveexec_b64 s[18:19], s[0:1]
	s_xor_b64 s[0:1], exec, s[18:19]
; %bb.633:
	v_cmp_ne_u32_e32 vcc, 0, v91
	v_cndmask_b32_e32 v91, 31, v91, vcc
; %bb.634:
	s_andn2_saveexec_b64 s[0:1], s[0:1]
	s_cbranch_execz .LBB94_640
; %bb.635:
	v_cmp_ngt_f64_e64 s[18:19], |v[117:118]|, |v[119:120]|
	s_and_saveexec_b64 s[20:21], s[18:19]
	s_xor_b64 s[18:19], exec, s[20:21]
	s_cbranch_execz .LBB94_637
; %bb.636:
	v_div_scale_f64 v[94:95], s[20:21], v[119:120], v[119:120], v[117:118]
	v_rcp_f64_e32 v[96:97], v[94:95]
	v_fma_f64 v[98:99], -v[94:95], v[96:97], 1.0
	v_fma_f64 v[96:97], v[96:97], v[98:99], v[96:97]
	v_div_scale_f64 v[98:99], vcc, v[117:118], v[119:120], v[117:118]
	v_fma_f64 v[100:101], -v[94:95], v[96:97], 1.0
	v_fma_f64 v[96:97], v[96:97], v[100:101], v[96:97]
	v_mul_f64 v[100:101], v[98:99], v[96:97]
	v_fma_f64 v[94:95], -v[94:95], v[100:101], v[98:99]
	v_div_fmas_f64 v[94:95], v[94:95], v[96:97], v[100:101]
	v_div_fixup_f64 v[94:95], v[94:95], v[119:120], v[117:118]
	v_fma_f64 v[96:97], v[117:118], v[94:95], v[119:120]
	v_div_scale_f64 v[98:99], s[20:21], v[96:97], v[96:97], 1.0
	v_div_scale_f64 v[104:105], vcc, 1.0, v[96:97], 1.0
	v_rcp_f64_e32 v[100:101], v[98:99]
	v_fma_f64 v[102:103], -v[98:99], v[100:101], 1.0
	v_fma_f64 v[100:101], v[100:101], v[102:103], v[100:101]
	v_fma_f64 v[102:103], -v[98:99], v[100:101], 1.0
	v_fma_f64 v[100:101], v[100:101], v[102:103], v[100:101]
	v_mul_f64 v[102:103], v[104:105], v[100:101]
	v_fma_f64 v[98:99], -v[98:99], v[102:103], v[104:105]
	v_div_fmas_f64 v[98:99], v[98:99], v[100:101], v[102:103]
	v_div_fixup_f64 v[119:120], v[98:99], v[96:97], 1.0
	v_mul_f64 v[117:118], v[94:95], v[119:120]
	v_xor_b32_e32 v120, 0x80000000, v120
.LBB94_637:
	s_andn2_saveexec_b64 s[18:19], s[18:19]
	s_cbranch_execz .LBB94_639
; %bb.638:
	v_div_scale_f64 v[94:95], s[20:21], v[117:118], v[117:118], v[119:120]
	v_rcp_f64_e32 v[96:97], v[94:95]
	v_fma_f64 v[98:99], -v[94:95], v[96:97], 1.0
	v_fma_f64 v[96:97], v[96:97], v[98:99], v[96:97]
	v_div_scale_f64 v[98:99], vcc, v[119:120], v[117:118], v[119:120]
	v_fma_f64 v[100:101], -v[94:95], v[96:97], 1.0
	v_fma_f64 v[96:97], v[96:97], v[100:101], v[96:97]
	v_mul_f64 v[100:101], v[98:99], v[96:97]
	v_fma_f64 v[94:95], -v[94:95], v[100:101], v[98:99]
	v_div_fmas_f64 v[94:95], v[94:95], v[96:97], v[100:101]
	v_div_fixup_f64 v[94:95], v[94:95], v[117:118], v[119:120]
	v_fma_f64 v[96:97], v[119:120], v[94:95], v[117:118]
	v_div_scale_f64 v[98:99], s[20:21], v[96:97], v[96:97], 1.0
	v_div_scale_f64 v[104:105], vcc, 1.0, v[96:97], 1.0
	v_rcp_f64_e32 v[100:101], v[98:99]
	v_fma_f64 v[102:103], -v[98:99], v[100:101], 1.0
	v_fma_f64 v[100:101], v[100:101], v[102:103], v[100:101]
	v_fma_f64 v[102:103], -v[98:99], v[100:101], 1.0
	v_fma_f64 v[100:101], v[100:101], v[102:103], v[100:101]
	v_mul_f64 v[102:103], v[104:105], v[100:101]
	v_fma_f64 v[98:99], -v[98:99], v[102:103], v[104:105]
	v_div_fmas_f64 v[98:99], v[98:99], v[100:101], v[102:103]
	v_div_fixup_f64 v[117:118], v[98:99], v[96:97], 1.0
	v_mul_f64 v[119:120], v[94:95], -v[117:118]
.LBB94_639:
	s_or_b64 exec, exec, s[18:19]
.LBB94_640:
	s_or_b64 exec, exec, s[0:1]
	v_cmp_ne_u32_e32 vcc, v92, v93
	s_and_saveexec_b64 s[0:1], vcc
	s_xor_b64 s[0:1], exec, s[0:1]
	s_cbranch_execz .LBB94_646
; %bb.641:
	v_cmp_eq_u32_e32 vcc, 30, v92
	s_and_saveexec_b64 s[18:19], vcc
	s_cbranch_execz .LBB94_645
; %bb.642:
	v_cmp_ne_u32_e32 vcc, 30, v93
	s_xor_b64 s[20:21], s[6:7], -1
	s_and_b64 s[22:23], s[20:21], vcc
	s_and_saveexec_b64 s[20:21], s[22:23]
	s_cbranch_execz .LBB94_644
; %bb.643:
	buffer_load_dword v85, off, s[24:27], 0 offset:352 ; 4-byte Folded Reload
	buffer_load_dword v86, off, s[24:27], 0 offset:356 ; 4-byte Folded Reload
	v_ashrrev_i32_e32 v94, 31, v93
	v_lshlrev_b64 v[94:95], 2, v[93:94]
	s_waitcnt vmcnt(1)
	v_add_co_u32_e32 v94, vcc, v85, v94
	s_waitcnt vmcnt(0)
	v_addc_co_u32_e32 v95, vcc, v86, v95, vcc
	global_load_dword v0, v[94:95], off
	global_load_dword v92, v[85:86], off offset:120
	s_waitcnt vmcnt(1)
	global_store_dword v[85:86], v0, off offset:120
	v_mov_b32_e32 v85, v107
	v_mov_b32_e32 v86, v108
	;; [unrolled: 1-line block ×4, first 2 shown]
	s_waitcnt vmcnt(1)
	global_store_dword v[94:95], v92, off
.LBB94_644:
	s_or_b64 exec, exec, s[20:21]
	v_mov_b32_e32 v92, v93
	v_mov_b32_e32 v0, v93
.LBB94_645:
	s_or_b64 exec, exec, s[18:19]
.LBB94_646:
	s_andn2_saveexec_b64 s[0:1], s[0:1]
	s_cbranch_execz .LBB94_648
; %bb.647:
	v_mov_b32_e32 v92, 30
	ds_write2_b64 v90, v[61:62], v[63:64] offset0:62 offset1:63
	ds_write2_b64 v90, v[57:58], v[59:60] offset0:64 offset1:65
	;; [unrolled: 1-line block ×17, first 2 shown]
.LBB94_648:
	s_or_b64 exec, exec, s[0:1]
	v_cmp_lt_i32_e32 vcc, 30, v92
	s_waitcnt vmcnt(0) lgkmcnt(0)
	s_barrier
	s_and_saveexec_b64 s[0:1], vcc
	s_cbranch_execz .LBB94_650
; %bb.649:
	v_mul_f64 v[93:94], v[119:120], v[67:68]
	v_mul_f64 v[67:68], v[117:118], v[67:68]
	ds_read2_b64 v[95:98], v90 offset0:62 offset1:63
	v_fma_f64 v[93:94], v[117:118], v[65:66], -v[93:94]
	v_fma_f64 v[67:68], v[119:120], v[65:66], v[67:68]
	s_waitcnt lgkmcnt(0)
	v_mul_f64 v[65:66], v[97:98], v[67:68]
	v_fma_f64 v[65:66], v[95:96], v[93:94], -v[65:66]
	v_mul_f64 v[95:96], v[95:96], v[67:68]
	v_add_f64 v[61:62], v[61:62], -v[65:66]
	v_fma_f64 v[95:96], v[97:98], v[93:94], v[95:96]
	v_add_f64 v[63:64], v[63:64], -v[95:96]
	ds_read2_b64 v[95:98], v90 offset0:64 offset1:65
	s_waitcnt lgkmcnt(0)
	v_mul_f64 v[65:66], v[97:98], v[67:68]
	v_fma_f64 v[65:66], v[95:96], v[93:94], -v[65:66]
	v_mul_f64 v[95:96], v[95:96], v[67:68]
	v_add_f64 v[57:58], v[57:58], -v[65:66]
	v_fma_f64 v[95:96], v[97:98], v[93:94], v[95:96]
	v_add_f64 v[59:60], v[59:60], -v[95:96]
	ds_read2_b64 v[95:98], v90 offset0:66 offset1:67
	;; [unrolled: 8-line block ×16, first 2 shown]
	s_waitcnt lgkmcnt(0)
	v_mul_f64 v[65:66], v[97:98], v[67:68]
	v_fma_f64 v[65:66], v[95:96], v[93:94], -v[65:66]
	v_mul_f64 v[95:96], v[95:96], v[67:68]
	v_add_f64 v[121:122], v[121:122], -v[65:66]
	v_fma_f64 v[95:96], v[97:98], v[93:94], v[95:96]
	v_mov_b32_e32 v65, v93
	v_mov_b32_e32 v66, v94
	v_add_f64 v[123:124], v[123:124], -v[95:96]
.LBB94_650:
	s_or_b64 exec, exec, s[0:1]
	v_lshl_add_u32 v93, v92, 4, v90
	s_barrier
	ds_write2_b64 v93, v[61:62], v[63:64] offset1:1
	s_waitcnt lgkmcnt(0)
	s_barrier
	ds_read2_b64 v[117:120], v90 offset0:62 offset1:63
	s_cmp_lt_i32 s3, 33
	v_mov_b32_e32 v93, 31
	s_cbranch_scc1 .LBB94_653
; %bb.651:
	v_add_u32_e32 v94, 0x200, v90
	s_mov_b32 s0, 32
	v_mov_b32_e32 v93, 31
.LBB94_652:                             ; =>This Inner Loop Header: Depth=1
	s_waitcnt lgkmcnt(0)
	v_cmp_gt_f64_e32 vcc, 0, v[117:118]
	v_xor_b32_e32 v99, 0x80000000, v118
	ds_read2_b64 v[95:98], v94 offset1:1
	v_xor_b32_e32 v101, 0x80000000, v120
	v_add_u32_e32 v94, 16, v94
	s_waitcnt lgkmcnt(0)
	v_xor_b32_e32 v103, 0x80000000, v98
	v_cndmask_b32_e32 v100, v118, v99, vcc
	v_cmp_gt_f64_e32 vcc, 0, v[119:120]
	v_mov_b32_e32 v99, v117
	v_cndmask_b32_e32 v102, v120, v101, vcc
	v_cmp_gt_f64_e32 vcc, 0, v[95:96]
	v_mov_b32_e32 v101, v119
	v_add_f64 v[99:100], v[99:100], v[101:102]
	v_xor_b32_e32 v101, 0x80000000, v96
	v_cndmask_b32_e32 v102, v96, v101, vcc
	v_cmp_gt_f64_e32 vcc, 0, v[97:98]
	v_mov_b32_e32 v101, v95
	v_cndmask_b32_e32 v104, v98, v103, vcc
	v_mov_b32_e32 v103, v97
	v_add_f64 v[101:102], v[101:102], v[103:104]
	v_cmp_lt_f64_e32 vcc, v[99:100], v[101:102]
	v_cndmask_b32_e32 v117, v117, v95, vcc
	v_mov_b32_e32 v95, s0
	s_add_i32 s0, s0, 1
	v_cndmask_b32_e32 v118, v118, v96, vcc
	v_cndmask_b32_e32 v120, v120, v98, vcc
	;; [unrolled: 1-line block ×4, first 2 shown]
	s_cmp_lg_u32 s3, s0
	s_cbranch_scc1 .LBB94_652
.LBB94_653:
	s_waitcnt lgkmcnt(0)
	v_cmp_eq_f64_e32 vcc, 0, v[117:118]
	v_cmp_eq_f64_e64 s[0:1], 0, v[119:120]
	s_and_b64 s[0:1], vcc, s[0:1]
	s_and_saveexec_b64 s[18:19], s[0:1]
	s_xor_b64 s[0:1], exec, s[18:19]
; %bb.654:
	v_cmp_ne_u32_e32 vcc, 0, v91
	v_cndmask_b32_e32 v91, 32, v91, vcc
; %bb.655:
	s_andn2_saveexec_b64 s[0:1], s[0:1]
	s_cbranch_execz .LBB94_661
; %bb.656:
	v_cmp_ngt_f64_e64 s[18:19], |v[117:118]|, |v[119:120]|
	s_and_saveexec_b64 s[20:21], s[18:19]
	s_xor_b64 s[18:19], exec, s[20:21]
	s_cbranch_execz .LBB94_658
; %bb.657:
	v_div_scale_f64 v[94:95], s[20:21], v[119:120], v[119:120], v[117:118]
	v_rcp_f64_e32 v[96:97], v[94:95]
	v_fma_f64 v[98:99], -v[94:95], v[96:97], 1.0
	v_fma_f64 v[96:97], v[96:97], v[98:99], v[96:97]
	v_div_scale_f64 v[98:99], vcc, v[117:118], v[119:120], v[117:118]
	v_fma_f64 v[100:101], -v[94:95], v[96:97], 1.0
	v_fma_f64 v[96:97], v[96:97], v[100:101], v[96:97]
	v_mul_f64 v[100:101], v[98:99], v[96:97]
	v_fma_f64 v[94:95], -v[94:95], v[100:101], v[98:99]
	v_div_fmas_f64 v[94:95], v[94:95], v[96:97], v[100:101]
	v_div_fixup_f64 v[94:95], v[94:95], v[119:120], v[117:118]
	v_fma_f64 v[96:97], v[117:118], v[94:95], v[119:120]
	v_div_scale_f64 v[98:99], s[20:21], v[96:97], v[96:97], 1.0
	v_div_scale_f64 v[104:105], vcc, 1.0, v[96:97], 1.0
	v_rcp_f64_e32 v[100:101], v[98:99]
	v_fma_f64 v[102:103], -v[98:99], v[100:101], 1.0
	v_fma_f64 v[100:101], v[100:101], v[102:103], v[100:101]
	v_fma_f64 v[102:103], -v[98:99], v[100:101], 1.0
	v_fma_f64 v[100:101], v[100:101], v[102:103], v[100:101]
	v_mul_f64 v[102:103], v[104:105], v[100:101]
	v_fma_f64 v[98:99], -v[98:99], v[102:103], v[104:105]
	v_div_fmas_f64 v[98:99], v[98:99], v[100:101], v[102:103]
	v_div_fixup_f64 v[119:120], v[98:99], v[96:97], 1.0
	v_mul_f64 v[117:118], v[94:95], v[119:120]
	v_xor_b32_e32 v120, 0x80000000, v120
.LBB94_658:
	s_andn2_saveexec_b64 s[18:19], s[18:19]
	s_cbranch_execz .LBB94_660
; %bb.659:
	v_div_scale_f64 v[94:95], s[20:21], v[117:118], v[117:118], v[119:120]
	v_rcp_f64_e32 v[96:97], v[94:95]
	v_fma_f64 v[98:99], -v[94:95], v[96:97], 1.0
	v_fma_f64 v[96:97], v[96:97], v[98:99], v[96:97]
	v_div_scale_f64 v[98:99], vcc, v[119:120], v[117:118], v[119:120]
	v_fma_f64 v[100:101], -v[94:95], v[96:97], 1.0
	v_fma_f64 v[96:97], v[96:97], v[100:101], v[96:97]
	v_mul_f64 v[100:101], v[98:99], v[96:97]
	v_fma_f64 v[94:95], -v[94:95], v[100:101], v[98:99]
	v_div_fmas_f64 v[94:95], v[94:95], v[96:97], v[100:101]
	v_div_fixup_f64 v[94:95], v[94:95], v[117:118], v[119:120]
	v_fma_f64 v[96:97], v[119:120], v[94:95], v[117:118]
	v_div_scale_f64 v[98:99], s[20:21], v[96:97], v[96:97], 1.0
	v_div_scale_f64 v[104:105], vcc, 1.0, v[96:97], 1.0
	v_rcp_f64_e32 v[100:101], v[98:99]
	v_fma_f64 v[102:103], -v[98:99], v[100:101], 1.0
	v_fma_f64 v[100:101], v[100:101], v[102:103], v[100:101]
	v_fma_f64 v[102:103], -v[98:99], v[100:101], 1.0
	v_fma_f64 v[100:101], v[100:101], v[102:103], v[100:101]
	v_mul_f64 v[102:103], v[104:105], v[100:101]
	v_fma_f64 v[98:99], -v[98:99], v[102:103], v[104:105]
	v_div_fmas_f64 v[98:99], v[98:99], v[100:101], v[102:103]
	v_div_fixup_f64 v[117:118], v[98:99], v[96:97], 1.0
	v_mul_f64 v[119:120], v[94:95], -v[117:118]
.LBB94_660:
	s_or_b64 exec, exec, s[18:19]
.LBB94_661:
	s_or_b64 exec, exec, s[0:1]
	v_cmp_ne_u32_e32 vcc, v92, v93
	s_and_saveexec_b64 s[0:1], vcc
	s_xor_b64 s[0:1], exec, s[0:1]
	s_cbranch_execz .LBB94_667
; %bb.662:
	v_cmp_eq_u32_e32 vcc, 31, v92
	s_and_saveexec_b64 s[18:19], vcc
	s_cbranch_execz .LBB94_666
; %bb.663:
	v_cmp_ne_u32_e32 vcc, 31, v93
	s_xor_b64 s[20:21], s[6:7], -1
	s_and_b64 s[22:23], s[20:21], vcc
	s_and_saveexec_b64 s[20:21], s[22:23]
	s_cbranch_execz .LBB94_665
; %bb.664:
	buffer_load_dword v85, off, s[24:27], 0 offset:352 ; 4-byte Folded Reload
	buffer_load_dword v86, off, s[24:27], 0 offset:356 ; 4-byte Folded Reload
	v_ashrrev_i32_e32 v94, 31, v93
	v_lshlrev_b64 v[94:95], 2, v[93:94]
	s_waitcnt vmcnt(1)
	v_add_co_u32_e32 v94, vcc, v85, v94
	s_waitcnt vmcnt(0)
	v_addc_co_u32_e32 v95, vcc, v86, v95, vcc
	global_load_dword v0, v[94:95], off
	global_load_dword v92, v[85:86], off offset:124
	s_waitcnt vmcnt(1)
	global_store_dword v[85:86], v0, off offset:124
	v_mov_b32_e32 v85, v107
	v_mov_b32_e32 v86, v108
	;; [unrolled: 1-line block ×4, first 2 shown]
	s_waitcnt vmcnt(1)
	global_store_dword v[94:95], v92, off
.LBB94_665:
	s_or_b64 exec, exec, s[20:21]
	v_mov_b32_e32 v92, v93
	v_mov_b32_e32 v0, v93
.LBB94_666:
	s_or_b64 exec, exec, s[18:19]
.LBB94_667:
	s_andn2_saveexec_b64 s[0:1], s[0:1]
	s_cbranch_execz .LBB94_669
; %bb.668:
	v_mov_b32_e32 v92, 31
	ds_write2_b64 v90, v[57:58], v[59:60] offset0:64 offset1:65
	ds_write2_b64 v90, v[53:54], v[55:56] offset0:66 offset1:67
	;; [unrolled: 1-line block ×16, first 2 shown]
.LBB94_669:
	s_or_b64 exec, exec, s[0:1]
	v_cmp_lt_i32_e32 vcc, 31, v92
	s_waitcnt vmcnt(0) lgkmcnt(0)
	s_barrier
	s_and_saveexec_b64 s[0:1], vcc
	s_cbranch_execz .LBB94_671
; %bb.670:
	v_mul_f64 v[93:94], v[117:118], v[63:64]
	v_mul_f64 v[63:64], v[119:120], v[63:64]
	ds_read2_b64 v[95:98], v90 offset0:64 offset1:65
	v_fma_f64 v[93:94], v[119:120], v[61:62], v[93:94]
	v_fma_f64 v[61:62], v[117:118], v[61:62], -v[63:64]
	s_waitcnt lgkmcnt(0)
	v_mul_f64 v[63:64], v[97:98], v[93:94]
	v_fma_f64 v[63:64], v[95:96], v[61:62], -v[63:64]
	v_mul_f64 v[95:96], v[95:96], v[93:94]
	v_add_f64 v[57:58], v[57:58], -v[63:64]
	v_fma_f64 v[95:96], v[97:98], v[61:62], v[95:96]
	v_add_f64 v[59:60], v[59:60], -v[95:96]
	ds_read2_b64 v[95:98], v90 offset0:66 offset1:67
	s_waitcnt lgkmcnt(0)
	v_mul_f64 v[63:64], v[97:98], v[93:94]
	v_fma_f64 v[63:64], v[95:96], v[61:62], -v[63:64]
	v_mul_f64 v[95:96], v[95:96], v[93:94]
	v_add_f64 v[53:54], v[53:54], -v[63:64]
	v_fma_f64 v[95:96], v[97:98], v[61:62], v[95:96]
	v_add_f64 v[55:56], v[55:56], -v[95:96]
	ds_read2_b64 v[95:98], v90 offset0:68 offset1:69
	;; [unrolled: 8-line block ×15, first 2 shown]
	s_waitcnt lgkmcnt(0)
	v_mul_f64 v[63:64], v[97:98], v[93:94]
	v_fma_f64 v[63:64], v[95:96], v[61:62], -v[63:64]
	v_mul_f64 v[95:96], v[95:96], v[93:94]
	v_add_f64 v[121:122], v[121:122], -v[63:64]
	v_fma_f64 v[95:96], v[97:98], v[61:62], v[95:96]
	v_mov_b32_e32 v63, v93
	v_mov_b32_e32 v64, v94
	v_add_f64 v[123:124], v[123:124], -v[95:96]
.LBB94_671:
	s_or_b64 exec, exec, s[0:1]
	v_lshl_add_u32 v93, v92, 4, v90
	s_barrier
	ds_write2_b64 v93, v[57:58], v[59:60] offset1:1
	s_waitcnt lgkmcnt(0)
	s_barrier
	ds_read2_b64 v[117:120], v90 offset0:64 offset1:65
	s_cmp_lt_i32 s3, 34
	v_mov_b32_e32 v93, 32
	s_cbranch_scc1 .LBB94_674
; %bb.672:
	v_add_u32_e32 v94, 0x210, v90
	s_mov_b32 s0, 33
	v_mov_b32_e32 v93, 32
.LBB94_673:                             ; =>This Inner Loop Header: Depth=1
	s_waitcnt lgkmcnt(0)
	v_cmp_gt_f64_e32 vcc, 0, v[117:118]
	v_xor_b32_e32 v99, 0x80000000, v118
	ds_read2_b64 v[95:98], v94 offset1:1
	v_xor_b32_e32 v101, 0x80000000, v120
	v_add_u32_e32 v94, 16, v94
	s_waitcnt lgkmcnt(0)
	v_xor_b32_e32 v103, 0x80000000, v98
	v_cndmask_b32_e32 v100, v118, v99, vcc
	v_cmp_gt_f64_e32 vcc, 0, v[119:120]
	v_mov_b32_e32 v99, v117
	v_cndmask_b32_e32 v102, v120, v101, vcc
	v_cmp_gt_f64_e32 vcc, 0, v[95:96]
	v_mov_b32_e32 v101, v119
	v_add_f64 v[99:100], v[99:100], v[101:102]
	v_xor_b32_e32 v101, 0x80000000, v96
	v_cndmask_b32_e32 v102, v96, v101, vcc
	v_cmp_gt_f64_e32 vcc, 0, v[97:98]
	v_mov_b32_e32 v101, v95
	v_cndmask_b32_e32 v104, v98, v103, vcc
	v_mov_b32_e32 v103, v97
	v_add_f64 v[101:102], v[101:102], v[103:104]
	v_cmp_lt_f64_e32 vcc, v[99:100], v[101:102]
	v_cndmask_b32_e32 v117, v117, v95, vcc
	v_mov_b32_e32 v95, s0
	s_add_i32 s0, s0, 1
	v_cndmask_b32_e32 v118, v118, v96, vcc
	v_cndmask_b32_e32 v120, v120, v98, vcc
	;; [unrolled: 1-line block ×4, first 2 shown]
	s_cmp_lg_u32 s3, s0
	s_cbranch_scc1 .LBB94_673
.LBB94_674:
	s_waitcnt lgkmcnt(0)
	v_cmp_eq_f64_e32 vcc, 0, v[117:118]
	v_cmp_eq_f64_e64 s[0:1], 0, v[119:120]
	s_and_b64 s[0:1], vcc, s[0:1]
	s_and_saveexec_b64 s[18:19], s[0:1]
	s_xor_b64 s[0:1], exec, s[18:19]
; %bb.675:
	v_cmp_ne_u32_e32 vcc, 0, v91
	v_cndmask_b32_e32 v91, 33, v91, vcc
; %bb.676:
	s_andn2_saveexec_b64 s[0:1], s[0:1]
	s_cbranch_execz .LBB94_682
; %bb.677:
	v_cmp_ngt_f64_e64 s[18:19], |v[117:118]|, |v[119:120]|
	s_and_saveexec_b64 s[20:21], s[18:19]
	s_xor_b64 s[18:19], exec, s[20:21]
	s_cbranch_execz .LBB94_679
; %bb.678:
	v_div_scale_f64 v[94:95], s[20:21], v[119:120], v[119:120], v[117:118]
	v_rcp_f64_e32 v[96:97], v[94:95]
	v_fma_f64 v[98:99], -v[94:95], v[96:97], 1.0
	v_fma_f64 v[96:97], v[96:97], v[98:99], v[96:97]
	v_div_scale_f64 v[98:99], vcc, v[117:118], v[119:120], v[117:118]
	v_fma_f64 v[100:101], -v[94:95], v[96:97], 1.0
	v_fma_f64 v[96:97], v[96:97], v[100:101], v[96:97]
	v_mul_f64 v[100:101], v[98:99], v[96:97]
	v_fma_f64 v[94:95], -v[94:95], v[100:101], v[98:99]
	v_div_fmas_f64 v[94:95], v[94:95], v[96:97], v[100:101]
	v_div_fixup_f64 v[94:95], v[94:95], v[119:120], v[117:118]
	v_fma_f64 v[96:97], v[117:118], v[94:95], v[119:120]
	v_div_scale_f64 v[98:99], s[20:21], v[96:97], v[96:97], 1.0
	v_div_scale_f64 v[104:105], vcc, 1.0, v[96:97], 1.0
	v_rcp_f64_e32 v[100:101], v[98:99]
	v_fma_f64 v[102:103], -v[98:99], v[100:101], 1.0
	v_fma_f64 v[100:101], v[100:101], v[102:103], v[100:101]
	v_fma_f64 v[102:103], -v[98:99], v[100:101], 1.0
	v_fma_f64 v[100:101], v[100:101], v[102:103], v[100:101]
	v_mul_f64 v[102:103], v[104:105], v[100:101]
	v_fma_f64 v[98:99], -v[98:99], v[102:103], v[104:105]
	v_div_fmas_f64 v[98:99], v[98:99], v[100:101], v[102:103]
	v_div_fixup_f64 v[119:120], v[98:99], v[96:97], 1.0
	v_mul_f64 v[117:118], v[94:95], v[119:120]
	v_xor_b32_e32 v120, 0x80000000, v120
.LBB94_679:
	s_andn2_saveexec_b64 s[18:19], s[18:19]
	s_cbranch_execz .LBB94_681
; %bb.680:
	v_div_scale_f64 v[94:95], s[20:21], v[117:118], v[117:118], v[119:120]
	v_rcp_f64_e32 v[96:97], v[94:95]
	v_fma_f64 v[98:99], -v[94:95], v[96:97], 1.0
	v_fma_f64 v[96:97], v[96:97], v[98:99], v[96:97]
	v_div_scale_f64 v[98:99], vcc, v[119:120], v[117:118], v[119:120]
	v_fma_f64 v[100:101], -v[94:95], v[96:97], 1.0
	v_fma_f64 v[96:97], v[96:97], v[100:101], v[96:97]
	v_mul_f64 v[100:101], v[98:99], v[96:97]
	v_fma_f64 v[94:95], -v[94:95], v[100:101], v[98:99]
	v_div_fmas_f64 v[94:95], v[94:95], v[96:97], v[100:101]
	v_div_fixup_f64 v[94:95], v[94:95], v[117:118], v[119:120]
	v_fma_f64 v[96:97], v[119:120], v[94:95], v[117:118]
	v_div_scale_f64 v[98:99], s[20:21], v[96:97], v[96:97], 1.0
	v_div_scale_f64 v[104:105], vcc, 1.0, v[96:97], 1.0
	v_rcp_f64_e32 v[100:101], v[98:99]
	v_fma_f64 v[102:103], -v[98:99], v[100:101], 1.0
	v_fma_f64 v[100:101], v[100:101], v[102:103], v[100:101]
	v_fma_f64 v[102:103], -v[98:99], v[100:101], 1.0
	v_fma_f64 v[100:101], v[100:101], v[102:103], v[100:101]
	v_mul_f64 v[102:103], v[104:105], v[100:101]
	v_fma_f64 v[98:99], -v[98:99], v[102:103], v[104:105]
	v_div_fmas_f64 v[98:99], v[98:99], v[100:101], v[102:103]
	v_div_fixup_f64 v[117:118], v[98:99], v[96:97], 1.0
	v_mul_f64 v[119:120], v[94:95], -v[117:118]
.LBB94_681:
	s_or_b64 exec, exec, s[18:19]
.LBB94_682:
	s_or_b64 exec, exec, s[0:1]
	v_cmp_ne_u32_e32 vcc, v92, v93
	s_and_saveexec_b64 s[0:1], vcc
	s_xor_b64 s[0:1], exec, s[0:1]
	s_cbranch_execz .LBB94_688
; %bb.683:
	v_cmp_eq_u32_e32 vcc, 32, v92
	s_and_saveexec_b64 s[18:19], vcc
	s_cbranch_execz .LBB94_687
; %bb.684:
	v_cmp_ne_u32_e32 vcc, 32, v93
	s_xor_b64 s[20:21], s[6:7], -1
	s_and_b64 s[22:23], s[20:21], vcc
	s_and_saveexec_b64 s[20:21], s[22:23]
	s_cbranch_execz .LBB94_686
; %bb.685:
	buffer_load_dword v85, off, s[24:27], 0 offset:352 ; 4-byte Folded Reload
	buffer_load_dword v86, off, s[24:27], 0 offset:356 ; 4-byte Folded Reload
	v_ashrrev_i32_e32 v94, 31, v93
	v_lshlrev_b64 v[94:95], 2, v[93:94]
	s_waitcnt vmcnt(1)
	v_add_co_u32_e32 v94, vcc, v85, v94
	s_waitcnt vmcnt(0)
	v_addc_co_u32_e32 v95, vcc, v86, v95, vcc
	global_load_dword v0, v[94:95], off
	global_load_dword v92, v[85:86], off offset:128
	s_waitcnt vmcnt(1)
	global_store_dword v[85:86], v0, off offset:128
	v_mov_b32_e32 v85, v107
	v_mov_b32_e32 v86, v108
	;; [unrolled: 1-line block ×4, first 2 shown]
	s_waitcnt vmcnt(1)
	global_store_dword v[94:95], v92, off
.LBB94_686:
	s_or_b64 exec, exec, s[20:21]
	v_mov_b32_e32 v92, v93
	v_mov_b32_e32 v0, v93
.LBB94_687:
	s_or_b64 exec, exec, s[18:19]
.LBB94_688:
	s_andn2_saveexec_b64 s[0:1], s[0:1]
	s_cbranch_execz .LBB94_690
; %bb.689:
	v_mov_b32_e32 v92, 32
	ds_write2_b64 v90, v[53:54], v[55:56] offset0:66 offset1:67
	ds_write2_b64 v90, v[49:50], v[51:52] offset0:68 offset1:69
	;; [unrolled: 1-line block ×15, first 2 shown]
.LBB94_690:
	s_or_b64 exec, exec, s[0:1]
	v_cmp_lt_i32_e32 vcc, 32, v92
	s_waitcnt vmcnt(0) lgkmcnt(0)
	s_barrier
	s_and_saveexec_b64 s[0:1], vcc
	s_cbranch_execz .LBB94_692
; %bb.691:
	v_mul_f64 v[93:94], v[117:118], v[59:60]
	v_mul_f64 v[59:60], v[119:120], v[59:60]
	ds_read2_b64 v[95:98], v90 offset0:66 offset1:67
	v_fma_f64 v[93:94], v[119:120], v[57:58], v[93:94]
	v_fma_f64 v[57:58], v[117:118], v[57:58], -v[59:60]
	s_waitcnt lgkmcnt(0)
	v_mul_f64 v[59:60], v[97:98], v[93:94]
	v_fma_f64 v[59:60], v[95:96], v[57:58], -v[59:60]
	v_mul_f64 v[95:96], v[95:96], v[93:94]
	v_add_f64 v[53:54], v[53:54], -v[59:60]
	v_fma_f64 v[95:96], v[97:98], v[57:58], v[95:96]
	v_add_f64 v[55:56], v[55:56], -v[95:96]
	ds_read2_b64 v[95:98], v90 offset0:68 offset1:69
	s_waitcnt lgkmcnt(0)
	v_mul_f64 v[59:60], v[97:98], v[93:94]
	v_fma_f64 v[59:60], v[95:96], v[57:58], -v[59:60]
	v_mul_f64 v[95:96], v[95:96], v[93:94]
	v_add_f64 v[49:50], v[49:50], -v[59:60]
	v_fma_f64 v[95:96], v[97:98], v[57:58], v[95:96]
	v_add_f64 v[51:52], v[51:52], -v[95:96]
	ds_read2_b64 v[95:98], v90 offset0:70 offset1:71
	s_waitcnt lgkmcnt(0)
	v_mul_f64 v[59:60], v[97:98], v[93:94]
	v_fma_f64 v[59:60], v[95:96], v[57:58], -v[59:60]
	v_mul_f64 v[95:96], v[95:96], v[93:94]
	v_add_f64 v[45:46], v[45:46], -v[59:60]
	v_fma_f64 v[95:96], v[97:98], v[57:58], v[95:96]
	v_add_f64 v[47:48], v[47:48], -v[95:96]
	ds_read2_b64 v[95:98], v90 offset0:72 offset1:73
	s_waitcnt lgkmcnt(0)
	v_mul_f64 v[59:60], v[97:98], v[93:94]
	v_fma_f64 v[59:60], v[95:96], v[57:58], -v[59:60]
	v_mul_f64 v[95:96], v[95:96], v[93:94]
	v_add_f64 v[41:42], v[41:42], -v[59:60]
	v_fma_f64 v[95:96], v[97:98], v[57:58], v[95:96]
	v_add_f64 v[43:44], v[43:44], -v[95:96]
	ds_read2_b64 v[95:98], v90 offset0:74 offset1:75
	s_waitcnt lgkmcnt(0)
	v_mul_f64 v[59:60], v[97:98], v[93:94]
	v_fma_f64 v[59:60], v[95:96], v[57:58], -v[59:60]
	v_mul_f64 v[95:96], v[95:96], v[93:94]
	v_add_f64 v[37:38], v[37:38], -v[59:60]
	v_fma_f64 v[95:96], v[97:98], v[57:58], v[95:96]
	v_add_f64 v[39:40], v[39:40], -v[95:96]
	ds_read2_b64 v[95:98], v90 offset0:76 offset1:77
	s_waitcnt lgkmcnt(0)
	v_mul_f64 v[59:60], v[97:98], v[93:94]
	v_fma_f64 v[59:60], v[95:96], v[57:58], -v[59:60]
	v_mul_f64 v[95:96], v[95:96], v[93:94]
	v_add_f64 v[33:34], v[33:34], -v[59:60]
	v_fma_f64 v[95:96], v[97:98], v[57:58], v[95:96]
	v_add_f64 v[35:36], v[35:36], -v[95:96]
	ds_read2_b64 v[95:98], v90 offset0:78 offset1:79
	s_waitcnt lgkmcnt(0)
	v_mul_f64 v[59:60], v[97:98], v[93:94]
	v_fma_f64 v[59:60], v[95:96], v[57:58], -v[59:60]
	v_mul_f64 v[95:96], v[95:96], v[93:94]
	v_add_f64 v[29:30], v[29:30], -v[59:60]
	v_fma_f64 v[95:96], v[97:98], v[57:58], v[95:96]
	v_add_f64 v[31:32], v[31:32], -v[95:96]
	ds_read2_b64 v[95:98], v90 offset0:80 offset1:81
	s_waitcnt lgkmcnt(0)
	v_mul_f64 v[59:60], v[97:98], v[93:94]
	v_fma_f64 v[59:60], v[95:96], v[57:58], -v[59:60]
	v_mul_f64 v[95:96], v[95:96], v[93:94]
	v_add_f64 v[25:26], v[25:26], -v[59:60]
	v_fma_f64 v[95:96], v[97:98], v[57:58], v[95:96]
	v_add_f64 v[27:28], v[27:28], -v[95:96]
	ds_read2_b64 v[95:98], v90 offset0:82 offset1:83
	s_waitcnt lgkmcnt(0)
	v_mul_f64 v[59:60], v[97:98], v[93:94]
	v_fma_f64 v[59:60], v[95:96], v[57:58], -v[59:60]
	v_mul_f64 v[95:96], v[95:96], v[93:94]
	v_add_f64 v[21:22], v[21:22], -v[59:60]
	v_fma_f64 v[95:96], v[97:98], v[57:58], v[95:96]
	v_add_f64 v[23:24], v[23:24], -v[95:96]
	ds_read2_b64 v[95:98], v90 offset0:84 offset1:85
	s_waitcnt lgkmcnt(0)
	v_mul_f64 v[59:60], v[97:98], v[93:94]
	v_fma_f64 v[59:60], v[95:96], v[57:58], -v[59:60]
	v_mul_f64 v[95:96], v[95:96], v[93:94]
	v_add_f64 v[17:18], v[17:18], -v[59:60]
	v_fma_f64 v[95:96], v[97:98], v[57:58], v[95:96]
	v_add_f64 v[19:20], v[19:20], -v[95:96]
	ds_read2_b64 v[95:98], v90 offset0:86 offset1:87
	s_waitcnt lgkmcnt(0)
	v_mul_f64 v[59:60], v[97:98], v[93:94]
	v_fma_f64 v[59:60], v[95:96], v[57:58], -v[59:60]
	v_mul_f64 v[95:96], v[95:96], v[93:94]
	v_add_f64 v[13:14], v[13:14], -v[59:60]
	v_fma_f64 v[95:96], v[97:98], v[57:58], v[95:96]
	v_add_f64 v[15:16], v[15:16], -v[95:96]
	ds_read2_b64 v[95:98], v90 offset0:88 offset1:89
	s_waitcnt lgkmcnt(0)
	v_mul_f64 v[59:60], v[97:98], v[93:94]
	v_fma_f64 v[59:60], v[95:96], v[57:58], -v[59:60]
	v_mul_f64 v[95:96], v[95:96], v[93:94]
	v_add_f64 v[9:10], v[9:10], -v[59:60]
	v_fma_f64 v[95:96], v[97:98], v[57:58], v[95:96]
	v_add_f64 v[11:12], v[11:12], -v[95:96]
	ds_read2_b64 v[95:98], v90 offset0:90 offset1:91
	s_waitcnt lgkmcnt(0)
	v_mul_f64 v[59:60], v[97:98], v[93:94]
	v_fma_f64 v[59:60], v[95:96], v[57:58], -v[59:60]
	v_mul_f64 v[95:96], v[95:96], v[93:94]
	v_add_f64 v[5:6], v[5:6], -v[59:60]
	v_fma_f64 v[95:96], v[97:98], v[57:58], v[95:96]
	v_add_f64 v[7:8], v[7:8], -v[95:96]
	ds_read2_b64 v[95:98], v90 offset0:92 offset1:93
	s_waitcnt lgkmcnt(0)
	v_mul_f64 v[59:60], v[97:98], v[93:94]
	v_fma_f64 v[59:60], v[95:96], v[57:58], -v[59:60]
	v_mul_f64 v[95:96], v[95:96], v[93:94]
	v_add_f64 v[1:2], v[1:2], -v[59:60]
	v_fma_f64 v[95:96], v[97:98], v[57:58], v[95:96]
	v_add_f64 v[3:4], v[3:4], -v[95:96]
	ds_read2_b64 v[95:98], v90 offset0:94 offset1:95
	s_waitcnt lgkmcnt(0)
	v_mul_f64 v[59:60], v[97:98], v[93:94]
	v_fma_f64 v[59:60], v[95:96], v[57:58], -v[59:60]
	v_mul_f64 v[95:96], v[95:96], v[93:94]
	v_add_f64 v[121:122], v[121:122], -v[59:60]
	v_fma_f64 v[95:96], v[97:98], v[57:58], v[95:96]
	v_mov_b32_e32 v59, v93
	v_mov_b32_e32 v60, v94
	v_add_f64 v[123:124], v[123:124], -v[95:96]
.LBB94_692:
	s_or_b64 exec, exec, s[0:1]
	v_lshl_add_u32 v93, v92, 4, v90
	s_barrier
	ds_write2_b64 v93, v[53:54], v[55:56] offset1:1
	s_waitcnt lgkmcnt(0)
	s_barrier
	ds_read2_b64 v[117:120], v90 offset0:66 offset1:67
	s_cmp_lt_i32 s3, 35
	v_mov_b32_e32 v93, 33
	s_cbranch_scc1 .LBB94_695
; %bb.693:
	v_add_u32_e32 v94, 0x220, v90
	s_mov_b32 s0, 34
	v_mov_b32_e32 v93, 33
.LBB94_694:                             ; =>This Inner Loop Header: Depth=1
	s_waitcnt lgkmcnt(0)
	v_cmp_gt_f64_e32 vcc, 0, v[117:118]
	v_xor_b32_e32 v99, 0x80000000, v118
	ds_read2_b64 v[95:98], v94 offset1:1
	v_xor_b32_e32 v101, 0x80000000, v120
	v_add_u32_e32 v94, 16, v94
	s_waitcnt lgkmcnt(0)
	v_xor_b32_e32 v103, 0x80000000, v98
	v_cndmask_b32_e32 v100, v118, v99, vcc
	v_cmp_gt_f64_e32 vcc, 0, v[119:120]
	v_mov_b32_e32 v99, v117
	v_cndmask_b32_e32 v102, v120, v101, vcc
	v_cmp_gt_f64_e32 vcc, 0, v[95:96]
	v_mov_b32_e32 v101, v119
	v_add_f64 v[99:100], v[99:100], v[101:102]
	v_xor_b32_e32 v101, 0x80000000, v96
	v_cndmask_b32_e32 v102, v96, v101, vcc
	v_cmp_gt_f64_e32 vcc, 0, v[97:98]
	v_mov_b32_e32 v101, v95
	v_cndmask_b32_e32 v104, v98, v103, vcc
	v_mov_b32_e32 v103, v97
	v_add_f64 v[101:102], v[101:102], v[103:104]
	v_cmp_lt_f64_e32 vcc, v[99:100], v[101:102]
	v_cndmask_b32_e32 v117, v117, v95, vcc
	v_mov_b32_e32 v95, s0
	s_add_i32 s0, s0, 1
	v_cndmask_b32_e32 v118, v118, v96, vcc
	v_cndmask_b32_e32 v120, v120, v98, vcc
	;; [unrolled: 1-line block ×4, first 2 shown]
	s_cmp_lg_u32 s3, s0
	s_cbranch_scc1 .LBB94_694
.LBB94_695:
	s_waitcnt lgkmcnt(0)
	v_cmp_eq_f64_e32 vcc, 0, v[117:118]
	v_cmp_eq_f64_e64 s[0:1], 0, v[119:120]
	s_and_b64 s[0:1], vcc, s[0:1]
	s_and_saveexec_b64 s[18:19], s[0:1]
	s_xor_b64 s[0:1], exec, s[18:19]
; %bb.696:
	v_cmp_ne_u32_e32 vcc, 0, v91
	v_cndmask_b32_e32 v91, 34, v91, vcc
; %bb.697:
	s_andn2_saveexec_b64 s[0:1], s[0:1]
	s_cbranch_execz .LBB94_703
; %bb.698:
	v_cmp_ngt_f64_e64 s[18:19], |v[117:118]|, |v[119:120]|
	s_and_saveexec_b64 s[20:21], s[18:19]
	s_xor_b64 s[18:19], exec, s[20:21]
	s_cbranch_execz .LBB94_700
; %bb.699:
	v_div_scale_f64 v[94:95], s[20:21], v[119:120], v[119:120], v[117:118]
	v_rcp_f64_e32 v[96:97], v[94:95]
	v_fma_f64 v[98:99], -v[94:95], v[96:97], 1.0
	v_fma_f64 v[96:97], v[96:97], v[98:99], v[96:97]
	v_div_scale_f64 v[98:99], vcc, v[117:118], v[119:120], v[117:118]
	v_fma_f64 v[100:101], -v[94:95], v[96:97], 1.0
	v_fma_f64 v[96:97], v[96:97], v[100:101], v[96:97]
	v_mul_f64 v[100:101], v[98:99], v[96:97]
	v_fma_f64 v[94:95], -v[94:95], v[100:101], v[98:99]
	v_div_fmas_f64 v[94:95], v[94:95], v[96:97], v[100:101]
	v_div_fixup_f64 v[94:95], v[94:95], v[119:120], v[117:118]
	v_fma_f64 v[96:97], v[117:118], v[94:95], v[119:120]
	v_div_scale_f64 v[98:99], s[20:21], v[96:97], v[96:97], 1.0
	v_div_scale_f64 v[104:105], vcc, 1.0, v[96:97], 1.0
	v_rcp_f64_e32 v[100:101], v[98:99]
	v_fma_f64 v[102:103], -v[98:99], v[100:101], 1.0
	v_fma_f64 v[100:101], v[100:101], v[102:103], v[100:101]
	v_fma_f64 v[102:103], -v[98:99], v[100:101], 1.0
	v_fma_f64 v[100:101], v[100:101], v[102:103], v[100:101]
	v_mul_f64 v[102:103], v[104:105], v[100:101]
	v_fma_f64 v[98:99], -v[98:99], v[102:103], v[104:105]
	v_div_fmas_f64 v[98:99], v[98:99], v[100:101], v[102:103]
	v_div_fixup_f64 v[119:120], v[98:99], v[96:97], 1.0
	v_mul_f64 v[117:118], v[94:95], v[119:120]
	v_xor_b32_e32 v120, 0x80000000, v120
.LBB94_700:
	s_andn2_saveexec_b64 s[18:19], s[18:19]
	s_cbranch_execz .LBB94_702
; %bb.701:
	v_div_scale_f64 v[94:95], s[20:21], v[117:118], v[117:118], v[119:120]
	v_rcp_f64_e32 v[96:97], v[94:95]
	v_fma_f64 v[98:99], -v[94:95], v[96:97], 1.0
	v_fma_f64 v[96:97], v[96:97], v[98:99], v[96:97]
	v_div_scale_f64 v[98:99], vcc, v[119:120], v[117:118], v[119:120]
	v_fma_f64 v[100:101], -v[94:95], v[96:97], 1.0
	v_fma_f64 v[96:97], v[96:97], v[100:101], v[96:97]
	v_mul_f64 v[100:101], v[98:99], v[96:97]
	v_fma_f64 v[94:95], -v[94:95], v[100:101], v[98:99]
	v_div_fmas_f64 v[94:95], v[94:95], v[96:97], v[100:101]
	v_div_fixup_f64 v[94:95], v[94:95], v[117:118], v[119:120]
	v_fma_f64 v[96:97], v[119:120], v[94:95], v[117:118]
	v_div_scale_f64 v[98:99], s[20:21], v[96:97], v[96:97], 1.0
	v_div_scale_f64 v[104:105], vcc, 1.0, v[96:97], 1.0
	v_rcp_f64_e32 v[100:101], v[98:99]
	v_fma_f64 v[102:103], -v[98:99], v[100:101], 1.0
	v_fma_f64 v[100:101], v[100:101], v[102:103], v[100:101]
	v_fma_f64 v[102:103], -v[98:99], v[100:101], 1.0
	v_fma_f64 v[100:101], v[100:101], v[102:103], v[100:101]
	v_mul_f64 v[102:103], v[104:105], v[100:101]
	v_fma_f64 v[98:99], -v[98:99], v[102:103], v[104:105]
	v_div_fmas_f64 v[98:99], v[98:99], v[100:101], v[102:103]
	v_div_fixup_f64 v[117:118], v[98:99], v[96:97], 1.0
	v_mul_f64 v[119:120], v[94:95], -v[117:118]
.LBB94_702:
	s_or_b64 exec, exec, s[18:19]
.LBB94_703:
	s_or_b64 exec, exec, s[0:1]
	v_cmp_ne_u32_e32 vcc, v92, v93
	s_and_saveexec_b64 s[0:1], vcc
	s_xor_b64 s[0:1], exec, s[0:1]
	s_cbranch_execz .LBB94_709
; %bb.704:
	v_cmp_eq_u32_e32 vcc, 33, v92
	s_and_saveexec_b64 s[18:19], vcc
	s_cbranch_execz .LBB94_708
; %bb.705:
	v_cmp_ne_u32_e32 vcc, 33, v93
	s_xor_b64 s[20:21], s[6:7], -1
	s_and_b64 s[22:23], s[20:21], vcc
	s_and_saveexec_b64 s[20:21], s[22:23]
	s_cbranch_execz .LBB94_707
; %bb.706:
	buffer_load_dword v85, off, s[24:27], 0 offset:352 ; 4-byte Folded Reload
	buffer_load_dword v86, off, s[24:27], 0 offset:356 ; 4-byte Folded Reload
	v_ashrrev_i32_e32 v94, 31, v93
	v_lshlrev_b64 v[94:95], 2, v[93:94]
	s_waitcnt vmcnt(1)
	v_add_co_u32_e32 v94, vcc, v85, v94
	s_waitcnt vmcnt(0)
	v_addc_co_u32_e32 v95, vcc, v86, v95, vcc
	global_load_dword v0, v[94:95], off
	global_load_dword v92, v[85:86], off offset:132
	s_waitcnt vmcnt(1)
	global_store_dword v[85:86], v0, off offset:132
	v_mov_b32_e32 v85, v107
	v_mov_b32_e32 v86, v108
	;; [unrolled: 1-line block ×4, first 2 shown]
	s_waitcnt vmcnt(1)
	global_store_dword v[94:95], v92, off
.LBB94_707:
	s_or_b64 exec, exec, s[20:21]
	v_mov_b32_e32 v92, v93
	v_mov_b32_e32 v0, v93
.LBB94_708:
	s_or_b64 exec, exec, s[18:19]
.LBB94_709:
	s_andn2_saveexec_b64 s[0:1], s[0:1]
	s_cbranch_execz .LBB94_711
; %bb.710:
	v_mov_b32_e32 v92, 33
	ds_write2_b64 v90, v[49:50], v[51:52] offset0:68 offset1:69
	ds_write2_b64 v90, v[45:46], v[47:48] offset0:70 offset1:71
	;; [unrolled: 1-line block ×14, first 2 shown]
.LBB94_711:
	s_or_b64 exec, exec, s[0:1]
	v_cmp_lt_i32_e32 vcc, 33, v92
	s_waitcnt vmcnt(0) lgkmcnt(0)
	s_barrier
	s_and_saveexec_b64 s[0:1], vcc
	s_cbranch_execz .LBB94_713
; %bb.712:
	v_mul_f64 v[93:94], v[117:118], v[55:56]
	v_mul_f64 v[55:56], v[119:120], v[55:56]
	ds_read2_b64 v[95:98], v90 offset0:68 offset1:69
	v_fma_f64 v[93:94], v[119:120], v[53:54], v[93:94]
	v_fma_f64 v[53:54], v[117:118], v[53:54], -v[55:56]
	s_waitcnt lgkmcnt(0)
	v_mul_f64 v[55:56], v[97:98], v[93:94]
	v_fma_f64 v[55:56], v[95:96], v[53:54], -v[55:56]
	v_mul_f64 v[95:96], v[95:96], v[93:94]
	v_add_f64 v[49:50], v[49:50], -v[55:56]
	v_fma_f64 v[95:96], v[97:98], v[53:54], v[95:96]
	v_add_f64 v[51:52], v[51:52], -v[95:96]
	ds_read2_b64 v[95:98], v90 offset0:70 offset1:71
	s_waitcnt lgkmcnt(0)
	v_mul_f64 v[55:56], v[97:98], v[93:94]
	v_fma_f64 v[55:56], v[95:96], v[53:54], -v[55:56]
	v_mul_f64 v[95:96], v[95:96], v[93:94]
	v_add_f64 v[45:46], v[45:46], -v[55:56]
	v_fma_f64 v[95:96], v[97:98], v[53:54], v[95:96]
	v_add_f64 v[47:48], v[47:48], -v[95:96]
	ds_read2_b64 v[95:98], v90 offset0:72 offset1:73
	;; [unrolled: 8-line block ×13, first 2 shown]
	s_waitcnt lgkmcnt(0)
	v_mul_f64 v[55:56], v[97:98], v[93:94]
	v_fma_f64 v[55:56], v[95:96], v[53:54], -v[55:56]
	v_mul_f64 v[95:96], v[95:96], v[93:94]
	v_add_f64 v[121:122], v[121:122], -v[55:56]
	v_fma_f64 v[95:96], v[97:98], v[53:54], v[95:96]
	v_mov_b32_e32 v55, v93
	v_mov_b32_e32 v56, v94
	v_add_f64 v[123:124], v[123:124], -v[95:96]
.LBB94_713:
	s_or_b64 exec, exec, s[0:1]
	v_lshl_add_u32 v93, v92, 4, v90
	s_barrier
	ds_write2_b64 v93, v[49:50], v[51:52] offset1:1
	s_waitcnt lgkmcnt(0)
	s_barrier
	ds_read2_b64 v[117:120], v90 offset0:68 offset1:69
	s_cmp_lt_i32 s3, 36
	v_mov_b32_e32 v93, 34
	s_cbranch_scc1 .LBB94_716
; %bb.714:
	v_add_u32_e32 v94, 0x230, v90
	s_mov_b32 s0, 35
	v_mov_b32_e32 v93, 34
.LBB94_715:                             ; =>This Inner Loop Header: Depth=1
	s_waitcnt lgkmcnt(0)
	v_cmp_gt_f64_e32 vcc, 0, v[117:118]
	v_xor_b32_e32 v99, 0x80000000, v118
	ds_read2_b64 v[95:98], v94 offset1:1
	v_xor_b32_e32 v101, 0x80000000, v120
	v_add_u32_e32 v94, 16, v94
	s_waitcnt lgkmcnt(0)
	v_xor_b32_e32 v103, 0x80000000, v98
	v_cndmask_b32_e32 v100, v118, v99, vcc
	v_cmp_gt_f64_e32 vcc, 0, v[119:120]
	v_mov_b32_e32 v99, v117
	v_cndmask_b32_e32 v102, v120, v101, vcc
	v_cmp_gt_f64_e32 vcc, 0, v[95:96]
	v_mov_b32_e32 v101, v119
	v_add_f64 v[99:100], v[99:100], v[101:102]
	v_xor_b32_e32 v101, 0x80000000, v96
	v_cndmask_b32_e32 v102, v96, v101, vcc
	v_cmp_gt_f64_e32 vcc, 0, v[97:98]
	v_mov_b32_e32 v101, v95
	v_cndmask_b32_e32 v104, v98, v103, vcc
	v_mov_b32_e32 v103, v97
	v_add_f64 v[101:102], v[101:102], v[103:104]
	v_cmp_lt_f64_e32 vcc, v[99:100], v[101:102]
	v_cndmask_b32_e32 v117, v117, v95, vcc
	v_mov_b32_e32 v95, s0
	s_add_i32 s0, s0, 1
	v_cndmask_b32_e32 v118, v118, v96, vcc
	v_cndmask_b32_e32 v120, v120, v98, vcc
	;; [unrolled: 1-line block ×4, first 2 shown]
	s_cmp_lg_u32 s3, s0
	s_cbranch_scc1 .LBB94_715
.LBB94_716:
	s_waitcnt lgkmcnt(0)
	v_cmp_eq_f64_e32 vcc, 0, v[117:118]
	v_cmp_eq_f64_e64 s[0:1], 0, v[119:120]
	s_and_b64 s[0:1], vcc, s[0:1]
	s_and_saveexec_b64 s[18:19], s[0:1]
	s_xor_b64 s[0:1], exec, s[18:19]
; %bb.717:
	v_cmp_ne_u32_e32 vcc, 0, v91
	v_cndmask_b32_e32 v91, 35, v91, vcc
; %bb.718:
	s_andn2_saveexec_b64 s[0:1], s[0:1]
	s_cbranch_execz .LBB94_724
; %bb.719:
	v_cmp_ngt_f64_e64 s[18:19], |v[117:118]|, |v[119:120]|
	s_and_saveexec_b64 s[20:21], s[18:19]
	s_xor_b64 s[18:19], exec, s[20:21]
	s_cbranch_execz .LBB94_721
; %bb.720:
	v_div_scale_f64 v[94:95], s[20:21], v[119:120], v[119:120], v[117:118]
	v_rcp_f64_e32 v[96:97], v[94:95]
	v_fma_f64 v[98:99], -v[94:95], v[96:97], 1.0
	v_fma_f64 v[96:97], v[96:97], v[98:99], v[96:97]
	v_div_scale_f64 v[98:99], vcc, v[117:118], v[119:120], v[117:118]
	v_fma_f64 v[100:101], -v[94:95], v[96:97], 1.0
	v_fma_f64 v[96:97], v[96:97], v[100:101], v[96:97]
	v_mul_f64 v[100:101], v[98:99], v[96:97]
	v_fma_f64 v[94:95], -v[94:95], v[100:101], v[98:99]
	v_div_fmas_f64 v[94:95], v[94:95], v[96:97], v[100:101]
	v_div_fixup_f64 v[94:95], v[94:95], v[119:120], v[117:118]
	v_fma_f64 v[96:97], v[117:118], v[94:95], v[119:120]
	v_div_scale_f64 v[98:99], s[20:21], v[96:97], v[96:97], 1.0
	v_div_scale_f64 v[104:105], vcc, 1.0, v[96:97], 1.0
	v_rcp_f64_e32 v[100:101], v[98:99]
	v_fma_f64 v[102:103], -v[98:99], v[100:101], 1.0
	v_fma_f64 v[100:101], v[100:101], v[102:103], v[100:101]
	v_fma_f64 v[102:103], -v[98:99], v[100:101], 1.0
	v_fma_f64 v[100:101], v[100:101], v[102:103], v[100:101]
	v_mul_f64 v[102:103], v[104:105], v[100:101]
	v_fma_f64 v[98:99], -v[98:99], v[102:103], v[104:105]
	v_div_fmas_f64 v[98:99], v[98:99], v[100:101], v[102:103]
	v_div_fixup_f64 v[119:120], v[98:99], v[96:97], 1.0
	v_mul_f64 v[117:118], v[94:95], v[119:120]
	v_xor_b32_e32 v120, 0x80000000, v120
.LBB94_721:
	s_andn2_saveexec_b64 s[18:19], s[18:19]
	s_cbranch_execz .LBB94_723
; %bb.722:
	v_div_scale_f64 v[94:95], s[20:21], v[117:118], v[117:118], v[119:120]
	v_rcp_f64_e32 v[96:97], v[94:95]
	v_fma_f64 v[98:99], -v[94:95], v[96:97], 1.0
	v_fma_f64 v[96:97], v[96:97], v[98:99], v[96:97]
	v_div_scale_f64 v[98:99], vcc, v[119:120], v[117:118], v[119:120]
	v_fma_f64 v[100:101], -v[94:95], v[96:97], 1.0
	v_fma_f64 v[96:97], v[96:97], v[100:101], v[96:97]
	v_mul_f64 v[100:101], v[98:99], v[96:97]
	v_fma_f64 v[94:95], -v[94:95], v[100:101], v[98:99]
	v_div_fmas_f64 v[94:95], v[94:95], v[96:97], v[100:101]
	v_div_fixup_f64 v[94:95], v[94:95], v[117:118], v[119:120]
	v_fma_f64 v[96:97], v[119:120], v[94:95], v[117:118]
	v_div_scale_f64 v[98:99], s[20:21], v[96:97], v[96:97], 1.0
	v_div_scale_f64 v[104:105], vcc, 1.0, v[96:97], 1.0
	v_rcp_f64_e32 v[100:101], v[98:99]
	v_fma_f64 v[102:103], -v[98:99], v[100:101], 1.0
	v_fma_f64 v[100:101], v[100:101], v[102:103], v[100:101]
	v_fma_f64 v[102:103], -v[98:99], v[100:101], 1.0
	v_fma_f64 v[100:101], v[100:101], v[102:103], v[100:101]
	v_mul_f64 v[102:103], v[104:105], v[100:101]
	v_fma_f64 v[98:99], -v[98:99], v[102:103], v[104:105]
	v_div_fmas_f64 v[98:99], v[98:99], v[100:101], v[102:103]
	v_div_fixup_f64 v[117:118], v[98:99], v[96:97], 1.0
	v_mul_f64 v[119:120], v[94:95], -v[117:118]
.LBB94_723:
	s_or_b64 exec, exec, s[18:19]
.LBB94_724:
	s_or_b64 exec, exec, s[0:1]
	v_cmp_ne_u32_e32 vcc, v92, v93
	s_and_saveexec_b64 s[0:1], vcc
	s_xor_b64 s[0:1], exec, s[0:1]
	s_cbranch_execz .LBB94_730
; %bb.725:
	v_cmp_eq_u32_e32 vcc, 34, v92
	s_and_saveexec_b64 s[18:19], vcc
	s_cbranch_execz .LBB94_729
; %bb.726:
	v_cmp_ne_u32_e32 vcc, 34, v93
	s_xor_b64 s[20:21], s[6:7], -1
	s_and_b64 s[22:23], s[20:21], vcc
	s_and_saveexec_b64 s[20:21], s[22:23]
	s_cbranch_execz .LBB94_728
; %bb.727:
	buffer_load_dword v85, off, s[24:27], 0 offset:352 ; 4-byte Folded Reload
	buffer_load_dword v86, off, s[24:27], 0 offset:356 ; 4-byte Folded Reload
	v_ashrrev_i32_e32 v94, 31, v93
	v_lshlrev_b64 v[94:95], 2, v[93:94]
	s_waitcnt vmcnt(1)
	v_add_co_u32_e32 v94, vcc, v85, v94
	s_waitcnt vmcnt(0)
	v_addc_co_u32_e32 v95, vcc, v86, v95, vcc
	global_load_dword v0, v[94:95], off
	global_load_dword v92, v[85:86], off offset:136
	s_waitcnt vmcnt(1)
	global_store_dword v[85:86], v0, off offset:136
	v_mov_b32_e32 v85, v107
	v_mov_b32_e32 v86, v108
	;; [unrolled: 1-line block ×4, first 2 shown]
	s_waitcnt vmcnt(1)
	global_store_dword v[94:95], v92, off
.LBB94_728:
	s_or_b64 exec, exec, s[20:21]
	v_mov_b32_e32 v92, v93
	v_mov_b32_e32 v0, v93
.LBB94_729:
	s_or_b64 exec, exec, s[18:19]
.LBB94_730:
	s_andn2_saveexec_b64 s[0:1], s[0:1]
	s_cbranch_execz .LBB94_732
; %bb.731:
	v_mov_b32_e32 v92, 34
	ds_write2_b64 v90, v[45:46], v[47:48] offset0:70 offset1:71
	ds_write2_b64 v90, v[41:42], v[43:44] offset0:72 offset1:73
	;; [unrolled: 1-line block ×13, first 2 shown]
.LBB94_732:
	s_or_b64 exec, exec, s[0:1]
	v_cmp_lt_i32_e32 vcc, 34, v92
	s_waitcnt vmcnt(0) lgkmcnt(0)
	s_barrier
	s_and_saveexec_b64 s[0:1], vcc
	s_cbranch_execz .LBB94_734
; %bb.733:
	v_mul_f64 v[93:94], v[117:118], v[51:52]
	v_mul_f64 v[51:52], v[119:120], v[51:52]
	ds_read2_b64 v[95:98], v90 offset0:70 offset1:71
	v_fma_f64 v[93:94], v[119:120], v[49:50], v[93:94]
	v_fma_f64 v[49:50], v[117:118], v[49:50], -v[51:52]
	s_waitcnt lgkmcnt(0)
	v_mul_f64 v[51:52], v[97:98], v[93:94]
	v_fma_f64 v[51:52], v[95:96], v[49:50], -v[51:52]
	v_mul_f64 v[95:96], v[95:96], v[93:94]
	v_add_f64 v[45:46], v[45:46], -v[51:52]
	v_fma_f64 v[95:96], v[97:98], v[49:50], v[95:96]
	v_add_f64 v[47:48], v[47:48], -v[95:96]
	ds_read2_b64 v[95:98], v90 offset0:72 offset1:73
	s_waitcnt lgkmcnt(0)
	v_mul_f64 v[51:52], v[97:98], v[93:94]
	v_fma_f64 v[51:52], v[95:96], v[49:50], -v[51:52]
	v_mul_f64 v[95:96], v[95:96], v[93:94]
	v_add_f64 v[41:42], v[41:42], -v[51:52]
	v_fma_f64 v[95:96], v[97:98], v[49:50], v[95:96]
	v_add_f64 v[43:44], v[43:44], -v[95:96]
	ds_read2_b64 v[95:98], v90 offset0:74 offset1:75
	;; [unrolled: 8-line block ×12, first 2 shown]
	s_waitcnt lgkmcnt(0)
	v_mul_f64 v[51:52], v[97:98], v[93:94]
	v_fma_f64 v[51:52], v[95:96], v[49:50], -v[51:52]
	v_mul_f64 v[95:96], v[95:96], v[93:94]
	v_add_f64 v[121:122], v[121:122], -v[51:52]
	v_fma_f64 v[95:96], v[97:98], v[49:50], v[95:96]
	v_mov_b32_e32 v51, v93
	v_mov_b32_e32 v52, v94
	v_add_f64 v[123:124], v[123:124], -v[95:96]
.LBB94_734:
	s_or_b64 exec, exec, s[0:1]
	v_lshl_add_u32 v93, v92, 4, v90
	s_barrier
	ds_write2_b64 v93, v[45:46], v[47:48] offset1:1
	s_waitcnt lgkmcnt(0)
	s_barrier
	ds_read2_b64 v[117:120], v90 offset0:70 offset1:71
	s_cmp_lt_i32 s3, 37
	v_mov_b32_e32 v93, 35
	s_cbranch_scc1 .LBB94_737
; %bb.735:
	v_add_u32_e32 v94, 0x240, v90
	s_mov_b32 s0, 36
	v_mov_b32_e32 v93, 35
.LBB94_736:                             ; =>This Inner Loop Header: Depth=1
	s_waitcnt lgkmcnt(0)
	v_cmp_gt_f64_e32 vcc, 0, v[117:118]
	v_xor_b32_e32 v99, 0x80000000, v118
	ds_read2_b64 v[95:98], v94 offset1:1
	v_xor_b32_e32 v101, 0x80000000, v120
	v_add_u32_e32 v94, 16, v94
	s_waitcnt lgkmcnt(0)
	v_xor_b32_e32 v103, 0x80000000, v98
	v_cndmask_b32_e32 v100, v118, v99, vcc
	v_cmp_gt_f64_e32 vcc, 0, v[119:120]
	v_mov_b32_e32 v99, v117
	v_cndmask_b32_e32 v102, v120, v101, vcc
	v_cmp_gt_f64_e32 vcc, 0, v[95:96]
	v_mov_b32_e32 v101, v119
	v_add_f64 v[99:100], v[99:100], v[101:102]
	v_xor_b32_e32 v101, 0x80000000, v96
	v_cndmask_b32_e32 v102, v96, v101, vcc
	v_cmp_gt_f64_e32 vcc, 0, v[97:98]
	v_mov_b32_e32 v101, v95
	v_cndmask_b32_e32 v104, v98, v103, vcc
	v_mov_b32_e32 v103, v97
	v_add_f64 v[101:102], v[101:102], v[103:104]
	v_cmp_lt_f64_e32 vcc, v[99:100], v[101:102]
	v_cndmask_b32_e32 v117, v117, v95, vcc
	v_mov_b32_e32 v95, s0
	s_add_i32 s0, s0, 1
	v_cndmask_b32_e32 v118, v118, v96, vcc
	v_cndmask_b32_e32 v120, v120, v98, vcc
	;; [unrolled: 1-line block ×4, first 2 shown]
	s_cmp_lg_u32 s3, s0
	s_cbranch_scc1 .LBB94_736
.LBB94_737:
	s_waitcnt lgkmcnt(0)
	v_cmp_eq_f64_e32 vcc, 0, v[117:118]
	v_cmp_eq_f64_e64 s[0:1], 0, v[119:120]
	s_and_b64 s[0:1], vcc, s[0:1]
	s_and_saveexec_b64 s[18:19], s[0:1]
	s_xor_b64 s[0:1], exec, s[18:19]
; %bb.738:
	v_cmp_ne_u32_e32 vcc, 0, v91
	v_cndmask_b32_e32 v91, 36, v91, vcc
; %bb.739:
	s_andn2_saveexec_b64 s[0:1], s[0:1]
	s_cbranch_execz .LBB94_745
; %bb.740:
	v_cmp_ngt_f64_e64 s[18:19], |v[117:118]|, |v[119:120]|
	s_and_saveexec_b64 s[20:21], s[18:19]
	s_xor_b64 s[18:19], exec, s[20:21]
	s_cbranch_execz .LBB94_742
; %bb.741:
	v_div_scale_f64 v[94:95], s[20:21], v[119:120], v[119:120], v[117:118]
	v_rcp_f64_e32 v[96:97], v[94:95]
	v_fma_f64 v[98:99], -v[94:95], v[96:97], 1.0
	v_fma_f64 v[96:97], v[96:97], v[98:99], v[96:97]
	v_div_scale_f64 v[98:99], vcc, v[117:118], v[119:120], v[117:118]
	v_fma_f64 v[100:101], -v[94:95], v[96:97], 1.0
	v_fma_f64 v[96:97], v[96:97], v[100:101], v[96:97]
	v_mul_f64 v[100:101], v[98:99], v[96:97]
	v_fma_f64 v[94:95], -v[94:95], v[100:101], v[98:99]
	v_div_fmas_f64 v[94:95], v[94:95], v[96:97], v[100:101]
	v_div_fixup_f64 v[94:95], v[94:95], v[119:120], v[117:118]
	v_fma_f64 v[96:97], v[117:118], v[94:95], v[119:120]
	v_div_scale_f64 v[98:99], s[20:21], v[96:97], v[96:97], 1.0
	v_div_scale_f64 v[104:105], vcc, 1.0, v[96:97], 1.0
	v_rcp_f64_e32 v[100:101], v[98:99]
	v_fma_f64 v[102:103], -v[98:99], v[100:101], 1.0
	v_fma_f64 v[100:101], v[100:101], v[102:103], v[100:101]
	v_fma_f64 v[102:103], -v[98:99], v[100:101], 1.0
	v_fma_f64 v[100:101], v[100:101], v[102:103], v[100:101]
	v_mul_f64 v[102:103], v[104:105], v[100:101]
	v_fma_f64 v[98:99], -v[98:99], v[102:103], v[104:105]
	v_div_fmas_f64 v[98:99], v[98:99], v[100:101], v[102:103]
	v_div_fixup_f64 v[119:120], v[98:99], v[96:97], 1.0
	v_mul_f64 v[117:118], v[94:95], v[119:120]
	v_xor_b32_e32 v120, 0x80000000, v120
.LBB94_742:
	s_andn2_saveexec_b64 s[18:19], s[18:19]
	s_cbranch_execz .LBB94_744
; %bb.743:
	v_div_scale_f64 v[94:95], s[20:21], v[117:118], v[117:118], v[119:120]
	v_rcp_f64_e32 v[96:97], v[94:95]
	v_fma_f64 v[98:99], -v[94:95], v[96:97], 1.0
	v_fma_f64 v[96:97], v[96:97], v[98:99], v[96:97]
	v_div_scale_f64 v[98:99], vcc, v[119:120], v[117:118], v[119:120]
	v_fma_f64 v[100:101], -v[94:95], v[96:97], 1.0
	v_fma_f64 v[96:97], v[96:97], v[100:101], v[96:97]
	v_mul_f64 v[100:101], v[98:99], v[96:97]
	v_fma_f64 v[94:95], -v[94:95], v[100:101], v[98:99]
	v_div_fmas_f64 v[94:95], v[94:95], v[96:97], v[100:101]
	v_div_fixup_f64 v[94:95], v[94:95], v[117:118], v[119:120]
	v_fma_f64 v[96:97], v[119:120], v[94:95], v[117:118]
	v_div_scale_f64 v[98:99], s[20:21], v[96:97], v[96:97], 1.0
	v_div_scale_f64 v[104:105], vcc, 1.0, v[96:97], 1.0
	v_rcp_f64_e32 v[100:101], v[98:99]
	v_fma_f64 v[102:103], -v[98:99], v[100:101], 1.0
	v_fma_f64 v[100:101], v[100:101], v[102:103], v[100:101]
	v_fma_f64 v[102:103], -v[98:99], v[100:101], 1.0
	v_fma_f64 v[100:101], v[100:101], v[102:103], v[100:101]
	v_mul_f64 v[102:103], v[104:105], v[100:101]
	v_fma_f64 v[98:99], -v[98:99], v[102:103], v[104:105]
	v_div_fmas_f64 v[98:99], v[98:99], v[100:101], v[102:103]
	v_div_fixup_f64 v[117:118], v[98:99], v[96:97], 1.0
	v_mul_f64 v[119:120], v[94:95], -v[117:118]
.LBB94_744:
	s_or_b64 exec, exec, s[18:19]
.LBB94_745:
	s_or_b64 exec, exec, s[0:1]
	v_cmp_ne_u32_e32 vcc, v92, v93
	s_and_saveexec_b64 s[0:1], vcc
	s_xor_b64 s[0:1], exec, s[0:1]
	s_cbranch_execz .LBB94_751
; %bb.746:
	v_cmp_eq_u32_e32 vcc, 35, v92
	s_and_saveexec_b64 s[18:19], vcc
	s_cbranch_execz .LBB94_750
; %bb.747:
	v_cmp_ne_u32_e32 vcc, 35, v93
	s_xor_b64 s[20:21], s[6:7], -1
	s_and_b64 s[22:23], s[20:21], vcc
	s_and_saveexec_b64 s[20:21], s[22:23]
	s_cbranch_execz .LBB94_749
; %bb.748:
	buffer_load_dword v85, off, s[24:27], 0 offset:352 ; 4-byte Folded Reload
	buffer_load_dword v86, off, s[24:27], 0 offset:356 ; 4-byte Folded Reload
	v_ashrrev_i32_e32 v94, 31, v93
	v_lshlrev_b64 v[94:95], 2, v[93:94]
	s_waitcnt vmcnt(1)
	v_add_co_u32_e32 v94, vcc, v85, v94
	s_waitcnt vmcnt(0)
	v_addc_co_u32_e32 v95, vcc, v86, v95, vcc
	global_load_dword v0, v[94:95], off
	global_load_dword v92, v[85:86], off offset:140
	s_waitcnt vmcnt(1)
	global_store_dword v[85:86], v0, off offset:140
	v_mov_b32_e32 v85, v107
	v_mov_b32_e32 v86, v108
	;; [unrolled: 1-line block ×4, first 2 shown]
	s_waitcnt vmcnt(1)
	global_store_dword v[94:95], v92, off
.LBB94_749:
	s_or_b64 exec, exec, s[20:21]
	v_mov_b32_e32 v92, v93
	v_mov_b32_e32 v0, v93
.LBB94_750:
	s_or_b64 exec, exec, s[18:19]
.LBB94_751:
	s_andn2_saveexec_b64 s[0:1], s[0:1]
	s_cbranch_execz .LBB94_753
; %bb.752:
	v_mov_b32_e32 v92, 35
	ds_write2_b64 v90, v[41:42], v[43:44] offset0:72 offset1:73
	ds_write2_b64 v90, v[37:38], v[39:40] offset0:74 offset1:75
	;; [unrolled: 1-line block ×12, first 2 shown]
.LBB94_753:
	s_or_b64 exec, exec, s[0:1]
	v_cmp_lt_i32_e32 vcc, 35, v92
	s_waitcnt vmcnt(0) lgkmcnt(0)
	s_barrier
	s_and_saveexec_b64 s[0:1], vcc
	s_cbranch_execz .LBB94_755
; %bb.754:
	v_mul_f64 v[93:94], v[117:118], v[47:48]
	v_mul_f64 v[47:48], v[119:120], v[47:48]
	ds_read2_b64 v[95:98], v90 offset0:72 offset1:73
	v_fma_f64 v[93:94], v[119:120], v[45:46], v[93:94]
	v_fma_f64 v[45:46], v[117:118], v[45:46], -v[47:48]
	s_waitcnt lgkmcnt(0)
	v_mul_f64 v[47:48], v[97:98], v[93:94]
	v_fma_f64 v[47:48], v[95:96], v[45:46], -v[47:48]
	v_mul_f64 v[95:96], v[95:96], v[93:94]
	v_add_f64 v[41:42], v[41:42], -v[47:48]
	v_fma_f64 v[95:96], v[97:98], v[45:46], v[95:96]
	v_add_f64 v[43:44], v[43:44], -v[95:96]
	ds_read2_b64 v[95:98], v90 offset0:74 offset1:75
	s_waitcnt lgkmcnt(0)
	v_mul_f64 v[47:48], v[97:98], v[93:94]
	v_fma_f64 v[47:48], v[95:96], v[45:46], -v[47:48]
	v_mul_f64 v[95:96], v[95:96], v[93:94]
	v_add_f64 v[37:38], v[37:38], -v[47:48]
	v_fma_f64 v[95:96], v[97:98], v[45:46], v[95:96]
	v_add_f64 v[39:40], v[39:40], -v[95:96]
	ds_read2_b64 v[95:98], v90 offset0:76 offset1:77
	;; [unrolled: 8-line block ×11, first 2 shown]
	s_waitcnt lgkmcnt(0)
	v_mul_f64 v[47:48], v[97:98], v[93:94]
	v_fma_f64 v[47:48], v[95:96], v[45:46], -v[47:48]
	v_mul_f64 v[95:96], v[95:96], v[93:94]
	v_add_f64 v[121:122], v[121:122], -v[47:48]
	v_fma_f64 v[95:96], v[97:98], v[45:46], v[95:96]
	v_mov_b32_e32 v47, v93
	v_mov_b32_e32 v48, v94
	v_add_f64 v[123:124], v[123:124], -v[95:96]
.LBB94_755:
	s_or_b64 exec, exec, s[0:1]
	v_lshl_add_u32 v93, v92, 4, v90
	s_barrier
	ds_write2_b64 v93, v[41:42], v[43:44] offset1:1
	s_waitcnt lgkmcnt(0)
	s_barrier
	ds_read2_b64 v[117:120], v90 offset0:72 offset1:73
	s_cmp_lt_i32 s3, 38
	v_mov_b32_e32 v93, 36
	s_cbranch_scc1 .LBB94_758
; %bb.756:
	v_add_u32_e32 v94, 0x250, v90
	s_mov_b32 s0, 37
	v_mov_b32_e32 v93, 36
.LBB94_757:                             ; =>This Inner Loop Header: Depth=1
	s_waitcnt lgkmcnt(0)
	v_cmp_gt_f64_e32 vcc, 0, v[117:118]
	v_xor_b32_e32 v99, 0x80000000, v118
	ds_read2_b64 v[95:98], v94 offset1:1
	v_xor_b32_e32 v101, 0x80000000, v120
	v_add_u32_e32 v94, 16, v94
	s_waitcnt lgkmcnt(0)
	v_xor_b32_e32 v103, 0x80000000, v98
	v_cndmask_b32_e32 v100, v118, v99, vcc
	v_cmp_gt_f64_e32 vcc, 0, v[119:120]
	v_mov_b32_e32 v99, v117
	v_cndmask_b32_e32 v102, v120, v101, vcc
	v_cmp_gt_f64_e32 vcc, 0, v[95:96]
	v_mov_b32_e32 v101, v119
	v_add_f64 v[99:100], v[99:100], v[101:102]
	v_xor_b32_e32 v101, 0x80000000, v96
	v_cndmask_b32_e32 v102, v96, v101, vcc
	v_cmp_gt_f64_e32 vcc, 0, v[97:98]
	v_mov_b32_e32 v101, v95
	v_cndmask_b32_e32 v104, v98, v103, vcc
	v_mov_b32_e32 v103, v97
	v_add_f64 v[101:102], v[101:102], v[103:104]
	v_cmp_lt_f64_e32 vcc, v[99:100], v[101:102]
	v_cndmask_b32_e32 v117, v117, v95, vcc
	v_mov_b32_e32 v95, s0
	s_add_i32 s0, s0, 1
	v_cndmask_b32_e32 v118, v118, v96, vcc
	v_cndmask_b32_e32 v120, v120, v98, vcc
	;; [unrolled: 1-line block ×4, first 2 shown]
	s_cmp_lg_u32 s3, s0
	s_cbranch_scc1 .LBB94_757
.LBB94_758:
	s_waitcnt lgkmcnt(0)
	v_cmp_eq_f64_e32 vcc, 0, v[117:118]
	v_cmp_eq_f64_e64 s[0:1], 0, v[119:120]
	s_and_b64 s[0:1], vcc, s[0:1]
	s_and_saveexec_b64 s[18:19], s[0:1]
	s_xor_b64 s[0:1], exec, s[18:19]
; %bb.759:
	v_cmp_ne_u32_e32 vcc, 0, v91
	v_cndmask_b32_e32 v91, 37, v91, vcc
; %bb.760:
	s_andn2_saveexec_b64 s[0:1], s[0:1]
	s_cbranch_execz .LBB94_766
; %bb.761:
	v_cmp_ngt_f64_e64 s[18:19], |v[117:118]|, |v[119:120]|
	s_and_saveexec_b64 s[20:21], s[18:19]
	s_xor_b64 s[18:19], exec, s[20:21]
	s_cbranch_execz .LBB94_763
; %bb.762:
	v_div_scale_f64 v[94:95], s[20:21], v[119:120], v[119:120], v[117:118]
	v_rcp_f64_e32 v[96:97], v[94:95]
	v_fma_f64 v[98:99], -v[94:95], v[96:97], 1.0
	v_fma_f64 v[96:97], v[96:97], v[98:99], v[96:97]
	v_div_scale_f64 v[98:99], vcc, v[117:118], v[119:120], v[117:118]
	v_fma_f64 v[100:101], -v[94:95], v[96:97], 1.0
	v_fma_f64 v[96:97], v[96:97], v[100:101], v[96:97]
	v_mul_f64 v[100:101], v[98:99], v[96:97]
	v_fma_f64 v[94:95], -v[94:95], v[100:101], v[98:99]
	v_div_fmas_f64 v[94:95], v[94:95], v[96:97], v[100:101]
	v_div_fixup_f64 v[94:95], v[94:95], v[119:120], v[117:118]
	v_fma_f64 v[96:97], v[117:118], v[94:95], v[119:120]
	v_div_scale_f64 v[98:99], s[20:21], v[96:97], v[96:97], 1.0
	v_div_scale_f64 v[104:105], vcc, 1.0, v[96:97], 1.0
	v_rcp_f64_e32 v[100:101], v[98:99]
	v_fma_f64 v[102:103], -v[98:99], v[100:101], 1.0
	v_fma_f64 v[100:101], v[100:101], v[102:103], v[100:101]
	v_fma_f64 v[102:103], -v[98:99], v[100:101], 1.0
	v_fma_f64 v[100:101], v[100:101], v[102:103], v[100:101]
	v_mul_f64 v[102:103], v[104:105], v[100:101]
	v_fma_f64 v[98:99], -v[98:99], v[102:103], v[104:105]
	v_div_fmas_f64 v[98:99], v[98:99], v[100:101], v[102:103]
	v_div_fixup_f64 v[119:120], v[98:99], v[96:97], 1.0
	v_mul_f64 v[117:118], v[94:95], v[119:120]
	v_xor_b32_e32 v120, 0x80000000, v120
.LBB94_763:
	s_andn2_saveexec_b64 s[18:19], s[18:19]
	s_cbranch_execz .LBB94_765
; %bb.764:
	v_div_scale_f64 v[94:95], s[20:21], v[117:118], v[117:118], v[119:120]
	v_rcp_f64_e32 v[96:97], v[94:95]
	v_fma_f64 v[98:99], -v[94:95], v[96:97], 1.0
	v_fma_f64 v[96:97], v[96:97], v[98:99], v[96:97]
	v_div_scale_f64 v[98:99], vcc, v[119:120], v[117:118], v[119:120]
	v_fma_f64 v[100:101], -v[94:95], v[96:97], 1.0
	v_fma_f64 v[96:97], v[96:97], v[100:101], v[96:97]
	v_mul_f64 v[100:101], v[98:99], v[96:97]
	v_fma_f64 v[94:95], -v[94:95], v[100:101], v[98:99]
	v_div_fmas_f64 v[94:95], v[94:95], v[96:97], v[100:101]
	v_div_fixup_f64 v[94:95], v[94:95], v[117:118], v[119:120]
	v_fma_f64 v[96:97], v[119:120], v[94:95], v[117:118]
	v_div_scale_f64 v[98:99], s[20:21], v[96:97], v[96:97], 1.0
	v_div_scale_f64 v[104:105], vcc, 1.0, v[96:97], 1.0
	v_rcp_f64_e32 v[100:101], v[98:99]
	v_fma_f64 v[102:103], -v[98:99], v[100:101], 1.0
	v_fma_f64 v[100:101], v[100:101], v[102:103], v[100:101]
	v_fma_f64 v[102:103], -v[98:99], v[100:101], 1.0
	v_fma_f64 v[100:101], v[100:101], v[102:103], v[100:101]
	v_mul_f64 v[102:103], v[104:105], v[100:101]
	v_fma_f64 v[98:99], -v[98:99], v[102:103], v[104:105]
	v_div_fmas_f64 v[98:99], v[98:99], v[100:101], v[102:103]
	v_div_fixup_f64 v[117:118], v[98:99], v[96:97], 1.0
	v_mul_f64 v[119:120], v[94:95], -v[117:118]
.LBB94_765:
	s_or_b64 exec, exec, s[18:19]
.LBB94_766:
	s_or_b64 exec, exec, s[0:1]
	v_cmp_ne_u32_e32 vcc, v92, v93
	s_and_saveexec_b64 s[0:1], vcc
	s_xor_b64 s[0:1], exec, s[0:1]
	s_cbranch_execz .LBB94_772
; %bb.767:
	v_cmp_eq_u32_e32 vcc, 36, v92
	s_and_saveexec_b64 s[18:19], vcc
	s_cbranch_execz .LBB94_771
; %bb.768:
	v_cmp_ne_u32_e32 vcc, 36, v93
	s_xor_b64 s[20:21], s[6:7], -1
	s_and_b64 s[22:23], s[20:21], vcc
	s_and_saveexec_b64 s[20:21], s[22:23]
	s_cbranch_execz .LBB94_770
; %bb.769:
	buffer_load_dword v85, off, s[24:27], 0 offset:352 ; 4-byte Folded Reload
	buffer_load_dword v86, off, s[24:27], 0 offset:356 ; 4-byte Folded Reload
	v_ashrrev_i32_e32 v94, 31, v93
	v_lshlrev_b64 v[94:95], 2, v[93:94]
	s_waitcnt vmcnt(1)
	v_add_co_u32_e32 v94, vcc, v85, v94
	s_waitcnt vmcnt(0)
	v_addc_co_u32_e32 v95, vcc, v86, v95, vcc
	global_load_dword v0, v[94:95], off
	global_load_dword v92, v[85:86], off offset:144
	s_waitcnt vmcnt(1)
	global_store_dword v[85:86], v0, off offset:144
	v_mov_b32_e32 v85, v107
	v_mov_b32_e32 v86, v108
	;; [unrolled: 1-line block ×4, first 2 shown]
	s_waitcnt vmcnt(1)
	global_store_dword v[94:95], v92, off
.LBB94_770:
	s_or_b64 exec, exec, s[20:21]
	v_mov_b32_e32 v92, v93
	v_mov_b32_e32 v0, v93
.LBB94_771:
	s_or_b64 exec, exec, s[18:19]
.LBB94_772:
	s_andn2_saveexec_b64 s[0:1], s[0:1]
	s_cbranch_execz .LBB94_774
; %bb.773:
	v_mov_b32_e32 v92, 36
	ds_write2_b64 v90, v[37:38], v[39:40] offset0:74 offset1:75
	ds_write2_b64 v90, v[33:34], v[35:36] offset0:76 offset1:77
	;; [unrolled: 1-line block ×11, first 2 shown]
.LBB94_774:
	s_or_b64 exec, exec, s[0:1]
	v_cmp_lt_i32_e32 vcc, 36, v92
	s_waitcnt vmcnt(0) lgkmcnt(0)
	s_barrier
	s_and_saveexec_b64 s[0:1], vcc
	s_cbranch_execz .LBB94_776
; %bb.775:
	v_mul_f64 v[93:94], v[117:118], v[43:44]
	v_mul_f64 v[43:44], v[119:120], v[43:44]
	ds_read2_b64 v[95:98], v90 offset0:74 offset1:75
	v_fma_f64 v[93:94], v[119:120], v[41:42], v[93:94]
	v_fma_f64 v[41:42], v[117:118], v[41:42], -v[43:44]
	s_waitcnt lgkmcnt(0)
	v_mul_f64 v[43:44], v[97:98], v[93:94]
	v_fma_f64 v[43:44], v[95:96], v[41:42], -v[43:44]
	v_mul_f64 v[95:96], v[95:96], v[93:94]
	v_add_f64 v[37:38], v[37:38], -v[43:44]
	v_fma_f64 v[95:96], v[97:98], v[41:42], v[95:96]
	v_add_f64 v[39:40], v[39:40], -v[95:96]
	ds_read2_b64 v[95:98], v90 offset0:76 offset1:77
	s_waitcnt lgkmcnt(0)
	v_mul_f64 v[43:44], v[97:98], v[93:94]
	v_fma_f64 v[43:44], v[95:96], v[41:42], -v[43:44]
	v_mul_f64 v[95:96], v[95:96], v[93:94]
	v_add_f64 v[33:34], v[33:34], -v[43:44]
	v_fma_f64 v[95:96], v[97:98], v[41:42], v[95:96]
	v_add_f64 v[35:36], v[35:36], -v[95:96]
	ds_read2_b64 v[95:98], v90 offset0:78 offset1:79
	s_waitcnt lgkmcnt(0)
	v_mul_f64 v[43:44], v[97:98], v[93:94]
	v_fma_f64 v[43:44], v[95:96], v[41:42], -v[43:44]
	v_mul_f64 v[95:96], v[95:96], v[93:94]
	v_add_f64 v[29:30], v[29:30], -v[43:44]
	v_fma_f64 v[95:96], v[97:98], v[41:42], v[95:96]
	v_add_f64 v[31:32], v[31:32], -v[95:96]
	ds_read2_b64 v[95:98], v90 offset0:80 offset1:81
	s_waitcnt lgkmcnt(0)
	v_mul_f64 v[43:44], v[97:98], v[93:94]
	v_fma_f64 v[43:44], v[95:96], v[41:42], -v[43:44]
	v_mul_f64 v[95:96], v[95:96], v[93:94]
	v_add_f64 v[25:26], v[25:26], -v[43:44]
	v_fma_f64 v[95:96], v[97:98], v[41:42], v[95:96]
	v_add_f64 v[27:28], v[27:28], -v[95:96]
	ds_read2_b64 v[95:98], v90 offset0:82 offset1:83
	s_waitcnt lgkmcnt(0)
	v_mul_f64 v[43:44], v[97:98], v[93:94]
	v_fma_f64 v[43:44], v[95:96], v[41:42], -v[43:44]
	v_mul_f64 v[95:96], v[95:96], v[93:94]
	v_add_f64 v[21:22], v[21:22], -v[43:44]
	v_fma_f64 v[95:96], v[97:98], v[41:42], v[95:96]
	v_add_f64 v[23:24], v[23:24], -v[95:96]
	ds_read2_b64 v[95:98], v90 offset0:84 offset1:85
	s_waitcnt lgkmcnt(0)
	v_mul_f64 v[43:44], v[97:98], v[93:94]
	v_fma_f64 v[43:44], v[95:96], v[41:42], -v[43:44]
	v_mul_f64 v[95:96], v[95:96], v[93:94]
	v_add_f64 v[17:18], v[17:18], -v[43:44]
	v_fma_f64 v[95:96], v[97:98], v[41:42], v[95:96]
	v_add_f64 v[19:20], v[19:20], -v[95:96]
	ds_read2_b64 v[95:98], v90 offset0:86 offset1:87
	s_waitcnt lgkmcnt(0)
	v_mul_f64 v[43:44], v[97:98], v[93:94]
	v_fma_f64 v[43:44], v[95:96], v[41:42], -v[43:44]
	v_mul_f64 v[95:96], v[95:96], v[93:94]
	v_add_f64 v[13:14], v[13:14], -v[43:44]
	v_fma_f64 v[95:96], v[97:98], v[41:42], v[95:96]
	v_add_f64 v[15:16], v[15:16], -v[95:96]
	ds_read2_b64 v[95:98], v90 offset0:88 offset1:89
	s_waitcnt lgkmcnt(0)
	v_mul_f64 v[43:44], v[97:98], v[93:94]
	v_fma_f64 v[43:44], v[95:96], v[41:42], -v[43:44]
	v_mul_f64 v[95:96], v[95:96], v[93:94]
	v_add_f64 v[9:10], v[9:10], -v[43:44]
	v_fma_f64 v[95:96], v[97:98], v[41:42], v[95:96]
	v_add_f64 v[11:12], v[11:12], -v[95:96]
	ds_read2_b64 v[95:98], v90 offset0:90 offset1:91
	s_waitcnt lgkmcnt(0)
	v_mul_f64 v[43:44], v[97:98], v[93:94]
	v_fma_f64 v[43:44], v[95:96], v[41:42], -v[43:44]
	v_mul_f64 v[95:96], v[95:96], v[93:94]
	v_add_f64 v[5:6], v[5:6], -v[43:44]
	v_fma_f64 v[95:96], v[97:98], v[41:42], v[95:96]
	v_add_f64 v[7:8], v[7:8], -v[95:96]
	ds_read2_b64 v[95:98], v90 offset0:92 offset1:93
	s_waitcnt lgkmcnt(0)
	v_mul_f64 v[43:44], v[97:98], v[93:94]
	v_fma_f64 v[43:44], v[95:96], v[41:42], -v[43:44]
	v_mul_f64 v[95:96], v[95:96], v[93:94]
	v_add_f64 v[1:2], v[1:2], -v[43:44]
	v_fma_f64 v[95:96], v[97:98], v[41:42], v[95:96]
	v_add_f64 v[3:4], v[3:4], -v[95:96]
	ds_read2_b64 v[95:98], v90 offset0:94 offset1:95
	s_waitcnt lgkmcnt(0)
	v_mul_f64 v[43:44], v[97:98], v[93:94]
	v_fma_f64 v[43:44], v[95:96], v[41:42], -v[43:44]
	v_mul_f64 v[95:96], v[95:96], v[93:94]
	v_add_f64 v[121:122], v[121:122], -v[43:44]
	v_fma_f64 v[95:96], v[97:98], v[41:42], v[95:96]
	v_mov_b32_e32 v43, v93
	v_mov_b32_e32 v44, v94
	v_add_f64 v[123:124], v[123:124], -v[95:96]
.LBB94_776:
	s_or_b64 exec, exec, s[0:1]
	v_lshl_add_u32 v93, v92, 4, v90
	s_barrier
	ds_write2_b64 v93, v[37:38], v[39:40] offset1:1
	s_waitcnt lgkmcnt(0)
	s_barrier
	ds_read2_b64 v[117:120], v90 offset0:74 offset1:75
	s_cmp_lt_i32 s3, 39
	v_mov_b32_e32 v93, 37
	s_cbranch_scc1 .LBB94_779
; %bb.777:
	v_add_u32_e32 v94, 0x260, v90
	s_mov_b32 s0, 38
	v_mov_b32_e32 v93, 37
.LBB94_778:                             ; =>This Inner Loop Header: Depth=1
	s_waitcnt lgkmcnt(0)
	v_cmp_gt_f64_e32 vcc, 0, v[117:118]
	v_xor_b32_e32 v99, 0x80000000, v118
	ds_read2_b64 v[95:98], v94 offset1:1
	v_xor_b32_e32 v101, 0x80000000, v120
	v_add_u32_e32 v94, 16, v94
	s_waitcnt lgkmcnt(0)
	v_xor_b32_e32 v103, 0x80000000, v98
	v_cndmask_b32_e32 v100, v118, v99, vcc
	v_cmp_gt_f64_e32 vcc, 0, v[119:120]
	v_mov_b32_e32 v99, v117
	v_cndmask_b32_e32 v102, v120, v101, vcc
	v_cmp_gt_f64_e32 vcc, 0, v[95:96]
	v_mov_b32_e32 v101, v119
	v_add_f64 v[99:100], v[99:100], v[101:102]
	v_xor_b32_e32 v101, 0x80000000, v96
	v_cndmask_b32_e32 v102, v96, v101, vcc
	v_cmp_gt_f64_e32 vcc, 0, v[97:98]
	v_mov_b32_e32 v101, v95
	v_cndmask_b32_e32 v104, v98, v103, vcc
	v_mov_b32_e32 v103, v97
	v_add_f64 v[101:102], v[101:102], v[103:104]
	v_cmp_lt_f64_e32 vcc, v[99:100], v[101:102]
	v_cndmask_b32_e32 v117, v117, v95, vcc
	v_mov_b32_e32 v95, s0
	s_add_i32 s0, s0, 1
	v_cndmask_b32_e32 v118, v118, v96, vcc
	v_cndmask_b32_e32 v120, v120, v98, vcc
	;; [unrolled: 1-line block ×4, first 2 shown]
	s_cmp_lg_u32 s3, s0
	s_cbranch_scc1 .LBB94_778
.LBB94_779:
	s_waitcnt lgkmcnt(0)
	v_cmp_eq_f64_e32 vcc, 0, v[117:118]
	v_cmp_eq_f64_e64 s[0:1], 0, v[119:120]
	s_and_b64 s[0:1], vcc, s[0:1]
	s_and_saveexec_b64 s[18:19], s[0:1]
	s_xor_b64 s[0:1], exec, s[18:19]
; %bb.780:
	v_cmp_ne_u32_e32 vcc, 0, v91
	v_cndmask_b32_e32 v91, 38, v91, vcc
; %bb.781:
	s_andn2_saveexec_b64 s[0:1], s[0:1]
	s_cbranch_execz .LBB94_787
; %bb.782:
	v_cmp_ngt_f64_e64 s[18:19], |v[117:118]|, |v[119:120]|
	s_and_saveexec_b64 s[20:21], s[18:19]
	s_xor_b64 s[18:19], exec, s[20:21]
	s_cbranch_execz .LBB94_784
; %bb.783:
	v_div_scale_f64 v[94:95], s[20:21], v[119:120], v[119:120], v[117:118]
	v_rcp_f64_e32 v[96:97], v[94:95]
	v_fma_f64 v[98:99], -v[94:95], v[96:97], 1.0
	v_fma_f64 v[96:97], v[96:97], v[98:99], v[96:97]
	v_div_scale_f64 v[98:99], vcc, v[117:118], v[119:120], v[117:118]
	v_fma_f64 v[100:101], -v[94:95], v[96:97], 1.0
	v_fma_f64 v[96:97], v[96:97], v[100:101], v[96:97]
	v_mul_f64 v[100:101], v[98:99], v[96:97]
	v_fma_f64 v[94:95], -v[94:95], v[100:101], v[98:99]
	v_div_fmas_f64 v[94:95], v[94:95], v[96:97], v[100:101]
	v_div_fixup_f64 v[94:95], v[94:95], v[119:120], v[117:118]
	v_fma_f64 v[96:97], v[117:118], v[94:95], v[119:120]
	v_div_scale_f64 v[98:99], s[20:21], v[96:97], v[96:97], 1.0
	v_div_scale_f64 v[104:105], vcc, 1.0, v[96:97], 1.0
	v_rcp_f64_e32 v[100:101], v[98:99]
	v_fma_f64 v[102:103], -v[98:99], v[100:101], 1.0
	v_fma_f64 v[100:101], v[100:101], v[102:103], v[100:101]
	v_fma_f64 v[102:103], -v[98:99], v[100:101], 1.0
	v_fma_f64 v[100:101], v[100:101], v[102:103], v[100:101]
	v_mul_f64 v[102:103], v[104:105], v[100:101]
	v_fma_f64 v[98:99], -v[98:99], v[102:103], v[104:105]
	v_div_fmas_f64 v[98:99], v[98:99], v[100:101], v[102:103]
	v_div_fixup_f64 v[119:120], v[98:99], v[96:97], 1.0
	v_mul_f64 v[117:118], v[94:95], v[119:120]
	v_xor_b32_e32 v120, 0x80000000, v120
.LBB94_784:
	s_andn2_saveexec_b64 s[18:19], s[18:19]
	s_cbranch_execz .LBB94_786
; %bb.785:
	v_div_scale_f64 v[94:95], s[20:21], v[117:118], v[117:118], v[119:120]
	v_rcp_f64_e32 v[96:97], v[94:95]
	v_fma_f64 v[98:99], -v[94:95], v[96:97], 1.0
	v_fma_f64 v[96:97], v[96:97], v[98:99], v[96:97]
	v_div_scale_f64 v[98:99], vcc, v[119:120], v[117:118], v[119:120]
	v_fma_f64 v[100:101], -v[94:95], v[96:97], 1.0
	v_fma_f64 v[96:97], v[96:97], v[100:101], v[96:97]
	v_mul_f64 v[100:101], v[98:99], v[96:97]
	v_fma_f64 v[94:95], -v[94:95], v[100:101], v[98:99]
	v_div_fmas_f64 v[94:95], v[94:95], v[96:97], v[100:101]
	v_div_fixup_f64 v[94:95], v[94:95], v[117:118], v[119:120]
	v_fma_f64 v[96:97], v[119:120], v[94:95], v[117:118]
	v_div_scale_f64 v[98:99], s[20:21], v[96:97], v[96:97], 1.0
	v_div_scale_f64 v[104:105], vcc, 1.0, v[96:97], 1.0
	v_rcp_f64_e32 v[100:101], v[98:99]
	v_fma_f64 v[102:103], -v[98:99], v[100:101], 1.0
	v_fma_f64 v[100:101], v[100:101], v[102:103], v[100:101]
	v_fma_f64 v[102:103], -v[98:99], v[100:101], 1.0
	v_fma_f64 v[100:101], v[100:101], v[102:103], v[100:101]
	v_mul_f64 v[102:103], v[104:105], v[100:101]
	v_fma_f64 v[98:99], -v[98:99], v[102:103], v[104:105]
	v_div_fmas_f64 v[98:99], v[98:99], v[100:101], v[102:103]
	v_div_fixup_f64 v[117:118], v[98:99], v[96:97], 1.0
	v_mul_f64 v[119:120], v[94:95], -v[117:118]
.LBB94_786:
	s_or_b64 exec, exec, s[18:19]
.LBB94_787:
	s_or_b64 exec, exec, s[0:1]
	v_cmp_ne_u32_e32 vcc, v92, v93
	s_and_saveexec_b64 s[0:1], vcc
	s_xor_b64 s[0:1], exec, s[0:1]
	s_cbranch_execz .LBB94_793
; %bb.788:
	v_cmp_eq_u32_e32 vcc, 37, v92
	s_and_saveexec_b64 s[18:19], vcc
	s_cbranch_execz .LBB94_792
; %bb.789:
	v_cmp_ne_u32_e32 vcc, 37, v93
	s_xor_b64 s[20:21], s[6:7], -1
	s_and_b64 s[22:23], s[20:21], vcc
	s_and_saveexec_b64 s[20:21], s[22:23]
	s_cbranch_execz .LBB94_791
; %bb.790:
	buffer_load_dword v85, off, s[24:27], 0 offset:352 ; 4-byte Folded Reload
	buffer_load_dword v86, off, s[24:27], 0 offset:356 ; 4-byte Folded Reload
	v_ashrrev_i32_e32 v94, 31, v93
	v_lshlrev_b64 v[94:95], 2, v[93:94]
	s_waitcnt vmcnt(1)
	v_add_co_u32_e32 v94, vcc, v85, v94
	s_waitcnt vmcnt(0)
	v_addc_co_u32_e32 v95, vcc, v86, v95, vcc
	global_load_dword v0, v[94:95], off
	global_load_dword v92, v[85:86], off offset:148
	s_waitcnt vmcnt(1)
	global_store_dword v[85:86], v0, off offset:148
	v_mov_b32_e32 v85, v107
	v_mov_b32_e32 v86, v108
	;; [unrolled: 1-line block ×4, first 2 shown]
	s_waitcnt vmcnt(1)
	global_store_dword v[94:95], v92, off
.LBB94_791:
	s_or_b64 exec, exec, s[20:21]
	v_mov_b32_e32 v92, v93
	v_mov_b32_e32 v0, v93
.LBB94_792:
	s_or_b64 exec, exec, s[18:19]
.LBB94_793:
	s_andn2_saveexec_b64 s[0:1], s[0:1]
	s_cbranch_execz .LBB94_795
; %bb.794:
	v_mov_b32_e32 v92, 37
	ds_write2_b64 v90, v[33:34], v[35:36] offset0:76 offset1:77
	ds_write2_b64 v90, v[29:30], v[31:32] offset0:78 offset1:79
	;; [unrolled: 1-line block ×10, first 2 shown]
.LBB94_795:
	s_or_b64 exec, exec, s[0:1]
	v_cmp_lt_i32_e32 vcc, 37, v92
	s_waitcnt vmcnt(0) lgkmcnt(0)
	s_barrier
	s_and_saveexec_b64 s[0:1], vcc
	s_cbranch_execz .LBB94_797
; %bb.796:
	v_mul_f64 v[93:94], v[117:118], v[39:40]
	v_mul_f64 v[39:40], v[119:120], v[39:40]
	ds_read2_b64 v[95:98], v90 offset0:76 offset1:77
	v_fma_f64 v[93:94], v[119:120], v[37:38], v[93:94]
	v_fma_f64 v[37:38], v[117:118], v[37:38], -v[39:40]
	s_waitcnt lgkmcnt(0)
	v_mul_f64 v[39:40], v[97:98], v[93:94]
	v_fma_f64 v[39:40], v[95:96], v[37:38], -v[39:40]
	v_mul_f64 v[95:96], v[95:96], v[93:94]
	v_add_f64 v[33:34], v[33:34], -v[39:40]
	v_fma_f64 v[95:96], v[97:98], v[37:38], v[95:96]
	v_add_f64 v[35:36], v[35:36], -v[95:96]
	ds_read2_b64 v[95:98], v90 offset0:78 offset1:79
	s_waitcnt lgkmcnt(0)
	v_mul_f64 v[39:40], v[97:98], v[93:94]
	v_fma_f64 v[39:40], v[95:96], v[37:38], -v[39:40]
	v_mul_f64 v[95:96], v[95:96], v[93:94]
	v_add_f64 v[29:30], v[29:30], -v[39:40]
	v_fma_f64 v[95:96], v[97:98], v[37:38], v[95:96]
	v_add_f64 v[31:32], v[31:32], -v[95:96]
	ds_read2_b64 v[95:98], v90 offset0:80 offset1:81
	;; [unrolled: 8-line block ×9, first 2 shown]
	s_waitcnt lgkmcnt(0)
	v_mul_f64 v[39:40], v[97:98], v[93:94]
	v_fma_f64 v[39:40], v[95:96], v[37:38], -v[39:40]
	v_mul_f64 v[95:96], v[95:96], v[93:94]
	v_add_f64 v[121:122], v[121:122], -v[39:40]
	v_fma_f64 v[95:96], v[97:98], v[37:38], v[95:96]
	v_mov_b32_e32 v39, v93
	v_mov_b32_e32 v40, v94
	v_add_f64 v[123:124], v[123:124], -v[95:96]
.LBB94_797:
	s_or_b64 exec, exec, s[0:1]
	v_lshl_add_u32 v93, v92, 4, v90
	s_barrier
	ds_write2_b64 v93, v[33:34], v[35:36] offset1:1
	s_waitcnt lgkmcnt(0)
	s_barrier
	ds_read2_b64 v[117:120], v90 offset0:76 offset1:77
	s_cmp_lt_i32 s3, 40
	v_mov_b32_e32 v93, 38
	s_cbranch_scc1 .LBB94_800
; %bb.798:
	v_add_u32_e32 v94, 0x270, v90
	s_mov_b32 s0, 39
	v_mov_b32_e32 v93, 38
.LBB94_799:                             ; =>This Inner Loop Header: Depth=1
	s_waitcnt lgkmcnt(0)
	v_cmp_gt_f64_e32 vcc, 0, v[117:118]
	v_xor_b32_e32 v99, 0x80000000, v118
	ds_read2_b64 v[95:98], v94 offset1:1
	v_xor_b32_e32 v101, 0x80000000, v120
	v_add_u32_e32 v94, 16, v94
	s_waitcnt lgkmcnt(0)
	v_xor_b32_e32 v103, 0x80000000, v98
	v_cndmask_b32_e32 v100, v118, v99, vcc
	v_cmp_gt_f64_e32 vcc, 0, v[119:120]
	v_mov_b32_e32 v99, v117
	v_cndmask_b32_e32 v102, v120, v101, vcc
	v_cmp_gt_f64_e32 vcc, 0, v[95:96]
	v_mov_b32_e32 v101, v119
	v_add_f64 v[99:100], v[99:100], v[101:102]
	v_xor_b32_e32 v101, 0x80000000, v96
	v_cndmask_b32_e32 v102, v96, v101, vcc
	v_cmp_gt_f64_e32 vcc, 0, v[97:98]
	v_mov_b32_e32 v101, v95
	v_cndmask_b32_e32 v104, v98, v103, vcc
	v_mov_b32_e32 v103, v97
	v_add_f64 v[101:102], v[101:102], v[103:104]
	v_cmp_lt_f64_e32 vcc, v[99:100], v[101:102]
	v_cndmask_b32_e32 v117, v117, v95, vcc
	v_mov_b32_e32 v95, s0
	s_add_i32 s0, s0, 1
	v_cndmask_b32_e32 v118, v118, v96, vcc
	v_cndmask_b32_e32 v120, v120, v98, vcc
	;; [unrolled: 1-line block ×4, first 2 shown]
	s_cmp_lg_u32 s3, s0
	s_cbranch_scc1 .LBB94_799
.LBB94_800:
	s_waitcnt lgkmcnt(0)
	v_cmp_eq_f64_e32 vcc, 0, v[117:118]
	v_cmp_eq_f64_e64 s[0:1], 0, v[119:120]
	s_and_b64 s[0:1], vcc, s[0:1]
	s_and_saveexec_b64 s[18:19], s[0:1]
	s_xor_b64 s[0:1], exec, s[18:19]
; %bb.801:
	v_cmp_ne_u32_e32 vcc, 0, v91
	v_cndmask_b32_e32 v91, 39, v91, vcc
; %bb.802:
	s_andn2_saveexec_b64 s[0:1], s[0:1]
	s_cbranch_execz .LBB94_808
; %bb.803:
	v_cmp_ngt_f64_e64 s[18:19], |v[117:118]|, |v[119:120]|
	s_and_saveexec_b64 s[20:21], s[18:19]
	s_xor_b64 s[18:19], exec, s[20:21]
	s_cbranch_execz .LBB94_805
; %bb.804:
	v_div_scale_f64 v[94:95], s[20:21], v[119:120], v[119:120], v[117:118]
	v_rcp_f64_e32 v[96:97], v[94:95]
	v_fma_f64 v[98:99], -v[94:95], v[96:97], 1.0
	v_fma_f64 v[96:97], v[96:97], v[98:99], v[96:97]
	v_div_scale_f64 v[98:99], vcc, v[117:118], v[119:120], v[117:118]
	v_fma_f64 v[100:101], -v[94:95], v[96:97], 1.0
	v_fma_f64 v[96:97], v[96:97], v[100:101], v[96:97]
	v_mul_f64 v[100:101], v[98:99], v[96:97]
	v_fma_f64 v[94:95], -v[94:95], v[100:101], v[98:99]
	v_div_fmas_f64 v[94:95], v[94:95], v[96:97], v[100:101]
	v_div_fixup_f64 v[94:95], v[94:95], v[119:120], v[117:118]
	v_fma_f64 v[96:97], v[117:118], v[94:95], v[119:120]
	v_div_scale_f64 v[98:99], s[20:21], v[96:97], v[96:97], 1.0
	v_div_scale_f64 v[104:105], vcc, 1.0, v[96:97], 1.0
	v_rcp_f64_e32 v[100:101], v[98:99]
	v_fma_f64 v[102:103], -v[98:99], v[100:101], 1.0
	v_fma_f64 v[100:101], v[100:101], v[102:103], v[100:101]
	v_fma_f64 v[102:103], -v[98:99], v[100:101], 1.0
	v_fma_f64 v[100:101], v[100:101], v[102:103], v[100:101]
	v_mul_f64 v[102:103], v[104:105], v[100:101]
	v_fma_f64 v[98:99], -v[98:99], v[102:103], v[104:105]
	v_div_fmas_f64 v[98:99], v[98:99], v[100:101], v[102:103]
	v_div_fixup_f64 v[119:120], v[98:99], v[96:97], 1.0
	v_mul_f64 v[117:118], v[94:95], v[119:120]
	v_xor_b32_e32 v120, 0x80000000, v120
.LBB94_805:
	s_andn2_saveexec_b64 s[18:19], s[18:19]
	s_cbranch_execz .LBB94_807
; %bb.806:
	v_div_scale_f64 v[94:95], s[20:21], v[117:118], v[117:118], v[119:120]
	v_rcp_f64_e32 v[96:97], v[94:95]
	v_fma_f64 v[98:99], -v[94:95], v[96:97], 1.0
	v_fma_f64 v[96:97], v[96:97], v[98:99], v[96:97]
	v_div_scale_f64 v[98:99], vcc, v[119:120], v[117:118], v[119:120]
	v_fma_f64 v[100:101], -v[94:95], v[96:97], 1.0
	v_fma_f64 v[96:97], v[96:97], v[100:101], v[96:97]
	v_mul_f64 v[100:101], v[98:99], v[96:97]
	v_fma_f64 v[94:95], -v[94:95], v[100:101], v[98:99]
	v_div_fmas_f64 v[94:95], v[94:95], v[96:97], v[100:101]
	v_div_fixup_f64 v[94:95], v[94:95], v[117:118], v[119:120]
	v_fma_f64 v[96:97], v[119:120], v[94:95], v[117:118]
	v_div_scale_f64 v[98:99], s[20:21], v[96:97], v[96:97], 1.0
	v_div_scale_f64 v[104:105], vcc, 1.0, v[96:97], 1.0
	v_rcp_f64_e32 v[100:101], v[98:99]
	v_fma_f64 v[102:103], -v[98:99], v[100:101], 1.0
	v_fma_f64 v[100:101], v[100:101], v[102:103], v[100:101]
	v_fma_f64 v[102:103], -v[98:99], v[100:101], 1.0
	v_fma_f64 v[100:101], v[100:101], v[102:103], v[100:101]
	v_mul_f64 v[102:103], v[104:105], v[100:101]
	v_fma_f64 v[98:99], -v[98:99], v[102:103], v[104:105]
	v_div_fmas_f64 v[98:99], v[98:99], v[100:101], v[102:103]
	v_div_fixup_f64 v[117:118], v[98:99], v[96:97], 1.0
	v_mul_f64 v[119:120], v[94:95], -v[117:118]
.LBB94_807:
	s_or_b64 exec, exec, s[18:19]
.LBB94_808:
	s_or_b64 exec, exec, s[0:1]
	v_cmp_ne_u32_e32 vcc, v92, v93
	s_and_saveexec_b64 s[0:1], vcc
	s_xor_b64 s[0:1], exec, s[0:1]
	s_cbranch_execz .LBB94_814
; %bb.809:
	v_cmp_eq_u32_e32 vcc, 38, v92
	s_and_saveexec_b64 s[18:19], vcc
	s_cbranch_execz .LBB94_813
; %bb.810:
	v_cmp_ne_u32_e32 vcc, 38, v93
	s_xor_b64 s[20:21], s[6:7], -1
	s_and_b64 s[22:23], s[20:21], vcc
	s_and_saveexec_b64 s[20:21], s[22:23]
	s_cbranch_execz .LBB94_812
; %bb.811:
	buffer_load_dword v85, off, s[24:27], 0 offset:352 ; 4-byte Folded Reload
	buffer_load_dword v86, off, s[24:27], 0 offset:356 ; 4-byte Folded Reload
	v_ashrrev_i32_e32 v94, 31, v93
	v_lshlrev_b64 v[94:95], 2, v[93:94]
	s_waitcnt vmcnt(1)
	v_add_co_u32_e32 v94, vcc, v85, v94
	s_waitcnt vmcnt(0)
	v_addc_co_u32_e32 v95, vcc, v86, v95, vcc
	global_load_dword v0, v[94:95], off
	global_load_dword v92, v[85:86], off offset:152
	s_waitcnt vmcnt(1)
	global_store_dword v[85:86], v0, off offset:152
	v_mov_b32_e32 v85, v107
	v_mov_b32_e32 v86, v108
	;; [unrolled: 1-line block ×4, first 2 shown]
	s_waitcnt vmcnt(1)
	global_store_dword v[94:95], v92, off
.LBB94_812:
	s_or_b64 exec, exec, s[20:21]
	v_mov_b32_e32 v92, v93
	v_mov_b32_e32 v0, v93
.LBB94_813:
	s_or_b64 exec, exec, s[18:19]
.LBB94_814:
	s_andn2_saveexec_b64 s[0:1], s[0:1]
	s_cbranch_execz .LBB94_816
; %bb.815:
	v_mov_b32_e32 v92, 38
	ds_write2_b64 v90, v[29:30], v[31:32] offset0:78 offset1:79
	ds_write2_b64 v90, v[25:26], v[27:28] offset0:80 offset1:81
	;; [unrolled: 1-line block ×9, first 2 shown]
.LBB94_816:
	s_or_b64 exec, exec, s[0:1]
	v_cmp_lt_i32_e32 vcc, 38, v92
	s_waitcnt vmcnt(0) lgkmcnt(0)
	s_barrier
	s_and_saveexec_b64 s[0:1], vcc
	s_cbranch_execz .LBB94_818
; %bb.817:
	v_mul_f64 v[93:94], v[117:118], v[35:36]
	v_mul_f64 v[35:36], v[119:120], v[35:36]
	ds_read2_b64 v[95:98], v90 offset0:78 offset1:79
	v_fma_f64 v[93:94], v[119:120], v[33:34], v[93:94]
	v_fma_f64 v[33:34], v[117:118], v[33:34], -v[35:36]
	s_waitcnt lgkmcnt(0)
	v_mul_f64 v[35:36], v[97:98], v[93:94]
	v_fma_f64 v[35:36], v[95:96], v[33:34], -v[35:36]
	v_mul_f64 v[95:96], v[95:96], v[93:94]
	v_add_f64 v[29:30], v[29:30], -v[35:36]
	v_fma_f64 v[95:96], v[97:98], v[33:34], v[95:96]
	v_add_f64 v[31:32], v[31:32], -v[95:96]
	ds_read2_b64 v[95:98], v90 offset0:80 offset1:81
	s_waitcnt lgkmcnt(0)
	v_mul_f64 v[35:36], v[97:98], v[93:94]
	v_fma_f64 v[35:36], v[95:96], v[33:34], -v[35:36]
	v_mul_f64 v[95:96], v[95:96], v[93:94]
	v_add_f64 v[25:26], v[25:26], -v[35:36]
	v_fma_f64 v[95:96], v[97:98], v[33:34], v[95:96]
	v_add_f64 v[27:28], v[27:28], -v[95:96]
	ds_read2_b64 v[95:98], v90 offset0:82 offset1:83
	;; [unrolled: 8-line block ×8, first 2 shown]
	s_waitcnt lgkmcnt(0)
	v_mul_f64 v[35:36], v[97:98], v[93:94]
	v_fma_f64 v[35:36], v[95:96], v[33:34], -v[35:36]
	v_mul_f64 v[95:96], v[95:96], v[93:94]
	v_add_f64 v[121:122], v[121:122], -v[35:36]
	v_fma_f64 v[95:96], v[97:98], v[33:34], v[95:96]
	v_mov_b32_e32 v35, v93
	v_mov_b32_e32 v36, v94
	v_add_f64 v[123:124], v[123:124], -v[95:96]
.LBB94_818:
	s_or_b64 exec, exec, s[0:1]
	v_lshl_add_u32 v93, v92, 4, v90
	s_barrier
	ds_write2_b64 v93, v[29:30], v[31:32] offset1:1
	s_waitcnt lgkmcnt(0)
	s_barrier
	ds_read2_b64 v[117:120], v90 offset0:78 offset1:79
	s_cmp_lt_i32 s3, 41
	v_mov_b32_e32 v93, 39
	s_cbranch_scc1 .LBB94_821
; %bb.819:
	v_add_u32_e32 v94, 0x280, v90
	s_mov_b32 s0, 40
	v_mov_b32_e32 v93, 39
.LBB94_820:                             ; =>This Inner Loop Header: Depth=1
	s_waitcnt lgkmcnt(0)
	v_cmp_gt_f64_e32 vcc, 0, v[117:118]
	v_xor_b32_e32 v99, 0x80000000, v118
	ds_read2_b64 v[95:98], v94 offset1:1
	v_xor_b32_e32 v101, 0x80000000, v120
	v_add_u32_e32 v94, 16, v94
	s_waitcnt lgkmcnt(0)
	v_xor_b32_e32 v103, 0x80000000, v98
	v_cndmask_b32_e32 v100, v118, v99, vcc
	v_cmp_gt_f64_e32 vcc, 0, v[119:120]
	v_mov_b32_e32 v99, v117
	v_cndmask_b32_e32 v102, v120, v101, vcc
	v_cmp_gt_f64_e32 vcc, 0, v[95:96]
	v_mov_b32_e32 v101, v119
	v_add_f64 v[99:100], v[99:100], v[101:102]
	v_xor_b32_e32 v101, 0x80000000, v96
	v_cndmask_b32_e32 v102, v96, v101, vcc
	v_cmp_gt_f64_e32 vcc, 0, v[97:98]
	v_mov_b32_e32 v101, v95
	v_cndmask_b32_e32 v104, v98, v103, vcc
	v_mov_b32_e32 v103, v97
	v_add_f64 v[101:102], v[101:102], v[103:104]
	v_cmp_lt_f64_e32 vcc, v[99:100], v[101:102]
	v_cndmask_b32_e32 v117, v117, v95, vcc
	v_mov_b32_e32 v95, s0
	s_add_i32 s0, s0, 1
	v_cndmask_b32_e32 v118, v118, v96, vcc
	v_cndmask_b32_e32 v120, v120, v98, vcc
	;; [unrolled: 1-line block ×4, first 2 shown]
	s_cmp_lg_u32 s3, s0
	s_cbranch_scc1 .LBB94_820
.LBB94_821:
	s_waitcnt lgkmcnt(0)
	v_cmp_eq_f64_e32 vcc, 0, v[117:118]
	v_cmp_eq_f64_e64 s[0:1], 0, v[119:120]
	s_and_b64 s[0:1], vcc, s[0:1]
	s_and_saveexec_b64 s[18:19], s[0:1]
	s_xor_b64 s[0:1], exec, s[18:19]
; %bb.822:
	v_cmp_ne_u32_e32 vcc, 0, v91
	v_cndmask_b32_e32 v91, 40, v91, vcc
; %bb.823:
	s_andn2_saveexec_b64 s[0:1], s[0:1]
	s_cbranch_execz .LBB94_829
; %bb.824:
	v_cmp_ngt_f64_e64 s[18:19], |v[117:118]|, |v[119:120]|
	s_and_saveexec_b64 s[20:21], s[18:19]
	s_xor_b64 s[18:19], exec, s[20:21]
	s_cbranch_execz .LBB94_826
; %bb.825:
	v_div_scale_f64 v[94:95], s[20:21], v[119:120], v[119:120], v[117:118]
	v_rcp_f64_e32 v[96:97], v[94:95]
	v_fma_f64 v[98:99], -v[94:95], v[96:97], 1.0
	v_fma_f64 v[96:97], v[96:97], v[98:99], v[96:97]
	v_div_scale_f64 v[98:99], vcc, v[117:118], v[119:120], v[117:118]
	v_fma_f64 v[100:101], -v[94:95], v[96:97], 1.0
	v_fma_f64 v[96:97], v[96:97], v[100:101], v[96:97]
	v_mul_f64 v[100:101], v[98:99], v[96:97]
	v_fma_f64 v[94:95], -v[94:95], v[100:101], v[98:99]
	v_div_fmas_f64 v[94:95], v[94:95], v[96:97], v[100:101]
	v_div_fixup_f64 v[94:95], v[94:95], v[119:120], v[117:118]
	v_fma_f64 v[96:97], v[117:118], v[94:95], v[119:120]
	v_div_scale_f64 v[98:99], s[20:21], v[96:97], v[96:97], 1.0
	v_div_scale_f64 v[104:105], vcc, 1.0, v[96:97], 1.0
	v_rcp_f64_e32 v[100:101], v[98:99]
	v_fma_f64 v[102:103], -v[98:99], v[100:101], 1.0
	v_fma_f64 v[100:101], v[100:101], v[102:103], v[100:101]
	v_fma_f64 v[102:103], -v[98:99], v[100:101], 1.0
	v_fma_f64 v[100:101], v[100:101], v[102:103], v[100:101]
	v_mul_f64 v[102:103], v[104:105], v[100:101]
	v_fma_f64 v[98:99], -v[98:99], v[102:103], v[104:105]
	v_div_fmas_f64 v[98:99], v[98:99], v[100:101], v[102:103]
	v_div_fixup_f64 v[119:120], v[98:99], v[96:97], 1.0
	v_mul_f64 v[117:118], v[94:95], v[119:120]
	v_xor_b32_e32 v120, 0x80000000, v120
.LBB94_826:
	s_andn2_saveexec_b64 s[18:19], s[18:19]
	s_cbranch_execz .LBB94_828
; %bb.827:
	v_div_scale_f64 v[94:95], s[20:21], v[117:118], v[117:118], v[119:120]
	v_rcp_f64_e32 v[96:97], v[94:95]
	v_fma_f64 v[98:99], -v[94:95], v[96:97], 1.0
	v_fma_f64 v[96:97], v[96:97], v[98:99], v[96:97]
	v_div_scale_f64 v[98:99], vcc, v[119:120], v[117:118], v[119:120]
	v_fma_f64 v[100:101], -v[94:95], v[96:97], 1.0
	v_fma_f64 v[96:97], v[96:97], v[100:101], v[96:97]
	v_mul_f64 v[100:101], v[98:99], v[96:97]
	v_fma_f64 v[94:95], -v[94:95], v[100:101], v[98:99]
	v_div_fmas_f64 v[94:95], v[94:95], v[96:97], v[100:101]
	v_div_fixup_f64 v[94:95], v[94:95], v[117:118], v[119:120]
	v_fma_f64 v[96:97], v[119:120], v[94:95], v[117:118]
	v_div_scale_f64 v[98:99], s[20:21], v[96:97], v[96:97], 1.0
	v_div_scale_f64 v[104:105], vcc, 1.0, v[96:97], 1.0
	v_rcp_f64_e32 v[100:101], v[98:99]
	v_fma_f64 v[102:103], -v[98:99], v[100:101], 1.0
	v_fma_f64 v[100:101], v[100:101], v[102:103], v[100:101]
	v_fma_f64 v[102:103], -v[98:99], v[100:101], 1.0
	v_fma_f64 v[100:101], v[100:101], v[102:103], v[100:101]
	v_mul_f64 v[102:103], v[104:105], v[100:101]
	v_fma_f64 v[98:99], -v[98:99], v[102:103], v[104:105]
	v_div_fmas_f64 v[98:99], v[98:99], v[100:101], v[102:103]
	v_div_fixup_f64 v[117:118], v[98:99], v[96:97], 1.0
	v_mul_f64 v[119:120], v[94:95], -v[117:118]
.LBB94_828:
	s_or_b64 exec, exec, s[18:19]
.LBB94_829:
	s_or_b64 exec, exec, s[0:1]
	v_cmp_ne_u32_e32 vcc, v92, v93
	s_and_saveexec_b64 s[0:1], vcc
	s_xor_b64 s[0:1], exec, s[0:1]
	s_cbranch_execz .LBB94_835
; %bb.830:
	v_cmp_eq_u32_e32 vcc, 39, v92
	s_and_saveexec_b64 s[18:19], vcc
	s_cbranch_execz .LBB94_834
; %bb.831:
	v_cmp_ne_u32_e32 vcc, 39, v93
	s_xor_b64 s[20:21], s[6:7], -1
	s_and_b64 s[22:23], s[20:21], vcc
	s_and_saveexec_b64 s[20:21], s[22:23]
	s_cbranch_execz .LBB94_833
; %bb.832:
	buffer_load_dword v85, off, s[24:27], 0 offset:352 ; 4-byte Folded Reload
	buffer_load_dword v86, off, s[24:27], 0 offset:356 ; 4-byte Folded Reload
	v_ashrrev_i32_e32 v94, 31, v93
	v_lshlrev_b64 v[94:95], 2, v[93:94]
	s_waitcnt vmcnt(1)
	v_add_co_u32_e32 v94, vcc, v85, v94
	s_waitcnt vmcnt(0)
	v_addc_co_u32_e32 v95, vcc, v86, v95, vcc
	global_load_dword v0, v[94:95], off
	global_load_dword v92, v[85:86], off offset:156
	s_waitcnt vmcnt(1)
	global_store_dword v[85:86], v0, off offset:156
	v_mov_b32_e32 v85, v107
	v_mov_b32_e32 v86, v108
	;; [unrolled: 1-line block ×4, first 2 shown]
	s_waitcnt vmcnt(1)
	global_store_dword v[94:95], v92, off
.LBB94_833:
	s_or_b64 exec, exec, s[20:21]
	v_mov_b32_e32 v92, v93
	v_mov_b32_e32 v0, v93
.LBB94_834:
	s_or_b64 exec, exec, s[18:19]
.LBB94_835:
	s_andn2_saveexec_b64 s[0:1], s[0:1]
	s_cbranch_execz .LBB94_837
; %bb.836:
	v_mov_b32_e32 v92, 39
	ds_write2_b64 v90, v[25:26], v[27:28] offset0:80 offset1:81
	ds_write2_b64 v90, v[21:22], v[23:24] offset0:82 offset1:83
	ds_write2_b64 v90, v[17:18], v[19:20] offset0:84 offset1:85
	ds_write2_b64 v90, v[13:14], v[15:16] offset0:86 offset1:87
	ds_write2_b64 v90, v[9:10], v[11:12] offset0:88 offset1:89
	ds_write2_b64 v90, v[5:6], v[7:8] offset0:90 offset1:91
	ds_write2_b64 v90, v[1:2], v[3:4] offset0:92 offset1:93
	ds_write2_b64 v90, v[121:122], v[123:124] offset0:94 offset1:95
.LBB94_837:
	s_or_b64 exec, exec, s[0:1]
	v_cmp_lt_i32_e32 vcc, 39, v92
	s_waitcnt vmcnt(0) lgkmcnt(0)
	s_barrier
	s_and_saveexec_b64 s[0:1], vcc
	s_cbranch_execz .LBB94_839
; %bb.838:
	v_mul_f64 v[93:94], v[117:118], v[31:32]
	v_mul_f64 v[31:32], v[119:120], v[31:32]
	ds_read2_b64 v[95:98], v90 offset0:80 offset1:81
	v_fma_f64 v[93:94], v[119:120], v[29:30], v[93:94]
	v_fma_f64 v[29:30], v[117:118], v[29:30], -v[31:32]
	s_waitcnt lgkmcnt(0)
	v_mul_f64 v[31:32], v[97:98], v[93:94]
	v_fma_f64 v[31:32], v[95:96], v[29:30], -v[31:32]
	v_mul_f64 v[95:96], v[95:96], v[93:94]
	v_add_f64 v[25:26], v[25:26], -v[31:32]
	v_fma_f64 v[95:96], v[97:98], v[29:30], v[95:96]
	v_add_f64 v[27:28], v[27:28], -v[95:96]
	ds_read2_b64 v[95:98], v90 offset0:82 offset1:83
	s_waitcnt lgkmcnt(0)
	v_mul_f64 v[31:32], v[97:98], v[93:94]
	v_fma_f64 v[31:32], v[95:96], v[29:30], -v[31:32]
	v_mul_f64 v[95:96], v[95:96], v[93:94]
	v_add_f64 v[21:22], v[21:22], -v[31:32]
	v_fma_f64 v[95:96], v[97:98], v[29:30], v[95:96]
	v_add_f64 v[23:24], v[23:24], -v[95:96]
	ds_read2_b64 v[95:98], v90 offset0:84 offset1:85
	;; [unrolled: 8-line block ×7, first 2 shown]
	s_waitcnt lgkmcnt(0)
	v_mul_f64 v[31:32], v[97:98], v[93:94]
	v_fma_f64 v[31:32], v[95:96], v[29:30], -v[31:32]
	v_mul_f64 v[95:96], v[95:96], v[93:94]
	v_add_f64 v[121:122], v[121:122], -v[31:32]
	v_fma_f64 v[95:96], v[97:98], v[29:30], v[95:96]
	v_mov_b32_e32 v31, v93
	v_mov_b32_e32 v32, v94
	v_add_f64 v[123:124], v[123:124], -v[95:96]
.LBB94_839:
	s_or_b64 exec, exec, s[0:1]
	v_lshl_add_u32 v93, v92, 4, v90
	s_barrier
	ds_write2_b64 v93, v[25:26], v[27:28] offset1:1
	s_waitcnt lgkmcnt(0)
	s_barrier
	ds_read2_b64 v[117:120], v90 offset0:80 offset1:81
	s_cmp_lt_i32 s3, 42
	v_mov_b32_e32 v93, 40
	s_cbranch_scc1 .LBB94_842
; %bb.840:
	v_add_u32_e32 v94, 0x290, v90
	s_mov_b32 s0, 41
	v_mov_b32_e32 v93, 40
.LBB94_841:                             ; =>This Inner Loop Header: Depth=1
	s_waitcnt lgkmcnt(0)
	v_cmp_gt_f64_e32 vcc, 0, v[117:118]
	v_xor_b32_e32 v99, 0x80000000, v118
	ds_read2_b64 v[95:98], v94 offset1:1
	v_xor_b32_e32 v101, 0x80000000, v120
	v_add_u32_e32 v94, 16, v94
	s_waitcnt lgkmcnt(0)
	v_xor_b32_e32 v103, 0x80000000, v98
	v_cndmask_b32_e32 v100, v118, v99, vcc
	v_cmp_gt_f64_e32 vcc, 0, v[119:120]
	v_mov_b32_e32 v99, v117
	v_cndmask_b32_e32 v102, v120, v101, vcc
	v_cmp_gt_f64_e32 vcc, 0, v[95:96]
	v_mov_b32_e32 v101, v119
	v_add_f64 v[99:100], v[99:100], v[101:102]
	v_xor_b32_e32 v101, 0x80000000, v96
	v_cndmask_b32_e32 v102, v96, v101, vcc
	v_cmp_gt_f64_e32 vcc, 0, v[97:98]
	v_mov_b32_e32 v101, v95
	v_cndmask_b32_e32 v104, v98, v103, vcc
	v_mov_b32_e32 v103, v97
	v_add_f64 v[101:102], v[101:102], v[103:104]
	v_cmp_lt_f64_e32 vcc, v[99:100], v[101:102]
	v_cndmask_b32_e32 v117, v117, v95, vcc
	v_mov_b32_e32 v95, s0
	s_add_i32 s0, s0, 1
	v_cndmask_b32_e32 v118, v118, v96, vcc
	v_cndmask_b32_e32 v120, v120, v98, vcc
	;; [unrolled: 1-line block ×4, first 2 shown]
	s_cmp_lg_u32 s3, s0
	s_cbranch_scc1 .LBB94_841
.LBB94_842:
	s_waitcnt lgkmcnt(0)
	v_cmp_eq_f64_e32 vcc, 0, v[117:118]
	v_cmp_eq_f64_e64 s[0:1], 0, v[119:120]
	s_and_b64 s[0:1], vcc, s[0:1]
	s_and_saveexec_b64 s[18:19], s[0:1]
	s_xor_b64 s[0:1], exec, s[18:19]
; %bb.843:
	v_cmp_ne_u32_e32 vcc, 0, v91
	v_cndmask_b32_e32 v91, 41, v91, vcc
; %bb.844:
	s_andn2_saveexec_b64 s[0:1], s[0:1]
	s_cbranch_execz .LBB94_850
; %bb.845:
	v_cmp_ngt_f64_e64 s[18:19], |v[117:118]|, |v[119:120]|
	s_and_saveexec_b64 s[20:21], s[18:19]
	s_xor_b64 s[18:19], exec, s[20:21]
	s_cbranch_execz .LBB94_847
; %bb.846:
	v_div_scale_f64 v[94:95], s[20:21], v[119:120], v[119:120], v[117:118]
	v_rcp_f64_e32 v[96:97], v[94:95]
	v_fma_f64 v[98:99], -v[94:95], v[96:97], 1.0
	v_fma_f64 v[96:97], v[96:97], v[98:99], v[96:97]
	v_div_scale_f64 v[98:99], vcc, v[117:118], v[119:120], v[117:118]
	v_fma_f64 v[100:101], -v[94:95], v[96:97], 1.0
	v_fma_f64 v[96:97], v[96:97], v[100:101], v[96:97]
	v_mul_f64 v[100:101], v[98:99], v[96:97]
	v_fma_f64 v[94:95], -v[94:95], v[100:101], v[98:99]
	v_div_fmas_f64 v[94:95], v[94:95], v[96:97], v[100:101]
	v_div_fixup_f64 v[94:95], v[94:95], v[119:120], v[117:118]
	v_fma_f64 v[96:97], v[117:118], v[94:95], v[119:120]
	v_div_scale_f64 v[98:99], s[20:21], v[96:97], v[96:97], 1.0
	v_div_scale_f64 v[104:105], vcc, 1.0, v[96:97], 1.0
	v_rcp_f64_e32 v[100:101], v[98:99]
	v_fma_f64 v[102:103], -v[98:99], v[100:101], 1.0
	v_fma_f64 v[100:101], v[100:101], v[102:103], v[100:101]
	v_fma_f64 v[102:103], -v[98:99], v[100:101], 1.0
	v_fma_f64 v[100:101], v[100:101], v[102:103], v[100:101]
	v_mul_f64 v[102:103], v[104:105], v[100:101]
	v_fma_f64 v[98:99], -v[98:99], v[102:103], v[104:105]
	v_div_fmas_f64 v[98:99], v[98:99], v[100:101], v[102:103]
	v_div_fixup_f64 v[119:120], v[98:99], v[96:97], 1.0
	v_mul_f64 v[117:118], v[94:95], v[119:120]
	v_xor_b32_e32 v120, 0x80000000, v120
.LBB94_847:
	s_andn2_saveexec_b64 s[18:19], s[18:19]
	s_cbranch_execz .LBB94_849
; %bb.848:
	v_div_scale_f64 v[94:95], s[20:21], v[117:118], v[117:118], v[119:120]
	v_rcp_f64_e32 v[96:97], v[94:95]
	v_fma_f64 v[98:99], -v[94:95], v[96:97], 1.0
	v_fma_f64 v[96:97], v[96:97], v[98:99], v[96:97]
	v_div_scale_f64 v[98:99], vcc, v[119:120], v[117:118], v[119:120]
	v_fma_f64 v[100:101], -v[94:95], v[96:97], 1.0
	v_fma_f64 v[96:97], v[96:97], v[100:101], v[96:97]
	v_mul_f64 v[100:101], v[98:99], v[96:97]
	v_fma_f64 v[94:95], -v[94:95], v[100:101], v[98:99]
	v_div_fmas_f64 v[94:95], v[94:95], v[96:97], v[100:101]
	v_div_fixup_f64 v[94:95], v[94:95], v[117:118], v[119:120]
	v_fma_f64 v[96:97], v[119:120], v[94:95], v[117:118]
	v_div_scale_f64 v[98:99], s[20:21], v[96:97], v[96:97], 1.0
	v_div_scale_f64 v[104:105], vcc, 1.0, v[96:97], 1.0
	v_rcp_f64_e32 v[100:101], v[98:99]
	v_fma_f64 v[102:103], -v[98:99], v[100:101], 1.0
	v_fma_f64 v[100:101], v[100:101], v[102:103], v[100:101]
	v_fma_f64 v[102:103], -v[98:99], v[100:101], 1.0
	v_fma_f64 v[100:101], v[100:101], v[102:103], v[100:101]
	v_mul_f64 v[102:103], v[104:105], v[100:101]
	v_fma_f64 v[98:99], -v[98:99], v[102:103], v[104:105]
	v_div_fmas_f64 v[98:99], v[98:99], v[100:101], v[102:103]
	v_div_fixup_f64 v[117:118], v[98:99], v[96:97], 1.0
	v_mul_f64 v[119:120], v[94:95], -v[117:118]
.LBB94_849:
	s_or_b64 exec, exec, s[18:19]
.LBB94_850:
	s_or_b64 exec, exec, s[0:1]
	v_cmp_ne_u32_e32 vcc, v92, v93
	s_and_saveexec_b64 s[0:1], vcc
	s_xor_b64 s[0:1], exec, s[0:1]
	s_cbranch_execz .LBB94_856
; %bb.851:
	v_cmp_eq_u32_e32 vcc, 40, v92
	s_and_saveexec_b64 s[18:19], vcc
	s_cbranch_execz .LBB94_855
; %bb.852:
	v_cmp_ne_u32_e32 vcc, 40, v93
	s_xor_b64 s[20:21], s[6:7], -1
	s_and_b64 s[22:23], s[20:21], vcc
	s_and_saveexec_b64 s[20:21], s[22:23]
	s_cbranch_execz .LBB94_854
; %bb.853:
	buffer_load_dword v85, off, s[24:27], 0 offset:352 ; 4-byte Folded Reload
	buffer_load_dword v86, off, s[24:27], 0 offset:356 ; 4-byte Folded Reload
	v_ashrrev_i32_e32 v94, 31, v93
	v_lshlrev_b64 v[94:95], 2, v[93:94]
	s_waitcnt vmcnt(1)
	v_add_co_u32_e32 v94, vcc, v85, v94
	s_waitcnt vmcnt(0)
	v_addc_co_u32_e32 v95, vcc, v86, v95, vcc
	global_load_dword v0, v[94:95], off
	global_load_dword v92, v[85:86], off offset:160
	s_waitcnt vmcnt(1)
	global_store_dword v[85:86], v0, off offset:160
	v_mov_b32_e32 v85, v107
	v_mov_b32_e32 v86, v108
	;; [unrolled: 1-line block ×4, first 2 shown]
	s_waitcnt vmcnt(1)
	global_store_dword v[94:95], v92, off
.LBB94_854:
	s_or_b64 exec, exec, s[20:21]
	v_mov_b32_e32 v92, v93
	v_mov_b32_e32 v0, v93
.LBB94_855:
	s_or_b64 exec, exec, s[18:19]
.LBB94_856:
	s_andn2_saveexec_b64 s[0:1], s[0:1]
	s_cbranch_execz .LBB94_858
; %bb.857:
	v_mov_b32_e32 v92, 40
	ds_write2_b64 v90, v[21:22], v[23:24] offset0:82 offset1:83
	ds_write2_b64 v90, v[17:18], v[19:20] offset0:84 offset1:85
	;; [unrolled: 1-line block ×7, first 2 shown]
.LBB94_858:
	s_or_b64 exec, exec, s[0:1]
	v_cmp_lt_i32_e32 vcc, 40, v92
	s_waitcnt vmcnt(0) lgkmcnt(0)
	s_barrier
	s_and_saveexec_b64 s[0:1], vcc
	s_cbranch_execz .LBB94_860
; %bb.859:
	v_mul_f64 v[93:94], v[117:118], v[27:28]
	v_mul_f64 v[27:28], v[119:120], v[27:28]
	ds_read2_b64 v[95:98], v90 offset0:82 offset1:83
	v_fma_f64 v[93:94], v[119:120], v[25:26], v[93:94]
	v_fma_f64 v[25:26], v[117:118], v[25:26], -v[27:28]
	s_waitcnt lgkmcnt(0)
	v_mul_f64 v[27:28], v[97:98], v[93:94]
	v_fma_f64 v[27:28], v[95:96], v[25:26], -v[27:28]
	v_mul_f64 v[95:96], v[95:96], v[93:94]
	v_add_f64 v[21:22], v[21:22], -v[27:28]
	v_fma_f64 v[95:96], v[97:98], v[25:26], v[95:96]
	v_add_f64 v[23:24], v[23:24], -v[95:96]
	ds_read2_b64 v[95:98], v90 offset0:84 offset1:85
	s_waitcnt lgkmcnt(0)
	v_mul_f64 v[27:28], v[97:98], v[93:94]
	v_fma_f64 v[27:28], v[95:96], v[25:26], -v[27:28]
	v_mul_f64 v[95:96], v[95:96], v[93:94]
	v_add_f64 v[17:18], v[17:18], -v[27:28]
	v_fma_f64 v[95:96], v[97:98], v[25:26], v[95:96]
	v_add_f64 v[19:20], v[19:20], -v[95:96]
	ds_read2_b64 v[95:98], v90 offset0:86 offset1:87
	;; [unrolled: 8-line block ×6, first 2 shown]
	s_waitcnt lgkmcnt(0)
	v_mul_f64 v[27:28], v[97:98], v[93:94]
	v_fma_f64 v[27:28], v[95:96], v[25:26], -v[27:28]
	v_mul_f64 v[95:96], v[95:96], v[93:94]
	v_add_f64 v[121:122], v[121:122], -v[27:28]
	v_fma_f64 v[95:96], v[97:98], v[25:26], v[95:96]
	v_mov_b32_e32 v27, v93
	v_mov_b32_e32 v28, v94
	v_add_f64 v[123:124], v[123:124], -v[95:96]
.LBB94_860:
	s_or_b64 exec, exec, s[0:1]
	v_lshl_add_u32 v93, v92, 4, v90
	s_barrier
	ds_write2_b64 v93, v[21:22], v[23:24] offset1:1
	s_waitcnt lgkmcnt(0)
	s_barrier
	ds_read2_b64 v[117:120], v90 offset0:82 offset1:83
	s_cmp_lt_i32 s3, 43
	v_mov_b32_e32 v93, 41
	s_cbranch_scc1 .LBB94_863
; %bb.861:
	v_add_u32_e32 v94, 0x2a0, v90
	s_mov_b32 s0, 42
	v_mov_b32_e32 v93, 41
.LBB94_862:                             ; =>This Inner Loop Header: Depth=1
	s_waitcnt lgkmcnt(0)
	v_cmp_gt_f64_e32 vcc, 0, v[117:118]
	v_xor_b32_e32 v99, 0x80000000, v118
	ds_read2_b64 v[95:98], v94 offset1:1
	v_xor_b32_e32 v101, 0x80000000, v120
	v_add_u32_e32 v94, 16, v94
	s_waitcnt lgkmcnt(0)
	v_xor_b32_e32 v103, 0x80000000, v98
	v_cndmask_b32_e32 v100, v118, v99, vcc
	v_cmp_gt_f64_e32 vcc, 0, v[119:120]
	v_mov_b32_e32 v99, v117
	v_cndmask_b32_e32 v102, v120, v101, vcc
	v_cmp_gt_f64_e32 vcc, 0, v[95:96]
	v_mov_b32_e32 v101, v119
	v_add_f64 v[99:100], v[99:100], v[101:102]
	v_xor_b32_e32 v101, 0x80000000, v96
	v_cndmask_b32_e32 v102, v96, v101, vcc
	v_cmp_gt_f64_e32 vcc, 0, v[97:98]
	v_mov_b32_e32 v101, v95
	v_cndmask_b32_e32 v104, v98, v103, vcc
	v_mov_b32_e32 v103, v97
	v_add_f64 v[101:102], v[101:102], v[103:104]
	v_cmp_lt_f64_e32 vcc, v[99:100], v[101:102]
	v_cndmask_b32_e32 v117, v117, v95, vcc
	v_mov_b32_e32 v95, s0
	s_add_i32 s0, s0, 1
	v_cndmask_b32_e32 v118, v118, v96, vcc
	v_cndmask_b32_e32 v120, v120, v98, vcc
	;; [unrolled: 1-line block ×4, first 2 shown]
	s_cmp_lg_u32 s3, s0
	s_cbranch_scc1 .LBB94_862
.LBB94_863:
	s_waitcnt lgkmcnt(0)
	v_cmp_eq_f64_e32 vcc, 0, v[117:118]
	v_cmp_eq_f64_e64 s[0:1], 0, v[119:120]
	s_and_b64 s[0:1], vcc, s[0:1]
	s_and_saveexec_b64 s[18:19], s[0:1]
	s_xor_b64 s[0:1], exec, s[18:19]
; %bb.864:
	v_cmp_ne_u32_e32 vcc, 0, v91
	v_cndmask_b32_e32 v91, 42, v91, vcc
; %bb.865:
	s_andn2_saveexec_b64 s[0:1], s[0:1]
	s_cbranch_execz .LBB94_871
; %bb.866:
	v_cmp_ngt_f64_e64 s[18:19], |v[117:118]|, |v[119:120]|
	s_and_saveexec_b64 s[20:21], s[18:19]
	s_xor_b64 s[18:19], exec, s[20:21]
	s_cbranch_execz .LBB94_868
; %bb.867:
	v_div_scale_f64 v[94:95], s[20:21], v[119:120], v[119:120], v[117:118]
	v_rcp_f64_e32 v[96:97], v[94:95]
	v_fma_f64 v[98:99], -v[94:95], v[96:97], 1.0
	v_fma_f64 v[96:97], v[96:97], v[98:99], v[96:97]
	v_div_scale_f64 v[98:99], vcc, v[117:118], v[119:120], v[117:118]
	v_fma_f64 v[100:101], -v[94:95], v[96:97], 1.0
	v_fma_f64 v[96:97], v[96:97], v[100:101], v[96:97]
	v_mul_f64 v[100:101], v[98:99], v[96:97]
	v_fma_f64 v[94:95], -v[94:95], v[100:101], v[98:99]
	v_div_fmas_f64 v[94:95], v[94:95], v[96:97], v[100:101]
	v_div_fixup_f64 v[94:95], v[94:95], v[119:120], v[117:118]
	v_fma_f64 v[96:97], v[117:118], v[94:95], v[119:120]
	v_div_scale_f64 v[98:99], s[20:21], v[96:97], v[96:97], 1.0
	v_div_scale_f64 v[104:105], vcc, 1.0, v[96:97], 1.0
	v_rcp_f64_e32 v[100:101], v[98:99]
	v_fma_f64 v[102:103], -v[98:99], v[100:101], 1.0
	v_fma_f64 v[100:101], v[100:101], v[102:103], v[100:101]
	v_fma_f64 v[102:103], -v[98:99], v[100:101], 1.0
	v_fma_f64 v[100:101], v[100:101], v[102:103], v[100:101]
	v_mul_f64 v[102:103], v[104:105], v[100:101]
	v_fma_f64 v[98:99], -v[98:99], v[102:103], v[104:105]
	v_div_fmas_f64 v[98:99], v[98:99], v[100:101], v[102:103]
	v_div_fixup_f64 v[119:120], v[98:99], v[96:97], 1.0
	v_mul_f64 v[117:118], v[94:95], v[119:120]
	v_xor_b32_e32 v120, 0x80000000, v120
.LBB94_868:
	s_andn2_saveexec_b64 s[18:19], s[18:19]
	s_cbranch_execz .LBB94_870
; %bb.869:
	v_div_scale_f64 v[94:95], s[20:21], v[117:118], v[117:118], v[119:120]
	v_rcp_f64_e32 v[96:97], v[94:95]
	v_fma_f64 v[98:99], -v[94:95], v[96:97], 1.0
	v_fma_f64 v[96:97], v[96:97], v[98:99], v[96:97]
	v_div_scale_f64 v[98:99], vcc, v[119:120], v[117:118], v[119:120]
	v_fma_f64 v[100:101], -v[94:95], v[96:97], 1.0
	v_fma_f64 v[96:97], v[96:97], v[100:101], v[96:97]
	v_mul_f64 v[100:101], v[98:99], v[96:97]
	v_fma_f64 v[94:95], -v[94:95], v[100:101], v[98:99]
	v_div_fmas_f64 v[94:95], v[94:95], v[96:97], v[100:101]
	v_div_fixup_f64 v[94:95], v[94:95], v[117:118], v[119:120]
	v_fma_f64 v[96:97], v[119:120], v[94:95], v[117:118]
	v_div_scale_f64 v[98:99], s[20:21], v[96:97], v[96:97], 1.0
	v_div_scale_f64 v[104:105], vcc, 1.0, v[96:97], 1.0
	v_rcp_f64_e32 v[100:101], v[98:99]
	v_fma_f64 v[102:103], -v[98:99], v[100:101], 1.0
	v_fma_f64 v[100:101], v[100:101], v[102:103], v[100:101]
	v_fma_f64 v[102:103], -v[98:99], v[100:101], 1.0
	v_fma_f64 v[100:101], v[100:101], v[102:103], v[100:101]
	v_mul_f64 v[102:103], v[104:105], v[100:101]
	v_fma_f64 v[98:99], -v[98:99], v[102:103], v[104:105]
	v_div_fmas_f64 v[98:99], v[98:99], v[100:101], v[102:103]
	v_div_fixup_f64 v[117:118], v[98:99], v[96:97], 1.0
	v_mul_f64 v[119:120], v[94:95], -v[117:118]
.LBB94_870:
	s_or_b64 exec, exec, s[18:19]
.LBB94_871:
	s_or_b64 exec, exec, s[0:1]
	v_cmp_ne_u32_e32 vcc, v92, v93
	s_and_saveexec_b64 s[0:1], vcc
	s_xor_b64 s[0:1], exec, s[0:1]
	s_cbranch_execz .LBB94_877
; %bb.872:
	v_cmp_eq_u32_e32 vcc, 41, v92
	s_and_saveexec_b64 s[18:19], vcc
	s_cbranch_execz .LBB94_876
; %bb.873:
	v_cmp_ne_u32_e32 vcc, 41, v93
	s_xor_b64 s[20:21], s[6:7], -1
	s_and_b64 s[22:23], s[20:21], vcc
	s_and_saveexec_b64 s[20:21], s[22:23]
	s_cbranch_execz .LBB94_875
; %bb.874:
	buffer_load_dword v85, off, s[24:27], 0 offset:352 ; 4-byte Folded Reload
	buffer_load_dword v86, off, s[24:27], 0 offset:356 ; 4-byte Folded Reload
	v_ashrrev_i32_e32 v94, 31, v93
	v_lshlrev_b64 v[94:95], 2, v[93:94]
	s_waitcnt vmcnt(1)
	v_add_co_u32_e32 v94, vcc, v85, v94
	s_waitcnt vmcnt(0)
	v_addc_co_u32_e32 v95, vcc, v86, v95, vcc
	global_load_dword v0, v[94:95], off
	global_load_dword v92, v[85:86], off offset:164
	s_waitcnt vmcnt(1)
	global_store_dword v[85:86], v0, off offset:164
	v_mov_b32_e32 v85, v107
	v_mov_b32_e32 v86, v108
	;; [unrolled: 1-line block ×4, first 2 shown]
	s_waitcnt vmcnt(1)
	global_store_dword v[94:95], v92, off
.LBB94_875:
	s_or_b64 exec, exec, s[20:21]
	v_mov_b32_e32 v92, v93
	v_mov_b32_e32 v0, v93
.LBB94_876:
	s_or_b64 exec, exec, s[18:19]
.LBB94_877:
	s_andn2_saveexec_b64 s[0:1], s[0:1]
	s_cbranch_execz .LBB94_879
; %bb.878:
	v_mov_b32_e32 v92, 41
	ds_write2_b64 v90, v[17:18], v[19:20] offset0:84 offset1:85
	ds_write2_b64 v90, v[13:14], v[15:16] offset0:86 offset1:87
	;; [unrolled: 1-line block ×6, first 2 shown]
.LBB94_879:
	s_or_b64 exec, exec, s[0:1]
	v_cmp_lt_i32_e32 vcc, 41, v92
	s_waitcnt vmcnt(0) lgkmcnt(0)
	s_barrier
	s_and_saveexec_b64 s[0:1], vcc
	s_cbranch_execz .LBB94_881
; %bb.880:
	v_mul_f64 v[93:94], v[117:118], v[23:24]
	v_mul_f64 v[23:24], v[119:120], v[23:24]
	ds_read2_b64 v[95:98], v90 offset0:84 offset1:85
	v_fma_f64 v[93:94], v[119:120], v[21:22], v[93:94]
	v_fma_f64 v[21:22], v[117:118], v[21:22], -v[23:24]
	s_waitcnt lgkmcnt(0)
	v_mul_f64 v[23:24], v[97:98], v[93:94]
	v_fma_f64 v[23:24], v[95:96], v[21:22], -v[23:24]
	v_mul_f64 v[95:96], v[95:96], v[93:94]
	v_add_f64 v[17:18], v[17:18], -v[23:24]
	v_fma_f64 v[95:96], v[97:98], v[21:22], v[95:96]
	v_add_f64 v[19:20], v[19:20], -v[95:96]
	ds_read2_b64 v[95:98], v90 offset0:86 offset1:87
	s_waitcnt lgkmcnt(0)
	v_mul_f64 v[23:24], v[97:98], v[93:94]
	v_fma_f64 v[23:24], v[95:96], v[21:22], -v[23:24]
	v_mul_f64 v[95:96], v[95:96], v[93:94]
	v_add_f64 v[13:14], v[13:14], -v[23:24]
	v_fma_f64 v[95:96], v[97:98], v[21:22], v[95:96]
	v_add_f64 v[15:16], v[15:16], -v[95:96]
	ds_read2_b64 v[95:98], v90 offset0:88 offset1:89
	;; [unrolled: 8-line block ×5, first 2 shown]
	s_waitcnt lgkmcnt(0)
	v_mul_f64 v[23:24], v[97:98], v[93:94]
	v_fma_f64 v[23:24], v[95:96], v[21:22], -v[23:24]
	v_mul_f64 v[95:96], v[95:96], v[93:94]
	v_add_f64 v[121:122], v[121:122], -v[23:24]
	v_fma_f64 v[95:96], v[97:98], v[21:22], v[95:96]
	v_mov_b32_e32 v23, v93
	v_mov_b32_e32 v24, v94
	v_add_f64 v[123:124], v[123:124], -v[95:96]
.LBB94_881:
	s_or_b64 exec, exec, s[0:1]
	v_lshl_add_u32 v93, v92, 4, v90
	s_barrier
	ds_write2_b64 v93, v[17:18], v[19:20] offset1:1
	s_waitcnt lgkmcnt(0)
	s_barrier
	ds_read2_b64 v[117:120], v90 offset0:84 offset1:85
	s_cmp_lt_i32 s3, 44
	v_mov_b32_e32 v93, 42
	s_cbranch_scc1 .LBB94_884
; %bb.882:
	v_add_u32_e32 v94, 0x2b0, v90
	s_mov_b32 s0, 43
	v_mov_b32_e32 v93, 42
.LBB94_883:                             ; =>This Inner Loop Header: Depth=1
	s_waitcnt lgkmcnt(0)
	v_cmp_gt_f64_e32 vcc, 0, v[117:118]
	v_xor_b32_e32 v99, 0x80000000, v118
	ds_read2_b64 v[95:98], v94 offset1:1
	v_xor_b32_e32 v101, 0x80000000, v120
	v_add_u32_e32 v94, 16, v94
	s_waitcnt lgkmcnt(0)
	v_xor_b32_e32 v103, 0x80000000, v98
	v_cndmask_b32_e32 v100, v118, v99, vcc
	v_cmp_gt_f64_e32 vcc, 0, v[119:120]
	v_mov_b32_e32 v99, v117
	v_cndmask_b32_e32 v102, v120, v101, vcc
	v_cmp_gt_f64_e32 vcc, 0, v[95:96]
	v_mov_b32_e32 v101, v119
	v_add_f64 v[99:100], v[99:100], v[101:102]
	v_xor_b32_e32 v101, 0x80000000, v96
	v_cndmask_b32_e32 v102, v96, v101, vcc
	v_cmp_gt_f64_e32 vcc, 0, v[97:98]
	v_mov_b32_e32 v101, v95
	v_cndmask_b32_e32 v104, v98, v103, vcc
	v_mov_b32_e32 v103, v97
	v_add_f64 v[101:102], v[101:102], v[103:104]
	v_cmp_lt_f64_e32 vcc, v[99:100], v[101:102]
	v_cndmask_b32_e32 v117, v117, v95, vcc
	v_mov_b32_e32 v95, s0
	s_add_i32 s0, s0, 1
	v_cndmask_b32_e32 v118, v118, v96, vcc
	v_cndmask_b32_e32 v120, v120, v98, vcc
	;; [unrolled: 1-line block ×4, first 2 shown]
	s_cmp_lg_u32 s3, s0
	s_cbranch_scc1 .LBB94_883
.LBB94_884:
	s_waitcnt lgkmcnt(0)
	v_cmp_eq_f64_e32 vcc, 0, v[117:118]
	v_cmp_eq_f64_e64 s[0:1], 0, v[119:120]
	s_and_b64 s[0:1], vcc, s[0:1]
	s_and_saveexec_b64 s[18:19], s[0:1]
	s_xor_b64 s[0:1], exec, s[18:19]
; %bb.885:
	v_cmp_ne_u32_e32 vcc, 0, v91
	v_cndmask_b32_e32 v91, 43, v91, vcc
; %bb.886:
	s_andn2_saveexec_b64 s[0:1], s[0:1]
	s_cbranch_execz .LBB94_892
; %bb.887:
	v_cmp_ngt_f64_e64 s[18:19], |v[117:118]|, |v[119:120]|
	s_and_saveexec_b64 s[20:21], s[18:19]
	s_xor_b64 s[18:19], exec, s[20:21]
	s_cbranch_execz .LBB94_889
; %bb.888:
	v_div_scale_f64 v[94:95], s[20:21], v[119:120], v[119:120], v[117:118]
	v_rcp_f64_e32 v[96:97], v[94:95]
	v_fma_f64 v[98:99], -v[94:95], v[96:97], 1.0
	v_fma_f64 v[96:97], v[96:97], v[98:99], v[96:97]
	v_div_scale_f64 v[98:99], vcc, v[117:118], v[119:120], v[117:118]
	v_fma_f64 v[100:101], -v[94:95], v[96:97], 1.0
	v_fma_f64 v[96:97], v[96:97], v[100:101], v[96:97]
	v_mul_f64 v[100:101], v[98:99], v[96:97]
	v_fma_f64 v[94:95], -v[94:95], v[100:101], v[98:99]
	v_div_fmas_f64 v[94:95], v[94:95], v[96:97], v[100:101]
	v_div_fixup_f64 v[94:95], v[94:95], v[119:120], v[117:118]
	v_fma_f64 v[96:97], v[117:118], v[94:95], v[119:120]
	v_div_scale_f64 v[98:99], s[20:21], v[96:97], v[96:97], 1.0
	v_div_scale_f64 v[104:105], vcc, 1.0, v[96:97], 1.0
	v_rcp_f64_e32 v[100:101], v[98:99]
	v_fma_f64 v[102:103], -v[98:99], v[100:101], 1.0
	v_fma_f64 v[100:101], v[100:101], v[102:103], v[100:101]
	v_fma_f64 v[102:103], -v[98:99], v[100:101], 1.0
	v_fma_f64 v[100:101], v[100:101], v[102:103], v[100:101]
	v_mul_f64 v[102:103], v[104:105], v[100:101]
	v_fma_f64 v[98:99], -v[98:99], v[102:103], v[104:105]
	v_div_fmas_f64 v[98:99], v[98:99], v[100:101], v[102:103]
	v_div_fixup_f64 v[119:120], v[98:99], v[96:97], 1.0
	v_mul_f64 v[117:118], v[94:95], v[119:120]
	v_xor_b32_e32 v120, 0x80000000, v120
.LBB94_889:
	s_andn2_saveexec_b64 s[18:19], s[18:19]
	s_cbranch_execz .LBB94_891
; %bb.890:
	v_div_scale_f64 v[94:95], s[20:21], v[117:118], v[117:118], v[119:120]
	v_rcp_f64_e32 v[96:97], v[94:95]
	v_fma_f64 v[98:99], -v[94:95], v[96:97], 1.0
	v_fma_f64 v[96:97], v[96:97], v[98:99], v[96:97]
	v_div_scale_f64 v[98:99], vcc, v[119:120], v[117:118], v[119:120]
	v_fma_f64 v[100:101], -v[94:95], v[96:97], 1.0
	v_fma_f64 v[96:97], v[96:97], v[100:101], v[96:97]
	v_mul_f64 v[100:101], v[98:99], v[96:97]
	v_fma_f64 v[94:95], -v[94:95], v[100:101], v[98:99]
	v_div_fmas_f64 v[94:95], v[94:95], v[96:97], v[100:101]
	v_div_fixup_f64 v[94:95], v[94:95], v[117:118], v[119:120]
	v_fma_f64 v[96:97], v[119:120], v[94:95], v[117:118]
	v_div_scale_f64 v[98:99], s[20:21], v[96:97], v[96:97], 1.0
	v_div_scale_f64 v[104:105], vcc, 1.0, v[96:97], 1.0
	v_rcp_f64_e32 v[100:101], v[98:99]
	v_fma_f64 v[102:103], -v[98:99], v[100:101], 1.0
	v_fma_f64 v[100:101], v[100:101], v[102:103], v[100:101]
	v_fma_f64 v[102:103], -v[98:99], v[100:101], 1.0
	v_fma_f64 v[100:101], v[100:101], v[102:103], v[100:101]
	v_mul_f64 v[102:103], v[104:105], v[100:101]
	v_fma_f64 v[98:99], -v[98:99], v[102:103], v[104:105]
	v_div_fmas_f64 v[98:99], v[98:99], v[100:101], v[102:103]
	v_div_fixup_f64 v[117:118], v[98:99], v[96:97], 1.0
	v_mul_f64 v[119:120], v[94:95], -v[117:118]
.LBB94_891:
	s_or_b64 exec, exec, s[18:19]
.LBB94_892:
	s_or_b64 exec, exec, s[0:1]
	v_cmp_ne_u32_e32 vcc, v92, v93
	s_and_saveexec_b64 s[0:1], vcc
	s_xor_b64 s[0:1], exec, s[0:1]
	s_cbranch_execz .LBB94_898
; %bb.893:
	v_cmp_eq_u32_e32 vcc, 42, v92
	s_and_saveexec_b64 s[18:19], vcc
	s_cbranch_execz .LBB94_897
; %bb.894:
	v_cmp_ne_u32_e32 vcc, 42, v93
	s_xor_b64 s[20:21], s[6:7], -1
	s_and_b64 s[22:23], s[20:21], vcc
	s_and_saveexec_b64 s[20:21], s[22:23]
	s_cbranch_execz .LBB94_896
; %bb.895:
	buffer_load_dword v85, off, s[24:27], 0 offset:352 ; 4-byte Folded Reload
	buffer_load_dword v86, off, s[24:27], 0 offset:356 ; 4-byte Folded Reload
	v_ashrrev_i32_e32 v94, 31, v93
	v_lshlrev_b64 v[94:95], 2, v[93:94]
	s_waitcnt vmcnt(1)
	v_add_co_u32_e32 v94, vcc, v85, v94
	s_waitcnt vmcnt(0)
	v_addc_co_u32_e32 v95, vcc, v86, v95, vcc
	global_load_dword v0, v[94:95], off
	global_load_dword v92, v[85:86], off offset:168
	s_waitcnt vmcnt(1)
	global_store_dword v[85:86], v0, off offset:168
	v_mov_b32_e32 v85, v107
	v_mov_b32_e32 v86, v108
	;; [unrolled: 1-line block ×4, first 2 shown]
	s_waitcnt vmcnt(1)
	global_store_dword v[94:95], v92, off
.LBB94_896:
	s_or_b64 exec, exec, s[20:21]
	v_mov_b32_e32 v92, v93
	v_mov_b32_e32 v0, v93
.LBB94_897:
	s_or_b64 exec, exec, s[18:19]
.LBB94_898:
	s_andn2_saveexec_b64 s[0:1], s[0:1]
	s_cbranch_execz .LBB94_900
; %bb.899:
	v_mov_b32_e32 v92, 42
	ds_write2_b64 v90, v[13:14], v[15:16] offset0:86 offset1:87
	ds_write2_b64 v90, v[9:10], v[11:12] offset0:88 offset1:89
	;; [unrolled: 1-line block ×5, first 2 shown]
.LBB94_900:
	s_or_b64 exec, exec, s[0:1]
	v_cmp_lt_i32_e32 vcc, 42, v92
	s_waitcnt vmcnt(0) lgkmcnt(0)
	s_barrier
	s_and_saveexec_b64 s[0:1], vcc
	s_cbranch_execz .LBB94_902
; %bb.901:
	v_mul_f64 v[93:94], v[117:118], v[19:20]
	v_mul_f64 v[19:20], v[119:120], v[19:20]
	v_fma_f64 v[97:98], v[119:120], v[17:18], v[93:94]
	ds_read2_b64 v[93:96], v90 offset0:86 offset1:87
	v_fma_f64 v[17:18], v[117:118], v[17:18], -v[19:20]
	s_waitcnt lgkmcnt(0)
	v_mul_f64 v[19:20], v[95:96], v[97:98]
	v_fma_f64 v[19:20], v[93:94], v[17:18], -v[19:20]
	v_mul_f64 v[93:94], v[93:94], v[97:98]
	v_add_f64 v[13:14], v[13:14], -v[19:20]
	v_fma_f64 v[93:94], v[95:96], v[17:18], v[93:94]
	v_add_f64 v[15:16], v[15:16], -v[93:94]
	ds_read2_b64 v[93:96], v90 offset0:88 offset1:89
	s_waitcnt lgkmcnt(0)
	v_mul_f64 v[19:20], v[95:96], v[97:98]
	v_fma_f64 v[19:20], v[93:94], v[17:18], -v[19:20]
	v_mul_f64 v[93:94], v[93:94], v[97:98]
	v_add_f64 v[9:10], v[9:10], -v[19:20]
	v_fma_f64 v[93:94], v[95:96], v[17:18], v[93:94]
	v_add_f64 v[11:12], v[11:12], -v[93:94]
	ds_read2_b64 v[93:96], v90 offset0:90 offset1:91
	;; [unrolled: 8-line block ×4, first 2 shown]
	s_waitcnt lgkmcnt(0)
	v_mul_f64 v[19:20], v[95:96], v[97:98]
	v_fma_f64 v[19:20], v[93:94], v[17:18], -v[19:20]
	v_mul_f64 v[93:94], v[93:94], v[97:98]
	v_add_f64 v[121:122], v[121:122], -v[19:20]
	v_fma_f64 v[93:94], v[95:96], v[17:18], v[93:94]
	v_mov_b32_e32 v19, v97
	v_mov_b32_e32 v20, v98
	v_add_f64 v[123:124], v[123:124], -v[93:94]
.LBB94_902:
	s_or_b64 exec, exec, s[0:1]
	v_lshl_add_u32 v93, v92, 4, v90
	s_barrier
	ds_write2_b64 v93, v[13:14], v[15:16] offset1:1
	s_waitcnt lgkmcnt(0)
	s_barrier
	ds_read2_b64 v[117:120], v90 offset0:86 offset1:87
	s_cmp_lt_i32 s3, 45
	v_mov_b32_e32 v93, 43
	s_cbranch_scc1 .LBB94_905
; %bb.903:
	v_add_u32_e32 v94, 0x2c0, v90
	s_mov_b32 s0, 44
	v_mov_b32_e32 v93, 43
.LBB94_904:                             ; =>This Inner Loop Header: Depth=1
	s_waitcnt lgkmcnt(0)
	v_cmp_gt_f64_e32 vcc, 0, v[117:118]
	v_xor_b32_e32 v99, 0x80000000, v118
	ds_read2_b64 v[95:98], v94 offset1:1
	v_xor_b32_e32 v101, 0x80000000, v120
	v_add_u32_e32 v94, 16, v94
	s_waitcnt lgkmcnt(0)
	v_xor_b32_e32 v103, 0x80000000, v98
	v_cndmask_b32_e32 v100, v118, v99, vcc
	v_cmp_gt_f64_e32 vcc, 0, v[119:120]
	v_mov_b32_e32 v99, v117
	v_cndmask_b32_e32 v102, v120, v101, vcc
	v_cmp_gt_f64_e32 vcc, 0, v[95:96]
	v_mov_b32_e32 v101, v119
	v_add_f64 v[99:100], v[99:100], v[101:102]
	v_xor_b32_e32 v101, 0x80000000, v96
	v_cndmask_b32_e32 v102, v96, v101, vcc
	v_cmp_gt_f64_e32 vcc, 0, v[97:98]
	v_mov_b32_e32 v101, v95
	v_cndmask_b32_e32 v104, v98, v103, vcc
	v_mov_b32_e32 v103, v97
	v_add_f64 v[101:102], v[101:102], v[103:104]
	v_cmp_lt_f64_e32 vcc, v[99:100], v[101:102]
	v_cndmask_b32_e32 v117, v117, v95, vcc
	v_mov_b32_e32 v95, s0
	s_add_i32 s0, s0, 1
	v_cndmask_b32_e32 v118, v118, v96, vcc
	v_cndmask_b32_e32 v120, v120, v98, vcc
	;; [unrolled: 1-line block ×4, first 2 shown]
	s_cmp_lg_u32 s3, s0
	s_cbranch_scc1 .LBB94_904
.LBB94_905:
	s_waitcnt lgkmcnt(0)
	v_cmp_eq_f64_e32 vcc, 0, v[117:118]
	v_cmp_eq_f64_e64 s[0:1], 0, v[119:120]
	s_and_b64 s[0:1], vcc, s[0:1]
	s_and_saveexec_b64 s[18:19], s[0:1]
	s_xor_b64 s[0:1], exec, s[18:19]
; %bb.906:
	v_cmp_ne_u32_e32 vcc, 0, v91
	v_cndmask_b32_e32 v91, 44, v91, vcc
; %bb.907:
	s_andn2_saveexec_b64 s[0:1], s[0:1]
	s_cbranch_execz .LBB94_913
; %bb.908:
	v_cmp_ngt_f64_e64 s[18:19], |v[117:118]|, |v[119:120]|
	s_and_saveexec_b64 s[20:21], s[18:19]
	s_xor_b64 s[18:19], exec, s[20:21]
	s_cbranch_execz .LBB94_910
; %bb.909:
	v_div_scale_f64 v[94:95], s[20:21], v[119:120], v[119:120], v[117:118]
	v_rcp_f64_e32 v[96:97], v[94:95]
	v_fma_f64 v[98:99], -v[94:95], v[96:97], 1.0
	v_fma_f64 v[96:97], v[96:97], v[98:99], v[96:97]
	v_div_scale_f64 v[98:99], vcc, v[117:118], v[119:120], v[117:118]
	v_fma_f64 v[100:101], -v[94:95], v[96:97], 1.0
	v_fma_f64 v[96:97], v[96:97], v[100:101], v[96:97]
	v_mul_f64 v[100:101], v[98:99], v[96:97]
	v_fma_f64 v[94:95], -v[94:95], v[100:101], v[98:99]
	v_div_fmas_f64 v[94:95], v[94:95], v[96:97], v[100:101]
	v_div_fixup_f64 v[94:95], v[94:95], v[119:120], v[117:118]
	v_fma_f64 v[96:97], v[117:118], v[94:95], v[119:120]
	v_div_scale_f64 v[98:99], s[20:21], v[96:97], v[96:97], 1.0
	v_div_scale_f64 v[104:105], vcc, 1.0, v[96:97], 1.0
	v_rcp_f64_e32 v[100:101], v[98:99]
	v_fma_f64 v[102:103], -v[98:99], v[100:101], 1.0
	v_fma_f64 v[100:101], v[100:101], v[102:103], v[100:101]
	v_fma_f64 v[102:103], -v[98:99], v[100:101], 1.0
	v_fma_f64 v[100:101], v[100:101], v[102:103], v[100:101]
	v_mul_f64 v[102:103], v[104:105], v[100:101]
	v_fma_f64 v[98:99], -v[98:99], v[102:103], v[104:105]
	v_div_fmas_f64 v[98:99], v[98:99], v[100:101], v[102:103]
	v_div_fixup_f64 v[119:120], v[98:99], v[96:97], 1.0
	v_mul_f64 v[117:118], v[94:95], v[119:120]
	v_xor_b32_e32 v120, 0x80000000, v120
.LBB94_910:
	s_andn2_saveexec_b64 s[18:19], s[18:19]
	s_cbranch_execz .LBB94_912
; %bb.911:
	v_div_scale_f64 v[94:95], s[20:21], v[117:118], v[117:118], v[119:120]
	v_rcp_f64_e32 v[96:97], v[94:95]
	v_fma_f64 v[98:99], -v[94:95], v[96:97], 1.0
	v_fma_f64 v[96:97], v[96:97], v[98:99], v[96:97]
	v_div_scale_f64 v[98:99], vcc, v[119:120], v[117:118], v[119:120]
	v_fma_f64 v[100:101], -v[94:95], v[96:97], 1.0
	v_fma_f64 v[96:97], v[96:97], v[100:101], v[96:97]
	v_mul_f64 v[100:101], v[98:99], v[96:97]
	v_fma_f64 v[94:95], -v[94:95], v[100:101], v[98:99]
	v_div_fmas_f64 v[94:95], v[94:95], v[96:97], v[100:101]
	v_div_fixup_f64 v[94:95], v[94:95], v[117:118], v[119:120]
	v_fma_f64 v[96:97], v[119:120], v[94:95], v[117:118]
	v_div_scale_f64 v[98:99], s[20:21], v[96:97], v[96:97], 1.0
	v_div_scale_f64 v[104:105], vcc, 1.0, v[96:97], 1.0
	v_rcp_f64_e32 v[100:101], v[98:99]
	v_fma_f64 v[102:103], -v[98:99], v[100:101], 1.0
	v_fma_f64 v[100:101], v[100:101], v[102:103], v[100:101]
	v_fma_f64 v[102:103], -v[98:99], v[100:101], 1.0
	v_fma_f64 v[100:101], v[100:101], v[102:103], v[100:101]
	v_mul_f64 v[102:103], v[104:105], v[100:101]
	v_fma_f64 v[98:99], -v[98:99], v[102:103], v[104:105]
	v_div_fmas_f64 v[98:99], v[98:99], v[100:101], v[102:103]
	v_div_fixup_f64 v[117:118], v[98:99], v[96:97], 1.0
	v_mul_f64 v[119:120], v[94:95], -v[117:118]
.LBB94_912:
	s_or_b64 exec, exec, s[18:19]
.LBB94_913:
	s_or_b64 exec, exec, s[0:1]
	v_cmp_ne_u32_e32 vcc, v92, v93
	s_and_saveexec_b64 s[0:1], vcc
	s_xor_b64 s[0:1], exec, s[0:1]
	s_cbranch_execz .LBB94_919
; %bb.914:
	v_cmp_eq_u32_e32 vcc, 43, v92
	s_and_saveexec_b64 s[18:19], vcc
	s_cbranch_execz .LBB94_918
; %bb.915:
	v_cmp_ne_u32_e32 vcc, 43, v93
	s_xor_b64 s[20:21], s[6:7], -1
	s_and_b64 s[22:23], s[20:21], vcc
	s_and_saveexec_b64 s[20:21], s[22:23]
	s_cbranch_execz .LBB94_917
; %bb.916:
	buffer_load_dword v85, off, s[24:27], 0 offset:352 ; 4-byte Folded Reload
	buffer_load_dword v86, off, s[24:27], 0 offset:356 ; 4-byte Folded Reload
	v_ashrrev_i32_e32 v94, 31, v93
	v_lshlrev_b64 v[94:95], 2, v[93:94]
	s_waitcnt vmcnt(1)
	v_add_co_u32_e32 v94, vcc, v85, v94
	s_waitcnt vmcnt(0)
	v_addc_co_u32_e32 v95, vcc, v86, v95, vcc
	global_load_dword v0, v[94:95], off
	global_load_dword v92, v[85:86], off offset:172
	s_waitcnt vmcnt(1)
	global_store_dword v[85:86], v0, off offset:172
	v_mov_b32_e32 v85, v107
	v_mov_b32_e32 v86, v108
	;; [unrolled: 1-line block ×4, first 2 shown]
	s_waitcnt vmcnt(1)
	global_store_dword v[94:95], v92, off
.LBB94_917:
	s_or_b64 exec, exec, s[20:21]
	v_mov_b32_e32 v92, v93
	v_mov_b32_e32 v0, v93
.LBB94_918:
	s_or_b64 exec, exec, s[18:19]
.LBB94_919:
	s_andn2_saveexec_b64 s[0:1], s[0:1]
	s_cbranch_execz .LBB94_921
; %bb.920:
	v_mov_b32_e32 v92, 43
	ds_write2_b64 v90, v[9:10], v[11:12] offset0:88 offset1:89
	ds_write2_b64 v90, v[5:6], v[7:8] offset0:90 offset1:91
	;; [unrolled: 1-line block ×4, first 2 shown]
.LBB94_921:
	s_or_b64 exec, exec, s[0:1]
	v_cmp_lt_i32_e32 vcc, 43, v92
	s_waitcnt vmcnt(0) lgkmcnt(0)
	s_barrier
	s_and_saveexec_b64 s[0:1], vcc
	s_cbranch_execz .LBB94_923
; %bb.922:
	v_mul_f64 v[93:94], v[117:118], v[15:16]
	v_mul_f64 v[15:16], v[119:120], v[15:16]
	v_fma_f64 v[97:98], v[119:120], v[13:14], v[93:94]
	ds_read2_b64 v[93:96], v90 offset0:88 offset1:89
	v_fma_f64 v[13:14], v[117:118], v[13:14], -v[15:16]
	s_waitcnt lgkmcnt(0)
	v_mul_f64 v[15:16], v[95:96], v[97:98]
	v_fma_f64 v[15:16], v[93:94], v[13:14], -v[15:16]
	v_mul_f64 v[93:94], v[93:94], v[97:98]
	v_add_f64 v[9:10], v[9:10], -v[15:16]
	v_fma_f64 v[93:94], v[95:96], v[13:14], v[93:94]
	v_add_f64 v[11:12], v[11:12], -v[93:94]
	ds_read2_b64 v[93:96], v90 offset0:90 offset1:91
	s_waitcnt lgkmcnt(0)
	v_mul_f64 v[15:16], v[95:96], v[97:98]
	v_fma_f64 v[15:16], v[93:94], v[13:14], -v[15:16]
	v_mul_f64 v[93:94], v[93:94], v[97:98]
	v_add_f64 v[5:6], v[5:6], -v[15:16]
	v_fma_f64 v[93:94], v[95:96], v[13:14], v[93:94]
	v_add_f64 v[7:8], v[7:8], -v[93:94]
	ds_read2_b64 v[93:96], v90 offset0:92 offset1:93
	;; [unrolled: 8-line block ×3, first 2 shown]
	s_waitcnt lgkmcnt(0)
	v_mul_f64 v[15:16], v[95:96], v[97:98]
	v_fma_f64 v[15:16], v[93:94], v[13:14], -v[15:16]
	v_mul_f64 v[93:94], v[93:94], v[97:98]
	v_add_f64 v[121:122], v[121:122], -v[15:16]
	v_fma_f64 v[93:94], v[95:96], v[13:14], v[93:94]
	v_mov_b32_e32 v15, v97
	v_mov_b32_e32 v16, v98
	v_add_f64 v[123:124], v[123:124], -v[93:94]
.LBB94_923:
	s_or_b64 exec, exec, s[0:1]
	v_lshl_add_u32 v93, v92, 4, v90
	s_barrier
	ds_write2_b64 v93, v[9:10], v[11:12] offset1:1
	s_waitcnt lgkmcnt(0)
	s_barrier
	ds_read2_b64 v[117:120], v90 offset0:88 offset1:89
	s_cmp_lt_i32 s3, 46
	v_mov_b32_e32 v93, 44
	s_cbranch_scc1 .LBB94_926
; %bb.924:
	v_add_u32_e32 v94, 0x2d0, v90
	s_mov_b32 s0, 45
	v_mov_b32_e32 v93, 44
.LBB94_925:                             ; =>This Inner Loop Header: Depth=1
	s_waitcnt lgkmcnt(0)
	v_cmp_gt_f64_e32 vcc, 0, v[117:118]
	v_xor_b32_e32 v99, 0x80000000, v118
	ds_read2_b64 v[95:98], v94 offset1:1
	v_xor_b32_e32 v101, 0x80000000, v120
	v_add_u32_e32 v94, 16, v94
	s_waitcnt lgkmcnt(0)
	v_xor_b32_e32 v103, 0x80000000, v98
	v_cndmask_b32_e32 v100, v118, v99, vcc
	v_cmp_gt_f64_e32 vcc, 0, v[119:120]
	v_mov_b32_e32 v99, v117
	v_cndmask_b32_e32 v102, v120, v101, vcc
	v_cmp_gt_f64_e32 vcc, 0, v[95:96]
	v_mov_b32_e32 v101, v119
	v_add_f64 v[99:100], v[99:100], v[101:102]
	v_xor_b32_e32 v101, 0x80000000, v96
	v_cndmask_b32_e32 v102, v96, v101, vcc
	v_cmp_gt_f64_e32 vcc, 0, v[97:98]
	v_mov_b32_e32 v101, v95
	v_cndmask_b32_e32 v104, v98, v103, vcc
	v_mov_b32_e32 v103, v97
	v_add_f64 v[101:102], v[101:102], v[103:104]
	v_cmp_lt_f64_e32 vcc, v[99:100], v[101:102]
	v_cndmask_b32_e32 v117, v117, v95, vcc
	v_mov_b32_e32 v95, s0
	s_add_i32 s0, s0, 1
	v_cndmask_b32_e32 v118, v118, v96, vcc
	v_cndmask_b32_e32 v120, v120, v98, vcc
	;; [unrolled: 1-line block ×4, first 2 shown]
	s_cmp_lg_u32 s3, s0
	s_cbranch_scc1 .LBB94_925
.LBB94_926:
	s_waitcnt lgkmcnt(0)
	v_cmp_eq_f64_e32 vcc, 0, v[117:118]
	v_cmp_eq_f64_e64 s[0:1], 0, v[119:120]
	s_and_b64 s[0:1], vcc, s[0:1]
	s_and_saveexec_b64 s[18:19], s[0:1]
	s_xor_b64 s[0:1], exec, s[18:19]
; %bb.927:
	v_cmp_ne_u32_e32 vcc, 0, v91
	v_cndmask_b32_e32 v91, 45, v91, vcc
; %bb.928:
	s_andn2_saveexec_b64 s[0:1], s[0:1]
	s_cbranch_execz .LBB94_934
; %bb.929:
	v_cmp_ngt_f64_e64 s[18:19], |v[117:118]|, |v[119:120]|
	s_and_saveexec_b64 s[20:21], s[18:19]
	s_xor_b64 s[18:19], exec, s[20:21]
	s_cbranch_execz .LBB94_931
; %bb.930:
	v_div_scale_f64 v[94:95], s[20:21], v[119:120], v[119:120], v[117:118]
	v_rcp_f64_e32 v[96:97], v[94:95]
	v_fma_f64 v[98:99], -v[94:95], v[96:97], 1.0
	v_fma_f64 v[96:97], v[96:97], v[98:99], v[96:97]
	v_div_scale_f64 v[98:99], vcc, v[117:118], v[119:120], v[117:118]
	v_fma_f64 v[100:101], -v[94:95], v[96:97], 1.0
	v_fma_f64 v[96:97], v[96:97], v[100:101], v[96:97]
	v_mul_f64 v[100:101], v[98:99], v[96:97]
	v_fma_f64 v[94:95], -v[94:95], v[100:101], v[98:99]
	v_div_fmas_f64 v[94:95], v[94:95], v[96:97], v[100:101]
	v_div_fixup_f64 v[94:95], v[94:95], v[119:120], v[117:118]
	v_fma_f64 v[96:97], v[117:118], v[94:95], v[119:120]
	v_div_scale_f64 v[98:99], s[20:21], v[96:97], v[96:97], 1.0
	v_div_scale_f64 v[104:105], vcc, 1.0, v[96:97], 1.0
	v_rcp_f64_e32 v[100:101], v[98:99]
	v_fma_f64 v[102:103], -v[98:99], v[100:101], 1.0
	v_fma_f64 v[100:101], v[100:101], v[102:103], v[100:101]
	v_fma_f64 v[102:103], -v[98:99], v[100:101], 1.0
	v_fma_f64 v[100:101], v[100:101], v[102:103], v[100:101]
	v_mul_f64 v[102:103], v[104:105], v[100:101]
	v_fma_f64 v[98:99], -v[98:99], v[102:103], v[104:105]
	v_div_fmas_f64 v[98:99], v[98:99], v[100:101], v[102:103]
	v_div_fixup_f64 v[119:120], v[98:99], v[96:97], 1.0
	v_mul_f64 v[117:118], v[94:95], v[119:120]
	v_xor_b32_e32 v120, 0x80000000, v120
.LBB94_931:
	s_andn2_saveexec_b64 s[18:19], s[18:19]
	s_cbranch_execz .LBB94_933
; %bb.932:
	v_div_scale_f64 v[94:95], s[20:21], v[117:118], v[117:118], v[119:120]
	v_rcp_f64_e32 v[96:97], v[94:95]
	v_fma_f64 v[98:99], -v[94:95], v[96:97], 1.0
	v_fma_f64 v[96:97], v[96:97], v[98:99], v[96:97]
	v_div_scale_f64 v[98:99], vcc, v[119:120], v[117:118], v[119:120]
	v_fma_f64 v[100:101], -v[94:95], v[96:97], 1.0
	v_fma_f64 v[96:97], v[96:97], v[100:101], v[96:97]
	v_mul_f64 v[100:101], v[98:99], v[96:97]
	v_fma_f64 v[94:95], -v[94:95], v[100:101], v[98:99]
	v_div_fmas_f64 v[94:95], v[94:95], v[96:97], v[100:101]
	v_div_fixup_f64 v[94:95], v[94:95], v[117:118], v[119:120]
	v_fma_f64 v[96:97], v[119:120], v[94:95], v[117:118]
	v_div_scale_f64 v[98:99], s[20:21], v[96:97], v[96:97], 1.0
	v_div_scale_f64 v[104:105], vcc, 1.0, v[96:97], 1.0
	v_rcp_f64_e32 v[100:101], v[98:99]
	v_fma_f64 v[102:103], -v[98:99], v[100:101], 1.0
	v_fma_f64 v[100:101], v[100:101], v[102:103], v[100:101]
	v_fma_f64 v[102:103], -v[98:99], v[100:101], 1.0
	v_fma_f64 v[100:101], v[100:101], v[102:103], v[100:101]
	v_mul_f64 v[102:103], v[104:105], v[100:101]
	v_fma_f64 v[98:99], -v[98:99], v[102:103], v[104:105]
	v_div_fmas_f64 v[98:99], v[98:99], v[100:101], v[102:103]
	v_div_fixup_f64 v[117:118], v[98:99], v[96:97], 1.0
	v_mul_f64 v[119:120], v[94:95], -v[117:118]
.LBB94_933:
	s_or_b64 exec, exec, s[18:19]
.LBB94_934:
	s_or_b64 exec, exec, s[0:1]
	v_cmp_ne_u32_e32 vcc, v92, v93
	s_and_saveexec_b64 s[0:1], vcc
	s_xor_b64 s[0:1], exec, s[0:1]
	s_cbranch_execz .LBB94_940
; %bb.935:
	v_cmp_eq_u32_e32 vcc, 44, v92
	s_and_saveexec_b64 s[18:19], vcc
	s_cbranch_execz .LBB94_939
; %bb.936:
	v_cmp_ne_u32_e32 vcc, 44, v93
	s_xor_b64 s[20:21], s[6:7], -1
	s_and_b64 s[22:23], s[20:21], vcc
	s_and_saveexec_b64 s[20:21], s[22:23]
	s_cbranch_execz .LBB94_938
; %bb.937:
	buffer_load_dword v85, off, s[24:27], 0 offset:352 ; 4-byte Folded Reload
	buffer_load_dword v86, off, s[24:27], 0 offset:356 ; 4-byte Folded Reload
	v_ashrrev_i32_e32 v94, 31, v93
	v_lshlrev_b64 v[94:95], 2, v[93:94]
	s_waitcnt vmcnt(1)
	v_add_co_u32_e32 v94, vcc, v85, v94
	s_waitcnt vmcnt(0)
	v_addc_co_u32_e32 v95, vcc, v86, v95, vcc
	global_load_dword v0, v[94:95], off
	global_load_dword v92, v[85:86], off offset:176
	s_waitcnt vmcnt(1)
	global_store_dword v[85:86], v0, off offset:176
	v_mov_b32_e32 v85, v107
	v_mov_b32_e32 v86, v108
	;; [unrolled: 1-line block ×4, first 2 shown]
	s_waitcnt vmcnt(1)
	global_store_dword v[94:95], v92, off
.LBB94_938:
	s_or_b64 exec, exec, s[20:21]
	v_mov_b32_e32 v92, v93
	v_mov_b32_e32 v0, v93
.LBB94_939:
	s_or_b64 exec, exec, s[18:19]
.LBB94_940:
	s_andn2_saveexec_b64 s[0:1], s[0:1]
	s_cbranch_execz .LBB94_942
; %bb.941:
	v_mov_b32_e32 v92, 44
	ds_write2_b64 v90, v[5:6], v[7:8] offset0:90 offset1:91
	ds_write2_b64 v90, v[1:2], v[3:4] offset0:92 offset1:93
	;; [unrolled: 1-line block ×3, first 2 shown]
.LBB94_942:
	s_or_b64 exec, exec, s[0:1]
	v_cmp_lt_i32_e32 vcc, 44, v92
	s_waitcnt vmcnt(0) lgkmcnt(0)
	s_barrier
	s_and_saveexec_b64 s[0:1], vcc
	s_cbranch_execz .LBB94_944
; %bb.943:
	v_mul_f64 v[93:94], v[117:118], v[11:12]
	v_mul_f64 v[11:12], v[119:120], v[11:12]
	v_fma_f64 v[97:98], v[119:120], v[9:10], v[93:94]
	ds_read2_b64 v[93:96], v90 offset0:90 offset1:91
	v_fma_f64 v[9:10], v[117:118], v[9:10], -v[11:12]
	s_waitcnt lgkmcnt(0)
	v_mul_f64 v[11:12], v[95:96], v[97:98]
	v_fma_f64 v[11:12], v[93:94], v[9:10], -v[11:12]
	v_mul_f64 v[93:94], v[93:94], v[97:98]
	v_add_f64 v[5:6], v[5:6], -v[11:12]
	v_fma_f64 v[93:94], v[95:96], v[9:10], v[93:94]
	v_add_f64 v[7:8], v[7:8], -v[93:94]
	ds_read2_b64 v[93:96], v90 offset0:92 offset1:93
	s_waitcnt lgkmcnt(0)
	v_mul_f64 v[11:12], v[95:96], v[97:98]
	v_fma_f64 v[11:12], v[93:94], v[9:10], -v[11:12]
	v_mul_f64 v[93:94], v[93:94], v[97:98]
	v_add_f64 v[1:2], v[1:2], -v[11:12]
	v_fma_f64 v[93:94], v[95:96], v[9:10], v[93:94]
	v_add_f64 v[3:4], v[3:4], -v[93:94]
	ds_read2_b64 v[93:96], v90 offset0:94 offset1:95
	s_waitcnt lgkmcnt(0)
	v_mul_f64 v[11:12], v[95:96], v[97:98]
	v_fma_f64 v[11:12], v[93:94], v[9:10], -v[11:12]
	v_mul_f64 v[93:94], v[93:94], v[97:98]
	v_add_f64 v[121:122], v[121:122], -v[11:12]
	v_fma_f64 v[93:94], v[95:96], v[9:10], v[93:94]
	v_mov_b32_e32 v11, v97
	v_mov_b32_e32 v12, v98
	v_add_f64 v[123:124], v[123:124], -v[93:94]
.LBB94_944:
	s_or_b64 exec, exec, s[0:1]
	v_lshl_add_u32 v93, v92, 4, v90
	s_barrier
	ds_write2_b64 v93, v[5:6], v[7:8] offset1:1
	s_waitcnt lgkmcnt(0)
	s_barrier
	ds_read2_b64 v[117:120], v90 offset0:90 offset1:91
	s_cmp_lt_i32 s3, 47
	v_mov_b32_e32 v93, 45
	s_cbranch_scc1 .LBB94_947
; %bb.945:
	v_add_u32_e32 v94, 0x2e0, v90
	s_mov_b32 s0, 46
	v_mov_b32_e32 v93, 45
.LBB94_946:                             ; =>This Inner Loop Header: Depth=1
	s_waitcnt lgkmcnt(0)
	v_cmp_gt_f64_e32 vcc, 0, v[117:118]
	v_xor_b32_e32 v99, 0x80000000, v118
	ds_read2_b64 v[95:98], v94 offset1:1
	v_xor_b32_e32 v101, 0x80000000, v120
	v_add_u32_e32 v94, 16, v94
	s_waitcnt lgkmcnt(0)
	v_xor_b32_e32 v103, 0x80000000, v98
	v_cndmask_b32_e32 v100, v118, v99, vcc
	v_cmp_gt_f64_e32 vcc, 0, v[119:120]
	v_mov_b32_e32 v99, v117
	v_cndmask_b32_e32 v102, v120, v101, vcc
	v_cmp_gt_f64_e32 vcc, 0, v[95:96]
	v_mov_b32_e32 v101, v119
	v_add_f64 v[99:100], v[99:100], v[101:102]
	v_xor_b32_e32 v101, 0x80000000, v96
	v_cndmask_b32_e32 v102, v96, v101, vcc
	v_cmp_gt_f64_e32 vcc, 0, v[97:98]
	v_mov_b32_e32 v101, v95
	v_cndmask_b32_e32 v104, v98, v103, vcc
	v_mov_b32_e32 v103, v97
	v_add_f64 v[101:102], v[101:102], v[103:104]
	v_cmp_lt_f64_e32 vcc, v[99:100], v[101:102]
	v_cndmask_b32_e32 v117, v117, v95, vcc
	v_mov_b32_e32 v95, s0
	s_add_i32 s0, s0, 1
	v_cndmask_b32_e32 v118, v118, v96, vcc
	v_cndmask_b32_e32 v120, v120, v98, vcc
	;; [unrolled: 1-line block ×4, first 2 shown]
	s_cmp_lg_u32 s3, s0
	s_cbranch_scc1 .LBB94_946
.LBB94_947:
	s_waitcnt lgkmcnt(0)
	v_cmp_eq_f64_e32 vcc, 0, v[117:118]
	v_cmp_eq_f64_e64 s[0:1], 0, v[119:120]
	s_and_b64 s[0:1], vcc, s[0:1]
	s_and_saveexec_b64 s[18:19], s[0:1]
	s_xor_b64 s[0:1], exec, s[18:19]
; %bb.948:
	v_cmp_ne_u32_e32 vcc, 0, v91
	v_cndmask_b32_e32 v91, 46, v91, vcc
; %bb.949:
	s_andn2_saveexec_b64 s[0:1], s[0:1]
	s_cbranch_execz .LBB94_955
; %bb.950:
	v_cmp_ngt_f64_e64 s[18:19], |v[117:118]|, |v[119:120]|
	s_and_saveexec_b64 s[20:21], s[18:19]
	s_xor_b64 s[18:19], exec, s[20:21]
	s_cbranch_execz .LBB94_952
; %bb.951:
	v_div_scale_f64 v[94:95], s[20:21], v[119:120], v[119:120], v[117:118]
	v_rcp_f64_e32 v[96:97], v[94:95]
	v_fma_f64 v[98:99], -v[94:95], v[96:97], 1.0
	v_fma_f64 v[96:97], v[96:97], v[98:99], v[96:97]
	v_div_scale_f64 v[98:99], vcc, v[117:118], v[119:120], v[117:118]
	v_fma_f64 v[100:101], -v[94:95], v[96:97], 1.0
	v_fma_f64 v[96:97], v[96:97], v[100:101], v[96:97]
	v_mul_f64 v[100:101], v[98:99], v[96:97]
	v_fma_f64 v[94:95], -v[94:95], v[100:101], v[98:99]
	v_div_fmas_f64 v[94:95], v[94:95], v[96:97], v[100:101]
	v_div_fixup_f64 v[94:95], v[94:95], v[119:120], v[117:118]
	v_fma_f64 v[96:97], v[117:118], v[94:95], v[119:120]
	v_div_scale_f64 v[98:99], s[20:21], v[96:97], v[96:97], 1.0
	v_div_scale_f64 v[104:105], vcc, 1.0, v[96:97], 1.0
	v_rcp_f64_e32 v[100:101], v[98:99]
	v_fma_f64 v[102:103], -v[98:99], v[100:101], 1.0
	v_fma_f64 v[100:101], v[100:101], v[102:103], v[100:101]
	v_fma_f64 v[102:103], -v[98:99], v[100:101], 1.0
	v_fma_f64 v[100:101], v[100:101], v[102:103], v[100:101]
	v_mul_f64 v[102:103], v[104:105], v[100:101]
	v_fma_f64 v[98:99], -v[98:99], v[102:103], v[104:105]
	v_div_fmas_f64 v[98:99], v[98:99], v[100:101], v[102:103]
	v_div_fixup_f64 v[119:120], v[98:99], v[96:97], 1.0
	v_mul_f64 v[117:118], v[94:95], v[119:120]
	v_xor_b32_e32 v120, 0x80000000, v120
.LBB94_952:
	s_andn2_saveexec_b64 s[18:19], s[18:19]
	s_cbranch_execz .LBB94_954
; %bb.953:
	v_div_scale_f64 v[94:95], s[20:21], v[117:118], v[117:118], v[119:120]
	v_rcp_f64_e32 v[96:97], v[94:95]
	v_fma_f64 v[98:99], -v[94:95], v[96:97], 1.0
	v_fma_f64 v[96:97], v[96:97], v[98:99], v[96:97]
	v_div_scale_f64 v[98:99], vcc, v[119:120], v[117:118], v[119:120]
	v_fma_f64 v[100:101], -v[94:95], v[96:97], 1.0
	v_fma_f64 v[96:97], v[96:97], v[100:101], v[96:97]
	v_mul_f64 v[100:101], v[98:99], v[96:97]
	v_fma_f64 v[94:95], -v[94:95], v[100:101], v[98:99]
	v_div_fmas_f64 v[94:95], v[94:95], v[96:97], v[100:101]
	v_div_fixup_f64 v[94:95], v[94:95], v[117:118], v[119:120]
	v_fma_f64 v[96:97], v[119:120], v[94:95], v[117:118]
	v_div_scale_f64 v[98:99], s[20:21], v[96:97], v[96:97], 1.0
	v_div_scale_f64 v[104:105], vcc, 1.0, v[96:97], 1.0
	v_rcp_f64_e32 v[100:101], v[98:99]
	v_fma_f64 v[102:103], -v[98:99], v[100:101], 1.0
	v_fma_f64 v[100:101], v[100:101], v[102:103], v[100:101]
	v_fma_f64 v[102:103], -v[98:99], v[100:101], 1.0
	v_fma_f64 v[100:101], v[100:101], v[102:103], v[100:101]
	v_mul_f64 v[102:103], v[104:105], v[100:101]
	v_fma_f64 v[98:99], -v[98:99], v[102:103], v[104:105]
	v_div_fmas_f64 v[98:99], v[98:99], v[100:101], v[102:103]
	v_div_fixup_f64 v[117:118], v[98:99], v[96:97], 1.0
	v_mul_f64 v[119:120], v[94:95], -v[117:118]
.LBB94_954:
	s_or_b64 exec, exec, s[18:19]
.LBB94_955:
	s_or_b64 exec, exec, s[0:1]
	v_cmp_ne_u32_e32 vcc, v92, v93
	s_and_saveexec_b64 s[0:1], vcc
	s_xor_b64 s[0:1], exec, s[0:1]
	s_cbranch_execz .LBB94_961
; %bb.956:
	v_cmp_eq_u32_e32 vcc, 45, v92
	s_and_saveexec_b64 s[18:19], vcc
	s_cbranch_execz .LBB94_960
; %bb.957:
	v_cmp_ne_u32_e32 vcc, 45, v93
	s_xor_b64 s[20:21], s[6:7], -1
	s_and_b64 s[22:23], s[20:21], vcc
	s_and_saveexec_b64 s[20:21], s[22:23]
	s_cbranch_execz .LBB94_959
; %bb.958:
	buffer_load_dword v85, off, s[24:27], 0 offset:352 ; 4-byte Folded Reload
	buffer_load_dword v86, off, s[24:27], 0 offset:356 ; 4-byte Folded Reload
	v_ashrrev_i32_e32 v94, 31, v93
	v_lshlrev_b64 v[94:95], 2, v[93:94]
	s_waitcnt vmcnt(1)
	v_add_co_u32_e32 v94, vcc, v85, v94
	s_waitcnt vmcnt(0)
	v_addc_co_u32_e32 v95, vcc, v86, v95, vcc
	global_load_dword v0, v[94:95], off
	global_load_dword v92, v[85:86], off offset:180
	s_waitcnt vmcnt(1)
	global_store_dword v[85:86], v0, off offset:180
	v_mov_b32_e32 v85, v107
	v_mov_b32_e32 v86, v108
	;; [unrolled: 1-line block ×4, first 2 shown]
	s_waitcnt vmcnt(1)
	global_store_dword v[94:95], v92, off
.LBB94_959:
	s_or_b64 exec, exec, s[20:21]
	v_mov_b32_e32 v92, v93
	v_mov_b32_e32 v0, v93
.LBB94_960:
	s_or_b64 exec, exec, s[18:19]
.LBB94_961:
	s_andn2_saveexec_b64 s[0:1], s[0:1]
	s_cbranch_execz .LBB94_963
; %bb.962:
	v_mov_b32_e32 v92, 45
	ds_write2_b64 v90, v[1:2], v[3:4] offset0:92 offset1:93
	ds_write2_b64 v90, v[121:122], v[123:124] offset0:94 offset1:95
.LBB94_963:
	s_or_b64 exec, exec, s[0:1]
	v_cmp_lt_i32_e32 vcc, 45, v92
	s_waitcnt vmcnt(0) lgkmcnt(0)
	s_barrier
	s_and_saveexec_b64 s[0:1], vcc
	s_cbranch_execz .LBB94_965
; %bb.964:
	v_mul_f64 v[93:94], v[117:118], v[7:8]
	v_mul_f64 v[7:8], v[119:120], v[7:8]
	v_fma_f64 v[97:98], v[119:120], v[5:6], v[93:94]
	ds_read2_b64 v[93:96], v90 offset0:92 offset1:93
	v_fma_f64 v[5:6], v[117:118], v[5:6], -v[7:8]
	s_waitcnt lgkmcnt(0)
	v_mul_f64 v[7:8], v[95:96], v[97:98]
	v_fma_f64 v[7:8], v[93:94], v[5:6], -v[7:8]
	v_mul_f64 v[93:94], v[93:94], v[97:98]
	v_add_f64 v[1:2], v[1:2], -v[7:8]
	v_fma_f64 v[93:94], v[95:96], v[5:6], v[93:94]
	v_add_f64 v[3:4], v[3:4], -v[93:94]
	ds_read2_b64 v[93:96], v90 offset0:94 offset1:95
	s_waitcnt lgkmcnt(0)
	v_mul_f64 v[7:8], v[95:96], v[97:98]
	v_fma_f64 v[7:8], v[93:94], v[5:6], -v[7:8]
	v_mul_f64 v[93:94], v[93:94], v[97:98]
	v_add_f64 v[121:122], v[121:122], -v[7:8]
	v_fma_f64 v[93:94], v[95:96], v[5:6], v[93:94]
	v_mov_b32_e32 v7, v97
	v_mov_b32_e32 v8, v98
	v_add_f64 v[123:124], v[123:124], -v[93:94]
.LBB94_965:
	s_or_b64 exec, exec, s[0:1]
	v_lshl_add_u32 v93, v92, 4, v90
	s_barrier
	ds_write2_b64 v93, v[1:2], v[3:4] offset1:1
	s_waitcnt lgkmcnt(0)
	s_barrier
	ds_read2_b64 v[117:120], v90 offset0:92 offset1:93
	s_cmp_lt_i32 s3, 48
	v_mov_b32_e32 v93, 46
	s_cbranch_scc1 .LBB94_968
; %bb.966:
	v_add_u32_e32 v94, 0x2f0, v90
	s_mov_b32 s0, 47
	v_mov_b32_e32 v93, 46
.LBB94_967:                             ; =>This Inner Loop Header: Depth=1
	s_waitcnt lgkmcnt(0)
	v_cmp_gt_f64_e32 vcc, 0, v[117:118]
	v_xor_b32_e32 v99, 0x80000000, v118
	ds_read2_b64 v[95:98], v94 offset1:1
	v_xor_b32_e32 v101, 0x80000000, v120
	v_add_u32_e32 v94, 16, v94
	s_waitcnt lgkmcnt(0)
	v_xor_b32_e32 v103, 0x80000000, v98
	v_cndmask_b32_e32 v100, v118, v99, vcc
	v_cmp_gt_f64_e32 vcc, 0, v[119:120]
	v_mov_b32_e32 v99, v117
	v_cndmask_b32_e32 v102, v120, v101, vcc
	v_cmp_gt_f64_e32 vcc, 0, v[95:96]
	v_mov_b32_e32 v101, v119
	v_add_f64 v[99:100], v[99:100], v[101:102]
	v_xor_b32_e32 v101, 0x80000000, v96
	v_cndmask_b32_e32 v102, v96, v101, vcc
	v_cmp_gt_f64_e32 vcc, 0, v[97:98]
	v_mov_b32_e32 v101, v95
	v_cndmask_b32_e32 v104, v98, v103, vcc
	v_mov_b32_e32 v103, v97
	v_add_f64 v[101:102], v[101:102], v[103:104]
	v_cmp_lt_f64_e32 vcc, v[99:100], v[101:102]
	v_cndmask_b32_e32 v117, v117, v95, vcc
	v_mov_b32_e32 v95, s0
	s_add_i32 s0, s0, 1
	v_cndmask_b32_e32 v118, v118, v96, vcc
	v_cndmask_b32_e32 v120, v120, v98, vcc
	;; [unrolled: 1-line block ×4, first 2 shown]
	s_cmp_lg_u32 s3, s0
	s_cbranch_scc1 .LBB94_967
.LBB94_968:
	s_waitcnt lgkmcnt(0)
	v_cmp_eq_f64_e32 vcc, 0, v[117:118]
	v_cmp_eq_f64_e64 s[0:1], 0, v[119:120]
	s_and_b64 s[0:1], vcc, s[0:1]
	s_and_saveexec_b64 s[18:19], s[0:1]
	s_xor_b64 s[0:1], exec, s[18:19]
; %bb.969:
	v_cmp_ne_u32_e32 vcc, 0, v91
	v_cndmask_b32_e32 v91, 47, v91, vcc
; %bb.970:
	s_andn2_saveexec_b64 s[0:1], s[0:1]
	s_cbranch_execz .LBB94_976
; %bb.971:
	v_cmp_ngt_f64_e64 s[18:19], |v[117:118]|, |v[119:120]|
	s_and_saveexec_b64 s[20:21], s[18:19]
	s_xor_b64 s[18:19], exec, s[20:21]
	s_cbranch_execz .LBB94_973
; %bb.972:
	v_div_scale_f64 v[94:95], s[20:21], v[119:120], v[119:120], v[117:118]
	v_rcp_f64_e32 v[96:97], v[94:95]
	v_fma_f64 v[98:99], -v[94:95], v[96:97], 1.0
	v_fma_f64 v[96:97], v[96:97], v[98:99], v[96:97]
	v_div_scale_f64 v[98:99], vcc, v[117:118], v[119:120], v[117:118]
	v_fma_f64 v[100:101], -v[94:95], v[96:97], 1.0
	v_fma_f64 v[96:97], v[96:97], v[100:101], v[96:97]
	v_mul_f64 v[100:101], v[98:99], v[96:97]
	v_fma_f64 v[94:95], -v[94:95], v[100:101], v[98:99]
	v_div_fmas_f64 v[94:95], v[94:95], v[96:97], v[100:101]
	v_div_fixup_f64 v[94:95], v[94:95], v[119:120], v[117:118]
	v_fma_f64 v[96:97], v[117:118], v[94:95], v[119:120]
	v_div_scale_f64 v[98:99], s[20:21], v[96:97], v[96:97], 1.0
	v_div_scale_f64 v[104:105], vcc, 1.0, v[96:97], 1.0
	v_rcp_f64_e32 v[100:101], v[98:99]
	v_fma_f64 v[102:103], -v[98:99], v[100:101], 1.0
	v_fma_f64 v[100:101], v[100:101], v[102:103], v[100:101]
	v_fma_f64 v[102:103], -v[98:99], v[100:101], 1.0
	v_fma_f64 v[100:101], v[100:101], v[102:103], v[100:101]
	v_mul_f64 v[102:103], v[104:105], v[100:101]
	v_fma_f64 v[98:99], -v[98:99], v[102:103], v[104:105]
	v_div_fmas_f64 v[98:99], v[98:99], v[100:101], v[102:103]
	v_div_fixup_f64 v[119:120], v[98:99], v[96:97], 1.0
	v_mul_f64 v[117:118], v[94:95], v[119:120]
	v_xor_b32_e32 v120, 0x80000000, v120
.LBB94_973:
	s_andn2_saveexec_b64 s[18:19], s[18:19]
	s_cbranch_execz .LBB94_975
; %bb.974:
	v_div_scale_f64 v[94:95], s[20:21], v[117:118], v[117:118], v[119:120]
	v_rcp_f64_e32 v[96:97], v[94:95]
	v_fma_f64 v[98:99], -v[94:95], v[96:97], 1.0
	v_fma_f64 v[96:97], v[96:97], v[98:99], v[96:97]
	v_div_scale_f64 v[98:99], vcc, v[119:120], v[117:118], v[119:120]
	v_fma_f64 v[100:101], -v[94:95], v[96:97], 1.0
	v_fma_f64 v[96:97], v[96:97], v[100:101], v[96:97]
	v_mul_f64 v[100:101], v[98:99], v[96:97]
	v_fma_f64 v[94:95], -v[94:95], v[100:101], v[98:99]
	v_div_fmas_f64 v[94:95], v[94:95], v[96:97], v[100:101]
	v_div_fixup_f64 v[94:95], v[94:95], v[117:118], v[119:120]
	v_fma_f64 v[96:97], v[119:120], v[94:95], v[117:118]
	v_div_scale_f64 v[98:99], s[20:21], v[96:97], v[96:97], 1.0
	v_div_scale_f64 v[104:105], vcc, 1.0, v[96:97], 1.0
	v_rcp_f64_e32 v[100:101], v[98:99]
	v_fma_f64 v[102:103], -v[98:99], v[100:101], 1.0
	v_fma_f64 v[100:101], v[100:101], v[102:103], v[100:101]
	v_fma_f64 v[102:103], -v[98:99], v[100:101], 1.0
	v_fma_f64 v[100:101], v[100:101], v[102:103], v[100:101]
	v_mul_f64 v[102:103], v[104:105], v[100:101]
	v_fma_f64 v[98:99], -v[98:99], v[102:103], v[104:105]
	v_div_fmas_f64 v[98:99], v[98:99], v[100:101], v[102:103]
	v_div_fixup_f64 v[117:118], v[98:99], v[96:97], 1.0
	v_mul_f64 v[119:120], v[94:95], -v[117:118]
.LBB94_975:
	s_or_b64 exec, exec, s[18:19]
.LBB94_976:
	s_or_b64 exec, exec, s[0:1]
	v_cmp_ne_u32_e32 vcc, v92, v93
	s_and_saveexec_b64 s[0:1], vcc
	s_xor_b64 s[0:1], exec, s[0:1]
	s_cbranch_execz .LBB94_982
; %bb.977:
	v_cmp_eq_u32_e32 vcc, 46, v92
	s_and_saveexec_b64 s[18:19], vcc
	s_cbranch_execz .LBB94_981
; %bb.978:
	v_cmp_ne_u32_e32 vcc, 46, v93
	s_xor_b64 s[20:21], s[6:7], -1
	s_and_b64 s[22:23], s[20:21], vcc
	s_and_saveexec_b64 s[20:21], s[22:23]
	s_cbranch_execz .LBB94_980
; %bb.979:
	buffer_load_dword v85, off, s[24:27], 0 offset:352 ; 4-byte Folded Reload
	buffer_load_dword v86, off, s[24:27], 0 offset:356 ; 4-byte Folded Reload
	v_ashrrev_i32_e32 v94, 31, v93
	v_lshlrev_b64 v[94:95], 2, v[93:94]
	s_waitcnt vmcnt(1)
	v_add_co_u32_e32 v94, vcc, v85, v94
	s_waitcnt vmcnt(0)
	v_addc_co_u32_e32 v95, vcc, v86, v95, vcc
	global_load_dword v0, v[94:95], off
	global_load_dword v92, v[85:86], off offset:184
	s_waitcnt vmcnt(1)
	global_store_dword v[85:86], v0, off offset:184
	v_mov_b32_e32 v85, v107
	v_mov_b32_e32 v86, v108
	;; [unrolled: 1-line block ×4, first 2 shown]
	s_waitcnt vmcnt(1)
	global_store_dword v[94:95], v92, off
.LBB94_980:
	s_or_b64 exec, exec, s[20:21]
	v_mov_b32_e32 v92, v93
	v_mov_b32_e32 v0, v93
.LBB94_981:
	s_or_b64 exec, exec, s[18:19]
.LBB94_982:
	s_andn2_saveexec_b64 s[0:1], s[0:1]
; %bb.983:
	v_mov_b32_e32 v92, 46
	ds_write2_b64 v90, v[121:122], v[123:124] offset0:94 offset1:95
; %bb.984:
	s_or_b64 exec, exec, s[0:1]
	v_cmp_lt_i32_e32 vcc, 46, v92
	s_waitcnt vmcnt(0) lgkmcnt(0)
	s_barrier
	s_and_saveexec_b64 s[0:1], vcc
	s_cbranch_execz .LBB94_986
; %bb.985:
	v_mul_f64 v[93:94], v[117:118], v[3:4]
	v_mul_f64 v[3:4], v[119:120], v[3:4]
	v_fma_f64 v[97:98], v[119:120], v[1:2], v[93:94]
	ds_read2_b64 v[93:96], v90 offset0:94 offset1:95
	v_fma_f64 v[1:2], v[117:118], v[1:2], -v[3:4]
	s_waitcnt lgkmcnt(0)
	v_mul_f64 v[3:4], v[95:96], v[97:98]
	v_fma_f64 v[3:4], v[93:94], v[1:2], -v[3:4]
	v_mul_f64 v[93:94], v[93:94], v[97:98]
	v_add_f64 v[121:122], v[121:122], -v[3:4]
	v_fma_f64 v[93:94], v[95:96], v[1:2], v[93:94]
	v_mov_b32_e32 v3, v97
	v_mov_b32_e32 v4, v98
	v_add_f64 v[123:124], v[123:124], -v[93:94]
.LBB94_986:
	s_or_b64 exec, exec, s[0:1]
	v_lshl_add_u32 v93, v92, 4, v90
	s_barrier
	ds_write2_b64 v93, v[121:122], v[123:124] offset1:1
	s_waitcnt lgkmcnt(0)
	s_barrier
	ds_read2_b64 v[117:120], v90 offset0:94 offset1:95
	s_cmp_lt_i32 s3, 49
	v_mov_b32_e32 v93, 47
	s_cbranch_scc1 .LBB94_989
; %bb.987:
	v_add_u32_e32 v90, 0x300, v90
	s_mov_b32 s0, 48
	v_mov_b32_e32 v93, 47
.LBB94_988:                             ; =>This Inner Loop Header: Depth=1
	s_waitcnt lgkmcnt(0)
	v_cmp_gt_f64_e32 vcc, 0, v[117:118]
	v_xor_b32_e32 v98, 0x80000000, v118
	ds_read2_b64 v[94:97], v90 offset1:1
	v_xor_b32_e32 v100, 0x80000000, v120
	v_add_u32_e32 v90, 16, v90
	s_waitcnt lgkmcnt(0)
	v_xor_b32_e32 v102, 0x80000000, v97
	v_cndmask_b32_e32 v99, v118, v98, vcc
	v_cmp_gt_f64_e32 vcc, 0, v[119:120]
	v_mov_b32_e32 v98, v117
	v_cndmask_b32_e32 v101, v120, v100, vcc
	v_cmp_gt_f64_e32 vcc, 0, v[94:95]
	v_mov_b32_e32 v100, v119
	v_add_f64 v[98:99], v[98:99], v[100:101]
	v_xor_b32_e32 v100, 0x80000000, v95
	v_cndmask_b32_e32 v101, v95, v100, vcc
	v_cmp_gt_f64_e32 vcc, 0, v[96:97]
	v_mov_b32_e32 v100, v94
	v_cndmask_b32_e32 v103, v97, v102, vcc
	v_mov_b32_e32 v102, v96
	v_add_f64 v[100:101], v[100:101], v[102:103]
	v_cmp_lt_f64_e32 vcc, v[98:99], v[100:101]
	v_cndmask_b32_e32 v117, v117, v94, vcc
	v_mov_b32_e32 v94, s0
	s_add_i32 s0, s0, 1
	v_cndmask_b32_e32 v118, v118, v95, vcc
	v_cndmask_b32_e32 v120, v120, v97, vcc
	;; [unrolled: 1-line block ×4, first 2 shown]
	s_cmp_lg_u32 s3, s0
	s_cbranch_scc1 .LBB94_988
.LBB94_989:
	s_waitcnt lgkmcnt(0)
	v_cmp_eq_f64_e32 vcc, 0, v[117:118]
	v_cmp_eq_f64_e64 s[0:1], 0, v[119:120]
	s_and_b64 s[0:1], vcc, s[0:1]
	s_and_saveexec_b64 s[18:19], s[0:1]
	s_xor_b64 s[0:1], exec, s[18:19]
; %bb.990:
	v_cmp_ne_u32_e32 vcc, 0, v91
	v_cndmask_b32_e32 v91, 48, v91, vcc
; %bb.991:
	s_andn2_saveexec_b64 s[0:1], s[0:1]
	s_cbranch_execz .LBB94_997
; %bb.992:
	v_cmp_ngt_f64_e64 s[18:19], |v[117:118]|, |v[119:120]|
	s_and_saveexec_b64 s[20:21], s[18:19]
	s_xor_b64 s[18:19], exec, s[20:21]
	s_cbranch_execz .LBB94_994
; %bb.993:
	v_div_scale_f64 v[94:95], s[20:21], v[119:120], v[119:120], v[117:118]
	v_rcp_f64_e32 v[96:97], v[94:95]
	v_fma_f64 v[98:99], -v[94:95], v[96:97], 1.0
	v_fma_f64 v[96:97], v[96:97], v[98:99], v[96:97]
	v_div_scale_f64 v[98:99], vcc, v[117:118], v[119:120], v[117:118]
	v_fma_f64 v[100:101], -v[94:95], v[96:97], 1.0
	v_fma_f64 v[96:97], v[96:97], v[100:101], v[96:97]
	v_mul_f64 v[100:101], v[98:99], v[96:97]
	v_fma_f64 v[94:95], -v[94:95], v[100:101], v[98:99]
	v_div_fmas_f64 v[94:95], v[94:95], v[96:97], v[100:101]
	v_div_fixup_f64 v[94:95], v[94:95], v[119:120], v[117:118]
	v_fma_f64 v[96:97], v[117:118], v[94:95], v[119:120]
	v_div_scale_f64 v[98:99], s[20:21], v[96:97], v[96:97], 1.0
	v_div_scale_f64 v[104:105], vcc, 1.0, v[96:97], 1.0
	v_rcp_f64_e32 v[100:101], v[98:99]
	v_fma_f64 v[102:103], -v[98:99], v[100:101], 1.0
	v_fma_f64 v[100:101], v[100:101], v[102:103], v[100:101]
	v_fma_f64 v[102:103], -v[98:99], v[100:101], 1.0
	v_fma_f64 v[100:101], v[100:101], v[102:103], v[100:101]
	v_mul_f64 v[102:103], v[104:105], v[100:101]
	v_fma_f64 v[98:99], -v[98:99], v[102:103], v[104:105]
	v_div_fmas_f64 v[98:99], v[98:99], v[100:101], v[102:103]
	v_div_fixup_f64 v[119:120], v[98:99], v[96:97], 1.0
	v_mul_f64 v[117:118], v[94:95], v[119:120]
	v_xor_b32_e32 v120, 0x80000000, v120
.LBB94_994:
	s_andn2_saveexec_b64 s[18:19], s[18:19]
	s_cbranch_execz .LBB94_996
; %bb.995:
	v_div_scale_f64 v[94:95], s[20:21], v[117:118], v[117:118], v[119:120]
	v_rcp_f64_e32 v[96:97], v[94:95]
	v_fma_f64 v[98:99], -v[94:95], v[96:97], 1.0
	v_fma_f64 v[96:97], v[96:97], v[98:99], v[96:97]
	v_div_scale_f64 v[98:99], vcc, v[119:120], v[117:118], v[119:120]
	v_fma_f64 v[100:101], -v[94:95], v[96:97], 1.0
	v_fma_f64 v[96:97], v[96:97], v[100:101], v[96:97]
	v_mul_f64 v[100:101], v[98:99], v[96:97]
	v_fma_f64 v[94:95], -v[94:95], v[100:101], v[98:99]
	v_div_fmas_f64 v[94:95], v[94:95], v[96:97], v[100:101]
	v_div_fixup_f64 v[94:95], v[94:95], v[117:118], v[119:120]
	v_fma_f64 v[96:97], v[119:120], v[94:95], v[117:118]
	v_div_scale_f64 v[98:99], s[20:21], v[96:97], v[96:97], 1.0
	v_div_scale_f64 v[104:105], vcc, 1.0, v[96:97], 1.0
	v_rcp_f64_e32 v[100:101], v[98:99]
	v_fma_f64 v[102:103], -v[98:99], v[100:101], 1.0
	v_fma_f64 v[100:101], v[100:101], v[102:103], v[100:101]
	v_fma_f64 v[102:103], -v[98:99], v[100:101], 1.0
	v_fma_f64 v[100:101], v[100:101], v[102:103], v[100:101]
	v_mul_f64 v[102:103], v[104:105], v[100:101]
	v_fma_f64 v[98:99], -v[98:99], v[102:103], v[104:105]
	v_div_fmas_f64 v[98:99], v[98:99], v[100:101], v[102:103]
	v_div_fixup_f64 v[117:118], v[98:99], v[96:97], 1.0
	v_mul_f64 v[119:120], v[94:95], -v[117:118]
.LBB94_996:
	s_or_b64 exec, exec, s[18:19]
.LBB94_997:
	s_or_b64 exec, exec, s[0:1]
	v_cmp_ne_u32_e32 vcc, v92, v93
	v_mov_b32_e32 v94, 47
	s_and_saveexec_b64 s[0:1], vcc
	s_cbranch_execz .LBB94_1003
; %bb.998:
	v_cmp_eq_u32_e32 vcc, 47, v92
	s_and_saveexec_b64 s[18:19], vcc
	s_cbranch_execz .LBB94_1002
; %bb.999:
	v_cmp_ne_u32_e32 vcc, 47, v93
	s_xor_b64 s[6:7], s[6:7], -1
	s_and_b64 s[20:21], s[6:7], vcc
	s_and_saveexec_b64 s[6:7], s[20:21]
	s_cbranch_execz .LBB94_1001
; %bb.1000:
	buffer_load_dword v85, off, s[24:27], 0 offset:352 ; 4-byte Folded Reload
	buffer_load_dword v86, off, s[24:27], 0 offset:356 ; 4-byte Folded Reload
	v_ashrrev_i32_e32 v94, 31, v93
	v_lshlrev_b64 v[94:95], 2, v[93:94]
	s_waitcnt vmcnt(1)
	v_add_co_u32_e32 v94, vcc, v85, v94
	s_waitcnt vmcnt(0)
	v_addc_co_u32_e32 v95, vcc, v86, v95, vcc
	global_load_dword v0, v[94:95], off
	global_load_dword v90, v[85:86], off offset:188
	s_waitcnt vmcnt(1)
	global_store_dword v[85:86], v0, off offset:188
	v_mov_b32_e32 v85, v107
	v_mov_b32_e32 v86, v108
	;; [unrolled: 1-line block ×4, first 2 shown]
	s_waitcnt vmcnt(1)
	global_store_dword v[94:95], v90, off
.LBB94_1001:
	s_or_b64 exec, exec, s[6:7]
	v_mov_b32_e32 v92, v93
	v_mov_b32_e32 v0, v93
.LBB94_1002:
	s_or_b64 exec, exec, s[18:19]
	v_mov_b32_e32 v94, v92
.LBB94_1003:
	s_or_b64 exec, exec, s[0:1]
	v_cmp_gt_i32_e32 vcc, 48, v94
	v_ashrrev_i32_e32 v95, 31, v94
	s_waitcnt vmcnt(0)
	s_barrier
	s_barrier
	s_and_saveexec_b64 s[0:1], vcc
	s_cbranch_execz .LBB94_1005
; %bb.1004:
	v_mul_lo_u32 v90, s15, v115
	v_mul_lo_u32 v96, s14, v116
	v_mad_u64_u32 v[92:93], s[6:7], s14, v115, 0
	s_lshl_b64 s[6:7], s[12:13], 2
	v_add3_u32 v0, v0, s17, 1
	v_add3_u32 v93, v93, v96, v90
	v_lshlrev_b64 v[92:93], 2, v[92:93]
	v_mov_b32_e32 v90, s11
	v_add_co_u32_e32 v92, vcc, s10, v92
	v_addc_co_u32_e32 v90, vcc, v90, v93, vcc
	v_mov_b32_e32 v93, s7
	v_add_co_u32_e32 v96, vcc, s6, v92
	v_addc_co_u32_e32 v90, vcc, v90, v93, vcc
	v_lshlrev_b64 v[92:93], 2, v[94:95]
	v_add_co_u32_e32 v92, vcc, v96, v92
	v_addc_co_u32_e32 v93, vcc, v90, v93, vcc
	global_store_dword v[92:93], v0, off
.LBB94_1005:
	s_or_b64 exec, exec, s[0:1]
	v_cmp_eq_u32_e32 vcc, 0, v94
	s_and_saveexec_b64 s[6:7], vcc
	s_cbranch_execz .LBB94_1008
; %bb.1006:
	v_lshlrev_b64 v[92:93], 2, v[115:116]
	v_mov_b32_e32 v0, s5
	v_add_co_u32_e32 v96, vcc, s4, v92
	v_addc_co_u32_e32 v97, vcc, v0, v93, vcc
	global_load_dword v0, v[96:97], off
	v_cmp_ne_u32_e64 s[0:1], 0, v91
	s_waitcnt vmcnt(0)
	v_cmp_eq_u32_e32 vcc, 0, v0
	s_and_b64 s[0:1], vcc, s[0:1]
	s_and_b64 exec, exec, s[0:1]
	s_cbranch_execz .LBB94_1008
; %bb.1007:
	v_add_u32_e32 v0, s17, v91
	global_store_dword v[96:97], v0, off
.LBB94_1008:
	s_or_b64 exec, exec, s[6:7]
	buffer_load_dword v81, off, s[24:27], 0 offset:392 ; 4-byte Folded Reload
	buffer_load_dword v82, off, s[24:27], 0 offset:396 ; 4-byte Folded Reload
	;; [unrolled: 1-line block ×4, first 2 shown]
	v_mul_f64 v[90:91], v[117:118], v[123:124]
	v_mul_f64 v[92:93], v[119:120], v[123:124]
	v_cmp_lt_i32_e32 vcc, 47, v94
	v_mov_b32_e32 v0, s9
	v_fma_f64 v[90:91], v[119:120], v[121:122], v[90:91]
	v_fma_f64 v[92:93], v[117:118], v[121:122], -v[92:93]
	v_cndmask_b32_e32 v120, v124, v91, vcc
	v_cndmask_b32_e32 v119, v123, v90, vcc
	v_lshlrev_b64 v[90:91], 4, v[94:95]
	v_cndmask_b32_e32 v118, v122, v93, vcc
	v_cndmask_b32_e32 v117, v121, v92, vcc
	v_add_co_u32_e32 v90, vcc, v127, v90
	v_addc_co_u32_e32 v91, vcc, v89, v91, vcc
	s_waitcnt vmcnt(0)
	global_store_dwordx4 v[90:91], v[81:84], off
	buffer_load_dword v81, off, s[24:27], 0 offset:376 ; 4-byte Folded Reload
	s_nop 0
	buffer_load_dword v82, off, s[24:27], 0 offset:380 ; 4-byte Folded Reload
	buffer_load_dword v83, off, s[24:27], 0 offset:384 ; 4-byte Folded Reload
	;; [unrolled: 1-line block ×3, first 2 shown]
	v_add_co_u32_e32 v90, vcc, s8, v90
	v_addc_co_u32_e32 v91, vcc, v91, v0, vcc
	s_waitcnt vmcnt(0)
	global_store_dwordx4 v[90:91], v[81:84], off
	buffer_load_dword v81, off, s[24:27], 0 offset:360 ; 4-byte Folded Reload
	s_nop 0
	buffer_load_dword v82, off, s[24:27], 0 offset:364 ; 4-byte Folded Reload
	buffer_load_dword v83, off, s[24:27], 0 offset:368 ; 4-byte Folded Reload
	;; [unrolled: 1-line block ×3, first 2 shown]
	v_add_u32_e32 v90, s16, v94
	v_ashrrev_i32_e32 v91, 31, v90
	v_lshlrev_b64 v[91:92], 4, v[90:91]
	v_add_u32_e32 v90, s2, v90
	v_add_co_u32_e32 v91, vcc, v127, v91
	v_addc_co_u32_e32 v92, vcc, v89, v92, vcc
	s_waitcnt vmcnt(0)
	global_store_dwordx4 v[91:92], v[81:84], off
	buffer_load_dword v81, off, s[24:27], 0 offset:336 ; 4-byte Folded Reload
	s_nop 0
	buffer_load_dword v82, off, s[24:27], 0 offset:340 ; 4-byte Folded Reload
	buffer_load_dword v83, off, s[24:27], 0 offset:344 ; 4-byte Folded Reload
	buffer_load_dword v84, off, s[24:27], 0 offset:348 ; 4-byte Folded Reload
	v_ashrrev_i32_e32 v91, 31, v90
	v_lshlrev_b64 v[91:92], 4, v[90:91]
	v_add_u32_e32 v90, s2, v90
	v_add_co_u32_e32 v91, vcc, v127, v91
	v_addc_co_u32_e32 v92, vcc, v89, v92, vcc
	s_waitcnt vmcnt(0)
	global_store_dwordx4 v[91:92], v[81:84], off
	buffer_load_dword v81, off, s[24:27], 0 offset:320 ; 4-byte Folded Reload
	s_nop 0
	buffer_load_dword v82, off, s[24:27], 0 offset:324 ; 4-byte Folded Reload
	buffer_load_dword v83, off, s[24:27], 0 offset:328 ; 4-byte Folded Reload
	buffer_load_dword v84, off, s[24:27], 0 offset:332 ; 4-byte Folded Reload
	;; [unrolled: 12-line block ×21, first 2 shown]
	v_ashrrev_i32_e32 v91, 31, v90
	v_lshlrev_b64 v[91:92], 4, v[90:91]
	v_add_u32_e32 v90, s2, v90
	v_add_co_u32_e32 v91, vcc, v127, v91
	v_addc_co_u32_e32 v92, vcc, v89, v92, vcc
	s_waitcnt vmcnt(0)
	global_store_dwordx4 v[91:92], v[81:84], off
	v_ashrrev_i32_e32 v91, 31, v90
	v_lshlrev_b64 v[91:92], 4, v[90:91]
	v_add_u32_e32 v90, s2, v90
	v_add_co_u32_e32 v91, vcc, v127, v91
	v_addc_co_u32_e32 v92, vcc, v89, v92, vcc
	global_store_dwordx4 v[91:92], v[85:88], off
	v_ashrrev_i32_e32 v91, 31, v90
	v_lshlrev_b64 v[91:92], 4, v[90:91]
	v_add_u32_e32 v85, s2, v90
	v_add_co_u32_e32 v91, vcc, v127, v91
	v_addc_co_u32_e32 v92, vcc, v89, v92, vcc
	global_store_dwordx4 v[91:92], v[111:114], off
	buffer_load_dword v81, off, s[24:27], 0 ; 4-byte Folded Reload
	buffer_load_dword v82, off, s[24:27], 0 offset:4 ; 4-byte Folded Reload
	buffer_load_dword v83, off, s[24:27], 0 offset:8 ; 4-byte Folded Reload
	;; [unrolled: 1-line block ×3, first 2 shown]
	v_ashrrev_i32_e32 v86, 31, v85
	v_lshlrev_b64 v[86:87], 4, v[85:86]
	v_add_co_u32_e32 v86, vcc, v127, v86
	v_addc_co_u32_e32 v87, vcc, v89, v87, vcc
	s_waitcnt vmcnt(0)
	global_store_dwordx4 v[86:87], v[81:84], off
	s_nop 0
	v_add_u32_e32 v81, s2, v85
	v_ashrrev_i32_e32 v82, 31, v81
	v_lshlrev_b64 v[82:83], 4, v[81:82]
	v_add_co_u32_e32 v82, vcc, v127, v82
	v_addc_co_u32_e32 v83, vcc, v89, v83, vcc
	global_store_dwordx4 v[82:83], v[77:80], off
	s_nop 0
	v_add_u32_e32 v77, s2, v81
	v_ashrrev_i32_e32 v78, 31, v77
	v_lshlrev_b64 v[78:79], 4, v[77:78]
	v_add_co_u32_e32 v78, vcc, v127, v78
	v_addc_co_u32_e32 v79, vcc, v89, v79, vcc
	;; [unrolled: 7-line block ×19, first 2 shown]
	global_store_dwordx4 v[10:11], v[5:8], off
	s_nop 0
	v_add_u32_e32 v5, s2, v9
	v_ashrrev_i32_e32 v6, 31, v5
	v_lshlrev_b64 v[6:7], 4, v[5:6]
	v_add_u32_e32 v0, s2, v5
	v_add_co_u32_e32 v6, vcc, v127, v6
	v_addc_co_u32_e32 v7, vcc, v89, v7, vcc
	global_store_dwordx4 v[6:7], v[1:4], off
	s_nop 0
	v_ashrrev_i32_e32 v1, 31, v0
	v_lshlrev_b64 v[0:1], 4, v[0:1]
	v_add_co_u32_e32 v0, vcc, v127, v0
	v_addc_co_u32_e32 v1, vcc, v89, v1, vcc
	global_store_dwordx4 v[0:1], v[117:120], off
.LBB94_1009:
	s_endpgm
	.section	.rodata,"a",@progbits
	.p2align	6, 0x0
	.amdhsa_kernel _ZN9rocsolver6v33100L18getf2_small_kernelILi48E19rocblas_complex_numIdEiiPS3_EEvT1_T3_lS5_lPS5_llPT2_S5_S5_S7_l
		.amdhsa_group_segment_fixed_size 0
		.amdhsa_private_segment_fixed_size 412
		.amdhsa_kernarg_size 352
		.amdhsa_user_sgpr_count 6
		.amdhsa_user_sgpr_private_segment_buffer 1
		.amdhsa_user_sgpr_dispatch_ptr 0
		.amdhsa_user_sgpr_queue_ptr 0
		.amdhsa_user_sgpr_kernarg_segment_ptr 1
		.amdhsa_user_sgpr_dispatch_id 0
		.amdhsa_user_sgpr_flat_scratch_init 0
		.amdhsa_user_sgpr_private_segment_size 0
		.amdhsa_uses_dynamic_stack 0
		.amdhsa_system_sgpr_private_segment_wavefront_offset 1
		.amdhsa_system_sgpr_workgroup_id_x 1
		.amdhsa_system_sgpr_workgroup_id_y 1
		.amdhsa_system_sgpr_workgroup_id_z 0
		.amdhsa_system_sgpr_workgroup_info 0
		.amdhsa_system_vgpr_workitem_id 1
		.amdhsa_next_free_vgpr 128
		.amdhsa_next_free_sgpr 30
		.amdhsa_reserve_vcc 1
		.amdhsa_reserve_flat_scratch 0
		.amdhsa_float_round_mode_32 0
		.amdhsa_float_round_mode_16_64 0
		.amdhsa_float_denorm_mode_32 3
		.amdhsa_float_denorm_mode_16_64 3
		.amdhsa_dx10_clamp 1
		.amdhsa_ieee_mode 1
		.amdhsa_fp16_overflow 0
		.amdhsa_exception_fp_ieee_invalid_op 0
		.amdhsa_exception_fp_denorm_src 0
		.amdhsa_exception_fp_ieee_div_zero 0
		.amdhsa_exception_fp_ieee_overflow 0
		.amdhsa_exception_fp_ieee_underflow 0
		.amdhsa_exception_fp_ieee_inexact 0
		.amdhsa_exception_int_div_zero 0
	.end_amdhsa_kernel
	.section	.text._ZN9rocsolver6v33100L18getf2_small_kernelILi48E19rocblas_complex_numIdEiiPS3_EEvT1_T3_lS5_lPS5_llPT2_S5_S5_S7_l,"axG",@progbits,_ZN9rocsolver6v33100L18getf2_small_kernelILi48E19rocblas_complex_numIdEiiPS3_EEvT1_T3_lS5_lPS5_llPT2_S5_S5_S7_l,comdat
.Lfunc_end94:
	.size	_ZN9rocsolver6v33100L18getf2_small_kernelILi48E19rocblas_complex_numIdEiiPS3_EEvT1_T3_lS5_lPS5_llPT2_S5_S5_S7_l, .Lfunc_end94-_ZN9rocsolver6v33100L18getf2_small_kernelILi48E19rocblas_complex_numIdEiiPS3_EEvT1_T3_lS5_lPS5_llPT2_S5_S5_S7_l
                                        ; -- End function
	.set _ZN9rocsolver6v33100L18getf2_small_kernelILi48E19rocblas_complex_numIdEiiPS3_EEvT1_T3_lS5_lPS5_llPT2_S5_S5_S7_l.num_vgpr, 128
	.set _ZN9rocsolver6v33100L18getf2_small_kernelILi48E19rocblas_complex_numIdEiiPS3_EEvT1_T3_lS5_lPS5_llPT2_S5_S5_S7_l.num_agpr, 0
	.set _ZN9rocsolver6v33100L18getf2_small_kernelILi48E19rocblas_complex_numIdEiiPS3_EEvT1_T3_lS5_lPS5_llPT2_S5_S5_S7_l.numbered_sgpr, 30
	.set _ZN9rocsolver6v33100L18getf2_small_kernelILi48E19rocblas_complex_numIdEiiPS3_EEvT1_T3_lS5_lPS5_llPT2_S5_S5_S7_l.num_named_barrier, 0
	.set _ZN9rocsolver6v33100L18getf2_small_kernelILi48E19rocblas_complex_numIdEiiPS3_EEvT1_T3_lS5_lPS5_llPT2_S5_S5_S7_l.private_seg_size, 412
	.set _ZN9rocsolver6v33100L18getf2_small_kernelILi48E19rocblas_complex_numIdEiiPS3_EEvT1_T3_lS5_lPS5_llPT2_S5_S5_S7_l.uses_vcc, 1
	.set _ZN9rocsolver6v33100L18getf2_small_kernelILi48E19rocblas_complex_numIdEiiPS3_EEvT1_T3_lS5_lPS5_llPT2_S5_S5_S7_l.uses_flat_scratch, 0
	.set _ZN9rocsolver6v33100L18getf2_small_kernelILi48E19rocblas_complex_numIdEiiPS3_EEvT1_T3_lS5_lPS5_llPT2_S5_S5_S7_l.has_dyn_sized_stack, 0
	.set _ZN9rocsolver6v33100L18getf2_small_kernelILi48E19rocblas_complex_numIdEiiPS3_EEvT1_T3_lS5_lPS5_llPT2_S5_S5_S7_l.has_recursion, 0
	.set _ZN9rocsolver6v33100L18getf2_small_kernelILi48E19rocblas_complex_numIdEiiPS3_EEvT1_T3_lS5_lPS5_llPT2_S5_S5_S7_l.has_indirect_call, 0
	.section	.AMDGPU.csdata,"",@progbits
; Kernel info:
; codeLenInByte = 163612
; TotalNumSgprs: 34
; NumVgprs: 128
; ScratchSize: 412
; MemoryBound: 0
; FloatMode: 240
; IeeeMode: 1
; LDSByteSize: 0 bytes/workgroup (compile time only)
; SGPRBlocks: 4
; VGPRBlocks: 31
; NumSGPRsForWavesPerEU: 34
; NumVGPRsForWavesPerEU: 128
; Occupancy: 2
; WaveLimiterHint : 0
; COMPUTE_PGM_RSRC2:SCRATCH_EN: 1
; COMPUTE_PGM_RSRC2:USER_SGPR: 6
; COMPUTE_PGM_RSRC2:TRAP_HANDLER: 0
; COMPUTE_PGM_RSRC2:TGID_X_EN: 1
; COMPUTE_PGM_RSRC2:TGID_Y_EN: 1
; COMPUTE_PGM_RSRC2:TGID_Z_EN: 0
; COMPUTE_PGM_RSRC2:TIDIG_COMP_CNT: 1
	.section	.text._ZN9rocsolver6v33100L23getf2_npvt_small_kernelILi48E19rocblas_complex_numIdEiiPS3_EEvT1_T3_lS5_lPT2_S5_S5_,"axG",@progbits,_ZN9rocsolver6v33100L23getf2_npvt_small_kernelILi48E19rocblas_complex_numIdEiiPS3_EEvT1_T3_lS5_lPT2_S5_S5_,comdat
	.globl	_ZN9rocsolver6v33100L23getf2_npvt_small_kernelILi48E19rocblas_complex_numIdEiiPS3_EEvT1_T3_lS5_lPT2_S5_S5_ ; -- Begin function _ZN9rocsolver6v33100L23getf2_npvt_small_kernelILi48E19rocblas_complex_numIdEiiPS3_EEvT1_T3_lS5_lPT2_S5_S5_
	.p2align	8
	.type	_ZN9rocsolver6v33100L23getf2_npvt_small_kernelILi48E19rocblas_complex_numIdEiiPS3_EEvT1_T3_lS5_lPT2_S5_S5_,@function
_ZN9rocsolver6v33100L23getf2_npvt_small_kernelILi48E19rocblas_complex_numIdEiiPS3_EEvT1_T3_lS5_lPT2_S5_S5_: ; @_ZN9rocsolver6v33100L23getf2_npvt_small_kernelILi48E19rocblas_complex_numIdEiiPS3_EEvT1_T3_lS5_lPT2_S5_S5_
; %bb.0:
	s_mov_b64 s[22:23], s[2:3]
	s_mov_b64 s[20:21], s[0:1]
	s_load_dword s0, s[4:5], 0x44
	s_load_dwordx2 s[12:13], s[4:5], 0x30
	s_add_u32 s20, s20, s8
	s_addc_u32 s21, s21, 0
	s_waitcnt lgkmcnt(0)
	s_lshr_b32 s2, s0, 16
	s_mul_i32 s7, s7, s2
	v_add_u32_e32 v87, s7, v1
	v_cmp_gt_i32_e32 vcc, s12, v87
	s_and_saveexec_b64 s[0:1], vcc
	s_cbranch_execnz .LBB95_1
; %bb.436:
	s_getpc_b64 s[0:1]
.Lpost_getpc9:
	s_add_u32 s0, s0, (.LBB95_435-.Lpost_getpc9)&4294967295
	s_addc_u32 s1, s1, (.LBB95_435-.Lpost_getpc9)>>32
	s_setpc_b64 s[0:1]
.LBB95_1:
	s_load_dwordx4 s[8:11], s[4:5], 0x20
	s_load_dwordx4 s[16:19], s[4:5], 0x8
	v_ashrrev_i32_e32 v88, 31, v87
	s_mulk_i32 s2, 0x300
	s_waitcnt lgkmcnt(0)
	v_mul_lo_u32 v4, s9, v87
	v_mul_lo_u32 v5, s8, v88
	v_mad_u64_u32 v[2:3], s[0:1], s8, v87, 0
	s_load_dword s0, s[4:5], 0x18
	v_mov_b32_e32 v6, s17
	v_add3_u32 v3, v3, v5, v4
	v_lshlrev_b64 v[2:3], 4, v[2:3]
	s_lshl_b64 s[4:5], s[18:19], 4
	v_add_co_u32_e32 v2, vcc, s16, v2
	v_addc_co_u32_e32 v3, vcc, v6, v3, vcc
	v_mov_b32_e32 v4, s5
	v_add_co_u32_e32 v2, vcc, s4, v2
	s_waitcnt lgkmcnt(0)
	s_add_i32 s1, s0, s0
	v_addc_co_u32_e32 v3, vcc, v3, v4, vcc
	v_add_u32_e32 v4, s1, v0
	v_ashrrev_i32_e32 v5, 31, v4
	v_lshlrev_b64 v[5:6], 4, v[4:5]
	v_add_u32_e32 v4, s0, v4
	v_add_co_u32_e32 v91, vcc, v2, v5
	v_ashrrev_i32_e32 v5, 31, v4
	v_addc_co_u32_e32 v92, vcc, v3, v6, vcc
	v_lshlrev_b64 v[5:6], 4, v[4:5]
	v_add_u32_e32 v4, s0, v4
	v_add_co_u32_e32 v59, vcc, v2, v5
	v_ashrrev_i32_e32 v5, 31, v4
	v_addc_co_u32_e32 v60, vcc, v3, v6, vcc
	;; [unrolled: 5-line block ×44, first 2 shown]
	v_lshlrev_b64 v[5:6], 4, v[4:5]
	v_add_u32_e32 v4, s0, v4
	v_add_co_u32_e32 v115, vcc, v2, v5
	v_ashrrev_i32_e32 v5, 31, v4
	v_lshlrev_b64 v[4:5], 4, v[4:5]
	v_addc_co_u32_e32 v116, vcc, v3, v6, vcc
	v_add_co_u32_e32 v121, vcc, v2, v4
	v_addc_co_u32_e32 v122, vcc, v3, v5, vcc
	v_lshlrev_b32_e32 v4, 4, v0
	v_add_co_u32_e32 v4, vcc, v2, v4
	s_ashr_i32 s1, s0, 31
	v_addc_co_u32_e32 v5, vcc, 0, v3, vcc
	s_lshl_b64 s[0:1], s[0:1], 4
	v_mov_b32_e32 v2, s1
	v_add_co_u32_e32 v63, vcc, s0, v4
	v_addc_co_u32_e32 v64, vcc, v5, v2, vcc
	buffer_store_dword v4, off, s[20:23], 0 offset:760 ; 4-byte Folded Spill
	s_nop 0
	buffer_store_dword v5, off, s[20:23], 0 offset:764 ; 4-byte Folded Spill
	s_movk_i32 s0, 0x300
	s_add_i32 s1, s2, 0
	v_mad_u32_u24 v125, v1, s0, 0
	v_lshl_add_u32 v127, v1, 4, s1
	v_cmp_ne_u32_e64 s[2:3], 0, v0
	v_cmp_eq_u32_e64 s[0:1], 0, v0
	global_load_dwordx4 v[1:4], v[4:5], off
	s_waitcnt vmcnt(0)
	buffer_store_dword v1, off, s[20:23], 0 offset:384 ; 4-byte Folded Spill
	s_nop 0
	buffer_store_dword v2, off, s[20:23], 0 offset:388 ; 4-byte Folded Spill
	buffer_store_dword v3, off, s[20:23], 0 offset:392 ; 4-byte Folded Spill
	;; [unrolled: 1-line block ×4, first 2 shown]
	s_nop 0
	buffer_store_dword v64, off, s[20:23], 0 offset:772 ; 4-byte Folded Spill
	global_load_dwordx4 v[1:4], v[63:64], off
	s_waitcnt vmcnt(0)
	buffer_store_dword v1, off, s[20:23], 0 offset:368 ; 4-byte Folded Spill
	s_nop 0
	buffer_store_dword v2, off, s[20:23], 0 offset:372 ; 4-byte Folded Spill
	buffer_store_dword v3, off, s[20:23], 0 offset:376 ; 4-byte Folded Spill
	;; [unrolled: 1-line block ×3, first 2 shown]
	global_load_dwordx4 v[1:4], v[91:92], off
	s_waitcnt vmcnt(0)
	buffer_store_dword v1, off, s[20:23], 0 offset:352 ; 4-byte Folded Spill
	s_nop 0
	buffer_store_dword v2, off, s[20:23], 0 offset:356 ; 4-byte Folded Spill
	buffer_store_dword v3, off, s[20:23], 0 offset:360 ; 4-byte Folded Spill
	buffer_store_dword v4, off, s[20:23], 0 offset:364 ; 4-byte Folded Spill
	buffer_store_dword v59, off, s[20:23], 0 offset:752 ; 4-byte Folded Spill
	s_nop 0
	buffer_store_dword v60, off, s[20:23], 0 offset:756 ; 4-byte Folded Spill
	global_load_dwordx4 v[1:4], v[59:60], off
	s_waitcnt vmcnt(0)
	buffer_store_dword v1, off, s[20:23], 0 offset:336 ; 4-byte Folded Spill
	s_nop 0
	buffer_store_dword v2, off, s[20:23], 0 offset:340 ; 4-byte Folded Spill
	buffer_store_dword v3, off, s[20:23], 0 offset:344 ; 4-byte Folded Spill
	buffer_store_dword v4, off, s[20:23], 0 offset:348 ; 4-byte Folded Spill
	buffer_store_dword v61, off, s[20:23], 0 offset:744 ; 4-byte Folded Spill
	s_nop 0
	buffer_store_dword v62, off, s[20:23], 0 offset:748 ; 4-byte Folded Spill
	;; [unrolled: 10-line block ×3, first 2 shown]
	global_load_dwordx4 v[1:4], v[7:8], off
	s_waitcnt vmcnt(0)
	buffer_store_dword v1, off, s[20:23], 0 offset:304 ; 4-byte Folded Spill
	s_nop 0
	buffer_store_dword v2, off, s[20:23], 0 offset:308 ; 4-byte Folded Spill
	buffer_store_dword v3, off, s[20:23], 0 offset:312 ; 4-byte Folded Spill
	;; [unrolled: 1-line block ×3, first 2 shown]
	global_load_dwordx4 v[1:4], v[85:86], off
	s_waitcnt vmcnt(0)
	buffer_store_dword v1, off, s[20:23], 0 offset:288 ; 4-byte Folded Spill
	s_nop 0
	buffer_store_dword v2, off, s[20:23], 0 offset:292 ; 4-byte Folded Spill
	buffer_store_dword v3, off, s[20:23], 0 offset:296 ; 4-byte Folded Spill
	buffer_store_dword v4, off, s[20:23], 0 offset:300 ; 4-byte Folded Spill
	buffer_store_dword v9, off, s[20:23], 0 offset:424 ; 4-byte Folded Spill
	s_nop 0
	buffer_store_dword v10, off, s[20:23], 0 offset:428 ; 4-byte Folded Spill
	global_load_dwordx4 v[1:4], v[9:10], off
	s_waitcnt vmcnt(0)
	buffer_store_dword v1, off, s[20:23], 0 offset:272 ; 4-byte Folded Spill
	s_nop 0
	buffer_store_dword v2, off, s[20:23], 0 offset:276 ; 4-byte Folded Spill
	buffer_store_dword v3, off, s[20:23], 0 offset:280 ; 4-byte Folded Spill
	buffer_store_dword v4, off, s[20:23], 0 offset:284 ; 4-byte Folded Spill
	buffer_store_dword v11, off, s[20:23], 0 offset:432 ; 4-byte Folded Spill
	s_nop 0
	buffer_store_dword v12, off, s[20:23], 0 offset:436 ; 4-byte Folded Spill
	;; [unrolled: 10-line block ×16, first 2 shown]
	global_load_dwordx4 v[69:72], v[39:40], off
	s_nop 0
	buffer_store_dword v41, off, s[20:23], 0 offset:552 ; 4-byte Folded Spill
	s_nop 0
	buffer_store_dword v42, off, s[20:23], 0 offset:556 ; 4-byte Folded Spill
	global_load_dwordx4 v[117:120], v[41:42], off
	global_load_dwordx4 v[77:80], v[81:82], off
	s_nop 0
	buffer_store_dword v43, off, s[20:23], 0 offset:560 ; 4-byte Folded Spill
	s_nop 0
	buffer_store_dword v44, off, s[20:23], 0 offset:564 ; 4-byte Folded Spill
	global_load_dwordx4 v[37:40], v[43:44], off
	s_nop 0
	buffer_store_dword v45, off, s[20:23], 0 offset:568 ; 4-byte Folded Spill
	s_nop 0
	buffer_store_dword v46, off, s[20:23], 0 offset:572 ; 4-byte Folded Spill
	;; [unrolled: 5-line block ×3, first 2 shown]
	global_load_dwordx4 v[5:8], v[47:48], off
	s_waitcnt vmcnt(0)
	buffer_store_dword v5, off, s[20:23], 0 offset:32 ; 4-byte Folded Spill
	s_nop 0
	buffer_store_dword v6, off, s[20:23], 0 offset:36 ; 4-byte Folded Spill
	buffer_store_dword v7, off, s[20:23], 0 offset:40 ; 4-byte Folded Spill
	;; [unrolled: 1-line block ×4, first 2 shown]
	s_nop 0
	buffer_store_dword v50, off, s[20:23], 0 offset:588 ; 4-byte Folded Spill
	global_load_dwordx4 v[5:8], v[49:50], off
	s_waitcnt vmcnt(0)
	buffer_store_dword v5, off, s[20:23], 0 offset:16 ; 4-byte Folded Spill
	s_nop 0
	buffer_store_dword v6, off, s[20:23], 0 offset:20 ; 4-byte Folded Spill
	buffer_store_dword v7, off, s[20:23], 0 offset:24 ; 4-byte Folded Spill
	;; [unrolled: 1-line block ×4, first 2 shown]
	s_nop 0
	buffer_store_dword v52, off, s[20:23], 0 offset:596 ; 4-byte Folded Spill
	global_load_dwordx4 v[5:8], v[51:52], off
	s_waitcnt vmcnt(0)
	buffer_store_dword v5, off, s[20:23], 0 ; 4-byte Folded Spill
	s_nop 0
	buffer_store_dword v6, off, s[20:23], 0 offset:4 ; 4-byte Folded Spill
	buffer_store_dword v7, off, s[20:23], 0 offset:8 ; 4-byte Folded Spill
	;; [unrolled: 1-line block ×4, first 2 shown]
	s_nop 0
	buffer_store_dword v54, off, s[20:23], 0 offset:604 ; 4-byte Folded Spill
	global_load_dwordx4 v[65:68], v[53:54], off
	s_nop 0
	buffer_store_dword v55, off, s[20:23], 0 offset:608 ; 4-byte Folded Spill
	s_nop 0
	buffer_store_dword v56, off, s[20:23], 0 offset:612 ; 4-byte Folded Spill
	global_load_dwordx4 v[61:64], v[55:56], off
	s_nop 0
	buffer_store_dword v57, off, s[20:23], 0 offset:616 ; 4-byte Folded Spill
	;; [unrolled: 5-line block ×7, first 2 shown]
	s_nop 0
	buffer_store_dword v98, off, s[20:23], 0 offset:660 ; 4-byte Folded Spill
	v_mov_b32_e32 v96, v4
	v_mov_b32_e32 v95, v3
	;; [unrolled: 1-line block ×4, first 2 shown]
	global_load_dwordx4 v[33:36], v[97:98], off
	s_nop 0
	buffer_store_dword v99, off, s[20:23], 0 offset:664 ; 4-byte Folded Spill
	s_nop 0
	buffer_store_dword v100, off, s[20:23], 0 offset:668 ; 4-byte Folded Spill
	global_load_dwordx4 v[29:32], v[99:100], off
	s_nop 0
	buffer_store_dword v101, off, s[20:23], 0 offset:672 ; 4-byte Folded Spill
	s_nop 0
	buffer_store_dword v102, off, s[20:23], 0 offset:676 ; 4-byte Folded Spill
	;; [unrolled: 5-line block ×8, first 2 shown]
	v_mov_b32_e32 v112, v80
	v_mov_b32_e32 v111, v79
	;; [unrolled: 1-line block ×4, first 2 shown]
	global_load_dwordx4 v[1:4], v[113:114], off
	s_nop 0
	buffer_store_dword v115, off, s[20:23], 0 offset:728 ; 4-byte Folded Spill
	s_nop 0
	buffer_store_dword v116, off, s[20:23], 0 offset:732 ; 4-byte Folded Spill
	global_load_dwordx4 v[77:80], v[115:116], off
	s_nop 0
	buffer_store_dword v121, off, s[20:23], 0 offset:736 ; 4-byte Folded Spill
	s_nop 0
	buffer_store_dword v122, off, s[20:23], 0 offset:740 ; 4-byte Folded Spill
	v_mov_b32_e32 v116, v40
	v_mov_b32_e32 v115, v39
	v_mov_b32_e32 v114, v38
	v_mov_b32_e32 v113, v37
	s_waitcnt vmcnt(29)
	v_mov_b32_e32 v40, v36
	v_mov_b32_e32 v39, v35
	v_mov_b32_e32 v38, v34
	v_mov_b32_e32 v37, v33
	s_waitcnt vmcnt(26)
	;; [unrolled: 5-line block ×9, first 2 shown]
	v_mov_b32_e32 v8, v4
	v_mov_b32_e32 v7, v3
	;; [unrolled: 1-line block ×4, first 2 shown]
	global_load_dwordx4 v[73:76], v[121:122], off
	s_waitcnt vmcnt(3)
	v_mov_b32_e32 v1, v77
	v_mov_b32_e32 v124, v72
	;; [unrolled: 1-line block ×8, first 2 shown]
	s_and_saveexec_b64 s[6:7], s[0:1]
	s_cbranch_execz .LBB95_8
; %bb.2:
	buffer_load_dword v69, off, s[20:23], 0 offset:384 ; 4-byte Folded Reload
	buffer_load_dword v70, off, s[20:23], 0 offset:388 ; 4-byte Folded Reload
	buffer_load_dword v71, off, s[20:23], 0 offset:392 ; 4-byte Folded Reload
	buffer_load_dword v72, off, s[20:23], 0 offset:396 ; 4-byte Folded Reload
	s_waitcnt vmcnt(0)
	ds_write2_b64 v127, v[69:70], v[71:72] offset1:1
	buffer_load_dword v69, off, s[20:23], 0 offset:368 ; 4-byte Folded Reload
	buffer_load_dword v70, off, s[20:23], 0 offset:372 ; 4-byte Folded Reload
	buffer_load_dword v71, off, s[20:23], 0 offset:376 ; 4-byte Folded Reload
	buffer_load_dword v72, off, s[20:23], 0 offset:380 ; 4-byte Folded Reload
	s_waitcnt vmcnt(0)
	ds_write2_b64 v125, v[69:70], v[71:72] offset0:2 offset1:3
	buffer_load_dword v69, off, s[20:23], 0 offset:352 ; 4-byte Folded Reload
	buffer_load_dword v70, off, s[20:23], 0 offset:356 ; 4-byte Folded Reload
	buffer_load_dword v71, off, s[20:23], 0 offset:360 ; 4-byte Folded Reload
	buffer_load_dword v72, off, s[20:23], 0 offset:364 ; 4-byte Folded Reload
	s_waitcnt vmcnt(0)
	ds_write2_b64 v125, v[69:70], v[71:72] offset0:4 offset1:5
	;; [unrolled: 6-line block ×21, first 2 shown]
	ds_write2_b64 v125, v[121:122], v[123:124] offset0:44 offset1:45
	ds_write2_b64 v125, v[117:118], v[119:120] offset0:46 offset1:47
	;; [unrolled: 1-line block ×5, first 2 shown]
	buffer_load_dword v77, off, s[20:23], 0 offset:32 ; 4-byte Folded Reload
	buffer_load_dword v78, off, s[20:23], 0 offset:36 ; 4-byte Folded Reload
	;; [unrolled: 1-line block ×4, first 2 shown]
	v_mov_b32_e32 v69, v73
	v_mov_b32_e32 v70, v74
	v_mov_b32_e32 v71, v75
	v_mov_b32_e32 v72, v76
	s_waitcnt vmcnt(0)
	ds_write2_b64 v125, v[77:78], v[79:80] offset0:54 offset1:55
	buffer_load_dword v73, off, s[20:23], 0 offset:16 ; 4-byte Folded Reload
	buffer_load_dword v74, off, s[20:23], 0 offset:20 ; 4-byte Folded Reload
	;; [unrolled: 1-line block ×4, first 2 shown]
	s_waitcnt vmcnt(0)
	ds_write2_b64 v125, v[73:74], v[75:76] offset0:56 offset1:57
	v_mov_b32_e32 v76, v72
	v_mov_b32_e32 v75, v71
	;; [unrolled: 1-line block ×4, first 2 shown]
	buffer_load_dword v69, off, s[20:23], 0 ; 4-byte Folded Reload
	buffer_load_dword v70, off, s[20:23], 0 offset:4 ; 4-byte Folded Reload
	buffer_load_dword v71, off, s[20:23], 0 offset:8 ; 4-byte Folded Reload
	;; [unrolled: 1-line block ×3, first 2 shown]
	s_waitcnt vmcnt(0)
	ds_write2_b64 v125, v[69:70], v[71:72] offset0:58 offset1:59
	ds_write2_b64 v125, v[65:66], v[67:68] offset0:60 offset1:61
	;; [unrolled: 1-line block ×19, first 2 shown]
	ds_read2_b64 v[97:100], v127 offset1:1
	s_waitcnt lgkmcnt(0)
	v_cmp_neq_f64_e32 vcc, 0, v[97:98]
	v_cmp_neq_f64_e64 s[4:5], 0, v[99:100]
	s_or_b64 s[4:5], vcc, s[4:5]
	s_and_b64 exec, exec, s[4:5]
	s_cbranch_execz .LBB95_8
; %bb.3:
	v_cmp_ngt_f64_e64 s[4:5], |v[97:98]|, |v[99:100]|
                                        ; implicit-def: $vgpr101_vgpr102
	s_and_saveexec_b64 s[8:9], s[4:5]
	s_xor_b64 s[4:5], exec, s[8:9]
                                        ; implicit-def: $vgpr103_vgpr104
	s_cbranch_execz .LBB95_5
; %bb.4:
	v_div_scale_f64 v[101:102], s[8:9], v[99:100], v[99:100], v[97:98]
	v_rcp_f64_e32 v[103:104], v[101:102]
	v_fma_f64 v[105:106], -v[101:102], v[103:104], 1.0
	v_fma_f64 v[103:104], v[103:104], v[105:106], v[103:104]
	v_div_scale_f64 v[105:106], vcc, v[97:98], v[99:100], v[97:98]
	v_fma_f64 v[107:108], -v[101:102], v[103:104], 1.0
	v_fma_f64 v[103:104], v[103:104], v[107:108], v[103:104]
	v_mul_f64 v[107:108], v[105:106], v[103:104]
	v_fma_f64 v[101:102], -v[101:102], v[107:108], v[105:106]
	v_div_fmas_f64 v[101:102], v[101:102], v[103:104], v[107:108]
	v_div_fixup_f64 v[101:102], v[101:102], v[99:100], v[97:98]
	v_fma_f64 v[97:98], v[97:98], v[101:102], v[99:100]
	v_div_scale_f64 v[99:100], s[8:9], v[97:98], v[97:98], 1.0
	v_div_scale_f64 v[107:108], vcc, 1.0, v[97:98], 1.0
	v_rcp_f64_e32 v[103:104], v[99:100]
	v_fma_f64 v[105:106], -v[99:100], v[103:104], 1.0
	v_fma_f64 v[103:104], v[103:104], v[105:106], v[103:104]
	v_fma_f64 v[105:106], -v[99:100], v[103:104], 1.0
	v_fma_f64 v[103:104], v[103:104], v[105:106], v[103:104]
	v_mul_f64 v[105:106], v[107:108], v[103:104]
	v_fma_f64 v[99:100], -v[99:100], v[105:106], v[107:108]
	v_div_fmas_f64 v[99:100], v[99:100], v[103:104], v[105:106]
	v_div_fixup_f64 v[103:104], v[99:100], v[97:98], 1.0
                                        ; implicit-def: $vgpr97_vgpr98
	v_mul_f64 v[101:102], v[101:102], v[103:104]
	v_xor_b32_e32 v104, 0x80000000, v104
.LBB95_5:
	s_andn2_saveexec_b64 s[4:5], s[4:5]
	s_cbranch_execz .LBB95_7
; %bb.6:
	v_div_scale_f64 v[101:102], s[8:9], v[97:98], v[97:98], v[99:100]
	v_rcp_f64_e32 v[103:104], v[101:102]
	v_fma_f64 v[105:106], -v[101:102], v[103:104], 1.0
	v_fma_f64 v[103:104], v[103:104], v[105:106], v[103:104]
	v_div_scale_f64 v[105:106], vcc, v[99:100], v[97:98], v[99:100]
	v_fma_f64 v[107:108], -v[101:102], v[103:104], 1.0
	v_fma_f64 v[103:104], v[103:104], v[107:108], v[103:104]
	v_mul_f64 v[107:108], v[105:106], v[103:104]
	v_fma_f64 v[101:102], -v[101:102], v[107:108], v[105:106]
	v_div_fmas_f64 v[101:102], v[101:102], v[103:104], v[107:108]
	v_div_fixup_f64 v[103:104], v[101:102], v[97:98], v[99:100]
	v_fma_f64 v[97:98], v[99:100], v[103:104], v[97:98]
	v_div_scale_f64 v[99:100], s[8:9], v[97:98], v[97:98], 1.0
	v_div_scale_f64 v[107:108], vcc, 1.0, v[97:98], 1.0
	v_rcp_f64_e32 v[101:102], v[99:100]
	v_fma_f64 v[105:106], -v[99:100], v[101:102], 1.0
	v_fma_f64 v[101:102], v[101:102], v[105:106], v[101:102]
	v_fma_f64 v[105:106], -v[99:100], v[101:102], 1.0
	v_fma_f64 v[101:102], v[101:102], v[105:106], v[101:102]
	v_mul_f64 v[105:106], v[107:108], v[101:102]
	v_fma_f64 v[99:100], -v[99:100], v[105:106], v[107:108]
	v_div_fmas_f64 v[99:100], v[99:100], v[101:102], v[105:106]
	v_div_fixup_f64 v[101:102], v[99:100], v[97:98], 1.0
	v_mul_f64 v[103:104], v[103:104], -v[101:102]
.LBB95_7:
	s_or_b64 exec, exec, s[4:5]
	ds_write2_b64 v127, v[101:102], v[103:104] offset1:1
.LBB95_8:
	s_or_b64 exec, exec, s[6:7]
	s_waitcnt vmcnt(0) lgkmcnt(0)
	s_barrier
	ds_read2_b64 v[69:72], v127 offset1:1
	s_waitcnt lgkmcnt(0)
	buffer_store_dword v69, off, s[20:23], 0 offset:776 ; 4-byte Folded Spill
	s_nop 0
	buffer_store_dword v70, off, s[20:23], 0 offset:780 ; 4-byte Folded Spill
	buffer_store_dword v71, off, s[20:23], 0 offset:784 ; 4-byte Folded Spill
	;; [unrolled: 1-line block ×3, first 2 shown]
	s_and_saveexec_b64 s[4:5], s[2:3]
	s_cbranch_execz .LBB95_10
; %bb.9:
	buffer_load_dword v103, off, s[20:23], 0 offset:384 ; 4-byte Folded Reload
	buffer_load_dword v104, off, s[20:23], 0 offset:388 ; 4-byte Folded Reload
	;; [unrolled: 1-line block ×8, first 2 shown]
	s_waitcnt vmcnt(2)
	v_mul_f64 v[99:100], v[69:70], v[105:106]
	s_waitcnt vmcnt(0)
	v_mul_f64 v[97:98], v[71:72], v[105:106]
	v_fma_f64 v[105:106], v[71:72], v[103:104], v[99:100]
	ds_read2_b64 v[99:102], v125 offset0:2 offset1:3
	v_fma_f64 v[97:98], v[69:70], v[103:104], -v[97:98]
	buffer_load_dword v69, off, s[20:23], 0 offset:368 ; 4-byte Folded Reload
	buffer_load_dword v70, off, s[20:23], 0 offset:372 ; 4-byte Folded Reload
	buffer_load_dword v71, off, s[20:23], 0 offset:376 ; 4-byte Folded Reload
	buffer_load_dword v72, off, s[20:23], 0 offset:380 ; 4-byte Folded Reload
	s_waitcnt lgkmcnt(0)
	v_mul_f64 v[103:104], v[101:102], v[105:106]
	v_fma_f64 v[103:104], v[99:100], v[97:98], -v[103:104]
	v_mul_f64 v[99:100], v[99:100], v[105:106]
	v_fma_f64 v[99:100], v[101:102], v[97:98], v[99:100]
	s_waitcnt vmcnt(2)
	v_add_f64 v[69:70], v[69:70], -v[103:104]
	s_waitcnt vmcnt(0)
	v_add_f64 v[71:72], v[71:72], -v[99:100]
	buffer_store_dword v69, off, s[20:23], 0 offset:368 ; 4-byte Folded Spill
	s_nop 0
	buffer_store_dword v70, off, s[20:23], 0 offset:372 ; 4-byte Folded Spill
	buffer_store_dword v71, off, s[20:23], 0 offset:376 ; 4-byte Folded Spill
	buffer_store_dword v72, off, s[20:23], 0 offset:380 ; 4-byte Folded Spill
	ds_read2_b64 v[99:102], v125 offset0:4 offset1:5
	buffer_load_dword v69, off, s[20:23], 0 offset:352 ; 4-byte Folded Reload
	buffer_load_dword v70, off, s[20:23], 0 offset:356 ; 4-byte Folded Reload
	buffer_load_dword v71, off, s[20:23], 0 offset:360 ; 4-byte Folded Reload
	buffer_load_dword v72, off, s[20:23], 0 offset:364 ; 4-byte Folded Reload
	s_waitcnt lgkmcnt(0)
	v_mul_f64 v[103:104], v[101:102], v[105:106]
	v_fma_f64 v[103:104], v[99:100], v[97:98], -v[103:104]
	v_mul_f64 v[99:100], v[99:100], v[105:106]
	v_fma_f64 v[99:100], v[101:102], v[97:98], v[99:100]
	s_waitcnt vmcnt(2)
	v_add_f64 v[69:70], v[69:70], -v[103:104]
	s_waitcnt vmcnt(0)
	v_add_f64 v[71:72], v[71:72], -v[99:100]
	buffer_store_dword v69, off, s[20:23], 0 offset:352 ; 4-byte Folded Spill
	s_nop 0
	buffer_store_dword v70, off, s[20:23], 0 offset:356 ; 4-byte Folded Spill
	buffer_store_dword v71, off, s[20:23], 0 offset:360 ; 4-byte Folded Spill
	buffer_store_dword v72, off, s[20:23], 0 offset:364 ; 4-byte Folded Spill
	ds_read2_b64 v[99:102], v125 offset0:6 offset1:7
	buffer_load_dword v69, off, s[20:23], 0 offset:336 ; 4-byte Folded Reload
	buffer_load_dword v70, off, s[20:23], 0 offset:340 ; 4-byte Folded Reload
	buffer_load_dword v71, off, s[20:23], 0 offset:344 ; 4-byte Folded Reload
	buffer_load_dword v72, off, s[20:23], 0 offset:348 ; 4-byte Folded Reload
	s_waitcnt lgkmcnt(0)
	v_mul_f64 v[103:104], v[101:102], v[105:106]
	v_fma_f64 v[103:104], v[99:100], v[97:98], -v[103:104]
	v_mul_f64 v[99:100], v[99:100], v[105:106]
	v_fma_f64 v[99:100], v[101:102], v[97:98], v[99:100]
	s_waitcnt vmcnt(2)
	v_add_f64 v[69:70], v[69:70], -v[103:104]
	s_waitcnt vmcnt(0)
	v_add_f64 v[71:72], v[71:72], -v[99:100]
	buffer_store_dword v69, off, s[20:23], 0 offset:336 ; 4-byte Folded Spill
	s_nop 0
	buffer_store_dword v70, off, s[20:23], 0 offset:340 ; 4-byte Folded Spill
	buffer_store_dword v71, off, s[20:23], 0 offset:344 ; 4-byte Folded Spill
	buffer_store_dword v72, off, s[20:23], 0 offset:348 ; 4-byte Folded Spill
	ds_read2_b64 v[99:102], v125 offset0:8 offset1:9
	buffer_load_dword v69, off, s[20:23], 0 offset:320 ; 4-byte Folded Reload
	buffer_load_dword v70, off, s[20:23], 0 offset:324 ; 4-byte Folded Reload
	buffer_load_dword v71, off, s[20:23], 0 offset:328 ; 4-byte Folded Reload
	buffer_load_dword v72, off, s[20:23], 0 offset:332 ; 4-byte Folded Reload
	s_waitcnt lgkmcnt(0)
	v_mul_f64 v[103:104], v[101:102], v[105:106]
	v_fma_f64 v[103:104], v[99:100], v[97:98], -v[103:104]
	v_mul_f64 v[99:100], v[99:100], v[105:106]
	v_fma_f64 v[99:100], v[101:102], v[97:98], v[99:100]
	s_waitcnt vmcnt(2)
	v_add_f64 v[69:70], v[69:70], -v[103:104]
	s_waitcnt vmcnt(0)
	v_add_f64 v[71:72], v[71:72], -v[99:100]
	buffer_store_dword v69, off, s[20:23], 0 offset:320 ; 4-byte Folded Spill
	s_nop 0
	buffer_store_dword v70, off, s[20:23], 0 offset:324 ; 4-byte Folded Spill
	buffer_store_dword v71, off, s[20:23], 0 offset:328 ; 4-byte Folded Spill
	buffer_store_dword v72, off, s[20:23], 0 offset:332 ; 4-byte Folded Spill
	ds_read2_b64 v[99:102], v125 offset0:10 offset1:11
	buffer_load_dword v69, off, s[20:23], 0 offset:304 ; 4-byte Folded Reload
	buffer_load_dword v70, off, s[20:23], 0 offset:308 ; 4-byte Folded Reload
	buffer_load_dword v71, off, s[20:23], 0 offset:312 ; 4-byte Folded Reload
	buffer_load_dword v72, off, s[20:23], 0 offset:316 ; 4-byte Folded Reload
	s_waitcnt lgkmcnt(0)
	v_mul_f64 v[103:104], v[101:102], v[105:106]
	v_fma_f64 v[103:104], v[99:100], v[97:98], -v[103:104]
	v_mul_f64 v[99:100], v[99:100], v[105:106]
	v_fma_f64 v[99:100], v[101:102], v[97:98], v[99:100]
	s_waitcnt vmcnt(2)
	v_add_f64 v[69:70], v[69:70], -v[103:104]
	s_waitcnt vmcnt(0)
	v_add_f64 v[71:72], v[71:72], -v[99:100]
	buffer_store_dword v69, off, s[20:23], 0 offset:304 ; 4-byte Folded Spill
	s_nop 0
	buffer_store_dword v70, off, s[20:23], 0 offset:308 ; 4-byte Folded Spill
	buffer_store_dword v71, off, s[20:23], 0 offset:312 ; 4-byte Folded Spill
	buffer_store_dword v72, off, s[20:23], 0 offset:316 ; 4-byte Folded Spill
	ds_read2_b64 v[99:102], v125 offset0:12 offset1:13
	buffer_load_dword v69, off, s[20:23], 0 offset:288 ; 4-byte Folded Reload
	buffer_load_dword v70, off, s[20:23], 0 offset:292 ; 4-byte Folded Reload
	buffer_load_dword v71, off, s[20:23], 0 offset:296 ; 4-byte Folded Reload
	buffer_load_dword v72, off, s[20:23], 0 offset:300 ; 4-byte Folded Reload
	s_waitcnt lgkmcnt(0)
	v_mul_f64 v[103:104], v[101:102], v[105:106]
	v_fma_f64 v[103:104], v[99:100], v[97:98], -v[103:104]
	v_mul_f64 v[99:100], v[99:100], v[105:106]
	v_fma_f64 v[99:100], v[101:102], v[97:98], v[99:100]
	s_waitcnt vmcnt(2)
	v_add_f64 v[69:70], v[69:70], -v[103:104]
	s_waitcnt vmcnt(0)
	v_add_f64 v[71:72], v[71:72], -v[99:100]
	buffer_store_dword v69, off, s[20:23], 0 offset:288 ; 4-byte Folded Spill
	s_nop 0
	buffer_store_dword v70, off, s[20:23], 0 offset:292 ; 4-byte Folded Spill
	buffer_store_dword v71, off, s[20:23], 0 offset:296 ; 4-byte Folded Spill
	buffer_store_dword v72, off, s[20:23], 0 offset:300 ; 4-byte Folded Spill
	ds_read2_b64 v[99:102], v125 offset0:14 offset1:15
	buffer_load_dword v69, off, s[20:23], 0 offset:272 ; 4-byte Folded Reload
	buffer_load_dword v70, off, s[20:23], 0 offset:276 ; 4-byte Folded Reload
	buffer_load_dword v71, off, s[20:23], 0 offset:280 ; 4-byte Folded Reload
	buffer_load_dword v72, off, s[20:23], 0 offset:284 ; 4-byte Folded Reload
	s_waitcnt lgkmcnt(0)
	v_mul_f64 v[103:104], v[101:102], v[105:106]
	v_fma_f64 v[103:104], v[99:100], v[97:98], -v[103:104]
	v_mul_f64 v[99:100], v[99:100], v[105:106]
	v_fma_f64 v[99:100], v[101:102], v[97:98], v[99:100]
	s_waitcnt vmcnt(2)
	v_add_f64 v[69:70], v[69:70], -v[103:104]
	s_waitcnt vmcnt(0)
	v_add_f64 v[71:72], v[71:72], -v[99:100]
	buffer_store_dword v69, off, s[20:23], 0 offset:272 ; 4-byte Folded Spill
	s_nop 0
	buffer_store_dword v70, off, s[20:23], 0 offset:276 ; 4-byte Folded Spill
	buffer_store_dword v71, off, s[20:23], 0 offset:280 ; 4-byte Folded Spill
	buffer_store_dword v72, off, s[20:23], 0 offset:284 ; 4-byte Folded Spill
	ds_read2_b64 v[99:102], v125 offset0:16 offset1:17
	buffer_load_dword v69, off, s[20:23], 0 offset:256 ; 4-byte Folded Reload
	buffer_load_dword v70, off, s[20:23], 0 offset:260 ; 4-byte Folded Reload
	buffer_load_dword v71, off, s[20:23], 0 offset:264 ; 4-byte Folded Reload
	buffer_load_dword v72, off, s[20:23], 0 offset:268 ; 4-byte Folded Reload
	s_waitcnt lgkmcnt(0)
	v_mul_f64 v[103:104], v[101:102], v[105:106]
	v_fma_f64 v[103:104], v[99:100], v[97:98], -v[103:104]
	v_mul_f64 v[99:100], v[99:100], v[105:106]
	v_fma_f64 v[99:100], v[101:102], v[97:98], v[99:100]
	s_waitcnt vmcnt(2)
	v_add_f64 v[69:70], v[69:70], -v[103:104]
	s_waitcnt vmcnt(0)
	v_add_f64 v[71:72], v[71:72], -v[99:100]
	buffer_store_dword v69, off, s[20:23], 0 offset:256 ; 4-byte Folded Spill
	s_nop 0
	buffer_store_dword v70, off, s[20:23], 0 offset:260 ; 4-byte Folded Spill
	buffer_store_dword v71, off, s[20:23], 0 offset:264 ; 4-byte Folded Spill
	buffer_store_dword v72, off, s[20:23], 0 offset:268 ; 4-byte Folded Spill
	ds_read2_b64 v[99:102], v125 offset0:18 offset1:19
	buffer_load_dword v69, off, s[20:23], 0 offset:240 ; 4-byte Folded Reload
	buffer_load_dword v70, off, s[20:23], 0 offset:244 ; 4-byte Folded Reload
	buffer_load_dword v71, off, s[20:23], 0 offset:248 ; 4-byte Folded Reload
	buffer_load_dword v72, off, s[20:23], 0 offset:252 ; 4-byte Folded Reload
	s_waitcnt lgkmcnt(0)
	v_mul_f64 v[103:104], v[101:102], v[105:106]
	v_fma_f64 v[103:104], v[99:100], v[97:98], -v[103:104]
	v_mul_f64 v[99:100], v[99:100], v[105:106]
	v_fma_f64 v[99:100], v[101:102], v[97:98], v[99:100]
	s_waitcnt vmcnt(2)
	v_add_f64 v[69:70], v[69:70], -v[103:104]
	s_waitcnt vmcnt(0)
	v_add_f64 v[71:72], v[71:72], -v[99:100]
	buffer_store_dword v69, off, s[20:23], 0 offset:240 ; 4-byte Folded Spill
	s_nop 0
	buffer_store_dword v70, off, s[20:23], 0 offset:244 ; 4-byte Folded Spill
	buffer_store_dword v71, off, s[20:23], 0 offset:248 ; 4-byte Folded Spill
	buffer_store_dword v72, off, s[20:23], 0 offset:252 ; 4-byte Folded Spill
	ds_read2_b64 v[99:102], v125 offset0:20 offset1:21
	buffer_load_dword v69, off, s[20:23], 0 offset:224 ; 4-byte Folded Reload
	buffer_load_dword v70, off, s[20:23], 0 offset:228 ; 4-byte Folded Reload
	buffer_load_dword v71, off, s[20:23], 0 offset:232 ; 4-byte Folded Reload
	buffer_load_dword v72, off, s[20:23], 0 offset:236 ; 4-byte Folded Reload
	s_waitcnt lgkmcnt(0)
	v_mul_f64 v[103:104], v[101:102], v[105:106]
	v_fma_f64 v[103:104], v[99:100], v[97:98], -v[103:104]
	v_mul_f64 v[99:100], v[99:100], v[105:106]
	v_fma_f64 v[99:100], v[101:102], v[97:98], v[99:100]
	s_waitcnt vmcnt(2)
	v_add_f64 v[69:70], v[69:70], -v[103:104]
	s_waitcnt vmcnt(0)
	v_add_f64 v[71:72], v[71:72], -v[99:100]
	buffer_store_dword v69, off, s[20:23], 0 offset:224 ; 4-byte Folded Spill
	s_nop 0
	buffer_store_dword v70, off, s[20:23], 0 offset:228 ; 4-byte Folded Spill
	buffer_store_dword v71, off, s[20:23], 0 offset:232 ; 4-byte Folded Spill
	buffer_store_dword v72, off, s[20:23], 0 offset:236 ; 4-byte Folded Spill
	ds_read2_b64 v[99:102], v125 offset0:22 offset1:23
	buffer_load_dword v69, off, s[20:23], 0 offset:208 ; 4-byte Folded Reload
	buffer_load_dword v70, off, s[20:23], 0 offset:212 ; 4-byte Folded Reload
	buffer_load_dword v71, off, s[20:23], 0 offset:216 ; 4-byte Folded Reload
	buffer_load_dword v72, off, s[20:23], 0 offset:220 ; 4-byte Folded Reload
	s_waitcnt lgkmcnt(0)
	v_mul_f64 v[103:104], v[101:102], v[105:106]
	v_fma_f64 v[103:104], v[99:100], v[97:98], -v[103:104]
	v_mul_f64 v[99:100], v[99:100], v[105:106]
	v_fma_f64 v[99:100], v[101:102], v[97:98], v[99:100]
	s_waitcnt vmcnt(2)
	v_add_f64 v[69:70], v[69:70], -v[103:104]
	s_waitcnt vmcnt(0)
	v_add_f64 v[71:72], v[71:72], -v[99:100]
	buffer_store_dword v69, off, s[20:23], 0 offset:208 ; 4-byte Folded Spill
	s_nop 0
	buffer_store_dword v70, off, s[20:23], 0 offset:212 ; 4-byte Folded Spill
	buffer_store_dword v71, off, s[20:23], 0 offset:216 ; 4-byte Folded Spill
	buffer_store_dword v72, off, s[20:23], 0 offset:220 ; 4-byte Folded Spill
	ds_read2_b64 v[99:102], v125 offset0:24 offset1:25
	buffer_load_dword v69, off, s[20:23], 0 offset:192 ; 4-byte Folded Reload
	buffer_load_dword v70, off, s[20:23], 0 offset:196 ; 4-byte Folded Reload
	buffer_load_dword v71, off, s[20:23], 0 offset:200 ; 4-byte Folded Reload
	buffer_load_dword v72, off, s[20:23], 0 offset:204 ; 4-byte Folded Reload
	s_waitcnt lgkmcnt(0)
	v_mul_f64 v[103:104], v[101:102], v[105:106]
	v_fma_f64 v[103:104], v[99:100], v[97:98], -v[103:104]
	v_mul_f64 v[99:100], v[99:100], v[105:106]
	v_fma_f64 v[99:100], v[101:102], v[97:98], v[99:100]
	s_waitcnt vmcnt(2)
	v_add_f64 v[69:70], v[69:70], -v[103:104]
	s_waitcnt vmcnt(0)
	v_add_f64 v[71:72], v[71:72], -v[99:100]
	buffer_store_dword v69, off, s[20:23], 0 offset:192 ; 4-byte Folded Spill
	s_nop 0
	buffer_store_dword v70, off, s[20:23], 0 offset:196 ; 4-byte Folded Spill
	buffer_store_dword v71, off, s[20:23], 0 offset:200 ; 4-byte Folded Spill
	buffer_store_dword v72, off, s[20:23], 0 offset:204 ; 4-byte Folded Spill
	ds_read2_b64 v[99:102], v125 offset0:26 offset1:27
	buffer_load_dword v69, off, s[20:23], 0 offset:176 ; 4-byte Folded Reload
	buffer_load_dword v70, off, s[20:23], 0 offset:180 ; 4-byte Folded Reload
	buffer_load_dword v71, off, s[20:23], 0 offset:184 ; 4-byte Folded Reload
	buffer_load_dword v72, off, s[20:23], 0 offset:188 ; 4-byte Folded Reload
	s_waitcnt lgkmcnt(0)
	v_mul_f64 v[103:104], v[101:102], v[105:106]
	v_fma_f64 v[103:104], v[99:100], v[97:98], -v[103:104]
	v_mul_f64 v[99:100], v[99:100], v[105:106]
	v_fma_f64 v[99:100], v[101:102], v[97:98], v[99:100]
	s_waitcnt vmcnt(2)
	v_add_f64 v[69:70], v[69:70], -v[103:104]
	s_waitcnt vmcnt(0)
	v_add_f64 v[71:72], v[71:72], -v[99:100]
	buffer_store_dword v69, off, s[20:23], 0 offset:176 ; 4-byte Folded Spill
	s_nop 0
	buffer_store_dword v70, off, s[20:23], 0 offset:180 ; 4-byte Folded Spill
	buffer_store_dword v71, off, s[20:23], 0 offset:184 ; 4-byte Folded Spill
	buffer_store_dword v72, off, s[20:23], 0 offset:188 ; 4-byte Folded Spill
	ds_read2_b64 v[99:102], v125 offset0:28 offset1:29
	buffer_load_dword v69, off, s[20:23], 0 offset:160 ; 4-byte Folded Reload
	buffer_load_dword v70, off, s[20:23], 0 offset:164 ; 4-byte Folded Reload
	buffer_load_dword v71, off, s[20:23], 0 offset:168 ; 4-byte Folded Reload
	buffer_load_dword v72, off, s[20:23], 0 offset:172 ; 4-byte Folded Reload
	s_waitcnt lgkmcnt(0)
	v_mul_f64 v[103:104], v[101:102], v[105:106]
	v_fma_f64 v[103:104], v[99:100], v[97:98], -v[103:104]
	v_mul_f64 v[99:100], v[99:100], v[105:106]
	v_fma_f64 v[99:100], v[101:102], v[97:98], v[99:100]
	s_waitcnt vmcnt(2)
	v_add_f64 v[69:70], v[69:70], -v[103:104]
	s_waitcnt vmcnt(0)
	v_add_f64 v[71:72], v[71:72], -v[99:100]
	buffer_store_dword v69, off, s[20:23], 0 offset:160 ; 4-byte Folded Spill
	s_nop 0
	buffer_store_dword v70, off, s[20:23], 0 offset:164 ; 4-byte Folded Spill
	buffer_store_dword v71, off, s[20:23], 0 offset:168 ; 4-byte Folded Spill
	buffer_store_dword v72, off, s[20:23], 0 offset:172 ; 4-byte Folded Spill
	ds_read2_b64 v[99:102], v125 offset0:30 offset1:31
	buffer_load_dword v69, off, s[20:23], 0 offset:144 ; 4-byte Folded Reload
	buffer_load_dword v70, off, s[20:23], 0 offset:148 ; 4-byte Folded Reload
	buffer_load_dword v71, off, s[20:23], 0 offset:152 ; 4-byte Folded Reload
	buffer_load_dword v72, off, s[20:23], 0 offset:156 ; 4-byte Folded Reload
	s_waitcnt lgkmcnt(0)
	v_mul_f64 v[103:104], v[101:102], v[105:106]
	v_fma_f64 v[103:104], v[99:100], v[97:98], -v[103:104]
	v_mul_f64 v[99:100], v[99:100], v[105:106]
	v_fma_f64 v[99:100], v[101:102], v[97:98], v[99:100]
	s_waitcnt vmcnt(2)
	v_add_f64 v[69:70], v[69:70], -v[103:104]
	s_waitcnt vmcnt(0)
	v_add_f64 v[71:72], v[71:72], -v[99:100]
	buffer_store_dword v69, off, s[20:23], 0 offset:144 ; 4-byte Folded Spill
	s_nop 0
	buffer_store_dword v70, off, s[20:23], 0 offset:148 ; 4-byte Folded Spill
	buffer_store_dword v71, off, s[20:23], 0 offset:152 ; 4-byte Folded Spill
	buffer_store_dword v72, off, s[20:23], 0 offset:156 ; 4-byte Folded Spill
	ds_read2_b64 v[99:102], v125 offset0:32 offset1:33
	buffer_load_dword v69, off, s[20:23], 0 offset:128 ; 4-byte Folded Reload
	buffer_load_dword v70, off, s[20:23], 0 offset:132 ; 4-byte Folded Reload
	buffer_load_dword v71, off, s[20:23], 0 offset:136 ; 4-byte Folded Reload
	buffer_load_dword v72, off, s[20:23], 0 offset:140 ; 4-byte Folded Reload
	s_waitcnt lgkmcnt(0)
	v_mul_f64 v[103:104], v[101:102], v[105:106]
	v_fma_f64 v[103:104], v[99:100], v[97:98], -v[103:104]
	v_mul_f64 v[99:100], v[99:100], v[105:106]
	v_fma_f64 v[99:100], v[101:102], v[97:98], v[99:100]
	s_waitcnt vmcnt(2)
	v_add_f64 v[69:70], v[69:70], -v[103:104]
	s_waitcnt vmcnt(0)
	v_add_f64 v[71:72], v[71:72], -v[99:100]
	buffer_store_dword v69, off, s[20:23], 0 offset:128 ; 4-byte Folded Spill
	s_nop 0
	buffer_store_dword v70, off, s[20:23], 0 offset:132 ; 4-byte Folded Spill
	buffer_store_dword v71, off, s[20:23], 0 offset:136 ; 4-byte Folded Spill
	buffer_store_dword v72, off, s[20:23], 0 offset:140 ; 4-byte Folded Spill
	ds_read2_b64 v[99:102], v125 offset0:34 offset1:35
	buffer_load_dword v69, off, s[20:23], 0 offset:112 ; 4-byte Folded Reload
	buffer_load_dword v70, off, s[20:23], 0 offset:116 ; 4-byte Folded Reload
	buffer_load_dword v71, off, s[20:23], 0 offset:120 ; 4-byte Folded Reload
	buffer_load_dword v72, off, s[20:23], 0 offset:124 ; 4-byte Folded Reload
	s_waitcnt lgkmcnt(0)
	v_mul_f64 v[103:104], v[101:102], v[105:106]
	v_fma_f64 v[103:104], v[99:100], v[97:98], -v[103:104]
	v_mul_f64 v[99:100], v[99:100], v[105:106]
	v_fma_f64 v[99:100], v[101:102], v[97:98], v[99:100]
	s_waitcnt vmcnt(2)
	v_add_f64 v[69:70], v[69:70], -v[103:104]
	s_waitcnt vmcnt(0)
	v_add_f64 v[71:72], v[71:72], -v[99:100]
	buffer_store_dword v69, off, s[20:23], 0 offset:112 ; 4-byte Folded Spill
	s_nop 0
	buffer_store_dword v70, off, s[20:23], 0 offset:116 ; 4-byte Folded Spill
	buffer_store_dword v71, off, s[20:23], 0 offset:120 ; 4-byte Folded Spill
	buffer_store_dword v72, off, s[20:23], 0 offset:124 ; 4-byte Folded Spill
	ds_read2_b64 v[99:102], v125 offset0:36 offset1:37
	buffer_load_dword v69, off, s[20:23], 0 offset:96 ; 4-byte Folded Reload
	buffer_load_dword v70, off, s[20:23], 0 offset:100 ; 4-byte Folded Reload
	buffer_load_dword v71, off, s[20:23], 0 offset:104 ; 4-byte Folded Reload
	buffer_load_dword v72, off, s[20:23], 0 offset:108 ; 4-byte Folded Reload
	s_waitcnt lgkmcnt(0)
	v_mul_f64 v[103:104], v[101:102], v[105:106]
	v_fma_f64 v[103:104], v[99:100], v[97:98], -v[103:104]
	v_mul_f64 v[99:100], v[99:100], v[105:106]
	v_fma_f64 v[99:100], v[101:102], v[97:98], v[99:100]
	s_waitcnt vmcnt(2)
	v_add_f64 v[69:70], v[69:70], -v[103:104]
	s_waitcnt vmcnt(0)
	v_add_f64 v[71:72], v[71:72], -v[99:100]
	buffer_store_dword v69, off, s[20:23], 0 offset:96 ; 4-byte Folded Spill
	s_nop 0
	buffer_store_dword v70, off, s[20:23], 0 offset:100 ; 4-byte Folded Spill
	buffer_store_dword v71, off, s[20:23], 0 offset:104 ; 4-byte Folded Spill
	buffer_store_dword v72, off, s[20:23], 0 offset:108 ; 4-byte Folded Spill
	ds_read2_b64 v[99:102], v125 offset0:38 offset1:39
	buffer_load_dword v69, off, s[20:23], 0 offset:80 ; 4-byte Folded Reload
	buffer_load_dword v70, off, s[20:23], 0 offset:84 ; 4-byte Folded Reload
	buffer_load_dword v71, off, s[20:23], 0 offset:88 ; 4-byte Folded Reload
	buffer_load_dword v72, off, s[20:23], 0 offset:92 ; 4-byte Folded Reload
	s_waitcnt lgkmcnt(0)
	v_mul_f64 v[103:104], v[101:102], v[105:106]
	v_fma_f64 v[103:104], v[99:100], v[97:98], -v[103:104]
	v_mul_f64 v[99:100], v[99:100], v[105:106]
	v_fma_f64 v[99:100], v[101:102], v[97:98], v[99:100]
	s_waitcnt vmcnt(2)
	v_add_f64 v[69:70], v[69:70], -v[103:104]
	s_waitcnt vmcnt(0)
	v_add_f64 v[71:72], v[71:72], -v[99:100]
	buffer_store_dword v69, off, s[20:23], 0 offset:80 ; 4-byte Folded Spill
	s_nop 0
	buffer_store_dword v70, off, s[20:23], 0 offset:84 ; 4-byte Folded Spill
	buffer_store_dword v71, off, s[20:23], 0 offset:88 ; 4-byte Folded Spill
	buffer_store_dword v72, off, s[20:23], 0 offset:92 ; 4-byte Folded Spill
	ds_read2_b64 v[99:102], v125 offset0:40 offset1:41
	buffer_load_dword v69, off, s[20:23], 0 offset:64 ; 4-byte Folded Reload
	buffer_load_dword v70, off, s[20:23], 0 offset:68 ; 4-byte Folded Reload
	buffer_load_dword v71, off, s[20:23], 0 offset:72 ; 4-byte Folded Reload
	buffer_load_dword v72, off, s[20:23], 0 offset:76 ; 4-byte Folded Reload
	s_waitcnt lgkmcnt(0)
	v_mul_f64 v[103:104], v[101:102], v[105:106]
	v_fma_f64 v[103:104], v[99:100], v[97:98], -v[103:104]
	v_mul_f64 v[99:100], v[99:100], v[105:106]
	v_fma_f64 v[99:100], v[101:102], v[97:98], v[99:100]
	s_waitcnt vmcnt(2)
	v_add_f64 v[69:70], v[69:70], -v[103:104]
	s_waitcnt vmcnt(0)
	v_add_f64 v[71:72], v[71:72], -v[99:100]
	buffer_store_dword v69, off, s[20:23], 0 offset:64 ; 4-byte Folded Spill
	s_nop 0
	buffer_store_dword v70, off, s[20:23], 0 offset:68 ; 4-byte Folded Spill
	buffer_store_dword v71, off, s[20:23], 0 offset:72 ; 4-byte Folded Spill
	buffer_store_dword v72, off, s[20:23], 0 offset:76 ; 4-byte Folded Spill
	ds_read2_b64 v[99:102], v125 offset0:42 offset1:43
	buffer_load_dword v69, off, s[20:23], 0 offset:48 ; 4-byte Folded Reload
	buffer_load_dword v70, off, s[20:23], 0 offset:52 ; 4-byte Folded Reload
	buffer_load_dword v71, off, s[20:23], 0 offset:56 ; 4-byte Folded Reload
	buffer_load_dword v72, off, s[20:23], 0 offset:60 ; 4-byte Folded Reload
	s_waitcnt lgkmcnt(0)
	v_mul_f64 v[103:104], v[101:102], v[105:106]
	v_fma_f64 v[103:104], v[99:100], v[97:98], -v[103:104]
	v_mul_f64 v[99:100], v[99:100], v[105:106]
	v_fma_f64 v[99:100], v[101:102], v[97:98], v[99:100]
	s_waitcnt vmcnt(2)
	v_add_f64 v[69:70], v[69:70], -v[103:104]
	s_waitcnt vmcnt(0)
	v_add_f64 v[71:72], v[71:72], -v[99:100]
	buffer_store_dword v69, off, s[20:23], 0 offset:48 ; 4-byte Folded Spill
	s_nop 0
	buffer_store_dword v70, off, s[20:23], 0 offset:52 ; 4-byte Folded Spill
	buffer_store_dword v71, off, s[20:23], 0 offset:56 ; 4-byte Folded Spill
	buffer_store_dword v72, off, s[20:23], 0 offset:60 ; 4-byte Folded Spill
	ds_read2_b64 v[99:102], v125 offset0:44 offset1:45
	v_mov_b32_e32 v69, v73
	v_mov_b32_e32 v70, v74
	;; [unrolled: 1-line block ×4, first 2 shown]
	s_waitcnt lgkmcnt(0)
	v_mul_f64 v[103:104], v[101:102], v[105:106]
	v_fma_f64 v[103:104], v[99:100], v[97:98], -v[103:104]
	v_mul_f64 v[99:100], v[99:100], v[105:106]
	v_add_f64 v[121:122], v[121:122], -v[103:104]
	v_fma_f64 v[99:100], v[101:102], v[97:98], v[99:100]
	v_add_f64 v[123:124], v[123:124], -v[99:100]
	ds_read2_b64 v[99:102], v125 offset0:46 offset1:47
	s_waitcnt lgkmcnt(0)
	v_mul_f64 v[103:104], v[101:102], v[105:106]
	v_fma_f64 v[103:104], v[99:100], v[97:98], -v[103:104]
	v_mul_f64 v[99:100], v[99:100], v[105:106]
	v_add_f64 v[117:118], v[117:118], -v[103:104]
	v_fma_f64 v[99:100], v[101:102], v[97:98], v[99:100]
	v_add_f64 v[119:120], v[119:120], -v[99:100]
	ds_read2_b64 v[99:102], v125 offset0:48 offset1:49
	;; [unrolled: 8-line block ×5, first 2 shown]
	buffer_load_dword v77, off, s[20:23], 0 offset:32 ; 4-byte Folded Reload
	buffer_load_dword v78, off, s[20:23], 0 offset:36 ; 4-byte Folded Reload
	buffer_load_dword v79, off, s[20:23], 0 offset:40 ; 4-byte Folded Reload
	buffer_load_dword v80, off, s[20:23], 0 offset:44 ; 4-byte Folded Reload
	s_waitcnt lgkmcnt(0)
	v_mul_f64 v[103:104], v[101:102], v[105:106]
	v_fma_f64 v[103:104], v[99:100], v[97:98], -v[103:104]
	v_mul_f64 v[99:100], v[99:100], v[105:106]
	v_fma_f64 v[99:100], v[101:102], v[97:98], v[99:100]
	s_waitcnt vmcnt(2)
	v_add_f64 v[77:78], v[77:78], -v[103:104]
	s_waitcnt vmcnt(0)
	v_add_f64 v[79:80], v[79:80], -v[99:100]
	buffer_store_dword v77, off, s[20:23], 0 offset:32 ; 4-byte Folded Spill
	s_nop 0
	buffer_store_dword v78, off, s[20:23], 0 offset:36 ; 4-byte Folded Spill
	buffer_store_dword v79, off, s[20:23], 0 offset:40 ; 4-byte Folded Spill
	;; [unrolled: 1-line block ×3, first 2 shown]
	ds_read2_b64 v[99:102], v125 offset0:56 offset1:57
	buffer_load_dword v73, off, s[20:23], 0 offset:16 ; 4-byte Folded Reload
	buffer_load_dword v74, off, s[20:23], 0 offset:20 ; 4-byte Folded Reload
	;; [unrolled: 1-line block ×4, first 2 shown]
	s_waitcnt lgkmcnt(0)
	v_mul_f64 v[103:104], v[101:102], v[105:106]
	v_fma_f64 v[103:104], v[99:100], v[97:98], -v[103:104]
	v_mul_f64 v[99:100], v[99:100], v[105:106]
	v_fma_f64 v[99:100], v[101:102], v[97:98], v[99:100]
	s_waitcnt vmcnt(2)
	v_add_f64 v[73:74], v[73:74], -v[103:104]
	s_waitcnt vmcnt(0)
	v_add_f64 v[75:76], v[75:76], -v[99:100]
	buffer_store_dword v73, off, s[20:23], 0 offset:16 ; 4-byte Folded Spill
	s_nop 0
	buffer_store_dword v74, off, s[20:23], 0 offset:20 ; 4-byte Folded Spill
	buffer_store_dword v75, off, s[20:23], 0 offset:24 ; 4-byte Folded Spill
	buffer_store_dword v76, off, s[20:23], 0 offset:28 ; 4-byte Folded Spill
	v_mov_b32_e32 v76, v72
	v_mov_b32_e32 v75, v71
	;; [unrolled: 1-line block ×4, first 2 shown]
	ds_read2_b64 v[99:102], v125 offset0:58 offset1:59
	buffer_load_dword v69, off, s[20:23], 0 ; 4-byte Folded Reload
	buffer_load_dword v70, off, s[20:23], 0 offset:4 ; 4-byte Folded Reload
	buffer_load_dword v71, off, s[20:23], 0 offset:8 ; 4-byte Folded Reload
	;; [unrolled: 1-line block ×3, first 2 shown]
	s_waitcnt lgkmcnt(0)
	v_mul_f64 v[103:104], v[101:102], v[105:106]
	v_fma_f64 v[103:104], v[99:100], v[97:98], -v[103:104]
	v_mul_f64 v[99:100], v[99:100], v[105:106]
	v_fma_f64 v[99:100], v[101:102], v[97:98], v[99:100]
	s_waitcnt vmcnt(2)
	v_add_f64 v[69:70], v[69:70], -v[103:104]
	s_waitcnt vmcnt(0)
	v_add_f64 v[71:72], v[71:72], -v[99:100]
	buffer_store_dword v69, off, s[20:23], 0 ; 4-byte Folded Spill
	s_nop 0
	buffer_store_dword v70, off, s[20:23], 0 offset:4 ; 4-byte Folded Spill
	buffer_store_dword v71, off, s[20:23], 0 offset:8 ; 4-byte Folded Spill
	;; [unrolled: 1-line block ×3, first 2 shown]
	ds_read2_b64 v[99:102], v125 offset0:60 offset1:61
	s_waitcnt lgkmcnt(0)
	v_mul_f64 v[103:104], v[101:102], v[105:106]
	v_fma_f64 v[103:104], v[99:100], v[97:98], -v[103:104]
	v_mul_f64 v[99:100], v[99:100], v[105:106]
	v_add_f64 v[65:66], v[65:66], -v[103:104]
	v_fma_f64 v[99:100], v[101:102], v[97:98], v[99:100]
	v_add_f64 v[67:68], v[67:68], -v[99:100]
	ds_read2_b64 v[99:102], v125 offset0:62 offset1:63
	s_waitcnt lgkmcnt(0)
	v_mul_f64 v[103:104], v[101:102], v[105:106]
	v_fma_f64 v[103:104], v[99:100], v[97:98], -v[103:104]
	v_mul_f64 v[99:100], v[99:100], v[105:106]
	v_add_f64 v[61:62], v[61:62], -v[103:104]
	v_fma_f64 v[99:100], v[101:102], v[97:98], v[99:100]
	v_add_f64 v[63:64], v[63:64], -v[99:100]
	;; [unrolled: 8-line block ×16, first 2 shown]
	ds_read2_b64 v[99:102], v125 offset0:92 offset1:93
	s_waitcnt lgkmcnt(0)
	v_mul_f64 v[103:104], v[101:102], v[105:106]
	v_fma_f64 v[103:104], v[99:100], v[97:98], -v[103:104]
	v_mul_f64 v[99:100], v[99:100], v[105:106]
	v_add_f64 v[1:2], v[1:2], -v[103:104]
	v_fma_f64 v[99:100], v[101:102], v[97:98], v[99:100]
	ds_read2_b64 v[101:104], v125 offset0:94 offset1:95
	v_add_f64 v[3:4], v[3:4], -v[99:100]
	s_waitcnt lgkmcnt(0)
	v_mul_f64 v[99:100], v[103:104], v[105:106]
	v_fma_f64 v[99:100], v[101:102], v[97:98], -v[99:100]
	v_mul_f64 v[101:102], v[101:102], v[105:106]
	v_add_f64 v[73:74], v[73:74], -v[99:100]
	v_fma_f64 v[101:102], v[103:104], v[97:98], v[101:102]
	v_mov_b32_e32 v104, v98
	v_mov_b32_e32 v103, v97
	buffer_store_dword v103, off, s[20:23], 0 offset:384 ; 4-byte Folded Spill
	s_nop 0
	buffer_store_dword v104, off, s[20:23], 0 offset:388 ; 4-byte Folded Spill
	buffer_store_dword v105, off, s[20:23], 0 offset:392 ; 4-byte Folded Spill
	;; [unrolled: 1-line block ×3, first 2 shown]
	v_add_f64 v[75:76], v[75:76], -v[101:102]
.LBB95_10:
	s_or_b64 exec, exec, s[4:5]
	v_cmp_eq_u32_e32 vcc, 1, v0
	s_waitcnt vmcnt(0)
	s_barrier
	s_and_saveexec_b64 s[4:5], vcc
	s_cbranch_execz .LBB95_17
; %bb.11:
	buffer_load_dword v69, off, s[20:23], 0 offset:368 ; 4-byte Folded Reload
	buffer_load_dword v70, off, s[20:23], 0 offset:372 ; 4-byte Folded Reload
	;; [unrolled: 1-line block ×4, first 2 shown]
	s_waitcnt vmcnt(0)
	ds_write2_b64 v127, v[69:70], v[71:72] offset1:1
	buffer_load_dword v69, off, s[20:23], 0 offset:352 ; 4-byte Folded Reload
	buffer_load_dword v70, off, s[20:23], 0 offset:356 ; 4-byte Folded Reload
	buffer_load_dword v71, off, s[20:23], 0 offset:360 ; 4-byte Folded Reload
	buffer_load_dword v72, off, s[20:23], 0 offset:364 ; 4-byte Folded Reload
	s_waitcnt vmcnt(0)
	ds_write2_b64 v125, v[69:70], v[71:72] offset0:4 offset1:5
	buffer_load_dword v69, off, s[20:23], 0 offset:336 ; 4-byte Folded Reload
	buffer_load_dword v70, off, s[20:23], 0 offset:340 ; 4-byte Folded Reload
	buffer_load_dword v71, off, s[20:23], 0 offset:344 ; 4-byte Folded Reload
	buffer_load_dword v72, off, s[20:23], 0 offset:348 ; 4-byte Folded Reload
	s_waitcnt vmcnt(0)
	ds_write2_b64 v125, v[69:70], v[71:72] offset0:6 offset1:7
	;; [unrolled: 6-line block ×20, first 2 shown]
	ds_write2_b64 v125, v[121:122], v[123:124] offset0:44 offset1:45
	ds_write2_b64 v125, v[117:118], v[119:120] offset0:46 offset1:47
	;; [unrolled: 1-line block ×5, first 2 shown]
	buffer_load_dword v77, off, s[20:23], 0 offset:32 ; 4-byte Folded Reload
	buffer_load_dword v78, off, s[20:23], 0 offset:36 ; 4-byte Folded Reload
	;; [unrolled: 1-line block ×4, first 2 shown]
	v_mov_b32_e32 v69, v73
	v_mov_b32_e32 v70, v74
	;; [unrolled: 1-line block ×4, first 2 shown]
	s_waitcnt vmcnt(0)
	ds_write2_b64 v125, v[77:78], v[79:80] offset0:54 offset1:55
	buffer_load_dword v73, off, s[20:23], 0 offset:16 ; 4-byte Folded Reload
	buffer_load_dword v74, off, s[20:23], 0 offset:20 ; 4-byte Folded Reload
	;; [unrolled: 1-line block ×4, first 2 shown]
	s_waitcnt vmcnt(0)
	ds_write2_b64 v125, v[73:74], v[75:76] offset0:56 offset1:57
	v_mov_b32_e32 v76, v72
	v_mov_b32_e32 v75, v71
	;; [unrolled: 1-line block ×4, first 2 shown]
	buffer_load_dword v69, off, s[20:23], 0 ; 4-byte Folded Reload
	buffer_load_dword v70, off, s[20:23], 0 offset:4 ; 4-byte Folded Reload
	buffer_load_dword v71, off, s[20:23], 0 offset:8 ; 4-byte Folded Reload
	;; [unrolled: 1-line block ×3, first 2 shown]
	s_waitcnt vmcnt(0)
	ds_write2_b64 v125, v[69:70], v[71:72] offset0:58 offset1:59
	ds_write2_b64 v125, v[65:66], v[67:68] offset0:60 offset1:61
	;; [unrolled: 1-line block ×19, first 2 shown]
	ds_read2_b64 v[97:100], v127 offset1:1
	s_waitcnt lgkmcnt(0)
	v_cmp_neq_f64_e32 vcc, 0, v[97:98]
	v_cmp_neq_f64_e64 s[2:3], 0, v[99:100]
	s_or_b64 s[2:3], vcc, s[2:3]
	s_and_b64 exec, exec, s[2:3]
	s_cbranch_execz .LBB95_17
; %bb.12:
	v_cmp_ngt_f64_e64 s[2:3], |v[97:98]|, |v[99:100]|
                                        ; implicit-def: $vgpr101_vgpr102
	s_and_saveexec_b64 s[6:7], s[2:3]
	s_xor_b64 s[2:3], exec, s[6:7]
                                        ; implicit-def: $vgpr103_vgpr104
	s_cbranch_execz .LBB95_14
; %bb.13:
	v_div_scale_f64 v[101:102], s[6:7], v[99:100], v[99:100], v[97:98]
	v_rcp_f64_e32 v[103:104], v[101:102]
	v_fma_f64 v[105:106], -v[101:102], v[103:104], 1.0
	v_fma_f64 v[103:104], v[103:104], v[105:106], v[103:104]
	v_div_scale_f64 v[105:106], vcc, v[97:98], v[99:100], v[97:98]
	v_fma_f64 v[107:108], -v[101:102], v[103:104], 1.0
	v_fma_f64 v[103:104], v[103:104], v[107:108], v[103:104]
	v_mul_f64 v[107:108], v[105:106], v[103:104]
	v_fma_f64 v[101:102], -v[101:102], v[107:108], v[105:106]
	v_div_fmas_f64 v[101:102], v[101:102], v[103:104], v[107:108]
	v_div_fixup_f64 v[101:102], v[101:102], v[99:100], v[97:98]
	v_fma_f64 v[97:98], v[97:98], v[101:102], v[99:100]
	v_div_scale_f64 v[99:100], s[6:7], v[97:98], v[97:98], 1.0
	v_div_scale_f64 v[107:108], vcc, 1.0, v[97:98], 1.0
	v_rcp_f64_e32 v[103:104], v[99:100]
	v_fma_f64 v[105:106], -v[99:100], v[103:104], 1.0
	v_fma_f64 v[103:104], v[103:104], v[105:106], v[103:104]
	v_fma_f64 v[105:106], -v[99:100], v[103:104], 1.0
	v_fma_f64 v[103:104], v[103:104], v[105:106], v[103:104]
	v_mul_f64 v[105:106], v[107:108], v[103:104]
	v_fma_f64 v[99:100], -v[99:100], v[105:106], v[107:108]
	v_div_fmas_f64 v[99:100], v[99:100], v[103:104], v[105:106]
	v_div_fixup_f64 v[103:104], v[99:100], v[97:98], 1.0
                                        ; implicit-def: $vgpr97_vgpr98
	v_mul_f64 v[101:102], v[101:102], v[103:104]
	v_xor_b32_e32 v104, 0x80000000, v104
.LBB95_14:
	s_andn2_saveexec_b64 s[2:3], s[2:3]
	s_cbranch_execz .LBB95_16
; %bb.15:
	v_div_scale_f64 v[101:102], s[6:7], v[97:98], v[97:98], v[99:100]
	v_rcp_f64_e32 v[103:104], v[101:102]
	v_fma_f64 v[105:106], -v[101:102], v[103:104], 1.0
	v_fma_f64 v[103:104], v[103:104], v[105:106], v[103:104]
	v_div_scale_f64 v[105:106], vcc, v[99:100], v[97:98], v[99:100]
	v_fma_f64 v[107:108], -v[101:102], v[103:104], 1.0
	v_fma_f64 v[103:104], v[103:104], v[107:108], v[103:104]
	v_mul_f64 v[107:108], v[105:106], v[103:104]
	v_fma_f64 v[101:102], -v[101:102], v[107:108], v[105:106]
	v_div_fmas_f64 v[101:102], v[101:102], v[103:104], v[107:108]
	v_div_fixup_f64 v[103:104], v[101:102], v[97:98], v[99:100]
	v_fma_f64 v[97:98], v[99:100], v[103:104], v[97:98]
	v_div_scale_f64 v[99:100], s[6:7], v[97:98], v[97:98], 1.0
	v_div_scale_f64 v[107:108], vcc, 1.0, v[97:98], 1.0
	v_rcp_f64_e32 v[101:102], v[99:100]
	v_fma_f64 v[105:106], -v[99:100], v[101:102], 1.0
	v_fma_f64 v[101:102], v[101:102], v[105:106], v[101:102]
	v_fma_f64 v[105:106], -v[99:100], v[101:102], 1.0
	v_fma_f64 v[101:102], v[101:102], v[105:106], v[101:102]
	v_mul_f64 v[105:106], v[107:108], v[101:102]
	v_fma_f64 v[99:100], -v[99:100], v[105:106], v[107:108]
	v_div_fmas_f64 v[99:100], v[99:100], v[101:102], v[105:106]
	v_div_fixup_f64 v[101:102], v[99:100], v[97:98], 1.0
	v_mul_f64 v[103:104], v[103:104], -v[101:102]
.LBB95_16:
	s_or_b64 exec, exec, s[2:3]
	ds_write2_b64 v127, v[101:102], v[103:104] offset1:1
.LBB95_17:
	s_or_b64 exec, exec, s[4:5]
	s_waitcnt lgkmcnt(0)
	s_barrier
	ds_read2_b64 v[69:72], v127 offset1:1
	v_cmp_lt_u32_e32 vcc, 1, v0
	s_waitcnt lgkmcnt(0)
	buffer_store_dword v69, off, s[20:23], 0 offset:792 ; 4-byte Folded Spill
	s_nop 0
	buffer_store_dword v70, off, s[20:23], 0 offset:796 ; 4-byte Folded Spill
	buffer_store_dword v71, off, s[20:23], 0 offset:800 ; 4-byte Folded Spill
	;; [unrolled: 1-line block ×3, first 2 shown]
	s_and_saveexec_b64 s[2:3], vcc
	s_cbranch_execz .LBB95_19
; %bb.18:
	buffer_load_dword v103, off, s[20:23], 0 offset:368 ; 4-byte Folded Reload
	buffer_load_dword v104, off, s[20:23], 0 offset:372 ; 4-byte Folded Reload
	;; [unrolled: 1-line block ×8, first 2 shown]
	s_waitcnt vmcnt(2)
	v_mul_f64 v[99:100], v[69:70], v[105:106]
	s_waitcnt vmcnt(0)
	v_mul_f64 v[97:98], v[71:72], v[105:106]
	v_fma_f64 v[105:106], v[71:72], v[103:104], v[99:100]
	ds_read2_b64 v[99:102], v125 offset0:4 offset1:5
	v_fma_f64 v[97:98], v[69:70], v[103:104], -v[97:98]
	buffer_load_dword v69, off, s[20:23], 0 offset:352 ; 4-byte Folded Reload
	buffer_load_dword v70, off, s[20:23], 0 offset:356 ; 4-byte Folded Reload
	buffer_load_dword v71, off, s[20:23], 0 offset:360 ; 4-byte Folded Reload
	buffer_load_dword v72, off, s[20:23], 0 offset:364 ; 4-byte Folded Reload
	s_waitcnt lgkmcnt(0)
	v_mul_f64 v[103:104], v[101:102], v[105:106]
	v_fma_f64 v[103:104], v[99:100], v[97:98], -v[103:104]
	v_mul_f64 v[99:100], v[99:100], v[105:106]
	v_fma_f64 v[99:100], v[101:102], v[97:98], v[99:100]
	s_waitcnt vmcnt(2)
	v_add_f64 v[69:70], v[69:70], -v[103:104]
	s_waitcnt vmcnt(0)
	v_add_f64 v[71:72], v[71:72], -v[99:100]
	buffer_store_dword v69, off, s[20:23], 0 offset:352 ; 4-byte Folded Spill
	s_nop 0
	buffer_store_dword v70, off, s[20:23], 0 offset:356 ; 4-byte Folded Spill
	buffer_store_dword v71, off, s[20:23], 0 offset:360 ; 4-byte Folded Spill
	buffer_store_dword v72, off, s[20:23], 0 offset:364 ; 4-byte Folded Spill
	ds_read2_b64 v[99:102], v125 offset0:6 offset1:7
	buffer_load_dword v69, off, s[20:23], 0 offset:336 ; 4-byte Folded Reload
	buffer_load_dword v70, off, s[20:23], 0 offset:340 ; 4-byte Folded Reload
	buffer_load_dword v71, off, s[20:23], 0 offset:344 ; 4-byte Folded Reload
	buffer_load_dword v72, off, s[20:23], 0 offset:348 ; 4-byte Folded Reload
	s_waitcnt lgkmcnt(0)
	v_mul_f64 v[103:104], v[101:102], v[105:106]
	v_fma_f64 v[103:104], v[99:100], v[97:98], -v[103:104]
	v_mul_f64 v[99:100], v[99:100], v[105:106]
	v_fma_f64 v[99:100], v[101:102], v[97:98], v[99:100]
	s_waitcnt vmcnt(2)
	v_add_f64 v[69:70], v[69:70], -v[103:104]
	s_waitcnt vmcnt(0)
	v_add_f64 v[71:72], v[71:72], -v[99:100]
	buffer_store_dword v69, off, s[20:23], 0 offset:336 ; 4-byte Folded Spill
	s_nop 0
	buffer_store_dword v70, off, s[20:23], 0 offset:340 ; 4-byte Folded Spill
	buffer_store_dword v71, off, s[20:23], 0 offset:344 ; 4-byte Folded Spill
	buffer_store_dword v72, off, s[20:23], 0 offset:348 ; 4-byte Folded Spill
	ds_read2_b64 v[99:102], v125 offset0:8 offset1:9
	;; [unrolled: 19-line block ×20, first 2 shown]
	v_mov_b32_e32 v69, v73
	v_mov_b32_e32 v70, v74
	;; [unrolled: 1-line block ×4, first 2 shown]
	s_waitcnt lgkmcnt(0)
	v_mul_f64 v[103:104], v[101:102], v[105:106]
	v_fma_f64 v[103:104], v[99:100], v[97:98], -v[103:104]
	v_mul_f64 v[99:100], v[99:100], v[105:106]
	v_add_f64 v[121:122], v[121:122], -v[103:104]
	v_fma_f64 v[99:100], v[101:102], v[97:98], v[99:100]
	v_add_f64 v[123:124], v[123:124], -v[99:100]
	ds_read2_b64 v[99:102], v125 offset0:46 offset1:47
	s_waitcnt lgkmcnt(0)
	v_mul_f64 v[103:104], v[101:102], v[105:106]
	v_fma_f64 v[103:104], v[99:100], v[97:98], -v[103:104]
	v_mul_f64 v[99:100], v[99:100], v[105:106]
	v_add_f64 v[117:118], v[117:118], -v[103:104]
	v_fma_f64 v[99:100], v[101:102], v[97:98], v[99:100]
	v_add_f64 v[119:120], v[119:120], -v[99:100]
	ds_read2_b64 v[99:102], v125 offset0:48 offset1:49
	;; [unrolled: 8-line block ×5, first 2 shown]
	buffer_load_dword v77, off, s[20:23], 0 offset:32 ; 4-byte Folded Reload
	buffer_load_dword v78, off, s[20:23], 0 offset:36 ; 4-byte Folded Reload
	;; [unrolled: 1-line block ×4, first 2 shown]
	s_waitcnt lgkmcnt(0)
	v_mul_f64 v[103:104], v[101:102], v[105:106]
	v_fma_f64 v[103:104], v[99:100], v[97:98], -v[103:104]
	v_mul_f64 v[99:100], v[99:100], v[105:106]
	v_fma_f64 v[99:100], v[101:102], v[97:98], v[99:100]
	s_waitcnt vmcnt(2)
	v_add_f64 v[77:78], v[77:78], -v[103:104]
	s_waitcnt vmcnt(0)
	v_add_f64 v[79:80], v[79:80], -v[99:100]
	buffer_store_dword v77, off, s[20:23], 0 offset:32 ; 4-byte Folded Spill
	s_nop 0
	buffer_store_dword v78, off, s[20:23], 0 offset:36 ; 4-byte Folded Spill
	buffer_store_dword v79, off, s[20:23], 0 offset:40 ; 4-byte Folded Spill
	;; [unrolled: 1-line block ×3, first 2 shown]
	ds_read2_b64 v[99:102], v125 offset0:56 offset1:57
	buffer_load_dword v73, off, s[20:23], 0 offset:16 ; 4-byte Folded Reload
	buffer_load_dword v74, off, s[20:23], 0 offset:20 ; 4-byte Folded Reload
	;; [unrolled: 1-line block ×4, first 2 shown]
	s_waitcnt lgkmcnt(0)
	v_mul_f64 v[103:104], v[101:102], v[105:106]
	v_fma_f64 v[103:104], v[99:100], v[97:98], -v[103:104]
	v_mul_f64 v[99:100], v[99:100], v[105:106]
	v_fma_f64 v[99:100], v[101:102], v[97:98], v[99:100]
	s_waitcnt vmcnt(2)
	v_add_f64 v[73:74], v[73:74], -v[103:104]
	s_waitcnt vmcnt(0)
	v_add_f64 v[75:76], v[75:76], -v[99:100]
	buffer_store_dword v73, off, s[20:23], 0 offset:16 ; 4-byte Folded Spill
	s_nop 0
	buffer_store_dword v74, off, s[20:23], 0 offset:20 ; 4-byte Folded Spill
	buffer_store_dword v75, off, s[20:23], 0 offset:24 ; 4-byte Folded Spill
	;; [unrolled: 1-line block ×3, first 2 shown]
	v_mov_b32_e32 v76, v72
	v_mov_b32_e32 v75, v71
	;; [unrolled: 1-line block ×4, first 2 shown]
	ds_read2_b64 v[99:102], v125 offset0:58 offset1:59
	buffer_load_dword v69, off, s[20:23], 0 ; 4-byte Folded Reload
	buffer_load_dword v70, off, s[20:23], 0 offset:4 ; 4-byte Folded Reload
	buffer_load_dword v71, off, s[20:23], 0 offset:8 ; 4-byte Folded Reload
	;; [unrolled: 1-line block ×3, first 2 shown]
	s_waitcnt lgkmcnt(0)
	v_mul_f64 v[103:104], v[101:102], v[105:106]
	v_fma_f64 v[103:104], v[99:100], v[97:98], -v[103:104]
	v_mul_f64 v[99:100], v[99:100], v[105:106]
	v_fma_f64 v[99:100], v[101:102], v[97:98], v[99:100]
	s_waitcnt vmcnt(2)
	v_add_f64 v[69:70], v[69:70], -v[103:104]
	s_waitcnt vmcnt(0)
	v_add_f64 v[71:72], v[71:72], -v[99:100]
	buffer_store_dword v69, off, s[20:23], 0 ; 4-byte Folded Spill
	s_nop 0
	buffer_store_dword v70, off, s[20:23], 0 offset:4 ; 4-byte Folded Spill
	buffer_store_dword v71, off, s[20:23], 0 offset:8 ; 4-byte Folded Spill
	;; [unrolled: 1-line block ×3, first 2 shown]
	ds_read2_b64 v[99:102], v125 offset0:60 offset1:61
	s_waitcnt lgkmcnt(0)
	v_mul_f64 v[103:104], v[101:102], v[105:106]
	v_fma_f64 v[103:104], v[99:100], v[97:98], -v[103:104]
	v_mul_f64 v[99:100], v[99:100], v[105:106]
	v_add_f64 v[65:66], v[65:66], -v[103:104]
	v_fma_f64 v[99:100], v[101:102], v[97:98], v[99:100]
	v_add_f64 v[67:68], v[67:68], -v[99:100]
	ds_read2_b64 v[99:102], v125 offset0:62 offset1:63
	s_waitcnt lgkmcnt(0)
	v_mul_f64 v[103:104], v[101:102], v[105:106]
	v_fma_f64 v[103:104], v[99:100], v[97:98], -v[103:104]
	v_mul_f64 v[99:100], v[99:100], v[105:106]
	v_add_f64 v[61:62], v[61:62], -v[103:104]
	v_fma_f64 v[99:100], v[101:102], v[97:98], v[99:100]
	v_add_f64 v[63:64], v[63:64], -v[99:100]
	;; [unrolled: 8-line block ×16, first 2 shown]
	ds_read2_b64 v[99:102], v125 offset0:92 offset1:93
	s_waitcnt lgkmcnt(0)
	v_mul_f64 v[103:104], v[101:102], v[105:106]
	v_fma_f64 v[103:104], v[99:100], v[97:98], -v[103:104]
	v_mul_f64 v[99:100], v[99:100], v[105:106]
	v_add_f64 v[1:2], v[1:2], -v[103:104]
	v_fma_f64 v[99:100], v[101:102], v[97:98], v[99:100]
	ds_read2_b64 v[101:104], v125 offset0:94 offset1:95
	v_add_f64 v[3:4], v[3:4], -v[99:100]
	s_waitcnt lgkmcnt(0)
	v_mul_f64 v[99:100], v[103:104], v[105:106]
	v_fma_f64 v[99:100], v[101:102], v[97:98], -v[99:100]
	v_mul_f64 v[101:102], v[101:102], v[105:106]
	v_add_f64 v[73:74], v[73:74], -v[99:100]
	v_fma_f64 v[101:102], v[103:104], v[97:98], v[101:102]
	v_mov_b32_e32 v104, v98
	v_mov_b32_e32 v103, v97
	buffer_store_dword v103, off, s[20:23], 0 offset:368 ; 4-byte Folded Spill
	s_nop 0
	buffer_store_dword v104, off, s[20:23], 0 offset:372 ; 4-byte Folded Spill
	buffer_store_dword v105, off, s[20:23], 0 offset:376 ; 4-byte Folded Spill
	;; [unrolled: 1-line block ×3, first 2 shown]
	v_add_f64 v[75:76], v[75:76], -v[101:102]
.LBB95_19:
	s_or_b64 exec, exec, s[2:3]
	v_cmp_eq_u32_e32 vcc, 2, v0
	s_waitcnt vmcnt(0)
	s_barrier
	s_and_saveexec_b64 s[4:5], vcc
	s_cbranch_execz .LBB95_26
; %bb.20:
	buffer_load_dword v69, off, s[20:23], 0 offset:352 ; 4-byte Folded Reload
	buffer_load_dword v70, off, s[20:23], 0 offset:356 ; 4-byte Folded Reload
	;; [unrolled: 1-line block ×4, first 2 shown]
	s_waitcnt vmcnt(0)
	ds_write2_b64 v127, v[69:70], v[71:72] offset1:1
	buffer_load_dword v69, off, s[20:23], 0 offset:336 ; 4-byte Folded Reload
	buffer_load_dword v70, off, s[20:23], 0 offset:340 ; 4-byte Folded Reload
	buffer_load_dword v71, off, s[20:23], 0 offset:344 ; 4-byte Folded Reload
	buffer_load_dword v72, off, s[20:23], 0 offset:348 ; 4-byte Folded Reload
	s_waitcnt vmcnt(0)
	ds_write2_b64 v125, v[69:70], v[71:72] offset0:6 offset1:7
	buffer_load_dword v69, off, s[20:23], 0 offset:320 ; 4-byte Folded Reload
	buffer_load_dword v70, off, s[20:23], 0 offset:324 ; 4-byte Folded Reload
	buffer_load_dword v71, off, s[20:23], 0 offset:328 ; 4-byte Folded Reload
	buffer_load_dword v72, off, s[20:23], 0 offset:332 ; 4-byte Folded Reload
	s_waitcnt vmcnt(0)
	ds_write2_b64 v125, v[69:70], v[71:72] offset0:8 offset1:9
	;; [unrolled: 6-line block ×19, first 2 shown]
	ds_write2_b64 v125, v[121:122], v[123:124] offset0:44 offset1:45
	ds_write2_b64 v125, v[117:118], v[119:120] offset0:46 offset1:47
	;; [unrolled: 1-line block ×5, first 2 shown]
	buffer_load_dword v77, off, s[20:23], 0 offset:32 ; 4-byte Folded Reload
	buffer_load_dword v78, off, s[20:23], 0 offset:36 ; 4-byte Folded Reload
	;; [unrolled: 1-line block ×4, first 2 shown]
	v_mov_b32_e32 v69, v73
	v_mov_b32_e32 v70, v74
	;; [unrolled: 1-line block ×4, first 2 shown]
	s_waitcnt vmcnt(0)
	ds_write2_b64 v125, v[77:78], v[79:80] offset0:54 offset1:55
	buffer_load_dword v73, off, s[20:23], 0 offset:16 ; 4-byte Folded Reload
	buffer_load_dword v74, off, s[20:23], 0 offset:20 ; 4-byte Folded Reload
	;; [unrolled: 1-line block ×4, first 2 shown]
	s_waitcnt vmcnt(0)
	ds_write2_b64 v125, v[73:74], v[75:76] offset0:56 offset1:57
	v_mov_b32_e32 v76, v72
	v_mov_b32_e32 v75, v71
	;; [unrolled: 1-line block ×4, first 2 shown]
	buffer_load_dword v69, off, s[20:23], 0 ; 4-byte Folded Reload
	buffer_load_dword v70, off, s[20:23], 0 offset:4 ; 4-byte Folded Reload
	buffer_load_dword v71, off, s[20:23], 0 offset:8 ; 4-byte Folded Reload
	;; [unrolled: 1-line block ×3, first 2 shown]
	s_waitcnt vmcnt(0)
	ds_write2_b64 v125, v[69:70], v[71:72] offset0:58 offset1:59
	ds_write2_b64 v125, v[65:66], v[67:68] offset0:60 offset1:61
	;; [unrolled: 1-line block ×19, first 2 shown]
	ds_read2_b64 v[97:100], v127 offset1:1
	s_waitcnt lgkmcnt(0)
	v_cmp_neq_f64_e32 vcc, 0, v[97:98]
	v_cmp_neq_f64_e64 s[2:3], 0, v[99:100]
	s_or_b64 s[2:3], vcc, s[2:3]
	s_and_b64 exec, exec, s[2:3]
	s_cbranch_execz .LBB95_26
; %bb.21:
	v_cmp_ngt_f64_e64 s[2:3], |v[97:98]|, |v[99:100]|
                                        ; implicit-def: $vgpr101_vgpr102
	s_and_saveexec_b64 s[6:7], s[2:3]
	s_xor_b64 s[2:3], exec, s[6:7]
                                        ; implicit-def: $vgpr103_vgpr104
	s_cbranch_execz .LBB95_23
; %bb.22:
	v_div_scale_f64 v[101:102], s[6:7], v[99:100], v[99:100], v[97:98]
	v_rcp_f64_e32 v[103:104], v[101:102]
	v_fma_f64 v[105:106], -v[101:102], v[103:104], 1.0
	v_fma_f64 v[103:104], v[103:104], v[105:106], v[103:104]
	v_div_scale_f64 v[105:106], vcc, v[97:98], v[99:100], v[97:98]
	v_fma_f64 v[107:108], -v[101:102], v[103:104], 1.0
	v_fma_f64 v[103:104], v[103:104], v[107:108], v[103:104]
	v_mul_f64 v[107:108], v[105:106], v[103:104]
	v_fma_f64 v[101:102], -v[101:102], v[107:108], v[105:106]
	v_div_fmas_f64 v[101:102], v[101:102], v[103:104], v[107:108]
	v_div_fixup_f64 v[101:102], v[101:102], v[99:100], v[97:98]
	v_fma_f64 v[97:98], v[97:98], v[101:102], v[99:100]
	v_div_scale_f64 v[99:100], s[6:7], v[97:98], v[97:98], 1.0
	v_div_scale_f64 v[107:108], vcc, 1.0, v[97:98], 1.0
	v_rcp_f64_e32 v[103:104], v[99:100]
	v_fma_f64 v[105:106], -v[99:100], v[103:104], 1.0
	v_fma_f64 v[103:104], v[103:104], v[105:106], v[103:104]
	v_fma_f64 v[105:106], -v[99:100], v[103:104], 1.0
	v_fma_f64 v[103:104], v[103:104], v[105:106], v[103:104]
	v_mul_f64 v[105:106], v[107:108], v[103:104]
	v_fma_f64 v[99:100], -v[99:100], v[105:106], v[107:108]
	v_div_fmas_f64 v[99:100], v[99:100], v[103:104], v[105:106]
	v_div_fixup_f64 v[103:104], v[99:100], v[97:98], 1.0
                                        ; implicit-def: $vgpr97_vgpr98
	v_mul_f64 v[101:102], v[101:102], v[103:104]
	v_xor_b32_e32 v104, 0x80000000, v104
.LBB95_23:
	s_andn2_saveexec_b64 s[2:3], s[2:3]
	s_cbranch_execz .LBB95_25
; %bb.24:
	v_div_scale_f64 v[101:102], s[6:7], v[97:98], v[97:98], v[99:100]
	v_rcp_f64_e32 v[103:104], v[101:102]
	v_fma_f64 v[105:106], -v[101:102], v[103:104], 1.0
	v_fma_f64 v[103:104], v[103:104], v[105:106], v[103:104]
	v_div_scale_f64 v[105:106], vcc, v[99:100], v[97:98], v[99:100]
	v_fma_f64 v[107:108], -v[101:102], v[103:104], 1.0
	v_fma_f64 v[103:104], v[103:104], v[107:108], v[103:104]
	v_mul_f64 v[107:108], v[105:106], v[103:104]
	v_fma_f64 v[101:102], -v[101:102], v[107:108], v[105:106]
	v_div_fmas_f64 v[101:102], v[101:102], v[103:104], v[107:108]
	v_div_fixup_f64 v[103:104], v[101:102], v[97:98], v[99:100]
	v_fma_f64 v[97:98], v[99:100], v[103:104], v[97:98]
	v_div_scale_f64 v[99:100], s[6:7], v[97:98], v[97:98], 1.0
	v_div_scale_f64 v[107:108], vcc, 1.0, v[97:98], 1.0
	v_rcp_f64_e32 v[101:102], v[99:100]
	v_fma_f64 v[105:106], -v[99:100], v[101:102], 1.0
	v_fma_f64 v[101:102], v[101:102], v[105:106], v[101:102]
	v_fma_f64 v[105:106], -v[99:100], v[101:102], 1.0
	v_fma_f64 v[101:102], v[101:102], v[105:106], v[101:102]
	v_mul_f64 v[105:106], v[107:108], v[101:102]
	v_fma_f64 v[99:100], -v[99:100], v[105:106], v[107:108]
	v_div_fmas_f64 v[99:100], v[99:100], v[101:102], v[105:106]
	v_div_fixup_f64 v[101:102], v[99:100], v[97:98], 1.0
	v_mul_f64 v[103:104], v[103:104], -v[101:102]
.LBB95_25:
	s_or_b64 exec, exec, s[2:3]
	ds_write2_b64 v127, v[101:102], v[103:104] offset1:1
.LBB95_26:
	s_or_b64 exec, exec, s[4:5]
	s_waitcnt lgkmcnt(0)
	s_barrier
	ds_read2_b64 v[69:72], v127 offset1:1
	v_cmp_lt_u32_e32 vcc, 2, v0
	s_waitcnt lgkmcnt(0)
	buffer_store_dword v69, off, s[20:23], 0 offset:808 ; 4-byte Folded Spill
	s_nop 0
	buffer_store_dword v70, off, s[20:23], 0 offset:812 ; 4-byte Folded Spill
	buffer_store_dword v71, off, s[20:23], 0 offset:816 ; 4-byte Folded Spill
	;; [unrolled: 1-line block ×3, first 2 shown]
	s_and_saveexec_b64 s[2:3], vcc
	s_cbranch_execz .LBB95_28
; %bb.27:
	buffer_load_dword v103, off, s[20:23], 0 offset:352 ; 4-byte Folded Reload
	buffer_load_dword v104, off, s[20:23], 0 offset:356 ; 4-byte Folded Reload
	;; [unrolled: 1-line block ×8, first 2 shown]
	s_waitcnt vmcnt(2)
	v_mul_f64 v[99:100], v[69:70], v[105:106]
	s_waitcnt vmcnt(0)
	v_mul_f64 v[97:98], v[71:72], v[105:106]
	v_fma_f64 v[105:106], v[71:72], v[103:104], v[99:100]
	ds_read2_b64 v[99:102], v125 offset0:6 offset1:7
	v_fma_f64 v[97:98], v[69:70], v[103:104], -v[97:98]
	buffer_load_dword v69, off, s[20:23], 0 offset:336 ; 4-byte Folded Reload
	buffer_load_dword v70, off, s[20:23], 0 offset:340 ; 4-byte Folded Reload
	buffer_load_dword v71, off, s[20:23], 0 offset:344 ; 4-byte Folded Reload
	buffer_load_dword v72, off, s[20:23], 0 offset:348 ; 4-byte Folded Reload
	s_waitcnt lgkmcnt(0)
	v_mul_f64 v[103:104], v[101:102], v[105:106]
	v_fma_f64 v[103:104], v[99:100], v[97:98], -v[103:104]
	v_mul_f64 v[99:100], v[99:100], v[105:106]
	v_fma_f64 v[99:100], v[101:102], v[97:98], v[99:100]
	s_waitcnt vmcnt(2)
	v_add_f64 v[69:70], v[69:70], -v[103:104]
	s_waitcnt vmcnt(0)
	v_add_f64 v[71:72], v[71:72], -v[99:100]
	buffer_store_dword v69, off, s[20:23], 0 offset:336 ; 4-byte Folded Spill
	s_nop 0
	buffer_store_dword v70, off, s[20:23], 0 offset:340 ; 4-byte Folded Spill
	buffer_store_dword v71, off, s[20:23], 0 offset:344 ; 4-byte Folded Spill
	buffer_store_dword v72, off, s[20:23], 0 offset:348 ; 4-byte Folded Spill
	ds_read2_b64 v[99:102], v125 offset0:8 offset1:9
	buffer_load_dword v69, off, s[20:23], 0 offset:320 ; 4-byte Folded Reload
	buffer_load_dword v70, off, s[20:23], 0 offset:324 ; 4-byte Folded Reload
	buffer_load_dword v71, off, s[20:23], 0 offset:328 ; 4-byte Folded Reload
	buffer_load_dword v72, off, s[20:23], 0 offset:332 ; 4-byte Folded Reload
	s_waitcnt lgkmcnt(0)
	v_mul_f64 v[103:104], v[101:102], v[105:106]
	v_fma_f64 v[103:104], v[99:100], v[97:98], -v[103:104]
	v_mul_f64 v[99:100], v[99:100], v[105:106]
	v_fma_f64 v[99:100], v[101:102], v[97:98], v[99:100]
	s_waitcnt vmcnt(2)
	v_add_f64 v[69:70], v[69:70], -v[103:104]
	s_waitcnt vmcnt(0)
	v_add_f64 v[71:72], v[71:72], -v[99:100]
	buffer_store_dword v69, off, s[20:23], 0 offset:320 ; 4-byte Folded Spill
	s_nop 0
	buffer_store_dword v70, off, s[20:23], 0 offset:324 ; 4-byte Folded Spill
	buffer_store_dword v71, off, s[20:23], 0 offset:328 ; 4-byte Folded Spill
	buffer_store_dword v72, off, s[20:23], 0 offset:332 ; 4-byte Folded Spill
	ds_read2_b64 v[99:102], v125 offset0:10 offset1:11
	;; [unrolled: 19-line block ×19, first 2 shown]
	v_mov_b32_e32 v69, v73
	v_mov_b32_e32 v70, v74
	;; [unrolled: 1-line block ×4, first 2 shown]
	s_waitcnt lgkmcnt(0)
	v_mul_f64 v[103:104], v[101:102], v[105:106]
	v_fma_f64 v[103:104], v[99:100], v[97:98], -v[103:104]
	v_mul_f64 v[99:100], v[99:100], v[105:106]
	v_add_f64 v[121:122], v[121:122], -v[103:104]
	v_fma_f64 v[99:100], v[101:102], v[97:98], v[99:100]
	v_add_f64 v[123:124], v[123:124], -v[99:100]
	ds_read2_b64 v[99:102], v125 offset0:46 offset1:47
	s_waitcnt lgkmcnt(0)
	v_mul_f64 v[103:104], v[101:102], v[105:106]
	v_fma_f64 v[103:104], v[99:100], v[97:98], -v[103:104]
	v_mul_f64 v[99:100], v[99:100], v[105:106]
	v_add_f64 v[117:118], v[117:118], -v[103:104]
	v_fma_f64 v[99:100], v[101:102], v[97:98], v[99:100]
	v_add_f64 v[119:120], v[119:120], -v[99:100]
	ds_read2_b64 v[99:102], v125 offset0:48 offset1:49
	;; [unrolled: 8-line block ×5, first 2 shown]
	buffer_load_dword v77, off, s[20:23], 0 offset:32 ; 4-byte Folded Reload
	buffer_load_dword v78, off, s[20:23], 0 offset:36 ; 4-byte Folded Reload
	;; [unrolled: 1-line block ×4, first 2 shown]
	s_waitcnt lgkmcnt(0)
	v_mul_f64 v[103:104], v[101:102], v[105:106]
	v_fma_f64 v[103:104], v[99:100], v[97:98], -v[103:104]
	v_mul_f64 v[99:100], v[99:100], v[105:106]
	v_fma_f64 v[99:100], v[101:102], v[97:98], v[99:100]
	s_waitcnt vmcnt(2)
	v_add_f64 v[77:78], v[77:78], -v[103:104]
	s_waitcnt vmcnt(0)
	v_add_f64 v[79:80], v[79:80], -v[99:100]
	buffer_store_dword v77, off, s[20:23], 0 offset:32 ; 4-byte Folded Spill
	s_nop 0
	buffer_store_dword v78, off, s[20:23], 0 offset:36 ; 4-byte Folded Spill
	buffer_store_dword v79, off, s[20:23], 0 offset:40 ; 4-byte Folded Spill
	;; [unrolled: 1-line block ×3, first 2 shown]
	ds_read2_b64 v[99:102], v125 offset0:56 offset1:57
	buffer_load_dword v73, off, s[20:23], 0 offset:16 ; 4-byte Folded Reload
	buffer_load_dword v74, off, s[20:23], 0 offset:20 ; 4-byte Folded Reload
	;; [unrolled: 1-line block ×4, first 2 shown]
	s_waitcnt lgkmcnt(0)
	v_mul_f64 v[103:104], v[101:102], v[105:106]
	v_fma_f64 v[103:104], v[99:100], v[97:98], -v[103:104]
	v_mul_f64 v[99:100], v[99:100], v[105:106]
	v_fma_f64 v[99:100], v[101:102], v[97:98], v[99:100]
	s_waitcnt vmcnt(2)
	v_add_f64 v[73:74], v[73:74], -v[103:104]
	s_waitcnt vmcnt(0)
	v_add_f64 v[75:76], v[75:76], -v[99:100]
	buffer_store_dword v73, off, s[20:23], 0 offset:16 ; 4-byte Folded Spill
	s_nop 0
	buffer_store_dword v74, off, s[20:23], 0 offset:20 ; 4-byte Folded Spill
	buffer_store_dword v75, off, s[20:23], 0 offset:24 ; 4-byte Folded Spill
	;; [unrolled: 1-line block ×3, first 2 shown]
	v_mov_b32_e32 v76, v72
	v_mov_b32_e32 v75, v71
	;; [unrolled: 1-line block ×4, first 2 shown]
	ds_read2_b64 v[99:102], v125 offset0:58 offset1:59
	buffer_load_dword v69, off, s[20:23], 0 ; 4-byte Folded Reload
	buffer_load_dword v70, off, s[20:23], 0 offset:4 ; 4-byte Folded Reload
	buffer_load_dword v71, off, s[20:23], 0 offset:8 ; 4-byte Folded Reload
	buffer_load_dword v72, off, s[20:23], 0 offset:12 ; 4-byte Folded Reload
	s_waitcnt lgkmcnt(0)
	v_mul_f64 v[103:104], v[101:102], v[105:106]
	v_fma_f64 v[103:104], v[99:100], v[97:98], -v[103:104]
	v_mul_f64 v[99:100], v[99:100], v[105:106]
	v_fma_f64 v[99:100], v[101:102], v[97:98], v[99:100]
	s_waitcnt vmcnt(2)
	v_add_f64 v[69:70], v[69:70], -v[103:104]
	s_waitcnt vmcnt(0)
	v_add_f64 v[71:72], v[71:72], -v[99:100]
	buffer_store_dword v69, off, s[20:23], 0 ; 4-byte Folded Spill
	s_nop 0
	buffer_store_dword v70, off, s[20:23], 0 offset:4 ; 4-byte Folded Spill
	buffer_store_dword v71, off, s[20:23], 0 offset:8 ; 4-byte Folded Spill
	;; [unrolled: 1-line block ×3, first 2 shown]
	ds_read2_b64 v[99:102], v125 offset0:60 offset1:61
	s_waitcnt lgkmcnt(0)
	v_mul_f64 v[103:104], v[101:102], v[105:106]
	v_fma_f64 v[103:104], v[99:100], v[97:98], -v[103:104]
	v_mul_f64 v[99:100], v[99:100], v[105:106]
	v_add_f64 v[65:66], v[65:66], -v[103:104]
	v_fma_f64 v[99:100], v[101:102], v[97:98], v[99:100]
	v_add_f64 v[67:68], v[67:68], -v[99:100]
	ds_read2_b64 v[99:102], v125 offset0:62 offset1:63
	s_waitcnt lgkmcnt(0)
	v_mul_f64 v[103:104], v[101:102], v[105:106]
	v_fma_f64 v[103:104], v[99:100], v[97:98], -v[103:104]
	v_mul_f64 v[99:100], v[99:100], v[105:106]
	v_add_f64 v[61:62], v[61:62], -v[103:104]
	v_fma_f64 v[99:100], v[101:102], v[97:98], v[99:100]
	v_add_f64 v[63:64], v[63:64], -v[99:100]
	;; [unrolled: 8-line block ×16, first 2 shown]
	ds_read2_b64 v[99:102], v125 offset0:92 offset1:93
	s_waitcnt lgkmcnt(0)
	v_mul_f64 v[103:104], v[101:102], v[105:106]
	v_fma_f64 v[103:104], v[99:100], v[97:98], -v[103:104]
	v_mul_f64 v[99:100], v[99:100], v[105:106]
	v_add_f64 v[1:2], v[1:2], -v[103:104]
	v_fma_f64 v[99:100], v[101:102], v[97:98], v[99:100]
	ds_read2_b64 v[101:104], v125 offset0:94 offset1:95
	v_add_f64 v[3:4], v[3:4], -v[99:100]
	s_waitcnt lgkmcnt(0)
	v_mul_f64 v[99:100], v[103:104], v[105:106]
	v_fma_f64 v[99:100], v[101:102], v[97:98], -v[99:100]
	v_mul_f64 v[101:102], v[101:102], v[105:106]
	v_add_f64 v[73:74], v[73:74], -v[99:100]
	v_fma_f64 v[101:102], v[103:104], v[97:98], v[101:102]
	v_mov_b32_e32 v104, v98
	v_mov_b32_e32 v103, v97
	buffer_store_dword v103, off, s[20:23], 0 offset:352 ; 4-byte Folded Spill
	s_nop 0
	buffer_store_dword v104, off, s[20:23], 0 offset:356 ; 4-byte Folded Spill
	buffer_store_dword v105, off, s[20:23], 0 offset:360 ; 4-byte Folded Spill
	;; [unrolled: 1-line block ×3, first 2 shown]
	v_add_f64 v[75:76], v[75:76], -v[101:102]
.LBB95_28:
	s_or_b64 exec, exec, s[2:3]
	v_cmp_eq_u32_e32 vcc, 3, v0
	s_waitcnt vmcnt(0)
	s_barrier
	s_and_saveexec_b64 s[4:5], vcc
	s_cbranch_execz .LBB95_35
; %bb.29:
	buffer_load_dword v69, off, s[20:23], 0 offset:336 ; 4-byte Folded Reload
	buffer_load_dword v70, off, s[20:23], 0 offset:340 ; 4-byte Folded Reload
	;; [unrolled: 1-line block ×4, first 2 shown]
	s_waitcnt vmcnt(0)
	ds_write2_b64 v127, v[69:70], v[71:72] offset1:1
	buffer_load_dword v69, off, s[20:23], 0 offset:320 ; 4-byte Folded Reload
	buffer_load_dword v70, off, s[20:23], 0 offset:324 ; 4-byte Folded Reload
	buffer_load_dword v71, off, s[20:23], 0 offset:328 ; 4-byte Folded Reload
	buffer_load_dword v72, off, s[20:23], 0 offset:332 ; 4-byte Folded Reload
	s_waitcnt vmcnt(0)
	ds_write2_b64 v125, v[69:70], v[71:72] offset0:8 offset1:9
	buffer_load_dword v69, off, s[20:23], 0 offset:304 ; 4-byte Folded Reload
	buffer_load_dword v70, off, s[20:23], 0 offset:308 ; 4-byte Folded Reload
	buffer_load_dword v71, off, s[20:23], 0 offset:312 ; 4-byte Folded Reload
	buffer_load_dword v72, off, s[20:23], 0 offset:316 ; 4-byte Folded Reload
	s_waitcnt vmcnt(0)
	ds_write2_b64 v125, v[69:70], v[71:72] offset0:10 offset1:11
	buffer_load_dword v69, off, s[20:23], 0 offset:288 ; 4-byte Folded Reload
	buffer_load_dword v70, off, s[20:23], 0 offset:292 ; 4-byte Folded Reload
	buffer_load_dword v71, off, s[20:23], 0 offset:296 ; 4-byte Folded Reload
	buffer_load_dword v72, off, s[20:23], 0 offset:300 ; 4-byte Folded Reload
	s_waitcnt vmcnt(0)
	ds_write2_b64 v125, v[69:70], v[71:72] offset0:12 offset1:13
	buffer_load_dword v69, off, s[20:23], 0 offset:272 ; 4-byte Folded Reload
	buffer_load_dword v70, off, s[20:23], 0 offset:276 ; 4-byte Folded Reload
	buffer_load_dword v71, off, s[20:23], 0 offset:280 ; 4-byte Folded Reload
	buffer_load_dword v72, off, s[20:23], 0 offset:284 ; 4-byte Folded Reload
	s_waitcnt vmcnt(0)
	ds_write2_b64 v125, v[69:70], v[71:72] offset0:14 offset1:15
	buffer_load_dword v69, off, s[20:23], 0 offset:256 ; 4-byte Folded Reload
	buffer_load_dword v70, off, s[20:23], 0 offset:260 ; 4-byte Folded Reload
	buffer_load_dword v71, off, s[20:23], 0 offset:264 ; 4-byte Folded Reload
	buffer_load_dword v72, off, s[20:23], 0 offset:268 ; 4-byte Folded Reload
	s_waitcnt vmcnt(0)
	ds_write2_b64 v125, v[69:70], v[71:72] offset0:16 offset1:17
	buffer_load_dword v69, off, s[20:23], 0 offset:240 ; 4-byte Folded Reload
	buffer_load_dword v70, off, s[20:23], 0 offset:244 ; 4-byte Folded Reload
	buffer_load_dword v71, off, s[20:23], 0 offset:248 ; 4-byte Folded Reload
	buffer_load_dword v72, off, s[20:23], 0 offset:252 ; 4-byte Folded Reload
	s_waitcnt vmcnt(0)
	ds_write2_b64 v125, v[69:70], v[71:72] offset0:18 offset1:19
	buffer_load_dword v69, off, s[20:23], 0 offset:224 ; 4-byte Folded Reload
	buffer_load_dword v70, off, s[20:23], 0 offset:228 ; 4-byte Folded Reload
	buffer_load_dword v71, off, s[20:23], 0 offset:232 ; 4-byte Folded Reload
	buffer_load_dword v72, off, s[20:23], 0 offset:236 ; 4-byte Folded Reload
	s_waitcnt vmcnt(0)
	ds_write2_b64 v125, v[69:70], v[71:72] offset0:20 offset1:21
	buffer_load_dword v69, off, s[20:23], 0 offset:208 ; 4-byte Folded Reload
	buffer_load_dword v70, off, s[20:23], 0 offset:212 ; 4-byte Folded Reload
	buffer_load_dword v71, off, s[20:23], 0 offset:216 ; 4-byte Folded Reload
	buffer_load_dword v72, off, s[20:23], 0 offset:220 ; 4-byte Folded Reload
	s_waitcnt vmcnt(0)
	ds_write2_b64 v125, v[69:70], v[71:72] offset0:22 offset1:23
	buffer_load_dword v69, off, s[20:23], 0 offset:192 ; 4-byte Folded Reload
	buffer_load_dword v70, off, s[20:23], 0 offset:196 ; 4-byte Folded Reload
	buffer_load_dword v71, off, s[20:23], 0 offset:200 ; 4-byte Folded Reload
	buffer_load_dword v72, off, s[20:23], 0 offset:204 ; 4-byte Folded Reload
	s_waitcnt vmcnt(0)
	ds_write2_b64 v125, v[69:70], v[71:72] offset0:24 offset1:25
	buffer_load_dword v69, off, s[20:23], 0 offset:176 ; 4-byte Folded Reload
	buffer_load_dword v70, off, s[20:23], 0 offset:180 ; 4-byte Folded Reload
	buffer_load_dword v71, off, s[20:23], 0 offset:184 ; 4-byte Folded Reload
	buffer_load_dword v72, off, s[20:23], 0 offset:188 ; 4-byte Folded Reload
	s_waitcnt vmcnt(0)
	ds_write2_b64 v125, v[69:70], v[71:72] offset0:26 offset1:27
	buffer_load_dword v69, off, s[20:23], 0 offset:160 ; 4-byte Folded Reload
	buffer_load_dword v70, off, s[20:23], 0 offset:164 ; 4-byte Folded Reload
	buffer_load_dword v71, off, s[20:23], 0 offset:168 ; 4-byte Folded Reload
	buffer_load_dword v72, off, s[20:23], 0 offset:172 ; 4-byte Folded Reload
	s_waitcnt vmcnt(0)
	ds_write2_b64 v125, v[69:70], v[71:72] offset0:28 offset1:29
	buffer_load_dword v69, off, s[20:23], 0 offset:144 ; 4-byte Folded Reload
	buffer_load_dword v70, off, s[20:23], 0 offset:148 ; 4-byte Folded Reload
	buffer_load_dword v71, off, s[20:23], 0 offset:152 ; 4-byte Folded Reload
	buffer_load_dword v72, off, s[20:23], 0 offset:156 ; 4-byte Folded Reload
	s_waitcnt vmcnt(0)
	ds_write2_b64 v125, v[69:70], v[71:72] offset0:30 offset1:31
	buffer_load_dword v69, off, s[20:23], 0 offset:128 ; 4-byte Folded Reload
	buffer_load_dword v70, off, s[20:23], 0 offset:132 ; 4-byte Folded Reload
	buffer_load_dword v71, off, s[20:23], 0 offset:136 ; 4-byte Folded Reload
	buffer_load_dword v72, off, s[20:23], 0 offset:140 ; 4-byte Folded Reload
	s_waitcnt vmcnt(0)
	ds_write2_b64 v125, v[69:70], v[71:72] offset0:32 offset1:33
	buffer_load_dword v69, off, s[20:23], 0 offset:112 ; 4-byte Folded Reload
	buffer_load_dword v70, off, s[20:23], 0 offset:116 ; 4-byte Folded Reload
	buffer_load_dword v71, off, s[20:23], 0 offset:120 ; 4-byte Folded Reload
	buffer_load_dword v72, off, s[20:23], 0 offset:124 ; 4-byte Folded Reload
	s_waitcnt vmcnt(0)
	ds_write2_b64 v125, v[69:70], v[71:72] offset0:34 offset1:35
	buffer_load_dword v69, off, s[20:23], 0 offset:96 ; 4-byte Folded Reload
	buffer_load_dword v70, off, s[20:23], 0 offset:100 ; 4-byte Folded Reload
	buffer_load_dword v71, off, s[20:23], 0 offset:104 ; 4-byte Folded Reload
	buffer_load_dword v72, off, s[20:23], 0 offset:108 ; 4-byte Folded Reload
	s_waitcnt vmcnt(0)
	ds_write2_b64 v125, v[69:70], v[71:72] offset0:36 offset1:37
	buffer_load_dword v69, off, s[20:23], 0 offset:80 ; 4-byte Folded Reload
	buffer_load_dword v70, off, s[20:23], 0 offset:84 ; 4-byte Folded Reload
	buffer_load_dword v71, off, s[20:23], 0 offset:88 ; 4-byte Folded Reload
	buffer_load_dword v72, off, s[20:23], 0 offset:92 ; 4-byte Folded Reload
	s_waitcnt vmcnt(0)
	ds_write2_b64 v125, v[69:70], v[71:72] offset0:38 offset1:39
	buffer_load_dword v69, off, s[20:23], 0 offset:64 ; 4-byte Folded Reload
	buffer_load_dword v70, off, s[20:23], 0 offset:68 ; 4-byte Folded Reload
	buffer_load_dword v71, off, s[20:23], 0 offset:72 ; 4-byte Folded Reload
	buffer_load_dword v72, off, s[20:23], 0 offset:76 ; 4-byte Folded Reload
	s_waitcnt vmcnt(0)
	ds_write2_b64 v125, v[69:70], v[71:72] offset0:40 offset1:41
	buffer_load_dword v69, off, s[20:23], 0 offset:48 ; 4-byte Folded Reload
	buffer_load_dword v70, off, s[20:23], 0 offset:52 ; 4-byte Folded Reload
	buffer_load_dword v71, off, s[20:23], 0 offset:56 ; 4-byte Folded Reload
	buffer_load_dword v72, off, s[20:23], 0 offset:60 ; 4-byte Folded Reload
	s_waitcnt vmcnt(0)
	ds_write2_b64 v125, v[69:70], v[71:72] offset0:42 offset1:43
	ds_write2_b64 v125, v[121:122], v[123:124] offset0:44 offset1:45
	ds_write2_b64 v125, v[117:118], v[119:120] offset0:46 offset1:47
	;; [unrolled: 1-line block ×5, first 2 shown]
	buffer_load_dword v77, off, s[20:23], 0 offset:32 ; 4-byte Folded Reload
	buffer_load_dword v78, off, s[20:23], 0 offset:36 ; 4-byte Folded Reload
	;; [unrolled: 1-line block ×4, first 2 shown]
	v_mov_b32_e32 v69, v73
	v_mov_b32_e32 v70, v74
	;; [unrolled: 1-line block ×4, first 2 shown]
	s_waitcnt vmcnt(0)
	ds_write2_b64 v125, v[77:78], v[79:80] offset0:54 offset1:55
	buffer_load_dword v73, off, s[20:23], 0 offset:16 ; 4-byte Folded Reload
	buffer_load_dword v74, off, s[20:23], 0 offset:20 ; 4-byte Folded Reload
	;; [unrolled: 1-line block ×4, first 2 shown]
	s_waitcnt vmcnt(0)
	ds_write2_b64 v125, v[73:74], v[75:76] offset0:56 offset1:57
	v_mov_b32_e32 v76, v72
	v_mov_b32_e32 v75, v71
	;; [unrolled: 1-line block ×4, first 2 shown]
	buffer_load_dword v69, off, s[20:23], 0 ; 4-byte Folded Reload
	buffer_load_dword v70, off, s[20:23], 0 offset:4 ; 4-byte Folded Reload
	buffer_load_dword v71, off, s[20:23], 0 offset:8 ; 4-byte Folded Reload
	;; [unrolled: 1-line block ×3, first 2 shown]
	s_waitcnt vmcnt(0)
	ds_write2_b64 v125, v[69:70], v[71:72] offset0:58 offset1:59
	ds_write2_b64 v125, v[65:66], v[67:68] offset0:60 offset1:61
	;; [unrolled: 1-line block ×19, first 2 shown]
	ds_read2_b64 v[97:100], v127 offset1:1
	s_waitcnt lgkmcnt(0)
	v_cmp_neq_f64_e32 vcc, 0, v[97:98]
	v_cmp_neq_f64_e64 s[2:3], 0, v[99:100]
	s_or_b64 s[2:3], vcc, s[2:3]
	s_and_b64 exec, exec, s[2:3]
	s_cbranch_execz .LBB95_35
; %bb.30:
	v_cmp_ngt_f64_e64 s[2:3], |v[97:98]|, |v[99:100]|
                                        ; implicit-def: $vgpr101_vgpr102
	s_and_saveexec_b64 s[6:7], s[2:3]
	s_xor_b64 s[2:3], exec, s[6:7]
                                        ; implicit-def: $vgpr103_vgpr104
	s_cbranch_execz .LBB95_32
; %bb.31:
	v_div_scale_f64 v[101:102], s[6:7], v[99:100], v[99:100], v[97:98]
	v_rcp_f64_e32 v[103:104], v[101:102]
	v_fma_f64 v[105:106], -v[101:102], v[103:104], 1.0
	v_fma_f64 v[103:104], v[103:104], v[105:106], v[103:104]
	v_div_scale_f64 v[105:106], vcc, v[97:98], v[99:100], v[97:98]
	v_fma_f64 v[107:108], -v[101:102], v[103:104], 1.0
	v_fma_f64 v[103:104], v[103:104], v[107:108], v[103:104]
	v_mul_f64 v[107:108], v[105:106], v[103:104]
	v_fma_f64 v[101:102], -v[101:102], v[107:108], v[105:106]
	v_div_fmas_f64 v[101:102], v[101:102], v[103:104], v[107:108]
	v_div_fixup_f64 v[101:102], v[101:102], v[99:100], v[97:98]
	v_fma_f64 v[97:98], v[97:98], v[101:102], v[99:100]
	v_div_scale_f64 v[99:100], s[6:7], v[97:98], v[97:98], 1.0
	v_div_scale_f64 v[107:108], vcc, 1.0, v[97:98], 1.0
	v_rcp_f64_e32 v[103:104], v[99:100]
	v_fma_f64 v[105:106], -v[99:100], v[103:104], 1.0
	v_fma_f64 v[103:104], v[103:104], v[105:106], v[103:104]
	v_fma_f64 v[105:106], -v[99:100], v[103:104], 1.0
	v_fma_f64 v[103:104], v[103:104], v[105:106], v[103:104]
	v_mul_f64 v[105:106], v[107:108], v[103:104]
	v_fma_f64 v[99:100], -v[99:100], v[105:106], v[107:108]
	v_div_fmas_f64 v[99:100], v[99:100], v[103:104], v[105:106]
	v_div_fixup_f64 v[103:104], v[99:100], v[97:98], 1.0
                                        ; implicit-def: $vgpr97_vgpr98
	v_mul_f64 v[101:102], v[101:102], v[103:104]
	v_xor_b32_e32 v104, 0x80000000, v104
.LBB95_32:
	s_andn2_saveexec_b64 s[2:3], s[2:3]
	s_cbranch_execz .LBB95_34
; %bb.33:
	v_div_scale_f64 v[101:102], s[6:7], v[97:98], v[97:98], v[99:100]
	v_rcp_f64_e32 v[103:104], v[101:102]
	v_fma_f64 v[105:106], -v[101:102], v[103:104], 1.0
	v_fma_f64 v[103:104], v[103:104], v[105:106], v[103:104]
	v_div_scale_f64 v[105:106], vcc, v[99:100], v[97:98], v[99:100]
	v_fma_f64 v[107:108], -v[101:102], v[103:104], 1.0
	v_fma_f64 v[103:104], v[103:104], v[107:108], v[103:104]
	v_mul_f64 v[107:108], v[105:106], v[103:104]
	v_fma_f64 v[101:102], -v[101:102], v[107:108], v[105:106]
	v_div_fmas_f64 v[101:102], v[101:102], v[103:104], v[107:108]
	v_div_fixup_f64 v[103:104], v[101:102], v[97:98], v[99:100]
	v_fma_f64 v[97:98], v[99:100], v[103:104], v[97:98]
	v_div_scale_f64 v[99:100], s[6:7], v[97:98], v[97:98], 1.0
	v_div_scale_f64 v[107:108], vcc, 1.0, v[97:98], 1.0
	v_rcp_f64_e32 v[101:102], v[99:100]
	v_fma_f64 v[105:106], -v[99:100], v[101:102], 1.0
	v_fma_f64 v[101:102], v[101:102], v[105:106], v[101:102]
	v_fma_f64 v[105:106], -v[99:100], v[101:102], 1.0
	v_fma_f64 v[101:102], v[101:102], v[105:106], v[101:102]
	v_mul_f64 v[105:106], v[107:108], v[101:102]
	v_fma_f64 v[99:100], -v[99:100], v[105:106], v[107:108]
	v_div_fmas_f64 v[99:100], v[99:100], v[101:102], v[105:106]
	v_div_fixup_f64 v[101:102], v[99:100], v[97:98], 1.0
	v_mul_f64 v[103:104], v[103:104], -v[101:102]
.LBB95_34:
	s_or_b64 exec, exec, s[2:3]
	ds_write2_b64 v127, v[101:102], v[103:104] offset1:1
.LBB95_35:
	s_or_b64 exec, exec, s[4:5]
	s_waitcnt lgkmcnt(0)
	s_barrier
	ds_read2_b64 v[69:72], v127 offset1:1
	v_cmp_lt_u32_e32 vcc, 3, v0
	s_waitcnt lgkmcnt(0)
	buffer_store_dword v69, off, s[20:23], 0 offset:824 ; 4-byte Folded Spill
	s_nop 0
	buffer_store_dword v70, off, s[20:23], 0 offset:828 ; 4-byte Folded Spill
	buffer_store_dword v71, off, s[20:23], 0 offset:832 ; 4-byte Folded Spill
	;; [unrolled: 1-line block ×3, first 2 shown]
	s_and_saveexec_b64 s[2:3], vcc
	s_cbranch_execz .LBB95_37
; %bb.36:
	buffer_load_dword v103, off, s[20:23], 0 offset:336 ; 4-byte Folded Reload
	buffer_load_dword v104, off, s[20:23], 0 offset:340 ; 4-byte Folded Reload
	;; [unrolled: 1-line block ×8, first 2 shown]
	s_waitcnt vmcnt(2)
	v_mul_f64 v[99:100], v[69:70], v[105:106]
	s_waitcnt vmcnt(0)
	v_mul_f64 v[97:98], v[71:72], v[105:106]
	v_fma_f64 v[105:106], v[71:72], v[103:104], v[99:100]
	ds_read2_b64 v[99:102], v125 offset0:8 offset1:9
	v_fma_f64 v[97:98], v[69:70], v[103:104], -v[97:98]
	buffer_load_dword v69, off, s[20:23], 0 offset:320 ; 4-byte Folded Reload
	buffer_load_dword v70, off, s[20:23], 0 offset:324 ; 4-byte Folded Reload
	buffer_load_dword v71, off, s[20:23], 0 offset:328 ; 4-byte Folded Reload
	buffer_load_dword v72, off, s[20:23], 0 offset:332 ; 4-byte Folded Reload
	s_waitcnt lgkmcnt(0)
	v_mul_f64 v[103:104], v[101:102], v[105:106]
	v_fma_f64 v[103:104], v[99:100], v[97:98], -v[103:104]
	v_mul_f64 v[99:100], v[99:100], v[105:106]
	v_fma_f64 v[99:100], v[101:102], v[97:98], v[99:100]
	s_waitcnt vmcnt(2)
	v_add_f64 v[69:70], v[69:70], -v[103:104]
	s_waitcnt vmcnt(0)
	v_add_f64 v[71:72], v[71:72], -v[99:100]
	buffer_store_dword v69, off, s[20:23], 0 offset:320 ; 4-byte Folded Spill
	s_nop 0
	buffer_store_dword v70, off, s[20:23], 0 offset:324 ; 4-byte Folded Spill
	buffer_store_dword v71, off, s[20:23], 0 offset:328 ; 4-byte Folded Spill
	buffer_store_dword v72, off, s[20:23], 0 offset:332 ; 4-byte Folded Spill
	ds_read2_b64 v[99:102], v125 offset0:10 offset1:11
	buffer_load_dword v69, off, s[20:23], 0 offset:304 ; 4-byte Folded Reload
	buffer_load_dword v70, off, s[20:23], 0 offset:308 ; 4-byte Folded Reload
	buffer_load_dword v71, off, s[20:23], 0 offset:312 ; 4-byte Folded Reload
	buffer_load_dword v72, off, s[20:23], 0 offset:316 ; 4-byte Folded Reload
	s_waitcnt lgkmcnt(0)
	v_mul_f64 v[103:104], v[101:102], v[105:106]
	v_fma_f64 v[103:104], v[99:100], v[97:98], -v[103:104]
	v_mul_f64 v[99:100], v[99:100], v[105:106]
	v_fma_f64 v[99:100], v[101:102], v[97:98], v[99:100]
	s_waitcnt vmcnt(2)
	v_add_f64 v[69:70], v[69:70], -v[103:104]
	s_waitcnt vmcnt(0)
	v_add_f64 v[71:72], v[71:72], -v[99:100]
	buffer_store_dword v69, off, s[20:23], 0 offset:304 ; 4-byte Folded Spill
	s_nop 0
	buffer_store_dword v70, off, s[20:23], 0 offset:308 ; 4-byte Folded Spill
	buffer_store_dword v71, off, s[20:23], 0 offset:312 ; 4-byte Folded Spill
	buffer_store_dword v72, off, s[20:23], 0 offset:316 ; 4-byte Folded Spill
	ds_read2_b64 v[99:102], v125 offset0:12 offset1:13
	;; [unrolled: 19-line block ×18, first 2 shown]
	v_mov_b32_e32 v69, v73
	v_mov_b32_e32 v70, v74
	;; [unrolled: 1-line block ×4, first 2 shown]
	s_waitcnt lgkmcnt(0)
	v_mul_f64 v[103:104], v[101:102], v[105:106]
	v_fma_f64 v[103:104], v[99:100], v[97:98], -v[103:104]
	v_mul_f64 v[99:100], v[99:100], v[105:106]
	v_add_f64 v[121:122], v[121:122], -v[103:104]
	v_fma_f64 v[99:100], v[101:102], v[97:98], v[99:100]
	v_add_f64 v[123:124], v[123:124], -v[99:100]
	ds_read2_b64 v[99:102], v125 offset0:46 offset1:47
	s_waitcnt lgkmcnt(0)
	v_mul_f64 v[103:104], v[101:102], v[105:106]
	v_fma_f64 v[103:104], v[99:100], v[97:98], -v[103:104]
	v_mul_f64 v[99:100], v[99:100], v[105:106]
	v_add_f64 v[117:118], v[117:118], -v[103:104]
	v_fma_f64 v[99:100], v[101:102], v[97:98], v[99:100]
	v_add_f64 v[119:120], v[119:120], -v[99:100]
	ds_read2_b64 v[99:102], v125 offset0:48 offset1:49
	;; [unrolled: 8-line block ×5, first 2 shown]
	buffer_load_dword v77, off, s[20:23], 0 offset:32 ; 4-byte Folded Reload
	buffer_load_dword v78, off, s[20:23], 0 offset:36 ; 4-byte Folded Reload
	;; [unrolled: 1-line block ×4, first 2 shown]
	s_waitcnt lgkmcnt(0)
	v_mul_f64 v[103:104], v[101:102], v[105:106]
	v_fma_f64 v[103:104], v[99:100], v[97:98], -v[103:104]
	v_mul_f64 v[99:100], v[99:100], v[105:106]
	v_fma_f64 v[99:100], v[101:102], v[97:98], v[99:100]
	s_waitcnt vmcnt(2)
	v_add_f64 v[77:78], v[77:78], -v[103:104]
	s_waitcnt vmcnt(0)
	v_add_f64 v[79:80], v[79:80], -v[99:100]
	buffer_store_dword v77, off, s[20:23], 0 offset:32 ; 4-byte Folded Spill
	s_nop 0
	buffer_store_dword v78, off, s[20:23], 0 offset:36 ; 4-byte Folded Spill
	buffer_store_dword v79, off, s[20:23], 0 offset:40 ; 4-byte Folded Spill
	;; [unrolled: 1-line block ×3, first 2 shown]
	ds_read2_b64 v[99:102], v125 offset0:56 offset1:57
	buffer_load_dword v73, off, s[20:23], 0 offset:16 ; 4-byte Folded Reload
	buffer_load_dword v74, off, s[20:23], 0 offset:20 ; 4-byte Folded Reload
	buffer_load_dword v75, off, s[20:23], 0 offset:24 ; 4-byte Folded Reload
	buffer_load_dword v76, off, s[20:23], 0 offset:28 ; 4-byte Folded Reload
	s_waitcnt lgkmcnt(0)
	v_mul_f64 v[103:104], v[101:102], v[105:106]
	v_fma_f64 v[103:104], v[99:100], v[97:98], -v[103:104]
	v_mul_f64 v[99:100], v[99:100], v[105:106]
	v_fma_f64 v[99:100], v[101:102], v[97:98], v[99:100]
	s_waitcnt vmcnt(2)
	v_add_f64 v[73:74], v[73:74], -v[103:104]
	s_waitcnt vmcnt(0)
	v_add_f64 v[75:76], v[75:76], -v[99:100]
	buffer_store_dword v73, off, s[20:23], 0 offset:16 ; 4-byte Folded Spill
	s_nop 0
	buffer_store_dword v74, off, s[20:23], 0 offset:20 ; 4-byte Folded Spill
	buffer_store_dword v75, off, s[20:23], 0 offset:24 ; 4-byte Folded Spill
	;; [unrolled: 1-line block ×3, first 2 shown]
	v_mov_b32_e32 v76, v72
	v_mov_b32_e32 v75, v71
	;; [unrolled: 1-line block ×4, first 2 shown]
	ds_read2_b64 v[99:102], v125 offset0:58 offset1:59
	buffer_load_dword v69, off, s[20:23], 0 ; 4-byte Folded Reload
	buffer_load_dword v70, off, s[20:23], 0 offset:4 ; 4-byte Folded Reload
	buffer_load_dword v71, off, s[20:23], 0 offset:8 ; 4-byte Folded Reload
	;; [unrolled: 1-line block ×3, first 2 shown]
	s_waitcnt lgkmcnt(0)
	v_mul_f64 v[103:104], v[101:102], v[105:106]
	v_fma_f64 v[103:104], v[99:100], v[97:98], -v[103:104]
	v_mul_f64 v[99:100], v[99:100], v[105:106]
	v_fma_f64 v[99:100], v[101:102], v[97:98], v[99:100]
	s_waitcnt vmcnt(2)
	v_add_f64 v[69:70], v[69:70], -v[103:104]
	s_waitcnt vmcnt(0)
	v_add_f64 v[71:72], v[71:72], -v[99:100]
	buffer_store_dword v69, off, s[20:23], 0 ; 4-byte Folded Spill
	s_nop 0
	buffer_store_dword v70, off, s[20:23], 0 offset:4 ; 4-byte Folded Spill
	buffer_store_dword v71, off, s[20:23], 0 offset:8 ; 4-byte Folded Spill
	;; [unrolled: 1-line block ×3, first 2 shown]
	ds_read2_b64 v[99:102], v125 offset0:60 offset1:61
	s_waitcnt lgkmcnt(0)
	v_mul_f64 v[103:104], v[101:102], v[105:106]
	v_fma_f64 v[103:104], v[99:100], v[97:98], -v[103:104]
	v_mul_f64 v[99:100], v[99:100], v[105:106]
	v_add_f64 v[65:66], v[65:66], -v[103:104]
	v_fma_f64 v[99:100], v[101:102], v[97:98], v[99:100]
	v_add_f64 v[67:68], v[67:68], -v[99:100]
	ds_read2_b64 v[99:102], v125 offset0:62 offset1:63
	s_waitcnt lgkmcnt(0)
	v_mul_f64 v[103:104], v[101:102], v[105:106]
	v_fma_f64 v[103:104], v[99:100], v[97:98], -v[103:104]
	v_mul_f64 v[99:100], v[99:100], v[105:106]
	v_add_f64 v[61:62], v[61:62], -v[103:104]
	v_fma_f64 v[99:100], v[101:102], v[97:98], v[99:100]
	v_add_f64 v[63:64], v[63:64], -v[99:100]
	ds_read2_b64 v[99:102], v125 offset0:64 offset1:65
	s_waitcnt lgkmcnt(0)
	v_mul_f64 v[103:104], v[101:102], v[105:106]
	v_fma_f64 v[103:104], v[99:100], v[97:98], -v[103:104]
	v_mul_f64 v[99:100], v[99:100], v[105:106]
	v_add_f64 v[57:58], v[57:58], -v[103:104]
	v_fma_f64 v[99:100], v[101:102], v[97:98], v[99:100]
	v_add_f64 v[59:60], v[59:60], -v[99:100]
	ds_read2_b64 v[99:102], v125 offset0:66 offset1:67
	s_waitcnt lgkmcnt(0)
	v_mul_f64 v[103:104], v[101:102], v[105:106]
	v_fma_f64 v[103:104], v[99:100], v[97:98], -v[103:104]
	v_mul_f64 v[99:100], v[99:100], v[105:106]
	v_add_f64 v[53:54], v[53:54], -v[103:104]
	v_fma_f64 v[99:100], v[101:102], v[97:98], v[99:100]
	v_add_f64 v[55:56], v[55:56], -v[99:100]
	ds_read2_b64 v[99:102], v125 offset0:68 offset1:69
	s_waitcnt lgkmcnt(0)
	v_mul_f64 v[103:104], v[101:102], v[105:106]
	v_fma_f64 v[103:104], v[99:100], v[97:98], -v[103:104]
	v_mul_f64 v[99:100], v[99:100], v[105:106]
	v_add_f64 v[49:50], v[49:50], -v[103:104]
	v_fma_f64 v[99:100], v[101:102], v[97:98], v[99:100]
	v_add_f64 v[51:52], v[51:52], -v[99:100]
	ds_read2_b64 v[99:102], v125 offset0:70 offset1:71
	s_waitcnt lgkmcnt(0)
	v_mul_f64 v[103:104], v[101:102], v[105:106]
	v_fma_f64 v[103:104], v[99:100], v[97:98], -v[103:104]
	v_mul_f64 v[99:100], v[99:100], v[105:106]
	v_add_f64 v[45:46], v[45:46], -v[103:104]
	v_fma_f64 v[99:100], v[101:102], v[97:98], v[99:100]
	v_add_f64 v[47:48], v[47:48], -v[99:100]
	ds_read2_b64 v[99:102], v125 offset0:72 offset1:73
	s_waitcnt lgkmcnt(0)
	v_mul_f64 v[103:104], v[101:102], v[105:106]
	v_fma_f64 v[103:104], v[99:100], v[97:98], -v[103:104]
	v_mul_f64 v[99:100], v[99:100], v[105:106]
	v_add_f64 v[41:42], v[41:42], -v[103:104]
	v_fma_f64 v[99:100], v[101:102], v[97:98], v[99:100]
	v_add_f64 v[43:44], v[43:44], -v[99:100]
	ds_read2_b64 v[99:102], v125 offset0:74 offset1:75
	s_waitcnt lgkmcnt(0)
	v_mul_f64 v[103:104], v[101:102], v[105:106]
	v_fma_f64 v[103:104], v[99:100], v[97:98], -v[103:104]
	v_mul_f64 v[99:100], v[99:100], v[105:106]
	v_add_f64 v[37:38], v[37:38], -v[103:104]
	v_fma_f64 v[99:100], v[101:102], v[97:98], v[99:100]
	v_add_f64 v[39:40], v[39:40], -v[99:100]
	ds_read2_b64 v[99:102], v125 offset0:76 offset1:77
	s_waitcnt lgkmcnt(0)
	v_mul_f64 v[103:104], v[101:102], v[105:106]
	v_fma_f64 v[103:104], v[99:100], v[97:98], -v[103:104]
	v_mul_f64 v[99:100], v[99:100], v[105:106]
	v_add_f64 v[33:34], v[33:34], -v[103:104]
	v_fma_f64 v[99:100], v[101:102], v[97:98], v[99:100]
	v_add_f64 v[35:36], v[35:36], -v[99:100]
	ds_read2_b64 v[99:102], v125 offset0:78 offset1:79
	s_waitcnt lgkmcnt(0)
	v_mul_f64 v[103:104], v[101:102], v[105:106]
	v_fma_f64 v[103:104], v[99:100], v[97:98], -v[103:104]
	v_mul_f64 v[99:100], v[99:100], v[105:106]
	v_add_f64 v[29:30], v[29:30], -v[103:104]
	v_fma_f64 v[99:100], v[101:102], v[97:98], v[99:100]
	v_add_f64 v[31:32], v[31:32], -v[99:100]
	ds_read2_b64 v[99:102], v125 offset0:80 offset1:81
	s_waitcnt lgkmcnt(0)
	v_mul_f64 v[103:104], v[101:102], v[105:106]
	v_fma_f64 v[103:104], v[99:100], v[97:98], -v[103:104]
	v_mul_f64 v[99:100], v[99:100], v[105:106]
	v_add_f64 v[25:26], v[25:26], -v[103:104]
	v_fma_f64 v[99:100], v[101:102], v[97:98], v[99:100]
	v_add_f64 v[27:28], v[27:28], -v[99:100]
	ds_read2_b64 v[99:102], v125 offset0:82 offset1:83
	s_waitcnt lgkmcnt(0)
	v_mul_f64 v[103:104], v[101:102], v[105:106]
	v_fma_f64 v[103:104], v[99:100], v[97:98], -v[103:104]
	v_mul_f64 v[99:100], v[99:100], v[105:106]
	v_add_f64 v[21:22], v[21:22], -v[103:104]
	v_fma_f64 v[99:100], v[101:102], v[97:98], v[99:100]
	v_add_f64 v[23:24], v[23:24], -v[99:100]
	ds_read2_b64 v[99:102], v125 offset0:84 offset1:85
	s_waitcnt lgkmcnt(0)
	v_mul_f64 v[103:104], v[101:102], v[105:106]
	v_fma_f64 v[103:104], v[99:100], v[97:98], -v[103:104]
	v_mul_f64 v[99:100], v[99:100], v[105:106]
	v_add_f64 v[17:18], v[17:18], -v[103:104]
	v_fma_f64 v[99:100], v[101:102], v[97:98], v[99:100]
	v_add_f64 v[19:20], v[19:20], -v[99:100]
	ds_read2_b64 v[99:102], v125 offset0:86 offset1:87
	s_waitcnt lgkmcnt(0)
	v_mul_f64 v[103:104], v[101:102], v[105:106]
	v_fma_f64 v[103:104], v[99:100], v[97:98], -v[103:104]
	v_mul_f64 v[99:100], v[99:100], v[105:106]
	v_add_f64 v[13:14], v[13:14], -v[103:104]
	v_fma_f64 v[99:100], v[101:102], v[97:98], v[99:100]
	v_add_f64 v[15:16], v[15:16], -v[99:100]
	ds_read2_b64 v[99:102], v125 offset0:88 offset1:89
	s_waitcnt lgkmcnt(0)
	v_mul_f64 v[103:104], v[101:102], v[105:106]
	v_fma_f64 v[103:104], v[99:100], v[97:98], -v[103:104]
	v_mul_f64 v[99:100], v[99:100], v[105:106]
	v_add_f64 v[9:10], v[9:10], -v[103:104]
	v_fma_f64 v[99:100], v[101:102], v[97:98], v[99:100]
	v_add_f64 v[11:12], v[11:12], -v[99:100]
	ds_read2_b64 v[99:102], v125 offset0:90 offset1:91
	s_waitcnt lgkmcnt(0)
	v_mul_f64 v[103:104], v[101:102], v[105:106]
	v_fma_f64 v[103:104], v[99:100], v[97:98], -v[103:104]
	v_mul_f64 v[99:100], v[99:100], v[105:106]
	v_add_f64 v[5:6], v[5:6], -v[103:104]
	v_fma_f64 v[99:100], v[101:102], v[97:98], v[99:100]
	v_add_f64 v[7:8], v[7:8], -v[99:100]
	ds_read2_b64 v[99:102], v125 offset0:92 offset1:93
	s_waitcnt lgkmcnt(0)
	v_mul_f64 v[103:104], v[101:102], v[105:106]
	v_fma_f64 v[103:104], v[99:100], v[97:98], -v[103:104]
	v_mul_f64 v[99:100], v[99:100], v[105:106]
	v_add_f64 v[1:2], v[1:2], -v[103:104]
	v_fma_f64 v[99:100], v[101:102], v[97:98], v[99:100]
	ds_read2_b64 v[101:104], v125 offset0:94 offset1:95
	v_add_f64 v[3:4], v[3:4], -v[99:100]
	s_waitcnt lgkmcnt(0)
	v_mul_f64 v[99:100], v[103:104], v[105:106]
	v_fma_f64 v[99:100], v[101:102], v[97:98], -v[99:100]
	v_mul_f64 v[101:102], v[101:102], v[105:106]
	v_add_f64 v[73:74], v[73:74], -v[99:100]
	v_fma_f64 v[101:102], v[103:104], v[97:98], v[101:102]
	v_mov_b32_e32 v104, v98
	v_mov_b32_e32 v103, v97
	buffer_store_dword v103, off, s[20:23], 0 offset:336 ; 4-byte Folded Spill
	s_nop 0
	buffer_store_dword v104, off, s[20:23], 0 offset:340 ; 4-byte Folded Spill
	buffer_store_dword v105, off, s[20:23], 0 offset:344 ; 4-byte Folded Spill
	;; [unrolled: 1-line block ×3, first 2 shown]
	v_add_f64 v[75:76], v[75:76], -v[101:102]
.LBB95_37:
	s_or_b64 exec, exec, s[2:3]
	v_cmp_eq_u32_e32 vcc, 4, v0
	s_waitcnt vmcnt(0)
	s_barrier
	s_and_saveexec_b64 s[4:5], vcc
	s_cbranch_execz .LBB95_44
; %bb.38:
	buffer_load_dword v69, off, s[20:23], 0 offset:320 ; 4-byte Folded Reload
	buffer_load_dword v70, off, s[20:23], 0 offset:324 ; 4-byte Folded Reload
	;; [unrolled: 1-line block ×4, first 2 shown]
	s_waitcnt vmcnt(0)
	ds_write2_b64 v127, v[69:70], v[71:72] offset1:1
	buffer_load_dword v69, off, s[20:23], 0 offset:304 ; 4-byte Folded Reload
	buffer_load_dword v70, off, s[20:23], 0 offset:308 ; 4-byte Folded Reload
	buffer_load_dword v71, off, s[20:23], 0 offset:312 ; 4-byte Folded Reload
	buffer_load_dword v72, off, s[20:23], 0 offset:316 ; 4-byte Folded Reload
	s_waitcnt vmcnt(0)
	ds_write2_b64 v125, v[69:70], v[71:72] offset0:10 offset1:11
	buffer_load_dword v69, off, s[20:23], 0 offset:288 ; 4-byte Folded Reload
	buffer_load_dword v70, off, s[20:23], 0 offset:292 ; 4-byte Folded Reload
	buffer_load_dword v71, off, s[20:23], 0 offset:296 ; 4-byte Folded Reload
	buffer_load_dword v72, off, s[20:23], 0 offset:300 ; 4-byte Folded Reload
	s_waitcnt vmcnt(0)
	ds_write2_b64 v125, v[69:70], v[71:72] offset0:12 offset1:13
	buffer_load_dword v69, off, s[20:23], 0 offset:272 ; 4-byte Folded Reload
	buffer_load_dword v70, off, s[20:23], 0 offset:276 ; 4-byte Folded Reload
	buffer_load_dword v71, off, s[20:23], 0 offset:280 ; 4-byte Folded Reload
	buffer_load_dword v72, off, s[20:23], 0 offset:284 ; 4-byte Folded Reload
	s_waitcnt vmcnt(0)
	ds_write2_b64 v125, v[69:70], v[71:72] offset0:14 offset1:15
	buffer_load_dword v69, off, s[20:23], 0 offset:256 ; 4-byte Folded Reload
	buffer_load_dword v70, off, s[20:23], 0 offset:260 ; 4-byte Folded Reload
	buffer_load_dword v71, off, s[20:23], 0 offset:264 ; 4-byte Folded Reload
	buffer_load_dword v72, off, s[20:23], 0 offset:268 ; 4-byte Folded Reload
	s_waitcnt vmcnt(0)
	ds_write2_b64 v125, v[69:70], v[71:72] offset0:16 offset1:17
	buffer_load_dword v69, off, s[20:23], 0 offset:240 ; 4-byte Folded Reload
	buffer_load_dword v70, off, s[20:23], 0 offset:244 ; 4-byte Folded Reload
	buffer_load_dword v71, off, s[20:23], 0 offset:248 ; 4-byte Folded Reload
	buffer_load_dword v72, off, s[20:23], 0 offset:252 ; 4-byte Folded Reload
	s_waitcnt vmcnt(0)
	ds_write2_b64 v125, v[69:70], v[71:72] offset0:18 offset1:19
	buffer_load_dword v69, off, s[20:23], 0 offset:224 ; 4-byte Folded Reload
	buffer_load_dword v70, off, s[20:23], 0 offset:228 ; 4-byte Folded Reload
	buffer_load_dword v71, off, s[20:23], 0 offset:232 ; 4-byte Folded Reload
	buffer_load_dword v72, off, s[20:23], 0 offset:236 ; 4-byte Folded Reload
	s_waitcnt vmcnt(0)
	ds_write2_b64 v125, v[69:70], v[71:72] offset0:20 offset1:21
	buffer_load_dword v69, off, s[20:23], 0 offset:208 ; 4-byte Folded Reload
	buffer_load_dword v70, off, s[20:23], 0 offset:212 ; 4-byte Folded Reload
	buffer_load_dword v71, off, s[20:23], 0 offset:216 ; 4-byte Folded Reload
	buffer_load_dword v72, off, s[20:23], 0 offset:220 ; 4-byte Folded Reload
	s_waitcnt vmcnt(0)
	ds_write2_b64 v125, v[69:70], v[71:72] offset0:22 offset1:23
	buffer_load_dword v69, off, s[20:23], 0 offset:192 ; 4-byte Folded Reload
	buffer_load_dword v70, off, s[20:23], 0 offset:196 ; 4-byte Folded Reload
	buffer_load_dword v71, off, s[20:23], 0 offset:200 ; 4-byte Folded Reload
	buffer_load_dword v72, off, s[20:23], 0 offset:204 ; 4-byte Folded Reload
	s_waitcnt vmcnt(0)
	ds_write2_b64 v125, v[69:70], v[71:72] offset0:24 offset1:25
	buffer_load_dword v69, off, s[20:23], 0 offset:176 ; 4-byte Folded Reload
	buffer_load_dword v70, off, s[20:23], 0 offset:180 ; 4-byte Folded Reload
	buffer_load_dword v71, off, s[20:23], 0 offset:184 ; 4-byte Folded Reload
	buffer_load_dword v72, off, s[20:23], 0 offset:188 ; 4-byte Folded Reload
	s_waitcnt vmcnt(0)
	ds_write2_b64 v125, v[69:70], v[71:72] offset0:26 offset1:27
	buffer_load_dword v69, off, s[20:23], 0 offset:160 ; 4-byte Folded Reload
	buffer_load_dword v70, off, s[20:23], 0 offset:164 ; 4-byte Folded Reload
	buffer_load_dword v71, off, s[20:23], 0 offset:168 ; 4-byte Folded Reload
	buffer_load_dword v72, off, s[20:23], 0 offset:172 ; 4-byte Folded Reload
	s_waitcnt vmcnt(0)
	ds_write2_b64 v125, v[69:70], v[71:72] offset0:28 offset1:29
	buffer_load_dword v69, off, s[20:23], 0 offset:144 ; 4-byte Folded Reload
	buffer_load_dword v70, off, s[20:23], 0 offset:148 ; 4-byte Folded Reload
	buffer_load_dword v71, off, s[20:23], 0 offset:152 ; 4-byte Folded Reload
	buffer_load_dword v72, off, s[20:23], 0 offset:156 ; 4-byte Folded Reload
	s_waitcnt vmcnt(0)
	ds_write2_b64 v125, v[69:70], v[71:72] offset0:30 offset1:31
	buffer_load_dword v69, off, s[20:23], 0 offset:128 ; 4-byte Folded Reload
	buffer_load_dword v70, off, s[20:23], 0 offset:132 ; 4-byte Folded Reload
	buffer_load_dword v71, off, s[20:23], 0 offset:136 ; 4-byte Folded Reload
	buffer_load_dword v72, off, s[20:23], 0 offset:140 ; 4-byte Folded Reload
	s_waitcnt vmcnt(0)
	ds_write2_b64 v125, v[69:70], v[71:72] offset0:32 offset1:33
	buffer_load_dword v69, off, s[20:23], 0 offset:112 ; 4-byte Folded Reload
	buffer_load_dword v70, off, s[20:23], 0 offset:116 ; 4-byte Folded Reload
	buffer_load_dword v71, off, s[20:23], 0 offset:120 ; 4-byte Folded Reload
	buffer_load_dword v72, off, s[20:23], 0 offset:124 ; 4-byte Folded Reload
	s_waitcnt vmcnt(0)
	ds_write2_b64 v125, v[69:70], v[71:72] offset0:34 offset1:35
	buffer_load_dword v69, off, s[20:23], 0 offset:96 ; 4-byte Folded Reload
	buffer_load_dword v70, off, s[20:23], 0 offset:100 ; 4-byte Folded Reload
	buffer_load_dword v71, off, s[20:23], 0 offset:104 ; 4-byte Folded Reload
	buffer_load_dword v72, off, s[20:23], 0 offset:108 ; 4-byte Folded Reload
	s_waitcnt vmcnt(0)
	ds_write2_b64 v125, v[69:70], v[71:72] offset0:36 offset1:37
	buffer_load_dword v69, off, s[20:23], 0 offset:80 ; 4-byte Folded Reload
	buffer_load_dword v70, off, s[20:23], 0 offset:84 ; 4-byte Folded Reload
	buffer_load_dword v71, off, s[20:23], 0 offset:88 ; 4-byte Folded Reload
	buffer_load_dword v72, off, s[20:23], 0 offset:92 ; 4-byte Folded Reload
	s_waitcnt vmcnt(0)
	ds_write2_b64 v125, v[69:70], v[71:72] offset0:38 offset1:39
	buffer_load_dword v69, off, s[20:23], 0 offset:64 ; 4-byte Folded Reload
	buffer_load_dword v70, off, s[20:23], 0 offset:68 ; 4-byte Folded Reload
	buffer_load_dword v71, off, s[20:23], 0 offset:72 ; 4-byte Folded Reload
	buffer_load_dword v72, off, s[20:23], 0 offset:76 ; 4-byte Folded Reload
	s_waitcnt vmcnt(0)
	ds_write2_b64 v125, v[69:70], v[71:72] offset0:40 offset1:41
	buffer_load_dword v69, off, s[20:23], 0 offset:48 ; 4-byte Folded Reload
	buffer_load_dword v70, off, s[20:23], 0 offset:52 ; 4-byte Folded Reload
	buffer_load_dword v71, off, s[20:23], 0 offset:56 ; 4-byte Folded Reload
	buffer_load_dword v72, off, s[20:23], 0 offset:60 ; 4-byte Folded Reload
	s_waitcnt vmcnt(0)
	ds_write2_b64 v125, v[69:70], v[71:72] offset0:42 offset1:43
	ds_write2_b64 v125, v[121:122], v[123:124] offset0:44 offset1:45
	ds_write2_b64 v125, v[117:118], v[119:120] offset0:46 offset1:47
	;; [unrolled: 1-line block ×5, first 2 shown]
	buffer_load_dword v77, off, s[20:23], 0 offset:32 ; 4-byte Folded Reload
	buffer_load_dword v78, off, s[20:23], 0 offset:36 ; 4-byte Folded Reload
	;; [unrolled: 1-line block ×4, first 2 shown]
	v_mov_b32_e32 v69, v73
	v_mov_b32_e32 v70, v74
	v_mov_b32_e32 v71, v75
	v_mov_b32_e32 v72, v76
	s_waitcnt vmcnt(0)
	ds_write2_b64 v125, v[77:78], v[79:80] offset0:54 offset1:55
	buffer_load_dword v73, off, s[20:23], 0 offset:16 ; 4-byte Folded Reload
	buffer_load_dword v74, off, s[20:23], 0 offset:20 ; 4-byte Folded Reload
	;; [unrolled: 1-line block ×4, first 2 shown]
	s_waitcnt vmcnt(0)
	ds_write2_b64 v125, v[73:74], v[75:76] offset0:56 offset1:57
	v_mov_b32_e32 v76, v72
	v_mov_b32_e32 v75, v71
	;; [unrolled: 1-line block ×4, first 2 shown]
	buffer_load_dword v69, off, s[20:23], 0 ; 4-byte Folded Reload
	buffer_load_dword v70, off, s[20:23], 0 offset:4 ; 4-byte Folded Reload
	buffer_load_dword v71, off, s[20:23], 0 offset:8 ; 4-byte Folded Reload
	;; [unrolled: 1-line block ×3, first 2 shown]
	s_waitcnt vmcnt(0)
	ds_write2_b64 v125, v[69:70], v[71:72] offset0:58 offset1:59
	ds_write2_b64 v125, v[65:66], v[67:68] offset0:60 offset1:61
	;; [unrolled: 1-line block ×19, first 2 shown]
	ds_read2_b64 v[97:100], v127 offset1:1
	s_waitcnt lgkmcnt(0)
	v_cmp_neq_f64_e32 vcc, 0, v[97:98]
	v_cmp_neq_f64_e64 s[2:3], 0, v[99:100]
	s_or_b64 s[2:3], vcc, s[2:3]
	s_and_b64 exec, exec, s[2:3]
	s_cbranch_execz .LBB95_44
; %bb.39:
	v_cmp_ngt_f64_e64 s[2:3], |v[97:98]|, |v[99:100]|
                                        ; implicit-def: $vgpr101_vgpr102
	s_and_saveexec_b64 s[6:7], s[2:3]
	s_xor_b64 s[2:3], exec, s[6:7]
                                        ; implicit-def: $vgpr103_vgpr104
	s_cbranch_execz .LBB95_41
; %bb.40:
	v_div_scale_f64 v[101:102], s[6:7], v[99:100], v[99:100], v[97:98]
	v_rcp_f64_e32 v[103:104], v[101:102]
	v_fma_f64 v[105:106], -v[101:102], v[103:104], 1.0
	v_fma_f64 v[103:104], v[103:104], v[105:106], v[103:104]
	v_div_scale_f64 v[105:106], vcc, v[97:98], v[99:100], v[97:98]
	v_fma_f64 v[107:108], -v[101:102], v[103:104], 1.0
	v_fma_f64 v[103:104], v[103:104], v[107:108], v[103:104]
	v_mul_f64 v[107:108], v[105:106], v[103:104]
	v_fma_f64 v[101:102], -v[101:102], v[107:108], v[105:106]
	v_div_fmas_f64 v[101:102], v[101:102], v[103:104], v[107:108]
	v_div_fixup_f64 v[101:102], v[101:102], v[99:100], v[97:98]
	v_fma_f64 v[97:98], v[97:98], v[101:102], v[99:100]
	v_div_scale_f64 v[99:100], s[6:7], v[97:98], v[97:98], 1.0
	v_div_scale_f64 v[107:108], vcc, 1.0, v[97:98], 1.0
	v_rcp_f64_e32 v[103:104], v[99:100]
	v_fma_f64 v[105:106], -v[99:100], v[103:104], 1.0
	v_fma_f64 v[103:104], v[103:104], v[105:106], v[103:104]
	v_fma_f64 v[105:106], -v[99:100], v[103:104], 1.0
	v_fma_f64 v[103:104], v[103:104], v[105:106], v[103:104]
	v_mul_f64 v[105:106], v[107:108], v[103:104]
	v_fma_f64 v[99:100], -v[99:100], v[105:106], v[107:108]
	v_div_fmas_f64 v[99:100], v[99:100], v[103:104], v[105:106]
	v_div_fixup_f64 v[103:104], v[99:100], v[97:98], 1.0
                                        ; implicit-def: $vgpr97_vgpr98
	v_mul_f64 v[101:102], v[101:102], v[103:104]
	v_xor_b32_e32 v104, 0x80000000, v104
.LBB95_41:
	s_andn2_saveexec_b64 s[2:3], s[2:3]
	s_cbranch_execz .LBB95_43
; %bb.42:
	v_div_scale_f64 v[101:102], s[6:7], v[97:98], v[97:98], v[99:100]
	v_rcp_f64_e32 v[103:104], v[101:102]
	v_fma_f64 v[105:106], -v[101:102], v[103:104], 1.0
	v_fma_f64 v[103:104], v[103:104], v[105:106], v[103:104]
	v_div_scale_f64 v[105:106], vcc, v[99:100], v[97:98], v[99:100]
	v_fma_f64 v[107:108], -v[101:102], v[103:104], 1.0
	v_fma_f64 v[103:104], v[103:104], v[107:108], v[103:104]
	v_mul_f64 v[107:108], v[105:106], v[103:104]
	v_fma_f64 v[101:102], -v[101:102], v[107:108], v[105:106]
	v_div_fmas_f64 v[101:102], v[101:102], v[103:104], v[107:108]
	v_div_fixup_f64 v[103:104], v[101:102], v[97:98], v[99:100]
	v_fma_f64 v[97:98], v[99:100], v[103:104], v[97:98]
	v_div_scale_f64 v[99:100], s[6:7], v[97:98], v[97:98], 1.0
	v_div_scale_f64 v[107:108], vcc, 1.0, v[97:98], 1.0
	v_rcp_f64_e32 v[101:102], v[99:100]
	v_fma_f64 v[105:106], -v[99:100], v[101:102], 1.0
	v_fma_f64 v[101:102], v[101:102], v[105:106], v[101:102]
	v_fma_f64 v[105:106], -v[99:100], v[101:102], 1.0
	v_fma_f64 v[101:102], v[101:102], v[105:106], v[101:102]
	v_mul_f64 v[105:106], v[107:108], v[101:102]
	v_fma_f64 v[99:100], -v[99:100], v[105:106], v[107:108]
	v_div_fmas_f64 v[99:100], v[99:100], v[101:102], v[105:106]
	v_div_fixup_f64 v[101:102], v[99:100], v[97:98], 1.0
	v_mul_f64 v[103:104], v[103:104], -v[101:102]
.LBB95_43:
	s_or_b64 exec, exec, s[2:3]
	ds_write2_b64 v127, v[101:102], v[103:104] offset1:1
.LBB95_44:
	s_or_b64 exec, exec, s[4:5]
	s_waitcnt lgkmcnt(0)
	s_barrier
	ds_read2_b64 v[69:72], v127 offset1:1
	v_cmp_lt_u32_e32 vcc, 4, v0
	s_waitcnt lgkmcnt(0)
	buffer_store_dword v69, off, s[20:23], 0 offset:840 ; 4-byte Folded Spill
	s_nop 0
	buffer_store_dword v70, off, s[20:23], 0 offset:844 ; 4-byte Folded Spill
	buffer_store_dword v71, off, s[20:23], 0 offset:848 ; 4-byte Folded Spill
	;; [unrolled: 1-line block ×3, first 2 shown]
	s_and_saveexec_b64 s[2:3], vcc
	s_cbranch_execz .LBB95_46
; %bb.45:
	buffer_load_dword v103, off, s[20:23], 0 offset:320 ; 4-byte Folded Reload
	buffer_load_dword v104, off, s[20:23], 0 offset:324 ; 4-byte Folded Reload
	;; [unrolled: 1-line block ×8, first 2 shown]
	s_waitcnt vmcnt(2)
	v_mul_f64 v[99:100], v[69:70], v[105:106]
	s_waitcnt vmcnt(0)
	v_mul_f64 v[97:98], v[71:72], v[105:106]
	v_fma_f64 v[105:106], v[71:72], v[103:104], v[99:100]
	ds_read2_b64 v[99:102], v125 offset0:10 offset1:11
	v_fma_f64 v[97:98], v[69:70], v[103:104], -v[97:98]
	buffer_load_dword v69, off, s[20:23], 0 offset:304 ; 4-byte Folded Reload
	buffer_load_dword v70, off, s[20:23], 0 offset:308 ; 4-byte Folded Reload
	buffer_load_dword v71, off, s[20:23], 0 offset:312 ; 4-byte Folded Reload
	buffer_load_dword v72, off, s[20:23], 0 offset:316 ; 4-byte Folded Reload
	s_waitcnt lgkmcnt(0)
	v_mul_f64 v[103:104], v[101:102], v[105:106]
	v_fma_f64 v[103:104], v[99:100], v[97:98], -v[103:104]
	v_mul_f64 v[99:100], v[99:100], v[105:106]
	v_fma_f64 v[99:100], v[101:102], v[97:98], v[99:100]
	s_waitcnt vmcnt(2)
	v_add_f64 v[69:70], v[69:70], -v[103:104]
	s_waitcnt vmcnt(0)
	v_add_f64 v[71:72], v[71:72], -v[99:100]
	buffer_store_dword v69, off, s[20:23], 0 offset:304 ; 4-byte Folded Spill
	s_nop 0
	buffer_store_dword v70, off, s[20:23], 0 offset:308 ; 4-byte Folded Spill
	buffer_store_dword v71, off, s[20:23], 0 offset:312 ; 4-byte Folded Spill
	buffer_store_dword v72, off, s[20:23], 0 offset:316 ; 4-byte Folded Spill
	ds_read2_b64 v[99:102], v125 offset0:12 offset1:13
	buffer_load_dword v69, off, s[20:23], 0 offset:288 ; 4-byte Folded Reload
	buffer_load_dword v70, off, s[20:23], 0 offset:292 ; 4-byte Folded Reload
	buffer_load_dword v71, off, s[20:23], 0 offset:296 ; 4-byte Folded Reload
	buffer_load_dword v72, off, s[20:23], 0 offset:300 ; 4-byte Folded Reload
	s_waitcnt lgkmcnt(0)
	v_mul_f64 v[103:104], v[101:102], v[105:106]
	v_fma_f64 v[103:104], v[99:100], v[97:98], -v[103:104]
	v_mul_f64 v[99:100], v[99:100], v[105:106]
	v_fma_f64 v[99:100], v[101:102], v[97:98], v[99:100]
	s_waitcnt vmcnt(2)
	v_add_f64 v[69:70], v[69:70], -v[103:104]
	s_waitcnt vmcnt(0)
	v_add_f64 v[71:72], v[71:72], -v[99:100]
	buffer_store_dword v69, off, s[20:23], 0 offset:288 ; 4-byte Folded Spill
	s_nop 0
	buffer_store_dword v70, off, s[20:23], 0 offset:292 ; 4-byte Folded Spill
	buffer_store_dword v71, off, s[20:23], 0 offset:296 ; 4-byte Folded Spill
	buffer_store_dword v72, off, s[20:23], 0 offset:300 ; 4-byte Folded Spill
	ds_read2_b64 v[99:102], v125 offset0:14 offset1:15
	;; [unrolled: 19-line block ×17, first 2 shown]
	v_mov_b32_e32 v69, v73
	v_mov_b32_e32 v70, v74
	;; [unrolled: 1-line block ×4, first 2 shown]
	s_waitcnt lgkmcnt(0)
	v_mul_f64 v[103:104], v[101:102], v[105:106]
	v_fma_f64 v[103:104], v[99:100], v[97:98], -v[103:104]
	v_mul_f64 v[99:100], v[99:100], v[105:106]
	v_add_f64 v[121:122], v[121:122], -v[103:104]
	v_fma_f64 v[99:100], v[101:102], v[97:98], v[99:100]
	v_add_f64 v[123:124], v[123:124], -v[99:100]
	ds_read2_b64 v[99:102], v125 offset0:46 offset1:47
	s_waitcnt lgkmcnt(0)
	v_mul_f64 v[103:104], v[101:102], v[105:106]
	v_fma_f64 v[103:104], v[99:100], v[97:98], -v[103:104]
	v_mul_f64 v[99:100], v[99:100], v[105:106]
	v_add_f64 v[117:118], v[117:118], -v[103:104]
	v_fma_f64 v[99:100], v[101:102], v[97:98], v[99:100]
	v_add_f64 v[119:120], v[119:120], -v[99:100]
	ds_read2_b64 v[99:102], v125 offset0:48 offset1:49
	;; [unrolled: 8-line block ×5, first 2 shown]
	buffer_load_dword v77, off, s[20:23], 0 offset:32 ; 4-byte Folded Reload
	buffer_load_dword v78, off, s[20:23], 0 offset:36 ; 4-byte Folded Reload
	;; [unrolled: 1-line block ×4, first 2 shown]
	s_waitcnt lgkmcnt(0)
	v_mul_f64 v[103:104], v[101:102], v[105:106]
	v_fma_f64 v[103:104], v[99:100], v[97:98], -v[103:104]
	v_mul_f64 v[99:100], v[99:100], v[105:106]
	v_fma_f64 v[99:100], v[101:102], v[97:98], v[99:100]
	s_waitcnt vmcnt(2)
	v_add_f64 v[77:78], v[77:78], -v[103:104]
	s_waitcnt vmcnt(0)
	v_add_f64 v[79:80], v[79:80], -v[99:100]
	buffer_store_dword v77, off, s[20:23], 0 offset:32 ; 4-byte Folded Spill
	s_nop 0
	buffer_store_dword v78, off, s[20:23], 0 offset:36 ; 4-byte Folded Spill
	buffer_store_dword v79, off, s[20:23], 0 offset:40 ; 4-byte Folded Spill
	;; [unrolled: 1-line block ×3, first 2 shown]
	ds_read2_b64 v[99:102], v125 offset0:56 offset1:57
	buffer_load_dword v73, off, s[20:23], 0 offset:16 ; 4-byte Folded Reload
	buffer_load_dword v74, off, s[20:23], 0 offset:20 ; 4-byte Folded Reload
	;; [unrolled: 1-line block ×4, first 2 shown]
	s_waitcnt lgkmcnt(0)
	v_mul_f64 v[103:104], v[101:102], v[105:106]
	v_fma_f64 v[103:104], v[99:100], v[97:98], -v[103:104]
	v_mul_f64 v[99:100], v[99:100], v[105:106]
	v_fma_f64 v[99:100], v[101:102], v[97:98], v[99:100]
	s_waitcnt vmcnt(2)
	v_add_f64 v[73:74], v[73:74], -v[103:104]
	s_waitcnt vmcnt(0)
	v_add_f64 v[75:76], v[75:76], -v[99:100]
	buffer_store_dword v73, off, s[20:23], 0 offset:16 ; 4-byte Folded Spill
	s_nop 0
	buffer_store_dword v74, off, s[20:23], 0 offset:20 ; 4-byte Folded Spill
	buffer_store_dword v75, off, s[20:23], 0 offset:24 ; 4-byte Folded Spill
	buffer_store_dword v76, off, s[20:23], 0 offset:28 ; 4-byte Folded Spill
	v_mov_b32_e32 v76, v72
	v_mov_b32_e32 v75, v71
	;; [unrolled: 1-line block ×4, first 2 shown]
	ds_read2_b64 v[99:102], v125 offset0:58 offset1:59
	buffer_load_dword v69, off, s[20:23], 0 ; 4-byte Folded Reload
	buffer_load_dword v70, off, s[20:23], 0 offset:4 ; 4-byte Folded Reload
	buffer_load_dword v71, off, s[20:23], 0 offset:8 ; 4-byte Folded Reload
	;; [unrolled: 1-line block ×3, first 2 shown]
	s_waitcnt lgkmcnt(0)
	v_mul_f64 v[103:104], v[101:102], v[105:106]
	v_fma_f64 v[103:104], v[99:100], v[97:98], -v[103:104]
	v_mul_f64 v[99:100], v[99:100], v[105:106]
	v_fma_f64 v[99:100], v[101:102], v[97:98], v[99:100]
	s_waitcnt vmcnt(2)
	v_add_f64 v[69:70], v[69:70], -v[103:104]
	s_waitcnt vmcnt(0)
	v_add_f64 v[71:72], v[71:72], -v[99:100]
	buffer_store_dword v69, off, s[20:23], 0 ; 4-byte Folded Spill
	s_nop 0
	buffer_store_dword v70, off, s[20:23], 0 offset:4 ; 4-byte Folded Spill
	buffer_store_dword v71, off, s[20:23], 0 offset:8 ; 4-byte Folded Spill
	;; [unrolled: 1-line block ×3, first 2 shown]
	ds_read2_b64 v[99:102], v125 offset0:60 offset1:61
	s_waitcnt lgkmcnt(0)
	v_mul_f64 v[103:104], v[101:102], v[105:106]
	v_fma_f64 v[103:104], v[99:100], v[97:98], -v[103:104]
	v_mul_f64 v[99:100], v[99:100], v[105:106]
	v_add_f64 v[65:66], v[65:66], -v[103:104]
	v_fma_f64 v[99:100], v[101:102], v[97:98], v[99:100]
	v_add_f64 v[67:68], v[67:68], -v[99:100]
	ds_read2_b64 v[99:102], v125 offset0:62 offset1:63
	s_waitcnt lgkmcnt(0)
	v_mul_f64 v[103:104], v[101:102], v[105:106]
	v_fma_f64 v[103:104], v[99:100], v[97:98], -v[103:104]
	v_mul_f64 v[99:100], v[99:100], v[105:106]
	v_add_f64 v[61:62], v[61:62], -v[103:104]
	v_fma_f64 v[99:100], v[101:102], v[97:98], v[99:100]
	v_add_f64 v[63:64], v[63:64], -v[99:100]
	;; [unrolled: 8-line block ×16, first 2 shown]
	ds_read2_b64 v[99:102], v125 offset0:92 offset1:93
	s_waitcnt lgkmcnt(0)
	v_mul_f64 v[103:104], v[101:102], v[105:106]
	v_fma_f64 v[103:104], v[99:100], v[97:98], -v[103:104]
	v_mul_f64 v[99:100], v[99:100], v[105:106]
	v_add_f64 v[1:2], v[1:2], -v[103:104]
	v_fma_f64 v[99:100], v[101:102], v[97:98], v[99:100]
	ds_read2_b64 v[101:104], v125 offset0:94 offset1:95
	v_add_f64 v[3:4], v[3:4], -v[99:100]
	s_waitcnt lgkmcnt(0)
	v_mul_f64 v[99:100], v[103:104], v[105:106]
	v_fma_f64 v[99:100], v[101:102], v[97:98], -v[99:100]
	v_mul_f64 v[101:102], v[101:102], v[105:106]
	v_add_f64 v[73:74], v[73:74], -v[99:100]
	v_fma_f64 v[101:102], v[103:104], v[97:98], v[101:102]
	v_mov_b32_e32 v104, v98
	v_mov_b32_e32 v103, v97
	buffer_store_dword v103, off, s[20:23], 0 offset:320 ; 4-byte Folded Spill
	s_nop 0
	buffer_store_dword v104, off, s[20:23], 0 offset:324 ; 4-byte Folded Spill
	buffer_store_dword v105, off, s[20:23], 0 offset:328 ; 4-byte Folded Spill
	;; [unrolled: 1-line block ×3, first 2 shown]
	v_add_f64 v[75:76], v[75:76], -v[101:102]
.LBB95_46:
	s_or_b64 exec, exec, s[2:3]
	v_cmp_eq_u32_e32 vcc, 5, v0
	s_waitcnt vmcnt(0)
	s_barrier
	s_and_saveexec_b64 s[4:5], vcc
	s_cbranch_execz .LBB95_53
; %bb.47:
	buffer_load_dword v69, off, s[20:23], 0 offset:304 ; 4-byte Folded Reload
	buffer_load_dword v70, off, s[20:23], 0 offset:308 ; 4-byte Folded Reload
	buffer_load_dword v71, off, s[20:23], 0 offset:312 ; 4-byte Folded Reload
	buffer_load_dword v72, off, s[20:23], 0 offset:316 ; 4-byte Folded Reload
	s_waitcnt vmcnt(0)
	ds_write2_b64 v127, v[69:70], v[71:72] offset1:1
	buffer_load_dword v69, off, s[20:23], 0 offset:288 ; 4-byte Folded Reload
	buffer_load_dword v70, off, s[20:23], 0 offset:292 ; 4-byte Folded Reload
	buffer_load_dword v71, off, s[20:23], 0 offset:296 ; 4-byte Folded Reload
	buffer_load_dword v72, off, s[20:23], 0 offset:300 ; 4-byte Folded Reload
	s_waitcnt vmcnt(0)
	ds_write2_b64 v125, v[69:70], v[71:72] offset0:12 offset1:13
	buffer_load_dword v69, off, s[20:23], 0 offset:272 ; 4-byte Folded Reload
	buffer_load_dword v70, off, s[20:23], 0 offset:276 ; 4-byte Folded Reload
	buffer_load_dword v71, off, s[20:23], 0 offset:280 ; 4-byte Folded Reload
	buffer_load_dword v72, off, s[20:23], 0 offset:284 ; 4-byte Folded Reload
	s_waitcnt vmcnt(0)
	ds_write2_b64 v125, v[69:70], v[71:72] offset0:14 offset1:15
	;; [unrolled: 6-line block ×16, first 2 shown]
	ds_write2_b64 v125, v[121:122], v[123:124] offset0:44 offset1:45
	ds_write2_b64 v125, v[117:118], v[119:120] offset0:46 offset1:47
	ds_write2_b64 v125, v[109:110], v[111:112] offset0:48 offset1:49
	ds_write2_b64 v125, v[113:114], v[115:116] offset0:50 offset1:51
	ds_write2_b64 v125, v[93:94], v[95:96] offset0:52 offset1:53
	buffer_load_dword v77, off, s[20:23], 0 offset:32 ; 4-byte Folded Reload
	buffer_load_dword v78, off, s[20:23], 0 offset:36 ; 4-byte Folded Reload
	;; [unrolled: 1-line block ×4, first 2 shown]
	v_mov_b32_e32 v69, v73
	v_mov_b32_e32 v70, v74
	;; [unrolled: 1-line block ×4, first 2 shown]
	s_waitcnt vmcnt(0)
	ds_write2_b64 v125, v[77:78], v[79:80] offset0:54 offset1:55
	buffer_load_dword v73, off, s[20:23], 0 offset:16 ; 4-byte Folded Reload
	buffer_load_dword v74, off, s[20:23], 0 offset:20 ; 4-byte Folded Reload
	;; [unrolled: 1-line block ×4, first 2 shown]
	s_waitcnt vmcnt(0)
	ds_write2_b64 v125, v[73:74], v[75:76] offset0:56 offset1:57
	v_mov_b32_e32 v76, v72
	v_mov_b32_e32 v75, v71
	;; [unrolled: 1-line block ×4, first 2 shown]
	buffer_load_dword v69, off, s[20:23], 0 ; 4-byte Folded Reload
	buffer_load_dword v70, off, s[20:23], 0 offset:4 ; 4-byte Folded Reload
	buffer_load_dword v71, off, s[20:23], 0 offset:8 ; 4-byte Folded Reload
	;; [unrolled: 1-line block ×3, first 2 shown]
	s_waitcnt vmcnt(0)
	ds_write2_b64 v125, v[69:70], v[71:72] offset0:58 offset1:59
	ds_write2_b64 v125, v[65:66], v[67:68] offset0:60 offset1:61
	;; [unrolled: 1-line block ×19, first 2 shown]
	ds_read2_b64 v[97:100], v127 offset1:1
	s_waitcnt lgkmcnt(0)
	v_cmp_neq_f64_e32 vcc, 0, v[97:98]
	v_cmp_neq_f64_e64 s[2:3], 0, v[99:100]
	s_or_b64 s[2:3], vcc, s[2:3]
	s_and_b64 exec, exec, s[2:3]
	s_cbranch_execz .LBB95_53
; %bb.48:
	v_cmp_ngt_f64_e64 s[2:3], |v[97:98]|, |v[99:100]|
                                        ; implicit-def: $vgpr101_vgpr102
	s_and_saveexec_b64 s[6:7], s[2:3]
	s_xor_b64 s[2:3], exec, s[6:7]
                                        ; implicit-def: $vgpr103_vgpr104
	s_cbranch_execz .LBB95_50
; %bb.49:
	v_div_scale_f64 v[101:102], s[6:7], v[99:100], v[99:100], v[97:98]
	v_rcp_f64_e32 v[103:104], v[101:102]
	v_fma_f64 v[105:106], -v[101:102], v[103:104], 1.0
	v_fma_f64 v[103:104], v[103:104], v[105:106], v[103:104]
	v_div_scale_f64 v[105:106], vcc, v[97:98], v[99:100], v[97:98]
	v_fma_f64 v[107:108], -v[101:102], v[103:104], 1.0
	v_fma_f64 v[103:104], v[103:104], v[107:108], v[103:104]
	v_mul_f64 v[107:108], v[105:106], v[103:104]
	v_fma_f64 v[101:102], -v[101:102], v[107:108], v[105:106]
	v_div_fmas_f64 v[101:102], v[101:102], v[103:104], v[107:108]
	v_div_fixup_f64 v[101:102], v[101:102], v[99:100], v[97:98]
	v_fma_f64 v[97:98], v[97:98], v[101:102], v[99:100]
	v_div_scale_f64 v[99:100], s[6:7], v[97:98], v[97:98], 1.0
	v_div_scale_f64 v[107:108], vcc, 1.0, v[97:98], 1.0
	v_rcp_f64_e32 v[103:104], v[99:100]
	v_fma_f64 v[105:106], -v[99:100], v[103:104], 1.0
	v_fma_f64 v[103:104], v[103:104], v[105:106], v[103:104]
	v_fma_f64 v[105:106], -v[99:100], v[103:104], 1.0
	v_fma_f64 v[103:104], v[103:104], v[105:106], v[103:104]
	v_mul_f64 v[105:106], v[107:108], v[103:104]
	v_fma_f64 v[99:100], -v[99:100], v[105:106], v[107:108]
	v_div_fmas_f64 v[99:100], v[99:100], v[103:104], v[105:106]
	v_div_fixup_f64 v[103:104], v[99:100], v[97:98], 1.0
                                        ; implicit-def: $vgpr97_vgpr98
	v_mul_f64 v[101:102], v[101:102], v[103:104]
	v_xor_b32_e32 v104, 0x80000000, v104
.LBB95_50:
	s_andn2_saveexec_b64 s[2:3], s[2:3]
	s_cbranch_execz .LBB95_52
; %bb.51:
	v_div_scale_f64 v[101:102], s[6:7], v[97:98], v[97:98], v[99:100]
	v_rcp_f64_e32 v[103:104], v[101:102]
	v_fma_f64 v[105:106], -v[101:102], v[103:104], 1.0
	v_fma_f64 v[103:104], v[103:104], v[105:106], v[103:104]
	v_div_scale_f64 v[105:106], vcc, v[99:100], v[97:98], v[99:100]
	v_fma_f64 v[107:108], -v[101:102], v[103:104], 1.0
	v_fma_f64 v[103:104], v[103:104], v[107:108], v[103:104]
	v_mul_f64 v[107:108], v[105:106], v[103:104]
	v_fma_f64 v[101:102], -v[101:102], v[107:108], v[105:106]
	v_div_fmas_f64 v[101:102], v[101:102], v[103:104], v[107:108]
	v_div_fixup_f64 v[103:104], v[101:102], v[97:98], v[99:100]
	v_fma_f64 v[97:98], v[99:100], v[103:104], v[97:98]
	v_div_scale_f64 v[99:100], s[6:7], v[97:98], v[97:98], 1.0
	v_div_scale_f64 v[107:108], vcc, 1.0, v[97:98], 1.0
	v_rcp_f64_e32 v[101:102], v[99:100]
	v_fma_f64 v[105:106], -v[99:100], v[101:102], 1.0
	v_fma_f64 v[101:102], v[101:102], v[105:106], v[101:102]
	v_fma_f64 v[105:106], -v[99:100], v[101:102], 1.0
	v_fma_f64 v[101:102], v[101:102], v[105:106], v[101:102]
	v_mul_f64 v[105:106], v[107:108], v[101:102]
	v_fma_f64 v[99:100], -v[99:100], v[105:106], v[107:108]
	v_div_fmas_f64 v[99:100], v[99:100], v[101:102], v[105:106]
	v_div_fixup_f64 v[101:102], v[99:100], v[97:98], 1.0
	v_mul_f64 v[103:104], v[103:104], -v[101:102]
.LBB95_52:
	s_or_b64 exec, exec, s[2:3]
	ds_write2_b64 v127, v[101:102], v[103:104] offset1:1
.LBB95_53:
	s_or_b64 exec, exec, s[4:5]
	s_waitcnt lgkmcnt(0)
	s_barrier
	ds_read2_b64 v[69:72], v127 offset1:1
	v_cmp_lt_u32_e32 vcc, 5, v0
	s_waitcnt lgkmcnt(0)
	buffer_store_dword v69, off, s[20:23], 0 offset:856 ; 4-byte Folded Spill
	s_nop 0
	buffer_store_dword v70, off, s[20:23], 0 offset:860 ; 4-byte Folded Spill
	buffer_store_dword v71, off, s[20:23], 0 offset:864 ; 4-byte Folded Spill
	buffer_store_dword v72, off, s[20:23], 0 offset:868 ; 4-byte Folded Spill
	s_and_saveexec_b64 s[2:3], vcc
	s_cbranch_execz .LBB95_55
; %bb.54:
	buffer_load_dword v103, off, s[20:23], 0 offset:304 ; 4-byte Folded Reload
	buffer_load_dword v104, off, s[20:23], 0 offset:308 ; 4-byte Folded Reload
	;; [unrolled: 1-line block ×8, first 2 shown]
	s_waitcnt vmcnt(2)
	v_mul_f64 v[99:100], v[69:70], v[105:106]
	s_waitcnt vmcnt(0)
	v_mul_f64 v[97:98], v[71:72], v[105:106]
	v_fma_f64 v[105:106], v[71:72], v[103:104], v[99:100]
	ds_read2_b64 v[99:102], v125 offset0:12 offset1:13
	v_fma_f64 v[97:98], v[69:70], v[103:104], -v[97:98]
	buffer_load_dword v69, off, s[20:23], 0 offset:288 ; 4-byte Folded Reload
	buffer_load_dword v70, off, s[20:23], 0 offset:292 ; 4-byte Folded Reload
	buffer_load_dword v71, off, s[20:23], 0 offset:296 ; 4-byte Folded Reload
	buffer_load_dword v72, off, s[20:23], 0 offset:300 ; 4-byte Folded Reload
	s_waitcnt lgkmcnt(0)
	v_mul_f64 v[103:104], v[101:102], v[105:106]
	v_fma_f64 v[103:104], v[99:100], v[97:98], -v[103:104]
	v_mul_f64 v[99:100], v[99:100], v[105:106]
	v_fma_f64 v[99:100], v[101:102], v[97:98], v[99:100]
	s_waitcnt vmcnt(2)
	v_add_f64 v[69:70], v[69:70], -v[103:104]
	s_waitcnt vmcnt(0)
	v_add_f64 v[71:72], v[71:72], -v[99:100]
	buffer_store_dword v69, off, s[20:23], 0 offset:288 ; 4-byte Folded Spill
	s_nop 0
	buffer_store_dword v70, off, s[20:23], 0 offset:292 ; 4-byte Folded Spill
	buffer_store_dword v71, off, s[20:23], 0 offset:296 ; 4-byte Folded Spill
	buffer_store_dword v72, off, s[20:23], 0 offset:300 ; 4-byte Folded Spill
	ds_read2_b64 v[99:102], v125 offset0:14 offset1:15
	buffer_load_dword v69, off, s[20:23], 0 offset:272 ; 4-byte Folded Reload
	buffer_load_dword v70, off, s[20:23], 0 offset:276 ; 4-byte Folded Reload
	buffer_load_dword v71, off, s[20:23], 0 offset:280 ; 4-byte Folded Reload
	buffer_load_dword v72, off, s[20:23], 0 offset:284 ; 4-byte Folded Reload
	s_waitcnt lgkmcnt(0)
	v_mul_f64 v[103:104], v[101:102], v[105:106]
	v_fma_f64 v[103:104], v[99:100], v[97:98], -v[103:104]
	v_mul_f64 v[99:100], v[99:100], v[105:106]
	v_fma_f64 v[99:100], v[101:102], v[97:98], v[99:100]
	s_waitcnt vmcnt(2)
	v_add_f64 v[69:70], v[69:70], -v[103:104]
	s_waitcnt vmcnt(0)
	v_add_f64 v[71:72], v[71:72], -v[99:100]
	buffer_store_dword v69, off, s[20:23], 0 offset:272 ; 4-byte Folded Spill
	s_nop 0
	buffer_store_dword v70, off, s[20:23], 0 offset:276 ; 4-byte Folded Spill
	buffer_store_dword v71, off, s[20:23], 0 offset:280 ; 4-byte Folded Spill
	buffer_store_dword v72, off, s[20:23], 0 offset:284 ; 4-byte Folded Spill
	ds_read2_b64 v[99:102], v125 offset0:16 offset1:17
	;; [unrolled: 19-line block ×16, first 2 shown]
	v_mov_b32_e32 v69, v73
	v_mov_b32_e32 v70, v74
	;; [unrolled: 1-line block ×4, first 2 shown]
	s_waitcnt lgkmcnt(0)
	v_mul_f64 v[103:104], v[101:102], v[105:106]
	v_fma_f64 v[103:104], v[99:100], v[97:98], -v[103:104]
	v_mul_f64 v[99:100], v[99:100], v[105:106]
	v_add_f64 v[121:122], v[121:122], -v[103:104]
	v_fma_f64 v[99:100], v[101:102], v[97:98], v[99:100]
	v_add_f64 v[123:124], v[123:124], -v[99:100]
	ds_read2_b64 v[99:102], v125 offset0:46 offset1:47
	s_waitcnt lgkmcnt(0)
	v_mul_f64 v[103:104], v[101:102], v[105:106]
	v_fma_f64 v[103:104], v[99:100], v[97:98], -v[103:104]
	v_mul_f64 v[99:100], v[99:100], v[105:106]
	v_add_f64 v[117:118], v[117:118], -v[103:104]
	v_fma_f64 v[99:100], v[101:102], v[97:98], v[99:100]
	v_add_f64 v[119:120], v[119:120], -v[99:100]
	ds_read2_b64 v[99:102], v125 offset0:48 offset1:49
	s_waitcnt lgkmcnt(0)
	v_mul_f64 v[103:104], v[101:102], v[105:106]
	v_fma_f64 v[103:104], v[99:100], v[97:98], -v[103:104]
	v_mul_f64 v[99:100], v[99:100], v[105:106]
	v_add_f64 v[109:110], v[109:110], -v[103:104]
	v_fma_f64 v[99:100], v[101:102], v[97:98], v[99:100]
	v_add_f64 v[111:112], v[111:112], -v[99:100]
	ds_read2_b64 v[99:102], v125 offset0:50 offset1:51
	s_waitcnt lgkmcnt(0)
	v_mul_f64 v[103:104], v[101:102], v[105:106]
	v_fma_f64 v[103:104], v[99:100], v[97:98], -v[103:104]
	v_mul_f64 v[99:100], v[99:100], v[105:106]
	v_add_f64 v[113:114], v[113:114], -v[103:104]
	v_fma_f64 v[99:100], v[101:102], v[97:98], v[99:100]
	v_add_f64 v[115:116], v[115:116], -v[99:100]
	ds_read2_b64 v[99:102], v125 offset0:52 offset1:53
	s_waitcnt lgkmcnt(0)
	v_mul_f64 v[103:104], v[101:102], v[105:106]
	v_fma_f64 v[103:104], v[99:100], v[97:98], -v[103:104]
	v_mul_f64 v[99:100], v[99:100], v[105:106]
	v_add_f64 v[93:94], v[93:94], -v[103:104]
	v_fma_f64 v[99:100], v[101:102], v[97:98], v[99:100]
	v_add_f64 v[95:96], v[95:96], -v[99:100]
	ds_read2_b64 v[99:102], v125 offset0:54 offset1:55
	buffer_load_dword v77, off, s[20:23], 0 offset:32 ; 4-byte Folded Reload
	buffer_load_dword v78, off, s[20:23], 0 offset:36 ; 4-byte Folded Reload
	;; [unrolled: 1-line block ×4, first 2 shown]
	s_waitcnt lgkmcnt(0)
	v_mul_f64 v[103:104], v[101:102], v[105:106]
	v_fma_f64 v[103:104], v[99:100], v[97:98], -v[103:104]
	v_mul_f64 v[99:100], v[99:100], v[105:106]
	v_fma_f64 v[99:100], v[101:102], v[97:98], v[99:100]
	s_waitcnt vmcnt(2)
	v_add_f64 v[77:78], v[77:78], -v[103:104]
	s_waitcnt vmcnt(0)
	v_add_f64 v[79:80], v[79:80], -v[99:100]
	buffer_store_dword v77, off, s[20:23], 0 offset:32 ; 4-byte Folded Spill
	s_nop 0
	buffer_store_dword v78, off, s[20:23], 0 offset:36 ; 4-byte Folded Spill
	buffer_store_dword v79, off, s[20:23], 0 offset:40 ; 4-byte Folded Spill
	;; [unrolled: 1-line block ×3, first 2 shown]
	ds_read2_b64 v[99:102], v125 offset0:56 offset1:57
	buffer_load_dword v73, off, s[20:23], 0 offset:16 ; 4-byte Folded Reload
	buffer_load_dword v74, off, s[20:23], 0 offset:20 ; 4-byte Folded Reload
	;; [unrolled: 1-line block ×4, first 2 shown]
	s_waitcnt lgkmcnt(0)
	v_mul_f64 v[103:104], v[101:102], v[105:106]
	v_fma_f64 v[103:104], v[99:100], v[97:98], -v[103:104]
	v_mul_f64 v[99:100], v[99:100], v[105:106]
	v_fma_f64 v[99:100], v[101:102], v[97:98], v[99:100]
	s_waitcnt vmcnt(2)
	v_add_f64 v[73:74], v[73:74], -v[103:104]
	s_waitcnt vmcnt(0)
	v_add_f64 v[75:76], v[75:76], -v[99:100]
	buffer_store_dword v73, off, s[20:23], 0 offset:16 ; 4-byte Folded Spill
	s_nop 0
	buffer_store_dword v74, off, s[20:23], 0 offset:20 ; 4-byte Folded Spill
	buffer_store_dword v75, off, s[20:23], 0 offset:24 ; 4-byte Folded Spill
	;; [unrolled: 1-line block ×3, first 2 shown]
	v_mov_b32_e32 v76, v72
	v_mov_b32_e32 v75, v71
	;; [unrolled: 1-line block ×4, first 2 shown]
	ds_read2_b64 v[99:102], v125 offset0:58 offset1:59
	buffer_load_dword v69, off, s[20:23], 0 ; 4-byte Folded Reload
	buffer_load_dword v70, off, s[20:23], 0 offset:4 ; 4-byte Folded Reload
	buffer_load_dword v71, off, s[20:23], 0 offset:8 ; 4-byte Folded Reload
	;; [unrolled: 1-line block ×3, first 2 shown]
	s_waitcnt lgkmcnt(0)
	v_mul_f64 v[103:104], v[101:102], v[105:106]
	v_fma_f64 v[103:104], v[99:100], v[97:98], -v[103:104]
	v_mul_f64 v[99:100], v[99:100], v[105:106]
	v_fma_f64 v[99:100], v[101:102], v[97:98], v[99:100]
	s_waitcnt vmcnt(2)
	v_add_f64 v[69:70], v[69:70], -v[103:104]
	s_waitcnt vmcnt(0)
	v_add_f64 v[71:72], v[71:72], -v[99:100]
	buffer_store_dword v69, off, s[20:23], 0 ; 4-byte Folded Spill
	s_nop 0
	buffer_store_dword v70, off, s[20:23], 0 offset:4 ; 4-byte Folded Spill
	buffer_store_dword v71, off, s[20:23], 0 offset:8 ; 4-byte Folded Spill
	;; [unrolled: 1-line block ×3, first 2 shown]
	ds_read2_b64 v[99:102], v125 offset0:60 offset1:61
	s_waitcnt lgkmcnt(0)
	v_mul_f64 v[103:104], v[101:102], v[105:106]
	v_fma_f64 v[103:104], v[99:100], v[97:98], -v[103:104]
	v_mul_f64 v[99:100], v[99:100], v[105:106]
	v_add_f64 v[65:66], v[65:66], -v[103:104]
	v_fma_f64 v[99:100], v[101:102], v[97:98], v[99:100]
	v_add_f64 v[67:68], v[67:68], -v[99:100]
	ds_read2_b64 v[99:102], v125 offset0:62 offset1:63
	s_waitcnt lgkmcnt(0)
	v_mul_f64 v[103:104], v[101:102], v[105:106]
	v_fma_f64 v[103:104], v[99:100], v[97:98], -v[103:104]
	v_mul_f64 v[99:100], v[99:100], v[105:106]
	v_add_f64 v[61:62], v[61:62], -v[103:104]
	v_fma_f64 v[99:100], v[101:102], v[97:98], v[99:100]
	v_add_f64 v[63:64], v[63:64], -v[99:100]
	;; [unrolled: 8-line block ×17, first 2 shown]
	ds_read2_b64 v[99:102], v125 offset0:94 offset1:95
	s_waitcnt lgkmcnt(0)
	v_mul_f64 v[103:104], v[101:102], v[105:106]
	v_fma_f64 v[103:104], v[99:100], v[97:98], -v[103:104]
	v_mul_f64 v[99:100], v[99:100], v[105:106]
	v_add_f64 v[73:74], v[73:74], -v[103:104]
	v_fma_f64 v[99:100], v[101:102], v[97:98], v[99:100]
	v_mov_b32_e32 v104, v98
	v_mov_b32_e32 v103, v97
	buffer_store_dword v103, off, s[20:23], 0 offset:304 ; 4-byte Folded Spill
	s_nop 0
	buffer_store_dword v104, off, s[20:23], 0 offset:308 ; 4-byte Folded Spill
	buffer_store_dword v105, off, s[20:23], 0 offset:312 ; 4-byte Folded Spill
	;; [unrolled: 1-line block ×3, first 2 shown]
	v_add_f64 v[75:76], v[75:76], -v[99:100]
.LBB95_55:
	s_or_b64 exec, exec, s[2:3]
	v_cmp_eq_u32_e32 vcc, 6, v0
	s_waitcnt vmcnt(0)
	s_barrier
	s_and_saveexec_b64 s[4:5], vcc
	s_cbranch_execz .LBB95_62
; %bb.56:
	buffer_load_dword v69, off, s[20:23], 0 offset:288 ; 4-byte Folded Reload
	buffer_load_dword v70, off, s[20:23], 0 offset:292 ; 4-byte Folded Reload
	;; [unrolled: 1-line block ×4, first 2 shown]
	s_waitcnt vmcnt(0)
	ds_write2_b64 v127, v[69:70], v[71:72] offset1:1
	buffer_load_dword v69, off, s[20:23], 0 offset:272 ; 4-byte Folded Reload
	buffer_load_dword v70, off, s[20:23], 0 offset:276 ; 4-byte Folded Reload
	buffer_load_dword v71, off, s[20:23], 0 offset:280 ; 4-byte Folded Reload
	buffer_load_dword v72, off, s[20:23], 0 offset:284 ; 4-byte Folded Reload
	s_waitcnt vmcnt(0)
	ds_write2_b64 v125, v[69:70], v[71:72] offset0:14 offset1:15
	buffer_load_dword v69, off, s[20:23], 0 offset:256 ; 4-byte Folded Reload
	buffer_load_dword v70, off, s[20:23], 0 offset:260 ; 4-byte Folded Reload
	buffer_load_dword v71, off, s[20:23], 0 offset:264 ; 4-byte Folded Reload
	buffer_load_dword v72, off, s[20:23], 0 offset:268 ; 4-byte Folded Reload
	s_waitcnt vmcnt(0)
	ds_write2_b64 v125, v[69:70], v[71:72] offset0:16 offset1:17
	;; [unrolled: 6-line block ×15, first 2 shown]
	ds_write2_b64 v125, v[121:122], v[123:124] offset0:44 offset1:45
	ds_write2_b64 v125, v[117:118], v[119:120] offset0:46 offset1:47
	;; [unrolled: 1-line block ×5, first 2 shown]
	buffer_load_dword v77, off, s[20:23], 0 offset:32 ; 4-byte Folded Reload
	buffer_load_dword v78, off, s[20:23], 0 offset:36 ; 4-byte Folded Reload
	;; [unrolled: 1-line block ×4, first 2 shown]
	v_mov_b32_e32 v69, v73
	v_mov_b32_e32 v70, v74
	;; [unrolled: 1-line block ×4, first 2 shown]
	s_waitcnt vmcnt(0)
	ds_write2_b64 v125, v[77:78], v[79:80] offset0:54 offset1:55
	buffer_load_dword v73, off, s[20:23], 0 offset:16 ; 4-byte Folded Reload
	buffer_load_dword v74, off, s[20:23], 0 offset:20 ; 4-byte Folded Reload
	;; [unrolled: 1-line block ×4, first 2 shown]
	s_waitcnt vmcnt(0)
	ds_write2_b64 v125, v[73:74], v[75:76] offset0:56 offset1:57
	v_mov_b32_e32 v76, v72
	v_mov_b32_e32 v75, v71
	v_mov_b32_e32 v74, v70
	v_mov_b32_e32 v73, v69
	buffer_load_dword v69, off, s[20:23], 0 ; 4-byte Folded Reload
	buffer_load_dword v70, off, s[20:23], 0 offset:4 ; 4-byte Folded Reload
	buffer_load_dword v71, off, s[20:23], 0 offset:8 ; 4-byte Folded Reload
	;; [unrolled: 1-line block ×3, first 2 shown]
	s_waitcnt vmcnt(0)
	ds_write2_b64 v125, v[69:70], v[71:72] offset0:58 offset1:59
	ds_write2_b64 v125, v[65:66], v[67:68] offset0:60 offset1:61
	;; [unrolled: 1-line block ×19, first 2 shown]
	ds_read2_b64 v[97:100], v127 offset1:1
	s_waitcnt lgkmcnt(0)
	v_cmp_neq_f64_e32 vcc, 0, v[97:98]
	v_cmp_neq_f64_e64 s[2:3], 0, v[99:100]
	s_or_b64 s[2:3], vcc, s[2:3]
	s_and_b64 exec, exec, s[2:3]
	s_cbranch_execz .LBB95_62
; %bb.57:
	v_cmp_ngt_f64_e64 s[2:3], |v[97:98]|, |v[99:100]|
                                        ; implicit-def: $vgpr101_vgpr102
	s_and_saveexec_b64 s[6:7], s[2:3]
	s_xor_b64 s[2:3], exec, s[6:7]
                                        ; implicit-def: $vgpr103_vgpr104
	s_cbranch_execz .LBB95_59
; %bb.58:
	v_div_scale_f64 v[101:102], s[6:7], v[99:100], v[99:100], v[97:98]
	v_rcp_f64_e32 v[103:104], v[101:102]
	v_fma_f64 v[105:106], -v[101:102], v[103:104], 1.0
	v_fma_f64 v[103:104], v[103:104], v[105:106], v[103:104]
	v_div_scale_f64 v[105:106], vcc, v[97:98], v[99:100], v[97:98]
	v_fma_f64 v[107:108], -v[101:102], v[103:104], 1.0
	v_fma_f64 v[103:104], v[103:104], v[107:108], v[103:104]
	v_mul_f64 v[107:108], v[105:106], v[103:104]
	v_fma_f64 v[101:102], -v[101:102], v[107:108], v[105:106]
	v_div_fmas_f64 v[101:102], v[101:102], v[103:104], v[107:108]
	v_div_fixup_f64 v[101:102], v[101:102], v[99:100], v[97:98]
	v_fma_f64 v[97:98], v[97:98], v[101:102], v[99:100]
	v_div_scale_f64 v[99:100], s[6:7], v[97:98], v[97:98], 1.0
	v_div_scale_f64 v[107:108], vcc, 1.0, v[97:98], 1.0
	v_rcp_f64_e32 v[103:104], v[99:100]
	v_fma_f64 v[105:106], -v[99:100], v[103:104], 1.0
	v_fma_f64 v[103:104], v[103:104], v[105:106], v[103:104]
	v_fma_f64 v[105:106], -v[99:100], v[103:104], 1.0
	v_fma_f64 v[103:104], v[103:104], v[105:106], v[103:104]
	v_mul_f64 v[105:106], v[107:108], v[103:104]
	v_fma_f64 v[99:100], -v[99:100], v[105:106], v[107:108]
	v_div_fmas_f64 v[99:100], v[99:100], v[103:104], v[105:106]
	v_div_fixup_f64 v[103:104], v[99:100], v[97:98], 1.0
                                        ; implicit-def: $vgpr97_vgpr98
	v_mul_f64 v[101:102], v[101:102], v[103:104]
	v_xor_b32_e32 v104, 0x80000000, v104
.LBB95_59:
	s_andn2_saveexec_b64 s[2:3], s[2:3]
	s_cbranch_execz .LBB95_61
; %bb.60:
	v_div_scale_f64 v[101:102], s[6:7], v[97:98], v[97:98], v[99:100]
	v_rcp_f64_e32 v[103:104], v[101:102]
	v_fma_f64 v[105:106], -v[101:102], v[103:104], 1.0
	v_fma_f64 v[103:104], v[103:104], v[105:106], v[103:104]
	v_div_scale_f64 v[105:106], vcc, v[99:100], v[97:98], v[99:100]
	v_fma_f64 v[107:108], -v[101:102], v[103:104], 1.0
	v_fma_f64 v[103:104], v[103:104], v[107:108], v[103:104]
	v_mul_f64 v[107:108], v[105:106], v[103:104]
	v_fma_f64 v[101:102], -v[101:102], v[107:108], v[105:106]
	v_div_fmas_f64 v[101:102], v[101:102], v[103:104], v[107:108]
	v_div_fixup_f64 v[103:104], v[101:102], v[97:98], v[99:100]
	v_fma_f64 v[97:98], v[99:100], v[103:104], v[97:98]
	v_div_scale_f64 v[99:100], s[6:7], v[97:98], v[97:98], 1.0
	v_div_scale_f64 v[107:108], vcc, 1.0, v[97:98], 1.0
	v_rcp_f64_e32 v[101:102], v[99:100]
	v_fma_f64 v[105:106], -v[99:100], v[101:102], 1.0
	v_fma_f64 v[101:102], v[101:102], v[105:106], v[101:102]
	v_fma_f64 v[105:106], -v[99:100], v[101:102], 1.0
	v_fma_f64 v[101:102], v[101:102], v[105:106], v[101:102]
	v_mul_f64 v[105:106], v[107:108], v[101:102]
	v_fma_f64 v[99:100], -v[99:100], v[105:106], v[107:108]
	v_div_fmas_f64 v[99:100], v[99:100], v[101:102], v[105:106]
	v_div_fixup_f64 v[101:102], v[99:100], v[97:98], 1.0
	v_mul_f64 v[103:104], v[103:104], -v[101:102]
.LBB95_61:
	s_or_b64 exec, exec, s[2:3]
	ds_write2_b64 v127, v[101:102], v[103:104] offset1:1
.LBB95_62:
	s_or_b64 exec, exec, s[4:5]
	s_waitcnt lgkmcnt(0)
	s_barrier
	ds_read2_b64 v[69:72], v127 offset1:1
	v_cmp_lt_u32_e32 vcc, 6, v0
	s_waitcnt lgkmcnt(0)
	buffer_store_dword v69, off, s[20:23], 0 offset:872 ; 4-byte Folded Spill
	s_nop 0
	buffer_store_dword v70, off, s[20:23], 0 offset:876 ; 4-byte Folded Spill
	buffer_store_dword v71, off, s[20:23], 0 offset:880 ; 4-byte Folded Spill
	;; [unrolled: 1-line block ×3, first 2 shown]
	s_and_saveexec_b64 s[2:3], vcc
	s_cbranch_execz .LBB95_64
; %bb.63:
	buffer_load_dword v103, off, s[20:23], 0 offset:288 ; 4-byte Folded Reload
	buffer_load_dword v104, off, s[20:23], 0 offset:292 ; 4-byte Folded Reload
	;; [unrolled: 1-line block ×8, first 2 shown]
	s_waitcnt vmcnt(2)
	v_mul_f64 v[99:100], v[69:70], v[105:106]
	s_waitcnt vmcnt(0)
	v_mul_f64 v[97:98], v[71:72], v[105:106]
	v_fma_f64 v[105:106], v[71:72], v[103:104], v[99:100]
	ds_read2_b64 v[99:102], v125 offset0:14 offset1:15
	v_fma_f64 v[97:98], v[69:70], v[103:104], -v[97:98]
	buffer_load_dword v69, off, s[20:23], 0 offset:272 ; 4-byte Folded Reload
	buffer_load_dword v70, off, s[20:23], 0 offset:276 ; 4-byte Folded Reload
	buffer_load_dword v71, off, s[20:23], 0 offset:280 ; 4-byte Folded Reload
	buffer_load_dword v72, off, s[20:23], 0 offset:284 ; 4-byte Folded Reload
	s_waitcnt lgkmcnt(0)
	v_mul_f64 v[103:104], v[101:102], v[105:106]
	v_fma_f64 v[103:104], v[99:100], v[97:98], -v[103:104]
	v_mul_f64 v[99:100], v[99:100], v[105:106]
	v_fma_f64 v[99:100], v[101:102], v[97:98], v[99:100]
	s_waitcnt vmcnt(2)
	v_add_f64 v[69:70], v[69:70], -v[103:104]
	s_waitcnt vmcnt(0)
	v_add_f64 v[71:72], v[71:72], -v[99:100]
	buffer_store_dword v69, off, s[20:23], 0 offset:272 ; 4-byte Folded Spill
	s_nop 0
	buffer_store_dword v70, off, s[20:23], 0 offset:276 ; 4-byte Folded Spill
	buffer_store_dword v71, off, s[20:23], 0 offset:280 ; 4-byte Folded Spill
	buffer_store_dword v72, off, s[20:23], 0 offset:284 ; 4-byte Folded Spill
	ds_read2_b64 v[99:102], v125 offset0:16 offset1:17
	buffer_load_dword v69, off, s[20:23], 0 offset:256 ; 4-byte Folded Reload
	buffer_load_dword v70, off, s[20:23], 0 offset:260 ; 4-byte Folded Reload
	buffer_load_dword v71, off, s[20:23], 0 offset:264 ; 4-byte Folded Reload
	buffer_load_dword v72, off, s[20:23], 0 offset:268 ; 4-byte Folded Reload
	s_waitcnt lgkmcnt(0)
	v_mul_f64 v[103:104], v[101:102], v[105:106]
	v_fma_f64 v[103:104], v[99:100], v[97:98], -v[103:104]
	v_mul_f64 v[99:100], v[99:100], v[105:106]
	v_fma_f64 v[99:100], v[101:102], v[97:98], v[99:100]
	s_waitcnt vmcnt(2)
	v_add_f64 v[69:70], v[69:70], -v[103:104]
	s_waitcnt vmcnt(0)
	v_add_f64 v[71:72], v[71:72], -v[99:100]
	buffer_store_dword v69, off, s[20:23], 0 offset:256 ; 4-byte Folded Spill
	s_nop 0
	buffer_store_dword v70, off, s[20:23], 0 offset:260 ; 4-byte Folded Spill
	buffer_store_dword v71, off, s[20:23], 0 offset:264 ; 4-byte Folded Spill
	buffer_store_dword v72, off, s[20:23], 0 offset:268 ; 4-byte Folded Spill
	ds_read2_b64 v[99:102], v125 offset0:18 offset1:19
	;; [unrolled: 19-line block ×15, first 2 shown]
	v_mov_b32_e32 v69, v73
	v_mov_b32_e32 v70, v74
	;; [unrolled: 1-line block ×4, first 2 shown]
	s_waitcnt lgkmcnt(0)
	v_mul_f64 v[103:104], v[101:102], v[105:106]
	v_fma_f64 v[103:104], v[99:100], v[97:98], -v[103:104]
	v_mul_f64 v[99:100], v[99:100], v[105:106]
	v_add_f64 v[121:122], v[121:122], -v[103:104]
	v_fma_f64 v[99:100], v[101:102], v[97:98], v[99:100]
	v_add_f64 v[123:124], v[123:124], -v[99:100]
	ds_read2_b64 v[99:102], v125 offset0:46 offset1:47
	s_waitcnt lgkmcnt(0)
	v_mul_f64 v[103:104], v[101:102], v[105:106]
	v_fma_f64 v[103:104], v[99:100], v[97:98], -v[103:104]
	v_mul_f64 v[99:100], v[99:100], v[105:106]
	v_add_f64 v[117:118], v[117:118], -v[103:104]
	v_fma_f64 v[99:100], v[101:102], v[97:98], v[99:100]
	v_add_f64 v[119:120], v[119:120], -v[99:100]
	ds_read2_b64 v[99:102], v125 offset0:48 offset1:49
	;; [unrolled: 8-line block ×5, first 2 shown]
	buffer_load_dword v77, off, s[20:23], 0 offset:32 ; 4-byte Folded Reload
	buffer_load_dword v78, off, s[20:23], 0 offset:36 ; 4-byte Folded Reload
	;; [unrolled: 1-line block ×4, first 2 shown]
	s_waitcnt lgkmcnt(0)
	v_mul_f64 v[103:104], v[101:102], v[105:106]
	v_fma_f64 v[103:104], v[99:100], v[97:98], -v[103:104]
	v_mul_f64 v[99:100], v[99:100], v[105:106]
	v_fma_f64 v[99:100], v[101:102], v[97:98], v[99:100]
	s_waitcnt vmcnt(2)
	v_add_f64 v[77:78], v[77:78], -v[103:104]
	s_waitcnt vmcnt(0)
	v_add_f64 v[79:80], v[79:80], -v[99:100]
	buffer_store_dword v77, off, s[20:23], 0 offset:32 ; 4-byte Folded Spill
	s_nop 0
	buffer_store_dword v78, off, s[20:23], 0 offset:36 ; 4-byte Folded Spill
	buffer_store_dword v79, off, s[20:23], 0 offset:40 ; 4-byte Folded Spill
	;; [unrolled: 1-line block ×3, first 2 shown]
	ds_read2_b64 v[99:102], v125 offset0:56 offset1:57
	buffer_load_dword v73, off, s[20:23], 0 offset:16 ; 4-byte Folded Reload
	buffer_load_dword v74, off, s[20:23], 0 offset:20 ; 4-byte Folded Reload
	buffer_load_dword v75, off, s[20:23], 0 offset:24 ; 4-byte Folded Reload
	buffer_load_dword v76, off, s[20:23], 0 offset:28 ; 4-byte Folded Reload
	s_waitcnt lgkmcnt(0)
	v_mul_f64 v[103:104], v[101:102], v[105:106]
	v_fma_f64 v[103:104], v[99:100], v[97:98], -v[103:104]
	v_mul_f64 v[99:100], v[99:100], v[105:106]
	v_fma_f64 v[99:100], v[101:102], v[97:98], v[99:100]
	s_waitcnt vmcnt(2)
	v_add_f64 v[73:74], v[73:74], -v[103:104]
	s_waitcnt vmcnt(0)
	v_add_f64 v[75:76], v[75:76], -v[99:100]
	buffer_store_dword v73, off, s[20:23], 0 offset:16 ; 4-byte Folded Spill
	s_nop 0
	buffer_store_dword v74, off, s[20:23], 0 offset:20 ; 4-byte Folded Spill
	buffer_store_dword v75, off, s[20:23], 0 offset:24 ; 4-byte Folded Spill
	;; [unrolled: 1-line block ×3, first 2 shown]
	v_mov_b32_e32 v76, v72
	v_mov_b32_e32 v75, v71
	v_mov_b32_e32 v74, v70
	v_mov_b32_e32 v73, v69
	ds_read2_b64 v[99:102], v125 offset0:58 offset1:59
	buffer_load_dword v69, off, s[20:23], 0 ; 4-byte Folded Reload
	buffer_load_dword v70, off, s[20:23], 0 offset:4 ; 4-byte Folded Reload
	buffer_load_dword v71, off, s[20:23], 0 offset:8 ; 4-byte Folded Reload
	;; [unrolled: 1-line block ×3, first 2 shown]
	s_waitcnt lgkmcnt(0)
	v_mul_f64 v[103:104], v[101:102], v[105:106]
	v_fma_f64 v[103:104], v[99:100], v[97:98], -v[103:104]
	v_mul_f64 v[99:100], v[99:100], v[105:106]
	v_fma_f64 v[99:100], v[101:102], v[97:98], v[99:100]
	s_waitcnt vmcnt(2)
	v_add_f64 v[69:70], v[69:70], -v[103:104]
	s_waitcnt vmcnt(0)
	v_add_f64 v[71:72], v[71:72], -v[99:100]
	buffer_store_dword v69, off, s[20:23], 0 ; 4-byte Folded Spill
	s_nop 0
	buffer_store_dword v70, off, s[20:23], 0 offset:4 ; 4-byte Folded Spill
	buffer_store_dword v71, off, s[20:23], 0 offset:8 ; 4-byte Folded Spill
	;; [unrolled: 1-line block ×3, first 2 shown]
	ds_read2_b64 v[99:102], v125 offset0:60 offset1:61
	s_waitcnt lgkmcnt(0)
	v_mul_f64 v[103:104], v[101:102], v[105:106]
	v_fma_f64 v[103:104], v[99:100], v[97:98], -v[103:104]
	v_mul_f64 v[99:100], v[99:100], v[105:106]
	v_add_f64 v[65:66], v[65:66], -v[103:104]
	v_fma_f64 v[99:100], v[101:102], v[97:98], v[99:100]
	v_add_f64 v[67:68], v[67:68], -v[99:100]
	ds_read2_b64 v[99:102], v125 offset0:62 offset1:63
	s_waitcnt lgkmcnt(0)
	v_mul_f64 v[103:104], v[101:102], v[105:106]
	v_fma_f64 v[103:104], v[99:100], v[97:98], -v[103:104]
	v_mul_f64 v[99:100], v[99:100], v[105:106]
	v_add_f64 v[61:62], v[61:62], -v[103:104]
	v_fma_f64 v[99:100], v[101:102], v[97:98], v[99:100]
	v_add_f64 v[63:64], v[63:64], -v[99:100]
	;; [unrolled: 8-line block ×17, first 2 shown]
	ds_read2_b64 v[99:102], v125 offset0:94 offset1:95
	s_waitcnt lgkmcnt(0)
	v_mul_f64 v[103:104], v[101:102], v[105:106]
	v_fma_f64 v[103:104], v[99:100], v[97:98], -v[103:104]
	v_mul_f64 v[99:100], v[99:100], v[105:106]
	v_add_f64 v[73:74], v[73:74], -v[103:104]
	v_fma_f64 v[99:100], v[101:102], v[97:98], v[99:100]
	v_mov_b32_e32 v104, v98
	v_mov_b32_e32 v103, v97
	buffer_store_dword v103, off, s[20:23], 0 offset:288 ; 4-byte Folded Spill
	s_nop 0
	buffer_store_dword v104, off, s[20:23], 0 offset:292 ; 4-byte Folded Spill
	buffer_store_dword v105, off, s[20:23], 0 offset:296 ; 4-byte Folded Spill
	;; [unrolled: 1-line block ×3, first 2 shown]
	v_add_f64 v[75:76], v[75:76], -v[99:100]
.LBB95_64:
	s_or_b64 exec, exec, s[2:3]
	v_cmp_eq_u32_e32 vcc, 7, v0
	s_waitcnt vmcnt(0)
	s_barrier
	s_and_saveexec_b64 s[4:5], vcc
	s_cbranch_execz .LBB95_71
; %bb.65:
	buffer_load_dword v69, off, s[20:23], 0 offset:272 ; 4-byte Folded Reload
	buffer_load_dword v70, off, s[20:23], 0 offset:276 ; 4-byte Folded Reload
	;; [unrolled: 1-line block ×4, first 2 shown]
	s_waitcnt vmcnt(0)
	ds_write2_b64 v127, v[69:70], v[71:72] offset1:1
	buffer_load_dword v69, off, s[20:23], 0 offset:256 ; 4-byte Folded Reload
	buffer_load_dword v70, off, s[20:23], 0 offset:260 ; 4-byte Folded Reload
	buffer_load_dword v71, off, s[20:23], 0 offset:264 ; 4-byte Folded Reload
	buffer_load_dword v72, off, s[20:23], 0 offset:268 ; 4-byte Folded Reload
	s_waitcnt vmcnt(0)
	ds_write2_b64 v125, v[69:70], v[71:72] offset0:16 offset1:17
	buffer_load_dword v69, off, s[20:23], 0 offset:240 ; 4-byte Folded Reload
	buffer_load_dword v70, off, s[20:23], 0 offset:244 ; 4-byte Folded Reload
	buffer_load_dword v71, off, s[20:23], 0 offset:248 ; 4-byte Folded Reload
	buffer_load_dword v72, off, s[20:23], 0 offset:252 ; 4-byte Folded Reload
	s_waitcnt vmcnt(0)
	ds_write2_b64 v125, v[69:70], v[71:72] offset0:18 offset1:19
	;; [unrolled: 6-line block ×14, first 2 shown]
	ds_write2_b64 v125, v[121:122], v[123:124] offset0:44 offset1:45
	ds_write2_b64 v125, v[117:118], v[119:120] offset0:46 offset1:47
	;; [unrolled: 1-line block ×5, first 2 shown]
	buffer_load_dword v77, off, s[20:23], 0 offset:32 ; 4-byte Folded Reload
	buffer_load_dword v78, off, s[20:23], 0 offset:36 ; 4-byte Folded Reload
	;; [unrolled: 1-line block ×4, first 2 shown]
	v_mov_b32_e32 v69, v73
	v_mov_b32_e32 v70, v74
	;; [unrolled: 1-line block ×4, first 2 shown]
	s_waitcnt vmcnt(0)
	ds_write2_b64 v125, v[77:78], v[79:80] offset0:54 offset1:55
	buffer_load_dword v73, off, s[20:23], 0 offset:16 ; 4-byte Folded Reload
	buffer_load_dword v74, off, s[20:23], 0 offset:20 ; 4-byte Folded Reload
	;; [unrolled: 1-line block ×4, first 2 shown]
	s_waitcnt vmcnt(0)
	ds_write2_b64 v125, v[73:74], v[75:76] offset0:56 offset1:57
	v_mov_b32_e32 v76, v72
	v_mov_b32_e32 v75, v71
	;; [unrolled: 1-line block ×4, first 2 shown]
	buffer_load_dword v69, off, s[20:23], 0 ; 4-byte Folded Reload
	buffer_load_dword v70, off, s[20:23], 0 offset:4 ; 4-byte Folded Reload
	buffer_load_dword v71, off, s[20:23], 0 offset:8 ; 4-byte Folded Reload
	;; [unrolled: 1-line block ×3, first 2 shown]
	s_waitcnt vmcnt(0)
	ds_write2_b64 v125, v[69:70], v[71:72] offset0:58 offset1:59
	ds_write2_b64 v125, v[65:66], v[67:68] offset0:60 offset1:61
	;; [unrolled: 1-line block ×19, first 2 shown]
	ds_read2_b64 v[97:100], v127 offset1:1
	s_waitcnt lgkmcnt(0)
	v_cmp_neq_f64_e32 vcc, 0, v[97:98]
	v_cmp_neq_f64_e64 s[2:3], 0, v[99:100]
	s_or_b64 s[2:3], vcc, s[2:3]
	s_and_b64 exec, exec, s[2:3]
	s_cbranch_execz .LBB95_71
; %bb.66:
	v_cmp_ngt_f64_e64 s[2:3], |v[97:98]|, |v[99:100]|
                                        ; implicit-def: $vgpr101_vgpr102
	s_and_saveexec_b64 s[6:7], s[2:3]
	s_xor_b64 s[2:3], exec, s[6:7]
                                        ; implicit-def: $vgpr103_vgpr104
	s_cbranch_execz .LBB95_68
; %bb.67:
	v_div_scale_f64 v[101:102], s[6:7], v[99:100], v[99:100], v[97:98]
	v_rcp_f64_e32 v[103:104], v[101:102]
	v_fma_f64 v[105:106], -v[101:102], v[103:104], 1.0
	v_fma_f64 v[103:104], v[103:104], v[105:106], v[103:104]
	v_div_scale_f64 v[105:106], vcc, v[97:98], v[99:100], v[97:98]
	v_fma_f64 v[107:108], -v[101:102], v[103:104], 1.0
	v_fma_f64 v[103:104], v[103:104], v[107:108], v[103:104]
	v_mul_f64 v[107:108], v[105:106], v[103:104]
	v_fma_f64 v[101:102], -v[101:102], v[107:108], v[105:106]
	v_div_fmas_f64 v[101:102], v[101:102], v[103:104], v[107:108]
	v_div_fixup_f64 v[101:102], v[101:102], v[99:100], v[97:98]
	v_fma_f64 v[97:98], v[97:98], v[101:102], v[99:100]
	v_div_scale_f64 v[99:100], s[6:7], v[97:98], v[97:98], 1.0
	v_div_scale_f64 v[107:108], vcc, 1.0, v[97:98], 1.0
	v_rcp_f64_e32 v[103:104], v[99:100]
	v_fma_f64 v[105:106], -v[99:100], v[103:104], 1.0
	v_fma_f64 v[103:104], v[103:104], v[105:106], v[103:104]
	v_fma_f64 v[105:106], -v[99:100], v[103:104], 1.0
	v_fma_f64 v[103:104], v[103:104], v[105:106], v[103:104]
	v_mul_f64 v[105:106], v[107:108], v[103:104]
	v_fma_f64 v[99:100], -v[99:100], v[105:106], v[107:108]
	v_div_fmas_f64 v[99:100], v[99:100], v[103:104], v[105:106]
	v_div_fixup_f64 v[103:104], v[99:100], v[97:98], 1.0
                                        ; implicit-def: $vgpr97_vgpr98
	v_mul_f64 v[101:102], v[101:102], v[103:104]
	v_xor_b32_e32 v104, 0x80000000, v104
.LBB95_68:
	s_andn2_saveexec_b64 s[2:3], s[2:3]
	s_cbranch_execz .LBB95_70
; %bb.69:
	v_div_scale_f64 v[101:102], s[6:7], v[97:98], v[97:98], v[99:100]
	v_rcp_f64_e32 v[103:104], v[101:102]
	v_fma_f64 v[105:106], -v[101:102], v[103:104], 1.0
	v_fma_f64 v[103:104], v[103:104], v[105:106], v[103:104]
	v_div_scale_f64 v[105:106], vcc, v[99:100], v[97:98], v[99:100]
	v_fma_f64 v[107:108], -v[101:102], v[103:104], 1.0
	v_fma_f64 v[103:104], v[103:104], v[107:108], v[103:104]
	v_mul_f64 v[107:108], v[105:106], v[103:104]
	v_fma_f64 v[101:102], -v[101:102], v[107:108], v[105:106]
	v_div_fmas_f64 v[101:102], v[101:102], v[103:104], v[107:108]
	v_div_fixup_f64 v[103:104], v[101:102], v[97:98], v[99:100]
	v_fma_f64 v[97:98], v[99:100], v[103:104], v[97:98]
	v_div_scale_f64 v[99:100], s[6:7], v[97:98], v[97:98], 1.0
	v_div_scale_f64 v[107:108], vcc, 1.0, v[97:98], 1.0
	v_rcp_f64_e32 v[101:102], v[99:100]
	v_fma_f64 v[105:106], -v[99:100], v[101:102], 1.0
	v_fma_f64 v[101:102], v[101:102], v[105:106], v[101:102]
	v_fma_f64 v[105:106], -v[99:100], v[101:102], 1.0
	v_fma_f64 v[101:102], v[101:102], v[105:106], v[101:102]
	v_mul_f64 v[105:106], v[107:108], v[101:102]
	v_fma_f64 v[99:100], -v[99:100], v[105:106], v[107:108]
	v_div_fmas_f64 v[99:100], v[99:100], v[101:102], v[105:106]
	v_div_fixup_f64 v[101:102], v[99:100], v[97:98], 1.0
	v_mul_f64 v[103:104], v[103:104], -v[101:102]
.LBB95_70:
	s_or_b64 exec, exec, s[2:3]
	ds_write2_b64 v127, v[101:102], v[103:104] offset1:1
.LBB95_71:
	s_or_b64 exec, exec, s[4:5]
	s_waitcnt lgkmcnt(0)
	s_barrier
	ds_read2_b64 v[69:72], v127 offset1:1
	v_cmp_lt_u32_e32 vcc, 7, v0
	s_waitcnt lgkmcnt(0)
	buffer_store_dword v69, off, s[20:23], 0 offset:888 ; 4-byte Folded Spill
	s_nop 0
	buffer_store_dword v70, off, s[20:23], 0 offset:892 ; 4-byte Folded Spill
	buffer_store_dword v71, off, s[20:23], 0 offset:896 ; 4-byte Folded Spill
	;; [unrolled: 1-line block ×3, first 2 shown]
	s_and_saveexec_b64 s[2:3], vcc
	s_cbranch_execz .LBB95_73
; %bb.72:
	buffer_load_dword v103, off, s[20:23], 0 offset:272 ; 4-byte Folded Reload
	buffer_load_dword v104, off, s[20:23], 0 offset:276 ; 4-byte Folded Reload
	;; [unrolled: 1-line block ×8, first 2 shown]
	s_waitcnt vmcnt(2)
	v_mul_f64 v[99:100], v[69:70], v[105:106]
	s_waitcnt vmcnt(0)
	v_mul_f64 v[97:98], v[71:72], v[105:106]
	v_fma_f64 v[105:106], v[71:72], v[103:104], v[99:100]
	ds_read2_b64 v[99:102], v125 offset0:16 offset1:17
	v_fma_f64 v[97:98], v[69:70], v[103:104], -v[97:98]
	buffer_load_dword v69, off, s[20:23], 0 offset:256 ; 4-byte Folded Reload
	buffer_load_dword v70, off, s[20:23], 0 offset:260 ; 4-byte Folded Reload
	buffer_load_dword v71, off, s[20:23], 0 offset:264 ; 4-byte Folded Reload
	buffer_load_dword v72, off, s[20:23], 0 offset:268 ; 4-byte Folded Reload
	s_waitcnt lgkmcnt(0)
	v_mul_f64 v[103:104], v[101:102], v[105:106]
	v_fma_f64 v[103:104], v[99:100], v[97:98], -v[103:104]
	v_mul_f64 v[99:100], v[99:100], v[105:106]
	v_fma_f64 v[99:100], v[101:102], v[97:98], v[99:100]
	s_waitcnt vmcnt(2)
	v_add_f64 v[69:70], v[69:70], -v[103:104]
	s_waitcnt vmcnt(0)
	v_add_f64 v[71:72], v[71:72], -v[99:100]
	buffer_store_dword v69, off, s[20:23], 0 offset:256 ; 4-byte Folded Spill
	s_nop 0
	buffer_store_dword v70, off, s[20:23], 0 offset:260 ; 4-byte Folded Spill
	buffer_store_dword v71, off, s[20:23], 0 offset:264 ; 4-byte Folded Spill
	buffer_store_dword v72, off, s[20:23], 0 offset:268 ; 4-byte Folded Spill
	ds_read2_b64 v[99:102], v125 offset0:18 offset1:19
	buffer_load_dword v69, off, s[20:23], 0 offset:240 ; 4-byte Folded Reload
	buffer_load_dword v70, off, s[20:23], 0 offset:244 ; 4-byte Folded Reload
	buffer_load_dword v71, off, s[20:23], 0 offset:248 ; 4-byte Folded Reload
	buffer_load_dword v72, off, s[20:23], 0 offset:252 ; 4-byte Folded Reload
	s_waitcnt lgkmcnt(0)
	v_mul_f64 v[103:104], v[101:102], v[105:106]
	v_fma_f64 v[103:104], v[99:100], v[97:98], -v[103:104]
	v_mul_f64 v[99:100], v[99:100], v[105:106]
	v_fma_f64 v[99:100], v[101:102], v[97:98], v[99:100]
	s_waitcnt vmcnt(2)
	v_add_f64 v[69:70], v[69:70], -v[103:104]
	s_waitcnt vmcnt(0)
	v_add_f64 v[71:72], v[71:72], -v[99:100]
	buffer_store_dword v69, off, s[20:23], 0 offset:240 ; 4-byte Folded Spill
	s_nop 0
	buffer_store_dword v70, off, s[20:23], 0 offset:244 ; 4-byte Folded Spill
	buffer_store_dword v71, off, s[20:23], 0 offset:248 ; 4-byte Folded Spill
	buffer_store_dword v72, off, s[20:23], 0 offset:252 ; 4-byte Folded Spill
	ds_read2_b64 v[99:102], v125 offset0:20 offset1:21
	;; [unrolled: 19-line block ×14, first 2 shown]
	v_mov_b32_e32 v69, v73
	v_mov_b32_e32 v70, v74
	;; [unrolled: 1-line block ×4, first 2 shown]
	s_waitcnt lgkmcnt(0)
	v_mul_f64 v[103:104], v[101:102], v[105:106]
	v_fma_f64 v[103:104], v[99:100], v[97:98], -v[103:104]
	v_mul_f64 v[99:100], v[99:100], v[105:106]
	v_add_f64 v[121:122], v[121:122], -v[103:104]
	v_fma_f64 v[99:100], v[101:102], v[97:98], v[99:100]
	v_add_f64 v[123:124], v[123:124], -v[99:100]
	ds_read2_b64 v[99:102], v125 offset0:46 offset1:47
	s_waitcnt lgkmcnt(0)
	v_mul_f64 v[103:104], v[101:102], v[105:106]
	v_fma_f64 v[103:104], v[99:100], v[97:98], -v[103:104]
	v_mul_f64 v[99:100], v[99:100], v[105:106]
	v_add_f64 v[117:118], v[117:118], -v[103:104]
	v_fma_f64 v[99:100], v[101:102], v[97:98], v[99:100]
	v_add_f64 v[119:120], v[119:120], -v[99:100]
	ds_read2_b64 v[99:102], v125 offset0:48 offset1:49
	;; [unrolled: 8-line block ×5, first 2 shown]
	buffer_load_dword v77, off, s[20:23], 0 offset:32 ; 4-byte Folded Reload
	buffer_load_dword v78, off, s[20:23], 0 offset:36 ; 4-byte Folded Reload
	;; [unrolled: 1-line block ×4, first 2 shown]
	s_waitcnt lgkmcnt(0)
	v_mul_f64 v[103:104], v[101:102], v[105:106]
	v_fma_f64 v[103:104], v[99:100], v[97:98], -v[103:104]
	v_mul_f64 v[99:100], v[99:100], v[105:106]
	v_fma_f64 v[99:100], v[101:102], v[97:98], v[99:100]
	s_waitcnt vmcnt(2)
	v_add_f64 v[77:78], v[77:78], -v[103:104]
	s_waitcnt vmcnt(0)
	v_add_f64 v[79:80], v[79:80], -v[99:100]
	buffer_store_dword v77, off, s[20:23], 0 offset:32 ; 4-byte Folded Spill
	s_nop 0
	buffer_store_dword v78, off, s[20:23], 0 offset:36 ; 4-byte Folded Spill
	buffer_store_dword v79, off, s[20:23], 0 offset:40 ; 4-byte Folded Spill
	;; [unrolled: 1-line block ×3, first 2 shown]
	ds_read2_b64 v[99:102], v125 offset0:56 offset1:57
	buffer_load_dword v73, off, s[20:23], 0 offset:16 ; 4-byte Folded Reload
	buffer_load_dword v74, off, s[20:23], 0 offset:20 ; 4-byte Folded Reload
	;; [unrolled: 1-line block ×4, first 2 shown]
	s_waitcnt lgkmcnt(0)
	v_mul_f64 v[103:104], v[101:102], v[105:106]
	v_fma_f64 v[103:104], v[99:100], v[97:98], -v[103:104]
	v_mul_f64 v[99:100], v[99:100], v[105:106]
	v_fma_f64 v[99:100], v[101:102], v[97:98], v[99:100]
	s_waitcnt vmcnt(2)
	v_add_f64 v[73:74], v[73:74], -v[103:104]
	s_waitcnt vmcnt(0)
	v_add_f64 v[75:76], v[75:76], -v[99:100]
	buffer_store_dword v73, off, s[20:23], 0 offset:16 ; 4-byte Folded Spill
	s_nop 0
	buffer_store_dword v74, off, s[20:23], 0 offset:20 ; 4-byte Folded Spill
	buffer_store_dword v75, off, s[20:23], 0 offset:24 ; 4-byte Folded Spill
	buffer_store_dword v76, off, s[20:23], 0 offset:28 ; 4-byte Folded Spill
	v_mov_b32_e32 v76, v72
	v_mov_b32_e32 v75, v71
	;; [unrolled: 1-line block ×4, first 2 shown]
	ds_read2_b64 v[99:102], v125 offset0:58 offset1:59
	buffer_load_dword v69, off, s[20:23], 0 ; 4-byte Folded Reload
	buffer_load_dword v70, off, s[20:23], 0 offset:4 ; 4-byte Folded Reload
	buffer_load_dword v71, off, s[20:23], 0 offset:8 ; 4-byte Folded Reload
	;; [unrolled: 1-line block ×3, first 2 shown]
	s_waitcnt lgkmcnt(0)
	v_mul_f64 v[103:104], v[101:102], v[105:106]
	v_fma_f64 v[103:104], v[99:100], v[97:98], -v[103:104]
	v_mul_f64 v[99:100], v[99:100], v[105:106]
	v_fma_f64 v[99:100], v[101:102], v[97:98], v[99:100]
	s_waitcnt vmcnt(2)
	v_add_f64 v[69:70], v[69:70], -v[103:104]
	s_waitcnt vmcnt(0)
	v_add_f64 v[71:72], v[71:72], -v[99:100]
	buffer_store_dword v69, off, s[20:23], 0 ; 4-byte Folded Spill
	s_nop 0
	buffer_store_dword v70, off, s[20:23], 0 offset:4 ; 4-byte Folded Spill
	buffer_store_dword v71, off, s[20:23], 0 offset:8 ; 4-byte Folded Spill
	;; [unrolled: 1-line block ×3, first 2 shown]
	ds_read2_b64 v[99:102], v125 offset0:60 offset1:61
	s_waitcnt lgkmcnt(0)
	v_mul_f64 v[103:104], v[101:102], v[105:106]
	v_fma_f64 v[103:104], v[99:100], v[97:98], -v[103:104]
	v_mul_f64 v[99:100], v[99:100], v[105:106]
	v_add_f64 v[65:66], v[65:66], -v[103:104]
	v_fma_f64 v[99:100], v[101:102], v[97:98], v[99:100]
	v_add_f64 v[67:68], v[67:68], -v[99:100]
	ds_read2_b64 v[99:102], v125 offset0:62 offset1:63
	s_waitcnt lgkmcnt(0)
	v_mul_f64 v[103:104], v[101:102], v[105:106]
	v_fma_f64 v[103:104], v[99:100], v[97:98], -v[103:104]
	v_mul_f64 v[99:100], v[99:100], v[105:106]
	v_add_f64 v[61:62], v[61:62], -v[103:104]
	v_fma_f64 v[99:100], v[101:102], v[97:98], v[99:100]
	v_add_f64 v[63:64], v[63:64], -v[99:100]
	;; [unrolled: 8-line block ×17, first 2 shown]
	ds_read2_b64 v[99:102], v125 offset0:94 offset1:95
	s_waitcnt lgkmcnt(0)
	v_mul_f64 v[103:104], v[101:102], v[105:106]
	v_fma_f64 v[103:104], v[99:100], v[97:98], -v[103:104]
	v_mul_f64 v[99:100], v[99:100], v[105:106]
	v_add_f64 v[73:74], v[73:74], -v[103:104]
	v_fma_f64 v[99:100], v[101:102], v[97:98], v[99:100]
	v_mov_b32_e32 v104, v98
	v_mov_b32_e32 v103, v97
	buffer_store_dword v103, off, s[20:23], 0 offset:272 ; 4-byte Folded Spill
	s_nop 0
	buffer_store_dword v104, off, s[20:23], 0 offset:276 ; 4-byte Folded Spill
	buffer_store_dword v105, off, s[20:23], 0 offset:280 ; 4-byte Folded Spill
	;; [unrolled: 1-line block ×3, first 2 shown]
	v_add_f64 v[75:76], v[75:76], -v[99:100]
.LBB95_73:
	s_or_b64 exec, exec, s[2:3]
	v_cmp_eq_u32_e32 vcc, 8, v0
	s_waitcnt vmcnt(0)
	s_barrier
	s_and_saveexec_b64 s[4:5], vcc
	s_cbranch_execz .LBB95_80
; %bb.74:
	buffer_load_dword v69, off, s[20:23], 0 offset:256 ; 4-byte Folded Reload
	buffer_load_dword v70, off, s[20:23], 0 offset:260 ; 4-byte Folded Reload
	;; [unrolled: 1-line block ×4, first 2 shown]
	s_waitcnt vmcnt(0)
	ds_write2_b64 v127, v[69:70], v[71:72] offset1:1
	buffer_load_dword v69, off, s[20:23], 0 offset:240 ; 4-byte Folded Reload
	buffer_load_dword v70, off, s[20:23], 0 offset:244 ; 4-byte Folded Reload
	buffer_load_dword v71, off, s[20:23], 0 offset:248 ; 4-byte Folded Reload
	buffer_load_dword v72, off, s[20:23], 0 offset:252 ; 4-byte Folded Reload
	s_waitcnt vmcnt(0)
	ds_write2_b64 v125, v[69:70], v[71:72] offset0:18 offset1:19
	buffer_load_dword v69, off, s[20:23], 0 offset:224 ; 4-byte Folded Reload
	buffer_load_dword v70, off, s[20:23], 0 offset:228 ; 4-byte Folded Reload
	buffer_load_dword v71, off, s[20:23], 0 offset:232 ; 4-byte Folded Reload
	buffer_load_dword v72, off, s[20:23], 0 offset:236 ; 4-byte Folded Reload
	s_waitcnt vmcnt(0)
	ds_write2_b64 v125, v[69:70], v[71:72] offset0:20 offset1:21
	;; [unrolled: 6-line block ×13, first 2 shown]
	ds_write2_b64 v125, v[121:122], v[123:124] offset0:44 offset1:45
	ds_write2_b64 v125, v[117:118], v[119:120] offset0:46 offset1:47
	;; [unrolled: 1-line block ×5, first 2 shown]
	buffer_load_dword v77, off, s[20:23], 0 offset:32 ; 4-byte Folded Reload
	buffer_load_dword v78, off, s[20:23], 0 offset:36 ; 4-byte Folded Reload
	buffer_load_dword v79, off, s[20:23], 0 offset:40 ; 4-byte Folded Reload
	buffer_load_dword v80, off, s[20:23], 0 offset:44 ; 4-byte Folded Reload
	v_mov_b32_e32 v69, v73
	v_mov_b32_e32 v70, v74
	v_mov_b32_e32 v71, v75
	v_mov_b32_e32 v72, v76
	s_waitcnt vmcnt(0)
	ds_write2_b64 v125, v[77:78], v[79:80] offset0:54 offset1:55
	buffer_load_dword v73, off, s[20:23], 0 offset:16 ; 4-byte Folded Reload
	buffer_load_dword v74, off, s[20:23], 0 offset:20 ; 4-byte Folded Reload
	;; [unrolled: 1-line block ×4, first 2 shown]
	s_waitcnt vmcnt(0)
	ds_write2_b64 v125, v[73:74], v[75:76] offset0:56 offset1:57
	v_mov_b32_e32 v76, v72
	v_mov_b32_e32 v75, v71
	;; [unrolled: 1-line block ×4, first 2 shown]
	buffer_load_dword v69, off, s[20:23], 0 ; 4-byte Folded Reload
	buffer_load_dword v70, off, s[20:23], 0 offset:4 ; 4-byte Folded Reload
	buffer_load_dword v71, off, s[20:23], 0 offset:8 ; 4-byte Folded Reload
	;; [unrolled: 1-line block ×3, first 2 shown]
	s_waitcnt vmcnt(0)
	ds_write2_b64 v125, v[69:70], v[71:72] offset0:58 offset1:59
	ds_write2_b64 v125, v[65:66], v[67:68] offset0:60 offset1:61
	;; [unrolled: 1-line block ×19, first 2 shown]
	ds_read2_b64 v[97:100], v127 offset1:1
	s_waitcnt lgkmcnt(0)
	v_cmp_neq_f64_e32 vcc, 0, v[97:98]
	v_cmp_neq_f64_e64 s[2:3], 0, v[99:100]
	s_or_b64 s[2:3], vcc, s[2:3]
	s_and_b64 exec, exec, s[2:3]
	s_cbranch_execz .LBB95_80
; %bb.75:
	v_cmp_ngt_f64_e64 s[2:3], |v[97:98]|, |v[99:100]|
                                        ; implicit-def: $vgpr101_vgpr102
	s_and_saveexec_b64 s[6:7], s[2:3]
	s_xor_b64 s[2:3], exec, s[6:7]
                                        ; implicit-def: $vgpr103_vgpr104
	s_cbranch_execz .LBB95_77
; %bb.76:
	v_div_scale_f64 v[101:102], s[6:7], v[99:100], v[99:100], v[97:98]
	v_rcp_f64_e32 v[103:104], v[101:102]
	v_fma_f64 v[105:106], -v[101:102], v[103:104], 1.0
	v_fma_f64 v[103:104], v[103:104], v[105:106], v[103:104]
	v_div_scale_f64 v[105:106], vcc, v[97:98], v[99:100], v[97:98]
	v_fma_f64 v[107:108], -v[101:102], v[103:104], 1.0
	v_fma_f64 v[103:104], v[103:104], v[107:108], v[103:104]
	v_mul_f64 v[107:108], v[105:106], v[103:104]
	v_fma_f64 v[101:102], -v[101:102], v[107:108], v[105:106]
	v_div_fmas_f64 v[101:102], v[101:102], v[103:104], v[107:108]
	v_div_fixup_f64 v[101:102], v[101:102], v[99:100], v[97:98]
	v_fma_f64 v[97:98], v[97:98], v[101:102], v[99:100]
	v_div_scale_f64 v[99:100], s[6:7], v[97:98], v[97:98], 1.0
	v_div_scale_f64 v[107:108], vcc, 1.0, v[97:98], 1.0
	v_rcp_f64_e32 v[103:104], v[99:100]
	v_fma_f64 v[105:106], -v[99:100], v[103:104], 1.0
	v_fma_f64 v[103:104], v[103:104], v[105:106], v[103:104]
	v_fma_f64 v[105:106], -v[99:100], v[103:104], 1.0
	v_fma_f64 v[103:104], v[103:104], v[105:106], v[103:104]
	v_mul_f64 v[105:106], v[107:108], v[103:104]
	v_fma_f64 v[99:100], -v[99:100], v[105:106], v[107:108]
	v_div_fmas_f64 v[99:100], v[99:100], v[103:104], v[105:106]
	v_div_fixup_f64 v[103:104], v[99:100], v[97:98], 1.0
                                        ; implicit-def: $vgpr97_vgpr98
	v_mul_f64 v[101:102], v[101:102], v[103:104]
	v_xor_b32_e32 v104, 0x80000000, v104
.LBB95_77:
	s_andn2_saveexec_b64 s[2:3], s[2:3]
	s_cbranch_execz .LBB95_79
; %bb.78:
	v_div_scale_f64 v[101:102], s[6:7], v[97:98], v[97:98], v[99:100]
	v_rcp_f64_e32 v[103:104], v[101:102]
	v_fma_f64 v[105:106], -v[101:102], v[103:104], 1.0
	v_fma_f64 v[103:104], v[103:104], v[105:106], v[103:104]
	v_div_scale_f64 v[105:106], vcc, v[99:100], v[97:98], v[99:100]
	v_fma_f64 v[107:108], -v[101:102], v[103:104], 1.0
	v_fma_f64 v[103:104], v[103:104], v[107:108], v[103:104]
	v_mul_f64 v[107:108], v[105:106], v[103:104]
	v_fma_f64 v[101:102], -v[101:102], v[107:108], v[105:106]
	v_div_fmas_f64 v[101:102], v[101:102], v[103:104], v[107:108]
	v_div_fixup_f64 v[103:104], v[101:102], v[97:98], v[99:100]
	v_fma_f64 v[97:98], v[99:100], v[103:104], v[97:98]
	v_div_scale_f64 v[99:100], s[6:7], v[97:98], v[97:98], 1.0
	v_div_scale_f64 v[107:108], vcc, 1.0, v[97:98], 1.0
	v_rcp_f64_e32 v[101:102], v[99:100]
	v_fma_f64 v[105:106], -v[99:100], v[101:102], 1.0
	v_fma_f64 v[101:102], v[101:102], v[105:106], v[101:102]
	v_fma_f64 v[105:106], -v[99:100], v[101:102], 1.0
	v_fma_f64 v[101:102], v[101:102], v[105:106], v[101:102]
	v_mul_f64 v[105:106], v[107:108], v[101:102]
	v_fma_f64 v[99:100], -v[99:100], v[105:106], v[107:108]
	v_div_fmas_f64 v[99:100], v[99:100], v[101:102], v[105:106]
	v_div_fixup_f64 v[101:102], v[99:100], v[97:98], 1.0
	v_mul_f64 v[103:104], v[103:104], -v[101:102]
.LBB95_79:
	s_or_b64 exec, exec, s[2:3]
	ds_write2_b64 v127, v[101:102], v[103:104] offset1:1
.LBB95_80:
	s_or_b64 exec, exec, s[4:5]
	s_waitcnt lgkmcnt(0)
	s_barrier
	ds_read2_b64 v[69:72], v127 offset1:1
	v_cmp_lt_u32_e32 vcc, 8, v0
	s_waitcnt lgkmcnt(0)
	buffer_store_dword v69, off, s[20:23], 0 offset:904 ; 4-byte Folded Spill
	s_nop 0
	buffer_store_dword v70, off, s[20:23], 0 offset:908 ; 4-byte Folded Spill
	buffer_store_dword v71, off, s[20:23], 0 offset:912 ; 4-byte Folded Spill
	;; [unrolled: 1-line block ×3, first 2 shown]
	s_and_saveexec_b64 s[2:3], vcc
	s_cbranch_execz .LBB95_82
; %bb.81:
	buffer_load_dword v103, off, s[20:23], 0 offset:256 ; 4-byte Folded Reload
	buffer_load_dword v104, off, s[20:23], 0 offset:260 ; 4-byte Folded Reload
	;; [unrolled: 1-line block ×8, first 2 shown]
	s_waitcnt vmcnt(2)
	v_mul_f64 v[99:100], v[69:70], v[105:106]
	s_waitcnt vmcnt(0)
	v_mul_f64 v[97:98], v[71:72], v[105:106]
	v_fma_f64 v[105:106], v[71:72], v[103:104], v[99:100]
	ds_read2_b64 v[99:102], v125 offset0:18 offset1:19
	v_fma_f64 v[97:98], v[69:70], v[103:104], -v[97:98]
	buffer_load_dword v69, off, s[20:23], 0 offset:240 ; 4-byte Folded Reload
	buffer_load_dword v70, off, s[20:23], 0 offset:244 ; 4-byte Folded Reload
	buffer_load_dword v71, off, s[20:23], 0 offset:248 ; 4-byte Folded Reload
	buffer_load_dword v72, off, s[20:23], 0 offset:252 ; 4-byte Folded Reload
	s_waitcnt lgkmcnt(0)
	v_mul_f64 v[103:104], v[101:102], v[105:106]
	v_fma_f64 v[103:104], v[99:100], v[97:98], -v[103:104]
	v_mul_f64 v[99:100], v[99:100], v[105:106]
	v_fma_f64 v[99:100], v[101:102], v[97:98], v[99:100]
	s_waitcnt vmcnt(2)
	v_add_f64 v[69:70], v[69:70], -v[103:104]
	s_waitcnt vmcnt(0)
	v_add_f64 v[71:72], v[71:72], -v[99:100]
	buffer_store_dword v69, off, s[20:23], 0 offset:240 ; 4-byte Folded Spill
	s_nop 0
	buffer_store_dword v70, off, s[20:23], 0 offset:244 ; 4-byte Folded Spill
	buffer_store_dword v71, off, s[20:23], 0 offset:248 ; 4-byte Folded Spill
	buffer_store_dword v72, off, s[20:23], 0 offset:252 ; 4-byte Folded Spill
	ds_read2_b64 v[99:102], v125 offset0:20 offset1:21
	buffer_load_dword v69, off, s[20:23], 0 offset:224 ; 4-byte Folded Reload
	buffer_load_dword v70, off, s[20:23], 0 offset:228 ; 4-byte Folded Reload
	buffer_load_dword v71, off, s[20:23], 0 offset:232 ; 4-byte Folded Reload
	buffer_load_dword v72, off, s[20:23], 0 offset:236 ; 4-byte Folded Reload
	s_waitcnt lgkmcnt(0)
	v_mul_f64 v[103:104], v[101:102], v[105:106]
	v_fma_f64 v[103:104], v[99:100], v[97:98], -v[103:104]
	v_mul_f64 v[99:100], v[99:100], v[105:106]
	v_fma_f64 v[99:100], v[101:102], v[97:98], v[99:100]
	s_waitcnt vmcnt(2)
	v_add_f64 v[69:70], v[69:70], -v[103:104]
	s_waitcnt vmcnt(0)
	v_add_f64 v[71:72], v[71:72], -v[99:100]
	buffer_store_dword v69, off, s[20:23], 0 offset:224 ; 4-byte Folded Spill
	s_nop 0
	buffer_store_dword v70, off, s[20:23], 0 offset:228 ; 4-byte Folded Spill
	buffer_store_dword v71, off, s[20:23], 0 offset:232 ; 4-byte Folded Spill
	buffer_store_dword v72, off, s[20:23], 0 offset:236 ; 4-byte Folded Spill
	ds_read2_b64 v[99:102], v125 offset0:22 offset1:23
	buffer_load_dword v69, off, s[20:23], 0 offset:208 ; 4-byte Folded Reload
	buffer_load_dword v70, off, s[20:23], 0 offset:212 ; 4-byte Folded Reload
	buffer_load_dword v71, off, s[20:23], 0 offset:216 ; 4-byte Folded Reload
	buffer_load_dword v72, off, s[20:23], 0 offset:220 ; 4-byte Folded Reload
	s_waitcnt lgkmcnt(0)
	v_mul_f64 v[103:104], v[101:102], v[105:106]
	v_fma_f64 v[103:104], v[99:100], v[97:98], -v[103:104]
	v_mul_f64 v[99:100], v[99:100], v[105:106]
	v_fma_f64 v[99:100], v[101:102], v[97:98], v[99:100]
	s_waitcnt vmcnt(2)
	v_add_f64 v[69:70], v[69:70], -v[103:104]
	s_waitcnt vmcnt(0)
	v_add_f64 v[71:72], v[71:72], -v[99:100]
	buffer_store_dword v69, off, s[20:23], 0 offset:208 ; 4-byte Folded Spill
	s_nop 0
	buffer_store_dword v70, off, s[20:23], 0 offset:212 ; 4-byte Folded Spill
	buffer_store_dword v71, off, s[20:23], 0 offset:216 ; 4-byte Folded Spill
	buffer_store_dword v72, off, s[20:23], 0 offset:220 ; 4-byte Folded Spill
	ds_read2_b64 v[99:102], v125 offset0:24 offset1:25
	buffer_load_dword v69, off, s[20:23], 0 offset:192 ; 4-byte Folded Reload
	buffer_load_dword v70, off, s[20:23], 0 offset:196 ; 4-byte Folded Reload
	buffer_load_dword v71, off, s[20:23], 0 offset:200 ; 4-byte Folded Reload
	buffer_load_dword v72, off, s[20:23], 0 offset:204 ; 4-byte Folded Reload
	s_waitcnt lgkmcnt(0)
	v_mul_f64 v[103:104], v[101:102], v[105:106]
	v_fma_f64 v[103:104], v[99:100], v[97:98], -v[103:104]
	v_mul_f64 v[99:100], v[99:100], v[105:106]
	v_fma_f64 v[99:100], v[101:102], v[97:98], v[99:100]
	s_waitcnt vmcnt(2)
	v_add_f64 v[69:70], v[69:70], -v[103:104]
	s_waitcnt vmcnt(0)
	v_add_f64 v[71:72], v[71:72], -v[99:100]
	buffer_store_dword v69, off, s[20:23], 0 offset:192 ; 4-byte Folded Spill
	s_nop 0
	buffer_store_dword v70, off, s[20:23], 0 offset:196 ; 4-byte Folded Spill
	buffer_store_dword v71, off, s[20:23], 0 offset:200 ; 4-byte Folded Spill
	buffer_store_dword v72, off, s[20:23], 0 offset:204 ; 4-byte Folded Spill
	ds_read2_b64 v[99:102], v125 offset0:26 offset1:27
	buffer_load_dword v69, off, s[20:23], 0 offset:176 ; 4-byte Folded Reload
	buffer_load_dword v70, off, s[20:23], 0 offset:180 ; 4-byte Folded Reload
	buffer_load_dword v71, off, s[20:23], 0 offset:184 ; 4-byte Folded Reload
	buffer_load_dword v72, off, s[20:23], 0 offset:188 ; 4-byte Folded Reload
	s_waitcnt lgkmcnt(0)
	v_mul_f64 v[103:104], v[101:102], v[105:106]
	v_fma_f64 v[103:104], v[99:100], v[97:98], -v[103:104]
	v_mul_f64 v[99:100], v[99:100], v[105:106]
	v_fma_f64 v[99:100], v[101:102], v[97:98], v[99:100]
	s_waitcnt vmcnt(2)
	v_add_f64 v[69:70], v[69:70], -v[103:104]
	s_waitcnt vmcnt(0)
	v_add_f64 v[71:72], v[71:72], -v[99:100]
	buffer_store_dword v69, off, s[20:23], 0 offset:176 ; 4-byte Folded Spill
	s_nop 0
	buffer_store_dword v70, off, s[20:23], 0 offset:180 ; 4-byte Folded Spill
	buffer_store_dword v71, off, s[20:23], 0 offset:184 ; 4-byte Folded Spill
	buffer_store_dword v72, off, s[20:23], 0 offset:188 ; 4-byte Folded Spill
	ds_read2_b64 v[99:102], v125 offset0:28 offset1:29
	buffer_load_dword v69, off, s[20:23], 0 offset:160 ; 4-byte Folded Reload
	buffer_load_dword v70, off, s[20:23], 0 offset:164 ; 4-byte Folded Reload
	buffer_load_dword v71, off, s[20:23], 0 offset:168 ; 4-byte Folded Reload
	buffer_load_dword v72, off, s[20:23], 0 offset:172 ; 4-byte Folded Reload
	s_waitcnt lgkmcnt(0)
	v_mul_f64 v[103:104], v[101:102], v[105:106]
	v_fma_f64 v[103:104], v[99:100], v[97:98], -v[103:104]
	v_mul_f64 v[99:100], v[99:100], v[105:106]
	v_fma_f64 v[99:100], v[101:102], v[97:98], v[99:100]
	s_waitcnt vmcnt(2)
	v_add_f64 v[69:70], v[69:70], -v[103:104]
	s_waitcnt vmcnt(0)
	v_add_f64 v[71:72], v[71:72], -v[99:100]
	buffer_store_dword v69, off, s[20:23], 0 offset:160 ; 4-byte Folded Spill
	s_nop 0
	buffer_store_dword v70, off, s[20:23], 0 offset:164 ; 4-byte Folded Spill
	buffer_store_dword v71, off, s[20:23], 0 offset:168 ; 4-byte Folded Spill
	buffer_store_dword v72, off, s[20:23], 0 offset:172 ; 4-byte Folded Spill
	ds_read2_b64 v[99:102], v125 offset0:30 offset1:31
	buffer_load_dword v69, off, s[20:23], 0 offset:144 ; 4-byte Folded Reload
	buffer_load_dword v70, off, s[20:23], 0 offset:148 ; 4-byte Folded Reload
	buffer_load_dword v71, off, s[20:23], 0 offset:152 ; 4-byte Folded Reload
	buffer_load_dword v72, off, s[20:23], 0 offset:156 ; 4-byte Folded Reload
	s_waitcnt lgkmcnt(0)
	v_mul_f64 v[103:104], v[101:102], v[105:106]
	v_fma_f64 v[103:104], v[99:100], v[97:98], -v[103:104]
	v_mul_f64 v[99:100], v[99:100], v[105:106]
	v_fma_f64 v[99:100], v[101:102], v[97:98], v[99:100]
	s_waitcnt vmcnt(2)
	v_add_f64 v[69:70], v[69:70], -v[103:104]
	s_waitcnt vmcnt(0)
	v_add_f64 v[71:72], v[71:72], -v[99:100]
	buffer_store_dword v69, off, s[20:23], 0 offset:144 ; 4-byte Folded Spill
	s_nop 0
	buffer_store_dword v70, off, s[20:23], 0 offset:148 ; 4-byte Folded Spill
	buffer_store_dword v71, off, s[20:23], 0 offset:152 ; 4-byte Folded Spill
	buffer_store_dword v72, off, s[20:23], 0 offset:156 ; 4-byte Folded Spill
	ds_read2_b64 v[99:102], v125 offset0:32 offset1:33
	buffer_load_dword v69, off, s[20:23], 0 offset:128 ; 4-byte Folded Reload
	buffer_load_dword v70, off, s[20:23], 0 offset:132 ; 4-byte Folded Reload
	buffer_load_dword v71, off, s[20:23], 0 offset:136 ; 4-byte Folded Reload
	buffer_load_dword v72, off, s[20:23], 0 offset:140 ; 4-byte Folded Reload
	s_waitcnt lgkmcnt(0)
	v_mul_f64 v[103:104], v[101:102], v[105:106]
	v_fma_f64 v[103:104], v[99:100], v[97:98], -v[103:104]
	v_mul_f64 v[99:100], v[99:100], v[105:106]
	v_fma_f64 v[99:100], v[101:102], v[97:98], v[99:100]
	s_waitcnt vmcnt(2)
	v_add_f64 v[69:70], v[69:70], -v[103:104]
	s_waitcnt vmcnt(0)
	v_add_f64 v[71:72], v[71:72], -v[99:100]
	buffer_store_dword v69, off, s[20:23], 0 offset:128 ; 4-byte Folded Spill
	s_nop 0
	buffer_store_dword v70, off, s[20:23], 0 offset:132 ; 4-byte Folded Spill
	buffer_store_dword v71, off, s[20:23], 0 offset:136 ; 4-byte Folded Spill
	buffer_store_dword v72, off, s[20:23], 0 offset:140 ; 4-byte Folded Spill
	ds_read2_b64 v[99:102], v125 offset0:34 offset1:35
	buffer_load_dword v69, off, s[20:23], 0 offset:112 ; 4-byte Folded Reload
	buffer_load_dword v70, off, s[20:23], 0 offset:116 ; 4-byte Folded Reload
	buffer_load_dword v71, off, s[20:23], 0 offset:120 ; 4-byte Folded Reload
	buffer_load_dword v72, off, s[20:23], 0 offset:124 ; 4-byte Folded Reload
	s_waitcnt lgkmcnt(0)
	v_mul_f64 v[103:104], v[101:102], v[105:106]
	v_fma_f64 v[103:104], v[99:100], v[97:98], -v[103:104]
	v_mul_f64 v[99:100], v[99:100], v[105:106]
	v_fma_f64 v[99:100], v[101:102], v[97:98], v[99:100]
	s_waitcnt vmcnt(2)
	v_add_f64 v[69:70], v[69:70], -v[103:104]
	s_waitcnt vmcnt(0)
	v_add_f64 v[71:72], v[71:72], -v[99:100]
	buffer_store_dword v69, off, s[20:23], 0 offset:112 ; 4-byte Folded Spill
	s_nop 0
	buffer_store_dword v70, off, s[20:23], 0 offset:116 ; 4-byte Folded Spill
	buffer_store_dword v71, off, s[20:23], 0 offset:120 ; 4-byte Folded Spill
	buffer_store_dword v72, off, s[20:23], 0 offset:124 ; 4-byte Folded Spill
	ds_read2_b64 v[99:102], v125 offset0:36 offset1:37
	buffer_load_dword v69, off, s[20:23], 0 offset:96 ; 4-byte Folded Reload
	buffer_load_dword v70, off, s[20:23], 0 offset:100 ; 4-byte Folded Reload
	buffer_load_dword v71, off, s[20:23], 0 offset:104 ; 4-byte Folded Reload
	buffer_load_dword v72, off, s[20:23], 0 offset:108 ; 4-byte Folded Reload
	s_waitcnt lgkmcnt(0)
	v_mul_f64 v[103:104], v[101:102], v[105:106]
	v_fma_f64 v[103:104], v[99:100], v[97:98], -v[103:104]
	v_mul_f64 v[99:100], v[99:100], v[105:106]
	v_fma_f64 v[99:100], v[101:102], v[97:98], v[99:100]
	s_waitcnt vmcnt(2)
	v_add_f64 v[69:70], v[69:70], -v[103:104]
	s_waitcnt vmcnt(0)
	v_add_f64 v[71:72], v[71:72], -v[99:100]
	buffer_store_dword v69, off, s[20:23], 0 offset:96 ; 4-byte Folded Spill
	s_nop 0
	buffer_store_dword v70, off, s[20:23], 0 offset:100 ; 4-byte Folded Spill
	buffer_store_dword v71, off, s[20:23], 0 offset:104 ; 4-byte Folded Spill
	buffer_store_dword v72, off, s[20:23], 0 offset:108 ; 4-byte Folded Spill
	ds_read2_b64 v[99:102], v125 offset0:38 offset1:39
	buffer_load_dword v69, off, s[20:23], 0 offset:80 ; 4-byte Folded Reload
	buffer_load_dword v70, off, s[20:23], 0 offset:84 ; 4-byte Folded Reload
	buffer_load_dword v71, off, s[20:23], 0 offset:88 ; 4-byte Folded Reload
	buffer_load_dword v72, off, s[20:23], 0 offset:92 ; 4-byte Folded Reload
	s_waitcnt lgkmcnt(0)
	v_mul_f64 v[103:104], v[101:102], v[105:106]
	v_fma_f64 v[103:104], v[99:100], v[97:98], -v[103:104]
	v_mul_f64 v[99:100], v[99:100], v[105:106]
	v_fma_f64 v[99:100], v[101:102], v[97:98], v[99:100]
	s_waitcnt vmcnt(2)
	v_add_f64 v[69:70], v[69:70], -v[103:104]
	s_waitcnt vmcnt(0)
	v_add_f64 v[71:72], v[71:72], -v[99:100]
	buffer_store_dword v69, off, s[20:23], 0 offset:80 ; 4-byte Folded Spill
	s_nop 0
	buffer_store_dword v70, off, s[20:23], 0 offset:84 ; 4-byte Folded Spill
	buffer_store_dword v71, off, s[20:23], 0 offset:88 ; 4-byte Folded Spill
	buffer_store_dword v72, off, s[20:23], 0 offset:92 ; 4-byte Folded Spill
	ds_read2_b64 v[99:102], v125 offset0:40 offset1:41
	buffer_load_dword v69, off, s[20:23], 0 offset:64 ; 4-byte Folded Reload
	buffer_load_dword v70, off, s[20:23], 0 offset:68 ; 4-byte Folded Reload
	buffer_load_dword v71, off, s[20:23], 0 offset:72 ; 4-byte Folded Reload
	buffer_load_dword v72, off, s[20:23], 0 offset:76 ; 4-byte Folded Reload
	s_waitcnt lgkmcnt(0)
	v_mul_f64 v[103:104], v[101:102], v[105:106]
	v_fma_f64 v[103:104], v[99:100], v[97:98], -v[103:104]
	v_mul_f64 v[99:100], v[99:100], v[105:106]
	v_fma_f64 v[99:100], v[101:102], v[97:98], v[99:100]
	s_waitcnt vmcnt(2)
	v_add_f64 v[69:70], v[69:70], -v[103:104]
	s_waitcnt vmcnt(0)
	v_add_f64 v[71:72], v[71:72], -v[99:100]
	buffer_store_dword v69, off, s[20:23], 0 offset:64 ; 4-byte Folded Spill
	s_nop 0
	buffer_store_dword v70, off, s[20:23], 0 offset:68 ; 4-byte Folded Spill
	buffer_store_dword v71, off, s[20:23], 0 offset:72 ; 4-byte Folded Spill
	buffer_store_dword v72, off, s[20:23], 0 offset:76 ; 4-byte Folded Spill
	ds_read2_b64 v[99:102], v125 offset0:42 offset1:43
	buffer_load_dword v69, off, s[20:23], 0 offset:48 ; 4-byte Folded Reload
	buffer_load_dword v70, off, s[20:23], 0 offset:52 ; 4-byte Folded Reload
	buffer_load_dword v71, off, s[20:23], 0 offset:56 ; 4-byte Folded Reload
	buffer_load_dword v72, off, s[20:23], 0 offset:60 ; 4-byte Folded Reload
	s_waitcnt lgkmcnt(0)
	v_mul_f64 v[103:104], v[101:102], v[105:106]
	v_fma_f64 v[103:104], v[99:100], v[97:98], -v[103:104]
	v_mul_f64 v[99:100], v[99:100], v[105:106]
	v_fma_f64 v[99:100], v[101:102], v[97:98], v[99:100]
	s_waitcnt vmcnt(2)
	v_add_f64 v[69:70], v[69:70], -v[103:104]
	s_waitcnt vmcnt(0)
	v_add_f64 v[71:72], v[71:72], -v[99:100]
	buffer_store_dword v69, off, s[20:23], 0 offset:48 ; 4-byte Folded Spill
	s_nop 0
	buffer_store_dword v70, off, s[20:23], 0 offset:52 ; 4-byte Folded Spill
	buffer_store_dword v71, off, s[20:23], 0 offset:56 ; 4-byte Folded Spill
	buffer_store_dword v72, off, s[20:23], 0 offset:60 ; 4-byte Folded Spill
	ds_read2_b64 v[99:102], v125 offset0:44 offset1:45
	v_mov_b32_e32 v69, v73
	v_mov_b32_e32 v70, v74
	;; [unrolled: 1-line block ×4, first 2 shown]
	s_waitcnt lgkmcnt(0)
	v_mul_f64 v[103:104], v[101:102], v[105:106]
	v_fma_f64 v[103:104], v[99:100], v[97:98], -v[103:104]
	v_mul_f64 v[99:100], v[99:100], v[105:106]
	v_add_f64 v[121:122], v[121:122], -v[103:104]
	v_fma_f64 v[99:100], v[101:102], v[97:98], v[99:100]
	v_add_f64 v[123:124], v[123:124], -v[99:100]
	ds_read2_b64 v[99:102], v125 offset0:46 offset1:47
	s_waitcnt lgkmcnt(0)
	v_mul_f64 v[103:104], v[101:102], v[105:106]
	v_fma_f64 v[103:104], v[99:100], v[97:98], -v[103:104]
	v_mul_f64 v[99:100], v[99:100], v[105:106]
	v_add_f64 v[117:118], v[117:118], -v[103:104]
	v_fma_f64 v[99:100], v[101:102], v[97:98], v[99:100]
	v_add_f64 v[119:120], v[119:120], -v[99:100]
	ds_read2_b64 v[99:102], v125 offset0:48 offset1:49
	;; [unrolled: 8-line block ×5, first 2 shown]
	buffer_load_dword v77, off, s[20:23], 0 offset:32 ; 4-byte Folded Reload
	buffer_load_dword v78, off, s[20:23], 0 offset:36 ; 4-byte Folded Reload
	;; [unrolled: 1-line block ×4, first 2 shown]
	s_waitcnt lgkmcnt(0)
	v_mul_f64 v[103:104], v[101:102], v[105:106]
	v_fma_f64 v[103:104], v[99:100], v[97:98], -v[103:104]
	v_mul_f64 v[99:100], v[99:100], v[105:106]
	v_fma_f64 v[99:100], v[101:102], v[97:98], v[99:100]
	s_waitcnt vmcnt(2)
	v_add_f64 v[77:78], v[77:78], -v[103:104]
	s_waitcnt vmcnt(0)
	v_add_f64 v[79:80], v[79:80], -v[99:100]
	buffer_store_dword v77, off, s[20:23], 0 offset:32 ; 4-byte Folded Spill
	s_nop 0
	buffer_store_dword v78, off, s[20:23], 0 offset:36 ; 4-byte Folded Spill
	buffer_store_dword v79, off, s[20:23], 0 offset:40 ; 4-byte Folded Spill
	;; [unrolled: 1-line block ×3, first 2 shown]
	ds_read2_b64 v[99:102], v125 offset0:56 offset1:57
	buffer_load_dword v73, off, s[20:23], 0 offset:16 ; 4-byte Folded Reload
	buffer_load_dword v74, off, s[20:23], 0 offset:20 ; 4-byte Folded Reload
	buffer_load_dword v75, off, s[20:23], 0 offset:24 ; 4-byte Folded Reload
	buffer_load_dword v76, off, s[20:23], 0 offset:28 ; 4-byte Folded Reload
	s_waitcnt lgkmcnt(0)
	v_mul_f64 v[103:104], v[101:102], v[105:106]
	v_fma_f64 v[103:104], v[99:100], v[97:98], -v[103:104]
	v_mul_f64 v[99:100], v[99:100], v[105:106]
	v_fma_f64 v[99:100], v[101:102], v[97:98], v[99:100]
	s_waitcnt vmcnt(2)
	v_add_f64 v[73:74], v[73:74], -v[103:104]
	s_waitcnt vmcnt(0)
	v_add_f64 v[75:76], v[75:76], -v[99:100]
	buffer_store_dword v73, off, s[20:23], 0 offset:16 ; 4-byte Folded Spill
	s_nop 0
	buffer_store_dword v74, off, s[20:23], 0 offset:20 ; 4-byte Folded Spill
	buffer_store_dword v75, off, s[20:23], 0 offset:24 ; 4-byte Folded Spill
	;; [unrolled: 1-line block ×3, first 2 shown]
	v_mov_b32_e32 v76, v72
	v_mov_b32_e32 v75, v71
	;; [unrolled: 1-line block ×4, first 2 shown]
	ds_read2_b64 v[99:102], v125 offset0:58 offset1:59
	buffer_load_dword v69, off, s[20:23], 0 ; 4-byte Folded Reload
	buffer_load_dword v70, off, s[20:23], 0 offset:4 ; 4-byte Folded Reload
	buffer_load_dword v71, off, s[20:23], 0 offset:8 ; 4-byte Folded Reload
	;; [unrolled: 1-line block ×3, first 2 shown]
	s_waitcnt lgkmcnt(0)
	v_mul_f64 v[103:104], v[101:102], v[105:106]
	v_fma_f64 v[103:104], v[99:100], v[97:98], -v[103:104]
	v_mul_f64 v[99:100], v[99:100], v[105:106]
	v_fma_f64 v[99:100], v[101:102], v[97:98], v[99:100]
	s_waitcnt vmcnt(2)
	v_add_f64 v[69:70], v[69:70], -v[103:104]
	s_waitcnt vmcnt(0)
	v_add_f64 v[71:72], v[71:72], -v[99:100]
	buffer_store_dword v69, off, s[20:23], 0 ; 4-byte Folded Spill
	s_nop 0
	buffer_store_dword v70, off, s[20:23], 0 offset:4 ; 4-byte Folded Spill
	buffer_store_dword v71, off, s[20:23], 0 offset:8 ; 4-byte Folded Spill
	;; [unrolled: 1-line block ×3, first 2 shown]
	ds_read2_b64 v[99:102], v125 offset0:60 offset1:61
	s_waitcnt lgkmcnt(0)
	v_mul_f64 v[103:104], v[101:102], v[105:106]
	v_fma_f64 v[103:104], v[99:100], v[97:98], -v[103:104]
	v_mul_f64 v[99:100], v[99:100], v[105:106]
	v_add_f64 v[65:66], v[65:66], -v[103:104]
	v_fma_f64 v[99:100], v[101:102], v[97:98], v[99:100]
	v_add_f64 v[67:68], v[67:68], -v[99:100]
	ds_read2_b64 v[99:102], v125 offset0:62 offset1:63
	s_waitcnt lgkmcnt(0)
	v_mul_f64 v[103:104], v[101:102], v[105:106]
	v_fma_f64 v[103:104], v[99:100], v[97:98], -v[103:104]
	v_mul_f64 v[99:100], v[99:100], v[105:106]
	v_add_f64 v[61:62], v[61:62], -v[103:104]
	v_fma_f64 v[99:100], v[101:102], v[97:98], v[99:100]
	v_add_f64 v[63:64], v[63:64], -v[99:100]
	;; [unrolled: 8-line block ×17, first 2 shown]
	ds_read2_b64 v[99:102], v125 offset0:94 offset1:95
	s_waitcnt lgkmcnt(0)
	v_mul_f64 v[103:104], v[101:102], v[105:106]
	v_fma_f64 v[103:104], v[99:100], v[97:98], -v[103:104]
	v_mul_f64 v[99:100], v[99:100], v[105:106]
	v_add_f64 v[73:74], v[73:74], -v[103:104]
	v_fma_f64 v[99:100], v[101:102], v[97:98], v[99:100]
	v_mov_b32_e32 v104, v98
	v_mov_b32_e32 v103, v97
	buffer_store_dword v103, off, s[20:23], 0 offset:256 ; 4-byte Folded Spill
	s_nop 0
	buffer_store_dword v104, off, s[20:23], 0 offset:260 ; 4-byte Folded Spill
	buffer_store_dword v105, off, s[20:23], 0 offset:264 ; 4-byte Folded Spill
	;; [unrolled: 1-line block ×3, first 2 shown]
	v_add_f64 v[75:76], v[75:76], -v[99:100]
.LBB95_82:
	s_or_b64 exec, exec, s[2:3]
	v_cmp_eq_u32_e32 vcc, 9, v0
	s_waitcnt vmcnt(0)
	s_barrier
	s_and_saveexec_b64 s[4:5], vcc
	s_cbranch_execz .LBB95_89
; %bb.83:
	buffer_load_dword v69, off, s[20:23], 0 offset:240 ; 4-byte Folded Reload
	buffer_load_dword v70, off, s[20:23], 0 offset:244 ; 4-byte Folded Reload
	;; [unrolled: 1-line block ×4, first 2 shown]
	s_waitcnt vmcnt(0)
	ds_write2_b64 v127, v[69:70], v[71:72] offset1:1
	buffer_load_dword v69, off, s[20:23], 0 offset:224 ; 4-byte Folded Reload
	buffer_load_dword v70, off, s[20:23], 0 offset:228 ; 4-byte Folded Reload
	buffer_load_dword v71, off, s[20:23], 0 offset:232 ; 4-byte Folded Reload
	buffer_load_dword v72, off, s[20:23], 0 offset:236 ; 4-byte Folded Reload
	s_waitcnt vmcnt(0)
	ds_write2_b64 v125, v[69:70], v[71:72] offset0:20 offset1:21
	buffer_load_dword v69, off, s[20:23], 0 offset:208 ; 4-byte Folded Reload
	buffer_load_dword v70, off, s[20:23], 0 offset:212 ; 4-byte Folded Reload
	buffer_load_dword v71, off, s[20:23], 0 offset:216 ; 4-byte Folded Reload
	buffer_load_dword v72, off, s[20:23], 0 offset:220 ; 4-byte Folded Reload
	s_waitcnt vmcnt(0)
	ds_write2_b64 v125, v[69:70], v[71:72] offset0:22 offset1:23
	buffer_load_dword v69, off, s[20:23], 0 offset:192 ; 4-byte Folded Reload
	buffer_load_dword v70, off, s[20:23], 0 offset:196 ; 4-byte Folded Reload
	buffer_load_dword v71, off, s[20:23], 0 offset:200 ; 4-byte Folded Reload
	buffer_load_dword v72, off, s[20:23], 0 offset:204 ; 4-byte Folded Reload
	s_waitcnt vmcnt(0)
	ds_write2_b64 v125, v[69:70], v[71:72] offset0:24 offset1:25
	buffer_load_dword v69, off, s[20:23], 0 offset:176 ; 4-byte Folded Reload
	buffer_load_dword v70, off, s[20:23], 0 offset:180 ; 4-byte Folded Reload
	buffer_load_dword v71, off, s[20:23], 0 offset:184 ; 4-byte Folded Reload
	buffer_load_dword v72, off, s[20:23], 0 offset:188 ; 4-byte Folded Reload
	s_waitcnt vmcnt(0)
	ds_write2_b64 v125, v[69:70], v[71:72] offset0:26 offset1:27
	buffer_load_dword v69, off, s[20:23], 0 offset:160 ; 4-byte Folded Reload
	buffer_load_dword v70, off, s[20:23], 0 offset:164 ; 4-byte Folded Reload
	buffer_load_dword v71, off, s[20:23], 0 offset:168 ; 4-byte Folded Reload
	buffer_load_dword v72, off, s[20:23], 0 offset:172 ; 4-byte Folded Reload
	s_waitcnt vmcnt(0)
	ds_write2_b64 v125, v[69:70], v[71:72] offset0:28 offset1:29
	buffer_load_dword v69, off, s[20:23], 0 offset:144 ; 4-byte Folded Reload
	buffer_load_dword v70, off, s[20:23], 0 offset:148 ; 4-byte Folded Reload
	buffer_load_dword v71, off, s[20:23], 0 offset:152 ; 4-byte Folded Reload
	buffer_load_dword v72, off, s[20:23], 0 offset:156 ; 4-byte Folded Reload
	s_waitcnt vmcnt(0)
	ds_write2_b64 v125, v[69:70], v[71:72] offset0:30 offset1:31
	buffer_load_dword v69, off, s[20:23], 0 offset:128 ; 4-byte Folded Reload
	buffer_load_dword v70, off, s[20:23], 0 offset:132 ; 4-byte Folded Reload
	buffer_load_dword v71, off, s[20:23], 0 offset:136 ; 4-byte Folded Reload
	buffer_load_dword v72, off, s[20:23], 0 offset:140 ; 4-byte Folded Reload
	s_waitcnt vmcnt(0)
	ds_write2_b64 v125, v[69:70], v[71:72] offset0:32 offset1:33
	buffer_load_dword v69, off, s[20:23], 0 offset:112 ; 4-byte Folded Reload
	buffer_load_dword v70, off, s[20:23], 0 offset:116 ; 4-byte Folded Reload
	buffer_load_dword v71, off, s[20:23], 0 offset:120 ; 4-byte Folded Reload
	buffer_load_dword v72, off, s[20:23], 0 offset:124 ; 4-byte Folded Reload
	s_waitcnt vmcnt(0)
	ds_write2_b64 v125, v[69:70], v[71:72] offset0:34 offset1:35
	buffer_load_dword v69, off, s[20:23], 0 offset:96 ; 4-byte Folded Reload
	buffer_load_dword v70, off, s[20:23], 0 offset:100 ; 4-byte Folded Reload
	buffer_load_dword v71, off, s[20:23], 0 offset:104 ; 4-byte Folded Reload
	buffer_load_dword v72, off, s[20:23], 0 offset:108 ; 4-byte Folded Reload
	s_waitcnt vmcnt(0)
	ds_write2_b64 v125, v[69:70], v[71:72] offset0:36 offset1:37
	buffer_load_dword v69, off, s[20:23], 0 offset:80 ; 4-byte Folded Reload
	buffer_load_dword v70, off, s[20:23], 0 offset:84 ; 4-byte Folded Reload
	buffer_load_dword v71, off, s[20:23], 0 offset:88 ; 4-byte Folded Reload
	buffer_load_dword v72, off, s[20:23], 0 offset:92 ; 4-byte Folded Reload
	s_waitcnt vmcnt(0)
	ds_write2_b64 v125, v[69:70], v[71:72] offset0:38 offset1:39
	buffer_load_dword v69, off, s[20:23], 0 offset:64 ; 4-byte Folded Reload
	buffer_load_dword v70, off, s[20:23], 0 offset:68 ; 4-byte Folded Reload
	buffer_load_dword v71, off, s[20:23], 0 offset:72 ; 4-byte Folded Reload
	buffer_load_dword v72, off, s[20:23], 0 offset:76 ; 4-byte Folded Reload
	s_waitcnt vmcnt(0)
	ds_write2_b64 v125, v[69:70], v[71:72] offset0:40 offset1:41
	buffer_load_dword v69, off, s[20:23], 0 offset:48 ; 4-byte Folded Reload
	buffer_load_dword v70, off, s[20:23], 0 offset:52 ; 4-byte Folded Reload
	buffer_load_dword v71, off, s[20:23], 0 offset:56 ; 4-byte Folded Reload
	buffer_load_dword v72, off, s[20:23], 0 offset:60 ; 4-byte Folded Reload
	s_waitcnt vmcnt(0)
	ds_write2_b64 v125, v[69:70], v[71:72] offset0:42 offset1:43
	ds_write2_b64 v125, v[121:122], v[123:124] offset0:44 offset1:45
	ds_write2_b64 v125, v[117:118], v[119:120] offset0:46 offset1:47
	;; [unrolled: 1-line block ×5, first 2 shown]
	buffer_load_dword v77, off, s[20:23], 0 offset:32 ; 4-byte Folded Reload
	buffer_load_dword v78, off, s[20:23], 0 offset:36 ; 4-byte Folded Reload
	;; [unrolled: 1-line block ×4, first 2 shown]
	v_mov_b32_e32 v69, v73
	v_mov_b32_e32 v70, v74
	;; [unrolled: 1-line block ×4, first 2 shown]
	s_waitcnt vmcnt(0)
	ds_write2_b64 v125, v[77:78], v[79:80] offset0:54 offset1:55
	buffer_load_dword v73, off, s[20:23], 0 offset:16 ; 4-byte Folded Reload
	buffer_load_dword v74, off, s[20:23], 0 offset:20 ; 4-byte Folded Reload
	buffer_load_dword v75, off, s[20:23], 0 offset:24 ; 4-byte Folded Reload
	buffer_load_dword v76, off, s[20:23], 0 offset:28 ; 4-byte Folded Reload
	s_waitcnt vmcnt(0)
	ds_write2_b64 v125, v[73:74], v[75:76] offset0:56 offset1:57
	v_mov_b32_e32 v76, v72
	v_mov_b32_e32 v75, v71
	;; [unrolled: 1-line block ×4, first 2 shown]
	buffer_load_dword v69, off, s[20:23], 0 ; 4-byte Folded Reload
	buffer_load_dword v70, off, s[20:23], 0 offset:4 ; 4-byte Folded Reload
	buffer_load_dword v71, off, s[20:23], 0 offset:8 ; 4-byte Folded Reload
	;; [unrolled: 1-line block ×3, first 2 shown]
	s_waitcnt vmcnt(0)
	ds_write2_b64 v125, v[69:70], v[71:72] offset0:58 offset1:59
	ds_write2_b64 v125, v[65:66], v[67:68] offset0:60 offset1:61
	;; [unrolled: 1-line block ×19, first 2 shown]
	ds_read2_b64 v[97:100], v127 offset1:1
	s_waitcnt lgkmcnt(0)
	v_cmp_neq_f64_e32 vcc, 0, v[97:98]
	v_cmp_neq_f64_e64 s[2:3], 0, v[99:100]
	s_or_b64 s[2:3], vcc, s[2:3]
	s_and_b64 exec, exec, s[2:3]
	s_cbranch_execz .LBB95_89
; %bb.84:
	v_cmp_ngt_f64_e64 s[2:3], |v[97:98]|, |v[99:100]|
                                        ; implicit-def: $vgpr101_vgpr102
	s_and_saveexec_b64 s[6:7], s[2:3]
	s_xor_b64 s[2:3], exec, s[6:7]
                                        ; implicit-def: $vgpr103_vgpr104
	s_cbranch_execz .LBB95_86
; %bb.85:
	v_div_scale_f64 v[101:102], s[6:7], v[99:100], v[99:100], v[97:98]
	v_rcp_f64_e32 v[103:104], v[101:102]
	v_fma_f64 v[105:106], -v[101:102], v[103:104], 1.0
	v_fma_f64 v[103:104], v[103:104], v[105:106], v[103:104]
	v_div_scale_f64 v[105:106], vcc, v[97:98], v[99:100], v[97:98]
	v_fma_f64 v[107:108], -v[101:102], v[103:104], 1.0
	v_fma_f64 v[103:104], v[103:104], v[107:108], v[103:104]
	v_mul_f64 v[107:108], v[105:106], v[103:104]
	v_fma_f64 v[101:102], -v[101:102], v[107:108], v[105:106]
	v_div_fmas_f64 v[101:102], v[101:102], v[103:104], v[107:108]
	v_div_fixup_f64 v[101:102], v[101:102], v[99:100], v[97:98]
	v_fma_f64 v[97:98], v[97:98], v[101:102], v[99:100]
	v_div_scale_f64 v[99:100], s[6:7], v[97:98], v[97:98], 1.0
	v_div_scale_f64 v[107:108], vcc, 1.0, v[97:98], 1.0
	v_rcp_f64_e32 v[103:104], v[99:100]
	v_fma_f64 v[105:106], -v[99:100], v[103:104], 1.0
	v_fma_f64 v[103:104], v[103:104], v[105:106], v[103:104]
	v_fma_f64 v[105:106], -v[99:100], v[103:104], 1.0
	v_fma_f64 v[103:104], v[103:104], v[105:106], v[103:104]
	v_mul_f64 v[105:106], v[107:108], v[103:104]
	v_fma_f64 v[99:100], -v[99:100], v[105:106], v[107:108]
	v_div_fmas_f64 v[99:100], v[99:100], v[103:104], v[105:106]
	v_div_fixup_f64 v[103:104], v[99:100], v[97:98], 1.0
                                        ; implicit-def: $vgpr97_vgpr98
	v_mul_f64 v[101:102], v[101:102], v[103:104]
	v_xor_b32_e32 v104, 0x80000000, v104
.LBB95_86:
	s_andn2_saveexec_b64 s[2:3], s[2:3]
	s_cbranch_execz .LBB95_88
; %bb.87:
	v_div_scale_f64 v[101:102], s[6:7], v[97:98], v[97:98], v[99:100]
	v_rcp_f64_e32 v[103:104], v[101:102]
	v_fma_f64 v[105:106], -v[101:102], v[103:104], 1.0
	v_fma_f64 v[103:104], v[103:104], v[105:106], v[103:104]
	v_div_scale_f64 v[105:106], vcc, v[99:100], v[97:98], v[99:100]
	v_fma_f64 v[107:108], -v[101:102], v[103:104], 1.0
	v_fma_f64 v[103:104], v[103:104], v[107:108], v[103:104]
	v_mul_f64 v[107:108], v[105:106], v[103:104]
	v_fma_f64 v[101:102], -v[101:102], v[107:108], v[105:106]
	v_div_fmas_f64 v[101:102], v[101:102], v[103:104], v[107:108]
	v_div_fixup_f64 v[103:104], v[101:102], v[97:98], v[99:100]
	v_fma_f64 v[97:98], v[99:100], v[103:104], v[97:98]
	v_div_scale_f64 v[99:100], s[6:7], v[97:98], v[97:98], 1.0
	v_div_scale_f64 v[107:108], vcc, 1.0, v[97:98], 1.0
	v_rcp_f64_e32 v[101:102], v[99:100]
	v_fma_f64 v[105:106], -v[99:100], v[101:102], 1.0
	v_fma_f64 v[101:102], v[101:102], v[105:106], v[101:102]
	v_fma_f64 v[105:106], -v[99:100], v[101:102], 1.0
	v_fma_f64 v[101:102], v[101:102], v[105:106], v[101:102]
	v_mul_f64 v[105:106], v[107:108], v[101:102]
	v_fma_f64 v[99:100], -v[99:100], v[105:106], v[107:108]
	v_div_fmas_f64 v[99:100], v[99:100], v[101:102], v[105:106]
	v_div_fixup_f64 v[101:102], v[99:100], v[97:98], 1.0
	v_mul_f64 v[103:104], v[103:104], -v[101:102]
.LBB95_88:
	s_or_b64 exec, exec, s[2:3]
	ds_write2_b64 v127, v[101:102], v[103:104] offset1:1
.LBB95_89:
	s_or_b64 exec, exec, s[4:5]
	s_waitcnt lgkmcnt(0)
	s_barrier
	ds_read2_b64 v[69:72], v127 offset1:1
	v_cmp_lt_u32_e32 vcc, 9, v0
	s_waitcnt lgkmcnt(0)
	buffer_store_dword v69, off, s[20:23], 0 offset:920 ; 4-byte Folded Spill
	s_nop 0
	buffer_store_dword v70, off, s[20:23], 0 offset:924 ; 4-byte Folded Spill
	buffer_store_dword v71, off, s[20:23], 0 offset:928 ; 4-byte Folded Spill
	;; [unrolled: 1-line block ×3, first 2 shown]
	s_and_saveexec_b64 s[2:3], vcc
	s_cbranch_execz .LBB95_91
; %bb.90:
	buffer_load_dword v103, off, s[20:23], 0 offset:240 ; 4-byte Folded Reload
	buffer_load_dword v104, off, s[20:23], 0 offset:244 ; 4-byte Folded Reload
	;; [unrolled: 1-line block ×8, first 2 shown]
	s_waitcnt vmcnt(2)
	v_mul_f64 v[99:100], v[69:70], v[105:106]
	s_waitcnt vmcnt(0)
	v_mul_f64 v[97:98], v[71:72], v[105:106]
	v_fma_f64 v[105:106], v[71:72], v[103:104], v[99:100]
	ds_read2_b64 v[99:102], v125 offset0:20 offset1:21
	v_fma_f64 v[97:98], v[69:70], v[103:104], -v[97:98]
	buffer_load_dword v69, off, s[20:23], 0 offset:224 ; 4-byte Folded Reload
	buffer_load_dword v70, off, s[20:23], 0 offset:228 ; 4-byte Folded Reload
	buffer_load_dword v71, off, s[20:23], 0 offset:232 ; 4-byte Folded Reload
	buffer_load_dword v72, off, s[20:23], 0 offset:236 ; 4-byte Folded Reload
	s_waitcnt lgkmcnt(0)
	v_mul_f64 v[103:104], v[101:102], v[105:106]
	v_fma_f64 v[103:104], v[99:100], v[97:98], -v[103:104]
	v_mul_f64 v[99:100], v[99:100], v[105:106]
	v_fma_f64 v[99:100], v[101:102], v[97:98], v[99:100]
	s_waitcnt vmcnt(2)
	v_add_f64 v[69:70], v[69:70], -v[103:104]
	s_waitcnt vmcnt(0)
	v_add_f64 v[71:72], v[71:72], -v[99:100]
	buffer_store_dword v69, off, s[20:23], 0 offset:224 ; 4-byte Folded Spill
	s_nop 0
	buffer_store_dword v70, off, s[20:23], 0 offset:228 ; 4-byte Folded Spill
	buffer_store_dword v71, off, s[20:23], 0 offset:232 ; 4-byte Folded Spill
	buffer_store_dword v72, off, s[20:23], 0 offset:236 ; 4-byte Folded Spill
	ds_read2_b64 v[99:102], v125 offset0:22 offset1:23
	buffer_load_dword v69, off, s[20:23], 0 offset:208 ; 4-byte Folded Reload
	buffer_load_dword v70, off, s[20:23], 0 offset:212 ; 4-byte Folded Reload
	buffer_load_dword v71, off, s[20:23], 0 offset:216 ; 4-byte Folded Reload
	buffer_load_dword v72, off, s[20:23], 0 offset:220 ; 4-byte Folded Reload
	s_waitcnt lgkmcnt(0)
	v_mul_f64 v[103:104], v[101:102], v[105:106]
	v_fma_f64 v[103:104], v[99:100], v[97:98], -v[103:104]
	v_mul_f64 v[99:100], v[99:100], v[105:106]
	v_fma_f64 v[99:100], v[101:102], v[97:98], v[99:100]
	s_waitcnt vmcnt(2)
	v_add_f64 v[69:70], v[69:70], -v[103:104]
	s_waitcnt vmcnt(0)
	v_add_f64 v[71:72], v[71:72], -v[99:100]
	buffer_store_dword v69, off, s[20:23], 0 offset:208 ; 4-byte Folded Spill
	s_nop 0
	buffer_store_dword v70, off, s[20:23], 0 offset:212 ; 4-byte Folded Spill
	buffer_store_dword v71, off, s[20:23], 0 offset:216 ; 4-byte Folded Spill
	buffer_store_dword v72, off, s[20:23], 0 offset:220 ; 4-byte Folded Spill
	ds_read2_b64 v[99:102], v125 offset0:24 offset1:25
	;; [unrolled: 19-line block ×12, first 2 shown]
	v_mov_b32_e32 v69, v73
	v_mov_b32_e32 v70, v74
	;; [unrolled: 1-line block ×4, first 2 shown]
	s_waitcnt lgkmcnt(0)
	v_mul_f64 v[103:104], v[101:102], v[105:106]
	v_fma_f64 v[103:104], v[99:100], v[97:98], -v[103:104]
	v_mul_f64 v[99:100], v[99:100], v[105:106]
	v_add_f64 v[121:122], v[121:122], -v[103:104]
	v_fma_f64 v[99:100], v[101:102], v[97:98], v[99:100]
	v_add_f64 v[123:124], v[123:124], -v[99:100]
	ds_read2_b64 v[99:102], v125 offset0:46 offset1:47
	s_waitcnt lgkmcnt(0)
	v_mul_f64 v[103:104], v[101:102], v[105:106]
	v_fma_f64 v[103:104], v[99:100], v[97:98], -v[103:104]
	v_mul_f64 v[99:100], v[99:100], v[105:106]
	v_add_f64 v[117:118], v[117:118], -v[103:104]
	v_fma_f64 v[99:100], v[101:102], v[97:98], v[99:100]
	v_add_f64 v[119:120], v[119:120], -v[99:100]
	ds_read2_b64 v[99:102], v125 offset0:48 offset1:49
	;; [unrolled: 8-line block ×5, first 2 shown]
	buffer_load_dword v77, off, s[20:23], 0 offset:32 ; 4-byte Folded Reload
	buffer_load_dword v78, off, s[20:23], 0 offset:36 ; 4-byte Folded Reload
	;; [unrolled: 1-line block ×4, first 2 shown]
	s_waitcnt lgkmcnt(0)
	v_mul_f64 v[103:104], v[101:102], v[105:106]
	v_fma_f64 v[103:104], v[99:100], v[97:98], -v[103:104]
	v_mul_f64 v[99:100], v[99:100], v[105:106]
	v_fma_f64 v[99:100], v[101:102], v[97:98], v[99:100]
	s_waitcnt vmcnt(2)
	v_add_f64 v[77:78], v[77:78], -v[103:104]
	s_waitcnt vmcnt(0)
	v_add_f64 v[79:80], v[79:80], -v[99:100]
	buffer_store_dword v77, off, s[20:23], 0 offset:32 ; 4-byte Folded Spill
	s_nop 0
	buffer_store_dword v78, off, s[20:23], 0 offset:36 ; 4-byte Folded Spill
	buffer_store_dword v79, off, s[20:23], 0 offset:40 ; 4-byte Folded Spill
	;; [unrolled: 1-line block ×3, first 2 shown]
	ds_read2_b64 v[99:102], v125 offset0:56 offset1:57
	buffer_load_dword v73, off, s[20:23], 0 offset:16 ; 4-byte Folded Reload
	buffer_load_dword v74, off, s[20:23], 0 offset:20 ; 4-byte Folded Reload
	;; [unrolled: 1-line block ×4, first 2 shown]
	s_waitcnt lgkmcnt(0)
	v_mul_f64 v[103:104], v[101:102], v[105:106]
	v_fma_f64 v[103:104], v[99:100], v[97:98], -v[103:104]
	v_mul_f64 v[99:100], v[99:100], v[105:106]
	v_fma_f64 v[99:100], v[101:102], v[97:98], v[99:100]
	s_waitcnt vmcnt(2)
	v_add_f64 v[73:74], v[73:74], -v[103:104]
	s_waitcnt vmcnt(0)
	v_add_f64 v[75:76], v[75:76], -v[99:100]
	buffer_store_dword v73, off, s[20:23], 0 offset:16 ; 4-byte Folded Spill
	s_nop 0
	buffer_store_dword v74, off, s[20:23], 0 offset:20 ; 4-byte Folded Spill
	buffer_store_dword v75, off, s[20:23], 0 offset:24 ; 4-byte Folded Spill
	;; [unrolled: 1-line block ×3, first 2 shown]
	v_mov_b32_e32 v76, v72
	v_mov_b32_e32 v75, v71
	;; [unrolled: 1-line block ×4, first 2 shown]
	ds_read2_b64 v[99:102], v125 offset0:58 offset1:59
	buffer_load_dword v69, off, s[20:23], 0 ; 4-byte Folded Reload
	buffer_load_dword v70, off, s[20:23], 0 offset:4 ; 4-byte Folded Reload
	buffer_load_dword v71, off, s[20:23], 0 offset:8 ; 4-byte Folded Reload
	;; [unrolled: 1-line block ×3, first 2 shown]
	s_waitcnt lgkmcnt(0)
	v_mul_f64 v[103:104], v[101:102], v[105:106]
	v_fma_f64 v[103:104], v[99:100], v[97:98], -v[103:104]
	v_mul_f64 v[99:100], v[99:100], v[105:106]
	v_fma_f64 v[99:100], v[101:102], v[97:98], v[99:100]
	s_waitcnt vmcnt(2)
	v_add_f64 v[69:70], v[69:70], -v[103:104]
	s_waitcnt vmcnt(0)
	v_add_f64 v[71:72], v[71:72], -v[99:100]
	buffer_store_dword v69, off, s[20:23], 0 ; 4-byte Folded Spill
	s_nop 0
	buffer_store_dword v70, off, s[20:23], 0 offset:4 ; 4-byte Folded Spill
	buffer_store_dword v71, off, s[20:23], 0 offset:8 ; 4-byte Folded Spill
	;; [unrolled: 1-line block ×3, first 2 shown]
	ds_read2_b64 v[99:102], v125 offset0:60 offset1:61
	s_waitcnt lgkmcnt(0)
	v_mul_f64 v[103:104], v[101:102], v[105:106]
	v_fma_f64 v[103:104], v[99:100], v[97:98], -v[103:104]
	v_mul_f64 v[99:100], v[99:100], v[105:106]
	v_add_f64 v[65:66], v[65:66], -v[103:104]
	v_fma_f64 v[99:100], v[101:102], v[97:98], v[99:100]
	v_add_f64 v[67:68], v[67:68], -v[99:100]
	ds_read2_b64 v[99:102], v125 offset0:62 offset1:63
	s_waitcnt lgkmcnt(0)
	v_mul_f64 v[103:104], v[101:102], v[105:106]
	v_fma_f64 v[103:104], v[99:100], v[97:98], -v[103:104]
	v_mul_f64 v[99:100], v[99:100], v[105:106]
	v_add_f64 v[61:62], v[61:62], -v[103:104]
	v_fma_f64 v[99:100], v[101:102], v[97:98], v[99:100]
	v_add_f64 v[63:64], v[63:64], -v[99:100]
	;; [unrolled: 8-line block ×17, first 2 shown]
	ds_read2_b64 v[99:102], v125 offset0:94 offset1:95
	s_waitcnt lgkmcnt(0)
	v_mul_f64 v[103:104], v[101:102], v[105:106]
	v_fma_f64 v[103:104], v[99:100], v[97:98], -v[103:104]
	v_mul_f64 v[99:100], v[99:100], v[105:106]
	v_add_f64 v[73:74], v[73:74], -v[103:104]
	v_fma_f64 v[99:100], v[101:102], v[97:98], v[99:100]
	v_mov_b32_e32 v104, v98
	v_mov_b32_e32 v103, v97
	buffer_store_dword v103, off, s[20:23], 0 offset:240 ; 4-byte Folded Spill
	s_nop 0
	buffer_store_dword v104, off, s[20:23], 0 offset:244 ; 4-byte Folded Spill
	buffer_store_dword v105, off, s[20:23], 0 offset:248 ; 4-byte Folded Spill
	;; [unrolled: 1-line block ×3, first 2 shown]
	v_add_f64 v[75:76], v[75:76], -v[99:100]
.LBB95_91:
	s_or_b64 exec, exec, s[2:3]
	v_cmp_eq_u32_e32 vcc, 10, v0
	s_waitcnt vmcnt(0)
	s_barrier
	s_and_saveexec_b64 s[4:5], vcc
	s_cbranch_execz .LBB95_98
; %bb.92:
	buffer_load_dword v69, off, s[20:23], 0 offset:224 ; 4-byte Folded Reload
	buffer_load_dword v70, off, s[20:23], 0 offset:228 ; 4-byte Folded Reload
	;; [unrolled: 1-line block ×4, first 2 shown]
	s_waitcnt vmcnt(0)
	ds_write2_b64 v127, v[69:70], v[71:72] offset1:1
	buffer_load_dword v69, off, s[20:23], 0 offset:208 ; 4-byte Folded Reload
	buffer_load_dword v70, off, s[20:23], 0 offset:212 ; 4-byte Folded Reload
	buffer_load_dword v71, off, s[20:23], 0 offset:216 ; 4-byte Folded Reload
	buffer_load_dword v72, off, s[20:23], 0 offset:220 ; 4-byte Folded Reload
	s_waitcnt vmcnt(0)
	ds_write2_b64 v125, v[69:70], v[71:72] offset0:22 offset1:23
	buffer_load_dword v69, off, s[20:23], 0 offset:192 ; 4-byte Folded Reload
	buffer_load_dword v70, off, s[20:23], 0 offset:196 ; 4-byte Folded Reload
	buffer_load_dword v71, off, s[20:23], 0 offset:200 ; 4-byte Folded Reload
	buffer_load_dword v72, off, s[20:23], 0 offset:204 ; 4-byte Folded Reload
	s_waitcnt vmcnt(0)
	ds_write2_b64 v125, v[69:70], v[71:72] offset0:24 offset1:25
	buffer_load_dword v69, off, s[20:23], 0 offset:176 ; 4-byte Folded Reload
	buffer_load_dword v70, off, s[20:23], 0 offset:180 ; 4-byte Folded Reload
	buffer_load_dword v71, off, s[20:23], 0 offset:184 ; 4-byte Folded Reload
	buffer_load_dword v72, off, s[20:23], 0 offset:188 ; 4-byte Folded Reload
	s_waitcnt vmcnt(0)
	ds_write2_b64 v125, v[69:70], v[71:72] offset0:26 offset1:27
	buffer_load_dword v69, off, s[20:23], 0 offset:160 ; 4-byte Folded Reload
	buffer_load_dword v70, off, s[20:23], 0 offset:164 ; 4-byte Folded Reload
	buffer_load_dword v71, off, s[20:23], 0 offset:168 ; 4-byte Folded Reload
	buffer_load_dword v72, off, s[20:23], 0 offset:172 ; 4-byte Folded Reload
	s_waitcnt vmcnt(0)
	ds_write2_b64 v125, v[69:70], v[71:72] offset0:28 offset1:29
	buffer_load_dword v69, off, s[20:23], 0 offset:144 ; 4-byte Folded Reload
	buffer_load_dword v70, off, s[20:23], 0 offset:148 ; 4-byte Folded Reload
	buffer_load_dword v71, off, s[20:23], 0 offset:152 ; 4-byte Folded Reload
	buffer_load_dword v72, off, s[20:23], 0 offset:156 ; 4-byte Folded Reload
	s_waitcnt vmcnt(0)
	ds_write2_b64 v125, v[69:70], v[71:72] offset0:30 offset1:31
	buffer_load_dword v69, off, s[20:23], 0 offset:128 ; 4-byte Folded Reload
	buffer_load_dword v70, off, s[20:23], 0 offset:132 ; 4-byte Folded Reload
	buffer_load_dword v71, off, s[20:23], 0 offset:136 ; 4-byte Folded Reload
	buffer_load_dword v72, off, s[20:23], 0 offset:140 ; 4-byte Folded Reload
	s_waitcnt vmcnt(0)
	ds_write2_b64 v125, v[69:70], v[71:72] offset0:32 offset1:33
	buffer_load_dword v69, off, s[20:23], 0 offset:112 ; 4-byte Folded Reload
	buffer_load_dword v70, off, s[20:23], 0 offset:116 ; 4-byte Folded Reload
	buffer_load_dword v71, off, s[20:23], 0 offset:120 ; 4-byte Folded Reload
	buffer_load_dword v72, off, s[20:23], 0 offset:124 ; 4-byte Folded Reload
	s_waitcnt vmcnt(0)
	ds_write2_b64 v125, v[69:70], v[71:72] offset0:34 offset1:35
	buffer_load_dword v69, off, s[20:23], 0 offset:96 ; 4-byte Folded Reload
	buffer_load_dword v70, off, s[20:23], 0 offset:100 ; 4-byte Folded Reload
	buffer_load_dword v71, off, s[20:23], 0 offset:104 ; 4-byte Folded Reload
	buffer_load_dword v72, off, s[20:23], 0 offset:108 ; 4-byte Folded Reload
	s_waitcnt vmcnt(0)
	ds_write2_b64 v125, v[69:70], v[71:72] offset0:36 offset1:37
	buffer_load_dword v69, off, s[20:23], 0 offset:80 ; 4-byte Folded Reload
	buffer_load_dword v70, off, s[20:23], 0 offset:84 ; 4-byte Folded Reload
	buffer_load_dword v71, off, s[20:23], 0 offset:88 ; 4-byte Folded Reload
	buffer_load_dword v72, off, s[20:23], 0 offset:92 ; 4-byte Folded Reload
	s_waitcnt vmcnt(0)
	ds_write2_b64 v125, v[69:70], v[71:72] offset0:38 offset1:39
	buffer_load_dword v69, off, s[20:23], 0 offset:64 ; 4-byte Folded Reload
	buffer_load_dword v70, off, s[20:23], 0 offset:68 ; 4-byte Folded Reload
	buffer_load_dword v71, off, s[20:23], 0 offset:72 ; 4-byte Folded Reload
	buffer_load_dword v72, off, s[20:23], 0 offset:76 ; 4-byte Folded Reload
	s_waitcnt vmcnt(0)
	ds_write2_b64 v125, v[69:70], v[71:72] offset0:40 offset1:41
	buffer_load_dword v69, off, s[20:23], 0 offset:48 ; 4-byte Folded Reload
	buffer_load_dword v70, off, s[20:23], 0 offset:52 ; 4-byte Folded Reload
	buffer_load_dword v71, off, s[20:23], 0 offset:56 ; 4-byte Folded Reload
	buffer_load_dword v72, off, s[20:23], 0 offset:60 ; 4-byte Folded Reload
	s_waitcnt vmcnt(0)
	ds_write2_b64 v125, v[69:70], v[71:72] offset0:42 offset1:43
	ds_write2_b64 v125, v[121:122], v[123:124] offset0:44 offset1:45
	ds_write2_b64 v125, v[117:118], v[119:120] offset0:46 offset1:47
	;; [unrolled: 1-line block ×5, first 2 shown]
	buffer_load_dword v77, off, s[20:23], 0 offset:32 ; 4-byte Folded Reload
	buffer_load_dword v78, off, s[20:23], 0 offset:36 ; 4-byte Folded Reload
	;; [unrolled: 1-line block ×4, first 2 shown]
	v_mov_b32_e32 v69, v73
	v_mov_b32_e32 v70, v74
	;; [unrolled: 1-line block ×4, first 2 shown]
	s_waitcnt vmcnt(0)
	ds_write2_b64 v125, v[77:78], v[79:80] offset0:54 offset1:55
	buffer_load_dword v73, off, s[20:23], 0 offset:16 ; 4-byte Folded Reload
	buffer_load_dword v74, off, s[20:23], 0 offset:20 ; 4-byte Folded Reload
	;; [unrolled: 1-line block ×4, first 2 shown]
	s_waitcnt vmcnt(0)
	ds_write2_b64 v125, v[73:74], v[75:76] offset0:56 offset1:57
	v_mov_b32_e32 v76, v72
	v_mov_b32_e32 v75, v71
	;; [unrolled: 1-line block ×4, first 2 shown]
	buffer_load_dword v69, off, s[20:23], 0 ; 4-byte Folded Reload
	buffer_load_dword v70, off, s[20:23], 0 offset:4 ; 4-byte Folded Reload
	buffer_load_dword v71, off, s[20:23], 0 offset:8 ; 4-byte Folded Reload
	buffer_load_dword v72, off, s[20:23], 0 offset:12 ; 4-byte Folded Reload
	s_waitcnt vmcnt(0)
	ds_write2_b64 v125, v[69:70], v[71:72] offset0:58 offset1:59
	ds_write2_b64 v125, v[65:66], v[67:68] offset0:60 offset1:61
	;; [unrolled: 1-line block ×19, first 2 shown]
	ds_read2_b64 v[97:100], v127 offset1:1
	s_waitcnt lgkmcnt(0)
	v_cmp_neq_f64_e32 vcc, 0, v[97:98]
	v_cmp_neq_f64_e64 s[2:3], 0, v[99:100]
	s_or_b64 s[2:3], vcc, s[2:3]
	s_and_b64 exec, exec, s[2:3]
	s_cbranch_execz .LBB95_98
; %bb.93:
	v_cmp_ngt_f64_e64 s[2:3], |v[97:98]|, |v[99:100]|
                                        ; implicit-def: $vgpr101_vgpr102
	s_and_saveexec_b64 s[6:7], s[2:3]
	s_xor_b64 s[2:3], exec, s[6:7]
                                        ; implicit-def: $vgpr103_vgpr104
	s_cbranch_execz .LBB95_95
; %bb.94:
	v_div_scale_f64 v[101:102], s[6:7], v[99:100], v[99:100], v[97:98]
	v_rcp_f64_e32 v[103:104], v[101:102]
	v_fma_f64 v[105:106], -v[101:102], v[103:104], 1.0
	v_fma_f64 v[103:104], v[103:104], v[105:106], v[103:104]
	v_div_scale_f64 v[105:106], vcc, v[97:98], v[99:100], v[97:98]
	v_fma_f64 v[107:108], -v[101:102], v[103:104], 1.0
	v_fma_f64 v[103:104], v[103:104], v[107:108], v[103:104]
	v_mul_f64 v[107:108], v[105:106], v[103:104]
	v_fma_f64 v[101:102], -v[101:102], v[107:108], v[105:106]
	v_div_fmas_f64 v[101:102], v[101:102], v[103:104], v[107:108]
	v_div_fixup_f64 v[101:102], v[101:102], v[99:100], v[97:98]
	v_fma_f64 v[97:98], v[97:98], v[101:102], v[99:100]
	v_div_scale_f64 v[99:100], s[6:7], v[97:98], v[97:98], 1.0
	v_div_scale_f64 v[107:108], vcc, 1.0, v[97:98], 1.0
	v_rcp_f64_e32 v[103:104], v[99:100]
	v_fma_f64 v[105:106], -v[99:100], v[103:104], 1.0
	v_fma_f64 v[103:104], v[103:104], v[105:106], v[103:104]
	v_fma_f64 v[105:106], -v[99:100], v[103:104], 1.0
	v_fma_f64 v[103:104], v[103:104], v[105:106], v[103:104]
	v_mul_f64 v[105:106], v[107:108], v[103:104]
	v_fma_f64 v[99:100], -v[99:100], v[105:106], v[107:108]
	v_div_fmas_f64 v[99:100], v[99:100], v[103:104], v[105:106]
	v_div_fixup_f64 v[103:104], v[99:100], v[97:98], 1.0
                                        ; implicit-def: $vgpr97_vgpr98
	v_mul_f64 v[101:102], v[101:102], v[103:104]
	v_xor_b32_e32 v104, 0x80000000, v104
.LBB95_95:
	s_andn2_saveexec_b64 s[2:3], s[2:3]
	s_cbranch_execz .LBB95_97
; %bb.96:
	v_div_scale_f64 v[101:102], s[6:7], v[97:98], v[97:98], v[99:100]
	v_rcp_f64_e32 v[103:104], v[101:102]
	v_fma_f64 v[105:106], -v[101:102], v[103:104], 1.0
	v_fma_f64 v[103:104], v[103:104], v[105:106], v[103:104]
	v_div_scale_f64 v[105:106], vcc, v[99:100], v[97:98], v[99:100]
	v_fma_f64 v[107:108], -v[101:102], v[103:104], 1.0
	v_fma_f64 v[103:104], v[103:104], v[107:108], v[103:104]
	v_mul_f64 v[107:108], v[105:106], v[103:104]
	v_fma_f64 v[101:102], -v[101:102], v[107:108], v[105:106]
	v_div_fmas_f64 v[101:102], v[101:102], v[103:104], v[107:108]
	v_div_fixup_f64 v[103:104], v[101:102], v[97:98], v[99:100]
	v_fma_f64 v[97:98], v[99:100], v[103:104], v[97:98]
	v_div_scale_f64 v[99:100], s[6:7], v[97:98], v[97:98], 1.0
	v_div_scale_f64 v[107:108], vcc, 1.0, v[97:98], 1.0
	v_rcp_f64_e32 v[101:102], v[99:100]
	v_fma_f64 v[105:106], -v[99:100], v[101:102], 1.0
	v_fma_f64 v[101:102], v[101:102], v[105:106], v[101:102]
	v_fma_f64 v[105:106], -v[99:100], v[101:102], 1.0
	v_fma_f64 v[101:102], v[101:102], v[105:106], v[101:102]
	v_mul_f64 v[105:106], v[107:108], v[101:102]
	v_fma_f64 v[99:100], -v[99:100], v[105:106], v[107:108]
	v_div_fmas_f64 v[99:100], v[99:100], v[101:102], v[105:106]
	v_div_fixup_f64 v[101:102], v[99:100], v[97:98], 1.0
	v_mul_f64 v[103:104], v[103:104], -v[101:102]
.LBB95_97:
	s_or_b64 exec, exec, s[2:3]
	ds_write2_b64 v127, v[101:102], v[103:104] offset1:1
.LBB95_98:
	s_or_b64 exec, exec, s[4:5]
	s_waitcnt lgkmcnt(0)
	s_barrier
	ds_read2_b64 v[69:72], v127 offset1:1
	v_cmp_lt_u32_e32 vcc, 10, v0
	s_waitcnt lgkmcnt(0)
	buffer_store_dword v69, off, s[20:23], 0 offset:936 ; 4-byte Folded Spill
	s_nop 0
	buffer_store_dword v70, off, s[20:23], 0 offset:940 ; 4-byte Folded Spill
	buffer_store_dword v71, off, s[20:23], 0 offset:944 ; 4-byte Folded Spill
	;; [unrolled: 1-line block ×3, first 2 shown]
	s_and_saveexec_b64 s[2:3], vcc
	s_cbranch_execz .LBB95_100
; %bb.99:
	buffer_load_dword v103, off, s[20:23], 0 offset:224 ; 4-byte Folded Reload
	buffer_load_dword v104, off, s[20:23], 0 offset:228 ; 4-byte Folded Reload
	;; [unrolled: 1-line block ×8, first 2 shown]
	s_waitcnt vmcnt(2)
	v_mul_f64 v[99:100], v[69:70], v[105:106]
	s_waitcnt vmcnt(0)
	v_mul_f64 v[97:98], v[71:72], v[105:106]
	v_fma_f64 v[105:106], v[71:72], v[103:104], v[99:100]
	ds_read2_b64 v[99:102], v125 offset0:22 offset1:23
	v_fma_f64 v[97:98], v[69:70], v[103:104], -v[97:98]
	buffer_load_dword v69, off, s[20:23], 0 offset:208 ; 4-byte Folded Reload
	buffer_load_dword v70, off, s[20:23], 0 offset:212 ; 4-byte Folded Reload
	buffer_load_dword v71, off, s[20:23], 0 offset:216 ; 4-byte Folded Reload
	buffer_load_dword v72, off, s[20:23], 0 offset:220 ; 4-byte Folded Reload
	s_waitcnt lgkmcnt(0)
	v_mul_f64 v[103:104], v[101:102], v[105:106]
	v_fma_f64 v[103:104], v[99:100], v[97:98], -v[103:104]
	v_mul_f64 v[99:100], v[99:100], v[105:106]
	v_fma_f64 v[99:100], v[101:102], v[97:98], v[99:100]
	s_waitcnt vmcnt(2)
	v_add_f64 v[69:70], v[69:70], -v[103:104]
	s_waitcnt vmcnt(0)
	v_add_f64 v[71:72], v[71:72], -v[99:100]
	buffer_store_dword v69, off, s[20:23], 0 offset:208 ; 4-byte Folded Spill
	s_nop 0
	buffer_store_dword v70, off, s[20:23], 0 offset:212 ; 4-byte Folded Spill
	buffer_store_dword v71, off, s[20:23], 0 offset:216 ; 4-byte Folded Spill
	buffer_store_dword v72, off, s[20:23], 0 offset:220 ; 4-byte Folded Spill
	ds_read2_b64 v[99:102], v125 offset0:24 offset1:25
	buffer_load_dword v69, off, s[20:23], 0 offset:192 ; 4-byte Folded Reload
	buffer_load_dword v70, off, s[20:23], 0 offset:196 ; 4-byte Folded Reload
	buffer_load_dword v71, off, s[20:23], 0 offset:200 ; 4-byte Folded Reload
	buffer_load_dword v72, off, s[20:23], 0 offset:204 ; 4-byte Folded Reload
	s_waitcnt lgkmcnt(0)
	v_mul_f64 v[103:104], v[101:102], v[105:106]
	v_fma_f64 v[103:104], v[99:100], v[97:98], -v[103:104]
	v_mul_f64 v[99:100], v[99:100], v[105:106]
	v_fma_f64 v[99:100], v[101:102], v[97:98], v[99:100]
	s_waitcnt vmcnt(2)
	v_add_f64 v[69:70], v[69:70], -v[103:104]
	s_waitcnt vmcnt(0)
	v_add_f64 v[71:72], v[71:72], -v[99:100]
	buffer_store_dword v69, off, s[20:23], 0 offset:192 ; 4-byte Folded Spill
	s_nop 0
	buffer_store_dword v70, off, s[20:23], 0 offset:196 ; 4-byte Folded Spill
	buffer_store_dword v71, off, s[20:23], 0 offset:200 ; 4-byte Folded Spill
	buffer_store_dword v72, off, s[20:23], 0 offset:204 ; 4-byte Folded Spill
	ds_read2_b64 v[99:102], v125 offset0:26 offset1:27
	;; [unrolled: 19-line block ×11, first 2 shown]
	v_mov_b32_e32 v69, v73
	v_mov_b32_e32 v70, v74
	;; [unrolled: 1-line block ×4, first 2 shown]
	s_waitcnt lgkmcnt(0)
	v_mul_f64 v[103:104], v[101:102], v[105:106]
	v_fma_f64 v[103:104], v[99:100], v[97:98], -v[103:104]
	v_mul_f64 v[99:100], v[99:100], v[105:106]
	v_add_f64 v[121:122], v[121:122], -v[103:104]
	v_fma_f64 v[99:100], v[101:102], v[97:98], v[99:100]
	v_add_f64 v[123:124], v[123:124], -v[99:100]
	ds_read2_b64 v[99:102], v125 offset0:46 offset1:47
	s_waitcnt lgkmcnt(0)
	v_mul_f64 v[103:104], v[101:102], v[105:106]
	v_fma_f64 v[103:104], v[99:100], v[97:98], -v[103:104]
	v_mul_f64 v[99:100], v[99:100], v[105:106]
	v_add_f64 v[117:118], v[117:118], -v[103:104]
	v_fma_f64 v[99:100], v[101:102], v[97:98], v[99:100]
	v_add_f64 v[119:120], v[119:120], -v[99:100]
	ds_read2_b64 v[99:102], v125 offset0:48 offset1:49
	;; [unrolled: 8-line block ×5, first 2 shown]
	buffer_load_dword v77, off, s[20:23], 0 offset:32 ; 4-byte Folded Reload
	buffer_load_dword v78, off, s[20:23], 0 offset:36 ; 4-byte Folded Reload
	;; [unrolled: 1-line block ×4, first 2 shown]
	s_waitcnt lgkmcnt(0)
	v_mul_f64 v[103:104], v[101:102], v[105:106]
	v_fma_f64 v[103:104], v[99:100], v[97:98], -v[103:104]
	v_mul_f64 v[99:100], v[99:100], v[105:106]
	v_fma_f64 v[99:100], v[101:102], v[97:98], v[99:100]
	s_waitcnt vmcnt(2)
	v_add_f64 v[77:78], v[77:78], -v[103:104]
	s_waitcnt vmcnt(0)
	v_add_f64 v[79:80], v[79:80], -v[99:100]
	buffer_store_dword v77, off, s[20:23], 0 offset:32 ; 4-byte Folded Spill
	s_nop 0
	buffer_store_dword v78, off, s[20:23], 0 offset:36 ; 4-byte Folded Spill
	buffer_store_dword v79, off, s[20:23], 0 offset:40 ; 4-byte Folded Spill
	;; [unrolled: 1-line block ×3, first 2 shown]
	ds_read2_b64 v[99:102], v125 offset0:56 offset1:57
	buffer_load_dword v73, off, s[20:23], 0 offset:16 ; 4-byte Folded Reload
	buffer_load_dword v74, off, s[20:23], 0 offset:20 ; 4-byte Folded Reload
	;; [unrolled: 1-line block ×4, first 2 shown]
	s_waitcnt lgkmcnt(0)
	v_mul_f64 v[103:104], v[101:102], v[105:106]
	v_fma_f64 v[103:104], v[99:100], v[97:98], -v[103:104]
	v_mul_f64 v[99:100], v[99:100], v[105:106]
	v_fma_f64 v[99:100], v[101:102], v[97:98], v[99:100]
	s_waitcnt vmcnt(2)
	v_add_f64 v[73:74], v[73:74], -v[103:104]
	s_waitcnt vmcnt(0)
	v_add_f64 v[75:76], v[75:76], -v[99:100]
	buffer_store_dword v73, off, s[20:23], 0 offset:16 ; 4-byte Folded Spill
	s_nop 0
	buffer_store_dword v74, off, s[20:23], 0 offset:20 ; 4-byte Folded Spill
	buffer_store_dword v75, off, s[20:23], 0 offset:24 ; 4-byte Folded Spill
	buffer_store_dword v76, off, s[20:23], 0 offset:28 ; 4-byte Folded Spill
	v_mov_b32_e32 v76, v72
	v_mov_b32_e32 v75, v71
	;; [unrolled: 1-line block ×4, first 2 shown]
	ds_read2_b64 v[99:102], v125 offset0:58 offset1:59
	buffer_load_dword v69, off, s[20:23], 0 ; 4-byte Folded Reload
	buffer_load_dword v70, off, s[20:23], 0 offset:4 ; 4-byte Folded Reload
	buffer_load_dword v71, off, s[20:23], 0 offset:8 ; 4-byte Folded Reload
	;; [unrolled: 1-line block ×3, first 2 shown]
	s_waitcnt lgkmcnt(0)
	v_mul_f64 v[103:104], v[101:102], v[105:106]
	v_fma_f64 v[103:104], v[99:100], v[97:98], -v[103:104]
	v_mul_f64 v[99:100], v[99:100], v[105:106]
	v_fma_f64 v[99:100], v[101:102], v[97:98], v[99:100]
	s_waitcnt vmcnt(2)
	v_add_f64 v[69:70], v[69:70], -v[103:104]
	s_waitcnt vmcnt(0)
	v_add_f64 v[71:72], v[71:72], -v[99:100]
	buffer_store_dword v69, off, s[20:23], 0 ; 4-byte Folded Spill
	s_nop 0
	buffer_store_dword v70, off, s[20:23], 0 offset:4 ; 4-byte Folded Spill
	buffer_store_dword v71, off, s[20:23], 0 offset:8 ; 4-byte Folded Spill
	;; [unrolled: 1-line block ×3, first 2 shown]
	ds_read2_b64 v[99:102], v125 offset0:60 offset1:61
	s_waitcnt lgkmcnt(0)
	v_mul_f64 v[103:104], v[101:102], v[105:106]
	v_fma_f64 v[103:104], v[99:100], v[97:98], -v[103:104]
	v_mul_f64 v[99:100], v[99:100], v[105:106]
	v_add_f64 v[65:66], v[65:66], -v[103:104]
	v_fma_f64 v[99:100], v[101:102], v[97:98], v[99:100]
	v_add_f64 v[67:68], v[67:68], -v[99:100]
	ds_read2_b64 v[99:102], v125 offset0:62 offset1:63
	s_waitcnt lgkmcnt(0)
	v_mul_f64 v[103:104], v[101:102], v[105:106]
	v_fma_f64 v[103:104], v[99:100], v[97:98], -v[103:104]
	v_mul_f64 v[99:100], v[99:100], v[105:106]
	v_add_f64 v[61:62], v[61:62], -v[103:104]
	v_fma_f64 v[99:100], v[101:102], v[97:98], v[99:100]
	v_add_f64 v[63:64], v[63:64], -v[99:100]
	;; [unrolled: 8-line block ×17, first 2 shown]
	ds_read2_b64 v[99:102], v125 offset0:94 offset1:95
	s_waitcnt lgkmcnt(0)
	v_mul_f64 v[103:104], v[101:102], v[105:106]
	v_fma_f64 v[103:104], v[99:100], v[97:98], -v[103:104]
	v_mul_f64 v[99:100], v[99:100], v[105:106]
	v_add_f64 v[73:74], v[73:74], -v[103:104]
	v_fma_f64 v[99:100], v[101:102], v[97:98], v[99:100]
	v_mov_b32_e32 v104, v98
	v_mov_b32_e32 v103, v97
	buffer_store_dword v103, off, s[20:23], 0 offset:224 ; 4-byte Folded Spill
	s_nop 0
	buffer_store_dword v104, off, s[20:23], 0 offset:228 ; 4-byte Folded Spill
	buffer_store_dword v105, off, s[20:23], 0 offset:232 ; 4-byte Folded Spill
	;; [unrolled: 1-line block ×3, first 2 shown]
	v_add_f64 v[75:76], v[75:76], -v[99:100]
.LBB95_100:
	s_or_b64 exec, exec, s[2:3]
	v_cmp_eq_u32_e32 vcc, 11, v0
	s_waitcnt vmcnt(0)
	s_barrier
	s_and_saveexec_b64 s[4:5], vcc
	s_cbranch_execz .LBB95_107
; %bb.101:
	buffer_load_dword v69, off, s[20:23], 0 offset:208 ; 4-byte Folded Reload
	buffer_load_dword v70, off, s[20:23], 0 offset:212 ; 4-byte Folded Reload
	;; [unrolled: 1-line block ×4, first 2 shown]
	s_waitcnt vmcnt(0)
	ds_write2_b64 v127, v[69:70], v[71:72] offset1:1
	buffer_load_dword v69, off, s[20:23], 0 offset:192 ; 4-byte Folded Reload
	buffer_load_dword v70, off, s[20:23], 0 offset:196 ; 4-byte Folded Reload
	buffer_load_dword v71, off, s[20:23], 0 offset:200 ; 4-byte Folded Reload
	buffer_load_dword v72, off, s[20:23], 0 offset:204 ; 4-byte Folded Reload
	s_waitcnt vmcnt(0)
	ds_write2_b64 v125, v[69:70], v[71:72] offset0:24 offset1:25
	buffer_load_dword v69, off, s[20:23], 0 offset:176 ; 4-byte Folded Reload
	buffer_load_dword v70, off, s[20:23], 0 offset:180 ; 4-byte Folded Reload
	buffer_load_dword v71, off, s[20:23], 0 offset:184 ; 4-byte Folded Reload
	buffer_load_dword v72, off, s[20:23], 0 offset:188 ; 4-byte Folded Reload
	s_waitcnt vmcnt(0)
	ds_write2_b64 v125, v[69:70], v[71:72] offset0:26 offset1:27
	;; [unrolled: 6-line block ×10, first 2 shown]
	ds_write2_b64 v125, v[121:122], v[123:124] offset0:44 offset1:45
	ds_write2_b64 v125, v[117:118], v[119:120] offset0:46 offset1:47
	;; [unrolled: 1-line block ×5, first 2 shown]
	buffer_load_dword v77, off, s[20:23], 0 offset:32 ; 4-byte Folded Reload
	buffer_load_dword v78, off, s[20:23], 0 offset:36 ; 4-byte Folded Reload
	;; [unrolled: 1-line block ×4, first 2 shown]
	v_mov_b32_e32 v69, v73
	v_mov_b32_e32 v70, v74
	;; [unrolled: 1-line block ×4, first 2 shown]
	s_waitcnt vmcnt(0)
	ds_write2_b64 v125, v[77:78], v[79:80] offset0:54 offset1:55
	buffer_load_dword v73, off, s[20:23], 0 offset:16 ; 4-byte Folded Reload
	buffer_load_dword v74, off, s[20:23], 0 offset:20 ; 4-byte Folded Reload
	;; [unrolled: 1-line block ×4, first 2 shown]
	s_waitcnt vmcnt(0)
	ds_write2_b64 v125, v[73:74], v[75:76] offset0:56 offset1:57
	v_mov_b32_e32 v76, v72
	v_mov_b32_e32 v75, v71
	;; [unrolled: 1-line block ×4, first 2 shown]
	buffer_load_dword v69, off, s[20:23], 0 ; 4-byte Folded Reload
	buffer_load_dword v70, off, s[20:23], 0 offset:4 ; 4-byte Folded Reload
	buffer_load_dword v71, off, s[20:23], 0 offset:8 ; 4-byte Folded Reload
	;; [unrolled: 1-line block ×3, first 2 shown]
	s_waitcnt vmcnt(0)
	ds_write2_b64 v125, v[69:70], v[71:72] offset0:58 offset1:59
	ds_write2_b64 v125, v[65:66], v[67:68] offset0:60 offset1:61
	;; [unrolled: 1-line block ×19, first 2 shown]
	ds_read2_b64 v[97:100], v127 offset1:1
	s_waitcnt lgkmcnt(0)
	v_cmp_neq_f64_e32 vcc, 0, v[97:98]
	v_cmp_neq_f64_e64 s[2:3], 0, v[99:100]
	s_or_b64 s[2:3], vcc, s[2:3]
	s_and_b64 exec, exec, s[2:3]
	s_cbranch_execz .LBB95_107
; %bb.102:
	v_cmp_ngt_f64_e64 s[2:3], |v[97:98]|, |v[99:100]|
                                        ; implicit-def: $vgpr101_vgpr102
	s_and_saveexec_b64 s[6:7], s[2:3]
	s_xor_b64 s[2:3], exec, s[6:7]
                                        ; implicit-def: $vgpr103_vgpr104
	s_cbranch_execz .LBB95_104
; %bb.103:
	v_div_scale_f64 v[101:102], s[6:7], v[99:100], v[99:100], v[97:98]
	v_rcp_f64_e32 v[103:104], v[101:102]
	v_fma_f64 v[105:106], -v[101:102], v[103:104], 1.0
	v_fma_f64 v[103:104], v[103:104], v[105:106], v[103:104]
	v_div_scale_f64 v[105:106], vcc, v[97:98], v[99:100], v[97:98]
	v_fma_f64 v[107:108], -v[101:102], v[103:104], 1.0
	v_fma_f64 v[103:104], v[103:104], v[107:108], v[103:104]
	v_mul_f64 v[107:108], v[105:106], v[103:104]
	v_fma_f64 v[101:102], -v[101:102], v[107:108], v[105:106]
	v_div_fmas_f64 v[101:102], v[101:102], v[103:104], v[107:108]
	v_div_fixup_f64 v[101:102], v[101:102], v[99:100], v[97:98]
	v_fma_f64 v[97:98], v[97:98], v[101:102], v[99:100]
	v_div_scale_f64 v[99:100], s[6:7], v[97:98], v[97:98], 1.0
	v_div_scale_f64 v[107:108], vcc, 1.0, v[97:98], 1.0
	v_rcp_f64_e32 v[103:104], v[99:100]
	v_fma_f64 v[105:106], -v[99:100], v[103:104], 1.0
	v_fma_f64 v[103:104], v[103:104], v[105:106], v[103:104]
	v_fma_f64 v[105:106], -v[99:100], v[103:104], 1.0
	v_fma_f64 v[103:104], v[103:104], v[105:106], v[103:104]
	v_mul_f64 v[105:106], v[107:108], v[103:104]
	v_fma_f64 v[99:100], -v[99:100], v[105:106], v[107:108]
	v_div_fmas_f64 v[99:100], v[99:100], v[103:104], v[105:106]
	v_div_fixup_f64 v[103:104], v[99:100], v[97:98], 1.0
                                        ; implicit-def: $vgpr97_vgpr98
	v_mul_f64 v[101:102], v[101:102], v[103:104]
	v_xor_b32_e32 v104, 0x80000000, v104
.LBB95_104:
	s_andn2_saveexec_b64 s[2:3], s[2:3]
	s_cbranch_execz .LBB95_106
; %bb.105:
	v_div_scale_f64 v[101:102], s[6:7], v[97:98], v[97:98], v[99:100]
	v_rcp_f64_e32 v[103:104], v[101:102]
	v_fma_f64 v[105:106], -v[101:102], v[103:104], 1.0
	v_fma_f64 v[103:104], v[103:104], v[105:106], v[103:104]
	v_div_scale_f64 v[105:106], vcc, v[99:100], v[97:98], v[99:100]
	v_fma_f64 v[107:108], -v[101:102], v[103:104], 1.0
	v_fma_f64 v[103:104], v[103:104], v[107:108], v[103:104]
	v_mul_f64 v[107:108], v[105:106], v[103:104]
	v_fma_f64 v[101:102], -v[101:102], v[107:108], v[105:106]
	v_div_fmas_f64 v[101:102], v[101:102], v[103:104], v[107:108]
	v_div_fixup_f64 v[103:104], v[101:102], v[97:98], v[99:100]
	v_fma_f64 v[97:98], v[99:100], v[103:104], v[97:98]
	v_div_scale_f64 v[99:100], s[6:7], v[97:98], v[97:98], 1.0
	v_div_scale_f64 v[107:108], vcc, 1.0, v[97:98], 1.0
	v_rcp_f64_e32 v[101:102], v[99:100]
	v_fma_f64 v[105:106], -v[99:100], v[101:102], 1.0
	v_fma_f64 v[101:102], v[101:102], v[105:106], v[101:102]
	v_fma_f64 v[105:106], -v[99:100], v[101:102], 1.0
	v_fma_f64 v[101:102], v[101:102], v[105:106], v[101:102]
	v_mul_f64 v[105:106], v[107:108], v[101:102]
	v_fma_f64 v[99:100], -v[99:100], v[105:106], v[107:108]
	v_div_fmas_f64 v[99:100], v[99:100], v[101:102], v[105:106]
	v_div_fixup_f64 v[101:102], v[99:100], v[97:98], 1.0
	v_mul_f64 v[103:104], v[103:104], -v[101:102]
.LBB95_106:
	s_or_b64 exec, exec, s[2:3]
	ds_write2_b64 v127, v[101:102], v[103:104] offset1:1
.LBB95_107:
	s_or_b64 exec, exec, s[4:5]
	s_waitcnt lgkmcnt(0)
	s_barrier
	ds_read2_b64 v[69:72], v127 offset1:1
	v_cmp_lt_u32_e32 vcc, 11, v0
	s_waitcnt lgkmcnt(0)
	buffer_store_dword v69, off, s[20:23], 0 offset:952 ; 4-byte Folded Spill
	s_nop 0
	buffer_store_dword v70, off, s[20:23], 0 offset:956 ; 4-byte Folded Spill
	buffer_store_dword v71, off, s[20:23], 0 offset:960 ; 4-byte Folded Spill
	;; [unrolled: 1-line block ×3, first 2 shown]
	s_and_saveexec_b64 s[2:3], vcc
	s_cbranch_execz .LBB95_109
; %bb.108:
	buffer_load_dword v103, off, s[20:23], 0 offset:208 ; 4-byte Folded Reload
	buffer_load_dword v104, off, s[20:23], 0 offset:212 ; 4-byte Folded Reload
	;; [unrolled: 1-line block ×8, first 2 shown]
	s_waitcnt vmcnt(2)
	v_mul_f64 v[99:100], v[69:70], v[105:106]
	s_waitcnt vmcnt(0)
	v_mul_f64 v[97:98], v[71:72], v[105:106]
	v_fma_f64 v[105:106], v[71:72], v[103:104], v[99:100]
	ds_read2_b64 v[99:102], v125 offset0:24 offset1:25
	v_fma_f64 v[97:98], v[69:70], v[103:104], -v[97:98]
	buffer_load_dword v69, off, s[20:23], 0 offset:192 ; 4-byte Folded Reload
	buffer_load_dword v70, off, s[20:23], 0 offset:196 ; 4-byte Folded Reload
	buffer_load_dword v71, off, s[20:23], 0 offset:200 ; 4-byte Folded Reload
	buffer_load_dword v72, off, s[20:23], 0 offset:204 ; 4-byte Folded Reload
	s_waitcnt lgkmcnt(0)
	v_mul_f64 v[103:104], v[101:102], v[105:106]
	v_fma_f64 v[103:104], v[99:100], v[97:98], -v[103:104]
	v_mul_f64 v[99:100], v[99:100], v[105:106]
	v_fma_f64 v[99:100], v[101:102], v[97:98], v[99:100]
	s_waitcnt vmcnt(2)
	v_add_f64 v[69:70], v[69:70], -v[103:104]
	s_waitcnt vmcnt(0)
	v_add_f64 v[71:72], v[71:72], -v[99:100]
	buffer_store_dword v69, off, s[20:23], 0 offset:192 ; 4-byte Folded Spill
	s_nop 0
	buffer_store_dword v70, off, s[20:23], 0 offset:196 ; 4-byte Folded Spill
	buffer_store_dword v71, off, s[20:23], 0 offset:200 ; 4-byte Folded Spill
	buffer_store_dword v72, off, s[20:23], 0 offset:204 ; 4-byte Folded Spill
	ds_read2_b64 v[99:102], v125 offset0:26 offset1:27
	buffer_load_dword v69, off, s[20:23], 0 offset:176 ; 4-byte Folded Reload
	buffer_load_dword v70, off, s[20:23], 0 offset:180 ; 4-byte Folded Reload
	buffer_load_dword v71, off, s[20:23], 0 offset:184 ; 4-byte Folded Reload
	buffer_load_dword v72, off, s[20:23], 0 offset:188 ; 4-byte Folded Reload
	s_waitcnt lgkmcnt(0)
	v_mul_f64 v[103:104], v[101:102], v[105:106]
	v_fma_f64 v[103:104], v[99:100], v[97:98], -v[103:104]
	v_mul_f64 v[99:100], v[99:100], v[105:106]
	v_fma_f64 v[99:100], v[101:102], v[97:98], v[99:100]
	s_waitcnt vmcnt(2)
	v_add_f64 v[69:70], v[69:70], -v[103:104]
	s_waitcnt vmcnt(0)
	v_add_f64 v[71:72], v[71:72], -v[99:100]
	buffer_store_dword v69, off, s[20:23], 0 offset:176 ; 4-byte Folded Spill
	s_nop 0
	buffer_store_dword v70, off, s[20:23], 0 offset:180 ; 4-byte Folded Spill
	buffer_store_dword v71, off, s[20:23], 0 offset:184 ; 4-byte Folded Spill
	buffer_store_dword v72, off, s[20:23], 0 offset:188 ; 4-byte Folded Spill
	ds_read2_b64 v[99:102], v125 offset0:28 offset1:29
	;; [unrolled: 19-line block ×10, first 2 shown]
	v_mov_b32_e32 v69, v73
	v_mov_b32_e32 v70, v74
	;; [unrolled: 1-line block ×4, first 2 shown]
	s_waitcnt lgkmcnt(0)
	v_mul_f64 v[103:104], v[101:102], v[105:106]
	v_fma_f64 v[103:104], v[99:100], v[97:98], -v[103:104]
	v_mul_f64 v[99:100], v[99:100], v[105:106]
	v_add_f64 v[121:122], v[121:122], -v[103:104]
	v_fma_f64 v[99:100], v[101:102], v[97:98], v[99:100]
	v_add_f64 v[123:124], v[123:124], -v[99:100]
	ds_read2_b64 v[99:102], v125 offset0:46 offset1:47
	s_waitcnt lgkmcnt(0)
	v_mul_f64 v[103:104], v[101:102], v[105:106]
	v_fma_f64 v[103:104], v[99:100], v[97:98], -v[103:104]
	v_mul_f64 v[99:100], v[99:100], v[105:106]
	v_add_f64 v[117:118], v[117:118], -v[103:104]
	v_fma_f64 v[99:100], v[101:102], v[97:98], v[99:100]
	v_add_f64 v[119:120], v[119:120], -v[99:100]
	ds_read2_b64 v[99:102], v125 offset0:48 offset1:49
	;; [unrolled: 8-line block ×5, first 2 shown]
	buffer_load_dword v77, off, s[20:23], 0 offset:32 ; 4-byte Folded Reload
	buffer_load_dword v78, off, s[20:23], 0 offset:36 ; 4-byte Folded Reload
	;; [unrolled: 1-line block ×4, first 2 shown]
	s_waitcnt lgkmcnt(0)
	v_mul_f64 v[103:104], v[101:102], v[105:106]
	v_fma_f64 v[103:104], v[99:100], v[97:98], -v[103:104]
	v_mul_f64 v[99:100], v[99:100], v[105:106]
	v_fma_f64 v[99:100], v[101:102], v[97:98], v[99:100]
	s_waitcnt vmcnt(2)
	v_add_f64 v[77:78], v[77:78], -v[103:104]
	s_waitcnt vmcnt(0)
	v_add_f64 v[79:80], v[79:80], -v[99:100]
	buffer_store_dword v77, off, s[20:23], 0 offset:32 ; 4-byte Folded Spill
	s_nop 0
	buffer_store_dword v78, off, s[20:23], 0 offset:36 ; 4-byte Folded Spill
	buffer_store_dword v79, off, s[20:23], 0 offset:40 ; 4-byte Folded Spill
	;; [unrolled: 1-line block ×3, first 2 shown]
	ds_read2_b64 v[99:102], v125 offset0:56 offset1:57
	buffer_load_dword v73, off, s[20:23], 0 offset:16 ; 4-byte Folded Reload
	buffer_load_dword v74, off, s[20:23], 0 offset:20 ; 4-byte Folded Reload
	;; [unrolled: 1-line block ×4, first 2 shown]
	s_waitcnt lgkmcnt(0)
	v_mul_f64 v[103:104], v[101:102], v[105:106]
	v_fma_f64 v[103:104], v[99:100], v[97:98], -v[103:104]
	v_mul_f64 v[99:100], v[99:100], v[105:106]
	v_fma_f64 v[99:100], v[101:102], v[97:98], v[99:100]
	s_waitcnt vmcnt(2)
	v_add_f64 v[73:74], v[73:74], -v[103:104]
	s_waitcnt vmcnt(0)
	v_add_f64 v[75:76], v[75:76], -v[99:100]
	buffer_store_dword v73, off, s[20:23], 0 offset:16 ; 4-byte Folded Spill
	s_nop 0
	buffer_store_dword v74, off, s[20:23], 0 offset:20 ; 4-byte Folded Spill
	buffer_store_dword v75, off, s[20:23], 0 offset:24 ; 4-byte Folded Spill
	;; [unrolled: 1-line block ×3, first 2 shown]
	v_mov_b32_e32 v76, v72
	v_mov_b32_e32 v75, v71
	;; [unrolled: 1-line block ×4, first 2 shown]
	ds_read2_b64 v[99:102], v125 offset0:58 offset1:59
	buffer_load_dword v69, off, s[20:23], 0 ; 4-byte Folded Reload
	buffer_load_dword v70, off, s[20:23], 0 offset:4 ; 4-byte Folded Reload
	buffer_load_dword v71, off, s[20:23], 0 offset:8 ; 4-byte Folded Reload
	;; [unrolled: 1-line block ×3, first 2 shown]
	s_waitcnt lgkmcnt(0)
	v_mul_f64 v[103:104], v[101:102], v[105:106]
	v_fma_f64 v[103:104], v[99:100], v[97:98], -v[103:104]
	v_mul_f64 v[99:100], v[99:100], v[105:106]
	v_fma_f64 v[99:100], v[101:102], v[97:98], v[99:100]
	s_waitcnt vmcnt(2)
	v_add_f64 v[69:70], v[69:70], -v[103:104]
	s_waitcnt vmcnt(0)
	v_add_f64 v[71:72], v[71:72], -v[99:100]
	buffer_store_dword v69, off, s[20:23], 0 ; 4-byte Folded Spill
	s_nop 0
	buffer_store_dword v70, off, s[20:23], 0 offset:4 ; 4-byte Folded Spill
	buffer_store_dword v71, off, s[20:23], 0 offset:8 ; 4-byte Folded Spill
	;; [unrolled: 1-line block ×3, first 2 shown]
	ds_read2_b64 v[99:102], v125 offset0:60 offset1:61
	s_waitcnt lgkmcnt(0)
	v_mul_f64 v[103:104], v[101:102], v[105:106]
	v_fma_f64 v[103:104], v[99:100], v[97:98], -v[103:104]
	v_mul_f64 v[99:100], v[99:100], v[105:106]
	v_add_f64 v[65:66], v[65:66], -v[103:104]
	v_fma_f64 v[99:100], v[101:102], v[97:98], v[99:100]
	v_add_f64 v[67:68], v[67:68], -v[99:100]
	ds_read2_b64 v[99:102], v125 offset0:62 offset1:63
	s_waitcnt lgkmcnt(0)
	v_mul_f64 v[103:104], v[101:102], v[105:106]
	v_fma_f64 v[103:104], v[99:100], v[97:98], -v[103:104]
	v_mul_f64 v[99:100], v[99:100], v[105:106]
	v_add_f64 v[61:62], v[61:62], -v[103:104]
	v_fma_f64 v[99:100], v[101:102], v[97:98], v[99:100]
	v_add_f64 v[63:64], v[63:64], -v[99:100]
	;; [unrolled: 8-line block ×17, first 2 shown]
	ds_read2_b64 v[99:102], v125 offset0:94 offset1:95
	s_waitcnt lgkmcnt(0)
	v_mul_f64 v[103:104], v[101:102], v[105:106]
	v_fma_f64 v[103:104], v[99:100], v[97:98], -v[103:104]
	v_mul_f64 v[99:100], v[99:100], v[105:106]
	v_add_f64 v[73:74], v[73:74], -v[103:104]
	v_fma_f64 v[99:100], v[101:102], v[97:98], v[99:100]
	v_mov_b32_e32 v104, v98
	v_mov_b32_e32 v103, v97
	buffer_store_dword v103, off, s[20:23], 0 offset:208 ; 4-byte Folded Spill
	s_nop 0
	buffer_store_dword v104, off, s[20:23], 0 offset:212 ; 4-byte Folded Spill
	buffer_store_dword v105, off, s[20:23], 0 offset:216 ; 4-byte Folded Spill
	;; [unrolled: 1-line block ×3, first 2 shown]
	v_add_f64 v[75:76], v[75:76], -v[99:100]
.LBB95_109:
	s_or_b64 exec, exec, s[2:3]
	v_cmp_eq_u32_e32 vcc, 12, v0
	s_waitcnt vmcnt(0)
	s_barrier
	s_and_saveexec_b64 s[4:5], vcc
	s_cbranch_execz .LBB95_116
; %bb.110:
	buffer_load_dword v69, off, s[20:23], 0 offset:192 ; 4-byte Folded Reload
	buffer_load_dword v70, off, s[20:23], 0 offset:196 ; 4-byte Folded Reload
	;; [unrolled: 1-line block ×4, first 2 shown]
	s_waitcnt vmcnt(0)
	ds_write2_b64 v127, v[69:70], v[71:72] offset1:1
	buffer_load_dword v69, off, s[20:23], 0 offset:176 ; 4-byte Folded Reload
	buffer_load_dword v70, off, s[20:23], 0 offset:180 ; 4-byte Folded Reload
	buffer_load_dword v71, off, s[20:23], 0 offset:184 ; 4-byte Folded Reload
	buffer_load_dword v72, off, s[20:23], 0 offset:188 ; 4-byte Folded Reload
	s_waitcnt vmcnt(0)
	ds_write2_b64 v125, v[69:70], v[71:72] offset0:26 offset1:27
	buffer_load_dword v69, off, s[20:23], 0 offset:160 ; 4-byte Folded Reload
	buffer_load_dword v70, off, s[20:23], 0 offset:164 ; 4-byte Folded Reload
	buffer_load_dword v71, off, s[20:23], 0 offset:168 ; 4-byte Folded Reload
	buffer_load_dword v72, off, s[20:23], 0 offset:172 ; 4-byte Folded Reload
	s_waitcnt vmcnt(0)
	ds_write2_b64 v125, v[69:70], v[71:72] offset0:28 offset1:29
	buffer_load_dword v69, off, s[20:23], 0 offset:144 ; 4-byte Folded Reload
	buffer_load_dword v70, off, s[20:23], 0 offset:148 ; 4-byte Folded Reload
	buffer_load_dword v71, off, s[20:23], 0 offset:152 ; 4-byte Folded Reload
	buffer_load_dword v72, off, s[20:23], 0 offset:156 ; 4-byte Folded Reload
	s_waitcnt vmcnt(0)
	ds_write2_b64 v125, v[69:70], v[71:72] offset0:30 offset1:31
	buffer_load_dword v69, off, s[20:23], 0 offset:128 ; 4-byte Folded Reload
	buffer_load_dword v70, off, s[20:23], 0 offset:132 ; 4-byte Folded Reload
	buffer_load_dword v71, off, s[20:23], 0 offset:136 ; 4-byte Folded Reload
	buffer_load_dword v72, off, s[20:23], 0 offset:140 ; 4-byte Folded Reload
	s_waitcnt vmcnt(0)
	ds_write2_b64 v125, v[69:70], v[71:72] offset0:32 offset1:33
	buffer_load_dword v69, off, s[20:23], 0 offset:112 ; 4-byte Folded Reload
	buffer_load_dword v70, off, s[20:23], 0 offset:116 ; 4-byte Folded Reload
	buffer_load_dword v71, off, s[20:23], 0 offset:120 ; 4-byte Folded Reload
	buffer_load_dword v72, off, s[20:23], 0 offset:124 ; 4-byte Folded Reload
	s_waitcnt vmcnt(0)
	ds_write2_b64 v125, v[69:70], v[71:72] offset0:34 offset1:35
	buffer_load_dword v69, off, s[20:23], 0 offset:96 ; 4-byte Folded Reload
	buffer_load_dword v70, off, s[20:23], 0 offset:100 ; 4-byte Folded Reload
	buffer_load_dword v71, off, s[20:23], 0 offset:104 ; 4-byte Folded Reload
	buffer_load_dword v72, off, s[20:23], 0 offset:108 ; 4-byte Folded Reload
	s_waitcnt vmcnt(0)
	ds_write2_b64 v125, v[69:70], v[71:72] offset0:36 offset1:37
	buffer_load_dword v69, off, s[20:23], 0 offset:80 ; 4-byte Folded Reload
	buffer_load_dword v70, off, s[20:23], 0 offset:84 ; 4-byte Folded Reload
	buffer_load_dword v71, off, s[20:23], 0 offset:88 ; 4-byte Folded Reload
	buffer_load_dword v72, off, s[20:23], 0 offset:92 ; 4-byte Folded Reload
	s_waitcnt vmcnt(0)
	ds_write2_b64 v125, v[69:70], v[71:72] offset0:38 offset1:39
	buffer_load_dword v69, off, s[20:23], 0 offset:64 ; 4-byte Folded Reload
	buffer_load_dword v70, off, s[20:23], 0 offset:68 ; 4-byte Folded Reload
	buffer_load_dword v71, off, s[20:23], 0 offset:72 ; 4-byte Folded Reload
	buffer_load_dword v72, off, s[20:23], 0 offset:76 ; 4-byte Folded Reload
	s_waitcnt vmcnt(0)
	ds_write2_b64 v125, v[69:70], v[71:72] offset0:40 offset1:41
	buffer_load_dword v69, off, s[20:23], 0 offset:48 ; 4-byte Folded Reload
	buffer_load_dword v70, off, s[20:23], 0 offset:52 ; 4-byte Folded Reload
	buffer_load_dword v71, off, s[20:23], 0 offset:56 ; 4-byte Folded Reload
	buffer_load_dword v72, off, s[20:23], 0 offset:60 ; 4-byte Folded Reload
	s_waitcnt vmcnt(0)
	ds_write2_b64 v125, v[69:70], v[71:72] offset0:42 offset1:43
	ds_write2_b64 v125, v[121:122], v[123:124] offset0:44 offset1:45
	ds_write2_b64 v125, v[117:118], v[119:120] offset0:46 offset1:47
	;; [unrolled: 1-line block ×5, first 2 shown]
	buffer_load_dword v77, off, s[20:23], 0 offset:32 ; 4-byte Folded Reload
	buffer_load_dword v78, off, s[20:23], 0 offset:36 ; 4-byte Folded Reload
	;; [unrolled: 1-line block ×4, first 2 shown]
	v_mov_b32_e32 v69, v73
	v_mov_b32_e32 v70, v74
	v_mov_b32_e32 v71, v75
	v_mov_b32_e32 v72, v76
	s_waitcnt vmcnt(0)
	ds_write2_b64 v125, v[77:78], v[79:80] offset0:54 offset1:55
	buffer_load_dword v73, off, s[20:23], 0 offset:16 ; 4-byte Folded Reload
	buffer_load_dword v74, off, s[20:23], 0 offset:20 ; 4-byte Folded Reload
	;; [unrolled: 1-line block ×4, first 2 shown]
	s_waitcnt vmcnt(0)
	ds_write2_b64 v125, v[73:74], v[75:76] offset0:56 offset1:57
	v_mov_b32_e32 v76, v72
	v_mov_b32_e32 v75, v71
	;; [unrolled: 1-line block ×4, first 2 shown]
	buffer_load_dword v69, off, s[20:23], 0 ; 4-byte Folded Reload
	buffer_load_dword v70, off, s[20:23], 0 offset:4 ; 4-byte Folded Reload
	buffer_load_dword v71, off, s[20:23], 0 offset:8 ; 4-byte Folded Reload
	;; [unrolled: 1-line block ×3, first 2 shown]
	s_waitcnt vmcnt(0)
	ds_write2_b64 v125, v[69:70], v[71:72] offset0:58 offset1:59
	ds_write2_b64 v125, v[65:66], v[67:68] offset0:60 offset1:61
	;; [unrolled: 1-line block ×19, first 2 shown]
	ds_read2_b64 v[97:100], v127 offset1:1
	s_waitcnt lgkmcnt(0)
	v_cmp_neq_f64_e32 vcc, 0, v[97:98]
	v_cmp_neq_f64_e64 s[2:3], 0, v[99:100]
	s_or_b64 s[2:3], vcc, s[2:3]
	s_and_b64 exec, exec, s[2:3]
	s_cbranch_execz .LBB95_116
; %bb.111:
	v_cmp_ngt_f64_e64 s[2:3], |v[97:98]|, |v[99:100]|
                                        ; implicit-def: $vgpr101_vgpr102
	s_and_saveexec_b64 s[6:7], s[2:3]
	s_xor_b64 s[2:3], exec, s[6:7]
                                        ; implicit-def: $vgpr103_vgpr104
	s_cbranch_execz .LBB95_113
; %bb.112:
	v_div_scale_f64 v[101:102], s[6:7], v[99:100], v[99:100], v[97:98]
	v_rcp_f64_e32 v[103:104], v[101:102]
	v_fma_f64 v[105:106], -v[101:102], v[103:104], 1.0
	v_fma_f64 v[103:104], v[103:104], v[105:106], v[103:104]
	v_div_scale_f64 v[105:106], vcc, v[97:98], v[99:100], v[97:98]
	v_fma_f64 v[107:108], -v[101:102], v[103:104], 1.0
	v_fma_f64 v[103:104], v[103:104], v[107:108], v[103:104]
	v_mul_f64 v[107:108], v[105:106], v[103:104]
	v_fma_f64 v[101:102], -v[101:102], v[107:108], v[105:106]
	v_div_fmas_f64 v[101:102], v[101:102], v[103:104], v[107:108]
	v_div_fixup_f64 v[101:102], v[101:102], v[99:100], v[97:98]
	v_fma_f64 v[97:98], v[97:98], v[101:102], v[99:100]
	v_div_scale_f64 v[99:100], s[6:7], v[97:98], v[97:98], 1.0
	v_div_scale_f64 v[107:108], vcc, 1.0, v[97:98], 1.0
	v_rcp_f64_e32 v[103:104], v[99:100]
	v_fma_f64 v[105:106], -v[99:100], v[103:104], 1.0
	v_fma_f64 v[103:104], v[103:104], v[105:106], v[103:104]
	v_fma_f64 v[105:106], -v[99:100], v[103:104], 1.0
	v_fma_f64 v[103:104], v[103:104], v[105:106], v[103:104]
	v_mul_f64 v[105:106], v[107:108], v[103:104]
	v_fma_f64 v[99:100], -v[99:100], v[105:106], v[107:108]
	v_div_fmas_f64 v[99:100], v[99:100], v[103:104], v[105:106]
	v_div_fixup_f64 v[103:104], v[99:100], v[97:98], 1.0
                                        ; implicit-def: $vgpr97_vgpr98
	v_mul_f64 v[101:102], v[101:102], v[103:104]
	v_xor_b32_e32 v104, 0x80000000, v104
.LBB95_113:
	s_andn2_saveexec_b64 s[2:3], s[2:3]
	s_cbranch_execz .LBB95_115
; %bb.114:
	v_div_scale_f64 v[101:102], s[6:7], v[97:98], v[97:98], v[99:100]
	v_rcp_f64_e32 v[103:104], v[101:102]
	v_fma_f64 v[105:106], -v[101:102], v[103:104], 1.0
	v_fma_f64 v[103:104], v[103:104], v[105:106], v[103:104]
	v_div_scale_f64 v[105:106], vcc, v[99:100], v[97:98], v[99:100]
	v_fma_f64 v[107:108], -v[101:102], v[103:104], 1.0
	v_fma_f64 v[103:104], v[103:104], v[107:108], v[103:104]
	v_mul_f64 v[107:108], v[105:106], v[103:104]
	v_fma_f64 v[101:102], -v[101:102], v[107:108], v[105:106]
	v_div_fmas_f64 v[101:102], v[101:102], v[103:104], v[107:108]
	v_div_fixup_f64 v[103:104], v[101:102], v[97:98], v[99:100]
	v_fma_f64 v[97:98], v[99:100], v[103:104], v[97:98]
	v_div_scale_f64 v[99:100], s[6:7], v[97:98], v[97:98], 1.0
	v_div_scale_f64 v[107:108], vcc, 1.0, v[97:98], 1.0
	v_rcp_f64_e32 v[101:102], v[99:100]
	v_fma_f64 v[105:106], -v[99:100], v[101:102], 1.0
	v_fma_f64 v[101:102], v[101:102], v[105:106], v[101:102]
	v_fma_f64 v[105:106], -v[99:100], v[101:102], 1.0
	v_fma_f64 v[101:102], v[101:102], v[105:106], v[101:102]
	v_mul_f64 v[105:106], v[107:108], v[101:102]
	v_fma_f64 v[99:100], -v[99:100], v[105:106], v[107:108]
	v_div_fmas_f64 v[99:100], v[99:100], v[101:102], v[105:106]
	v_div_fixup_f64 v[101:102], v[99:100], v[97:98], 1.0
	v_mul_f64 v[103:104], v[103:104], -v[101:102]
.LBB95_115:
	s_or_b64 exec, exec, s[2:3]
	ds_write2_b64 v127, v[101:102], v[103:104] offset1:1
.LBB95_116:
	s_or_b64 exec, exec, s[4:5]
	s_waitcnt lgkmcnt(0)
	s_barrier
	ds_read2_b64 v[69:72], v127 offset1:1
	v_cmp_lt_u32_e32 vcc, 12, v0
	s_waitcnt lgkmcnt(0)
	buffer_store_dword v69, off, s[20:23], 0 offset:968 ; 4-byte Folded Spill
	s_nop 0
	buffer_store_dword v70, off, s[20:23], 0 offset:972 ; 4-byte Folded Spill
	buffer_store_dword v71, off, s[20:23], 0 offset:976 ; 4-byte Folded Spill
	buffer_store_dword v72, off, s[20:23], 0 offset:980 ; 4-byte Folded Spill
	s_and_saveexec_b64 s[2:3], vcc
	s_cbranch_execz .LBB95_118
; %bb.117:
	buffer_load_dword v103, off, s[20:23], 0 offset:192 ; 4-byte Folded Reload
	buffer_load_dword v104, off, s[20:23], 0 offset:196 ; 4-byte Folded Reload
	;; [unrolled: 1-line block ×8, first 2 shown]
	s_waitcnt vmcnt(2)
	v_mul_f64 v[99:100], v[69:70], v[105:106]
	s_waitcnt vmcnt(0)
	v_mul_f64 v[97:98], v[71:72], v[105:106]
	v_fma_f64 v[105:106], v[71:72], v[103:104], v[99:100]
	ds_read2_b64 v[99:102], v125 offset0:26 offset1:27
	v_fma_f64 v[97:98], v[69:70], v[103:104], -v[97:98]
	buffer_load_dword v69, off, s[20:23], 0 offset:176 ; 4-byte Folded Reload
	buffer_load_dword v70, off, s[20:23], 0 offset:180 ; 4-byte Folded Reload
	buffer_load_dword v71, off, s[20:23], 0 offset:184 ; 4-byte Folded Reload
	buffer_load_dword v72, off, s[20:23], 0 offset:188 ; 4-byte Folded Reload
	s_waitcnt lgkmcnt(0)
	v_mul_f64 v[103:104], v[101:102], v[105:106]
	v_fma_f64 v[103:104], v[99:100], v[97:98], -v[103:104]
	v_mul_f64 v[99:100], v[99:100], v[105:106]
	v_fma_f64 v[99:100], v[101:102], v[97:98], v[99:100]
	s_waitcnt vmcnt(2)
	v_add_f64 v[69:70], v[69:70], -v[103:104]
	s_waitcnt vmcnt(0)
	v_add_f64 v[71:72], v[71:72], -v[99:100]
	buffer_store_dword v69, off, s[20:23], 0 offset:176 ; 4-byte Folded Spill
	s_nop 0
	buffer_store_dword v70, off, s[20:23], 0 offset:180 ; 4-byte Folded Spill
	buffer_store_dword v71, off, s[20:23], 0 offset:184 ; 4-byte Folded Spill
	buffer_store_dword v72, off, s[20:23], 0 offset:188 ; 4-byte Folded Spill
	ds_read2_b64 v[99:102], v125 offset0:28 offset1:29
	buffer_load_dword v69, off, s[20:23], 0 offset:160 ; 4-byte Folded Reload
	buffer_load_dword v70, off, s[20:23], 0 offset:164 ; 4-byte Folded Reload
	buffer_load_dword v71, off, s[20:23], 0 offset:168 ; 4-byte Folded Reload
	buffer_load_dword v72, off, s[20:23], 0 offset:172 ; 4-byte Folded Reload
	s_waitcnt lgkmcnt(0)
	v_mul_f64 v[103:104], v[101:102], v[105:106]
	v_fma_f64 v[103:104], v[99:100], v[97:98], -v[103:104]
	v_mul_f64 v[99:100], v[99:100], v[105:106]
	v_fma_f64 v[99:100], v[101:102], v[97:98], v[99:100]
	s_waitcnt vmcnt(2)
	v_add_f64 v[69:70], v[69:70], -v[103:104]
	s_waitcnt vmcnt(0)
	v_add_f64 v[71:72], v[71:72], -v[99:100]
	buffer_store_dword v69, off, s[20:23], 0 offset:160 ; 4-byte Folded Spill
	s_nop 0
	buffer_store_dword v70, off, s[20:23], 0 offset:164 ; 4-byte Folded Spill
	buffer_store_dword v71, off, s[20:23], 0 offset:168 ; 4-byte Folded Spill
	buffer_store_dword v72, off, s[20:23], 0 offset:172 ; 4-byte Folded Spill
	ds_read2_b64 v[99:102], v125 offset0:30 offset1:31
	;; [unrolled: 19-line block ×9, first 2 shown]
	v_mov_b32_e32 v69, v73
	v_mov_b32_e32 v70, v74
	;; [unrolled: 1-line block ×4, first 2 shown]
	s_waitcnt lgkmcnt(0)
	v_mul_f64 v[103:104], v[101:102], v[105:106]
	v_fma_f64 v[103:104], v[99:100], v[97:98], -v[103:104]
	v_mul_f64 v[99:100], v[99:100], v[105:106]
	v_add_f64 v[121:122], v[121:122], -v[103:104]
	v_fma_f64 v[99:100], v[101:102], v[97:98], v[99:100]
	v_add_f64 v[123:124], v[123:124], -v[99:100]
	ds_read2_b64 v[99:102], v125 offset0:46 offset1:47
	s_waitcnt lgkmcnt(0)
	v_mul_f64 v[103:104], v[101:102], v[105:106]
	v_fma_f64 v[103:104], v[99:100], v[97:98], -v[103:104]
	v_mul_f64 v[99:100], v[99:100], v[105:106]
	v_add_f64 v[117:118], v[117:118], -v[103:104]
	v_fma_f64 v[99:100], v[101:102], v[97:98], v[99:100]
	v_add_f64 v[119:120], v[119:120], -v[99:100]
	ds_read2_b64 v[99:102], v125 offset0:48 offset1:49
	;; [unrolled: 8-line block ×5, first 2 shown]
	buffer_load_dword v77, off, s[20:23], 0 offset:32 ; 4-byte Folded Reload
	buffer_load_dword v78, off, s[20:23], 0 offset:36 ; 4-byte Folded Reload
	buffer_load_dword v79, off, s[20:23], 0 offset:40 ; 4-byte Folded Reload
	buffer_load_dword v80, off, s[20:23], 0 offset:44 ; 4-byte Folded Reload
	s_waitcnt lgkmcnt(0)
	v_mul_f64 v[103:104], v[101:102], v[105:106]
	v_fma_f64 v[103:104], v[99:100], v[97:98], -v[103:104]
	v_mul_f64 v[99:100], v[99:100], v[105:106]
	v_fma_f64 v[99:100], v[101:102], v[97:98], v[99:100]
	s_waitcnt vmcnt(2)
	v_add_f64 v[77:78], v[77:78], -v[103:104]
	s_waitcnt vmcnt(0)
	v_add_f64 v[79:80], v[79:80], -v[99:100]
	buffer_store_dword v77, off, s[20:23], 0 offset:32 ; 4-byte Folded Spill
	s_nop 0
	buffer_store_dword v78, off, s[20:23], 0 offset:36 ; 4-byte Folded Spill
	buffer_store_dword v79, off, s[20:23], 0 offset:40 ; 4-byte Folded Spill
	;; [unrolled: 1-line block ×3, first 2 shown]
	ds_read2_b64 v[99:102], v125 offset0:56 offset1:57
	buffer_load_dword v73, off, s[20:23], 0 offset:16 ; 4-byte Folded Reload
	buffer_load_dword v74, off, s[20:23], 0 offset:20 ; 4-byte Folded Reload
	;; [unrolled: 1-line block ×4, first 2 shown]
	s_waitcnt lgkmcnt(0)
	v_mul_f64 v[103:104], v[101:102], v[105:106]
	v_fma_f64 v[103:104], v[99:100], v[97:98], -v[103:104]
	v_mul_f64 v[99:100], v[99:100], v[105:106]
	v_fma_f64 v[99:100], v[101:102], v[97:98], v[99:100]
	s_waitcnt vmcnt(2)
	v_add_f64 v[73:74], v[73:74], -v[103:104]
	s_waitcnt vmcnt(0)
	v_add_f64 v[75:76], v[75:76], -v[99:100]
	buffer_store_dword v73, off, s[20:23], 0 offset:16 ; 4-byte Folded Spill
	s_nop 0
	buffer_store_dword v74, off, s[20:23], 0 offset:20 ; 4-byte Folded Spill
	buffer_store_dword v75, off, s[20:23], 0 offset:24 ; 4-byte Folded Spill
	;; [unrolled: 1-line block ×3, first 2 shown]
	v_mov_b32_e32 v76, v72
	v_mov_b32_e32 v75, v71
	;; [unrolled: 1-line block ×4, first 2 shown]
	ds_read2_b64 v[99:102], v125 offset0:58 offset1:59
	buffer_load_dword v69, off, s[20:23], 0 ; 4-byte Folded Reload
	buffer_load_dword v70, off, s[20:23], 0 offset:4 ; 4-byte Folded Reload
	buffer_load_dword v71, off, s[20:23], 0 offset:8 ; 4-byte Folded Reload
	;; [unrolled: 1-line block ×3, first 2 shown]
	s_waitcnt lgkmcnt(0)
	v_mul_f64 v[103:104], v[101:102], v[105:106]
	v_fma_f64 v[103:104], v[99:100], v[97:98], -v[103:104]
	v_mul_f64 v[99:100], v[99:100], v[105:106]
	v_fma_f64 v[99:100], v[101:102], v[97:98], v[99:100]
	s_waitcnt vmcnt(2)
	v_add_f64 v[69:70], v[69:70], -v[103:104]
	s_waitcnt vmcnt(0)
	v_add_f64 v[71:72], v[71:72], -v[99:100]
	buffer_store_dword v69, off, s[20:23], 0 ; 4-byte Folded Spill
	s_nop 0
	buffer_store_dword v70, off, s[20:23], 0 offset:4 ; 4-byte Folded Spill
	buffer_store_dword v71, off, s[20:23], 0 offset:8 ; 4-byte Folded Spill
	;; [unrolled: 1-line block ×3, first 2 shown]
	ds_read2_b64 v[99:102], v125 offset0:60 offset1:61
	s_waitcnt lgkmcnt(0)
	v_mul_f64 v[103:104], v[101:102], v[105:106]
	v_fma_f64 v[103:104], v[99:100], v[97:98], -v[103:104]
	v_mul_f64 v[99:100], v[99:100], v[105:106]
	v_add_f64 v[65:66], v[65:66], -v[103:104]
	v_fma_f64 v[99:100], v[101:102], v[97:98], v[99:100]
	v_add_f64 v[67:68], v[67:68], -v[99:100]
	ds_read2_b64 v[99:102], v125 offset0:62 offset1:63
	s_waitcnt lgkmcnt(0)
	v_mul_f64 v[103:104], v[101:102], v[105:106]
	v_fma_f64 v[103:104], v[99:100], v[97:98], -v[103:104]
	v_mul_f64 v[99:100], v[99:100], v[105:106]
	v_add_f64 v[61:62], v[61:62], -v[103:104]
	v_fma_f64 v[99:100], v[101:102], v[97:98], v[99:100]
	v_add_f64 v[63:64], v[63:64], -v[99:100]
	;; [unrolled: 8-line block ×17, first 2 shown]
	ds_read2_b64 v[99:102], v125 offset0:94 offset1:95
	s_waitcnt lgkmcnt(0)
	v_mul_f64 v[103:104], v[101:102], v[105:106]
	v_fma_f64 v[103:104], v[99:100], v[97:98], -v[103:104]
	v_mul_f64 v[99:100], v[99:100], v[105:106]
	v_add_f64 v[73:74], v[73:74], -v[103:104]
	v_fma_f64 v[99:100], v[101:102], v[97:98], v[99:100]
	v_mov_b32_e32 v104, v98
	v_mov_b32_e32 v103, v97
	buffer_store_dword v103, off, s[20:23], 0 offset:192 ; 4-byte Folded Spill
	s_nop 0
	buffer_store_dword v104, off, s[20:23], 0 offset:196 ; 4-byte Folded Spill
	buffer_store_dword v105, off, s[20:23], 0 offset:200 ; 4-byte Folded Spill
	;; [unrolled: 1-line block ×3, first 2 shown]
	v_add_f64 v[75:76], v[75:76], -v[99:100]
.LBB95_118:
	s_or_b64 exec, exec, s[2:3]
	v_cmp_eq_u32_e32 vcc, 13, v0
	s_waitcnt vmcnt(0)
	s_barrier
	s_and_saveexec_b64 s[4:5], vcc
	s_cbranch_execz .LBB95_125
; %bb.119:
	buffer_load_dword v69, off, s[20:23], 0 offset:176 ; 4-byte Folded Reload
	buffer_load_dword v70, off, s[20:23], 0 offset:180 ; 4-byte Folded Reload
	;; [unrolled: 1-line block ×4, first 2 shown]
	s_waitcnt vmcnt(0)
	ds_write2_b64 v127, v[69:70], v[71:72] offset1:1
	buffer_load_dword v69, off, s[20:23], 0 offset:160 ; 4-byte Folded Reload
	buffer_load_dword v70, off, s[20:23], 0 offset:164 ; 4-byte Folded Reload
	buffer_load_dword v71, off, s[20:23], 0 offset:168 ; 4-byte Folded Reload
	buffer_load_dword v72, off, s[20:23], 0 offset:172 ; 4-byte Folded Reload
	s_waitcnt vmcnt(0)
	ds_write2_b64 v125, v[69:70], v[71:72] offset0:28 offset1:29
	buffer_load_dword v69, off, s[20:23], 0 offset:144 ; 4-byte Folded Reload
	buffer_load_dword v70, off, s[20:23], 0 offset:148 ; 4-byte Folded Reload
	buffer_load_dword v71, off, s[20:23], 0 offset:152 ; 4-byte Folded Reload
	buffer_load_dword v72, off, s[20:23], 0 offset:156 ; 4-byte Folded Reload
	s_waitcnt vmcnt(0)
	ds_write2_b64 v125, v[69:70], v[71:72] offset0:30 offset1:31
	;; [unrolled: 6-line block ×8, first 2 shown]
	ds_write2_b64 v125, v[121:122], v[123:124] offset0:44 offset1:45
	ds_write2_b64 v125, v[117:118], v[119:120] offset0:46 offset1:47
	;; [unrolled: 1-line block ×5, first 2 shown]
	buffer_load_dword v77, off, s[20:23], 0 offset:32 ; 4-byte Folded Reload
	buffer_load_dword v78, off, s[20:23], 0 offset:36 ; 4-byte Folded Reload
	;; [unrolled: 1-line block ×4, first 2 shown]
	v_mov_b32_e32 v69, v73
	v_mov_b32_e32 v70, v74
	;; [unrolled: 1-line block ×4, first 2 shown]
	s_waitcnt vmcnt(0)
	ds_write2_b64 v125, v[77:78], v[79:80] offset0:54 offset1:55
	buffer_load_dword v73, off, s[20:23], 0 offset:16 ; 4-byte Folded Reload
	buffer_load_dword v74, off, s[20:23], 0 offset:20 ; 4-byte Folded Reload
	;; [unrolled: 1-line block ×4, first 2 shown]
	s_waitcnt vmcnt(0)
	ds_write2_b64 v125, v[73:74], v[75:76] offset0:56 offset1:57
	v_mov_b32_e32 v76, v72
	v_mov_b32_e32 v75, v71
	;; [unrolled: 1-line block ×4, first 2 shown]
	buffer_load_dword v69, off, s[20:23], 0 ; 4-byte Folded Reload
	buffer_load_dword v70, off, s[20:23], 0 offset:4 ; 4-byte Folded Reload
	buffer_load_dword v71, off, s[20:23], 0 offset:8 ; 4-byte Folded Reload
	;; [unrolled: 1-line block ×3, first 2 shown]
	s_waitcnt vmcnt(0)
	ds_write2_b64 v125, v[69:70], v[71:72] offset0:58 offset1:59
	ds_write2_b64 v125, v[65:66], v[67:68] offset0:60 offset1:61
	;; [unrolled: 1-line block ×19, first 2 shown]
	ds_read2_b64 v[97:100], v127 offset1:1
	s_waitcnt lgkmcnt(0)
	v_cmp_neq_f64_e32 vcc, 0, v[97:98]
	v_cmp_neq_f64_e64 s[2:3], 0, v[99:100]
	s_or_b64 s[2:3], vcc, s[2:3]
	s_and_b64 exec, exec, s[2:3]
	s_cbranch_execz .LBB95_125
; %bb.120:
	v_cmp_ngt_f64_e64 s[2:3], |v[97:98]|, |v[99:100]|
                                        ; implicit-def: $vgpr101_vgpr102
	s_and_saveexec_b64 s[6:7], s[2:3]
	s_xor_b64 s[2:3], exec, s[6:7]
                                        ; implicit-def: $vgpr103_vgpr104
	s_cbranch_execz .LBB95_122
; %bb.121:
	v_div_scale_f64 v[101:102], s[6:7], v[99:100], v[99:100], v[97:98]
	v_rcp_f64_e32 v[103:104], v[101:102]
	v_fma_f64 v[105:106], -v[101:102], v[103:104], 1.0
	v_fma_f64 v[103:104], v[103:104], v[105:106], v[103:104]
	v_div_scale_f64 v[105:106], vcc, v[97:98], v[99:100], v[97:98]
	v_fma_f64 v[107:108], -v[101:102], v[103:104], 1.0
	v_fma_f64 v[103:104], v[103:104], v[107:108], v[103:104]
	v_mul_f64 v[107:108], v[105:106], v[103:104]
	v_fma_f64 v[101:102], -v[101:102], v[107:108], v[105:106]
	v_div_fmas_f64 v[101:102], v[101:102], v[103:104], v[107:108]
	v_div_fixup_f64 v[101:102], v[101:102], v[99:100], v[97:98]
	v_fma_f64 v[97:98], v[97:98], v[101:102], v[99:100]
	v_div_scale_f64 v[99:100], s[6:7], v[97:98], v[97:98], 1.0
	v_div_scale_f64 v[107:108], vcc, 1.0, v[97:98], 1.0
	v_rcp_f64_e32 v[103:104], v[99:100]
	v_fma_f64 v[105:106], -v[99:100], v[103:104], 1.0
	v_fma_f64 v[103:104], v[103:104], v[105:106], v[103:104]
	v_fma_f64 v[105:106], -v[99:100], v[103:104], 1.0
	v_fma_f64 v[103:104], v[103:104], v[105:106], v[103:104]
	v_mul_f64 v[105:106], v[107:108], v[103:104]
	v_fma_f64 v[99:100], -v[99:100], v[105:106], v[107:108]
	v_div_fmas_f64 v[99:100], v[99:100], v[103:104], v[105:106]
	v_div_fixup_f64 v[103:104], v[99:100], v[97:98], 1.0
                                        ; implicit-def: $vgpr97_vgpr98
	v_mul_f64 v[101:102], v[101:102], v[103:104]
	v_xor_b32_e32 v104, 0x80000000, v104
.LBB95_122:
	s_andn2_saveexec_b64 s[2:3], s[2:3]
	s_cbranch_execz .LBB95_124
; %bb.123:
	v_div_scale_f64 v[101:102], s[6:7], v[97:98], v[97:98], v[99:100]
	v_rcp_f64_e32 v[103:104], v[101:102]
	v_fma_f64 v[105:106], -v[101:102], v[103:104], 1.0
	v_fma_f64 v[103:104], v[103:104], v[105:106], v[103:104]
	v_div_scale_f64 v[105:106], vcc, v[99:100], v[97:98], v[99:100]
	v_fma_f64 v[107:108], -v[101:102], v[103:104], 1.0
	v_fma_f64 v[103:104], v[103:104], v[107:108], v[103:104]
	v_mul_f64 v[107:108], v[105:106], v[103:104]
	v_fma_f64 v[101:102], -v[101:102], v[107:108], v[105:106]
	v_div_fmas_f64 v[101:102], v[101:102], v[103:104], v[107:108]
	v_div_fixup_f64 v[103:104], v[101:102], v[97:98], v[99:100]
	v_fma_f64 v[97:98], v[99:100], v[103:104], v[97:98]
	v_div_scale_f64 v[99:100], s[6:7], v[97:98], v[97:98], 1.0
	v_div_scale_f64 v[107:108], vcc, 1.0, v[97:98], 1.0
	v_rcp_f64_e32 v[101:102], v[99:100]
	v_fma_f64 v[105:106], -v[99:100], v[101:102], 1.0
	v_fma_f64 v[101:102], v[101:102], v[105:106], v[101:102]
	v_fma_f64 v[105:106], -v[99:100], v[101:102], 1.0
	v_fma_f64 v[101:102], v[101:102], v[105:106], v[101:102]
	v_mul_f64 v[105:106], v[107:108], v[101:102]
	v_fma_f64 v[99:100], -v[99:100], v[105:106], v[107:108]
	v_div_fmas_f64 v[99:100], v[99:100], v[101:102], v[105:106]
	v_div_fixup_f64 v[101:102], v[99:100], v[97:98], 1.0
	v_mul_f64 v[103:104], v[103:104], -v[101:102]
.LBB95_124:
	s_or_b64 exec, exec, s[2:3]
	ds_write2_b64 v127, v[101:102], v[103:104] offset1:1
.LBB95_125:
	s_or_b64 exec, exec, s[4:5]
	s_waitcnt lgkmcnt(0)
	s_barrier
	ds_read2_b64 v[69:72], v127 offset1:1
	v_cmp_lt_u32_e32 vcc, 13, v0
	s_waitcnt lgkmcnt(0)
	buffer_store_dword v69, off, s[20:23], 0 offset:984 ; 4-byte Folded Spill
	s_nop 0
	buffer_store_dword v70, off, s[20:23], 0 offset:988 ; 4-byte Folded Spill
	buffer_store_dword v71, off, s[20:23], 0 offset:992 ; 4-byte Folded Spill
	;; [unrolled: 1-line block ×3, first 2 shown]
	s_and_saveexec_b64 s[2:3], vcc
	s_cbranch_execz .LBB95_127
; %bb.126:
	buffer_load_dword v103, off, s[20:23], 0 offset:176 ; 4-byte Folded Reload
	buffer_load_dword v104, off, s[20:23], 0 offset:180 ; 4-byte Folded Reload
	;; [unrolled: 1-line block ×8, first 2 shown]
	s_waitcnt vmcnt(2)
	v_mul_f64 v[99:100], v[69:70], v[105:106]
	s_waitcnt vmcnt(0)
	v_mul_f64 v[97:98], v[71:72], v[105:106]
	v_fma_f64 v[105:106], v[71:72], v[103:104], v[99:100]
	ds_read2_b64 v[99:102], v125 offset0:28 offset1:29
	v_fma_f64 v[97:98], v[69:70], v[103:104], -v[97:98]
	buffer_load_dword v69, off, s[20:23], 0 offset:160 ; 4-byte Folded Reload
	buffer_load_dword v70, off, s[20:23], 0 offset:164 ; 4-byte Folded Reload
	buffer_load_dword v71, off, s[20:23], 0 offset:168 ; 4-byte Folded Reload
	buffer_load_dword v72, off, s[20:23], 0 offset:172 ; 4-byte Folded Reload
	s_waitcnt lgkmcnt(0)
	v_mul_f64 v[103:104], v[101:102], v[105:106]
	v_fma_f64 v[103:104], v[99:100], v[97:98], -v[103:104]
	v_mul_f64 v[99:100], v[99:100], v[105:106]
	v_fma_f64 v[99:100], v[101:102], v[97:98], v[99:100]
	s_waitcnt vmcnt(2)
	v_add_f64 v[69:70], v[69:70], -v[103:104]
	s_waitcnt vmcnt(0)
	v_add_f64 v[71:72], v[71:72], -v[99:100]
	buffer_store_dword v69, off, s[20:23], 0 offset:160 ; 4-byte Folded Spill
	s_nop 0
	buffer_store_dword v70, off, s[20:23], 0 offset:164 ; 4-byte Folded Spill
	buffer_store_dword v71, off, s[20:23], 0 offset:168 ; 4-byte Folded Spill
	buffer_store_dword v72, off, s[20:23], 0 offset:172 ; 4-byte Folded Spill
	ds_read2_b64 v[99:102], v125 offset0:30 offset1:31
	buffer_load_dword v69, off, s[20:23], 0 offset:144 ; 4-byte Folded Reload
	buffer_load_dword v70, off, s[20:23], 0 offset:148 ; 4-byte Folded Reload
	buffer_load_dword v71, off, s[20:23], 0 offset:152 ; 4-byte Folded Reload
	buffer_load_dword v72, off, s[20:23], 0 offset:156 ; 4-byte Folded Reload
	s_waitcnt lgkmcnt(0)
	v_mul_f64 v[103:104], v[101:102], v[105:106]
	v_fma_f64 v[103:104], v[99:100], v[97:98], -v[103:104]
	v_mul_f64 v[99:100], v[99:100], v[105:106]
	v_fma_f64 v[99:100], v[101:102], v[97:98], v[99:100]
	s_waitcnt vmcnt(2)
	v_add_f64 v[69:70], v[69:70], -v[103:104]
	s_waitcnt vmcnt(0)
	v_add_f64 v[71:72], v[71:72], -v[99:100]
	buffer_store_dword v69, off, s[20:23], 0 offset:144 ; 4-byte Folded Spill
	s_nop 0
	buffer_store_dword v70, off, s[20:23], 0 offset:148 ; 4-byte Folded Spill
	buffer_store_dword v71, off, s[20:23], 0 offset:152 ; 4-byte Folded Spill
	buffer_store_dword v72, off, s[20:23], 0 offset:156 ; 4-byte Folded Spill
	ds_read2_b64 v[99:102], v125 offset0:32 offset1:33
	buffer_load_dword v69, off, s[20:23], 0 offset:128 ; 4-byte Folded Reload
	buffer_load_dword v70, off, s[20:23], 0 offset:132 ; 4-byte Folded Reload
	buffer_load_dword v71, off, s[20:23], 0 offset:136 ; 4-byte Folded Reload
	buffer_load_dword v72, off, s[20:23], 0 offset:140 ; 4-byte Folded Reload
	s_waitcnt lgkmcnt(0)
	v_mul_f64 v[103:104], v[101:102], v[105:106]
	v_fma_f64 v[103:104], v[99:100], v[97:98], -v[103:104]
	v_mul_f64 v[99:100], v[99:100], v[105:106]
	v_fma_f64 v[99:100], v[101:102], v[97:98], v[99:100]
	s_waitcnt vmcnt(2)
	v_add_f64 v[69:70], v[69:70], -v[103:104]
	s_waitcnt vmcnt(0)
	v_add_f64 v[71:72], v[71:72], -v[99:100]
	buffer_store_dword v69, off, s[20:23], 0 offset:128 ; 4-byte Folded Spill
	s_nop 0
	buffer_store_dword v70, off, s[20:23], 0 offset:132 ; 4-byte Folded Spill
	buffer_store_dword v71, off, s[20:23], 0 offset:136 ; 4-byte Folded Spill
	buffer_store_dword v72, off, s[20:23], 0 offset:140 ; 4-byte Folded Spill
	ds_read2_b64 v[99:102], v125 offset0:34 offset1:35
	buffer_load_dword v69, off, s[20:23], 0 offset:112 ; 4-byte Folded Reload
	buffer_load_dword v70, off, s[20:23], 0 offset:116 ; 4-byte Folded Reload
	buffer_load_dword v71, off, s[20:23], 0 offset:120 ; 4-byte Folded Reload
	buffer_load_dword v72, off, s[20:23], 0 offset:124 ; 4-byte Folded Reload
	s_waitcnt lgkmcnt(0)
	v_mul_f64 v[103:104], v[101:102], v[105:106]
	v_fma_f64 v[103:104], v[99:100], v[97:98], -v[103:104]
	v_mul_f64 v[99:100], v[99:100], v[105:106]
	v_fma_f64 v[99:100], v[101:102], v[97:98], v[99:100]
	s_waitcnt vmcnt(2)
	v_add_f64 v[69:70], v[69:70], -v[103:104]
	s_waitcnt vmcnt(0)
	v_add_f64 v[71:72], v[71:72], -v[99:100]
	buffer_store_dword v69, off, s[20:23], 0 offset:112 ; 4-byte Folded Spill
	s_nop 0
	buffer_store_dword v70, off, s[20:23], 0 offset:116 ; 4-byte Folded Spill
	buffer_store_dword v71, off, s[20:23], 0 offset:120 ; 4-byte Folded Spill
	buffer_store_dword v72, off, s[20:23], 0 offset:124 ; 4-byte Folded Spill
	ds_read2_b64 v[99:102], v125 offset0:36 offset1:37
	buffer_load_dword v69, off, s[20:23], 0 offset:96 ; 4-byte Folded Reload
	buffer_load_dword v70, off, s[20:23], 0 offset:100 ; 4-byte Folded Reload
	buffer_load_dword v71, off, s[20:23], 0 offset:104 ; 4-byte Folded Reload
	buffer_load_dword v72, off, s[20:23], 0 offset:108 ; 4-byte Folded Reload
	s_waitcnt lgkmcnt(0)
	v_mul_f64 v[103:104], v[101:102], v[105:106]
	v_fma_f64 v[103:104], v[99:100], v[97:98], -v[103:104]
	v_mul_f64 v[99:100], v[99:100], v[105:106]
	v_fma_f64 v[99:100], v[101:102], v[97:98], v[99:100]
	s_waitcnt vmcnt(2)
	v_add_f64 v[69:70], v[69:70], -v[103:104]
	s_waitcnt vmcnt(0)
	v_add_f64 v[71:72], v[71:72], -v[99:100]
	buffer_store_dword v69, off, s[20:23], 0 offset:96 ; 4-byte Folded Spill
	s_nop 0
	buffer_store_dword v70, off, s[20:23], 0 offset:100 ; 4-byte Folded Spill
	buffer_store_dword v71, off, s[20:23], 0 offset:104 ; 4-byte Folded Spill
	buffer_store_dword v72, off, s[20:23], 0 offset:108 ; 4-byte Folded Spill
	ds_read2_b64 v[99:102], v125 offset0:38 offset1:39
	buffer_load_dword v69, off, s[20:23], 0 offset:80 ; 4-byte Folded Reload
	buffer_load_dword v70, off, s[20:23], 0 offset:84 ; 4-byte Folded Reload
	buffer_load_dword v71, off, s[20:23], 0 offset:88 ; 4-byte Folded Reload
	buffer_load_dword v72, off, s[20:23], 0 offset:92 ; 4-byte Folded Reload
	s_waitcnt lgkmcnt(0)
	v_mul_f64 v[103:104], v[101:102], v[105:106]
	v_fma_f64 v[103:104], v[99:100], v[97:98], -v[103:104]
	v_mul_f64 v[99:100], v[99:100], v[105:106]
	v_fma_f64 v[99:100], v[101:102], v[97:98], v[99:100]
	s_waitcnt vmcnt(2)
	v_add_f64 v[69:70], v[69:70], -v[103:104]
	s_waitcnt vmcnt(0)
	v_add_f64 v[71:72], v[71:72], -v[99:100]
	buffer_store_dword v69, off, s[20:23], 0 offset:80 ; 4-byte Folded Spill
	s_nop 0
	buffer_store_dword v70, off, s[20:23], 0 offset:84 ; 4-byte Folded Spill
	buffer_store_dword v71, off, s[20:23], 0 offset:88 ; 4-byte Folded Spill
	buffer_store_dword v72, off, s[20:23], 0 offset:92 ; 4-byte Folded Spill
	ds_read2_b64 v[99:102], v125 offset0:40 offset1:41
	buffer_load_dword v69, off, s[20:23], 0 offset:64 ; 4-byte Folded Reload
	buffer_load_dword v70, off, s[20:23], 0 offset:68 ; 4-byte Folded Reload
	buffer_load_dword v71, off, s[20:23], 0 offset:72 ; 4-byte Folded Reload
	buffer_load_dword v72, off, s[20:23], 0 offset:76 ; 4-byte Folded Reload
	s_waitcnt lgkmcnt(0)
	v_mul_f64 v[103:104], v[101:102], v[105:106]
	v_fma_f64 v[103:104], v[99:100], v[97:98], -v[103:104]
	v_mul_f64 v[99:100], v[99:100], v[105:106]
	v_fma_f64 v[99:100], v[101:102], v[97:98], v[99:100]
	s_waitcnt vmcnt(2)
	v_add_f64 v[69:70], v[69:70], -v[103:104]
	s_waitcnt vmcnt(0)
	v_add_f64 v[71:72], v[71:72], -v[99:100]
	buffer_store_dword v69, off, s[20:23], 0 offset:64 ; 4-byte Folded Spill
	s_nop 0
	buffer_store_dword v70, off, s[20:23], 0 offset:68 ; 4-byte Folded Spill
	buffer_store_dword v71, off, s[20:23], 0 offset:72 ; 4-byte Folded Spill
	buffer_store_dword v72, off, s[20:23], 0 offset:76 ; 4-byte Folded Spill
	ds_read2_b64 v[99:102], v125 offset0:42 offset1:43
	buffer_load_dword v69, off, s[20:23], 0 offset:48 ; 4-byte Folded Reload
	buffer_load_dword v70, off, s[20:23], 0 offset:52 ; 4-byte Folded Reload
	buffer_load_dword v71, off, s[20:23], 0 offset:56 ; 4-byte Folded Reload
	buffer_load_dword v72, off, s[20:23], 0 offset:60 ; 4-byte Folded Reload
	s_waitcnt lgkmcnt(0)
	v_mul_f64 v[103:104], v[101:102], v[105:106]
	v_fma_f64 v[103:104], v[99:100], v[97:98], -v[103:104]
	v_mul_f64 v[99:100], v[99:100], v[105:106]
	v_fma_f64 v[99:100], v[101:102], v[97:98], v[99:100]
	s_waitcnt vmcnt(2)
	v_add_f64 v[69:70], v[69:70], -v[103:104]
	s_waitcnt vmcnt(0)
	v_add_f64 v[71:72], v[71:72], -v[99:100]
	buffer_store_dword v69, off, s[20:23], 0 offset:48 ; 4-byte Folded Spill
	s_nop 0
	buffer_store_dword v70, off, s[20:23], 0 offset:52 ; 4-byte Folded Spill
	buffer_store_dword v71, off, s[20:23], 0 offset:56 ; 4-byte Folded Spill
	buffer_store_dword v72, off, s[20:23], 0 offset:60 ; 4-byte Folded Spill
	ds_read2_b64 v[99:102], v125 offset0:44 offset1:45
	v_mov_b32_e32 v69, v73
	v_mov_b32_e32 v70, v74
	;; [unrolled: 1-line block ×4, first 2 shown]
	s_waitcnt lgkmcnt(0)
	v_mul_f64 v[103:104], v[101:102], v[105:106]
	v_fma_f64 v[103:104], v[99:100], v[97:98], -v[103:104]
	v_mul_f64 v[99:100], v[99:100], v[105:106]
	v_add_f64 v[121:122], v[121:122], -v[103:104]
	v_fma_f64 v[99:100], v[101:102], v[97:98], v[99:100]
	v_add_f64 v[123:124], v[123:124], -v[99:100]
	ds_read2_b64 v[99:102], v125 offset0:46 offset1:47
	s_waitcnt lgkmcnt(0)
	v_mul_f64 v[103:104], v[101:102], v[105:106]
	v_fma_f64 v[103:104], v[99:100], v[97:98], -v[103:104]
	v_mul_f64 v[99:100], v[99:100], v[105:106]
	v_add_f64 v[117:118], v[117:118], -v[103:104]
	v_fma_f64 v[99:100], v[101:102], v[97:98], v[99:100]
	v_add_f64 v[119:120], v[119:120], -v[99:100]
	ds_read2_b64 v[99:102], v125 offset0:48 offset1:49
	;; [unrolled: 8-line block ×5, first 2 shown]
	buffer_load_dword v77, off, s[20:23], 0 offset:32 ; 4-byte Folded Reload
	buffer_load_dword v78, off, s[20:23], 0 offset:36 ; 4-byte Folded Reload
	;; [unrolled: 1-line block ×4, first 2 shown]
	s_waitcnt lgkmcnt(0)
	v_mul_f64 v[103:104], v[101:102], v[105:106]
	v_fma_f64 v[103:104], v[99:100], v[97:98], -v[103:104]
	v_mul_f64 v[99:100], v[99:100], v[105:106]
	v_fma_f64 v[99:100], v[101:102], v[97:98], v[99:100]
	s_waitcnt vmcnt(2)
	v_add_f64 v[77:78], v[77:78], -v[103:104]
	s_waitcnt vmcnt(0)
	v_add_f64 v[79:80], v[79:80], -v[99:100]
	buffer_store_dword v77, off, s[20:23], 0 offset:32 ; 4-byte Folded Spill
	s_nop 0
	buffer_store_dword v78, off, s[20:23], 0 offset:36 ; 4-byte Folded Spill
	buffer_store_dword v79, off, s[20:23], 0 offset:40 ; 4-byte Folded Spill
	;; [unrolled: 1-line block ×3, first 2 shown]
	ds_read2_b64 v[99:102], v125 offset0:56 offset1:57
	buffer_load_dword v73, off, s[20:23], 0 offset:16 ; 4-byte Folded Reload
	buffer_load_dword v74, off, s[20:23], 0 offset:20 ; 4-byte Folded Reload
	;; [unrolled: 1-line block ×4, first 2 shown]
	s_waitcnt lgkmcnt(0)
	v_mul_f64 v[103:104], v[101:102], v[105:106]
	v_fma_f64 v[103:104], v[99:100], v[97:98], -v[103:104]
	v_mul_f64 v[99:100], v[99:100], v[105:106]
	v_fma_f64 v[99:100], v[101:102], v[97:98], v[99:100]
	s_waitcnt vmcnt(2)
	v_add_f64 v[73:74], v[73:74], -v[103:104]
	s_waitcnt vmcnt(0)
	v_add_f64 v[75:76], v[75:76], -v[99:100]
	buffer_store_dword v73, off, s[20:23], 0 offset:16 ; 4-byte Folded Spill
	s_nop 0
	buffer_store_dword v74, off, s[20:23], 0 offset:20 ; 4-byte Folded Spill
	buffer_store_dword v75, off, s[20:23], 0 offset:24 ; 4-byte Folded Spill
	;; [unrolled: 1-line block ×3, first 2 shown]
	v_mov_b32_e32 v76, v72
	v_mov_b32_e32 v75, v71
	;; [unrolled: 1-line block ×4, first 2 shown]
	ds_read2_b64 v[99:102], v125 offset0:58 offset1:59
	buffer_load_dword v69, off, s[20:23], 0 ; 4-byte Folded Reload
	buffer_load_dword v70, off, s[20:23], 0 offset:4 ; 4-byte Folded Reload
	buffer_load_dword v71, off, s[20:23], 0 offset:8 ; 4-byte Folded Reload
	;; [unrolled: 1-line block ×3, first 2 shown]
	s_waitcnt lgkmcnt(0)
	v_mul_f64 v[103:104], v[101:102], v[105:106]
	v_fma_f64 v[103:104], v[99:100], v[97:98], -v[103:104]
	v_mul_f64 v[99:100], v[99:100], v[105:106]
	v_fma_f64 v[99:100], v[101:102], v[97:98], v[99:100]
	s_waitcnt vmcnt(2)
	v_add_f64 v[69:70], v[69:70], -v[103:104]
	s_waitcnt vmcnt(0)
	v_add_f64 v[71:72], v[71:72], -v[99:100]
	buffer_store_dword v69, off, s[20:23], 0 ; 4-byte Folded Spill
	s_nop 0
	buffer_store_dword v70, off, s[20:23], 0 offset:4 ; 4-byte Folded Spill
	buffer_store_dword v71, off, s[20:23], 0 offset:8 ; 4-byte Folded Spill
	buffer_store_dword v72, off, s[20:23], 0 offset:12 ; 4-byte Folded Spill
	ds_read2_b64 v[99:102], v125 offset0:60 offset1:61
	s_waitcnt lgkmcnt(0)
	v_mul_f64 v[103:104], v[101:102], v[105:106]
	v_fma_f64 v[103:104], v[99:100], v[97:98], -v[103:104]
	v_mul_f64 v[99:100], v[99:100], v[105:106]
	v_add_f64 v[65:66], v[65:66], -v[103:104]
	v_fma_f64 v[99:100], v[101:102], v[97:98], v[99:100]
	v_add_f64 v[67:68], v[67:68], -v[99:100]
	ds_read2_b64 v[99:102], v125 offset0:62 offset1:63
	s_waitcnt lgkmcnt(0)
	v_mul_f64 v[103:104], v[101:102], v[105:106]
	v_fma_f64 v[103:104], v[99:100], v[97:98], -v[103:104]
	v_mul_f64 v[99:100], v[99:100], v[105:106]
	v_add_f64 v[61:62], v[61:62], -v[103:104]
	v_fma_f64 v[99:100], v[101:102], v[97:98], v[99:100]
	v_add_f64 v[63:64], v[63:64], -v[99:100]
	;; [unrolled: 8-line block ×17, first 2 shown]
	ds_read2_b64 v[99:102], v125 offset0:94 offset1:95
	s_waitcnt lgkmcnt(0)
	v_mul_f64 v[103:104], v[101:102], v[105:106]
	v_fma_f64 v[103:104], v[99:100], v[97:98], -v[103:104]
	v_mul_f64 v[99:100], v[99:100], v[105:106]
	v_add_f64 v[73:74], v[73:74], -v[103:104]
	v_fma_f64 v[99:100], v[101:102], v[97:98], v[99:100]
	v_mov_b32_e32 v104, v98
	v_mov_b32_e32 v103, v97
	buffer_store_dword v103, off, s[20:23], 0 offset:176 ; 4-byte Folded Spill
	s_nop 0
	buffer_store_dword v104, off, s[20:23], 0 offset:180 ; 4-byte Folded Spill
	buffer_store_dword v105, off, s[20:23], 0 offset:184 ; 4-byte Folded Spill
	;; [unrolled: 1-line block ×3, first 2 shown]
	v_add_f64 v[75:76], v[75:76], -v[99:100]
.LBB95_127:
	s_or_b64 exec, exec, s[2:3]
	v_cmp_eq_u32_e32 vcc, 14, v0
	s_waitcnt vmcnt(0)
	s_barrier
	s_and_saveexec_b64 s[4:5], vcc
	s_cbranch_execz .LBB95_134
; %bb.128:
	buffer_load_dword v69, off, s[20:23], 0 offset:160 ; 4-byte Folded Reload
	buffer_load_dword v70, off, s[20:23], 0 offset:164 ; 4-byte Folded Reload
	;; [unrolled: 1-line block ×4, first 2 shown]
	s_waitcnt vmcnt(0)
	ds_write2_b64 v127, v[69:70], v[71:72] offset1:1
	buffer_load_dword v69, off, s[20:23], 0 offset:144 ; 4-byte Folded Reload
	buffer_load_dword v70, off, s[20:23], 0 offset:148 ; 4-byte Folded Reload
	buffer_load_dword v71, off, s[20:23], 0 offset:152 ; 4-byte Folded Reload
	buffer_load_dword v72, off, s[20:23], 0 offset:156 ; 4-byte Folded Reload
	s_waitcnt vmcnt(0)
	ds_write2_b64 v125, v[69:70], v[71:72] offset0:30 offset1:31
	buffer_load_dword v69, off, s[20:23], 0 offset:128 ; 4-byte Folded Reload
	buffer_load_dword v70, off, s[20:23], 0 offset:132 ; 4-byte Folded Reload
	buffer_load_dword v71, off, s[20:23], 0 offset:136 ; 4-byte Folded Reload
	buffer_load_dword v72, off, s[20:23], 0 offset:140 ; 4-byte Folded Reload
	s_waitcnt vmcnt(0)
	ds_write2_b64 v125, v[69:70], v[71:72] offset0:32 offset1:33
	;; [unrolled: 6-line block ×7, first 2 shown]
	ds_write2_b64 v125, v[121:122], v[123:124] offset0:44 offset1:45
	ds_write2_b64 v125, v[117:118], v[119:120] offset0:46 offset1:47
	;; [unrolled: 1-line block ×5, first 2 shown]
	buffer_load_dword v77, off, s[20:23], 0 offset:32 ; 4-byte Folded Reload
	buffer_load_dword v78, off, s[20:23], 0 offset:36 ; 4-byte Folded Reload
	;; [unrolled: 1-line block ×4, first 2 shown]
	v_mov_b32_e32 v69, v73
	v_mov_b32_e32 v70, v74
	;; [unrolled: 1-line block ×4, first 2 shown]
	s_waitcnt vmcnt(0)
	ds_write2_b64 v125, v[77:78], v[79:80] offset0:54 offset1:55
	buffer_load_dword v73, off, s[20:23], 0 offset:16 ; 4-byte Folded Reload
	buffer_load_dword v74, off, s[20:23], 0 offset:20 ; 4-byte Folded Reload
	;; [unrolled: 1-line block ×4, first 2 shown]
	s_waitcnt vmcnt(0)
	ds_write2_b64 v125, v[73:74], v[75:76] offset0:56 offset1:57
	v_mov_b32_e32 v76, v72
	v_mov_b32_e32 v75, v71
	;; [unrolled: 1-line block ×4, first 2 shown]
	buffer_load_dword v69, off, s[20:23], 0 ; 4-byte Folded Reload
	buffer_load_dword v70, off, s[20:23], 0 offset:4 ; 4-byte Folded Reload
	buffer_load_dword v71, off, s[20:23], 0 offset:8 ; 4-byte Folded Reload
	;; [unrolled: 1-line block ×3, first 2 shown]
	s_waitcnt vmcnt(0)
	ds_write2_b64 v125, v[69:70], v[71:72] offset0:58 offset1:59
	ds_write2_b64 v125, v[65:66], v[67:68] offset0:60 offset1:61
	;; [unrolled: 1-line block ×19, first 2 shown]
	ds_read2_b64 v[97:100], v127 offset1:1
	s_waitcnt lgkmcnt(0)
	v_cmp_neq_f64_e32 vcc, 0, v[97:98]
	v_cmp_neq_f64_e64 s[2:3], 0, v[99:100]
	s_or_b64 s[2:3], vcc, s[2:3]
	s_and_b64 exec, exec, s[2:3]
	s_cbranch_execz .LBB95_134
; %bb.129:
	v_cmp_ngt_f64_e64 s[2:3], |v[97:98]|, |v[99:100]|
                                        ; implicit-def: $vgpr101_vgpr102
	s_and_saveexec_b64 s[6:7], s[2:3]
	s_xor_b64 s[2:3], exec, s[6:7]
                                        ; implicit-def: $vgpr103_vgpr104
	s_cbranch_execz .LBB95_131
; %bb.130:
	v_div_scale_f64 v[101:102], s[6:7], v[99:100], v[99:100], v[97:98]
	v_rcp_f64_e32 v[103:104], v[101:102]
	v_fma_f64 v[105:106], -v[101:102], v[103:104], 1.0
	v_fma_f64 v[103:104], v[103:104], v[105:106], v[103:104]
	v_div_scale_f64 v[105:106], vcc, v[97:98], v[99:100], v[97:98]
	v_fma_f64 v[107:108], -v[101:102], v[103:104], 1.0
	v_fma_f64 v[103:104], v[103:104], v[107:108], v[103:104]
	v_mul_f64 v[107:108], v[105:106], v[103:104]
	v_fma_f64 v[101:102], -v[101:102], v[107:108], v[105:106]
	v_div_fmas_f64 v[101:102], v[101:102], v[103:104], v[107:108]
	v_div_fixup_f64 v[101:102], v[101:102], v[99:100], v[97:98]
	v_fma_f64 v[97:98], v[97:98], v[101:102], v[99:100]
	v_div_scale_f64 v[99:100], s[6:7], v[97:98], v[97:98], 1.0
	v_div_scale_f64 v[107:108], vcc, 1.0, v[97:98], 1.0
	v_rcp_f64_e32 v[103:104], v[99:100]
	v_fma_f64 v[105:106], -v[99:100], v[103:104], 1.0
	v_fma_f64 v[103:104], v[103:104], v[105:106], v[103:104]
	v_fma_f64 v[105:106], -v[99:100], v[103:104], 1.0
	v_fma_f64 v[103:104], v[103:104], v[105:106], v[103:104]
	v_mul_f64 v[105:106], v[107:108], v[103:104]
	v_fma_f64 v[99:100], -v[99:100], v[105:106], v[107:108]
	v_div_fmas_f64 v[99:100], v[99:100], v[103:104], v[105:106]
	v_div_fixup_f64 v[103:104], v[99:100], v[97:98], 1.0
                                        ; implicit-def: $vgpr97_vgpr98
	v_mul_f64 v[101:102], v[101:102], v[103:104]
	v_xor_b32_e32 v104, 0x80000000, v104
.LBB95_131:
	s_andn2_saveexec_b64 s[2:3], s[2:3]
	s_cbranch_execz .LBB95_133
; %bb.132:
	v_div_scale_f64 v[101:102], s[6:7], v[97:98], v[97:98], v[99:100]
	v_rcp_f64_e32 v[103:104], v[101:102]
	v_fma_f64 v[105:106], -v[101:102], v[103:104], 1.0
	v_fma_f64 v[103:104], v[103:104], v[105:106], v[103:104]
	v_div_scale_f64 v[105:106], vcc, v[99:100], v[97:98], v[99:100]
	v_fma_f64 v[107:108], -v[101:102], v[103:104], 1.0
	v_fma_f64 v[103:104], v[103:104], v[107:108], v[103:104]
	v_mul_f64 v[107:108], v[105:106], v[103:104]
	v_fma_f64 v[101:102], -v[101:102], v[107:108], v[105:106]
	v_div_fmas_f64 v[101:102], v[101:102], v[103:104], v[107:108]
	v_div_fixup_f64 v[103:104], v[101:102], v[97:98], v[99:100]
	v_fma_f64 v[97:98], v[99:100], v[103:104], v[97:98]
	v_div_scale_f64 v[99:100], s[6:7], v[97:98], v[97:98], 1.0
	v_div_scale_f64 v[107:108], vcc, 1.0, v[97:98], 1.0
	v_rcp_f64_e32 v[101:102], v[99:100]
	v_fma_f64 v[105:106], -v[99:100], v[101:102], 1.0
	v_fma_f64 v[101:102], v[101:102], v[105:106], v[101:102]
	v_fma_f64 v[105:106], -v[99:100], v[101:102], 1.0
	v_fma_f64 v[101:102], v[101:102], v[105:106], v[101:102]
	v_mul_f64 v[105:106], v[107:108], v[101:102]
	v_fma_f64 v[99:100], -v[99:100], v[105:106], v[107:108]
	v_div_fmas_f64 v[99:100], v[99:100], v[101:102], v[105:106]
	v_div_fixup_f64 v[101:102], v[99:100], v[97:98], 1.0
	v_mul_f64 v[103:104], v[103:104], -v[101:102]
.LBB95_133:
	s_or_b64 exec, exec, s[2:3]
	ds_write2_b64 v127, v[101:102], v[103:104] offset1:1
.LBB95_134:
	s_or_b64 exec, exec, s[4:5]
	s_waitcnt lgkmcnt(0)
	s_barrier
	ds_read2_b64 v[69:72], v127 offset1:1
	v_cmp_lt_u32_e32 vcc, 14, v0
	s_waitcnt lgkmcnt(0)
	buffer_store_dword v69, off, s[20:23], 0 offset:1000 ; 4-byte Folded Spill
	s_nop 0
	buffer_store_dword v70, off, s[20:23], 0 offset:1004 ; 4-byte Folded Spill
	buffer_store_dword v71, off, s[20:23], 0 offset:1008 ; 4-byte Folded Spill
	;; [unrolled: 1-line block ×3, first 2 shown]
	s_and_saveexec_b64 s[2:3], vcc
	s_cbranch_execz .LBB95_136
; %bb.135:
	buffer_load_dword v103, off, s[20:23], 0 offset:160 ; 4-byte Folded Reload
	buffer_load_dword v104, off, s[20:23], 0 offset:164 ; 4-byte Folded Reload
	buffer_load_dword v105, off, s[20:23], 0 offset:168 ; 4-byte Folded Reload
	buffer_load_dword v106, off, s[20:23], 0 offset:172 ; 4-byte Folded Reload
	buffer_load_dword v69, off, s[20:23], 0 offset:1000 ; 4-byte Folded Reload
	buffer_load_dword v70, off, s[20:23], 0 offset:1004 ; 4-byte Folded Reload
	buffer_load_dword v71, off, s[20:23], 0 offset:1008 ; 4-byte Folded Reload
	buffer_load_dword v72, off, s[20:23], 0 offset:1012 ; 4-byte Folded Reload
	s_waitcnt vmcnt(2)
	v_mul_f64 v[99:100], v[69:70], v[105:106]
	s_waitcnt vmcnt(0)
	v_mul_f64 v[97:98], v[71:72], v[105:106]
	v_fma_f64 v[105:106], v[71:72], v[103:104], v[99:100]
	ds_read2_b64 v[99:102], v125 offset0:30 offset1:31
	v_fma_f64 v[97:98], v[69:70], v[103:104], -v[97:98]
	buffer_load_dword v69, off, s[20:23], 0 offset:144 ; 4-byte Folded Reload
	buffer_load_dword v70, off, s[20:23], 0 offset:148 ; 4-byte Folded Reload
	buffer_load_dword v71, off, s[20:23], 0 offset:152 ; 4-byte Folded Reload
	buffer_load_dword v72, off, s[20:23], 0 offset:156 ; 4-byte Folded Reload
	s_waitcnt lgkmcnt(0)
	v_mul_f64 v[103:104], v[101:102], v[105:106]
	v_fma_f64 v[103:104], v[99:100], v[97:98], -v[103:104]
	v_mul_f64 v[99:100], v[99:100], v[105:106]
	v_fma_f64 v[99:100], v[101:102], v[97:98], v[99:100]
	s_waitcnt vmcnt(2)
	v_add_f64 v[69:70], v[69:70], -v[103:104]
	s_waitcnt vmcnt(0)
	v_add_f64 v[71:72], v[71:72], -v[99:100]
	buffer_store_dword v69, off, s[20:23], 0 offset:144 ; 4-byte Folded Spill
	s_nop 0
	buffer_store_dword v70, off, s[20:23], 0 offset:148 ; 4-byte Folded Spill
	buffer_store_dword v71, off, s[20:23], 0 offset:152 ; 4-byte Folded Spill
	buffer_store_dword v72, off, s[20:23], 0 offset:156 ; 4-byte Folded Spill
	ds_read2_b64 v[99:102], v125 offset0:32 offset1:33
	buffer_load_dword v69, off, s[20:23], 0 offset:128 ; 4-byte Folded Reload
	buffer_load_dword v70, off, s[20:23], 0 offset:132 ; 4-byte Folded Reload
	buffer_load_dword v71, off, s[20:23], 0 offset:136 ; 4-byte Folded Reload
	buffer_load_dword v72, off, s[20:23], 0 offset:140 ; 4-byte Folded Reload
	s_waitcnt lgkmcnt(0)
	v_mul_f64 v[103:104], v[101:102], v[105:106]
	v_fma_f64 v[103:104], v[99:100], v[97:98], -v[103:104]
	v_mul_f64 v[99:100], v[99:100], v[105:106]
	v_fma_f64 v[99:100], v[101:102], v[97:98], v[99:100]
	s_waitcnt vmcnt(2)
	v_add_f64 v[69:70], v[69:70], -v[103:104]
	s_waitcnt vmcnt(0)
	v_add_f64 v[71:72], v[71:72], -v[99:100]
	buffer_store_dword v69, off, s[20:23], 0 offset:128 ; 4-byte Folded Spill
	s_nop 0
	buffer_store_dword v70, off, s[20:23], 0 offset:132 ; 4-byte Folded Spill
	buffer_store_dword v71, off, s[20:23], 0 offset:136 ; 4-byte Folded Spill
	buffer_store_dword v72, off, s[20:23], 0 offset:140 ; 4-byte Folded Spill
	ds_read2_b64 v[99:102], v125 offset0:34 offset1:35
	;; [unrolled: 19-line block ×7, first 2 shown]
	v_mov_b32_e32 v69, v73
	v_mov_b32_e32 v70, v74
	;; [unrolled: 1-line block ×4, first 2 shown]
	s_waitcnt lgkmcnt(0)
	v_mul_f64 v[103:104], v[101:102], v[105:106]
	v_fma_f64 v[103:104], v[99:100], v[97:98], -v[103:104]
	v_mul_f64 v[99:100], v[99:100], v[105:106]
	v_add_f64 v[121:122], v[121:122], -v[103:104]
	v_fma_f64 v[99:100], v[101:102], v[97:98], v[99:100]
	v_add_f64 v[123:124], v[123:124], -v[99:100]
	ds_read2_b64 v[99:102], v125 offset0:46 offset1:47
	s_waitcnt lgkmcnt(0)
	v_mul_f64 v[103:104], v[101:102], v[105:106]
	v_fma_f64 v[103:104], v[99:100], v[97:98], -v[103:104]
	v_mul_f64 v[99:100], v[99:100], v[105:106]
	v_add_f64 v[117:118], v[117:118], -v[103:104]
	v_fma_f64 v[99:100], v[101:102], v[97:98], v[99:100]
	v_add_f64 v[119:120], v[119:120], -v[99:100]
	ds_read2_b64 v[99:102], v125 offset0:48 offset1:49
	;; [unrolled: 8-line block ×5, first 2 shown]
	buffer_load_dword v77, off, s[20:23], 0 offset:32 ; 4-byte Folded Reload
	buffer_load_dword v78, off, s[20:23], 0 offset:36 ; 4-byte Folded Reload
	;; [unrolled: 1-line block ×4, first 2 shown]
	s_waitcnt lgkmcnt(0)
	v_mul_f64 v[103:104], v[101:102], v[105:106]
	v_fma_f64 v[103:104], v[99:100], v[97:98], -v[103:104]
	v_mul_f64 v[99:100], v[99:100], v[105:106]
	v_fma_f64 v[99:100], v[101:102], v[97:98], v[99:100]
	s_waitcnt vmcnt(2)
	v_add_f64 v[77:78], v[77:78], -v[103:104]
	s_waitcnt vmcnt(0)
	v_add_f64 v[79:80], v[79:80], -v[99:100]
	buffer_store_dword v77, off, s[20:23], 0 offset:32 ; 4-byte Folded Spill
	s_nop 0
	buffer_store_dword v78, off, s[20:23], 0 offset:36 ; 4-byte Folded Spill
	buffer_store_dword v79, off, s[20:23], 0 offset:40 ; 4-byte Folded Spill
	;; [unrolled: 1-line block ×3, first 2 shown]
	ds_read2_b64 v[99:102], v125 offset0:56 offset1:57
	buffer_load_dword v73, off, s[20:23], 0 offset:16 ; 4-byte Folded Reload
	buffer_load_dword v74, off, s[20:23], 0 offset:20 ; 4-byte Folded Reload
	buffer_load_dword v75, off, s[20:23], 0 offset:24 ; 4-byte Folded Reload
	buffer_load_dword v76, off, s[20:23], 0 offset:28 ; 4-byte Folded Reload
	s_waitcnt lgkmcnt(0)
	v_mul_f64 v[103:104], v[101:102], v[105:106]
	v_fma_f64 v[103:104], v[99:100], v[97:98], -v[103:104]
	v_mul_f64 v[99:100], v[99:100], v[105:106]
	v_fma_f64 v[99:100], v[101:102], v[97:98], v[99:100]
	s_waitcnt vmcnt(2)
	v_add_f64 v[73:74], v[73:74], -v[103:104]
	s_waitcnt vmcnt(0)
	v_add_f64 v[75:76], v[75:76], -v[99:100]
	buffer_store_dword v73, off, s[20:23], 0 offset:16 ; 4-byte Folded Spill
	s_nop 0
	buffer_store_dword v74, off, s[20:23], 0 offset:20 ; 4-byte Folded Spill
	buffer_store_dword v75, off, s[20:23], 0 offset:24 ; 4-byte Folded Spill
	;; [unrolled: 1-line block ×3, first 2 shown]
	v_mov_b32_e32 v76, v72
	v_mov_b32_e32 v75, v71
	;; [unrolled: 1-line block ×4, first 2 shown]
	ds_read2_b64 v[99:102], v125 offset0:58 offset1:59
	buffer_load_dword v69, off, s[20:23], 0 ; 4-byte Folded Reload
	buffer_load_dword v70, off, s[20:23], 0 offset:4 ; 4-byte Folded Reload
	buffer_load_dword v71, off, s[20:23], 0 offset:8 ; 4-byte Folded Reload
	;; [unrolled: 1-line block ×3, first 2 shown]
	s_waitcnt lgkmcnt(0)
	v_mul_f64 v[103:104], v[101:102], v[105:106]
	v_fma_f64 v[103:104], v[99:100], v[97:98], -v[103:104]
	v_mul_f64 v[99:100], v[99:100], v[105:106]
	v_fma_f64 v[99:100], v[101:102], v[97:98], v[99:100]
	s_waitcnt vmcnt(2)
	v_add_f64 v[69:70], v[69:70], -v[103:104]
	s_waitcnt vmcnt(0)
	v_add_f64 v[71:72], v[71:72], -v[99:100]
	buffer_store_dword v69, off, s[20:23], 0 ; 4-byte Folded Spill
	s_nop 0
	buffer_store_dword v70, off, s[20:23], 0 offset:4 ; 4-byte Folded Spill
	buffer_store_dword v71, off, s[20:23], 0 offset:8 ; 4-byte Folded Spill
	;; [unrolled: 1-line block ×3, first 2 shown]
	ds_read2_b64 v[99:102], v125 offset0:60 offset1:61
	s_waitcnt lgkmcnt(0)
	v_mul_f64 v[103:104], v[101:102], v[105:106]
	v_fma_f64 v[103:104], v[99:100], v[97:98], -v[103:104]
	v_mul_f64 v[99:100], v[99:100], v[105:106]
	v_add_f64 v[65:66], v[65:66], -v[103:104]
	v_fma_f64 v[99:100], v[101:102], v[97:98], v[99:100]
	v_add_f64 v[67:68], v[67:68], -v[99:100]
	ds_read2_b64 v[99:102], v125 offset0:62 offset1:63
	s_waitcnt lgkmcnt(0)
	v_mul_f64 v[103:104], v[101:102], v[105:106]
	v_fma_f64 v[103:104], v[99:100], v[97:98], -v[103:104]
	v_mul_f64 v[99:100], v[99:100], v[105:106]
	v_add_f64 v[61:62], v[61:62], -v[103:104]
	v_fma_f64 v[99:100], v[101:102], v[97:98], v[99:100]
	v_add_f64 v[63:64], v[63:64], -v[99:100]
	;; [unrolled: 8-line block ×17, first 2 shown]
	ds_read2_b64 v[99:102], v125 offset0:94 offset1:95
	s_waitcnt lgkmcnt(0)
	v_mul_f64 v[103:104], v[101:102], v[105:106]
	v_fma_f64 v[103:104], v[99:100], v[97:98], -v[103:104]
	v_mul_f64 v[99:100], v[99:100], v[105:106]
	v_add_f64 v[73:74], v[73:74], -v[103:104]
	v_fma_f64 v[99:100], v[101:102], v[97:98], v[99:100]
	v_mov_b32_e32 v104, v98
	v_mov_b32_e32 v103, v97
	buffer_store_dword v103, off, s[20:23], 0 offset:160 ; 4-byte Folded Spill
	s_nop 0
	buffer_store_dword v104, off, s[20:23], 0 offset:164 ; 4-byte Folded Spill
	buffer_store_dword v105, off, s[20:23], 0 offset:168 ; 4-byte Folded Spill
	;; [unrolled: 1-line block ×3, first 2 shown]
	v_add_f64 v[75:76], v[75:76], -v[99:100]
.LBB95_136:
	s_or_b64 exec, exec, s[2:3]
	v_cmp_eq_u32_e32 vcc, 15, v0
	s_waitcnt vmcnt(0)
	s_barrier
	s_and_saveexec_b64 s[4:5], vcc
	s_cbranch_execz .LBB95_143
; %bb.137:
	buffer_load_dword v69, off, s[20:23], 0 offset:144 ; 4-byte Folded Reload
	buffer_load_dword v70, off, s[20:23], 0 offset:148 ; 4-byte Folded Reload
	;; [unrolled: 1-line block ×4, first 2 shown]
	s_waitcnt vmcnt(0)
	ds_write2_b64 v127, v[69:70], v[71:72] offset1:1
	buffer_load_dword v69, off, s[20:23], 0 offset:128 ; 4-byte Folded Reload
	buffer_load_dword v70, off, s[20:23], 0 offset:132 ; 4-byte Folded Reload
	buffer_load_dword v71, off, s[20:23], 0 offset:136 ; 4-byte Folded Reload
	buffer_load_dword v72, off, s[20:23], 0 offset:140 ; 4-byte Folded Reload
	s_waitcnt vmcnt(0)
	ds_write2_b64 v125, v[69:70], v[71:72] offset0:32 offset1:33
	buffer_load_dword v69, off, s[20:23], 0 offset:112 ; 4-byte Folded Reload
	buffer_load_dword v70, off, s[20:23], 0 offset:116 ; 4-byte Folded Reload
	buffer_load_dword v71, off, s[20:23], 0 offset:120 ; 4-byte Folded Reload
	buffer_load_dword v72, off, s[20:23], 0 offset:124 ; 4-byte Folded Reload
	s_waitcnt vmcnt(0)
	ds_write2_b64 v125, v[69:70], v[71:72] offset0:34 offset1:35
	;; [unrolled: 6-line block ×6, first 2 shown]
	ds_write2_b64 v125, v[121:122], v[123:124] offset0:44 offset1:45
	ds_write2_b64 v125, v[117:118], v[119:120] offset0:46 offset1:47
	;; [unrolled: 1-line block ×5, first 2 shown]
	buffer_load_dword v77, off, s[20:23], 0 offset:32 ; 4-byte Folded Reload
	buffer_load_dword v78, off, s[20:23], 0 offset:36 ; 4-byte Folded Reload
	;; [unrolled: 1-line block ×4, first 2 shown]
	v_mov_b32_e32 v69, v73
	v_mov_b32_e32 v70, v74
	;; [unrolled: 1-line block ×4, first 2 shown]
	s_waitcnt vmcnt(0)
	ds_write2_b64 v125, v[77:78], v[79:80] offset0:54 offset1:55
	buffer_load_dword v73, off, s[20:23], 0 offset:16 ; 4-byte Folded Reload
	buffer_load_dword v74, off, s[20:23], 0 offset:20 ; 4-byte Folded Reload
	;; [unrolled: 1-line block ×4, first 2 shown]
	s_waitcnt vmcnt(0)
	ds_write2_b64 v125, v[73:74], v[75:76] offset0:56 offset1:57
	v_mov_b32_e32 v76, v72
	v_mov_b32_e32 v75, v71
	;; [unrolled: 1-line block ×4, first 2 shown]
	buffer_load_dword v69, off, s[20:23], 0 ; 4-byte Folded Reload
	buffer_load_dword v70, off, s[20:23], 0 offset:4 ; 4-byte Folded Reload
	buffer_load_dword v71, off, s[20:23], 0 offset:8 ; 4-byte Folded Reload
	buffer_load_dword v72, off, s[20:23], 0 offset:12 ; 4-byte Folded Reload
	s_waitcnt vmcnt(0)
	ds_write2_b64 v125, v[69:70], v[71:72] offset0:58 offset1:59
	ds_write2_b64 v125, v[65:66], v[67:68] offset0:60 offset1:61
	;; [unrolled: 1-line block ×19, first 2 shown]
	ds_read2_b64 v[97:100], v127 offset1:1
	s_waitcnt lgkmcnt(0)
	v_cmp_neq_f64_e32 vcc, 0, v[97:98]
	v_cmp_neq_f64_e64 s[2:3], 0, v[99:100]
	s_or_b64 s[2:3], vcc, s[2:3]
	s_and_b64 exec, exec, s[2:3]
	s_cbranch_execz .LBB95_143
; %bb.138:
	v_cmp_ngt_f64_e64 s[2:3], |v[97:98]|, |v[99:100]|
                                        ; implicit-def: $vgpr101_vgpr102
	s_and_saveexec_b64 s[6:7], s[2:3]
	s_xor_b64 s[2:3], exec, s[6:7]
                                        ; implicit-def: $vgpr103_vgpr104
	s_cbranch_execz .LBB95_140
; %bb.139:
	v_div_scale_f64 v[101:102], s[6:7], v[99:100], v[99:100], v[97:98]
	v_rcp_f64_e32 v[103:104], v[101:102]
	v_fma_f64 v[105:106], -v[101:102], v[103:104], 1.0
	v_fma_f64 v[103:104], v[103:104], v[105:106], v[103:104]
	v_div_scale_f64 v[105:106], vcc, v[97:98], v[99:100], v[97:98]
	v_fma_f64 v[107:108], -v[101:102], v[103:104], 1.0
	v_fma_f64 v[103:104], v[103:104], v[107:108], v[103:104]
	v_mul_f64 v[107:108], v[105:106], v[103:104]
	v_fma_f64 v[101:102], -v[101:102], v[107:108], v[105:106]
	v_div_fmas_f64 v[101:102], v[101:102], v[103:104], v[107:108]
	v_div_fixup_f64 v[101:102], v[101:102], v[99:100], v[97:98]
	v_fma_f64 v[97:98], v[97:98], v[101:102], v[99:100]
	v_div_scale_f64 v[99:100], s[6:7], v[97:98], v[97:98], 1.0
	v_div_scale_f64 v[107:108], vcc, 1.0, v[97:98], 1.0
	v_rcp_f64_e32 v[103:104], v[99:100]
	v_fma_f64 v[105:106], -v[99:100], v[103:104], 1.0
	v_fma_f64 v[103:104], v[103:104], v[105:106], v[103:104]
	v_fma_f64 v[105:106], -v[99:100], v[103:104], 1.0
	v_fma_f64 v[103:104], v[103:104], v[105:106], v[103:104]
	v_mul_f64 v[105:106], v[107:108], v[103:104]
	v_fma_f64 v[99:100], -v[99:100], v[105:106], v[107:108]
	v_div_fmas_f64 v[99:100], v[99:100], v[103:104], v[105:106]
	v_div_fixup_f64 v[103:104], v[99:100], v[97:98], 1.0
                                        ; implicit-def: $vgpr97_vgpr98
	v_mul_f64 v[101:102], v[101:102], v[103:104]
	v_xor_b32_e32 v104, 0x80000000, v104
.LBB95_140:
	s_andn2_saveexec_b64 s[2:3], s[2:3]
	s_cbranch_execz .LBB95_142
; %bb.141:
	v_div_scale_f64 v[101:102], s[6:7], v[97:98], v[97:98], v[99:100]
	v_rcp_f64_e32 v[103:104], v[101:102]
	v_fma_f64 v[105:106], -v[101:102], v[103:104], 1.0
	v_fma_f64 v[103:104], v[103:104], v[105:106], v[103:104]
	v_div_scale_f64 v[105:106], vcc, v[99:100], v[97:98], v[99:100]
	v_fma_f64 v[107:108], -v[101:102], v[103:104], 1.0
	v_fma_f64 v[103:104], v[103:104], v[107:108], v[103:104]
	v_mul_f64 v[107:108], v[105:106], v[103:104]
	v_fma_f64 v[101:102], -v[101:102], v[107:108], v[105:106]
	v_div_fmas_f64 v[101:102], v[101:102], v[103:104], v[107:108]
	v_div_fixup_f64 v[103:104], v[101:102], v[97:98], v[99:100]
	v_fma_f64 v[97:98], v[99:100], v[103:104], v[97:98]
	v_div_scale_f64 v[99:100], s[6:7], v[97:98], v[97:98], 1.0
	v_div_scale_f64 v[107:108], vcc, 1.0, v[97:98], 1.0
	v_rcp_f64_e32 v[101:102], v[99:100]
	v_fma_f64 v[105:106], -v[99:100], v[101:102], 1.0
	v_fma_f64 v[101:102], v[101:102], v[105:106], v[101:102]
	v_fma_f64 v[105:106], -v[99:100], v[101:102], 1.0
	v_fma_f64 v[101:102], v[101:102], v[105:106], v[101:102]
	v_mul_f64 v[105:106], v[107:108], v[101:102]
	v_fma_f64 v[99:100], -v[99:100], v[105:106], v[107:108]
	v_div_fmas_f64 v[99:100], v[99:100], v[101:102], v[105:106]
	v_div_fixup_f64 v[101:102], v[99:100], v[97:98], 1.0
	v_mul_f64 v[103:104], v[103:104], -v[101:102]
.LBB95_142:
	s_or_b64 exec, exec, s[2:3]
	ds_write2_b64 v127, v[101:102], v[103:104] offset1:1
.LBB95_143:
	s_or_b64 exec, exec, s[4:5]
	s_waitcnt lgkmcnt(0)
	s_barrier
	ds_read2_b64 v[69:72], v127 offset1:1
	v_cmp_lt_u32_e32 vcc, 15, v0
	s_waitcnt lgkmcnt(0)
	buffer_store_dword v69, off, s[20:23], 0 offset:1016 ; 4-byte Folded Spill
	s_nop 0
	buffer_store_dword v70, off, s[20:23], 0 offset:1020 ; 4-byte Folded Spill
	buffer_store_dword v71, off, s[20:23], 0 offset:1024 ; 4-byte Folded Spill
	;; [unrolled: 1-line block ×3, first 2 shown]
	s_and_saveexec_b64 s[2:3], vcc
	s_cbranch_execz .LBB95_145
; %bb.144:
	buffer_load_dword v103, off, s[20:23], 0 offset:144 ; 4-byte Folded Reload
	buffer_load_dword v104, off, s[20:23], 0 offset:148 ; 4-byte Folded Reload
	;; [unrolled: 1-line block ×8, first 2 shown]
	s_waitcnt vmcnt(2)
	v_mul_f64 v[99:100], v[69:70], v[105:106]
	s_waitcnt vmcnt(0)
	v_mul_f64 v[97:98], v[71:72], v[105:106]
	v_fma_f64 v[105:106], v[71:72], v[103:104], v[99:100]
	ds_read2_b64 v[99:102], v125 offset0:32 offset1:33
	v_fma_f64 v[97:98], v[69:70], v[103:104], -v[97:98]
	buffer_load_dword v69, off, s[20:23], 0 offset:128 ; 4-byte Folded Reload
	buffer_load_dword v70, off, s[20:23], 0 offset:132 ; 4-byte Folded Reload
	buffer_load_dword v71, off, s[20:23], 0 offset:136 ; 4-byte Folded Reload
	buffer_load_dword v72, off, s[20:23], 0 offset:140 ; 4-byte Folded Reload
	s_waitcnt lgkmcnt(0)
	v_mul_f64 v[103:104], v[101:102], v[105:106]
	v_fma_f64 v[103:104], v[99:100], v[97:98], -v[103:104]
	v_mul_f64 v[99:100], v[99:100], v[105:106]
	v_fma_f64 v[99:100], v[101:102], v[97:98], v[99:100]
	s_waitcnt vmcnt(2)
	v_add_f64 v[69:70], v[69:70], -v[103:104]
	s_waitcnt vmcnt(0)
	v_add_f64 v[71:72], v[71:72], -v[99:100]
	buffer_store_dword v69, off, s[20:23], 0 offset:128 ; 4-byte Folded Spill
	s_nop 0
	buffer_store_dword v70, off, s[20:23], 0 offset:132 ; 4-byte Folded Spill
	buffer_store_dword v71, off, s[20:23], 0 offset:136 ; 4-byte Folded Spill
	buffer_store_dword v72, off, s[20:23], 0 offset:140 ; 4-byte Folded Spill
	ds_read2_b64 v[99:102], v125 offset0:34 offset1:35
	buffer_load_dword v69, off, s[20:23], 0 offset:112 ; 4-byte Folded Reload
	buffer_load_dword v70, off, s[20:23], 0 offset:116 ; 4-byte Folded Reload
	buffer_load_dword v71, off, s[20:23], 0 offset:120 ; 4-byte Folded Reload
	buffer_load_dword v72, off, s[20:23], 0 offset:124 ; 4-byte Folded Reload
	s_waitcnt lgkmcnt(0)
	v_mul_f64 v[103:104], v[101:102], v[105:106]
	v_fma_f64 v[103:104], v[99:100], v[97:98], -v[103:104]
	v_mul_f64 v[99:100], v[99:100], v[105:106]
	v_fma_f64 v[99:100], v[101:102], v[97:98], v[99:100]
	s_waitcnt vmcnt(2)
	v_add_f64 v[69:70], v[69:70], -v[103:104]
	s_waitcnt vmcnt(0)
	v_add_f64 v[71:72], v[71:72], -v[99:100]
	buffer_store_dword v69, off, s[20:23], 0 offset:112 ; 4-byte Folded Spill
	s_nop 0
	buffer_store_dword v70, off, s[20:23], 0 offset:116 ; 4-byte Folded Spill
	buffer_store_dword v71, off, s[20:23], 0 offset:120 ; 4-byte Folded Spill
	buffer_store_dword v72, off, s[20:23], 0 offset:124 ; 4-byte Folded Spill
	ds_read2_b64 v[99:102], v125 offset0:36 offset1:37
	buffer_load_dword v69, off, s[20:23], 0 offset:96 ; 4-byte Folded Reload
	buffer_load_dword v70, off, s[20:23], 0 offset:100 ; 4-byte Folded Reload
	buffer_load_dword v71, off, s[20:23], 0 offset:104 ; 4-byte Folded Reload
	buffer_load_dword v72, off, s[20:23], 0 offset:108 ; 4-byte Folded Reload
	s_waitcnt lgkmcnt(0)
	v_mul_f64 v[103:104], v[101:102], v[105:106]
	v_fma_f64 v[103:104], v[99:100], v[97:98], -v[103:104]
	v_mul_f64 v[99:100], v[99:100], v[105:106]
	v_fma_f64 v[99:100], v[101:102], v[97:98], v[99:100]
	s_waitcnt vmcnt(2)
	v_add_f64 v[69:70], v[69:70], -v[103:104]
	s_waitcnt vmcnt(0)
	v_add_f64 v[71:72], v[71:72], -v[99:100]
	buffer_store_dword v69, off, s[20:23], 0 offset:96 ; 4-byte Folded Spill
	s_nop 0
	buffer_store_dword v70, off, s[20:23], 0 offset:100 ; 4-byte Folded Spill
	buffer_store_dword v71, off, s[20:23], 0 offset:104 ; 4-byte Folded Spill
	buffer_store_dword v72, off, s[20:23], 0 offset:108 ; 4-byte Folded Spill
	ds_read2_b64 v[99:102], v125 offset0:38 offset1:39
	buffer_load_dword v69, off, s[20:23], 0 offset:80 ; 4-byte Folded Reload
	buffer_load_dword v70, off, s[20:23], 0 offset:84 ; 4-byte Folded Reload
	buffer_load_dword v71, off, s[20:23], 0 offset:88 ; 4-byte Folded Reload
	buffer_load_dword v72, off, s[20:23], 0 offset:92 ; 4-byte Folded Reload
	s_waitcnt lgkmcnt(0)
	v_mul_f64 v[103:104], v[101:102], v[105:106]
	v_fma_f64 v[103:104], v[99:100], v[97:98], -v[103:104]
	v_mul_f64 v[99:100], v[99:100], v[105:106]
	v_fma_f64 v[99:100], v[101:102], v[97:98], v[99:100]
	s_waitcnt vmcnt(2)
	v_add_f64 v[69:70], v[69:70], -v[103:104]
	s_waitcnt vmcnt(0)
	v_add_f64 v[71:72], v[71:72], -v[99:100]
	buffer_store_dword v69, off, s[20:23], 0 offset:80 ; 4-byte Folded Spill
	s_nop 0
	buffer_store_dword v70, off, s[20:23], 0 offset:84 ; 4-byte Folded Spill
	buffer_store_dword v71, off, s[20:23], 0 offset:88 ; 4-byte Folded Spill
	buffer_store_dword v72, off, s[20:23], 0 offset:92 ; 4-byte Folded Spill
	ds_read2_b64 v[99:102], v125 offset0:40 offset1:41
	buffer_load_dword v69, off, s[20:23], 0 offset:64 ; 4-byte Folded Reload
	buffer_load_dword v70, off, s[20:23], 0 offset:68 ; 4-byte Folded Reload
	buffer_load_dword v71, off, s[20:23], 0 offset:72 ; 4-byte Folded Reload
	buffer_load_dword v72, off, s[20:23], 0 offset:76 ; 4-byte Folded Reload
	s_waitcnt lgkmcnt(0)
	v_mul_f64 v[103:104], v[101:102], v[105:106]
	v_fma_f64 v[103:104], v[99:100], v[97:98], -v[103:104]
	v_mul_f64 v[99:100], v[99:100], v[105:106]
	v_fma_f64 v[99:100], v[101:102], v[97:98], v[99:100]
	s_waitcnt vmcnt(2)
	v_add_f64 v[69:70], v[69:70], -v[103:104]
	s_waitcnt vmcnt(0)
	v_add_f64 v[71:72], v[71:72], -v[99:100]
	buffer_store_dword v69, off, s[20:23], 0 offset:64 ; 4-byte Folded Spill
	s_nop 0
	buffer_store_dword v70, off, s[20:23], 0 offset:68 ; 4-byte Folded Spill
	buffer_store_dword v71, off, s[20:23], 0 offset:72 ; 4-byte Folded Spill
	buffer_store_dword v72, off, s[20:23], 0 offset:76 ; 4-byte Folded Spill
	ds_read2_b64 v[99:102], v125 offset0:42 offset1:43
	buffer_load_dword v69, off, s[20:23], 0 offset:48 ; 4-byte Folded Reload
	buffer_load_dword v70, off, s[20:23], 0 offset:52 ; 4-byte Folded Reload
	buffer_load_dword v71, off, s[20:23], 0 offset:56 ; 4-byte Folded Reload
	buffer_load_dword v72, off, s[20:23], 0 offset:60 ; 4-byte Folded Reload
	s_waitcnt lgkmcnt(0)
	v_mul_f64 v[103:104], v[101:102], v[105:106]
	v_fma_f64 v[103:104], v[99:100], v[97:98], -v[103:104]
	v_mul_f64 v[99:100], v[99:100], v[105:106]
	v_fma_f64 v[99:100], v[101:102], v[97:98], v[99:100]
	s_waitcnt vmcnt(2)
	v_add_f64 v[69:70], v[69:70], -v[103:104]
	s_waitcnt vmcnt(0)
	v_add_f64 v[71:72], v[71:72], -v[99:100]
	buffer_store_dword v69, off, s[20:23], 0 offset:48 ; 4-byte Folded Spill
	s_nop 0
	buffer_store_dword v70, off, s[20:23], 0 offset:52 ; 4-byte Folded Spill
	buffer_store_dword v71, off, s[20:23], 0 offset:56 ; 4-byte Folded Spill
	buffer_store_dword v72, off, s[20:23], 0 offset:60 ; 4-byte Folded Spill
	ds_read2_b64 v[99:102], v125 offset0:44 offset1:45
	v_mov_b32_e32 v69, v73
	v_mov_b32_e32 v70, v74
	;; [unrolled: 1-line block ×4, first 2 shown]
	s_waitcnt lgkmcnt(0)
	v_mul_f64 v[103:104], v[101:102], v[105:106]
	v_fma_f64 v[103:104], v[99:100], v[97:98], -v[103:104]
	v_mul_f64 v[99:100], v[99:100], v[105:106]
	v_add_f64 v[121:122], v[121:122], -v[103:104]
	v_fma_f64 v[99:100], v[101:102], v[97:98], v[99:100]
	v_add_f64 v[123:124], v[123:124], -v[99:100]
	ds_read2_b64 v[99:102], v125 offset0:46 offset1:47
	s_waitcnt lgkmcnt(0)
	v_mul_f64 v[103:104], v[101:102], v[105:106]
	v_fma_f64 v[103:104], v[99:100], v[97:98], -v[103:104]
	v_mul_f64 v[99:100], v[99:100], v[105:106]
	v_add_f64 v[117:118], v[117:118], -v[103:104]
	v_fma_f64 v[99:100], v[101:102], v[97:98], v[99:100]
	v_add_f64 v[119:120], v[119:120], -v[99:100]
	ds_read2_b64 v[99:102], v125 offset0:48 offset1:49
	;; [unrolled: 8-line block ×5, first 2 shown]
	buffer_load_dword v77, off, s[20:23], 0 offset:32 ; 4-byte Folded Reload
	buffer_load_dword v78, off, s[20:23], 0 offset:36 ; 4-byte Folded Reload
	buffer_load_dword v79, off, s[20:23], 0 offset:40 ; 4-byte Folded Reload
	buffer_load_dword v80, off, s[20:23], 0 offset:44 ; 4-byte Folded Reload
	s_waitcnt lgkmcnt(0)
	v_mul_f64 v[103:104], v[101:102], v[105:106]
	v_fma_f64 v[103:104], v[99:100], v[97:98], -v[103:104]
	v_mul_f64 v[99:100], v[99:100], v[105:106]
	v_fma_f64 v[99:100], v[101:102], v[97:98], v[99:100]
	s_waitcnt vmcnt(2)
	v_add_f64 v[77:78], v[77:78], -v[103:104]
	s_waitcnt vmcnt(0)
	v_add_f64 v[79:80], v[79:80], -v[99:100]
	buffer_store_dword v77, off, s[20:23], 0 offset:32 ; 4-byte Folded Spill
	s_nop 0
	buffer_store_dword v78, off, s[20:23], 0 offset:36 ; 4-byte Folded Spill
	buffer_store_dword v79, off, s[20:23], 0 offset:40 ; 4-byte Folded Spill
	;; [unrolled: 1-line block ×3, first 2 shown]
	ds_read2_b64 v[99:102], v125 offset0:56 offset1:57
	buffer_load_dword v73, off, s[20:23], 0 offset:16 ; 4-byte Folded Reload
	buffer_load_dword v74, off, s[20:23], 0 offset:20 ; 4-byte Folded Reload
	buffer_load_dword v75, off, s[20:23], 0 offset:24 ; 4-byte Folded Reload
	buffer_load_dword v76, off, s[20:23], 0 offset:28 ; 4-byte Folded Reload
	s_waitcnt lgkmcnt(0)
	v_mul_f64 v[103:104], v[101:102], v[105:106]
	v_fma_f64 v[103:104], v[99:100], v[97:98], -v[103:104]
	v_mul_f64 v[99:100], v[99:100], v[105:106]
	v_fma_f64 v[99:100], v[101:102], v[97:98], v[99:100]
	s_waitcnt vmcnt(2)
	v_add_f64 v[73:74], v[73:74], -v[103:104]
	s_waitcnt vmcnt(0)
	v_add_f64 v[75:76], v[75:76], -v[99:100]
	buffer_store_dword v73, off, s[20:23], 0 offset:16 ; 4-byte Folded Spill
	s_nop 0
	buffer_store_dword v74, off, s[20:23], 0 offset:20 ; 4-byte Folded Spill
	buffer_store_dword v75, off, s[20:23], 0 offset:24 ; 4-byte Folded Spill
	;; [unrolled: 1-line block ×3, first 2 shown]
	v_mov_b32_e32 v76, v72
	v_mov_b32_e32 v75, v71
	;; [unrolled: 1-line block ×4, first 2 shown]
	ds_read2_b64 v[99:102], v125 offset0:58 offset1:59
	buffer_load_dword v69, off, s[20:23], 0 ; 4-byte Folded Reload
	buffer_load_dword v70, off, s[20:23], 0 offset:4 ; 4-byte Folded Reload
	buffer_load_dword v71, off, s[20:23], 0 offset:8 ; 4-byte Folded Reload
	;; [unrolled: 1-line block ×3, first 2 shown]
	s_waitcnt lgkmcnt(0)
	v_mul_f64 v[103:104], v[101:102], v[105:106]
	v_fma_f64 v[103:104], v[99:100], v[97:98], -v[103:104]
	v_mul_f64 v[99:100], v[99:100], v[105:106]
	v_fma_f64 v[99:100], v[101:102], v[97:98], v[99:100]
	s_waitcnt vmcnt(2)
	v_add_f64 v[69:70], v[69:70], -v[103:104]
	s_waitcnt vmcnt(0)
	v_add_f64 v[71:72], v[71:72], -v[99:100]
	buffer_store_dword v69, off, s[20:23], 0 ; 4-byte Folded Spill
	s_nop 0
	buffer_store_dword v70, off, s[20:23], 0 offset:4 ; 4-byte Folded Spill
	buffer_store_dword v71, off, s[20:23], 0 offset:8 ; 4-byte Folded Spill
	;; [unrolled: 1-line block ×3, first 2 shown]
	ds_read2_b64 v[99:102], v125 offset0:60 offset1:61
	s_waitcnt lgkmcnt(0)
	v_mul_f64 v[103:104], v[101:102], v[105:106]
	v_fma_f64 v[103:104], v[99:100], v[97:98], -v[103:104]
	v_mul_f64 v[99:100], v[99:100], v[105:106]
	v_add_f64 v[65:66], v[65:66], -v[103:104]
	v_fma_f64 v[99:100], v[101:102], v[97:98], v[99:100]
	v_add_f64 v[67:68], v[67:68], -v[99:100]
	ds_read2_b64 v[99:102], v125 offset0:62 offset1:63
	s_waitcnt lgkmcnt(0)
	v_mul_f64 v[103:104], v[101:102], v[105:106]
	v_fma_f64 v[103:104], v[99:100], v[97:98], -v[103:104]
	v_mul_f64 v[99:100], v[99:100], v[105:106]
	v_add_f64 v[61:62], v[61:62], -v[103:104]
	v_fma_f64 v[99:100], v[101:102], v[97:98], v[99:100]
	v_add_f64 v[63:64], v[63:64], -v[99:100]
	;; [unrolled: 8-line block ×17, first 2 shown]
	ds_read2_b64 v[99:102], v125 offset0:94 offset1:95
	s_waitcnt lgkmcnt(0)
	v_mul_f64 v[103:104], v[101:102], v[105:106]
	v_fma_f64 v[103:104], v[99:100], v[97:98], -v[103:104]
	v_mul_f64 v[99:100], v[99:100], v[105:106]
	v_add_f64 v[73:74], v[73:74], -v[103:104]
	v_fma_f64 v[99:100], v[101:102], v[97:98], v[99:100]
	v_mov_b32_e32 v104, v98
	v_mov_b32_e32 v103, v97
	buffer_store_dword v103, off, s[20:23], 0 offset:144 ; 4-byte Folded Spill
	s_nop 0
	buffer_store_dword v104, off, s[20:23], 0 offset:148 ; 4-byte Folded Spill
	buffer_store_dword v105, off, s[20:23], 0 offset:152 ; 4-byte Folded Spill
	;; [unrolled: 1-line block ×3, first 2 shown]
	v_add_f64 v[75:76], v[75:76], -v[99:100]
.LBB95_145:
	s_or_b64 exec, exec, s[2:3]
	v_cmp_eq_u32_e32 vcc, 16, v0
	s_waitcnt vmcnt(0)
	s_barrier
	s_and_saveexec_b64 s[4:5], vcc
	s_cbranch_execz .LBB95_152
; %bb.146:
	buffer_load_dword v69, off, s[20:23], 0 offset:128 ; 4-byte Folded Reload
	buffer_load_dword v70, off, s[20:23], 0 offset:132 ; 4-byte Folded Reload
	;; [unrolled: 1-line block ×4, first 2 shown]
	s_waitcnt vmcnt(0)
	ds_write2_b64 v127, v[69:70], v[71:72] offset1:1
	buffer_load_dword v69, off, s[20:23], 0 offset:112 ; 4-byte Folded Reload
	buffer_load_dword v70, off, s[20:23], 0 offset:116 ; 4-byte Folded Reload
	buffer_load_dword v71, off, s[20:23], 0 offset:120 ; 4-byte Folded Reload
	buffer_load_dword v72, off, s[20:23], 0 offset:124 ; 4-byte Folded Reload
	s_waitcnt vmcnt(0)
	ds_write2_b64 v125, v[69:70], v[71:72] offset0:34 offset1:35
	buffer_load_dword v69, off, s[20:23], 0 offset:96 ; 4-byte Folded Reload
	buffer_load_dword v70, off, s[20:23], 0 offset:100 ; 4-byte Folded Reload
	buffer_load_dword v71, off, s[20:23], 0 offset:104 ; 4-byte Folded Reload
	buffer_load_dword v72, off, s[20:23], 0 offset:108 ; 4-byte Folded Reload
	s_waitcnt vmcnt(0)
	ds_write2_b64 v125, v[69:70], v[71:72] offset0:36 offset1:37
	;; [unrolled: 6-line block ×5, first 2 shown]
	ds_write2_b64 v125, v[121:122], v[123:124] offset0:44 offset1:45
	ds_write2_b64 v125, v[117:118], v[119:120] offset0:46 offset1:47
	;; [unrolled: 1-line block ×5, first 2 shown]
	buffer_load_dword v77, off, s[20:23], 0 offset:32 ; 4-byte Folded Reload
	buffer_load_dword v78, off, s[20:23], 0 offset:36 ; 4-byte Folded Reload
	;; [unrolled: 1-line block ×4, first 2 shown]
	v_mov_b32_e32 v69, v73
	v_mov_b32_e32 v70, v74
	;; [unrolled: 1-line block ×4, first 2 shown]
	s_waitcnt vmcnt(0)
	ds_write2_b64 v125, v[77:78], v[79:80] offset0:54 offset1:55
	buffer_load_dword v73, off, s[20:23], 0 offset:16 ; 4-byte Folded Reload
	buffer_load_dword v74, off, s[20:23], 0 offset:20 ; 4-byte Folded Reload
	;; [unrolled: 1-line block ×4, first 2 shown]
	s_waitcnt vmcnt(0)
	ds_write2_b64 v125, v[73:74], v[75:76] offset0:56 offset1:57
	v_mov_b32_e32 v76, v72
	v_mov_b32_e32 v75, v71
	;; [unrolled: 1-line block ×4, first 2 shown]
	buffer_load_dword v69, off, s[20:23], 0 ; 4-byte Folded Reload
	buffer_load_dword v70, off, s[20:23], 0 offset:4 ; 4-byte Folded Reload
	buffer_load_dword v71, off, s[20:23], 0 offset:8 ; 4-byte Folded Reload
	;; [unrolled: 1-line block ×3, first 2 shown]
	s_waitcnt vmcnt(0)
	ds_write2_b64 v125, v[69:70], v[71:72] offset0:58 offset1:59
	ds_write2_b64 v125, v[65:66], v[67:68] offset0:60 offset1:61
	;; [unrolled: 1-line block ×19, first 2 shown]
	ds_read2_b64 v[97:100], v127 offset1:1
	s_waitcnt lgkmcnt(0)
	v_cmp_neq_f64_e32 vcc, 0, v[97:98]
	v_cmp_neq_f64_e64 s[2:3], 0, v[99:100]
	s_or_b64 s[2:3], vcc, s[2:3]
	s_and_b64 exec, exec, s[2:3]
	s_cbranch_execz .LBB95_152
; %bb.147:
	v_cmp_ngt_f64_e64 s[2:3], |v[97:98]|, |v[99:100]|
                                        ; implicit-def: $vgpr101_vgpr102
	s_and_saveexec_b64 s[6:7], s[2:3]
	s_xor_b64 s[2:3], exec, s[6:7]
                                        ; implicit-def: $vgpr103_vgpr104
	s_cbranch_execz .LBB95_149
; %bb.148:
	v_div_scale_f64 v[101:102], s[6:7], v[99:100], v[99:100], v[97:98]
	v_rcp_f64_e32 v[103:104], v[101:102]
	v_fma_f64 v[105:106], -v[101:102], v[103:104], 1.0
	v_fma_f64 v[103:104], v[103:104], v[105:106], v[103:104]
	v_div_scale_f64 v[105:106], vcc, v[97:98], v[99:100], v[97:98]
	v_fma_f64 v[107:108], -v[101:102], v[103:104], 1.0
	v_fma_f64 v[103:104], v[103:104], v[107:108], v[103:104]
	v_mul_f64 v[107:108], v[105:106], v[103:104]
	v_fma_f64 v[101:102], -v[101:102], v[107:108], v[105:106]
	v_div_fmas_f64 v[101:102], v[101:102], v[103:104], v[107:108]
	v_div_fixup_f64 v[101:102], v[101:102], v[99:100], v[97:98]
	v_fma_f64 v[97:98], v[97:98], v[101:102], v[99:100]
	v_div_scale_f64 v[99:100], s[6:7], v[97:98], v[97:98], 1.0
	v_div_scale_f64 v[107:108], vcc, 1.0, v[97:98], 1.0
	v_rcp_f64_e32 v[103:104], v[99:100]
	v_fma_f64 v[105:106], -v[99:100], v[103:104], 1.0
	v_fma_f64 v[103:104], v[103:104], v[105:106], v[103:104]
	v_fma_f64 v[105:106], -v[99:100], v[103:104], 1.0
	v_fma_f64 v[103:104], v[103:104], v[105:106], v[103:104]
	v_mul_f64 v[105:106], v[107:108], v[103:104]
	v_fma_f64 v[99:100], -v[99:100], v[105:106], v[107:108]
	v_div_fmas_f64 v[99:100], v[99:100], v[103:104], v[105:106]
	v_div_fixup_f64 v[103:104], v[99:100], v[97:98], 1.0
                                        ; implicit-def: $vgpr97_vgpr98
	v_mul_f64 v[101:102], v[101:102], v[103:104]
	v_xor_b32_e32 v104, 0x80000000, v104
.LBB95_149:
	s_andn2_saveexec_b64 s[2:3], s[2:3]
	s_cbranch_execz .LBB95_151
; %bb.150:
	v_div_scale_f64 v[101:102], s[6:7], v[97:98], v[97:98], v[99:100]
	v_rcp_f64_e32 v[103:104], v[101:102]
	v_fma_f64 v[105:106], -v[101:102], v[103:104], 1.0
	v_fma_f64 v[103:104], v[103:104], v[105:106], v[103:104]
	v_div_scale_f64 v[105:106], vcc, v[99:100], v[97:98], v[99:100]
	v_fma_f64 v[107:108], -v[101:102], v[103:104], 1.0
	v_fma_f64 v[103:104], v[103:104], v[107:108], v[103:104]
	v_mul_f64 v[107:108], v[105:106], v[103:104]
	v_fma_f64 v[101:102], -v[101:102], v[107:108], v[105:106]
	v_div_fmas_f64 v[101:102], v[101:102], v[103:104], v[107:108]
	v_div_fixup_f64 v[103:104], v[101:102], v[97:98], v[99:100]
	v_fma_f64 v[97:98], v[99:100], v[103:104], v[97:98]
	v_div_scale_f64 v[99:100], s[6:7], v[97:98], v[97:98], 1.0
	v_div_scale_f64 v[107:108], vcc, 1.0, v[97:98], 1.0
	v_rcp_f64_e32 v[101:102], v[99:100]
	v_fma_f64 v[105:106], -v[99:100], v[101:102], 1.0
	v_fma_f64 v[101:102], v[101:102], v[105:106], v[101:102]
	v_fma_f64 v[105:106], -v[99:100], v[101:102], 1.0
	v_fma_f64 v[101:102], v[101:102], v[105:106], v[101:102]
	v_mul_f64 v[105:106], v[107:108], v[101:102]
	v_fma_f64 v[99:100], -v[99:100], v[105:106], v[107:108]
	v_div_fmas_f64 v[99:100], v[99:100], v[101:102], v[105:106]
	v_div_fixup_f64 v[101:102], v[99:100], v[97:98], 1.0
	v_mul_f64 v[103:104], v[103:104], -v[101:102]
.LBB95_151:
	s_or_b64 exec, exec, s[2:3]
	ds_write2_b64 v127, v[101:102], v[103:104] offset1:1
.LBB95_152:
	s_or_b64 exec, exec, s[4:5]
	s_waitcnt lgkmcnt(0)
	s_barrier
	ds_read2_b64 v[69:72], v127 offset1:1
	v_cmp_lt_u32_e32 vcc, 16, v0
	s_waitcnt lgkmcnt(0)
	buffer_store_dword v69, off, s[20:23], 0 offset:1032 ; 4-byte Folded Spill
	s_nop 0
	buffer_store_dword v70, off, s[20:23], 0 offset:1036 ; 4-byte Folded Spill
	buffer_store_dword v71, off, s[20:23], 0 offset:1040 ; 4-byte Folded Spill
	;; [unrolled: 1-line block ×3, first 2 shown]
	s_and_saveexec_b64 s[2:3], vcc
	s_cbranch_execz .LBB95_154
; %bb.153:
	buffer_load_dword v103, off, s[20:23], 0 offset:128 ; 4-byte Folded Reload
	buffer_load_dword v104, off, s[20:23], 0 offset:132 ; 4-byte Folded Reload
	;; [unrolled: 1-line block ×8, first 2 shown]
	s_waitcnt vmcnt(2)
	v_mul_f64 v[99:100], v[69:70], v[105:106]
	s_waitcnt vmcnt(0)
	v_mul_f64 v[97:98], v[71:72], v[105:106]
	v_fma_f64 v[105:106], v[71:72], v[103:104], v[99:100]
	ds_read2_b64 v[99:102], v125 offset0:34 offset1:35
	v_fma_f64 v[97:98], v[69:70], v[103:104], -v[97:98]
	buffer_load_dword v69, off, s[20:23], 0 offset:112 ; 4-byte Folded Reload
	buffer_load_dword v70, off, s[20:23], 0 offset:116 ; 4-byte Folded Reload
	buffer_load_dword v71, off, s[20:23], 0 offset:120 ; 4-byte Folded Reload
	buffer_load_dword v72, off, s[20:23], 0 offset:124 ; 4-byte Folded Reload
	s_waitcnt lgkmcnt(0)
	v_mul_f64 v[103:104], v[101:102], v[105:106]
	v_fma_f64 v[103:104], v[99:100], v[97:98], -v[103:104]
	v_mul_f64 v[99:100], v[99:100], v[105:106]
	v_fma_f64 v[99:100], v[101:102], v[97:98], v[99:100]
	s_waitcnt vmcnt(2)
	v_add_f64 v[69:70], v[69:70], -v[103:104]
	s_waitcnt vmcnt(0)
	v_add_f64 v[71:72], v[71:72], -v[99:100]
	buffer_store_dword v69, off, s[20:23], 0 offset:112 ; 4-byte Folded Spill
	s_nop 0
	buffer_store_dword v70, off, s[20:23], 0 offset:116 ; 4-byte Folded Spill
	buffer_store_dword v71, off, s[20:23], 0 offset:120 ; 4-byte Folded Spill
	buffer_store_dword v72, off, s[20:23], 0 offset:124 ; 4-byte Folded Spill
	ds_read2_b64 v[99:102], v125 offset0:36 offset1:37
	buffer_load_dword v69, off, s[20:23], 0 offset:96 ; 4-byte Folded Reload
	buffer_load_dword v70, off, s[20:23], 0 offset:100 ; 4-byte Folded Reload
	buffer_load_dword v71, off, s[20:23], 0 offset:104 ; 4-byte Folded Reload
	buffer_load_dword v72, off, s[20:23], 0 offset:108 ; 4-byte Folded Reload
	s_waitcnt lgkmcnt(0)
	v_mul_f64 v[103:104], v[101:102], v[105:106]
	v_fma_f64 v[103:104], v[99:100], v[97:98], -v[103:104]
	v_mul_f64 v[99:100], v[99:100], v[105:106]
	v_fma_f64 v[99:100], v[101:102], v[97:98], v[99:100]
	s_waitcnt vmcnt(2)
	v_add_f64 v[69:70], v[69:70], -v[103:104]
	s_waitcnt vmcnt(0)
	v_add_f64 v[71:72], v[71:72], -v[99:100]
	buffer_store_dword v69, off, s[20:23], 0 offset:96 ; 4-byte Folded Spill
	s_nop 0
	buffer_store_dword v70, off, s[20:23], 0 offset:100 ; 4-byte Folded Spill
	buffer_store_dword v71, off, s[20:23], 0 offset:104 ; 4-byte Folded Spill
	buffer_store_dword v72, off, s[20:23], 0 offset:108 ; 4-byte Folded Spill
	ds_read2_b64 v[99:102], v125 offset0:38 offset1:39
	;; [unrolled: 19-line block ×5, first 2 shown]
	v_mov_b32_e32 v69, v73
	v_mov_b32_e32 v70, v74
	;; [unrolled: 1-line block ×4, first 2 shown]
	s_waitcnt lgkmcnt(0)
	v_mul_f64 v[103:104], v[101:102], v[105:106]
	v_fma_f64 v[103:104], v[99:100], v[97:98], -v[103:104]
	v_mul_f64 v[99:100], v[99:100], v[105:106]
	v_add_f64 v[121:122], v[121:122], -v[103:104]
	v_fma_f64 v[99:100], v[101:102], v[97:98], v[99:100]
	v_add_f64 v[123:124], v[123:124], -v[99:100]
	ds_read2_b64 v[99:102], v125 offset0:46 offset1:47
	s_waitcnt lgkmcnt(0)
	v_mul_f64 v[103:104], v[101:102], v[105:106]
	v_fma_f64 v[103:104], v[99:100], v[97:98], -v[103:104]
	v_mul_f64 v[99:100], v[99:100], v[105:106]
	v_add_f64 v[117:118], v[117:118], -v[103:104]
	v_fma_f64 v[99:100], v[101:102], v[97:98], v[99:100]
	v_add_f64 v[119:120], v[119:120], -v[99:100]
	ds_read2_b64 v[99:102], v125 offset0:48 offset1:49
	;; [unrolled: 8-line block ×5, first 2 shown]
	buffer_load_dword v77, off, s[20:23], 0 offset:32 ; 4-byte Folded Reload
	buffer_load_dword v78, off, s[20:23], 0 offset:36 ; 4-byte Folded Reload
	;; [unrolled: 1-line block ×4, first 2 shown]
	s_waitcnt lgkmcnt(0)
	v_mul_f64 v[103:104], v[101:102], v[105:106]
	v_fma_f64 v[103:104], v[99:100], v[97:98], -v[103:104]
	v_mul_f64 v[99:100], v[99:100], v[105:106]
	v_fma_f64 v[99:100], v[101:102], v[97:98], v[99:100]
	s_waitcnt vmcnt(2)
	v_add_f64 v[77:78], v[77:78], -v[103:104]
	s_waitcnt vmcnt(0)
	v_add_f64 v[79:80], v[79:80], -v[99:100]
	buffer_store_dword v77, off, s[20:23], 0 offset:32 ; 4-byte Folded Spill
	s_nop 0
	buffer_store_dword v78, off, s[20:23], 0 offset:36 ; 4-byte Folded Spill
	buffer_store_dword v79, off, s[20:23], 0 offset:40 ; 4-byte Folded Spill
	;; [unrolled: 1-line block ×3, first 2 shown]
	ds_read2_b64 v[99:102], v125 offset0:56 offset1:57
	buffer_load_dword v73, off, s[20:23], 0 offset:16 ; 4-byte Folded Reload
	buffer_load_dword v74, off, s[20:23], 0 offset:20 ; 4-byte Folded Reload
	;; [unrolled: 1-line block ×4, first 2 shown]
	s_waitcnt lgkmcnt(0)
	v_mul_f64 v[103:104], v[101:102], v[105:106]
	v_fma_f64 v[103:104], v[99:100], v[97:98], -v[103:104]
	v_mul_f64 v[99:100], v[99:100], v[105:106]
	v_fma_f64 v[99:100], v[101:102], v[97:98], v[99:100]
	s_waitcnt vmcnt(2)
	v_add_f64 v[73:74], v[73:74], -v[103:104]
	s_waitcnt vmcnt(0)
	v_add_f64 v[75:76], v[75:76], -v[99:100]
	buffer_store_dword v73, off, s[20:23], 0 offset:16 ; 4-byte Folded Spill
	s_nop 0
	buffer_store_dword v74, off, s[20:23], 0 offset:20 ; 4-byte Folded Spill
	buffer_store_dword v75, off, s[20:23], 0 offset:24 ; 4-byte Folded Spill
	;; [unrolled: 1-line block ×3, first 2 shown]
	v_mov_b32_e32 v76, v72
	v_mov_b32_e32 v75, v71
	;; [unrolled: 1-line block ×4, first 2 shown]
	ds_read2_b64 v[99:102], v125 offset0:58 offset1:59
	buffer_load_dword v69, off, s[20:23], 0 ; 4-byte Folded Reload
	buffer_load_dword v70, off, s[20:23], 0 offset:4 ; 4-byte Folded Reload
	buffer_load_dword v71, off, s[20:23], 0 offset:8 ; 4-byte Folded Reload
	buffer_load_dword v72, off, s[20:23], 0 offset:12 ; 4-byte Folded Reload
	s_waitcnt lgkmcnt(0)
	v_mul_f64 v[103:104], v[101:102], v[105:106]
	v_fma_f64 v[103:104], v[99:100], v[97:98], -v[103:104]
	v_mul_f64 v[99:100], v[99:100], v[105:106]
	v_fma_f64 v[99:100], v[101:102], v[97:98], v[99:100]
	s_waitcnt vmcnt(2)
	v_add_f64 v[69:70], v[69:70], -v[103:104]
	s_waitcnt vmcnt(0)
	v_add_f64 v[71:72], v[71:72], -v[99:100]
	buffer_store_dword v69, off, s[20:23], 0 ; 4-byte Folded Spill
	s_nop 0
	buffer_store_dword v70, off, s[20:23], 0 offset:4 ; 4-byte Folded Spill
	buffer_store_dword v71, off, s[20:23], 0 offset:8 ; 4-byte Folded Spill
	;; [unrolled: 1-line block ×3, first 2 shown]
	ds_read2_b64 v[99:102], v125 offset0:60 offset1:61
	s_waitcnt lgkmcnt(0)
	v_mul_f64 v[103:104], v[101:102], v[105:106]
	v_fma_f64 v[103:104], v[99:100], v[97:98], -v[103:104]
	v_mul_f64 v[99:100], v[99:100], v[105:106]
	v_add_f64 v[65:66], v[65:66], -v[103:104]
	v_fma_f64 v[99:100], v[101:102], v[97:98], v[99:100]
	v_add_f64 v[67:68], v[67:68], -v[99:100]
	ds_read2_b64 v[99:102], v125 offset0:62 offset1:63
	s_waitcnt lgkmcnt(0)
	v_mul_f64 v[103:104], v[101:102], v[105:106]
	v_fma_f64 v[103:104], v[99:100], v[97:98], -v[103:104]
	v_mul_f64 v[99:100], v[99:100], v[105:106]
	v_add_f64 v[61:62], v[61:62], -v[103:104]
	v_fma_f64 v[99:100], v[101:102], v[97:98], v[99:100]
	v_add_f64 v[63:64], v[63:64], -v[99:100]
	;; [unrolled: 8-line block ×17, first 2 shown]
	ds_read2_b64 v[99:102], v125 offset0:94 offset1:95
	s_waitcnt lgkmcnt(0)
	v_mul_f64 v[103:104], v[101:102], v[105:106]
	v_fma_f64 v[103:104], v[99:100], v[97:98], -v[103:104]
	v_mul_f64 v[99:100], v[99:100], v[105:106]
	v_add_f64 v[73:74], v[73:74], -v[103:104]
	v_fma_f64 v[99:100], v[101:102], v[97:98], v[99:100]
	v_mov_b32_e32 v104, v98
	v_mov_b32_e32 v103, v97
	buffer_store_dword v103, off, s[20:23], 0 offset:128 ; 4-byte Folded Spill
	s_nop 0
	buffer_store_dword v104, off, s[20:23], 0 offset:132 ; 4-byte Folded Spill
	buffer_store_dword v105, off, s[20:23], 0 offset:136 ; 4-byte Folded Spill
	;; [unrolled: 1-line block ×3, first 2 shown]
	v_add_f64 v[75:76], v[75:76], -v[99:100]
.LBB95_154:
	s_or_b64 exec, exec, s[2:3]
	v_cmp_eq_u32_e32 vcc, 17, v0
	s_waitcnt vmcnt(0)
	s_barrier
	s_and_saveexec_b64 s[4:5], vcc
	s_cbranch_execz .LBB95_161
; %bb.155:
	buffer_load_dword v69, off, s[20:23], 0 offset:112 ; 4-byte Folded Reload
	buffer_load_dword v70, off, s[20:23], 0 offset:116 ; 4-byte Folded Reload
	;; [unrolled: 1-line block ×4, first 2 shown]
	s_waitcnt vmcnt(0)
	ds_write2_b64 v127, v[69:70], v[71:72] offset1:1
	buffer_load_dword v69, off, s[20:23], 0 offset:96 ; 4-byte Folded Reload
	buffer_load_dword v70, off, s[20:23], 0 offset:100 ; 4-byte Folded Reload
	buffer_load_dword v71, off, s[20:23], 0 offset:104 ; 4-byte Folded Reload
	buffer_load_dword v72, off, s[20:23], 0 offset:108 ; 4-byte Folded Reload
	s_waitcnt vmcnt(0)
	ds_write2_b64 v125, v[69:70], v[71:72] offset0:36 offset1:37
	buffer_load_dword v69, off, s[20:23], 0 offset:80 ; 4-byte Folded Reload
	buffer_load_dword v70, off, s[20:23], 0 offset:84 ; 4-byte Folded Reload
	buffer_load_dword v71, off, s[20:23], 0 offset:88 ; 4-byte Folded Reload
	buffer_load_dword v72, off, s[20:23], 0 offset:92 ; 4-byte Folded Reload
	s_waitcnt vmcnt(0)
	ds_write2_b64 v125, v[69:70], v[71:72] offset0:38 offset1:39
	;; [unrolled: 6-line block ×4, first 2 shown]
	ds_write2_b64 v125, v[121:122], v[123:124] offset0:44 offset1:45
	ds_write2_b64 v125, v[117:118], v[119:120] offset0:46 offset1:47
	;; [unrolled: 1-line block ×5, first 2 shown]
	buffer_load_dword v77, off, s[20:23], 0 offset:32 ; 4-byte Folded Reload
	buffer_load_dword v78, off, s[20:23], 0 offset:36 ; 4-byte Folded Reload
	;; [unrolled: 1-line block ×4, first 2 shown]
	v_mov_b32_e32 v69, v73
	v_mov_b32_e32 v70, v74
	v_mov_b32_e32 v71, v75
	v_mov_b32_e32 v72, v76
	s_waitcnt vmcnt(0)
	ds_write2_b64 v125, v[77:78], v[79:80] offset0:54 offset1:55
	buffer_load_dword v73, off, s[20:23], 0 offset:16 ; 4-byte Folded Reload
	buffer_load_dword v74, off, s[20:23], 0 offset:20 ; 4-byte Folded Reload
	;; [unrolled: 1-line block ×4, first 2 shown]
	s_waitcnt vmcnt(0)
	ds_write2_b64 v125, v[73:74], v[75:76] offset0:56 offset1:57
	v_mov_b32_e32 v76, v72
	v_mov_b32_e32 v75, v71
	v_mov_b32_e32 v74, v70
	v_mov_b32_e32 v73, v69
	buffer_load_dword v69, off, s[20:23], 0 ; 4-byte Folded Reload
	buffer_load_dword v70, off, s[20:23], 0 offset:4 ; 4-byte Folded Reload
	buffer_load_dword v71, off, s[20:23], 0 offset:8 ; 4-byte Folded Reload
	;; [unrolled: 1-line block ×3, first 2 shown]
	s_waitcnt vmcnt(0)
	ds_write2_b64 v125, v[69:70], v[71:72] offset0:58 offset1:59
	ds_write2_b64 v125, v[65:66], v[67:68] offset0:60 offset1:61
	;; [unrolled: 1-line block ×19, first 2 shown]
	ds_read2_b64 v[97:100], v127 offset1:1
	s_waitcnt lgkmcnt(0)
	v_cmp_neq_f64_e32 vcc, 0, v[97:98]
	v_cmp_neq_f64_e64 s[2:3], 0, v[99:100]
	s_or_b64 s[2:3], vcc, s[2:3]
	s_and_b64 exec, exec, s[2:3]
	s_cbranch_execz .LBB95_161
; %bb.156:
	v_cmp_ngt_f64_e64 s[2:3], |v[97:98]|, |v[99:100]|
                                        ; implicit-def: $vgpr101_vgpr102
	s_and_saveexec_b64 s[6:7], s[2:3]
	s_xor_b64 s[2:3], exec, s[6:7]
                                        ; implicit-def: $vgpr103_vgpr104
	s_cbranch_execz .LBB95_158
; %bb.157:
	v_div_scale_f64 v[101:102], s[6:7], v[99:100], v[99:100], v[97:98]
	v_rcp_f64_e32 v[103:104], v[101:102]
	v_fma_f64 v[105:106], -v[101:102], v[103:104], 1.0
	v_fma_f64 v[103:104], v[103:104], v[105:106], v[103:104]
	v_div_scale_f64 v[105:106], vcc, v[97:98], v[99:100], v[97:98]
	v_fma_f64 v[107:108], -v[101:102], v[103:104], 1.0
	v_fma_f64 v[103:104], v[103:104], v[107:108], v[103:104]
	v_mul_f64 v[107:108], v[105:106], v[103:104]
	v_fma_f64 v[101:102], -v[101:102], v[107:108], v[105:106]
	v_div_fmas_f64 v[101:102], v[101:102], v[103:104], v[107:108]
	v_div_fixup_f64 v[101:102], v[101:102], v[99:100], v[97:98]
	v_fma_f64 v[97:98], v[97:98], v[101:102], v[99:100]
	v_div_scale_f64 v[99:100], s[6:7], v[97:98], v[97:98], 1.0
	v_div_scale_f64 v[107:108], vcc, 1.0, v[97:98], 1.0
	v_rcp_f64_e32 v[103:104], v[99:100]
	v_fma_f64 v[105:106], -v[99:100], v[103:104], 1.0
	v_fma_f64 v[103:104], v[103:104], v[105:106], v[103:104]
	v_fma_f64 v[105:106], -v[99:100], v[103:104], 1.0
	v_fma_f64 v[103:104], v[103:104], v[105:106], v[103:104]
	v_mul_f64 v[105:106], v[107:108], v[103:104]
	v_fma_f64 v[99:100], -v[99:100], v[105:106], v[107:108]
	v_div_fmas_f64 v[99:100], v[99:100], v[103:104], v[105:106]
	v_div_fixup_f64 v[103:104], v[99:100], v[97:98], 1.0
                                        ; implicit-def: $vgpr97_vgpr98
	v_mul_f64 v[101:102], v[101:102], v[103:104]
	v_xor_b32_e32 v104, 0x80000000, v104
.LBB95_158:
	s_andn2_saveexec_b64 s[2:3], s[2:3]
	s_cbranch_execz .LBB95_160
; %bb.159:
	v_div_scale_f64 v[101:102], s[6:7], v[97:98], v[97:98], v[99:100]
	v_rcp_f64_e32 v[103:104], v[101:102]
	v_fma_f64 v[105:106], -v[101:102], v[103:104], 1.0
	v_fma_f64 v[103:104], v[103:104], v[105:106], v[103:104]
	v_div_scale_f64 v[105:106], vcc, v[99:100], v[97:98], v[99:100]
	v_fma_f64 v[107:108], -v[101:102], v[103:104], 1.0
	v_fma_f64 v[103:104], v[103:104], v[107:108], v[103:104]
	v_mul_f64 v[107:108], v[105:106], v[103:104]
	v_fma_f64 v[101:102], -v[101:102], v[107:108], v[105:106]
	v_div_fmas_f64 v[101:102], v[101:102], v[103:104], v[107:108]
	v_div_fixup_f64 v[103:104], v[101:102], v[97:98], v[99:100]
	v_fma_f64 v[97:98], v[99:100], v[103:104], v[97:98]
	v_div_scale_f64 v[99:100], s[6:7], v[97:98], v[97:98], 1.0
	v_div_scale_f64 v[107:108], vcc, 1.0, v[97:98], 1.0
	v_rcp_f64_e32 v[101:102], v[99:100]
	v_fma_f64 v[105:106], -v[99:100], v[101:102], 1.0
	v_fma_f64 v[101:102], v[101:102], v[105:106], v[101:102]
	v_fma_f64 v[105:106], -v[99:100], v[101:102], 1.0
	v_fma_f64 v[101:102], v[101:102], v[105:106], v[101:102]
	v_mul_f64 v[105:106], v[107:108], v[101:102]
	v_fma_f64 v[99:100], -v[99:100], v[105:106], v[107:108]
	v_div_fmas_f64 v[99:100], v[99:100], v[101:102], v[105:106]
	v_div_fixup_f64 v[101:102], v[99:100], v[97:98], 1.0
	v_mul_f64 v[103:104], v[103:104], -v[101:102]
.LBB95_160:
	s_or_b64 exec, exec, s[2:3]
	ds_write2_b64 v127, v[101:102], v[103:104] offset1:1
.LBB95_161:
	s_or_b64 exec, exec, s[4:5]
	s_waitcnt lgkmcnt(0)
	s_barrier
	ds_read2_b64 v[69:72], v127 offset1:1
	v_cmp_lt_u32_e32 vcc, 17, v0
	s_waitcnt lgkmcnt(0)
	buffer_store_dword v69, off, s[20:23], 0 offset:1048 ; 4-byte Folded Spill
	s_nop 0
	buffer_store_dword v70, off, s[20:23], 0 offset:1052 ; 4-byte Folded Spill
	buffer_store_dword v71, off, s[20:23], 0 offset:1056 ; 4-byte Folded Spill
	;; [unrolled: 1-line block ×3, first 2 shown]
	s_and_saveexec_b64 s[2:3], vcc
	s_cbranch_execz .LBB95_163
; %bb.162:
	buffer_load_dword v103, off, s[20:23], 0 offset:112 ; 4-byte Folded Reload
	buffer_load_dword v104, off, s[20:23], 0 offset:116 ; 4-byte Folded Reload
	;; [unrolled: 1-line block ×8, first 2 shown]
	s_waitcnt vmcnt(2)
	v_mul_f64 v[99:100], v[69:70], v[105:106]
	s_waitcnt vmcnt(0)
	v_mul_f64 v[97:98], v[71:72], v[105:106]
	v_fma_f64 v[105:106], v[71:72], v[103:104], v[99:100]
	ds_read2_b64 v[99:102], v125 offset0:36 offset1:37
	v_fma_f64 v[97:98], v[69:70], v[103:104], -v[97:98]
	buffer_load_dword v69, off, s[20:23], 0 offset:96 ; 4-byte Folded Reload
	buffer_load_dword v70, off, s[20:23], 0 offset:100 ; 4-byte Folded Reload
	buffer_load_dword v71, off, s[20:23], 0 offset:104 ; 4-byte Folded Reload
	buffer_load_dword v72, off, s[20:23], 0 offset:108 ; 4-byte Folded Reload
	s_waitcnt lgkmcnt(0)
	v_mul_f64 v[103:104], v[101:102], v[105:106]
	v_fma_f64 v[103:104], v[99:100], v[97:98], -v[103:104]
	v_mul_f64 v[99:100], v[99:100], v[105:106]
	v_fma_f64 v[99:100], v[101:102], v[97:98], v[99:100]
	s_waitcnt vmcnt(2)
	v_add_f64 v[69:70], v[69:70], -v[103:104]
	s_waitcnt vmcnt(0)
	v_add_f64 v[71:72], v[71:72], -v[99:100]
	buffer_store_dword v69, off, s[20:23], 0 offset:96 ; 4-byte Folded Spill
	s_nop 0
	buffer_store_dword v70, off, s[20:23], 0 offset:100 ; 4-byte Folded Spill
	buffer_store_dword v71, off, s[20:23], 0 offset:104 ; 4-byte Folded Spill
	buffer_store_dword v72, off, s[20:23], 0 offset:108 ; 4-byte Folded Spill
	ds_read2_b64 v[99:102], v125 offset0:38 offset1:39
	buffer_load_dword v69, off, s[20:23], 0 offset:80 ; 4-byte Folded Reload
	buffer_load_dword v70, off, s[20:23], 0 offset:84 ; 4-byte Folded Reload
	buffer_load_dword v71, off, s[20:23], 0 offset:88 ; 4-byte Folded Reload
	buffer_load_dword v72, off, s[20:23], 0 offset:92 ; 4-byte Folded Reload
	s_waitcnt lgkmcnt(0)
	v_mul_f64 v[103:104], v[101:102], v[105:106]
	v_fma_f64 v[103:104], v[99:100], v[97:98], -v[103:104]
	v_mul_f64 v[99:100], v[99:100], v[105:106]
	v_fma_f64 v[99:100], v[101:102], v[97:98], v[99:100]
	s_waitcnt vmcnt(2)
	v_add_f64 v[69:70], v[69:70], -v[103:104]
	s_waitcnt vmcnt(0)
	v_add_f64 v[71:72], v[71:72], -v[99:100]
	buffer_store_dword v69, off, s[20:23], 0 offset:80 ; 4-byte Folded Spill
	s_nop 0
	buffer_store_dword v70, off, s[20:23], 0 offset:84 ; 4-byte Folded Spill
	buffer_store_dword v71, off, s[20:23], 0 offset:88 ; 4-byte Folded Spill
	buffer_store_dword v72, off, s[20:23], 0 offset:92 ; 4-byte Folded Spill
	ds_read2_b64 v[99:102], v125 offset0:40 offset1:41
	;; [unrolled: 19-line block ×4, first 2 shown]
	v_mov_b32_e32 v69, v73
	v_mov_b32_e32 v70, v74
	;; [unrolled: 1-line block ×4, first 2 shown]
	s_waitcnt lgkmcnt(0)
	v_mul_f64 v[103:104], v[101:102], v[105:106]
	v_fma_f64 v[103:104], v[99:100], v[97:98], -v[103:104]
	v_mul_f64 v[99:100], v[99:100], v[105:106]
	v_add_f64 v[121:122], v[121:122], -v[103:104]
	v_fma_f64 v[99:100], v[101:102], v[97:98], v[99:100]
	v_add_f64 v[123:124], v[123:124], -v[99:100]
	ds_read2_b64 v[99:102], v125 offset0:46 offset1:47
	s_waitcnt lgkmcnt(0)
	v_mul_f64 v[103:104], v[101:102], v[105:106]
	v_fma_f64 v[103:104], v[99:100], v[97:98], -v[103:104]
	v_mul_f64 v[99:100], v[99:100], v[105:106]
	v_add_f64 v[117:118], v[117:118], -v[103:104]
	v_fma_f64 v[99:100], v[101:102], v[97:98], v[99:100]
	v_add_f64 v[119:120], v[119:120], -v[99:100]
	ds_read2_b64 v[99:102], v125 offset0:48 offset1:49
	;; [unrolled: 8-line block ×5, first 2 shown]
	buffer_load_dword v77, off, s[20:23], 0 offset:32 ; 4-byte Folded Reload
	buffer_load_dword v78, off, s[20:23], 0 offset:36 ; 4-byte Folded Reload
	;; [unrolled: 1-line block ×4, first 2 shown]
	s_waitcnt lgkmcnt(0)
	v_mul_f64 v[103:104], v[101:102], v[105:106]
	v_fma_f64 v[103:104], v[99:100], v[97:98], -v[103:104]
	v_mul_f64 v[99:100], v[99:100], v[105:106]
	v_fma_f64 v[99:100], v[101:102], v[97:98], v[99:100]
	s_waitcnt vmcnt(2)
	v_add_f64 v[77:78], v[77:78], -v[103:104]
	s_waitcnt vmcnt(0)
	v_add_f64 v[79:80], v[79:80], -v[99:100]
	buffer_store_dword v77, off, s[20:23], 0 offset:32 ; 4-byte Folded Spill
	s_nop 0
	buffer_store_dword v78, off, s[20:23], 0 offset:36 ; 4-byte Folded Spill
	buffer_store_dword v79, off, s[20:23], 0 offset:40 ; 4-byte Folded Spill
	;; [unrolled: 1-line block ×3, first 2 shown]
	ds_read2_b64 v[99:102], v125 offset0:56 offset1:57
	buffer_load_dword v73, off, s[20:23], 0 offset:16 ; 4-byte Folded Reload
	buffer_load_dword v74, off, s[20:23], 0 offset:20 ; 4-byte Folded Reload
	buffer_load_dword v75, off, s[20:23], 0 offset:24 ; 4-byte Folded Reload
	buffer_load_dword v76, off, s[20:23], 0 offset:28 ; 4-byte Folded Reload
	s_waitcnt lgkmcnt(0)
	v_mul_f64 v[103:104], v[101:102], v[105:106]
	v_fma_f64 v[103:104], v[99:100], v[97:98], -v[103:104]
	v_mul_f64 v[99:100], v[99:100], v[105:106]
	v_fma_f64 v[99:100], v[101:102], v[97:98], v[99:100]
	s_waitcnt vmcnt(2)
	v_add_f64 v[73:74], v[73:74], -v[103:104]
	s_waitcnt vmcnt(0)
	v_add_f64 v[75:76], v[75:76], -v[99:100]
	buffer_store_dword v73, off, s[20:23], 0 offset:16 ; 4-byte Folded Spill
	s_nop 0
	buffer_store_dword v74, off, s[20:23], 0 offset:20 ; 4-byte Folded Spill
	buffer_store_dword v75, off, s[20:23], 0 offset:24 ; 4-byte Folded Spill
	;; [unrolled: 1-line block ×3, first 2 shown]
	v_mov_b32_e32 v76, v72
	v_mov_b32_e32 v75, v71
	;; [unrolled: 1-line block ×4, first 2 shown]
	ds_read2_b64 v[99:102], v125 offset0:58 offset1:59
	buffer_load_dword v69, off, s[20:23], 0 ; 4-byte Folded Reload
	buffer_load_dword v70, off, s[20:23], 0 offset:4 ; 4-byte Folded Reload
	buffer_load_dword v71, off, s[20:23], 0 offset:8 ; 4-byte Folded Reload
	;; [unrolled: 1-line block ×3, first 2 shown]
	s_waitcnt lgkmcnt(0)
	v_mul_f64 v[103:104], v[101:102], v[105:106]
	v_fma_f64 v[103:104], v[99:100], v[97:98], -v[103:104]
	v_mul_f64 v[99:100], v[99:100], v[105:106]
	v_fma_f64 v[99:100], v[101:102], v[97:98], v[99:100]
	s_waitcnt vmcnt(2)
	v_add_f64 v[69:70], v[69:70], -v[103:104]
	s_waitcnt vmcnt(0)
	v_add_f64 v[71:72], v[71:72], -v[99:100]
	buffer_store_dword v69, off, s[20:23], 0 ; 4-byte Folded Spill
	s_nop 0
	buffer_store_dword v70, off, s[20:23], 0 offset:4 ; 4-byte Folded Spill
	buffer_store_dword v71, off, s[20:23], 0 offset:8 ; 4-byte Folded Spill
	;; [unrolled: 1-line block ×3, first 2 shown]
	ds_read2_b64 v[99:102], v125 offset0:60 offset1:61
	s_waitcnt lgkmcnt(0)
	v_mul_f64 v[103:104], v[101:102], v[105:106]
	v_fma_f64 v[103:104], v[99:100], v[97:98], -v[103:104]
	v_mul_f64 v[99:100], v[99:100], v[105:106]
	v_add_f64 v[65:66], v[65:66], -v[103:104]
	v_fma_f64 v[99:100], v[101:102], v[97:98], v[99:100]
	v_add_f64 v[67:68], v[67:68], -v[99:100]
	ds_read2_b64 v[99:102], v125 offset0:62 offset1:63
	s_waitcnt lgkmcnt(0)
	v_mul_f64 v[103:104], v[101:102], v[105:106]
	v_fma_f64 v[103:104], v[99:100], v[97:98], -v[103:104]
	v_mul_f64 v[99:100], v[99:100], v[105:106]
	v_add_f64 v[61:62], v[61:62], -v[103:104]
	v_fma_f64 v[99:100], v[101:102], v[97:98], v[99:100]
	v_add_f64 v[63:64], v[63:64], -v[99:100]
	;; [unrolled: 8-line block ×17, first 2 shown]
	ds_read2_b64 v[99:102], v125 offset0:94 offset1:95
	s_waitcnt lgkmcnt(0)
	v_mul_f64 v[103:104], v[101:102], v[105:106]
	v_fma_f64 v[103:104], v[99:100], v[97:98], -v[103:104]
	v_mul_f64 v[99:100], v[99:100], v[105:106]
	v_add_f64 v[73:74], v[73:74], -v[103:104]
	v_fma_f64 v[99:100], v[101:102], v[97:98], v[99:100]
	v_mov_b32_e32 v104, v98
	v_mov_b32_e32 v103, v97
	buffer_store_dword v103, off, s[20:23], 0 offset:112 ; 4-byte Folded Spill
	s_nop 0
	buffer_store_dword v104, off, s[20:23], 0 offset:116 ; 4-byte Folded Spill
	buffer_store_dword v105, off, s[20:23], 0 offset:120 ; 4-byte Folded Spill
	;; [unrolled: 1-line block ×3, first 2 shown]
	v_add_f64 v[75:76], v[75:76], -v[99:100]
.LBB95_163:
	s_or_b64 exec, exec, s[2:3]
	v_cmp_eq_u32_e32 vcc, 18, v0
	s_waitcnt vmcnt(0)
	s_barrier
	s_and_saveexec_b64 s[4:5], vcc
	s_cbranch_execz .LBB95_170
; %bb.164:
	buffer_load_dword v69, off, s[20:23], 0 offset:96 ; 4-byte Folded Reload
	buffer_load_dword v70, off, s[20:23], 0 offset:100 ; 4-byte Folded Reload
	;; [unrolled: 1-line block ×4, first 2 shown]
	s_waitcnt vmcnt(0)
	ds_write2_b64 v127, v[69:70], v[71:72] offset1:1
	buffer_load_dword v69, off, s[20:23], 0 offset:80 ; 4-byte Folded Reload
	buffer_load_dword v70, off, s[20:23], 0 offset:84 ; 4-byte Folded Reload
	buffer_load_dword v71, off, s[20:23], 0 offset:88 ; 4-byte Folded Reload
	buffer_load_dword v72, off, s[20:23], 0 offset:92 ; 4-byte Folded Reload
	s_waitcnt vmcnt(0)
	ds_write2_b64 v125, v[69:70], v[71:72] offset0:38 offset1:39
	buffer_load_dword v69, off, s[20:23], 0 offset:64 ; 4-byte Folded Reload
	buffer_load_dword v70, off, s[20:23], 0 offset:68 ; 4-byte Folded Reload
	buffer_load_dword v71, off, s[20:23], 0 offset:72 ; 4-byte Folded Reload
	buffer_load_dword v72, off, s[20:23], 0 offset:76 ; 4-byte Folded Reload
	s_waitcnt vmcnt(0)
	ds_write2_b64 v125, v[69:70], v[71:72] offset0:40 offset1:41
	;; [unrolled: 6-line block ×3, first 2 shown]
	ds_write2_b64 v125, v[121:122], v[123:124] offset0:44 offset1:45
	ds_write2_b64 v125, v[117:118], v[119:120] offset0:46 offset1:47
	;; [unrolled: 1-line block ×5, first 2 shown]
	buffer_load_dword v77, off, s[20:23], 0 offset:32 ; 4-byte Folded Reload
	buffer_load_dword v78, off, s[20:23], 0 offset:36 ; 4-byte Folded Reload
	;; [unrolled: 1-line block ×4, first 2 shown]
	v_mov_b32_e32 v69, v73
	v_mov_b32_e32 v70, v74
	;; [unrolled: 1-line block ×4, first 2 shown]
	s_waitcnt vmcnt(0)
	ds_write2_b64 v125, v[77:78], v[79:80] offset0:54 offset1:55
	buffer_load_dword v73, off, s[20:23], 0 offset:16 ; 4-byte Folded Reload
	buffer_load_dword v74, off, s[20:23], 0 offset:20 ; 4-byte Folded Reload
	;; [unrolled: 1-line block ×4, first 2 shown]
	s_waitcnt vmcnt(0)
	ds_write2_b64 v125, v[73:74], v[75:76] offset0:56 offset1:57
	v_mov_b32_e32 v76, v72
	v_mov_b32_e32 v75, v71
	v_mov_b32_e32 v74, v70
	v_mov_b32_e32 v73, v69
	buffer_load_dword v69, off, s[20:23], 0 ; 4-byte Folded Reload
	buffer_load_dword v70, off, s[20:23], 0 offset:4 ; 4-byte Folded Reload
	buffer_load_dword v71, off, s[20:23], 0 offset:8 ; 4-byte Folded Reload
	;; [unrolled: 1-line block ×3, first 2 shown]
	s_waitcnt vmcnt(0)
	ds_write2_b64 v125, v[69:70], v[71:72] offset0:58 offset1:59
	ds_write2_b64 v125, v[65:66], v[67:68] offset0:60 offset1:61
	;; [unrolled: 1-line block ×19, first 2 shown]
	ds_read2_b64 v[97:100], v127 offset1:1
	s_waitcnt lgkmcnt(0)
	v_cmp_neq_f64_e32 vcc, 0, v[97:98]
	v_cmp_neq_f64_e64 s[2:3], 0, v[99:100]
	s_or_b64 s[2:3], vcc, s[2:3]
	s_and_b64 exec, exec, s[2:3]
	s_cbranch_execz .LBB95_170
; %bb.165:
	v_cmp_ngt_f64_e64 s[2:3], |v[97:98]|, |v[99:100]|
                                        ; implicit-def: $vgpr101_vgpr102
	s_and_saveexec_b64 s[6:7], s[2:3]
	s_xor_b64 s[2:3], exec, s[6:7]
                                        ; implicit-def: $vgpr103_vgpr104
	s_cbranch_execz .LBB95_167
; %bb.166:
	v_div_scale_f64 v[101:102], s[6:7], v[99:100], v[99:100], v[97:98]
	v_rcp_f64_e32 v[103:104], v[101:102]
	v_fma_f64 v[105:106], -v[101:102], v[103:104], 1.0
	v_fma_f64 v[103:104], v[103:104], v[105:106], v[103:104]
	v_div_scale_f64 v[105:106], vcc, v[97:98], v[99:100], v[97:98]
	v_fma_f64 v[107:108], -v[101:102], v[103:104], 1.0
	v_fma_f64 v[103:104], v[103:104], v[107:108], v[103:104]
	v_mul_f64 v[107:108], v[105:106], v[103:104]
	v_fma_f64 v[101:102], -v[101:102], v[107:108], v[105:106]
	v_div_fmas_f64 v[101:102], v[101:102], v[103:104], v[107:108]
	v_div_fixup_f64 v[101:102], v[101:102], v[99:100], v[97:98]
	v_fma_f64 v[97:98], v[97:98], v[101:102], v[99:100]
	v_div_scale_f64 v[99:100], s[6:7], v[97:98], v[97:98], 1.0
	v_div_scale_f64 v[107:108], vcc, 1.0, v[97:98], 1.0
	v_rcp_f64_e32 v[103:104], v[99:100]
	v_fma_f64 v[105:106], -v[99:100], v[103:104], 1.0
	v_fma_f64 v[103:104], v[103:104], v[105:106], v[103:104]
	v_fma_f64 v[105:106], -v[99:100], v[103:104], 1.0
	v_fma_f64 v[103:104], v[103:104], v[105:106], v[103:104]
	v_mul_f64 v[105:106], v[107:108], v[103:104]
	v_fma_f64 v[99:100], -v[99:100], v[105:106], v[107:108]
	v_div_fmas_f64 v[99:100], v[99:100], v[103:104], v[105:106]
	v_div_fixup_f64 v[103:104], v[99:100], v[97:98], 1.0
                                        ; implicit-def: $vgpr97_vgpr98
	v_mul_f64 v[101:102], v[101:102], v[103:104]
	v_xor_b32_e32 v104, 0x80000000, v104
.LBB95_167:
	s_andn2_saveexec_b64 s[2:3], s[2:3]
	s_cbranch_execz .LBB95_169
; %bb.168:
	v_div_scale_f64 v[101:102], s[6:7], v[97:98], v[97:98], v[99:100]
	v_rcp_f64_e32 v[103:104], v[101:102]
	v_fma_f64 v[105:106], -v[101:102], v[103:104], 1.0
	v_fma_f64 v[103:104], v[103:104], v[105:106], v[103:104]
	v_div_scale_f64 v[105:106], vcc, v[99:100], v[97:98], v[99:100]
	v_fma_f64 v[107:108], -v[101:102], v[103:104], 1.0
	v_fma_f64 v[103:104], v[103:104], v[107:108], v[103:104]
	v_mul_f64 v[107:108], v[105:106], v[103:104]
	v_fma_f64 v[101:102], -v[101:102], v[107:108], v[105:106]
	v_div_fmas_f64 v[101:102], v[101:102], v[103:104], v[107:108]
	v_div_fixup_f64 v[103:104], v[101:102], v[97:98], v[99:100]
	v_fma_f64 v[97:98], v[99:100], v[103:104], v[97:98]
	v_div_scale_f64 v[99:100], s[6:7], v[97:98], v[97:98], 1.0
	v_div_scale_f64 v[107:108], vcc, 1.0, v[97:98], 1.0
	v_rcp_f64_e32 v[101:102], v[99:100]
	v_fma_f64 v[105:106], -v[99:100], v[101:102], 1.0
	v_fma_f64 v[101:102], v[101:102], v[105:106], v[101:102]
	v_fma_f64 v[105:106], -v[99:100], v[101:102], 1.0
	v_fma_f64 v[101:102], v[101:102], v[105:106], v[101:102]
	v_mul_f64 v[105:106], v[107:108], v[101:102]
	v_fma_f64 v[99:100], -v[99:100], v[105:106], v[107:108]
	v_div_fmas_f64 v[99:100], v[99:100], v[101:102], v[105:106]
	v_div_fixup_f64 v[101:102], v[99:100], v[97:98], 1.0
	v_mul_f64 v[103:104], v[103:104], -v[101:102]
.LBB95_169:
	s_or_b64 exec, exec, s[2:3]
	ds_write2_b64 v127, v[101:102], v[103:104] offset1:1
.LBB95_170:
	s_or_b64 exec, exec, s[4:5]
	s_waitcnt lgkmcnt(0)
	s_barrier
	ds_read2_b64 v[69:72], v127 offset1:1
	v_cmp_lt_u32_e32 vcc, 18, v0
	s_waitcnt lgkmcnt(0)
	buffer_store_dword v69, off, s[20:23], 0 offset:1064 ; 4-byte Folded Spill
	s_nop 0
	buffer_store_dword v70, off, s[20:23], 0 offset:1068 ; 4-byte Folded Spill
	buffer_store_dword v71, off, s[20:23], 0 offset:1072 ; 4-byte Folded Spill
	;; [unrolled: 1-line block ×3, first 2 shown]
	s_and_saveexec_b64 s[2:3], vcc
	s_cbranch_execz .LBB95_172
; %bb.171:
	buffer_load_dword v103, off, s[20:23], 0 offset:96 ; 4-byte Folded Reload
	buffer_load_dword v104, off, s[20:23], 0 offset:100 ; 4-byte Folded Reload
	;; [unrolled: 1-line block ×8, first 2 shown]
	s_waitcnt vmcnt(2)
	v_mul_f64 v[99:100], v[69:70], v[105:106]
	s_waitcnt vmcnt(0)
	v_mul_f64 v[97:98], v[71:72], v[105:106]
	v_fma_f64 v[105:106], v[71:72], v[103:104], v[99:100]
	ds_read2_b64 v[99:102], v125 offset0:38 offset1:39
	v_fma_f64 v[97:98], v[69:70], v[103:104], -v[97:98]
	buffer_load_dword v69, off, s[20:23], 0 offset:80 ; 4-byte Folded Reload
	buffer_load_dword v70, off, s[20:23], 0 offset:84 ; 4-byte Folded Reload
	buffer_load_dword v71, off, s[20:23], 0 offset:88 ; 4-byte Folded Reload
	buffer_load_dword v72, off, s[20:23], 0 offset:92 ; 4-byte Folded Reload
	s_waitcnt lgkmcnt(0)
	v_mul_f64 v[103:104], v[101:102], v[105:106]
	v_fma_f64 v[103:104], v[99:100], v[97:98], -v[103:104]
	v_mul_f64 v[99:100], v[99:100], v[105:106]
	v_fma_f64 v[99:100], v[101:102], v[97:98], v[99:100]
	s_waitcnt vmcnt(2)
	v_add_f64 v[69:70], v[69:70], -v[103:104]
	s_waitcnt vmcnt(0)
	v_add_f64 v[71:72], v[71:72], -v[99:100]
	buffer_store_dword v69, off, s[20:23], 0 offset:80 ; 4-byte Folded Spill
	s_nop 0
	buffer_store_dword v70, off, s[20:23], 0 offset:84 ; 4-byte Folded Spill
	buffer_store_dword v71, off, s[20:23], 0 offset:88 ; 4-byte Folded Spill
	buffer_store_dword v72, off, s[20:23], 0 offset:92 ; 4-byte Folded Spill
	ds_read2_b64 v[99:102], v125 offset0:40 offset1:41
	buffer_load_dword v69, off, s[20:23], 0 offset:64 ; 4-byte Folded Reload
	buffer_load_dword v70, off, s[20:23], 0 offset:68 ; 4-byte Folded Reload
	buffer_load_dword v71, off, s[20:23], 0 offset:72 ; 4-byte Folded Reload
	buffer_load_dword v72, off, s[20:23], 0 offset:76 ; 4-byte Folded Reload
	s_waitcnt lgkmcnt(0)
	v_mul_f64 v[103:104], v[101:102], v[105:106]
	v_fma_f64 v[103:104], v[99:100], v[97:98], -v[103:104]
	v_mul_f64 v[99:100], v[99:100], v[105:106]
	v_fma_f64 v[99:100], v[101:102], v[97:98], v[99:100]
	s_waitcnt vmcnt(2)
	v_add_f64 v[69:70], v[69:70], -v[103:104]
	s_waitcnt vmcnt(0)
	v_add_f64 v[71:72], v[71:72], -v[99:100]
	buffer_store_dword v69, off, s[20:23], 0 offset:64 ; 4-byte Folded Spill
	s_nop 0
	buffer_store_dword v70, off, s[20:23], 0 offset:68 ; 4-byte Folded Spill
	buffer_store_dword v71, off, s[20:23], 0 offset:72 ; 4-byte Folded Spill
	buffer_store_dword v72, off, s[20:23], 0 offset:76 ; 4-byte Folded Spill
	ds_read2_b64 v[99:102], v125 offset0:42 offset1:43
	;; [unrolled: 19-line block ×3, first 2 shown]
	v_mov_b32_e32 v69, v73
	v_mov_b32_e32 v70, v74
	;; [unrolled: 1-line block ×4, first 2 shown]
	s_waitcnt lgkmcnt(0)
	v_mul_f64 v[103:104], v[101:102], v[105:106]
	v_fma_f64 v[103:104], v[99:100], v[97:98], -v[103:104]
	v_mul_f64 v[99:100], v[99:100], v[105:106]
	v_add_f64 v[121:122], v[121:122], -v[103:104]
	v_fma_f64 v[99:100], v[101:102], v[97:98], v[99:100]
	v_add_f64 v[123:124], v[123:124], -v[99:100]
	ds_read2_b64 v[99:102], v125 offset0:46 offset1:47
	s_waitcnt lgkmcnt(0)
	v_mul_f64 v[103:104], v[101:102], v[105:106]
	v_fma_f64 v[103:104], v[99:100], v[97:98], -v[103:104]
	v_mul_f64 v[99:100], v[99:100], v[105:106]
	v_add_f64 v[117:118], v[117:118], -v[103:104]
	v_fma_f64 v[99:100], v[101:102], v[97:98], v[99:100]
	v_add_f64 v[119:120], v[119:120], -v[99:100]
	ds_read2_b64 v[99:102], v125 offset0:48 offset1:49
	;; [unrolled: 8-line block ×5, first 2 shown]
	buffer_load_dword v77, off, s[20:23], 0 offset:32 ; 4-byte Folded Reload
	buffer_load_dword v78, off, s[20:23], 0 offset:36 ; 4-byte Folded Reload
	;; [unrolled: 1-line block ×4, first 2 shown]
	s_waitcnt lgkmcnt(0)
	v_mul_f64 v[103:104], v[101:102], v[105:106]
	v_fma_f64 v[103:104], v[99:100], v[97:98], -v[103:104]
	v_mul_f64 v[99:100], v[99:100], v[105:106]
	v_fma_f64 v[99:100], v[101:102], v[97:98], v[99:100]
	s_waitcnt vmcnt(2)
	v_add_f64 v[77:78], v[77:78], -v[103:104]
	s_waitcnt vmcnt(0)
	v_add_f64 v[79:80], v[79:80], -v[99:100]
	buffer_store_dword v77, off, s[20:23], 0 offset:32 ; 4-byte Folded Spill
	s_nop 0
	buffer_store_dword v78, off, s[20:23], 0 offset:36 ; 4-byte Folded Spill
	buffer_store_dword v79, off, s[20:23], 0 offset:40 ; 4-byte Folded Spill
	;; [unrolled: 1-line block ×3, first 2 shown]
	ds_read2_b64 v[99:102], v125 offset0:56 offset1:57
	buffer_load_dword v73, off, s[20:23], 0 offset:16 ; 4-byte Folded Reload
	buffer_load_dword v74, off, s[20:23], 0 offset:20 ; 4-byte Folded Reload
	;; [unrolled: 1-line block ×4, first 2 shown]
	s_waitcnt lgkmcnt(0)
	v_mul_f64 v[103:104], v[101:102], v[105:106]
	v_fma_f64 v[103:104], v[99:100], v[97:98], -v[103:104]
	v_mul_f64 v[99:100], v[99:100], v[105:106]
	v_fma_f64 v[99:100], v[101:102], v[97:98], v[99:100]
	s_waitcnt vmcnt(2)
	v_add_f64 v[73:74], v[73:74], -v[103:104]
	s_waitcnt vmcnt(0)
	v_add_f64 v[75:76], v[75:76], -v[99:100]
	buffer_store_dword v73, off, s[20:23], 0 offset:16 ; 4-byte Folded Spill
	s_nop 0
	buffer_store_dword v74, off, s[20:23], 0 offset:20 ; 4-byte Folded Spill
	buffer_store_dword v75, off, s[20:23], 0 offset:24 ; 4-byte Folded Spill
	;; [unrolled: 1-line block ×3, first 2 shown]
	v_mov_b32_e32 v76, v72
	v_mov_b32_e32 v75, v71
	;; [unrolled: 1-line block ×4, first 2 shown]
	ds_read2_b64 v[99:102], v125 offset0:58 offset1:59
	buffer_load_dword v69, off, s[20:23], 0 ; 4-byte Folded Reload
	buffer_load_dword v70, off, s[20:23], 0 offset:4 ; 4-byte Folded Reload
	buffer_load_dword v71, off, s[20:23], 0 offset:8 ; 4-byte Folded Reload
	;; [unrolled: 1-line block ×3, first 2 shown]
	s_waitcnt lgkmcnt(0)
	v_mul_f64 v[103:104], v[101:102], v[105:106]
	v_fma_f64 v[103:104], v[99:100], v[97:98], -v[103:104]
	v_mul_f64 v[99:100], v[99:100], v[105:106]
	v_fma_f64 v[99:100], v[101:102], v[97:98], v[99:100]
	s_waitcnt vmcnt(2)
	v_add_f64 v[69:70], v[69:70], -v[103:104]
	s_waitcnt vmcnt(0)
	v_add_f64 v[71:72], v[71:72], -v[99:100]
	buffer_store_dword v69, off, s[20:23], 0 ; 4-byte Folded Spill
	s_nop 0
	buffer_store_dword v70, off, s[20:23], 0 offset:4 ; 4-byte Folded Spill
	buffer_store_dword v71, off, s[20:23], 0 offset:8 ; 4-byte Folded Spill
	;; [unrolled: 1-line block ×3, first 2 shown]
	ds_read2_b64 v[99:102], v125 offset0:60 offset1:61
	s_waitcnt lgkmcnt(0)
	v_mul_f64 v[103:104], v[101:102], v[105:106]
	v_fma_f64 v[103:104], v[99:100], v[97:98], -v[103:104]
	v_mul_f64 v[99:100], v[99:100], v[105:106]
	v_add_f64 v[65:66], v[65:66], -v[103:104]
	v_fma_f64 v[99:100], v[101:102], v[97:98], v[99:100]
	v_add_f64 v[67:68], v[67:68], -v[99:100]
	ds_read2_b64 v[99:102], v125 offset0:62 offset1:63
	s_waitcnt lgkmcnt(0)
	v_mul_f64 v[103:104], v[101:102], v[105:106]
	v_fma_f64 v[103:104], v[99:100], v[97:98], -v[103:104]
	v_mul_f64 v[99:100], v[99:100], v[105:106]
	v_add_f64 v[61:62], v[61:62], -v[103:104]
	v_fma_f64 v[99:100], v[101:102], v[97:98], v[99:100]
	v_add_f64 v[63:64], v[63:64], -v[99:100]
	ds_read2_b64 v[99:102], v125 offset0:64 offset1:65
	s_waitcnt lgkmcnt(0)
	v_mul_f64 v[103:104], v[101:102], v[105:106]
	v_fma_f64 v[103:104], v[99:100], v[97:98], -v[103:104]
	v_mul_f64 v[99:100], v[99:100], v[105:106]
	v_add_f64 v[57:58], v[57:58], -v[103:104]
	v_fma_f64 v[99:100], v[101:102], v[97:98], v[99:100]
	v_add_f64 v[59:60], v[59:60], -v[99:100]
	ds_read2_b64 v[99:102], v125 offset0:66 offset1:67
	s_waitcnt lgkmcnt(0)
	v_mul_f64 v[103:104], v[101:102], v[105:106]
	v_fma_f64 v[103:104], v[99:100], v[97:98], -v[103:104]
	v_mul_f64 v[99:100], v[99:100], v[105:106]
	v_add_f64 v[53:54], v[53:54], -v[103:104]
	v_fma_f64 v[99:100], v[101:102], v[97:98], v[99:100]
	v_add_f64 v[55:56], v[55:56], -v[99:100]
	ds_read2_b64 v[99:102], v125 offset0:68 offset1:69
	s_waitcnt lgkmcnt(0)
	v_mul_f64 v[103:104], v[101:102], v[105:106]
	v_fma_f64 v[103:104], v[99:100], v[97:98], -v[103:104]
	v_mul_f64 v[99:100], v[99:100], v[105:106]
	v_add_f64 v[49:50], v[49:50], -v[103:104]
	v_fma_f64 v[99:100], v[101:102], v[97:98], v[99:100]
	v_add_f64 v[51:52], v[51:52], -v[99:100]
	ds_read2_b64 v[99:102], v125 offset0:70 offset1:71
	s_waitcnt lgkmcnt(0)
	v_mul_f64 v[103:104], v[101:102], v[105:106]
	v_fma_f64 v[103:104], v[99:100], v[97:98], -v[103:104]
	v_mul_f64 v[99:100], v[99:100], v[105:106]
	v_add_f64 v[45:46], v[45:46], -v[103:104]
	v_fma_f64 v[99:100], v[101:102], v[97:98], v[99:100]
	v_add_f64 v[47:48], v[47:48], -v[99:100]
	ds_read2_b64 v[99:102], v125 offset0:72 offset1:73
	s_waitcnt lgkmcnt(0)
	v_mul_f64 v[103:104], v[101:102], v[105:106]
	v_fma_f64 v[103:104], v[99:100], v[97:98], -v[103:104]
	v_mul_f64 v[99:100], v[99:100], v[105:106]
	v_add_f64 v[41:42], v[41:42], -v[103:104]
	v_fma_f64 v[99:100], v[101:102], v[97:98], v[99:100]
	v_add_f64 v[43:44], v[43:44], -v[99:100]
	ds_read2_b64 v[99:102], v125 offset0:74 offset1:75
	s_waitcnt lgkmcnt(0)
	v_mul_f64 v[103:104], v[101:102], v[105:106]
	v_fma_f64 v[103:104], v[99:100], v[97:98], -v[103:104]
	v_mul_f64 v[99:100], v[99:100], v[105:106]
	v_add_f64 v[37:38], v[37:38], -v[103:104]
	v_fma_f64 v[99:100], v[101:102], v[97:98], v[99:100]
	v_add_f64 v[39:40], v[39:40], -v[99:100]
	ds_read2_b64 v[99:102], v125 offset0:76 offset1:77
	s_waitcnt lgkmcnt(0)
	v_mul_f64 v[103:104], v[101:102], v[105:106]
	v_fma_f64 v[103:104], v[99:100], v[97:98], -v[103:104]
	v_mul_f64 v[99:100], v[99:100], v[105:106]
	v_add_f64 v[33:34], v[33:34], -v[103:104]
	v_fma_f64 v[99:100], v[101:102], v[97:98], v[99:100]
	v_add_f64 v[35:36], v[35:36], -v[99:100]
	ds_read2_b64 v[99:102], v125 offset0:78 offset1:79
	s_waitcnt lgkmcnt(0)
	v_mul_f64 v[103:104], v[101:102], v[105:106]
	v_fma_f64 v[103:104], v[99:100], v[97:98], -v[103:104]
	v_mul_f64 v[99:100], v[99:100], v[105:106]
	v_add_f64 v[29:30], v[29:30], -v[103:104]
	v_fma_f64 v[99:100], v[101:102], v[97:98], v[99:100]
	v_add_f64 v[31:32], v[31:32], -v[99:100]
	ds_read2_b64 v[99:102], v125 offset0:80 offset1:81
	s_waitcnt lgkmcnt(0)
	v_mul_f64 v[103:104], v[101:102], v[105:106]
	v_fma_f64 v[103:104], v[99:100], v[97:98], -v[103:104]
	v_mul_f64 v[99:100], v[99:100], v[105:106]
	v_add_f64 v[25:26], v[25:26], -v[103:104]
	v_fma_f64 v[99:100], v[101:102], v[97:98], v[99:100]
	v_add_f64 v[27:28], v[27:28], -v[99:100]
	ds_read2_b64 v[99:102], v125 offset0:82 offset1:83
	s_waitcnt lgkmcnt(0)
	v_mul_f64 v[103:104], v[101:102], v[105:106]
	v_fma_f64 v[103:104], v[99:100], v[97:98], -v[103:104]
	v_mul_f64 v[99:100], v[99:100], v[105:106]
	v_add_f64 v[21:22], v[21:22], -v[103:104]
	v_fma_f64 v[99:100], v[101:102], v[97:98], v[99:100]
	v_add_f64 v[23:24], v[23:24], -v[99:100]
	ds_read2_b64 v[99:102], v125 offset0:84 offset1:85
	s_waitcnt lgkmcnt(0)
	v_mul_f64 v[103:104], v[101:102], v[105:106]
	v_fma_f64 v[103:104], v[99:100], v[97:98], -v[103:104]
	v_mul_f64 v[99:100], v[99:100], v[105:106]
	v_add_f64 v[17:18], v[17:18], -v[103:104]
	v_fma_f64 v[99:100], v[101:102], v[97:98], v[99:100]
	v_add_f64 v[19:20], v[19:20], -v[99:100]
	ds_read2_b64 v[99:102], v125 offset0:86 offset1:87
	s_waitcnt lgkmcnt(0)
	v_mul_f64 v[103:104], v[101:102], v[105:106]
	v_fma_f64 v[103:104], v[99:100], v[97:98], -v[103:104]
	v_mul_f64 v[99:100], v[99:100], v[105:106]
	v_add_f64 v[13:14], v[13:14], -v[103:104]
	v_fma_f64 v[99:100], v[101:102], v[97:98], v[99:100]
	v_add_f64 v[15:16], v[15:16], -v[99:100]
	ds_read2_b64 v[99:102], v125 offset0:88 offset1:89
	s_waitcnt lgkmcnt(0)
	v_mul_f64 v[103:104], v[101:102], v[105:106]
	v_fma_f64 v[103:104], v[99:100], v[97:98], -v[103:104]
	v_mul_f64 v[99:100], v[99:100], v[105:106]
	v_add_f64 v[9:10], v[9:10], -v[103:104]
	v_fma_f64 v[99:100], v[101:102], v[97:98], v[99:100]
	v_add_f64 v[11:12], v[11:12], -v[99:100]
	ds_read2_b64 v[99:102], v125 offset0:90 offset1:91
	s_waitcnt lgkmcnt(0)
	v_mul_f64 v[103:104], v[101:102], v[105:106]
	v_fma_f64 v[103:104], v[99:100], v[97:98], -v[103:104]
	v_mul_f64 v[99:100], v[99:100], v[105:106]
	v_add_f64 v[5:6], v[5:6], -v[103:104]
	v_fma_f64 v[99:100], v[101:102], v[97:98], v[99:100]
	v_add_f64 v[7:8], v[7:8], -v[99:100]
	ds_read2_b64 v[99:102], v125 offset0:92 offset1:93
	s_waitcnt lgkmcnt(0)
	v_mul_f64 v[103:104], v[101:102], v[105:106]
	v_fma_f64 v[103:104], v[99:100], v[97:98], -v[103:104]
	v_mul_f64 v[99:100], v[99:100], v[105:106]
	v_add_f64 v[1:2], v[1:2], -v[103:104]
	v_fma_f64 v[99:100], v[101:102], v[97:98], v[99:100]
	v_add_f64 v[3:4], v[3:4], -v[99:100]
	ds_read2_b64 v[99:102], v125 offset0:94 offset1:95
	s_waitcnt lgkmcnt(0)
	v_mul_f64 v[103:104], v[101:102], v[105:106]
	v_fma_f64 v[103:104], v[99:100], v[97:98], -v[103:104]
	v_mul_f64 v[99:100], v[99:100], v[105:106]
	v_add_f64 v[73:74], v[73:74], -v[103:104]
	v_fma_f64 v[99:100], v[101:102], v[97:98], v[99:100]
	v_mov_b32_e32 v104, v98
	v_mov_b32_e32 v103, v97
	buffer_store_dword v103, off, s[20:23], 0 offset:96 ; 4-byte Folded Spill
	s_nop 0
	buffer_store_dword v104, off, s[20:23], 0 offset:100 ; 4-byte Folded Spill
	buffer_store_dword v105, off, s[20:23], 0 offset:104 ; 4-byte Folded Spill
	;; [unrolled: 1-line block ×3, first 2 shown]
	v_add_f64 v[75:76], v[75:76], -v[99:100]
.LBB95_172:
	s_or_b64 exec, exec, s[2:3]
	v_cmp_eq_u32_e32 vcc, 19, v0
	s_waitcnt vmcnt(0)
	s_barrier
	s_and_saveexec_b64 s[4:5], vcc
	s_cbranch_execz .LBB95_179
; %bb.173:
	buffer_load_dword v69, off, s[20:23], 0 offset:80 ; 4-byte Folded Reload
	buffer_load_dword v70, off, s[20:23], 0 offset:84 ; 4-byte Folded Reload
	;; [unrolled: 1-line block ×4, first 2 shown]
	s_waitcnt vmcnt(0)
	ds_write2_b64 v127, v[69:70], v[71:72] offset1:1
	buffer_load_dword v69, off, s[20:23], 0 offset:64 ; 4-byte Folded Reload
	buffer_load_dword v70, off, s[20:23], 0 offset:68 ; 4-byte Folded Reload
	;; [unrolled: 1-line block ×4, first 2 shown]
	s_waitcnt vmcnt(0)
	ds_write2_b64 v125, v[69:70], v[71:72] offset0:40 offset1:41
	buffer_load_dword v69, off, s[20:23], 0 offset:48 ; 4-byte Folded Reload
	buffer_load_dword v70, off, s[20:23], 0 offset:52 ; 4-byte Folded Reload
	;; [unrolled: 1-line block ×4, first 2 shown]
	s_waitcnt vmcnt(0)
	ds_write2_b64 v125, v[69:70], v[71:72] offset0:42 offset1:43
	ds_write2_b64 v125, v[121:122], v[123:124] offset0:44 offset1:45
	ds_write2_b64 v125, v[117:118], v[119:120] offset0:46 offset1:47
	ds_write2_b64 v125, v[109:110], v[111:112] offset0:48 offset1:49
	ds_write2_b64 v125, v[113:114], v[115:116] offset0:50 offset1:51
	ds_write2_b64 v125, v[93:94], v[95:96] offset0:52 offset1:53
	buffer_load_dword v77, off, s[20:23], 0 offset:32 ; 4-byte Folded Reload
	buffer_load_dword v78, off, s[20:23], 0 offset:36 ; 4-byte Folded Reload
	;; [unrolled: 1-line block ×4, first 2 shown]
	v_mov_b32_e32 v69, v73
	v_mov_b32_e32 v70, v74
	;; [unrolled: 1-line block ×4, first 2 shown]
	s_waitcnt vmcnt(0)
	ds_write2_b64 v125, v[77:78], v[79:80] offset0:54 offset1:55
	buffer_load_dword v73, off, s[20:23], 0 offset:16 ; 4-byte Folded Reload
	buffer_load_dword v74, off, s[20:23], 0 offset:20 ; 4-byte Folded Reload
	;; [unrolled: 1-line block ×4, first 2 shown]
	s_waitcnt vmcnt(0)
	ds_write2_b64 v125, v[73:74], v[75:76] offset0:56 offset1:57
	v_mov_b32_e32 v76, v72
	v_mov_b32_e32 v75, v71
	;; [unrolled: 1-line block ×4, first 2 shown]
	buffer_load_dword v69, off, s[20:23], 0 ; 4-byte Folded Reload
	buffer_load_dword v70, off, s[20:23], 0 offset:4 ; 4-byte Folded Reload
	buffer_load_dword v71, off, s[20:23], 0 offset:8 ; 4-byte Folded Reload
	;; [unrolled: 1-line block ×3, first 2 shown]
	s_waitcnt vmcnt(0)
	ds_write2_b64 v125, v[69:70], v[71:72] offset0:58 offset1:59
	ds_write2_b64 v125, v[65:66], v[67:68] offset0:60 offset1:61
	;; [unrolled: 1-line block ×19, first 2 shown]
	ds_read2_b64 v[97:100], v127 offset1:1
	s_waitcnt lgkmcnt(0)
	v_cmp_neq_f64_e32 vcc, 0, v[97:98]
	v_cmp_neq_f64_e64 s[2:3], 0, v[99:100]
	s_or_b64 s[2:3], vcc, s[2:3]
	s_and_b64 exec, exec, s[2:3]
	s_cbranch_execz .LBB95_179
; %bb.174:
	v_cmp_ngt_f64_e64 s[2:3], |v[97:98]|, |v[99:100]|
                                        ; implicit-def: $vgpr101_vgpr102
	s_and_saveexec_b64 s[6:7], s[2:3]
	s_xor_b64 s[2:3], exec, s[6:7]
                                        ; implicit-def: $vgpr103_vgpr104
	s_cbranch_execz .LBB95_176
; %bb.175:
	v_div_scale_f64 v[101:102], s[6:7], v[99:100], v[99:100], v[97:98]
	v_rcp_f64_e32 v[103:104], v[101:102]
	v_fma_f64 v[105:106], -v[101:102], v[103:104], 1.0
	v_fma_f64 v[103:104], v[103:104], v[105:106], v[103:104]
	v_div_scale_f64 v[105:106], vcc, v[97:98], v[99:100], v[97:98]
	v_fma_f64 v[107:108], -v[101:102], v[103:104], 1.0
	v_fma_f64 v[103:104], v[103:104], v[107:108], v[103:104]
	v_mul_f64 v[107:108], v[105:106], v[103:104]
	v_fma_f64 v[101:102], -v[101:102], v[107:108], v[105:106]
	v_div_fmas_f64 v[101:102], v[101:102], v[103:104], v[107:108]
	v_div_fixup_f64 v[101:102], v[101:102], v[99:100], v[97:98]
	v_fma_f64 v[97:98], v[97:98], v[101:102], v[99:100]
	v_div_scale_f64 v[99:100], s[6:7], v[97:98], v[97:98], 1.0
	v_div_scale_f64 v[107:108], vcc, 1.0, v[97:98], 1.0
	v_rcp_f64_e32 v[103:104], v[99:100]
	v_fma_f64 v[105:106], -v[99:100], v[103:104], 1.0
	v_fma_f64 v[103:104], v[103:104], v[105:106], v[103:104]
	v_fma_f64 v[105:106], -v[99:100], v[103:104], 1.0
	v_fma_f64 v[103:104], v[103:104], v[105:106], v[103:104]
	v_mul_f64 v[105:106], v[107:108], v[103:104]
	v_fma_f64 v[99:100], -v[99:100], v[105:106], v[107:108]
	v_div_fmas_f64 v[99:100], v[99:100], v[103:104], v[105:106]
	v_div_fixup_f64 v[103:104], v[99:100], v[97:98], 1.0
                                        ; implicit-def: $vgpr97_vgpr98
	v_mul_f64 v[101:102], v[101:102], v[103:104]
	v_xor_b32_e32 v104, 0x80000000, v104
.LBB95_176:
	s_andn2_saveexec_b64 s[2:3], s[2:3]
	s_cbranch_execz .LBB95_178
; %bb.177:
	v_div_scale_f64 v[101:102], s[6:7], v[97:98], v[97:98], v[99:100]
	v_rcp_f64_e32 v[103:104], v[101:102]
	v_fma_f64 v[105:106], -v[101:102], v[103:104], 1.0
	v_fma_f64 v[103:104], v[103:104], v[105:106], v[103:104]
	v_div_scale_f64 v[105:106], vcc, v[99:100], v[97:98], v[99:100]
	v_fma_f64 v[107:108], -v[101:102], v[103:104], 1.0
	v_fma_f64 v[103:104], v[103:104], v[107:108], v[103:104]
	v_mul_f64 v[107:108], v[105:106], v[103:104]
	v_fma_f64 v[101:102], -v[101:102], v[107:108], v[105:106]
	v_div_fmas_f64 v[101:102], v[101:102], v[103:104], v[107:108]
	v_div_fixup_f64 v[103:104], v[101:102], v[97:98], v[99:100]
	v_fma_f64 v[97:98], v[99:100], v[103:104], v[97:98]
	v_div_scale_f64 v[99:100], s[6:7], v[97:98], v[97:98], 1.0
	v_div_scale_f64 v[107:108], vcc, 1.0, v[97:98], 1.0
	v_rcp_f64_e32 v[101:102], v[99:100]
	v_fma_f64 v[105:106], -v[99:100], v[101:102], 1.0
	v_fma_f64 v[101:102], v[101:102], v[105:106], v[101:102]
	v_fma_f64 v[105:106], -v[99:100], v[101:102], 1.0
	v_fma_f64 v[101:102], v[101:102], v[105:106], v[101:102]
	v_mul_f64 v[105:106], v[107:108], v[101:102]
	v_fma_f64 v[99:100], -v[99:100], v[105:106], v[107:108]
	v_div_fmas_f64 v[99:100], v[99:100], v[101:102], v[105:106]
	v_div_fixup_f64 v[101:102], v[99:100], v[97:98], 1.0
	v_mul_f64 v[103:104], v[103:104], -v[101:102]
.LBB95_178:
	s_or_b64 exec, exec, s[2:3]
	ds_write2_b64 v127, v[101:102], v[103:104] offset1:1
.LBB95_179:
	s_or_b64 exec, exec, s[4:5]
	s_waitcnt lgkmcnt(0)
	s_barrier
	ds_read2_b64 v[69:72], v127 offset1:1
	v_cmp_lt_u32_e32 vcc, 19, v0
	s_waitcnt lgkmcnt(0)
	buffer_store_dword v69, off, s[20:23], 0 offset:1080 ; 4-byte Folded Spill
	s_nop 0
	buffer_store_dword v70, off, s[20:23], 0 offset:1084 ; 4-byte Folded Spill
	buffer_store_dword v71, off, s[20:23], 0 offset:1088 ; 4-byte Folded Spill
	;; [unrolled: 1-line block ×3, first 2 shown]
	s_and_saveexec_b64 s[2:3], vcc
	s_cbranch_execz .LBB95_181
; %bb.180:
	buffer_load_dword v103, off, s[20:23], 0 offset:80 ; 4-byte Folded Reload
	buffer_load_dword v104, off, s[20:23], 0 offset:84 ; 4-byte Folded Reload
	;; [unrolled: 1-line block ×8, first 2 shown]
	s_waitcnt vmcnt(2)
	v_mul_f64 v[99:100], v[69:70], v[105:106]
	s_waitcnt vmcnt(0)
	v_mul_f64 v[97:98], v[71:72], v[105:106]
	v_fma_f64 v[105:106], v[71:72], v[103:104], v[99:100]
	ds_read2_b64 v[99:102], v125 offset0:40 offset1:41
	v_fma_f64 v[97:98], v[69:70], v[103:104], -v[97:98]
	buffer_load_dword v69, off, s[20:23], 0 offset:64 ; 4-byte Folded Reload
	buffer_load_dword v70, off, s[20:23], 0 offset:68 ; 4-byte Folded Reload
	;; [unrolled: 1-line block ×4, first 2 shown]
	s_waitcnt lgkmcnt(0)
	v_mul_f64 v[103:104], v[101:102], v[105:106]
	v_fma_f64 v[103:104], v[99:100], v[97:98], -v[103:104]
	v_mul_f64 v[99:100], v[99:100], v[105:106]
	v_fma_f64 v[99:100], v[101:102], v[97:98], v[99:100]
	s_waitcnt vmcnt(2)
	v_add_f64 v[69:70], v[69:70], -v[103:104]
	s_waitcnt vmcnt(0)
	v_add_f64 v[71:72], v[71:72], -v[99:100]
	buffer_store_dword v69, off, s[20:23], 0 offset:64 ; 4-byte Folded Spill
	s_nop 0
	buffer_store_dword v70, off, s[20:23], 0 offset:68 ; 4-byte Folded Spill
	buffer_store_dword v71, off, s[20:23], 0 offset:72 ; 4-byte Folded Spill
	;; [unrolled: 1-line block ×3, first 2 shown]
	ds_read2_b64 v[99:102], v125 offset0:42 offset1:43
	buffer_load_dword v69, off, s[20:23], 0 offset:48 ; 4-byte Folded Reload
	buffer_load_dword v70, off, s[20:23], 0 offset:52 ; 4-byte Folded Reload
	;; [unrolled: 1-line block ×4, first 2 shown]
	s_waitcnt lgkmcnt(0)
	v_mul_f64 v[103:104], v[101:102], v[105:106]
	v_fma_f64 v[103:104], v[99:100], v[97:98], -v[103:104]
	v_mul_f64 v[99:100], v[99:100], v[105:106]
	v_fma_f64 v[99:100], v[101:102], v[97:98], v[99:100]
	s_waitcnt vmcnt(2)
	v_add_f64 v[69:70], v[69:70], -v[103:104]
	s_waitcnt vmcnt(0)
	v_add_f64 v[71:72], v[71:72], -v[99:100]
	buffer_store_dword v69, off, s[20:23], 0 offset:48 ; 4-byte Folded Spill
	s_nop 0
	buffer_store_dword v70, off, s[20:23], 0 offset:52 ; 4-byte Folded Spill
	buffer_store_dword v71, off, s[20:23], 0 offset:56 ; 4-byte Folded Spill
	;; [unrolled: 1-line block ×3, first 2 shown]
	ds_read2_b64 v[99:102], v125 offset0:44 offset1:45
	v_mov_b32_e32 v69, v73
	v_mov_b32_e32 v70, v74
	;; [unrolled: 1-line block ×4, first 2 shown]
	s_waitcnt lgkmcnt(0)
	v_mul_f64 v[103:104], v[101:102], v[105:106]
	v_fma_f64 v[103:104], v[99:100], v[97:98], -v[103:104]
	v_mul_f64 v[99:100], v[99:100], v[105:106]
	v_add_f64 v[121:122], v[121:122], -v[103:104]
	v_fma_f64 v[99:100], v[101:102], v[97:98], v[99:100]
	v_add_f64 v[123:124], v[123:124], -v[99:100]
	ds_read2_b64 v[99:102], v125 offset0:46 offset1:47
	s_waitcnt lgkmcnt(0)
	v_mul_f64 v[103:104], v[101:102], v[105:106]
	v_fma_f64 v[103:104], v[99:100], v[97:98], -v[103:104]
	v_mul_f64 v[99:100], v[99:100], v[105:106]
	v_add_f64 v[117:118], v[117:118], -v[103:104]
	v_fma_f64 v[99:100], v[101:102], v[97:98], v[99:100]
	v_add_f64 v[119:120], v[119:120], -v[99:100]
	ds_read2_b64 v[99:102], v125 offset0:48 offset1:49
	;; [unrolled: 8-line block ×5, first 2 shown]
	buffer_load_dword v77, off, s[20:23], 0 offset:32 ; 4-byte Folded Reload
	buffer_load_dword v78, off, s[20:23], 0 offset:36 ; 4-byte Folded Reload
	;; [unrolled: 1-line block ×4, first 2 shown]
	s_waitcnt lgkmcnt(0)
	v_mul_f64 v[103:104], v[101:102], v[105:106]
	v_fma_f64 v[103:104], v[99:100], v[97:98], -v[103:104]
	v_mul_f64 v[99:100], v[99:100], v[105:106]
	v_fma_f64 v[99:100], v[101:102], v[97:98], v[99:100]
	s_waitcnt vmcnt(2)
	v_add_f64 v[77:78], v[77:78], -v[103:104]
	s_waitcnt vmcnt(0)
	v_add_f64 v[79:80], v[79:80], -v[99:100]
	buffer_store_dword v77, off, s[20:23], 0 offset:32 ; 4-byte Folded Spill
	s_nop 0
	buffer_store_dword v78, off, s[20:23], 0 offset:36 ; 4-byte Folded Spill
	buffer_store_dword v79, off, s[20:23], 0 offset:40 ; 4-byte Folded Spill
	;; [unrolled: 1-line block ×3, first 2 shown]
	ds_read2_b64 v[99:102], v125 offset0:56 offset1:57
	buffer_load_dword v73, off, s[20:23], 0 offset:16 ; 4-byte Folded Reload
	buffer_load_dword v74, off, s[20:23], 0 offset:20 ; 4-byte Folded Reload
	;; [unrolled: 1-line block ×4, first 2 shown]
	s_waitcnt lgkmcnt(0)
	v_mul_f64 v[103:104], v[101:102], v[105:106]
	v_fma_f64 v[103:104], v[99:100], v[97:98], -v[103:104]
	v_mul_f64 v[99:100], v[99:100], v[105:106]
	v_fma_f64 v[99:100], v[101:102], v[97:98], v[99:100]
	s_waitcnt vmcnt(2)
	v_add_f64 v[73:74], v[73:74], -v[103:104]
	s_waitcnt vmcnt(0)
	v_add_f64 v[75:76], v[75:76], -v[99:100]
	buffer_store_dword v73, off, s[20:23], 0 offset:16 ; 4-byte Folded Spill
	s_nop 0
	buffer_store_dword v74, off, s[20:23], 0 offset:20 ; 4-byte Folded Spill
	buffer_store_dword v75, off, s[20:23], 0 offset:24 ; 4-byte Folded Spill
	;; [unrolled: 1-line block ×3, first 2 shown]
	v_mov_b32_e32 v76, v72
	v_mov_b32_e32 v75, v71
	;; [unrolled: 1-line block ×4, first 2 shown]
	ds_read2_b64 v[99:102], v125 offset0:58 offset1:59
	buffer_load_dword v69, off, s[20:23], 0 ; 4-byte Folded Reload
	buffer_load_dword v70, off, s[20:23], 0 offset:4 ; 4-byte Folded Reload
	buffer_load_dword v71, off, s[20:23], 0 offset:8 ; 4-byte Folded Reload
	;; [unrolled: 1-line block ×3, first 2 shown]
	s_waitcnt lgkmcnt(0)
	v_mul_f64 v[103:104], v[101:102], v[105:106]
	v_fma_f64 v[103:104], v[99:100], v[97:98], -v[103:104]
	v_mul_f64 v[99:100], v[99:100], v[105:106]
	v_fma_f64 v[99:100], v[101:102], v[97:98], v[99:100]
	s_waitcnt vmcnt(2)
	v_add_f64 v[69:70], v[69:70], -v[103:104]
	s_waitcnt vmcnt(0)
	v_add_f64 v[71:72], v[71:72], -v[99:100]
	buffer_store_dword v69, off, s[20:23], 0 ; 4-byte Folded Spill
	s_nop 0
	buffer_store_dword v70, off, s[20:23], 0 offset:4 ; 4-byte Folded Spill
	buffer_store_dword v71, off, s[20:23], 0 offset:8 ; 4-byte Folded Spill
	;; [unrolled: 1-line block ×3, first 2 shown]
	ds_read2_b64 v[99:102], v125 offset0:60 offset1:61
	s_waitcnt lgkmcnt(0)
	v_mul_f64 v[103:104], v[101:102], v[105:106]
	v_fma_f64 v[103:104], v[99:100], v[97:98], -v[103:104]
	v_mul_f64 v[99:100], v[99:100], v[105:106]
	v_add_f64 v[65:66], v[65:66], -v[103:104]
	v_fma_f64 v[99:100], v[101:102], v[97:98], v[99:100]
	v_add_f64 v[67:68], v[67:68], -v[99:100]
	ds_read2_b64 v[99:102], v125 offset0:62 offset1:63
	s_waitcnt lgkmcnt(0)
	v_mul_f64 v[103:104], v[101:102], v[105:106]
	v_fma_f64 v[103:104], v[99:100], v[97:98], -v[103:104]
	v_mul_f64 v[99:100], v[99:100], v[105:106]
	v_add_f64 v[61:62], v[61:62], -v[103:104]
	v_fma_f64 v[99:100], v[101:102], v[97:98], v[99:100]
	v_add_f64 v[63:64], v[63:64], -v[99:100]
	;; [unrolled: 8-line block ×17, first 2 shown]
	ds_read2_b64 v[99:102], v125 offset0:94 offset1:95
	s_waitcnt lgkmcnt(0)
	v_mul_f64 v[103:104], v[101:102], v[105:106]
	v_fma_f64 v[103:104], v[99:100], v[97:98], -v[103:104]
	v_mul_f64 v[99:100], v[99:100], v[105:106]
	v_add_f64 v[73:74], v[73:74], -v[103:104]
	v_fma_f64 v[99:100], v[101:102], v[97:98], v[99:100]
	v_mov_b32_e32 v104, v98
	v_mov_b32_e32 v103, v97
	buffer_store_dword v103, off, s[20:23], 0 offset:80 ; 4-byte Folded Spill
	s_nop 0
	buffer_store_dword v104, off, s[20:23], 0 offset:84 ; 4-byte Folded Spill
	buffer_store_dword v105, off, s[20:23], 0 offset:88 ; 4-byte Folded Spill
	;; [unrolled: 1-line block ×3, first 2 shown]
	v_add_f64 v[75:76], v[75:76], -v[99:100]
.LBB95_181:
	s_or_b64 exec, exec, s[2:3]
	v_cmp_eq_u32_e32 vcc, 20, v0
	s_waitcnt vmcnt(0)
	s_barrier
	s_and_saveexec_b64 s[4:5], vcc
	s_cbranch_execz .LBB95_188
; %bb.182:
	buffer_load_dword v69, off, s[20:23], 0 offset:64 ; 4-byte Folded Reload
	buffer_load_dword v70, off, s[20:23], 0 offset:68 ; 4-byte Folded Reload
	;; [unrolled: 1-line block ×4, first 2 shown]
	s_waitcnt vmcnt(0)
	ds_write2_b64 v127, v[69:70], v[71:72] offset1:1
	buffer_load_dword v69, off, s[20:23], 0 offset:48 ; 4-byte Folded Reload
	buffer_load_dword v70, off, s[20:23], 0 offset:52 ; 4-byte Folded Reload
	;; [unrolled: 1-line block ×4, first 2 shown]
	s_waitcnt vmcnt(0)
	ds_write2_b64 v125, v[69:70], v[71:72] offset0:42 offset1:43
	ds_write2_b64 v125, v[121:122], v[123:124] offset0:44 offset1:45
	;; [unrolled: 1-line block ×6, first 2 shown]
	buffer_load_dword v77, off, s[20:23], 0 offset:32 ; 4-byte Folded Reload
	buffer_load_dword v78, off, s[20:23], 0 offset:36 ; 4-byte Folded Reload
	;; [unrolled: 1-line block ×4, first 2 shown]
	v_mov_b32_e32 v69, v73
	v_mov_b32_e32 v70, v74
	v_mov_b32_e32 v71, v75
	v_mov_b32_e32 v72, v76
	s_waitcnt vmcnt(0)
	ds_write2_b64 v125, v[77:78], v[79:80] offset0:54 offset1:55
	buffer_load_dword v73, off, s[20:23], 0 offset:16 ; 4-byte Folded Reload
	buffer_load_dword v74, off, s[20:23], 0 offset:20 ; 4-byte Folded Reload
	buffer_load_dword v75, off, s[20:23], 0 offset:24 ; 4-byte Folded Reload
	buffer_load_dword v76, off, s[20:23], 0 offset:28 ; 4-byte Folded Reload
	s_waitcnt vmcnt(0)
	ds_write2_b64 v125, v[73:74], v[75:76] offset0:56 offset1:57
	v_mov_b32_e32 v76, v72
	v_mov_b32_e32 v75, v71
	;; [unrolled: 1-line block ×4, first 2 shown]
	buffer_load_dword v69, off, s[20:23], 0 ; 4-byte Folded Reload
	buffer_load_dword v70, off, s[20:23], 0 offset:4 ; 4-byte Folded Reload
	buffer_load_dword v71, off, s[20:23], 0 offset:8 ; 4-byte Folded Reload
	;; [unrolled: 1-line block ×3, first 2 shown]
	s_waitcnt vmcnt(0)
	ds_write2_b64 v125, v[69:70], v[71:72] offset0:58 offset1:59
	ds_write2_b64 v125, v[65:66], v[67:68] offset0:60 offset1:61
	;; [unrolled: 1-line block ×19, first 2 shown]
	ds_read2_b64 v[97:100], v127 offset1:1
	s_waitcnt lgkmcnt(0)
	v_cmp_neq_f64_e32 vcc, 0, v[97:98]
	v_cmp_neq_f64_e64 s[2:3], 0, v[99:100]
	s_or_b64 s[2:3], vcc, s[2:3]
	s_and_b64 exec, exec, s[2:3]
	s_cbranch_execz .LBB95_188
; %bb.183:
	v_cmp_ngt_f64_e64 s[2:3], |v[97:98]|, |v[99:100]|
                                        ; implicit-def: $vgpr101_vgpr102
	s_and_saveexec_b64 s[6:7], s[2:3]
	s_xor_b64 s[2:3], exec, s[6:7]
                                        ; implicit-def: $vgpr103_vgpr104
	s_cbranch_execz .LBB95_185
; %bb.184:
	v_div_scale_f64 v[101:102], s[6:7], v[99:100], v[99:100], v[97:98]
	v_rcp_f64_e32 v[103:104], v[101:102]
	v_fma_f64 v[105:106], -v[101:102], v[103:104], 1.0
	v_fma_f64 v[103:104], v[103:104], v[105:106], v[103:104]
	v_div_scale_f64 v[105:106], vcc, v[97:98], v[99:100], v[97:98]
	v_fma_f64 v[107:108], -v[101:102], v[103:104], 1.0
	v_fma_f64 v[103:104], v[103:104], v[107:108], v[103:104]
	v_mul_f64 v[107:108], v[105:106], v[103:104]
	v_fma_f64 v[101:102], -v[101:102], v[107:108], v[105:106]
	v_div_fmas_f64 v[101:102], v[101:102], v[103:104], v[107:108]
	v_div_fixup_f64 v[101:102], v[101:102], v[99:100], v[97:98]
	v_fma_f64 v[97:98], v[97:98], v[101:102], v[99:100]
	v_div_scale_f64 v[99:100], s[6:7], v[97:98], v[97:98], 1.0
	v_div_scale_f64 v[107:108], vcc, 1.0, v[97:98], 1.0
	v_rcp_f64_e32 v[103:104], v[99:100]
	v_fma_f64 v[105:106], -v[99:100], v[103:104], 1.0
	v_fma_f64 v[103:104], v[103:104], v[105:106], v[103:104]
	v_fma_f64 v[105:106], -v[99:100], v[103:104], 1.0
	v_fma_f64 v[103:104], v[103:104], v[105:106], v[103:104]
	v_mul_f64 v[105:106], v[107:108], v[103:104]
	v_fma_f64 v[99:100], -v[99:100], v[105:106], v[107:108]
	v_div_fmas_f64 v[99:100], v[99:100], v[103:104], v[105:106]
	v_div_fixup_f64 v[103:104], v[99:100], v[97:98], 1.0
                                        ; implicit-def: $vgpr97_vgpr98
	v_mul_f64 v[101:102], v[101:102], v[103:104]
	v_xor_b32_e32 v104, 0x80000000, v104
.LBB95_185:
	s_andn2_saveexec_b64 s[2:3], s[2:3]
	s_cbranch_execz .LBB95_187
; %bb.186:
	v_div_scale_f64 v[101:102], s[6:7], v[97:98], v[97:98], v[99:100]
	v_rcp_f64_e32 v[103:104], v[101:102]
	v_fma_f64 v[105:106], -v[101:102], v[103:104], 1.0
	v_fma_f64 v[103:104], v[103:104], v[105:106], v[103:104]
	v_div_scale_f64 v[105:106], vcc, v[99:100], v[97:98], v[99:100]
	v_fma_f64 v[107:108], -v[101:102], v[103:104], 1.0
	v_fma_f64 v[103:104], v[103:104], v[107:108], v[103:104]
	v_mul_f64 v[107:108], v[105:106], v[103:104]
	v_fma_f64 v[101:102], -v[101:102], v[107:108], v[105:106]
	v_div_fmas_f64 v[101:102], v[101:102], v[103:104], v[107:108]
	v_div_fixup_f64 v[103:104], v[101:102], v[97:98], v[99:100]
	v_fma_f64 v[97:98], v[99:100], v[103:104], v[97:98]
	v_div_scale_f64 v[99:100], s[6:7], v[97:98], v[97:98], 1.0
	v_div_scale_f64 v[107:108], vcc, 1.0, v[97:98], 1.0
	v_rcp_f64_e32 v[101:102], v[99:100]
	v_fma_f64 v[105:106], -v[99:100], v[101:102], 1.0
	v_fma_f64 v[101:102], v[101:102], v[105:106], v[101:102]
	v_fma_f64 v[105:106], -v[99:100], v[101:102], 1.0
	v_fma_f64 v[101:102], v[101:102], v[105:106], v[101:102]
	v_mul_f64 v[105:106], v[107:108], v[101:102]
	v_fma_f64 v[99:100], -v[99:100], v[105:106], v[107:108]
	v_div_fmas_f64 v[99:100], v[99:100], v[101:102], v[105:106]
	v_div_fixup_f64 v[101:102], v[99:100], v[97:98], 1.0
	v_mul_f64 v[103:104], v[103:104], -v[101:102]
.LBB95_187:
	s_or_b64 exec, exec, s[2:3]
	ds_write2_b64 v127, v[101:102], v[103:104] offset1:1
.LBB95_188:
	s_or_b64 exec, exec, s[4:5]
	s_waitcnt lgkmcnt(0)
	s_barrier
	ds_read2_b64 v[69:72], v127 offset1:1
	v_cmp_lt_u32_e32 vcc, 20, v0
	s_waitcnt lgkmcnt(0)
	buffer_store_dword v69, off, s[20:23], 0 offset:1096 ; 4-byte Folded Spill
	s_nop 0
	buffer_store_dword v70, off, s[20:23], 0 offset:1100 ; 4-byte Folded Spill
	buffer_store_dword v71, off, s[20:23], 0 offset:1104 ; 4-byte Folded Spill
	;; [unrolled: 1-line block ×3, first 2 shown]
	s_and_saveexec_b64 s[2:3], vcc
	s_cbranch_execz .LBB95_190
; %bb.189:
	buffer_load_dword v103, off, s[20:23], 0 offset:64 ; 4-byte Folded Reload
	buffer_load_dword v104, off, s[20:23], 0 offset:68 ; 4-byte Folded Reload
	;; [unrolled: 1-line block ×8, first 2 shown]
	s_waitcnt vmcnt(2)
	v_mul_f64 v[99:100], v[69:70], v[105:106]
	s_waitcnt vmcnt(0)
	v_mul_f64 v[97:98], v[71:72], v[105:106]
	v_fma_f64 v[105:106], v[71:72], v[103:104], v[99:100]
	ds_read2_b64 v[99:102], v125 offset0:42 offset1:43
	v_fma_f64 v[97:98], v[69:70], v[103:104], -v[97:98]
	buffer_load_dword v69, off, s[20:23], 0 offset:48 ; 4-byte Folded Reload
	buffer_load_dword v70, off, s[20:23], 0 offset:52 ; 4-byte Folded Reload
	;; [unrolled: 1-line block ×4, first 2 shown]
	s_waitcnt lgkmcnt(0)
	v_mul_f64 v[103:104], v[101:102], v[105:106]
	v_fma_f64 v[103:104], v[99:100], v[97:98], -v[103:104]
	v_mul_f64 v[99:100], v[99:100], v[105:106]
	v_fma_f64 v[99:100], v[101:102], v[97:98], v[99:100]
	s_waitcnt vmcnt(2)
	v_add_f64 v[69:70], v[69:70], -v[103:104]
	s_waitcnt vmcnt(0)
	v_add_f64 v[71:72], v[71:72], -v[99:100]
	buffer_store_dword v69, off, s[20:23], 0 offset:48 ; 4-byte Folded Spill
	s_nop 0
	buffer_store_dword v70, off, s[20:23], 0 offset:52 ; 4-byte Folded Spill
	buffer_store_dword v71, off, s[20:23], 0 offset:56 ; 4-byte Folded Spill
	;; [unrolled: 1-line block ×3, first 2 shown]
	ds_read2_b64 v[99:102], v125 offset0:44 offset1:45
	v_mov_b32_e32 v69, v73
	v_mov_b32_e32 v70, v74
	;; [unrolled: 1-line block ×4, first 2 shown]
	s_waitcnt lgkmcnt(0)
	v_mul_f64 v[103:104], v[101:102], v[105:106]
	v_fma_f64 v[103:104], v[99:100], v[97:98], -v[103:104]
	v_mul_f64 v[99:100], v[99:100], v[105:106]
	v_add_f64 v[121:122], v[121:122], -v[103:104]
	v_fma_f64 v[99:100], v[101:102], v[97:98], v[99:100]
	v_add_f64 v[123:124], v[123:124], -v[99:100]
	ds_read2_b64 v[99:102], v125 offset0:46 offset1:47
	s_waitcnt lgkmcnt(0)
	v_mul_f64 v[103:104], v[101:102], v[105:106]
	v_fma_f64 v[103:104], v[99:100], v[97:98], -v[103:104]
	v_mul_f64 v[99:100], v[99:100], v[105:106]
	v_add_f64 v[117:118], v[117:118], -v[103:104]
	v_fma_f64 v[99:100], v[101:102], v[97:98], v[99:100]
	v_add_f64 v[119:120], v[119:120], -v[99:100]
	ds_read2_b64 v[99:102], v125 offset0:48 offset1:49
	;; [unrolled: 8-line block ×5, first 2 shown]
	buffer_load_dword v77, off, s[20:23], 0 offset:32 ; 4-byte Folded Reload
	buffer_load_dword v78, off, s[20:23], 0 offset:36 ; 4-byte Folded Reload
	buffer_load_dword v79, off, s[20:23], 0 offset:40 ; 4-byte Folded Reload
	buffer_load_dword v80, off, s[20:23], 0 offset:44 ; 4-byte Folded Reload
	s_waitcnt lgkmcnt(0)
	v_mul_f64 v[103:104], v[101:102], v[105:106]
	v_fma_f64 v[103:104], v[99:100], v[97:98], -v[103:104]
	v_mul_f64 v[99:100], v[99:100], v[105:106]
	v_fma_f64 v[99:100], v[101:102], v[97:98], v[99:100]
	s_waitcnt vmcnt(2)
	v_add_f64 v[77:78], v[77:78], -v[103:104]
	s_waitcnt vmcnt(0)
	v_add_f64 v[79:80], v[79:80], -v[99:100]
	buffer_store_dword v77, off, s[20:23], 0 offset:32 ; 4-byte Folded Spill
	s_nop 0
	buffer_store_dword v78, off, s[20:23], 0 offset:36 ; 4-byte Folded Spill
	buffer_store_dword v79, off, s[20:23], 0 offset:40 ; 4-byte Folded Spill
	;; [unrolled: 1-line block ×3, first 2 shown]
	ds_read2_b64 v[99:102], v125 offset0:56 offset1:57
	buffer_load_dword v73, off, s[20:23], 0 offset:16 ; 4-byte Folded Reload
	buffer_load_dword v74, off, s[20:23], 0 offset:20 ; 4-byte Folded Reload
	;; [unrolled: 1-line block ×4, first 2 shown]
	s_waitcnt lgkmcnt(0)
	v_mul_f64 v[103:104], v[101:102], v[105:106]
	v_fma_f64 v[103:104], v[99:100], v[97:98], -v[103:104]
	v_mul_f64 v[99:100], v[99:100], v[105:106]
	v_fma_f64 v[99:100], v[101:102], v[97:98], v[99:100]
	s_waitcnt vmcnt(2)
	v_add_f64 v[73:74], v[73:74], -v[103:104]
	s_waitcnt vmcnt(0)
	v_add_f64 v[75:76], v[75:76], -v[99:100]
	buffer_store_dword v73, off, s[20:23], 0 offset:16 ; 4-byte Folded Spill
	s_nop 0
	buffer_store_dword v74, off, s[20:23], 0 offset:20 ; 4-byte Folded Spill
	buffer_store_dword v75, off, s[20:23], 0 offset:24 ; 4-byte Folded Spill
	;; [unrolled: 1-line block ×3, first 2 shown]
	v_mov_b32_e32 v76, v72
	v_mov_b32_e32 v75, v71
	v_mov_b32_e32 v74, v70
	v_mov_b32_e32 v73, v69
	ds_read2_b64 v[99:102], v125 offset0:58 offset1:59
	buffer_load_dword v69, off, s[20:23], 0 ; 4-byte Folded Reload
	buffer_load_dword v70, off, s[20:23], 0 offset:4 ; 4-byte Folded Reload
	buffer_load_dword v71, off, s[20:23], 0 offset:8 ; 4-byte Folded Reload
	;; [unrolled: 1-line block ×3, first 2 shown]
	s_waitcnt lgkmcnt(0)
	v_mul_f64 v[103:104], v[101:102], v[105:106]
	v_fma_f64 v[103:104], v[99:100], v[97:98], -v[103:104]
	v_mul_f64 v[99:100], v[99:100], v[105:106]
	v_fma_f64 v[99:100], v[101:102], v[97:98], v[99:100]
	s_waitcnt vmcnt(2)
	v_add_f64 v[69:70], v[69:70], -v[103:104]
	s_waitcnt vmcnt(0)
	v_add_f64 v[71:72], v[71:72], -v[99:100]
	buffer_store_dword v69, off, s[20:23], 0 ; 4-byte Folded Spill
	s_nop 0
	buffer_store_dword v70, off, s[20:23], 0 offset:4 ; 4-byte Folded Spill
	buffer_store_dword v71, off, s[20:23], 0 offset:8 ; 4-byte Folded Spill
	;; [unrolled: 1-line block ×3, first 2 shown]
	ds_read2_b64 v[99:102], v125 offset0:60 offset1:61
	s_waitcnt lgkmcnt(0)
	v_mul_f64 v[103:104], v[101:102], v[105:106]
	v_fma_f64 v[103:104], v[99:100], v[97:98], -v[103:104]
	v_mul_f64 v[99:100], v[99:100], v[105:106]
	v_add_f64 v[65:66], v[65:66], -v[103:104]
	v_fma_f64 v[99:100], v[101:102], v[97:98], v[99:100]
	v_add_f64 v[67:68], v[67:68], -v[99:100]
	ds_read2_b64 v[99:102], v125 offset0:62 offset1:63
	s_waitcnt lgkmcnt(0)
	v_mul_f64 v[103:104], v[101:102], v[105:106]
	v_fma_f64 v[103:104], v[99:100], v[97:98], -v[103:104]
	v_mul_f64 v[99:100], v[99:100], v[105:106]
	v_add_f64 v[61:62], v[61:62], -v[103:104]
	v_fma_f64 v[99:100], v[101:102], v[97:98], v[99:100]
	v_add_f64 v[63:64], v[63:64], -v[99:100]
	;; [unrolled: 8-line block ×17, first 2 shown]
	ds_read2_b64 v[99:102], v125 offset0:94 offset1:95
	s_waitcnt lgkmcnt(0)
	v_mul_f64 v[103:104], v[101:102], v[105:106]
	v_fma_f64 v[103:104], v[99:100], v[97:98], -v[103:104]
	v_mul_f64 v[99:100], v[99:100], v[105:106]
	v_add_f64 v[73:74], v[73:74], -v[103:104]
	v_fma_f64 v[99:100], v[101:102], v[97:98], v[99:100]
	v_mov_b32_e32 v104, v98
	v_mov_b32_e32 v103, v97
	buffer_store_dword v103, off, s[20:23], 0 offset:64 ; 4-byte Folded Spill
	s_nop 0
	buffer_store_dword v104, off, s[20:23], 0 offset:68 ; 4-byte Folded Spill
	buffer_store_dword v105, off, s[20:23], 0 offset:72 ; 4-byte Folded Spill
	;; [unrolled: 1-line block ×3, first 2 shown]
	v_add_f64 v[75:76], v[75:76], -v[99:100]
.LBB95_190:
	s_or_b64 exec, exec, s[2:3]
	v_cmp_eq_u32_e32 vcc, 21, v0
	s_waitcnt vmcnt(0)
	s_barrier
	s_and_saveexec_b64 s[4:5], vcc
	s_cbranch_execz .LBB95_197
; %bb.191:
	buffer_load_dword v69, off, s[20:23], 0 offset:48 ; 4-byte Folded Reload
	buffer_load_dword v70, off, s[20:23], 0 offset:52 ; 4-byte Folded Reload
	;; [unrolled: 1-line block ×4, first 2 shown]
	s_waitcnt vmcnt(0)
	ds_write2_b64 v127, v[69:70], v[71:72] offset1:1
	ds_write2_b64 v125, v[121:122], v[123:124] offset0:44 offset1:45
	ds_write2_b64 v125, v[117:118], v[119:120] offset0:46 offset1:47
	;; [unrolled: 1-line block ×5, first 2 shown]
	buffer_load_dword v77, off, s[20:23], 0 offset:32 ; 4-byte Folded Reload
	buffer_load_dword v78, off, s[20:23], 0 offset:36 ; 4-byte Folded Reload
	;; [unrolled: 1-line block ×4, first 2 shown]
	v_mov_b32_e32 v69, v73
	v_mov_b32_e32 v70, v74
	;; [unrolled: 1-line block ×4, first 2 shown]
	s_waitcnt vmcnt(0)
	ds_write2_b64 v125, v[77:78], v[79:80] offset0:54 offset1:55
	buffer_load_dword v73, off, s[20:23], 0 offset:16 ; 4-byte Folded Reload
	buffer_load_dword v74, off, s[20:23], 0 offset:20 ; 4-byte Folded Reload
	;; [unrolled: 1-line block ×4, first 2 shown]
	s_waitcnt vmcnt(0)
	ds_write2_b64 v125, v[73:74], v[75:76] offset0:56 offset1:57
	v_mov_b32_e32 v76, v72
	v_mov_b32_e32 v75, v71
	;; [unrolled: 1-line block ×4, first 2 shown]
	buffer_load_dword v69, off, s[20:23], 0 ; 4-byte Folded Reload
	buffer_load_dword v70, off, s[20:23], 0 offset:4 ; 4-byte Folded Reload
	buffer_load_dword v71, off, s[20:23], 0 offset:8 ; 4-byte Folded Reload
	;; [unrolled: 1-line block ×3, first 2 shown]
	s_waitcnt vmcnt(0)
	ds_write2_b64 v125, v[69:70], v[71:72] offset0:58 offset1:59
	ds_write2_b64 v125, v[65:66], v[67:68] offset0:60 offset1:61
	;; [unrolled: 1-line block ×19, first 2 shown]
	ds_read2_b64 v[97:100], v127 offset1:1
	s_waitcnt lgkmcnt(0)
	v_cmp_neq_f64_e32 vcc, 0, v[97:98]
	v_cmp_neq_f64_e64 s[2:3], 0, v[99:100]
	s_or_b64 s[2:3], vcc, s[2:3]
	s_and_b64 exec, exec, s[2:3]
	s_cbranch_execz .LBB95_197
; %bb.192:
	v_cmp_ngt_f64_e64 s[2:3], |v[97:98]|, |v[99:100]|
                                        ; implicit-def: $vgpr101_vgpr102
	s_and_saveexec_b64 s[6:7], s[2:3]
	s_xor_b64 s[2:3], exec, s[6:7]
                                        ; implicit-def: $vgpr103_vgpr104
	s_cbranch_execz .LBB95_194
; %bb.193:
	v_div_scale_f64 v[101:102], s[6:7], v[99:100], v[99:100], v[97:98]
	v_rcp_f64_e32 v[103:104], v[101:102]
	v_fma_f64 v[105:106], -v[101:102], v[103:104], 1.0
	v_fma_f64 v[103:104], v[103:104], v[105:106], v[103:104]
	v_div_scale_f64 v[105:106], vcc, v[97:98], v[99:100], v[97:98]
	v_fma_f64 v[107:108], -v[101:102], v[103:104], 1.0
	v_fma_f64 v[103:104], v[103:104], v[107:108], v[103:104]
	v_mul_f64 v[107:108], v[105:106], v[103:104]
	v_fma_f64 v[101:102], -v[101:102], v[107:108], v[105:106]
	v_div_fmas_f64 v[101:102], v[101:102], v[103:104], v[107:108]
	v_div_fixup_f64 v[101:102], v[101:102], v[99:100], v[97:98]
	v_fma_f64 v[97:98], v[97:98], v[101:102], v[99:100]
	v_div_scale_f64 v[99:100], s[6:7], v[97:98], v[97:98], 1.0
	v_div_scale_f64 v[107:108], vcc, 1.0, v[97:98], 1.0
	v_rcp_f64_e32 v[103:104], v[99:100]
	v_fma_f64 v[105:106], -v[99:100], v[103:104], 1.0
	v_fma_f64 v[103:104], v[103:104], v[105:106], v[103:104]
	v_fma_f64 v[105:106], -v[99:100], v[103:104], 1.0
	v_fma_f64 v[103:104], v[103:104], v[105:106], v[103:104]
	v_mul_f64 v[105:106], v[107:108], v[103:104]
	v_fma_f64 v[99:100], -v[99:100], v[105:106], v[107:108]
	v_div_fmas_f64 v[99:100], v[99:100], v[103:104], v[105:106]
	v_div_fixup_f64 v[103:104], v[99:100], v[97:98], 1.0
                                        ; implicit-def: $vgpr97_vgpr98
	v_mul_f64 v[101:102], v[101:102], v[103:104]
	v_xor_b32_e32 v104, 0x80000000, v104
.LBB95_194:
	s_andn2_saveexec_b64 s[2:3], s[2:3]
	s_cbranch_execz .LBB95_196
; %bb.195:
	v_div_scale_f64 v[101:102], s[6:7], v[97:98], v[97:98], v[99:100]
	v_rcp_f64_e32 v[103:104], v[101:102]
	v_fma_f64 v[105:106], -v[101:102], v[103:104], 1.0
	v_fma_f64 v[103:104], v[103:104], v[105:106], v[103:104]
	v_div_scale_f64 v[105:106], vcc, v[99:100], v[97:98], v[99:100]
	v_fma_f64 v[107:108], -v[101:102], v[103:104], 1.0
	v_fma_f64 v[103:104], v[103:104], v[107:108], v[103:104]
	v_mul_f64 v[107:108], v[105:106], v[103:104]
	v_fma_f64 v[101:102], -v[101:102], v[107:108], v[105:106]
	v_div_fmas_f64 v[101:102], v[101:102], v[103:104], v[107:108]
	v_div_fixup_f64 v[103:104], v[101:102], v[97:98], v[99:100]
	v_fma_f64 v[97:98], v[99:100], v[103:104], v[97:98]
	v_div_scale_f64 v[99:100], s[6:7], v[97:98], v[97:98], 1.0
	v_div_scale_f64 v[107:108], vcc, 1.0, v[97:98], 1.0
	v_rcp_f64_e32 v[101:102], v[99:100]
	v_fma_f64 v[105:106], -v[99:100], v[101:102], 1.0
	v_fma_f64 v[101:102], v[101:102], v[105:106], v[101:102]
	v_fma_f64 v[105:106], -v[99:100], v[101:102], 1.0
	v_fma_f64 v[101:102], v[101:102], v[105:106], v[101:102]
	v_mul_f64 v[105:106], v[107:108], v[101:102]
	v_fma_f64 v[99:100], -v[99:100], v[105:106], v[107:108]
	v_div_fmas_f64 v[99:100], v[99:100], v[101:102], v[105:106]
	v_div_fixup_f64 v[101:102], v[99:100], v[97:98], 1.0
	v_mul_f64 v[103:104], v[103:104], -v[101:102]
.LBB95_196:
	s_or_b64 exec, exec, s[2:3]
	ds_write2_b64 v127, v[101:102], v[103:104] offset1:1
.LBB95_197:
	s_or_b64 exec, exec, s[4:5]
	s_waitcnt lgkmcnt(0)
	s_barrier
	ds_read2_b64 v[69:72], v127 offset1:1
	v_cmp_lt_u32_e32 vcc, 21, v0
	s_waitcnt lgkmcnt(0)
	buffer_store_dword v69, off, s[20:23], 0 offset:1112 ; 4-byte Folded Spill
	s_nop 0
	buffer_store_dword v70, off, s[20:23], 0 offset:1116 ; 4-byte Folded Spill
	buffer_store_dword v71, off, s[20:23], 0 offset:1120 ; 4-byte Folded Spill
	;; [unrolled: 1-line block ×3, first 2 shown]
	s_and_saveexec_b64 s[2:3], vcc
	s_cbranch_execz .LBB95_199
; %bb.198:
	buffer_load_dword v103, off, s[20:23], 0 offset:48 ; 4-byte Folded Reload
	buffer_load_dword v104, off, s[20:23], 0 offset:52 ; 4-byte Folded Reload
	;; [unrolled: 1-line block ×8, first 2 shown]
	s_waitcnt vmcnt(2)
	v_mul_f64 v[99:100], v[69:70], v[105:106]
	s_waitcnt vmcnt(0)
	v_mul_f64 v[97:98], v[71:72], v[105:106]
	v_fma_f64 v[105:106], v[71:72], v[103:104], v[99:100]
	ds_read2_b64 v[99:102], v125 offset0:44 offset1:45
	v_fma_f64 v[97:98], v[69:70], v[103:104], -v[97:98]
	v_mov_b32_e32 v69, v73
	v_mov_b32_e32 v70, v74
	;; [unrolled: 1-line block ×4, first 2 shown]
	s_waitcnt lgkmcnt(0)
	v_mul_f64 v[103:104], v[101:102], v[105:106]
	v_fma_f64 v[103:104], v[99:100], v[97:98], -v[103:104]
	v_mul_f64 v[99:100], v[99:100], v[105:106]
	v_add_f64 v[121:122], v[121:122], -v[103:104]
	v_fma_f64 v[99:100], v[101:102], v[97:98], v[99:100]
	v_add_f64 v[123:124], v[123:124], -v[99:100]
	ds_read2_b64 v[99:102], v125 offset0:46 offset1:47
	s_waitcnt lgkmcnt(0)
	v_mul_f64 v[103:104], v[101:102], v[105:106]
	v_fma_f64 v[103:104], v[99:100], v[97:98], -v[103:104]
	v_mul_f64 v[99:100], v[99:100], v[105:106]
	v_add_f64 v[117:118], v[117:118], -v[103:104]
	v_fma_f64 v[99:100], v[101:102], v[97:98], v[99:100]
	v_add_f64 v[119:120], v[119:120], -v[99:100]
	ds_read2_b64 v[99:102], v125 offset0:48 offset1:49
	;; [unrolled: 8-line block ×5, first 2 shown]
	buffer_load_dword v77, off, s[20:23], 0 offset:32 ; 4-byte Folded Reload
	buffer_load_dword v78, off, s[20:23], 0 offset:36 ; 4-byte Folded Reload
	;; [unrolled: 1-line block ×4, first 2 shown]
	s_waitcnt lgkmcnt(0)
	v_mul_f64 v[103:104], v[101:102], v[105:106]
	v_fma_f64 v[103:104], v[99:100], v[97:98], -v[103:104]
	v_mul_f64 v[99:100], v[99:100], v[105:106]
	v_fma_f64 v[99:100], v[101:102], v[97:98], v[99:100]
	s_waitcnt vmcnt(2)
	v_add_f64 v[77:78], v[77:78], -v[103:104]
	s_waitcnt vmcnt(0)
	v_add_f64 v[79:80], v[79:80], -v[99:100]
	buffer_store_dword v77, off, s[20:23], 0 offset:32 ; 4-byte Folded Spill
	s_nop 0
	buffer_store_dword v78, off, s[20:23], 0 offset:36 ; 4-byte Folded Spill
	buffer_store_dword v79, off, s[20:23], 0 offset:40 ; 4-byte Folded Spill
	;; [unrolled: 1-line block ×3, first 2 shown]
	ds_read2_b64 v[99:102], v125 offset0:56 offset1:57
	buffer_load_dword v73, off, s[20:23], 0 offset:16 ; 4-byte Folded Reload
	buffer_load_dword v74, off, s[20:23], 0 offset:20 ; 4-byte Folded Reload
	;; [unrolled: 1-line block ×4, first 2 shown]
	s_waitcnt lgkmcnt(0)
	v_mul_f64 v[103:104], v[101:102], v[105:106]
	v_fma_f64 v[103:104], v[99:100], v[97:98], -v[103:104]
	v_mul_f64 v[99:100], v[99:100], v[105:106]
	v_fma_f64 v[99:100], v[101:102], v[97:98], v[99:100]
	s_waitcnt vmcnt(2)
	v_add_f64 v[73:74], v[73:74], -v[103:104]
	s_waitcnt vmcnt(0)
	v_add_f64 v[75:76], v[75:76], -v[99:100]
	buffer_store_dword v73, off, s[20:23], 0 offset:16 ; 4-byte Folded Spill
	s_nop 0
	buffer_store_dword v74, off, s[20:23], 0 offset:20 ; 4-byte Folded Spill
	buffer_store_dword v75, off, s[20:23], 0 offset:24 ; 4-byte Folded Spill
	;; [unrolled: 1-line block ×3, first 2 shown]
	v_mov_b32_e32 v76, v72
	v_mov_b32_e32 v75, v71
	v_mov_b32_e32 v74, v70
	v_mov_b32_e32 v73, v69
	ds_read2_b64 v[99:102], v125 offset0:58 offset1:59
	buffer_load_dword v69, off, s[20:23], 0 ; 4-byte Folded Reload
	buffer_load_dword v70, off, s[20:23], 0 offset:4 ; 4-byte Folded Reload
	buffer_load_dword v71, off, s[20:23], 0 offset:8 ; 4-byte Folded Reload
	;; [unrolled: 1-line block ×3, first 2 shown]
	s_waitcnt lgkmcnt(0)
	v_mul_f64 v[103:104], v[101:102], v[105:106]
	v_fma_f64 v[103:104], v[99:100], v[97:98], -v[103:104]
	v_mul_f64 v[99:100], v[99:100], v[105:106]
	v_fma_f64 v[99:100], v[101:102], v[97:98], v[99:100]
	s_waitcnt vmcnt(2)
	v_add_f64 v[69:70], v[69:70], -v[103:104]
	s_waitcnt vmcnt(0)
	v_add_f64 v[71:72], v[71:72], -v[99:100]
	buffer_store_dword v69, off, s[20:23], 0 ; 4-byte Folded Spill
	s_nop 0
	buffer_store_dword v70, off, s[20:23], 0 offset:4 ; 4-byte Folded Spill
	buffer_store_dword v71, off, s[20:23], 0 offset:8 ; 4-byte Folded Spill
	buffer_store_dword v72, off, s[20:23], 0 offset:12 ; 4-byte Folded Spill
	ds_read2_b64 v[99:102], v125 offset0:60 offset1:61
	s_waitcnt lgkmcnt(0)
	v_mul_f64 v[103:104], v[101:102], v[105:106]
	v_fma_f64 v[103:104], v[99:100], v[97:98], -v[103:104]
	v_mul_f64 v[99:100], v[99:100], v[105:106]
	v_add_f64 v[65:66], v[65:66], -v[103:104]
	v_fma_f64 v[99:100], v[101:102], v[97:98], v[99:100]
	v_add_f64 v[67:68], v[67:68], -v[99:100]
	ds_read2_b64 v[99:102], v125 offset0:62 offset1:63
	s_waitcnt lgkmcnt(0)
	v_mul_f64 v[103:104], v[101:102], v[105:106]
	v_fma_f64 v[103:104], v[99:100], v[97:98], -v[103:104]
	v_mul_f64 v[99:100], v[99:100], v[105:106]
	v_add_f64 v[61:62], v[61:62], -v[103:104]
	v_fma_f64 v[99:100], v[101:102], v[97:98], v[99:100]
	v_add_f64 v[63:64], v[63:64], -v[99:100]
	;; [unrolled: 8-line block ×17, first 2 shown]
	ds_read2_b64 v[99:102], v125 offset0:94 offset1:95
	s_waitcnt lgkmcnt(0)
	v_mul_f64 v[103:104], v[101:102], v[105:106]
	v_fma_f64 v[103:104], v[99:100], v[97:98], -v[103:104]
	v_mul_f64 v[99:100], v[99:100], v[105:106]
	v_add_f64 v[73:74], v[73:74], -v[103:104]
	v_fma_f64 v[99:100], v[101:102], v[97:98], v[99:100]
	v_mov_b32_e32 v104, v98
	v_mov_b32_e32 v103, v97
	buffer_store_dword v103, off, s[20:23], 0 offset:48 ; 4-byte Folded Spill
	s_nop 0
	buffer_store_dword v104, off, s[20:23], 0 offset:52 ; 4-byte Folded Spill
	buffer_store_dword v105, off, s[20:23], 0 offset:56 ; 4-byte Folded Spill
	buffer_store_dword v106, off, s[20:23], 0 offset:60 ; 4-byte Folded Spill
	v_add_f64 v[75:76], v[75:76], -v[99:100]
.LBB95_199:
	s_or_b64 exec, exec, s[2:3]
	v_cmp_eq_u32_e32 vcc, 22, v0
	s_waitcnt vmcnt(0)
	s_barrier
	s_and_saveexec_b64 s[4:5], vcc
	s_cbranch_execz .LBB95_206
; %bb.200:
	ds_write2_b64 v127, v[121:122], v[123:124] offset1:1
	ds_write2_b64 v125, v[117:118], v[119:120] offset0:46 offset1:47
	ds_write2_b64 v125, v[109:110], v[111:112] offset0:48 offset1:49
	;; [unrolled: 1-line block ×4, first 2 shown]
	buffer_load_dword v77, off, s[20:23], 0 offset:32 ; 4-byte Folded Reload
	buffer_load_dword v78, off, s[20:23], 0 offset:36 ; 4-byte Folded Reload
	;; [unrolled: 1-line block ×4, first 2 shown]
	v_mov_b32_e32 v69, v73
	v_mov_b32_e32 v70, v74
	;; [unrolled: 1-line block ×4, first 2 shown]
	s_waitcnt vmcnt(0)
	ds_write2_b64 v125, v[77:78], v[79:80] offset0:54 offset1:55
	buffer_load_dword v73, off, s[20:23], 0 offset:16 ; 4-byte Folded Reload
	buffer_load_dword v74, off, s[20:23], 0 offset:20 ; 4-byte Folded Reload
	;; [unrolled: 1-line block ×4, first 2 shown]
	s_waitcnt vmcnt(0)
	ds_write2_b64 v125, v[73:74], v[75:76] offset0:56 offset1:57
	v_mov_b32_e32 v76, v72
	v_mov_b32_e32 v75, v71
	v_mov_b32_e32 v74, v70
	v_mov_b32_e32 v73, v69
	buffer_load_dword v69, off, s[20:23], 0 ; 4-byte Folded Reload
	buffer_load_dword v70, off, s[20:23], 0 offset:4 ; 4-byte Folded Reload
	buffer_load_dword v71, off, s[20:23], 0 offset:8 ; 4-byte Folded Reload
	;; [unrolled: 1-line block ×3, first 2 shown]
	s_waitcnt vmcnt(0)
	ds_write2_b64 v125, v[69:70], v[71:72] offset0:58 offset1:59
	ds_write2_b64 v125, v[65:66], v[67:68] offset0:60 offset1:61
	;; [unrolled: 1-line block ×19, first 2 shown]
	ds_read2_b64 v[97:100], v127 offset1:1
	s_waitcnt lgkmcnt(0)
	v_cmp_neq_f64_e32 vcc, 0, v[97:98]
	v_cmp_neq_f64_e64 s[2:3], 0, v[99:100]
	s_or_b64 s[2:3], vcc, s[2:3]
	s_and_b64 exec, exec, s[2:3]
	s_cbranch_execz .LBB95_206
; %bb.201:
	v_cmp_ngt_f64_e64 s[2:3], |v[97:98]|, |v[99:100]|
                                        ; implicit-def: $vgpr101_vgpr102
	s_and_saveexec_b64 s[6:7], s[2:3]
	s_xor_b64 s[2:3], exec, s[6:7]
                                        ; implicit-def: $vgpr103_vgpr104
	s_cbranch_execz .LBB95_203
; %bb.202:
	v_div_scale_f64 v[101:102], s[6:7], v[99:100], v[99:100], v[97:98]
	v_rcp_f64_e32 v[103:104], v[101:102]
	v_fma_f64 v[105:106], -v[101:102], v[103:104], 1.0
	v_fma_f64 v[103:104], v[103:104], v[105:106], v[103:104]
	v_div_scale_f64 v[105:106], vcc, v[97:98], v[99:100], v[97:98]
	v_fma_f64 v[107:108], -v[101:102], v[103:104], 1.0
	v_fma_f64 v[103:104], v[103:104], v[107:108], v[103:104]
	v_mul_f64 v[107:108], v[105:106], v[103:104]
	v_fma_f64 v[101:102], -v[101:102], v[107:108], v[105:106]
	v_div_fmas_f64 v[101:102], v[101:102], v[103:104], v[107:108]
	v_div_fixup_f64 v[101:102], v[101:102], v[99:100], v[97:98]
	v_fma_f64 v[97:98], v[97:98], v[101:102], v[99:100]
	v_div_scale_f64 v[99:100], s[6:7], v[97:98], v[97:98], 1.0
	v_div_scale_f64 v[107:108], vcc, 1.0, v[97:98], 1.0
	v_rcp_f64_e32 v[103:104], v[99:100]
	v_fma_f64 v[105:106], -v[99:100], v[103:104], 1.0
	v_fma_f64 v[103:104], v[103:104], v[105:106], v[103:104]
	v_fma_f64 v[105:106], -v[99:100], v[103:104], 1.0
	v_fma_f64 v[103:104], v[103:104], v[105:106], v[103:104]
	v_mul_f64 v[105:106], v[107:108], v[103:104]
	v_fma_f64 v[99:100], -v[99:100], v[105:106], v[107:108]
	v_div_fmas_f64 v[99:100], v[99:100], v[103:104], v[105:106]
	v_div_fixup_f64 v[103:104], v[99:100], v[97:98], 1.0
                                        ; implicit-def: $vgpr97_vgpr98
	v_mul_f64 v[101:102], v[101:102], v[103:104]
	v_xor_b32_e32 v104, 0x80000000, v104
.LBB95_203:
	s_andn2_saveexec_b64 s[2:3], s[2:3]
	s_cbranch_execz .LBB95_205
; %bb.204:
	v_div_scale_f64 v[101:102], s[6:7], v[97:98], v[97:98], v[99:100]
	v_rcp_f64_e32 v[103:104], v[101:102]
	v_fma_f64 v[105:106], -v[101:102], v[103:104], 1.0
	v_fma_f64 v[103:104], v[103:104], v[105:106], v[103:104]
	v_div_scale_f64 v[105:106], vcc, v[99:100], v[97:98], v[99:100]
	v_fma_f64 v[107:108], -v[101:102], v[103:104], 1.0
	v_fma_f64 v[103:104], v[103:104], v[107:108], v[103:104]
	v_mul_f64 v[107:108], v[105:106], v[103:104]
	v_fma_f64 v[101:102], -v[101:102], v[107:108], v[105:106]
	v_div_fmas_f64 v[101:102], v[101:102], v[103:104], v[107:108]
	v_div_fixup_f64 v[103:104], v[101:102], v[97:98], v[99:100]
	v_fma_f64 v[97:98], v[99:100], v[103:104], v[97:98]
	v_div_scale_f64 v[99:100], s[6:7], v[97:98], v[97:98], 1.0
	v_div_scale_f64 v[107:108], vcc, 1.0, v[97:98], 1.0
	v_rcp_f64_e32 v[101:102], v[99:100]
	v_fma_f64 v[105:106], -v[99:100], v[101:102], 1.0
	v_fma_f64 v[101:102], v[101:102], v[105:106], v[101:102]
	v_fma_f64 v[105:106], -v[99:100], v[101:102], 1.0
	v_fma_f64 v[101:102], v[101:102], v[105:106], v[101:102]
	v_mul_f64 v[105:106], v[107:108], v[101:102]
	v_fma_f64 v[99:100], -v[99:100], v[105:106], v[107:108]
	v_div_fmas_f64 v[99:100], v[99:100], v[101:102], v[105:106]
	v_div_fixup_f64 v[101:102], v[99:100], v[97:98], 1.0
	v_mul_f64 v[103:104], v[103:104], -v[101:102]
.LBB95_205:
	s_or_b64 exec, exec, s[2:3]
	ds_write2_b64 v127, v[101:102], v[103:104] offset1:1
.LBB95_206:
	s_or_b64 exec, exec, s[4:5]
	s_waitcnt lgkmcnt(0)
	s_barrier
	ds_read2_b64 v[69:72], v127 offset1:1
	v_cmp_lt_u32_e32 vcc, 22, v0
	s_waitcnt lgkmcnt(0)
	buffer_store_dword v69, off, s[20:23], 0 offset:1128 ; 4-byte Folded Spill
	s_nop 0
	buffer_store_dword v70, off, s[20:23], 0 offset:1132 ; 4-byte Folded Spill
	buffer_store_dword v71, off, s[20:23], 0 offset:1136 ; 4-byte Folded Spill
	;; [unrolled: 1-line block ×3, first 2 shown]
	s_and_saveexec_b64 s[2:3], vcc
	s_cbranch_execz .LBB95_208
; %bb.207:
	buffer_load_dword v69, off, s[20:23], 0 offset:1128 ; 4-byte Folded Reload
	buffer_load_dword v70, off, s[20:23], 0 offset:1132 ; 4-byte Folded Reload
	;; [unrolled: 1-line block ×4, first 2 shown]
	s_waitcnt vmcnt(2)
	v_mul_f64 v[99:100], v[69:70], v[123:124]
	s_waitcnt vmcnt(0)
	v_mul_f64 v[97:98], v[71:72], v[123:124]
	v_fma_f64 v[123:124], v[71:72], v[121:122], v[99:100]
	ds_read2_b64 v[99:102], v125 offset0:46 offset1:47
	v_fma_f64 v[97:98], v[69:70], v[121:122], -v[97:98]
	v_mov_b32_e32 v69, v73
	v_mov_b32_e32 v70, v74
	;; [unrolled: 1-line block ×4, first 2 shown]
	s_waitcnt lgkmcnt(0)
	v_mul_f64 v[103:104], v[101:102], v[123:124]
	v_mov_b32_e32 v122, v98
	v_mov_b32_e32 v121, v97
	v_fma_f64 v[103:104], v[99:100], v[97:98], -v[103:104]
	v_mul_f64 v[99:100], v[99:100], v[123:124]
	v_add_f64 v[117:118], v[117:118], -v[103:104]
	v_fma_f64 v[99:100], v[101:102], v[97:98], v[99:100]
	v_add_f64 v[119:120], v[119:120], -v[99:100]
	ds_read2_b64 v[99:102], v125 offset0:48 offset1:49
	s_waitcnt lgkmcnt(0)
	v_mul_f64 v[103:104], v[101:102], v[123:124]
	v_fma_f64 v[103:104], v[99:100], v[97:98], -v[103:104]
	v_mul_f64 v[99:100], v[99:100], v[123:124]
	v_add_f64 v[109:110], v[109:110], -v[103:104]
	v_fma_f64 v[99:100], v[101:102], v[97:98], v[99:100]
	v_add_f64 v[111:112], v[111:112], -v[99:100]
	ds_read2_b64 v[99:102], v125 offset0:50 offset1:51
	s_waitcnt lgkmcnt(0)
	v_mul_f64 v[103:104], v[101:102], v[123:124]
	;; [unrolled: 8-line block ×3, first 2 shown]
	v_fma_f64 v[103:104], v[99:100], v[97:98], -v[103:104]
	v_mul_f64 v[99:100], v[99:100], v[123:124]
	v_add_f64 v[93:94], v[93:94], -v[103:104]
	v_fma_f64 v[99:100], v[101:102], v[97:98], v[99:100]
	v_add_f64 v[95:96], v[95:96], -v[99:100]
	ds_read2_b64 v[99:102], v125 offset0:54 offset1:55
	buffer_load_dword v77, off, s[20:23], 0 offset:32 ; 4-byte Folded Reload
	buffer_load_dword v78, off, s[20:23], 0 offset:36 ; 4-byte Folded Reload
	;; [unrolled: 1-line block ×4, first 2 shown]
	s_waitcnt lgkmcnt(0)
	v_mul_f64 v[103:104], v[101:102], v[123:124]
	v_fma_f64 v[103:104], v[99:100], v[97:98], -v[103:104]
	v_mul_f64 v[99:100], v[99:100], v[123:124]
	v_fma_f64 v[99:100], v[101:102], v[97:98], v[99:100]
	s_waitcnt vmcnt(2)
	v_add_f64 v[77:78], v[77:78], -v[103:104]
	s_waitcnt vmcnt(0)
	v_add_f64 v[79:80], v[79:80], -v[99:100]
	buffer_store_dword v77, off, s[20:23], 0 offset:32 ; 4-byte Folded Spill
	s_nop 0
	buffer_store_dword v78, off, s[20:23], 0 offset:36 ; 4-byte Folded Spill
	buffer_store_dword v79, off, s[20:23], 0 offset:40 ; 4-byte Folded Spill
	;; [unrolled: 1-line block ×3, first 2 shown]
	ds_read2_b64 v[99:102], v125 offset0:56 offset1:57
	buffer_load_dword v73, off, s[20:23], 0 offset:16 ; 4-byte Folded Reload
	buffer_load_dword v74, off, s[20:23], 0 offset:20 ; 4-byte Folded Reload
	;; [unrolled: 1-line block ×4, first 2 shown]
	s_waitcnt lgkmcnt(0)
	v_mul_f64 v[103:104], v[101:102], v[123:124]
	v_fma_f64 v[103:104], v[99:100], v[97:98], -v[103:104]
	v_mul_f64 v[99:100], v[99:100], v[123:124]
	v_fma_f64 v[99:100], v[101:102], v[97:98], v[99:100]
	s_waitcnt vmcnt(2)
	v_add_f64 v[73:74], v[73:74], -v[103:104]
	s_waitcnt vmcnt(0)
	v_add_f64 v[75:76], v[75:76], -v[99:100]
	buffer_store_dword v73, off, s[20:23], 0 offset:16 ; 4-byte Folded Spill
	s_nop 0
	buffer_store_dword v74, off, s[20:23], 0 offset:20 ; 4-byte Folded Spill
	buffer_store_dword v75, off, s[20:23], 0 offset:24 ; 4-byte Folded Spill
	;; [unrolled: 1-line block ×3, first 2 shown]
	v_mov_b32_e32 v76, v72
	v_mov_b32_e32 v75, v71
	;; [unrolled: 1-line block ×4, first 2 shown]
	ds_read2_b64 v[99:102], v125 offset0:58 offset1:59
	buffer_load_dword v69, off, s[20:23], 0 ; 4-byte Folded Reload
	buffer_load_dword v70, off, s[20:23], 0 offset:4 ; 4-byte Folded Reload
	buffer_load_dword v71, off, s[20:23], 0 offset:8 ; 4-byte Folded Reload
	;; [unrolled: 1-line block ×3, first 2 shown]
	s_waitcnt lgkmcnt(0)
	v_mul_f64 v[103:104], v[101:102], v[123:124]
	v_fma_f64 v[103:104], v[99:100], v[97:98], -v[103:104]
	v_mul_f64 v[99:100], v[99:100], v[123:124]
	v_fma_f64 v[99:100], v[101:102], v[97:98], v[99:100]
	s_waitcnt vmcnt(2)
	v_add_f64 v[69:70], v[69:70], -v[103:104]
	s_waitcnt vmcnt(0)
	v_add_f64 v[71:72], v[71:72], -v[99:100]
	buffer_store_dword v69, off, s[20:23], 0 ; 4-byte Folded Spill
	s_nop 0
	buffer_store_dword v70, off, s[20:23], 0 offset:4 ; 4-byte Folded Spill
	buffer_store_dword v71, off, s[20:23], 0 offset:8 ; 4-byte Folded Spill
	;; [unrolled: 1-line block ×3, first 2 shown]
	ds_read2_b64 v[99:102], v125 offset0:60 offset1:61
	s_waitcnt lgkmcnt(0)
	v_mul_f64 v[103:104], v[101:102], v[123:124]
	v_fma_f64 v[103:104], v[99:100], v[97:98], -v[103:104]
	v_mul_f64 v[99:100], v[99:100], v[123:124]
	v_add_f64 v[65:66], v[65:66], -v[103:104]
	v_fma_f64 v[99:100], v[101:102], v[97:98], v[99:100]
	v_add_f64 v[67:68], v[67:68], -v[99:100]
	ds_read2_b64 v[99:102], v125 offset0:62 offset1:63
	s_waitcnt lgkmcnt(0)
	v_mul_f64 v[103:104], v[101:102], v[123:124]
	v_fma_f64 v[103:104], v[99:100], v[97:98], -v[103:104]
	v_mul_f64 v[99:100], v[99:100], v[123:124]
	v_add_f64 v[61:62], v[61:62], -v[103:104]
	v_fma_f64 v[99:100], v[101:102], v[97:98], v[99:100]
	v_add_f64 v[63:64], v[63:64], -v[99:100]
	;; [unrolled: 8-line block ×18, first 2 shown]
.LBB95_208:
	s_or_b64 exec, exec, s[2:3]
	v_cmp_eq_u32_e32 vcc, 23, v0
	s_waitcnt vmcnt(0)
	s_barrier
	s_and_saveexec_b64 s[4:5], vcc
	s_cbranch_execz .LBB95_215
; %bb.209:
	ds_write2_b64 v127, v[117:118], v[119:120] offset1:1
	ds_write2_b64 v125, v[109:110], v[111:112] offset0:48 offset1:49
	ds_write2_b64 v125, v[113:114], v[115:116] offset0:50 offset1:51
	;; [unrolled: 1-line block ×3, first 2 shown]
	buffer_load_dword v77, off, s[20:23], 0 offset:32 ; 4-byte Folded Reload
	buffer_load_dword v78, off, s[20:23], 0 offset:36 ; 4-byte Folded Reload
	;; [unrolled: 1-line block ×4, first 2 shown]
	v_mov_b32_e32 v69, v73
	v_mov_b32_e32 v70, v74
	;; [unrolled: 1-line block ×4, first 2 shown]
	s_waitcnt vmcnt(0)
	ds_write2_b64 v125, v[77:78], v[79:80] offset0:54 offset1:55
	buffer_load_dword v73, off, s[20:23], 0 offset:16 ; 4-byte Folded Reload
	buffer_load_dword v74, off, s[20:23], 0 offset:20 ; 4-byte Folded Reload
	;; [unrolled: 1-line block ×4, first 2 shown]
	s_waitcnt vmcnt(0)
	ds_write2_b64 v125, v[73:74], v[75:76] offset0:56 offset1:57
	v_mov_b32_e32 v76, v72
	v_mov_b32_e32 v75, v71
	;; [unrolled: 1-line block ×4, first 2 shown]
	buffer_load_dword v69, off, s[20:23], 0 ; 4-byte Folded Reload
	buffer_load_dword v70, off, s[20:23], 0 offset:4 ; 4-byte Folded Reload
	buffer_load_dword v71, off, s[20:23], 0 offset:8 ; 4-byte Folded Reload
	;; [unrolled: 1-line block ×3, first 2 shown]
	s_waitcnt vmcnt(0)
	ds_write2_b64 v125, v[69:70], v[71:72] offset0:58 offset1:59
	ds_write2_b64 v125, v[65:66], v[67:68] offset0:60 offset1:61
	;; [unrolled: 1-line block ×19, first 2 shown]
	ds_read2_b64 v[97:100], v127 offset1:1
	s_waitcnt lgkmcnt(0)
	v_cmp_neq_f64_e32 vcc, 0, v[97:98]
	v_cmp_neq_f64_e64 s[2:3], 0, v[99:100]
	s_or_b64 s[2:3], vcc, s[2:3]
	s_and_b64 exec, exec, s[2:3]
	s_cbranch_execz .LBB95_215
; %bb.210:
	v_cmp_ngt_f64_e64 s[2:3], |v[97:98]|, |v[99:100]|
                                        ; implicit-def: $vgpr101_vgpr102
	s_and_saveexec_b64 s[6:7], s[2:3]
	s_xor_b64 s[2:3], exec, s[6:7]
                                        ; implicit-def: $vgpr103_vgpr104
	s_cbranch_execz .LBB95_212
; %bb.211:
	v_div_scale_f64 v[101:102], s[6:7], v[99:100], v[99:100], v[97:98]
	v_rcp_f64_e32 v[103:104], v[101:102]
	v_fma_f64 v[105:106], -v[101:102], v[103:104], 1.0
	v_fma_f64 v[103:104], v[103:104], v[105:106], v[103:104]
	v_div_scale_f64 v[105:106], vcc, v[97:98], v[99:100], v[97:98]
	v_fma_f64 v[107:108], -v[101:102], v[103:104], 1.0
	v_fma_f64 v[103:104], v[103:104], v[107:108], v[103:104]
	v_mul_f64 v[107:108], v[105:106], v[103:104]
	v_fma_f64 v[101:102], -v[101:102], v[107:108], v[105:106]
	v_div_fmas_f64 v[101:102], v[101:102], v[103:104], v[107:108]
	v_div_fixup_f64 v[101:102], v[101:102], v[99:100], v[97:98]
	v_fma_f64 v[97:98], v[97:98], v[101:102], v[99:100]
	v_div_scale_f64 v[99:100], s[6:7], v[97:98], v[97:98], 1.0
	v_div_scale_f64 v[107:108], vcc, 1.0, v[97:98], 1.0
	v_rcp_f64_e32 v[103:104], v[99:100]
	v_fma_f64 v[105:106], -v[99:100], v[103:104], 1.0
	v_fma_f64 v[103:104], v[103:104], v[105:106], v[103:104]
	v_fma_f64 v[105:106], -v[99:100], v[103:104], 1.0
	v_fma_f64 v[103:104], v[103:104], v[105:106], v[103:104]
	v_mul_f64 v[105:106], v[107:108], v[103:104]
	v_fma_f64 v[99:100], -v[99:100], v[105:106], v[107:108]
	v_div_fmas_f64 v[99:100], v[99:100], v[103:104], v[105:106]
	v_div_fixup_f64 v[103:104], v[99:100], v[97:98], 1.0
                                        ; implicit-def: $vgpr97_vgpr98
	v_mul_f64 v[101:102], v[101:102], v[103:104]
	v_xor_b32_e32 v104, 0x80000000, v104
.LBB95_212:
	s_andn2_saveexec_b64 s[2:3], s[2:3]
	s_cbranch_execz .LBB95_214
; %bb.213:
	v_div_scale_f64 v[101:102], s[6:7], v[97:98], v[97:98], v[99:100]
	v_rcp_f64_e32 v[103:104], v[101:102]
	v_fma_f64 v[105:106], -v[101:102], v[103:104], 1.0
	v_fma_f64 v[103:104], v[103:104], v[105:106], v[103:104]
	v_div_scale_f64 v[105:106], vcc, v[99:100], v[97:98], v[99:100]
	v_fma_f64 v[107:108], -v[101:102], v[103:104], 1.0
	v_fma_f64 v[103:104], v[103:104], v[107:108], v[103:104]
	v_mul_f64 v[107:108], v[105:106], v[103:104]
	v_fma_f64 v[101:102], -v[101:102], v[107:108], v[105:106]
	v_div_fmas_f64 v[101:102], v[101:102], v[103:104], v[107:108]
	v_div_fixup_f64 v[103:104], v[101:102], v[97:98], v[99:100]
	v_fma_f64 v[97:98], v[99:100], v[103:104], v[97:98]
	v_div_scale_f64 v[99:100], s[6:7], v[97:98], v[97:98], 1.0
	v_div_scale_f64 v[107:108], vcc, 1.0, v[97:98], 1.0
	v_rcp_f64_e32 v[101:102], v[99:100]
	v_fma_f64 v[105:106], -v[99:100], v[101:102], 1.0
	v_fma_f64 v[101:102], v[101:102], v[105:106], v[101:102]
	v_fma_f64 v[105:106], -v[99:100], v[101:102], 1.0
	v_fma_f64 v[101:102], v[101:102], v[105:106], v[101:102]
	v_mul_f64 v[105:106], v[107:108], v[101:102]
	v_fma_f64 v[99:100], -v[99:100], v[105:106], v[107:108]
	v_div_fmas_f64 v[99:100], v[99:100], v[101:102], v[105:106]
	v_div_fixup_f64 v[101:102], v[99:100], v[97:98], 1.0
	v_mul_f64 v[103:104], v[103:104], -v[101:102]
.LBB95_214:
	s_or_b64 exec, exec, s[2:3]
	ds_write2_b64 v127, v[101:102], v[103:104] offset1:1
.LBB95_215:
	s_or_b64 exec, exec, s[4:5]
	s_waitcnt lgkmcnt(0)
	s_barrier
	ds_read2_b64 v[69:72], v127 offset1:1
	v_cmp_lt_u32_e32 vcc, 23, v0
	s_waitcnt lgkmcnt(0)
	buffer_store_dword v69, off, s[20:23], 0 offset:1144 ; 4-byte Folded Spill
	s_nop 0
	buffer_store_dword v70, off, s[20:23], 0 offset:1148 ; 4-byte Folded Spill
	buffer_store_dword v71, off, s[20:23], 0 offset:1152 ; 4-byte Folded Spill
	;; [unrolled: 1-line block ×3, first 2 shown]
	s_and_saveexec_b64 s[2:3], vcc
	s_cbranch_execz .LBB95_217
; %bb.216:
	buffer_load_dword v69, off, s[20:23], 0 offset:1144 ; 4-byte Folded Reload
	buffer_load_dword v70, off, s[20:23], 0 offset:1148 ; 4-byte Folded Reload
	;; [unrolled: 1-line block ×4, first 2 shown]
	v_mov_b32_e32 v106, v96
	v_mov_b32_e32 v105, v95
	;; [unrolled: 1-line block ×4, first 2 shown]
	ds_read2_b64 v[99:102], v125 offset0:48 offset1:49
	s_waitcnt vmcnt(2)
	v_mul_f64 v[95:96], v[69:70], v[119:120]
	s_waitcnt vmcnt(0)
	v_mul_f64 v[97:98], v[71:72], v[119:120]
	v_fma_f64 v[119:120], v[71:72], v[117:118], v[95:96]
	v_fma_f64 v[97:98], v[69:70], v[117:118], -v[97:98]
	v_mov_b32_e32 v69, v73
	v_mov_b32_e32 v70, v74
	;; [unrolled: 1-line block ×4, first 2 shown]
	s_waitcnt lgkmcnt(0)
	v_mul_f64 v[93:94], v[101:102], v[119:120]
	v_mov_b32_e32 v118, v98
	v_mov_b32_e32 v117, v97
	v_fma_f64 v[93:94], v[99:100], v[97:98], -v[93:94]
	v_mul_f64 v[99:100], v[99:100], v[119:120]
	v_add_f64 v[109:110], v[109:110], -v[93:94]
	v_fma_f64 v[99:100], v[101:102], v[97:98], v[99:100]
	v_add_f64 v[111:112], v[111:112], -v[99:100]
	ds_read2_b64 v[99:102], v125 offset0:50 offset1:51
	s_waitcnt lgkmcnt(0)
	v_mul_f64 v[93:94], v[101:102], v[119:120]
	v_fma_f64 v[93:94], v[99:100], v[97:98], -v[93:94]
	v_mul_f64 v[99:100], v[99:100], v[119:120]
	v_add_f64 v[113:114], v[113:114], -v[93:94]
	v_fma_f64 v[99:100], v[101:102], v[97:98], v[99:100]
	v_add_f64 v[115:116], v[115:116], -v[99:100]
	ds_read2_b64 v[99:102], v125 offset0:52 offset1:53
	s_waitcnt lgkmcnt(0)
	v_mul_f64 v[93:94], v[101:102], v[119:120]
	v_fma_f64 v[93:94], v[99:100], v[97:98], -v[93:94]
	v_mul_f64 v[99:100], v[99:100], v[119:120]
	v_add_f64 v[103:104], v[103:104], -v[93:94]
	v_fma_f64 v[99:100], v[101:102], v[97:98], v[99:100]
	v_add_f64 v[105:106], v[105:106], -v[99:100]
	ds_read2_b64 v[99:102], v125 offset0:54 offset1:55
	buffer_load_dword v77, off, s[20:23], 0 offset:32 ; 4-byte Folded Reload
	buffer_load_dword v78, off, s[20:23], 0 offset:36 ; 4-byte Folded Reload
	;; [unrolled: 1-line block ×4, first 2 shown]
	s_waitcnt lgkmcnt(0)
	v_mul_f64 v[93:94], v[101:102], v[119:120]
	v_fma_f64 v[93:94], v[99:100], v[97:98], -v[93:94]
	v_mul_f64 v[99:100], v[99:100], v[119:120]
	v_fma_f64 v[99:100], v[101:102], v[97:98], v[99:100]
	s_waitcnt vmcnt(2)
	v_add_f64 v[77:78], v[77:78], -v[93:94]
	s_waitcnt vmcnt(0)
	v_add_f64 v[79:80], v[79:80], -v[99:100]
	buffer_store_dword v77, off, s[20:23], 0 offset:32 ; 4-byte Folded Spill
	s_nop 0
	buffer_store_dword v78, off, s[20:23], 0 offset:36 ; 4-byte Folded Spill
	buffer_store_dword v79, off, s[20:23], 0 offset:40 ; 4-byte Folded Spill
	;; [unrolled: 1-line block ×3, first 2 shown]
	ds_read2_b64 v[99:102], v125 offset0:56 offset1:57
	buffer_load_dword v73, off, s[20:23], 0 offset:16 ; 4-byte Folded Reload
	buffer_load_dword v74, off, s[20:23], 0 offset:20 ; 4-byte Folded Reload
	;; [unrolled: 1-line block ×4, first 2 shown]
	s_waitcnt lgkmcnt(0)
	v_mul_f64 v[93:94], v[101:102], v[119:120]
	v_fma_f64 v[93:94], v[99:100], v[97:98], -v[93:94]
	v_mul_f64 v[99:100], v[99:100], v[119:120]
	v_fma_f64 v[99:100], v[101:102], v[97:98], v[99:100]
	s_waitcnt vmcnt(2)
	v_add_f64 v[73:74], v[73:74], -v[93:94]
	s_waitcnt vmcnt(0)
	v_add_f64 v[75:76], v[75:76], -v[99:100]
	buffer_store_dword v73, off, s[20:23], 0 offset:16 ; 4-byte Folded Spill
	s_nop 0
	buffer_store_dword v74, off, s[20:23], 0 offset:20 ; 4-byte Folded Spill
	buffer_store_dword v75, off, s[20:23], 0 offset:24 ; 4-byte Folded Spill
	;; [unrolled: 1-line block ×3, first 2 shown]
	v_mov_b32_e32 v76, v72
	v_mov_b32_e32 v75, v71
	;; [unrolled: 1-line block ×4, first 2 shown]
	ds_read2_b64 v[99:102], v125 offset0:58 offset1:59
	buffer_load_dword v69, off, s[20:23], 0 ; 4-byte Folded Reload
	buffer_load_dword v70, off, s[20:23], 0 offset:4 ; 4-byte Folded Reload
	buffer_load_dword v71, off, s[20:23], 0 offset:8 ; 4-byte Folded Reload
	buffer_load_dword v72, off, s[20:23], 0 offset:12 ; 4-byte Folded Reload
	s_waitcnt lgkmcnt(0)
	v_mul_f64 v[93:94], v[101:102], v[119:120]
	v_fma_f64 v[93:94], v[99:100], v[97:98], -v[93:94]
	v_mul_f64 v[99:100], v[99:100], v[119:120]
	v_fma_f64 v[99:100], v[101:102], v[97:98], v[99:100]
	s_waitcnt vmcnt(2)
	v_add_f64 v[69:70], v[69:70], -v[93:94]
	s_waitcnt vmcnt(0)
	v_add_f64 v[71:72], v[71:72], -v[99:100]
	buffer_store_dword v69, off, s[20:23], 0 ; 4-byte Folded Spill
	s_nop 0
	buffer_store_dword v70, off, s[20:23], 0 offset:4 ; 4-byte Folded Spill
	buffer_store_dword v71, off, s[20:23], 0 offset:8 ; 4-byte Folded Spill
	;; [unrolled: 1-line block ×3, first 2 shown]
	ds_read2_b64 v[99:102], v125 offset0:60 offset1:61
	s_waitcnt lgkmcnt(0)
	v_mul_f64 v[93:94], v[101:102], v[119:120]
	v_fma_f64 v[93:94], v[99:100], v[97:98], -v[93:94]
	v_mul_f64 v[99:100], v[99:100], v[119:120]
	v_add_f64 v[65:66], v[65:66], -v[93:94]
	v_fma_f64 v[99:100], v[101:102], v[97:98], v[99:100]
	v_add_f64 v[67:68], v[67:68], -v[99:100]
	ds_read2_b64 v[99:102], v125 offset0:62 offset1:63
	s_waitcnt lgkmcnt(0)
	v_mul_f64 v[93:94], v[101:102], v[119:120]
	v_fma_f64 v[93:94], v[99:100], v[97:98], -v[93:94]
	v_mul_f64 v[99:100], v[99:100], v[119:120]
	v_add_f64 v[61:62], v[61:62], -v[93:94]
	v_fma_f64 v[99:100], v[101:102], v[97:98], v[99:100]
	v_add_f64 v[63:64], v[63:64], -v[99:100]
	;; [unrolled: 8-line block ×17, first 2 shown]
	ds_read2_b64 v[99:102], v125 offset0:94 offset1:95
	s_waitcnt lgkmcnt(0)
	v_mul_f64 v[93:94], v[101:102], v[119:120]
	v_fma_f64 v[93:94], v[99:100], v[97:98], -v[93:94]
	v_mul_f64 v[99:100], v[99:100], v[119:120]
	v_add_f64 v[73:74], v[73:74], -v[93:94]
	v_fma_f64 v[99:100], v[101:102], v[97:98], v[99:100]
	v_mov_b32_e32 v93, v103
	v_mov_b32_e32 v94, v104
	;; [unrolled: 1-line block ×4, first 2 shown]
	v_add_f64 v[75:76], v[75:76], -v[99:100]
.LBB95_217:
	s_or_b64 exec, exec, s[2:3]
	v_cmp_eq_u32_e32 vcc, 24, v0
	s_waitcnt vmcnt(0)
	s_barrier
	s_and_saveexec_b64 s[4:5], vcc
	s_cbranch_execz .LBB95_224
; %bb.218:
	ds_write2_b64 v127, v[109:110], v[111:112] offset1:1
	ds_write2_b64 v125, v[113:114], v[115:116] offset0:50 offset1:51
	ds_write2_b64 v125, v[93:94], v[95:96] offset0:52 offset1:53
	buffer_load_dword v77, off, s[20:23], 0 offset:32 ; 4-byte Folded Reload
	buffer_load_dword v78, off, s[20:23], 0 offset:36 ; 4-byte Folded Reload
	buffer_load_dword v79, off, s[20:23], 0 offset:40 ; 4-byte Folded Reload
	buffer_load_dword v80, off, s[20:23], 0 offset:44 ; 4-byte Folded Reload
	v_mov_b32_e32 v69, v73
	v_mov_b32_e32 v70, v74
	;; [unrolled: 1-line block ×4, first 2 shown]
	s_waitcnt vmcnt(0)
	ds_write2_b64 v125, v[77:78], v[79:80] offset0:54 offset1:55
	buffer_load_dword v73, off, s[20:23], 0 offset:16 ; 4-byte Folded Reload
	buffer_load_dword v74, off, s[20:23], 0 offset:20 ; 4-byte Folded Reload
	;; [unrolled: 1-line block ×4, first 2 shown]
	s_waitcnt vmcnt(0)
	ds_write2_b64 v125, v[73:74], v[75:76] offset0:56 offset1:57
	v_mov_b32_e32 v76, v72
	v_mov_b32_e32 v75, v71
	;; [unrolled: 1-line block ×4, first 2 shown]
	buffer_load_dword v69, off, s[20:23], 0 ; 4-byte Folded Reload
	buffer_load_dword v70, off, s[20:23], 0 offset:4 ; 4-byte Folded Reload
	buffer_load_dword v71, off, s[20:23], 0 offset:8 ; 4-byte Folded Reload
	;; [unrolled: 1-line block ×3, first 2 shown]
	s_waitcnt vmcnt(0)
	ds_write2_b64 v125, v[69:70], v[71:72] offset0:58 offset1:59
	ds_write2_b64 v125, v[65:66], v[67:68] offset0:60 offset1:61
	;; [unrolled: 1-line block ×19, first 2 shown]
	ds_read2_b64 v[97:100], v127 offset1:1
	s_waitcnt lgkmcnt(0)
	v_cmp_neq_f64_e32 vcc, 0, v[97:98]
	v_cmp_neq_f64_e64 s[2:3], 0, v[99:100]
	s_or_b64 s[2:3], vcc, s[2:3]
	s_and_b64 exec, exec, s[2:3]
	s_cbranch_execz .LBB95_224
; %bb.219:
	v_cmp_ngt_f64_e64 s[2:3], |v[97:98]|, |v[99:100]|
                                        ; implicit-def: $vgpr101_vgpr102
	s_and_saveexec_b64 s[6:7], s[2:3]
	s_xor_b64 s[2:3], exec, s[6:7]
                                        ; implicit-def: $vgpr103_vgpr104
	s_cbranch_execz .LBB95_221
; %bb.220:
	v_div_scale_f64 v[101:102], s[6:7], v[99:100], v[99:100], v[97:98]
	v_rcp_f64_e32 v[103:104], v[101:102]
	v_fma_f64 v[105:106], -v[101:102], v[103:104], 1.0
	v_fma_f64 v[103:104], v[103:104], v[105:106], v[103:104]
	v_div_scale_f64 v[105:106], vcc, v[97:98], v[99:100], v[97:98]
	v_fma_f64 v[107:108], -v[101:102], v[103:104], 1.0
	v_fma_f64 v[103:104], v[103:104], v[107:108], v[103:104]
	v_mul_f64 v[107:108], v[105:106], v[103:104]
	v_fma_f64 v[101:102], -v[101:102], v[107:108], v[105:106]
	v_div_fmas_f64 v[101:102], v[101:102], v[103:104], v[107:108]
	v_div_fixup_f64 v[101:102], v[101:102], v[99:100], v[97:98]
	v_fma_f64 v[97:98], v[97:98], v[101:102], v[99:100]
	v_div_scale_f64 v[99:100], s[6:7], v[97:98], v[97:98], 1.0
	v_div_scale_f64 v[107:108], vcc, 1.0, v[97:98], 1.0
	v_rcp_f64_e32 v[103:104], v[99:100]
	v_fma_f64 v[105:106], -v[99:100], v[103:104], 1.0
	v_fma_f64 v[103:104], v[103:104], v[105:106], v[103:104]
	v_fma_f64 v[105:106], -v[99:100], v[103:104], 1.0
	v_fma_f64 v[103:104], v[103:104], v[105:106], v[103:104]
	v_mul_f64 v[105:106], v[107:108], v[103:104]
	v_fma_f64 v[99:100], -v[99:100], v[105:106], v[107:108]
	v_div_fmas_f64 v[99:100], v[99:100], v[103:104], v[105:106]
	v_div_fixup_f64 v[103:104], v[99:100], v[97:98], 1.0
                                        ; implicit-def: $vgpr97_vgpr98
	v_mul_f64 v[101:102], v[101:102], v[103:104]
	v_xor_b32_e32 v104, 0x80000000, v104
.LBB95_221:
	s_andn2_saveexec_b64 s[2:3], s[2:3]
	s_cbranch_execz .LBB95_223
; %bb.222:
	v_div_scale_f64 v[101:102], s[6:7], v[97:98], v[97:98], v[99:100]
	v_rcp_f64_e32 v[103:104], v[101:102]
	v_fma_f64 v[105:106], -v[101:102], v[103:104], 1.0
	v_fma_f64 v[103:104], v[103:104], v[105:106], v[103:104]
	v_div_scale_f64 v[105:106], vcc, v[99:100], v[97:98], v[99:100]
	v_fma_f64 v[107:108], -v[101:102], v[103:104], 1.0
	v_fma_f64 v[103:104], v[103:104], v[107:108], v[103:104]
	v_mul_f64 v[107:108], v[105:106], v[103:104]
	v_fma_f64 v[101:102], -v[101:102], v[107:108], v[105:106]
	v_div_fmas_f64 v[101:102], v[101:102], v[103:104], v[107:108]
	v_div_fixup_f64 v[103:104], v[101:102], v[97:98], v[99:100]
	v_fma_f64 v[97:98], v[99:100], v[103:104], v[97:98]
	v_div_scale_f64 v[99:100], s[6:7], v[97:98], v[97:98], 1.0
	v_div_scale_f64 v[107:108], vcc, 1.0, v[97:98], 1.0
	v_rcp_f64_e32 v[101:102], v[99:100]
	v_fma_f64 v[105:106], -v[99:100], v[101:102], 1.0
	v_fma_f64 v[101:102], v[101:102], v[105:106], v[101:102]
	v_fma_f64 v[105:106], -v[99:100], v[101:102], 1.0
	v_fma_f64 v[101:102], v[101:102], v[105:106], v[101:102]
	v_mul_f64 v[105:106], v[107:108], v[101:102]
	v_fma_f64 v[99:100], -v[99:100], v[105:106], v[107:108]
	v_div_fmas_f64 v[99:100], v[99:100], v[101:102], v[105:106]
	v_div_fixup_f64 v[101:102], v[99:100], v[97:98], 1.0
	v_mul_f64 v[103:104], v[103:104], -v[101:102]
.LBB95_223:
	s_or_b64 exec, exec, s[2:3]
	ds_write2_b64 v127, v[101:102], v[103:104] offset1:1
.LBB95_224:
	s_or_b64 exec, exec, s[4:5]
	s_waitcnt lgkmcnt(0)
	s_barrier
	ds_read2_b64 v[69:72], v127 offset1:1
	v_cmp_lt_u32_e32 vcc, 24, v0
	s_waitcnt lgkmcnt(0)
	buffer_store_dword v69, off, s[20:23], 0 offset:1160 ; 4-byte Folded Spill
	s_nop 0
	buffer_store_dword v70, off, s[20:23], 0 offset:1164 ; 4-byte Folded Spill
	buffer_store_dword v71, off, s[20:23], 0 offset:1168 ; 4-byte Folded Spill
	;; [unrolled: 1-line block ×3, first 2 shown]
	s_and_saveexec_b64 s[2:3], vcc
	s_cbranch_execz .LBB95_226
; %bb.225:
	buffer_load_dword v69, off, s[20:23], 0 offset:1160 ; 4-byte Folded Reload
	buffer_load_dword v70, off, s[20:23], 0 offset:1164 ; 4-byte Folded Reload
	;; [unrolled: 1-line block ×4, first 2 shown]
	v_mov_b32_e32 v89, v91
	v_mov_b32_e32 v90, v92
	ds_read2_b64 v[99:102], v125 offset0:50 offset1:51
	s_waitcnt vmcnt(2)
	v_mul_f64 v[91:92], v[69:70], v[111:112]
	s_waitcnt vmcnt(0)
	v_mul_f64 v[97:98], v[71:72], v[111:112]
	v_fma_f64 v[111:112], v[71:72], v[109:110], v[91:92]
	v_mov_b32_e32 v92, v90
	v_fma_f64 v[97:98], v[69:70], v[109:110], -v[97:98]
	v_mov_b32_e32 v91, v89
	v_mov_b32_e32 v69, v73
	;; [unrolled: 1-line block ×5, first 2 shown]
	s_waitcnt lgkmcnt(0)
	v_mul_f64 v[89:90], v[101:102], v[111:112]
	v_mov_b32_e32 v110, v98
	v_mov_b32_e32 v109, v97
	v_fma_f64 v[89:90], v[99:100], v[97:98], -v[89:90]
	v_mul_f64 v[99:100], v[99:100], v[111:112]
	v_add_f64 v[113:114], v[113:114], -v[89:90]
	v_fma_f64 v[99:100], v[101:102], v[97:98], v[99:100]
	v_add_f64 v[115:116], v[115:116], -v[99:100]
	ds_read2_b64 v[99:102], v125 offset0:52 offset1:53
	s_waitcnt lgkmcnt(0)
	v_mul_f64 v[89:90], v[101:102], v[111:112]
	v_fma_f64 v[89:90], v[99:100], v[97:98], -v[89:90]
	v_mul_f64 v[99:100], v[99:100], v[111:112]
	v_add_f64 v[93:94], v[93:94], -v[89:90]
	v_fma_f64 v[99:100], v[101:102], v[97:98], v[99:100]
	v_add_f64 v[95:96], v[95:96], -v[99:100]
	ds_read2_b64 v[99:102], v125 offset0:54 offset1:55
	buffer_load_dword v77, off, s[20:23], 0 offset:32 ; 4-byte Folded Reload
	buffer_load_dword v78, off, s[20:23], 0 offset:36 ; 4-byte Folded Reload
	;; [unrolled: 1-line block ×4, first 2 shown]
	s_waitcnt lgkmcnt(0)
	v_mul_f64 v[89:90], v[101:102], v[111:112]
	v_fma_f64 v[89:90], v[99:100], v[97:98], -v[89:90]
	v_mul_f64 v[99:100], v[99:100], v[111:112]
	v_fma_f64 v[99:100], v[101:102], v[97:98], v[99:100]
	s_waitcnt vmcnt(2)
	v_add_f64 v[77:78], v[77:78], -v[89:90]
	s_waitcnt vmcnt(0)
	v_add_f64 v[79:80], v[79:80], -v[99:100]
	buffer_store_dword v77, off, s[20:23], 0 offset:32 ; 4-byte Folded Spill
	s_nop 0
	buffer_store_dword v78, off, s[20:23], 0 offset:36 ; 4-byte Folded Spill
	buffer_store_dword v79, off, s[20:23], 0 offset:40 ; 4-byte Folded Spill
	buffer_store_dword v80, off, s[20:23], 0 offset:44 ; 4-byte Folded Spill
	ds_read2_b64 v[99:102], v125 offset0:56 offset1:57
	buffer_load_dword v73, off, s[20:23], 0 offset:16 ; 4-byte Folded Reload
	buffer_load_dword v74, off, s[20:23], 0 offset:20 ; 4-byte Folded Reload
	buffer_load_dword v75, off, s[20:23], 0 offset:24 ; 4-byte Folded Reload
	buffer_load_dword v76, off, s[20:23], 0 offset:28 ; 4-byte Folded Reload
	s_waitcnt lgkmcnt(0)
	v_mul_f64 v[89:90], v[101:102], v[111:112]
	v_fma_f64 v[89:90], v[99:100], v[97:98], -v[89:90]
	v_mul_f64 v[99:100], v[99:100], v[111:112]
	v_fma_f64 v[99:100], v[101:102], v[97:98], v[99:100]
	s_waitcnt vmcnt(2)
	v_add_f64 v[73:74], v[73:74], -v[89:90]
	s_waitcnt vmcnt(0)
	v_add_f64 v[75:76], v[75:76], -v[99:100]
	buffer_store_dword v73, off, s[20:23], 0 offset:16 ; 4-byte Folded Spill
	s_nop 0
	buffer_store_dword v74, off, s[20:23], 0 offset:20 ; 4-byte Folded Spill
	buffer_store_dword v75, off, s[20:23], 0 offset:24 ; 4-byte Folded Spill
	;; [unrolled: 1-line block ×3, first 2 shown]
	v_mov_b32_e32 v76, v72
	v_mov_b32_e32 v75, v71
	;; [unrolled: 1-line block ×4, first 2 shown]
	ds_read2_b64 v[99:102], v125 offset0:58 offset1:59
	buffer_load_dword v69, off, s[20:23], 0 ; 4-byte Folded Reload
	buffer_load_dword v70, off, s[20:23], 0 offset:4 ; 4-byte Folded Reload
	buffer_load_dword v71, off, s[20:23], 0 offset:8 ; 4-byte Folded Reload
	;; [unrolled: 1-line block ×3, first 2 shown]
	s_waitcnt lgkmcnt(0)
	v_mul_f64 v[89:90], v[101:102], v[111:112]
	v_fma_f64 v[89:90], v[99:100], v[97:98], -v[89:90]
	v_mul_f64 v[99:100], v[99:100], v[111:112]
	v_fma_f64 v[99:100], v[101:102], v[97:98], v[99:100]
	s_waitcnt vmcnt(2)
	v_add_f64 v[69:70], v[69:70], -v[89:90]
	s_waitcnt vmcnt(0)
	v_add_f64 v[71:72], v[71:72], -v[99:100]
	buffer_store_dword v69, off, s[20:23], 0 ; 4-byte Folded Spill
	s_nop 0
	buffer_store_dword v70, off, s[20:23], 0 offset:4 ; 4-byte Folded Spill
	buffer_store_dword v71, off, s[20:23], 0 offset:8 ; 4-byte Folded Spill
	;; [unrolled: 1-line block ×3, first 2 shown]
	ds_read2_b64 v[99:102], v125 offset0:60 offset1:61
	s_waitcnt lgkmcnt(0)
	v_mul_f64 v[89:90], v[101:102], v[111:112]
	v_fma_f64 v[89:90], v[99:100], v[97:98], -v[89:90]
	v_mul_f64 v[99:100], v[99:100], v[111:112]
	v_add_f64 v[65:66], v[65:66], -v[89:90]
	v_fma_f64 v[99:100], v[101:102], v[97:98], v[99:100]
	v_add_f64 v[67:68], v[67:68], -v[99:100]
	ds_read2_b64 v[99:102], v125 offset0:62 offset1:63
	s_waitcnt lgkmcnt(0)
	v_mul_f64 v[89:90], v[101:102], v[111:112]
	v_fma_f64 v[89:90], v[99:100], v[97:98], -v[89:90]
	v_mul_f64 v[99:100], v[99:100], v[111:112]
	v_add_f64 v[61:62], v[61:62], -v[89:90]
	v_fma_f64 v[99:100], v[101:102], v[97:98], v[99:100]
	v_add_f64 v[63:64], v[63:64], -v[99:100]
	;; [unrolled: 8-line block ×18, first 2 shown]
.LBB95_226:
	s_or_b64 exec, exec, s[2:3]
	v_cmp_eq_u32_e32 vcc, 25, v0
	s_waitcnt vmcnt(0)
	s_barrier
	s_and_saveexec_b64 s[4:5], vcc
	s_cbranch_execz .LBB95_233
; %bb.227:
	ds_write2_b64 v127, v[113:114], v[115:116] offset1:1
	ds_write2_b64 v125, v[93:94], v[95:96] offset0:52 offset1:53
	buffer_load_dword v77, off, s[20:23], 0 offset:32 ; 4-byte Folded Reload
	buffer_load_dword v78, off, s[20:23], 0 offset:36 ; 4-byte Folded Reload
	;; [unrolled: 1-line block ×4, first 2 shown]
	v_mov_b32_e32 v69, v73
	v_mov_b32_e32 v70, v74
	;; [unrolled: 1-line block ×4, first 2 shown]
	s_waitcnt vmcnt(0)
	ds_write2_b64 v125, v[77:78], v[79:80] offset0:54 offset1:55
	buffer_load_dword v73, off, s[20:23], 0 offset:16 ; 4-byte Folded Reload
	buffer_load_dword v74, off, s[20:23], 0 offset:20 ; 4-byte Folded Reload
	;; [unrolled: 1-line block ×4, first 2 shown]
	s_waitcnt vmcnt(0)
	ds_write2_b64 v125, v[73:74], v[75:76] offset0:56 offset1:57
	v_mov_b32_e32 v76, v72
	v_mov_b32_e32 v75, v71
	;; [unrolled: 1-line block ×4, first 2 shown]
	buffer_load_dword v69, off, s[20:23], 0 ; 4-byte Folded Reload
	buffer_load_dword v70, off, s[20:23], 0 offset:4 ; 4-byte Folded Reload
	buffer_load_dword v71, off, s[20:23], 0 offset:8 ; 4-byte Folded Reload
	;; [unrolled: 1-line block ×3, first 2 shown]
	s_waitcnt vmcnt(0)
	ds_write2_b64 v125, v[69:70], v[71:72] offset0:58 offset1:59
	ds_write2_b64 v125, v[65:66], v[67:68] offset0:60 offset1:61
	;; [unrolled: 1-line block ×19, first 2 shown]
	ds_read2_b64 v[97:100], v127 offset1:1
	s_waitcnt lgkmcnt(0)
	v_cmp_neq_f64_e32 vcc, 0, v[97:98]
	v_cmp_neq_f64_e64 s[2:3], 0, v[99:100]
	s_or_b64 s[2:3], vcc, s[2:3]
	s_and_b64 exec, exec, s[2:3]
	s_cbranch_execz .LBB95_233
; %bb.228:
	v_cmp_ngt_f64_e64 s[2:3], |v[97:98]|, |v[99:100]|
                                        ; implicit-def: $vgpr101_vgpr102
	s_and_saveexec_b64 s[6:7], s[2:3]
	s_xor_b64 s[2:3], exec, s[6:7]
                                        ; implicit-def: $vgpr103_vgpr104
	s_cbranch_execz .LBB95_230
; %bb.229:
	v_div_scale_f64 v[101:102], s[6:7], v[99:100], v[99:100], v[97:98]
	v_rcp_f64_e32 v[103:104], v[101:102]
	v_fma_f64 v[105:106], -v[101:102], v[103:104], 1.0
	v_fma_f64 v[103:104], v[103:104], v[105:106], v[103:104]
	v_div_scale_f64 v[105:106], vcc, v[97:98], v[99:100], v[97:98]
	v_fma_f64 v[107:108], -v[101:102], v[103:104], 1.0
	v_fma_f64 v[103:104], v[103:104], v[107:108], v[103:104]
	v_mul_f64 v[107:108], v[105:106], v[103:104]
	v_fma_f64 v[101:102], -v[101:102], v[107:108], v[105:106]
	v_div_fmas_f64 v[101:102], v[101:102], v[103:104], v[107:108]
	v_div_fixup_f64 v[101:102], v[101:102], v[99:100], v[97:98]
	v_fma_f64 v[97:98], v[97:98], v[101:102], v[99:100]
	v_div_scale_f64 v[99:100], s[6:7], v[97:98], v[97:98], 1.0
	v_div_scale_f64 v[107:108], vcc, 1.0, v[97:98], 1.0
	v_rcp_f64_e32 v[103:104], v[99:100]
	v_fma_f64 v[105:106], -v[99:100], v[103:104], 1.0
	v_fma_f64 v[103:104], v[103:104], v[105:106], v[103:104]
	v_fma_f64 v[105:106], -v[99:100], v[103:104], 1.0
	v_fma_f64 v[103:104], v[103:104], v[105:106], v[103:104]
	v_mul_f64 v[105:106], v[107:108], v[103:104]
	v_fma_f64 v[99:100], -v[99:100], v[105:106], v[107:108]
	v_div_fmas_f64 v[99:100], v[99:100], v[103:104], v[105:106]
	v_div_fixup_f64 v[103:104], v[99:100], v[97:98], 1.0
                                        ; implicit-def: $vgpr97_vgpr98
	v_mul_f64 v[101:102], v[101:102], v[103:104]
	v_xor_b32_e32 v104, 0x80000000, v104
.LBB95_230:
	s_andn2_saveexec_b64 s[2:3], s[2:3]
	s_cbranch_execz .LBB95_232
; %bb.231:
	v_div_scale_f64 v[101:102], s[6:7], v[97:98], v[97:98], v[99:100]
	v_rcp_f64_e32 v[103:104], v[101:102]
	v_fma_f64 v[105:106], -v[101:102], v[103:104], 1.0
	v_fma_f64 v[103:104], v[103:104], v[105:106], v[103:104]
	v_div_scale_f64 v[105:106], vcc, v[99:100], v[97:98], v[99:100]
	v_fma_f64 v[107:108], -v[101:102], v[103:104], 1.0
	v_fma_f64 v[103:104], v[103:104], v[107:108], v[103:104]
	v_mul_f64 v[107:108], v[105:106], v[103:104]
	v_fma_f64 v[101:102], -v[101:102], v[107:108], v[105:106]
	v_div_fmas_f64 v[101:102], v[101:102], v[103:104], v[107:108]
	v_div_fixup_f64 v[103:104], v[101:102], v[97:98], v[99:100]
	v_fma_f64 v[97:98], v[99:100], v[103:104], v[97:98]
	v_div_scale_f64 v[99:100], s[6:7], v[97:98], v[97:98], 1.0
	v_div_scale_f64 v[107:108], vcc, 1.0, v[97:98], 1.0
	v_rcp_f64_e32 v[101:102], v[99:100]
	v_fma_f64 v[105:106], -v[99:100], v[101:102], 1.0
	v_fma_f64 v[101:102], v[101:102], v[105:106], v[101:102]
	v_fma_f64 v[105:106], -v[99:100], v[101:102], 1.0
	v_fma_f64 v[101:102], v[101:102], v[105:106], v[101:102]
	v_mul_f64 v[105:106], v[107:108], v[101:102]
	v_fma_f64 v[99:100], -v[99:100], v[105:106], v[107:108]
	v_div_fmas_f64 v[99:100], v[99:100], v[101:102], v[105:106]
	v_div_fixup_f64 v[101:102], v[99:100], v[97:98], 1.0
	v_mul_f64 v[103:104], v[103:104], -v[101:102]
.LBB95_232:
	s_or_b64 exec, exec, s[2:3]
	ds_write2_b64 v127, v[101:102], v[103:104] offset1:1
.LBB95_233:
	s_or_b64 exec, exec, s[4:5]
	s_waitcnt lgkmcnt(0)
	s_barrier
	ds_read2_b64 v[69:72], v127 offset1:1
	v_cmp_lt_u32_e32 vcc, 25, v0
	s_waitcnt lgkmcnt(0)
	buffer_store_dword v69, off, s[20:23], 0 offset:1176 ; 4-byte Folded Spill
	s_nop 0
	buffer_store_dword v70, off, s[20:23], 0 offset:1180 ; 4-byte Folded Spill
	buffer_store_dword v71, off, s[20:23], 0 offset:1184 ; 4-byte Folded Spill
	buffer_store_dword v72, off, s[20:23], 0 offset:1188 ; 4-byte Folded Spill
	s_and_saveexec_b64 s[2:3], vcc
	s_cbranch_execz .LBB95_235
; %bb.234:
	buffer_load_dword v69, off, s[20:23], 0 offset:1176 ; 4-byte Folded Reload
	buffer_load_dword v70, off, s[20:23], 0 offset:1180 ; 4-byte Folded Reload
	;; [unrolled: 1-line block ×4, first 2 shown]
	v_mov_b32_e32 v90, v86
	v_mov_b32_e32 v89, v85
	v_mov_b32_e32 v85, v87
	v_mov_b32_e32 v86, v88
	ds_read2_b64 v[99:102], v125 offset0:52 offset1:53
	s_waitcnt vmcnt(2)
	v_mul_f64 v[87:88], v[69:70], v[115:116]
	s_waitcnt vmcnt(0)
	v_mul_f64 v[97:98], v[71:72], v[115:116]
	v_fma_f64 v[115:116], v[71:72], v[113:114], v[87:88]
	v_mov_b32_e32 v88, v86
	v_fma_f64 v[97:98], v[69:70], v[113:114], -v[97:98]
	v_mov_b32_e32 v87, v85
	v_mov_b32_e32 v69, v73
	;; [unrolled: 1-line block ×5, first 2 shown]
	s_waitcnt lgkmcnt(0)
	v_mul_f64 v[85:86], v[101:102], v[115:116]
	v_mov_b32_e32 v114, v98
	v_mov_b32_e32 v113, v97
	v_fma_f64 v[85:86], v[99:100], v[97:98], -v[85:86]
	v_mul_f64 v[99:100], v[99:100], v[115:116]
	v_add_f64 v[93:94], v[93:94], -v[85:86]
	v_fma_f64 v[99:100], v[101:102], v[97:98], v[99:100]
	v_add_f64 v[95:96], v[95:96], -v[99:100]
	ds_read2_b64 v[99:102], v125 offset0:54 offset1:55
	buffer_load_dword v77, off, s[20:23], 0 offset:32 ; 4-byte Folded Reload
	buffer_load_dword v78, off, s[20:23], 0 offset:36 ; 4-byte Folded Reload
	;; [unrolled: 1-line block ×4, first 2 shown]
	s_waitcnt lgkmcnt(0)
	v_mul_f64 v[85:86], v[101:102], v[115:116]
	v_fma_f64 v[85:86], v[99:100], v[97:98], -v[85:86]
	v_mul_f64 v[99:100], v[99:100], v[115:116]
	v_fma_f64 v[99:100], v[101:102], v[97:98], v[99:100]
	s_waitcnt vmcnt(2)
	v_add_f64 v[77:78], v[77:78], -v[85:86]
	s_waitcnt vmcnt(0)
	v_add_f64 v[79:80], v[79:80], -v[99:100]
	buffer_store_dword v77, off, s[20:23], 0 offset:32 ; 4-byte Folded Spill
	s_nop 0
	buffer_store_dword v78, off, s[20:23], 0 offset:36 ; 4-byte Folded Spill
	buffer_store_dword v79, off, s[20:23], 0 offset:40 ; 4-byte Folded Spill
	;; [unrolled: 1-line block ×3, first 2 shown]
	ds_read2_b64 v[99:102], v125 offset0:56 offset1:57
	buffer_load_dword v73, off, s[20:23], 0 offset:16 ; 4-byte Folded Reload
	buffer_load_dword v74, off, s[20:23], 0 offset:20 ; 4-byte Folded Reload
	;; [unrolled: 1-line block ×4, first 2 shown]
	s_waitcnt lgkmcnt(0)
	v_mul_f64 v[85:86], v[101:102], v[115:116]
	v_fma_f64 v[85:86], v[99:100], v[97:98], -v[85:86]
	v_mul_f64 v[99:100], v[99:100], v[115:116]
	v_fma_f64 v[99:100], v[101:102], v[97:98], v[99:100]
	s_waitcnt vmcnt(2)
	v_add_f64 v[73:74], v[73:74], -v[85:86]
	s_waitcnt vmcnt(0)
	v_add_f64 v[75:76], v[75:76], -v[99:100]
	buffer_store_dword v73, off, s[20:23], 0 offset:16 ; 4-byte Folded Spill
	s_nop 0
	buffer_store_dword v74, off, s[20:23], 0 offset:20 ; 4-byte Folded Spill
	buffer_store_dword v75, off, s[20:23], 0 offset:24 ; 4-byte Folded Spill
	;; [unrolled: 1-line block ×3, first 2 shown]
	v_mov_b32_e32 v76, v72
	v_mov_b32_e32 v75, v71
	;; [unrolled: 1-line block ×4, first 2 shown]
	ds_read2_b64 v[99:102], v125 offset0:58 offset1:59
	buffer_load_dword v69, off, s[20:23], 0 ; 4-byte Folded Reload
	buffer_load_dword v70, off, s[20:23], 0 offset:4 ; 4-byte Folded Reload
	buffer_load_dword v71, off, s[20:23], 0 offset:8 ; 4-byte Folded Reload
	;; [unrolled: 1-line block ×3, first 2 shown]
	s_waitcnt lgkmcnt(0)
	v_mul_f64 v[85:86], v[101:102], v[115:116]
	v_fma_f64 v[85:86], v[99:100], v[97:98], -v[85:86]
	v_mul_f64 v[99:100], v[99:100], v[115:116]
	v_fma_f64 v[99:100], v[101:102], v[97:98], v[99:100]
	s_waitcnt vmcnt(2)
	v_add_f64 v[69:70], v[69:70], -v[85:86]
	s_waitcnt vmcnt(0)
	v_add_f64 v[71:72], v[71:72], -v[99:100]
	buffer_store_dword v69, off, s[20:23], 0 ; 4-byte Folded Spill
	s_nop 0
	buffer_store_dword v70, off, s[20:23], 0 offset:4 ; 4-byte Folded Spill
	buffer_store_dword v71, off, s[20:23], 0 offset:8 ; 4-byte Folded Spill
	;; [unrolled: 1-line block ×3, first 2 shown]
	ds_read2_b64 v[99:102], v125 offset0:60 offset1:61
	s_waitcnt lgkmcnt(0)
	v_mul_f64 v[85:86], v[101:102], v[115:116]
	v_fma_f64 v[85:86], v[99:100], v[97:98], -v[85:86]
	v_mul_f64 v[99:100], v[99:100], v[115:116]
	v_add_f64 v[65:66], v[65:66], -v[85:86]
	v_fma_f64 v[99:100], v[101:102], v[97:98], v[99:100]
	v_add_f64 v[67:68], v[67:68], -v[99:100]
	ds_read2_b64 v[99:102], v125 offset0:62 offset1:63
	s_waitcnt lgkmcnt(0)
	v_mul_f64 v[85:86], v[101:102], v[115:116]
	v_fma_f64 v[85:86], v[99:100], v[97:98], -v[85:86]
	v_mul_f64 v[99:100], v[99:100], v[115:116]
	v_add_f64 v[61:62], v[61:62], -v[85:86]
	v_fma_f64 v[99:100], v[101:102], v[97:98], v[99:100]
	v_add_f64 v[63:64], v[63:64], -v[99:100]
	;; [unrolled: 8-line block ×17, first 2 shown]
	ds_read2_b64 v[99:102], v125 offset0:94 offset1:95
	s_waitcnt lgkmcnt(0)
	v_mul_f64 v[85:86], v[101:102], v[115:116]
	v_fma_f64 v[85:86], v[99:100], v[97:98], -v[85:86]
	v_mul_f64 v[99:100], v[99:100], v[115:116]
	v_add_f64 v[73:74], v[73:74], -v[85:86]
	v_fma_f64 v[99:100], v[101:102], v[97:98], v[99:100]
	v_mov_b32_e32 v85, v89
	v_mov_b32_e32 v86, v90
	v_add_f64 v[75:76], v[75:76], -v[99:100]
.LBB95_235:
	s_or_b64 exec, exec, s[2:3]
	v_cmp_eq_u32_e32 vcc, 26, v0
	s_waitcnt vmcnt(0)
	s_barrier
	s_and_saveexec_b64 s[4:5], vcc
	s_cbranch_execz .LBB95_242
; %bb.236:
	ds_write2_b64 v127, v[93:94], v[95:96] offset1:1
	buffer_load_dword v77, off, s[20:23], 0 offset:32 ; 4-byte Folded Reload
	buffer_load_dword v78, off, s[20:23], 0 offset:36 ; 4-byte Folded Reload
	;; [unrolled: 1-line block ×4, first 2 shown]
	v_mov_b32_e32 v69, v73
	v_mov_b32_e32 v70, v74
	;; [unrolled: 1-line block ×4, first 2 shown]
	s_waitcnt vmcnt(0)
	ds_write2_b64 v125, v[77:78], v[79:80] offset0:54 offset1:55
	buffer_load_dword v73, off, s[20:23], 0 offset:16 ; 4-byte Folded Reload
	buffer_load_dword v74, off, s[20:23], 0 offset:20 ; 4-byte Folded Reload
	;; [unrolled: 1-line block ×4, first 2 shown]
	s_waitcnt vmcnt(0)
	ds_write2_b64 v125, v[73:74], v[75:76] offset0:56 offset1:57
	v_mov_b32_e32 v76, v72
	v_mov_b32_e32 v75, v71
	;; [unrolled: 1-line block ×4, first 2 shown]
	buffer_load_dword v69, off, s[20:23], 0 ; 4-byte Folded Reload
	buffer_load_dword v70, off, s[20:23], 0 offset:4 ; 4-byte Folded Reload
	buffer_load_dword v71, off, s[20:23], 0 offset:8 ; 4-byte Folded Reload
	;; [unrolled: 1-line block ×3, first 2 shown]
	s_waitcnt vmcnt(0)
	ds_write2_b64 v125, v[69:70], v[71:72] offset0:58 offset1:59
	ds_write2_b64 v125, v[65:66], v[67:68] offset0:60 offset1:61
	ds_write2_b64 v125, v[61:62], v[63:64] offset0:62 offset1:63
	ds_write2_b64 v125, v[57:58], v[59:60] offset0:64 offset1:65
	ds_write2_b64 v125, v[53:54], v[55:56] offset0:66 offset1:67
	ds_write2_b64 v125, v[49:50], v[51:52] offset0:68 offset1:69
	ds_write2_b64 v125, v[45:46], v[47:48] offset0:70 offset1:71
	ds_write2_b64 v125, v[41:42], v[43:44] offset0:72 offset1:73
	ds_write2_b64 v125, v[37:38], v[39:40] offset0:74 offset1:75
	ds_write2_b64 v125, v[33:34], v[35:36] offset0:76 offset1:77
	ds_write2_b64 v125, v[29:30], v[31:32] offset0:78 offset1:79
	ds_write2_b64 v125, v[25:26], v[27:28] offset0:80 offset1:81
	ds_write2_b64 v125, v[21:22], v[23:24] offset0:82 offset1:83
	ds_write2_b64 v125, v[17:18], v[19:20] offset0:84 offset1:85
	ds_write2_b64 v125, v[13:14], v[15:16] offset0:86 offset1:87
	ds_write2_b64 v125, v[9:10], v[11:12] offset0:88 offset1:89
	ds_write2_b64 v125, v[5:6], v[7:8] offset0:90 offset1:91
	ds_write2_b64 v125, v[1:2], v[3:4] offset0:92 offset1:93
	ds_write2_b64 v125, v[73:74], v[75:76] offset0:94 offset1:95
	ds_read2_b64 v[97:100], v127 offset1:1
	s_waitcnt lgkmcnt(0)
	v_cmp_neq_f64_e32 vcc, 0, v[97:98]
	v_cmp_neq_f64_e64 s[2:3], 0, v[99:100]
	s_or_b64 s[2:3], vcc, s[2:3]
	s_and_b64 exec, exec, s[2:3]
	s_cbranch_execz .LBB95_242
; %bb.237:
	v_cmp_ngt_f64_e64 s[2:3], |v[97:98]|, |v[99:100]|
                                        ; implicit-def: $vgpr101_vgpr102
	s_and_saveexec_b64 s[6:7], s[2:3]
	s_xor_b64 s[2:3], exec, s[6:7]
                                        ; implicit-def: $vgpr103_vgpr104
	s_cbranch_execz .LBB95_239
; %bb.238:
	v_div_scale_f64 v[101:102], s[6:7], v[99:100], v[99:100], v[97:98]
	v_rcp_f64_e32 v[103:104], v[101:102]
	v_fma_f64 v[105:106], -v[101:102], v[103:104], 1.0
	v_fma_f64 v[103:104], v[103:104], v[105:106], v[103:104]
	v_div_scale_f64 v[105:106], vcc, v[97:98], v[99:100], v[97:98]
	v_fma_f64 v[107:108], -v[101:102], v[103:104], 1.0
	v_fma_f64 v[103:104], v[103:104], v[107:108], v[103:104]
	v_mul_f64 v[107:108], v[105:106], v[103:104]
	v_fma_f64 v[101:102], -v[101:102], v[107:108], v[105:106]
	v_div_fmas_f64 v[101:102], v[101:102], v[103:104], v[107:108]
	v_div_fixup_f64 v[101:102], v[101:102], v[99:100], v[97:98]
	v_fma_f64 v[97:98], v[97:98], v[101:102], v[99:100]
	v_div_scale_f64 v[99:100], s[6:7], v[97:98], v[97:98], 1.0
	v_div_scale_f64 v[107:108], vcc, 1.0, v[97:98], 1.0
	v_rcp_f64_e32 v[103:104], v[99:100]
	v_fma_f64 v[105:106], -v[99:100], v[103:104], 1.0
	v_fma_f64 v[103:104], v[103:104], v[105:106], v[103:104]
	v_fma_f64 v[105:106], -v[99:100], v[103:104], 1.0
	v_fma_f64 v[103:104], v[103:104], v[105:106], v[103:104]
	v_mul_f64 v[105:106], v[107:108], v[103:104]
	v_fma_f64 v[99:100], -v[99:100], v[105:106], v[107:108]
	v_div_fmas_f64 v[99:100], v[99:100], v[103:104], v[105:106]
	v_div_fixup_f64 v[103:104], v[99:100], v[97:98], 1.0
                                        ; implicit-def: $vgpr97_vgpr98
	v_mul_f64 v[101:102], v[101:102], v[103:104]
	v_xor_b32_e32 v104, 0x80000000, v104
.LBB95_239:
	s_andn2_saveexec_b64 s[2:3], s[2:3]
	s_cbranch_execz .LBB95_241
; %bb.240:
	v_div_scale_f64 v[101:102], s[6:7], v[97:98], v[97:98], v[99:100]
	v_rcp_f64_e32 v[103:104], v[101:102]
	v_fma_f64 v[105:106], -v[101:102], v[103:104], 1.0
	v_fma_f64 v[103:104], v[103:104], v[105:106], v[103:104]
	v_div_scale_f64 v[105:106], vcc, v[99:100], v[97:98], v[99:100]
	v_fma_f64 v[107:108], -v[101:102], v[103:104], 1.0
	v_fma_f64 v[103:104], v[103:104], v[107:108], v[103:104]
	v_mul_f64 v[107:108], v[105:106], v[103:104]
	v_fma_f64 v[101:102], -v[101:102], v[107:108], v[105:106]
	v_div_fmas_f64 v[101:102], v[101:102], v[103:104], v[107:108]
	v_div_fixup_f64 v[103:104], v[101:102], v[97:98], v[99:100]
	v_fma_f64 v[97:98], v[99:100], v[103:104], v[97:98]
	v_div_scale_f64 v[99:100], s[6:7], v[97:98], v[97:98], 1.0
	v_div_scale_f64 v[107:108], vcc, 1.0, v[97:98], 1.0
	v_rcp_f64_e32 v[101:102], v[99:100]
	v_fma_f64 v[105:106], -v[99:100], v[101:102], 1.0
	v_fma_f64 v[101:102], v[101:102], v[105:106], v[101:102]
	v_fma_f64 v[105:106], -v[99:100], v[101:102], 1.0
	v_fma_f64 v[101:102], v[101:102], v[105:106], v[101:102]
	v_mul_f64 v[105:106], v[107:108], v[101:102]
	v_fma_f64 v[99:100], -v[99:100], v[105:106], v[107:108]
	v_div_fmas_f64 v[99:100], v[99:100], v[101:102], v[105:106]
	v_div_fixup_f64 v[101:102], v[99:100], v[97:98], 1.0
	v_mul_f64 v[103:104], v[103:104], -v[101:102]
.LBB95_241:
	s_or_b64 exec, exec, s[2:3]
	ds_write2_b64 v127, v[101:102], v[103:104] offset1:1
.LBB95_242:
	s_or_b64 exec, exec, s[4:5]
	s_waitcnt lgkmcnt(0)
	s_barrier
	ds_read2_b64 v[69:72], v127 offset1:1
	v_cmp_lt_u32_e32 vcc, 26, v0
	s_waitcnt lgkmcnt(0)
	buffer_store_dword v69, off, s[20:23], 0 offset:1192 ; 4-byte Folded Spill
	s_nop 0
	buffer_store_dword v70, off, s[20:23], 0 offset:1196 ; 4-byte Folded Spill
	buffer_store_dword v71, off, s[20:23], 0 offset:1200 ; 4-byte Folded Spill
	buffer_store_dword v72, off, s[20:23], 0 offset:1204 ; 4-byte Folded Spill
	s_and_saveexec_b64 s[2:3], vcc
	s_cbranch_execz .LBB95_244
; %bb.243:
	buffer_load_dword v69, off, s[20:23], 0 offset:1192 ; 4-byte Folded Reload
	buffer_load_dword v70, off, s[20:23], 0 offset:1196 ; 4-byte Folded Reload
	;; [unrolled: 1-line block ×4, first 2 shown]
	ds_read2_b64 v[99:102], v125 offset0:54 offset1:55
	buffer_load_dword v77, off, s[20:23], 0 offset:32 ; 4-byte Folded Reload
	buffer_load_dword v78, off, s[20:23], 0 offset:36 ; 4-byte Folded Reload
	;; [unrolled: 1-line block ×4, first 2 shown]
	v_mov_b32_e32 v90, v82
	v_mov_b32_e32 v89, v81
	s_waitcnt vmcnt(6)
	v_mul_f64 v[83:84], v[69:70], v[95:96]
	s_waitcnt vmcnt(4)
	v_mul_f64 v[97:98], v[71:72], v[95:96]
	v_fma_f64 v[95:96], v[71:72], v[93:94], v[83:84]
	v_fma_f64 v[97:98], v[69:70], v[93:94], -v[97:98]
	v_mov_b32_e32 v69, v73
	v_mov_b32_e32 v70, v74
	;; [unrolled: 1-line block ×4, first 2 shown]
	s_waitcnt lgkmcnt(0)
	v_mul_f64 v[81:82], v[101:102], v[95:96]
	v_mov_b32_e32 v93, v97
	v_mov_b32_e32 v94, v98
	v_fma_f64 v[81:82], v[99:100], v[97:98], -v[81:82]
	v_mul_f64 v[99:100], v[99:100], v[95:96]
	s_waitcnt vmcnt(2)
	v_add_f64 v[77:78], v[77:78], -v[81:82]
	v_fma_f64 v[99:100], v[101:102], v[97:98], v[99:100]
	s_waitcnt vmcnt(0)
	v_add_f64 v[79:80], v[79:80], -v[99:100]
	buffer_store_dword v77, off, s[20:23], 0 offset:32 ; 4-byte Folded Spill
	s_nop 0
	buffer_store_dword v78, off, s[20:23], 0 offset:36 ; 4-byte Folded Spill
	buffer_store_dword v79, off, s[20:23], 0 offset:40 ; 4-byte Folded Spill
	;; [unrolled: 1-line block ×3, first 2 shown]
	ds_read2_b64 v[99:102], v125 offset0:56 offset1:57
	buffer_load_dword v73, off, s[20:23], 0 offset:16 ; 4-byte Folded Reload
	buffer_load_dword v74, off, s[20:23], 0 offset:20 ; 4-byte Folded Reload
	;; [unrolled: 1-line block ×4, first 2 shown]
	s_waitcnt lgkmcnt(0)
	v_mul_f64 v[81:82], v[101:102], v[95:96]
	v_fma_f64 v[81:82], v[99:100], v[97:98], -v[81:82]
	v_mul_f64 v[99:100], v[99:100], v[95:96]
	v_fma_f64 v[99:100], v[101:102], v[97:98], v[99:100]
	s_waitcnt vmcnt(2)
	v_add_f64 v[73:74], v[73:74], -v[81:82]
	s_waitcnt vmcnt(0)
	v_add_f64 v[75:76], v[75:76], -v[99:100]
	buffer_store_dword v73, off, s[20:23], 0 offset:16 ; 4-byte Folded Spill
	s_nop 0
	buffer_store_dword v74, off, s[20:23], 0 offset:20 ; 4-byte Folded Spill
	buffer_store_dword v75, off, s[20:23], 0 offset:24 ; 4-byte Folded Spill
	;; [unrolled: 1-line block ×3, first 2 shown]
	v_mov_b32_e32 v76, v72
	v_mov_b32_e32 v75, v71
	;; [unrolled: 1-line block ×4, first 2 shown]
	ds_read2_b64 v[99:102], v125 offset0:58 offset1:59
	buffer_load_dword v69, off, s[20:23], 0 ; 4-byte Folded Reload
	buffer_load_dword v70, off, s[20:23], 0 offset:4 ; 4-byte Folded Reload
	buffer_load_dword v71, off, s[20:23], 0 offset:8 ; 4-byte Folded Reload
	;; [unrolled: 1-line block ×3, first 2 shown]
	s_waitcnt lgkmcnt(0)
	v_mul_f64 v[81:82], v[101:102], v[95:96]
	v_fma_f64 v[81:82], v[99:100], v[97:98], -v[81:82]
	v_mul_f64 v[99:100], v[99:100], v[95:96]
	v_fma_f64 v[99:100], v[101:102], v[97:98], v[99:100]
	s_waitcnt vmcnt(2)
	v_add_f64 v[69:70], v[69:70], -v[81:82]
	s_waitcnt vmcnt(0)
	v_add_f64 v[71:72], v[71:72], -v[99:100]
	buffer_store_dword v69, off, s[20:23], 0 ; 4-byte Folded Spill
	s_nop 0
	buffer_store_dword v70, off, s[20:23], 0 offset:4 ; 4-byte Folded Spill
	buffer_store_dword v71, off, s[20:23], 0 offset:8 ; 4-byte Folded Spill
	;; [unrolled: 1-line block ×3, first 2 shown]
	ds_read2_b64 v[99:102], v125 offset0:60 offset1:61
	s_waitcnt lgkmcnt(0)
	v_mul_f64 v[81:82], v[101:102], v[95:96]
	v_fma_f64 v[81:82], v[99:100], v[97:98], -v[81:82]
	v_mul_f64 v[99:100], v[99:100], v[95:96]
	v_add_f64 v[65:66], v[65:66], -v[81:82]
	v_fma_f64 v[99:100], v[101:102], v[97:98], v[99:100]
	v_add_f64 v[67:68], v[67:68], -v[99:100]
	ds_read2_b64 v[99:102], v125 offset0:62 offset1:63
	s_waitcnt lgkmcnt(0)
	v_mul_f64 v[81:82], v[101:102], v[95:96]
	v_fma_f64 v[81:82], v[99:100], v[97:98], -v[81:82]
	v_mul_f64 v[99:100], v[99:100], v[95:96]
	v_add_f64 v[61:62], v[61:62], -v[81:82]
	v_fma_f64 v[99:100], v[101:102], v[97:98], v[99:100]
	v_add_f64 v[63:64], v[63:64], -v[99:100]
	;; [unrolled: 8-line block ×17, first 2 shown]
	ds_read2_b64 v[99:102], v125 offset0:94 offset1:95
	s_waitcnt lgkmcnt(0)
	v_mul_f64 v[81:82], v[101:102], v[95:96]
	v_fma_f64 v[81:82], v[99:100], v[97:98], -v[81:82]
	v_mul_f64 v[99:100], v[99:100], v[95:96]
	v_add_f64 v[73:74], v[73:74], -v[81:82]
	v_fma_f64 v[99:100], v[101:102], v[97:98], v[99:100]
	v_mov_b32_e32 v81, v89
	v_mov_b32_e32 v82, v90
	v_add_f64 v[75:76], v[75:76], -v[99:100]
.LBB95_244:
	s_or_b64 exec, exec, s[2:3]
	v_cmp_eq_u32_e32 vcc, 27, v0
	s_waitcnt vmcnt(0)
	s_barrier
	s_and_saveexec_b64 s[4:5], vcc
	s_cbranch_execz .LBB95_251
; %bb.245:
	buffer_load_dword v77, off, s[20:23], 0 offset:32 ; 4-byte Folded Reload
	buffer_load_dword v78, off, s[20:23], 0 offset:36 ; 4-byte Folded Reload
	buffer_load_dword v79, off, s[20:23], 0 offset:40 ; 4-byte Folded Reload
	buffer_load_dword v80, off, s[20:23], 0 offset:44 ; 4-byte Folded Reload
	v_mov_b32_e32 v69, v73
	v_mov_b32_e32 v70, v74
	;; [unrolled: 1-line block ×4, first 2 shown]
	s_waitcnt vmcnt(0)
	ds_write2_b64 v127, v[77:78], v[79:80] offset1:1
	buffer_load_dword v73, off, s[20:23], 0 offset:16 ; 4-byte Folded Reload
	buffer_load_dword v74, off, s[20:23], 0 offset:20 ; 4-byte Folded Reload
	;; [unrolled: 1-line block ×4, first 2 shown]
	s_waitcnt vmcnt(0)
	ds_write2_b64 v125, v[73:74], v[75:76] offset0:56 offset1:57
	v_mov_b32_e32 v76, v72
	v_mov_b32_e32 v75, v71
	;; [unrolled: 1-line block ×4, first 2 shown]
	buffer_load_dword v69, off, s[20:23], 0 ; 4-byte Folded Reload
	buffer_load_dword v70, off, s[20:23], 0 offset:4 ; 4-byte Folded Reload
	buffer_load_dword v71, off, s[20:23], 0 offset:8 ; 4-byte Folded Reload
	;; [unrolled: 1-line block ×3, first 2 shown]
	s_waitcnt vmcnt(0)
	ds_write2_b64 v125, v[69:70], v[71:72] offset0:58 offset1:59
	ds_write2_b64 v125, v[65:66], v[67:68] offset0:60 offset1:61
	;; [unrolled: 1-line block ×19, first 2 shown]
	ds_read2_b64 v[97:100], v127 offset1:1
	s_waitcnt lgkmcnt(0)
	v_cmp_neq_f64_e32 vcc, 0, v[97:98]
	v_cmp_neq_f64_e64 s[2:3], 0, v[99:100]
	s_or_b64 s[2:3], vcc, s[2:3]
	s_and_b64 exec, exec, s[2:3]
	s_cbranch_execz .LBB95_251
; %bb.246:
	v_cmp_ngt_f64_e64 s[2:3], |v[97:98]|, |v[99:100]|
                                        ; implicit-def: $vgpr101_vgpr102
	s_and_saveexec_b64 s[6:7], s[2:3]
	s_xor_b64 s[2:3], exec, s[6:7]
                                        ; implicit-def: $vgpr103_vgpr104
	s_cbranch_execz .LBB95_248
; %bb.247:
	v_div_scale_f64 v[101:102], s[6:7], v[99:100], v[99:100], v[97:98]
	v_rcp_f64_e32 v[103:104], v[101:102]
	v_fma_f64 v[105:106], -v[101:102], v[103:104], 1.0
	v_fma_f64 v[103:104], v[103:104], v[105:106], v[103:104]
	v_div_scale_f64 v[105:106], vcc, v[97:98], v[99:100], v[97:98]
	v_fma_f64 v[107:108], -v[101:102], v[103:104], 1.0
	v_fma_f64 v[103:104], v[103:104], v[107:108], v[103:104]
	v_mul_f64 v[107:108], v[105:106], v[103:104]
	v_fma_f64 v[101:102], -v[101:102], v[107:108], v[105:106]
	v_div_fmas_f64 v[101:102], v[101:102], v[103:104], v[107:108]
	v_div_fixup_f64 v[101:102], v[101:102], v[99:100], v[97:98]
	v_fma_f64 v[97:98], v[97:98], v[101:102], v[99:100]
	v_div_scale_f64 v[99:100], s[6:7], v[97:98], v[97:98], 1.0
	v_div_scale_f64 v[107:108], vcc, 1.0, v[97:98], 1.0
	v_rcp_f64_e32 v[103:104], v[99:100]
	v_fma_f64 v[105:106], -v[99:100], v[103:104], 1.0
	v_fma_f64 v[103:104], v[103:104], v[105:106], v[103:104]
	v_fma_f64 v[105:106], -v[99:100], v[103:104], 1.0
	v_fma_f64 v[103:104], v[103:104], v[105:106], v[103:104]
	v_mul_f64 v[105:106], v[107:108], v[103:104]
	v_fma_f64 v[99:100], -v[99:100], v[105:106], v[107:108]
	v_div_fmas_f64 v[99:100], v[99:100], v[103:104], v[105:106]
	v_div_fixup_f64 v[103:104], v[99:100], v[97:98], 1.0
                                        ; implicit-def: $vgpr97_vgpr98
	v_mul_f64 v[101:102], v[101:102], v[103:104]
	v_xor_b32_e32 v104, 0x80000000, v104
.LBB95_248:
	s_andn2_saveexec_b64 s[2:3], s[2:3]
	s_cbranch_execz .LBB95_250
; %bb.249:
	v_div_scale_f64 v[101:102], s[6:7], v[97:98], v[97:98], v[99:100]
	v_rcp_f64_e32 v[103:104], v[101:102]
	v_fma_f64 v[105:106], -v[101:102], v[103:104], 1.0
	v_fma_f64 v[103:104], v[103:104], v[105:106], v[103:104]
	v_div_scale_f64 v[105:106], vcc, v[99:100], v[97:98], v[99:100]
	v_fma_f64 v[107:108], -v[101:102], v[103:104], 1.0
	v_fma_f64 v[103:104], v[103:104], v[107:108], v[103:104]
	v_mul_f64 v[107:108], v[105:106], v[103:104]
	v_fma_f64 v[101:102], -v[101:102], v[107:108], v[105:106]
	v_div_fmas_f64 v[101:102], v[101:102], v[103:104], v[107:108]
	v_div_fixup_f64 v[103:104], v[101:102], v[97:98], v[99:100]
	v_fma_f64 v[97:98], v[99:100], v[103:104], v[97:98]
	v_div_scale_f64 v[99:100], s[6:7], v[97:98], v[97:98], 1.0
	v_div_scale_f64 v[107:108], vcc, 1.0, v[97:98], 1.0
	v_rcp_f64_e32 v[101:102], v[99:100]
	v_fma_f64 v[105:106], -v[99:100], v[101:102], 1.0
	v_fma_f64 v[101:102], v[101:102], v[105:106], v[101:102]
	v_fma_f64 v[105:106], -v[99:100], v[101:102], 1.0
	v_fma_f64 v[101:102], v[101:102], v[105:106], v[101:102]
	v_mul_f64 v[105:106], v[107:108], v[101:102]
	v_fma_f64 v[99:100], -v[99:100], v[105:106], v[107:108]
	v_div_fmas_f64 v[99:100], v[99:100], v[101:102], v[105:106]
	v_div_fixup_f64 v[101:102], v[99:100], v[97:98], 1.0
	v_mul_f64 v[103:104], v[103:104], -v[101:102]
.LBB95_250:
	s_or_b64 exec, exec, s[2:3]
	ds_write2_b64 v127, v[101:102], v[103:104] offset1:1
.LBB95_251:
	s_or_b64 exec, exec, s[4:5]
	s_waitcnt lgkmcnt(0)
	s_barrier
	ds_read2_b64 v[69:72], v127 offset1:1
	v_cmp_lt_u32_e32 vcc, 27, v0
	s_waitcnt lgkmcnt(0)
	buffer_store_dword v69, off, s[20:23], 0 offset:1208 ; 4-byte Folded Spill
	s_nop 0
	buffer_store_dword v70, off, s[20:23], 0 offset:1212 ; 4-byte Folded Spill
	buffer_store_dword v71, off, s[20:23], 0 offset:1216 ; 4-byte Folded Spill
	;; [unrolled: 1-line block ×3, first 2 shown]
	s_and_saveexec_b64 s[2:3], vcc
	s_cbranch_execz .LBB95_253
; %bb.252:
	buffer_load_dword v77, off, s[20:23], 0 offset:32 ; 4-byte Folded Reload
	buffer_load_dword v78, off, s[20:23], 0 offset:36 ; 4-byte Folded Reload
	;; [unrolled: 1-line block ×8, first 2 shown]
	ds_read2_b64 v[99:102], v125 offset0:56 offset1:57
	s_waitcnt vmcnt(0)
	v_mul_f64 v[97:98], v[71:72], v[79:80]
	v_mul_f64 v[79:80], v[69:70], v[79:80]
	v_fma_f64 v[97:98], v[69:70], v[77:78], -v[97:98]
	v_fma_f64 v[79:80], v[71:72], v[77:78], v[79:80]
	v_mov_b32_e32 v69, v73
	v_mov_b32_e32 v70, v74
	v_mov_b32_e32 v71, v75
	v_mov_b32_e32 v72, v76
	buffer_load_dword v73, off, s[20:23], 0 offset:16 ; 4-byte Folded Reload
	buffer_load_dword v74, off, s[20:23], 0 offset:20 ; 4-byte Folded Reload
	;; [unrolled: 1-line block ×4, first 2 shown]
	s_waitcnt lgkmcnt(0)
	v_mul_f64 v[77:78], v[101:102], v[79:80]
	v_fma_f64 v[77:78], v[99:100], v[97:98], -v[77:78]
	v_mul_f64 v[99:100], v[99:100], v[79:80]
	v_fma_f64 v[99:100], v[101:102], v[97:98], v[99:100]
	s_waitcnt vmcnt(2)
	v_add_f64 v[73:74], v[73:74], -v[77:78]
	s_waitcnt vmcnt(0)
	v_add_f64 v[75:76], v[75:76], -v[99:100]
	buffer_store_dword v73, off, s[20:23], 0 offset:16 ; 4-byte Folded Spill
	s_nop 0
	buffer_store_dword v74, off, s[20:23], 0 offset:20 ; 4-byte Folded Spill
	buffer_store_dword v75, off, s[20:23], 0 offset:24 ; 4-byte Folded Spill
	;; [unrolled: 1-line block ×3, first 2 shown]
	v_mov_b32_e32 v76, v72
	v_mov_b32_e32 v75, v71
	;; [unrolled: 1-line block ×4, first 2 shown]
	ds_read2_b64 v[99:102], v125 offset0:58 offset1:59
	buffer_load_dword v69, off, s[20:23], 0 ; 4-byte Folded Reload
	buffer_load_dword v70, off, s[20:23], 0 offset:4 ; 4-byte Folded Reload
	buffer_load_dword v71, off, s[20:23], 0 offset:8 ; 4-byte Folded Reload
	;; [unrolled: 1-line block ×3, first 2 shown]
	s_waitcnt lgkmcnt(0)
	v_mul_f64 v[77:78], v[101:102], v[79:80]
	v_fma_f64 v[77:78], v[99:100], v[97:98], -v[77:78]
	v_mul_f64 v[99:100], v[99:100], v[79:80]
	v_fma_f64 v[99:100], v[101:102], v[97:98], v[99:100]
	s_waitcnt vmcnt(2)
	v_add_f64 v[69:70], v[69:70], -v[77:78]
	s_waitcnt vmcnt(0)
	v_add_f64 v[71:72], v[71:72], -v[99:100]
	buffer_store_dword v69, off, s[20:23], 0 ; 4-byte Folded Spill
	s_nop 0
	buffer_store_dword v70, off, s[20:23], 0 offset:4 ; 4-byte Folded Spill
	buffer_store_dword v71, off, s[20:23], 0 offset:8 ; 4-byte Folded Spill
	;; [unrolled: 1-line block ×3, first 2 shown]
	ds_read2_b64 v[99:102], v125 offset0:60 offset1:61
	s_waitcnt lgkmcnt(0)
	v_mul_f64 v[77:78], v[101:102], v[79:80]
	v_fma_f64 v[77:78], v[99:100], v[97:98], -v[77:78]
	v_mul_f64 v[99:100], v[99:100], v[79:80]
	v_add_f64 v[65:66], v[65:66], -v[77:78]
	v_fma_f64 v[99:100], v[101:102], v[97:98], v[99:100]
	v_add_f64 v[67:68], v[67:68], -v[99:100]
	ds_read2_b64 v[99:102], v125 offset0:62 offset1:63
	s_waitcnt lgkmcnt(0)
	v_mul_f64 v[77:78], v[101:102], v[79:80]
	v_fma_f64 v[77:78], v[99:100], v[97:98], -v[77:78]
	v_mul_f64 v[99:100], v[99:100], v[79:80]
	v_add_f64 v[61:62], v[61:62], -v[77:78]
	v_fma_f64 v[99:100], v[101:102], v[97:98], v[99:100]
	v_add_f64 v[63:64], v[63:64], -v[99:100]
	;; [unrolled: 8-line block ×17, first 2 shown]
	ds_read2_b64 v[99:102], v125 offset0:94 offset1:95
	s_waitcnt lgkmcnt(0)
	v_mul_f64 v[77:78], v[101:102], v[79:80]
	v_fma_f64 v[77:78], v[99:100], v[97:98], -v[77:78]
	v_mul_f64 v[99:100], v[99:100], v[79:80]
	v_add_f64 v[73:74], v[73:74], -v[77:78]
	v_fma_f64 v[99:100], v[101:102], v[97:98], v[99:100]
	v_mov_b32_e32 v77, v97
	v_mov_b32_e32 v78, v98
	buffer_store_dword v77, off, s[20:23], 0 offset:32 ; 4-byte Folded Spill
	s_nop 0
	buffer_store_dword v78, off, s[20:23], 0 offset:36 ; 4-byte Folded Spill
	buffer_store_dword v79, off, s[20:23], 0 offset:40 ; 4-byte Folded Spill
	;; [unrolled: 1-line block ×3, first 2 shown]
	v_add_f64 v[75:76], v[75:76], -v[99:100]
.LBB95_253:
	s_or_b64 exec, exec, s[2:3]
	v_cmp_eq_u32_e32 vcc, 28, v0
	s_waitcnt vmcnt(0)
	s_barrier
	s_and_saveexec_b64 s[4:5], vcc
	s_cbranch_execz .LBB95_260
; %bb.254:
	v_mov_b32_e32 v69, v73
	v_mov_b32_e32 v70, v74
	;; [unrolled: 1-line block ×4, first 2 shown]
	buffer_load_dword v73, off, s[20:23], 0 offset:16 ; 4-byte Folded Reload
	buffer_load_dword v74, off, s[20:23], 0 offset:20 ; 4-byte Folded Reload
	;; [unrolled: 1-line block ×4, first 2 shown]
	s_waitcnt vmcnt(0)
	ds_write2_b64 v127, v[73:74], v[75:76] offset1:1
	v_mov_b32_e32 v76, v72
	v_mov_b32_e32 v75, v71
	;; [unrolled: 1-line block ×4, first 2 shown]
	buffer_load_dword v69, off, s[20:23], 0 ; 4-byte Folded Reload
	buffer_load_dword v70, off, s[20:23], 0 offset:4 ; 4-byte Folded Reload
	buffer_load_dword v71, off, s[20:23], 0 offset:8 ; 4-byte Folded Reload
	;; [unrolled: 1-line block ×3, first 2 shown]
	s_waitcnt vmcnt(0)
	ds_write2_b64 v125, v[69:70], v[71:72] offset0:58 offset1:59
	ds_write2_b64 v125, v[65:66], v[67:68] offset0:60 offset1:61
	;; [unrolled: 1-line block ×19, first 2 shown]
	ds_read2_b64 v[97:100], v127 offset1:1
	s_waitcnt lgkmcnt(0)
	v_cmp_neq_f64_e32 vcc, 0, v[97:98]
	v_cmp_neq_f64_e64 s[2:3], 0, v[99:100]
	s_or_b64 s[2:3], vcc, s[2:3]
	s_and_b64 exec, exec, s[2:3]
	s_cbranch_execz .LBB95_260
; %bb.255:
	v_cmp_ngt_f64_e64 s[2:3], |v[97:98]|, |v[99:100]|
                                        ; implicit-def: $vgpr101_vgpr102
	s_and_saveexec_b64 s[6:7], s[2:3]
	s_xor_b64 s[2:3], exec, s[6:7]
                                        ; implicit-def: $vgpr103_vgpr104
	s_cbranch_execz .LBB95_257
; %bb.256:
	v_div_scale_f64 v[101:102], s[6:7], v[99:100], v[99:100], v[97:98]
	v_rcp_f64_e32 v[103:104], v[101:102]
	v_fma_f64 v[105:106], -v[101:102], v[103:104], 1.0
	v_fma_f64 v[103:104], v[103:104], v[105:106], v[103:104]
	v_div_scale_f64 v[105:106], vcc, v[97:98], v[99:100], v[97:98]
	v_fma_f64 v[107:108], -v[101:102], v[103:104], 1.0
	v_fma_f64 v[103:104], v[103:104], v[107:108], v[103:104]
	v_mul_f64 v[107:108], v[105:106], v[103:104]
	v_fma_f64 v[101:102], -v[101:102], v[107:108], v[105:106]
	v_div_fmas_f64 v[101:102], v[101:102], v[103:104], v[107:108]
	v_div_fixup_f64 v[101:102], v[101:102], v[99:100], v[97:98]
	v_fma_f64 v[97:98], v[97:98], v[101:102], v[99:100]
	v_div_scale_f64 v[99:100], s[6:7], v[97:98], v[97:98], 1.0
	v_div_scale_f64 v[107:108], vcc, 1.0, v[97:98], 1.0
	v_rcp_f64_e32 v[103:104], v[99:100]
	v_fma_f64 v[105:106], -v[99:100], v[103:104], 1.0
	v_fma_f64 v[103:104], v[103:104], v[105:106], v[103:104]
	v_fma_f64 v[105:106], -v[99:100], v[103:104], 1.0
	v_fma_f64 v[103:104], v[103:104], v[105:106], v[103:104]
	v_mul_f64 v[105:106], v[107:108], v[103:104]
	v_fma_f64 v[99:100], -v[99:100], v[105:106], v[107:108]
	v_div_fmas_f64 v[99:100], v[99:100], v[103:104], v[105:106]
	v_div_fixup_f64 v[103:104], v[99:100], v[97:98], 1.0
                                        ; implicit-def: $vgpr97_vgpr98
	v_mul_f64 v[101:102], v[101:102], v[103:104]
	v_xor_b32_e32 v104, 0x80000000, v104
.LBB95_257:
	s_andn2_saveexec_b64 s[2:3], s[2:3]
	s_cbranch_execz .LBB95_259
; %bb.258:
	v_div_scale_f64 v[101:102], s[6:7], v[97:98], v[97:98], v[99:100]
	v_rcp_f64_e32 v[103:104], v[101:102]
	v_fma_f64 v[105:106], -v[101:102], v[103:104], 1.0
	v_fma_f64 v[103:104], v[103:104], v[105:106], v[103:104]
	v_div_scale_f64 v[105:106], vcc, v[99:100], v[97:98], v[99:100]
	v_fma_f64 v[107:108], -v[101:102], v[103:104], 1.0
	v_fma_f64 v[103:104], v[103:104], v[107:108], v[103:104]
	v_mul_f64 v[107:108], v[105:106], v[103:104]
	v_fma_f64 v[101:102], -v[101:102], v[107:108], v[105:106]
	v_div_fmas_f64 v[101:102], v[101:102], v[103:104], v[107:108]
	v_div_fixup_f64 v[103:104], v[101:102], v[97:98], v[99:100]
	v_fma_f64 v[97:98], v[99:100], v[103:104], v[97:98]
	v_div_scale_f64 v[99:100], s[6:7], v[97:98], v[97:98], 1.0
	v_div_scale_f64 v[107:108], vcc, 1.0, v[97:98], 1.0
	v_rcp_f64_e32 v[101:102], v[99:100]
	v_fma_f64 v[105:106], -v[99:100], v[101:102], 1.0
	v_fma_f64 v[101:102], v[101:102], v[105:106], v[101:102]
	v_fma_f64 v[105:106], -v[99:100], v[101:102], 1.0
	v_fma_f64 v[101:102], v[101:102], v[105:106], v[101:102]
	v_mul_f64 v[105:106], v[107:108], v[101:102]
	v_fma_f64 v[99:100], -v[99:100], v[105:106], v[107:108]
	v_div_fmas_f64 v[99:100], v[99:100], v[101:102], v[105:106]
	v_div_fixup_f64 v[101:102], v[99:100], v[97:98], 1.0
	v_mul_f64 v[103:104], v[103:104], -v[101:102]
.LBB95_259:
	s_or_b64 exec, exec, s[2:3]
	ds_write2_b64 v127, v[101:102], v[103:104] offset1:1
.LBB95_260:
	s_or_b64 exec, exec, s[4:5]
	s_waitcnt lgkmcnt(0)
	s_barrier
	ds_read2_b64 v[69:72], v127 offset1:1
	v_cmp_lt_u32_e32 vcc, 28, v0
	s_waitcnt lgkmcnt(0)
	buffer_store_dword v69, off, s[20:23], 0 offset:1224 ; 4-byte Folded Spill
	s_nop 0
	buffer_store_dword v70, off, s[20:23], 0 offset:1228 ; 4-byte Folded Spill
	buffer_store_dword v71, off, s[20:23], 0 offset:1232 ; 4-byte Folded Spill
	buffer_store_dword v72, off, s[20:23], 0 offset:1236 ; 4-byte Folded Spill
	s_and_saveexec_b64 s[2:3], vcc
	s_cbranch_execz .LBB95_262
; %bb.261:
	v_mov_b32_e32 v80, v76
	v_mov_b32_e32 v79, v75
	v_mov_b32_e32 v78, v74
	v_mov_b32_e32 v77, v73
	buffer_load_dword v73, off, s[20:23], 0 offset:16 ; 4-byte Folded Reload
	buffer_load_dword v74, off, s[20:23], 0 offset:20 ; 4-byte Folded Reload
	;; [unrolled: 1-line block ×8, first 2 shown]
	ds_read2_b64 v[99:102], v125 offset0:58 offset1:59
	s_waitcnt vmcnt(0)
	v_mul_f64 v[97:98], v[71:72], v[75:76]
	v_mul_f64 v[75:76], v[69:70], v[75:76]
	v_fma_f64 v[97:98], v[69:70], v[73:74], -v[97:98]
	v_fma_f64 v[75:76], v[71:72], v[73:74], v[75:76]
	buffer_load_dword v69, off, s[20:23], 0 ; 4-byte Folded Reload
	buffer_load_dword v70, off, s[20:23], 0 offset:4 ; 4-byte Folded Reload
	buffer_load_dword v71, off, s[20:23], 0 offset:8 ; 4-byte Folded Reload
	;; [unrolled: 1-line block ×3, first 2 shown]
	s_waitcnt lgkmcnt(0)
	v_mul_f64 v[73:74], v[101:102], v[75:76]
	v_fma_f64 v[73:74], v[99:100], v[97:98], -v[73:74]
	v_mul_f64 v[99:100], v[99:100], v[75:76]
	v_fma_f64 v[99:100], v[101:102], v[97:98], v[99:100]
	s_waitcnt vmcnt(2)
	v_add_f64 v[69:70], v[69:70], -v[73:74]
	s_waitcnt vmcnt(0)
	v_add_f64 v[71:72], v[71:72], -v[99:100]
	buffer_store_dword v69, off, s[20:23], 0 ; 4-byte Folded Spill
	s_nop 0
	buffer_store_dword v70, off, s[20:23], 0 offset:4 ; 4-byte Folded Spill
	buffer_store_dword v71, off, s[20:23], 0 offset:8 ; 4-byte Folded Spill
	;; [unrolled: 1-line block ×3, first 2 shown]
	ds_read2_b64 v[99:102], v125 offset0:60 offset1:61
	s_waitcnt lgkmcnt(0)
	v_mul_f64 v[73:74], v[101:102], v[75:76]
	v_fma_f64 v[73:74], v[99:100], v[97:98], -v[73:74]
	v_mul_f64 v[99:100], v[99:100], v[75:76]
	v_add_f64 v[65:66], v[65:66], -v[73:74]
	v_fma_f64 v[99:100], v[101:102], v[97:98], v[99:100]
	v_add_f64 v[67:68], v[67:68], -v[99:100]
	ds_read2_b64 v[99:102], v125 offset0:62 offset1:63
	s_waitcnt lgkmcnt(0)
	v_mul_f64 v[73:74], v[101:102], v[75:76]
	v_fma_f64 v[73:74], v[99:100], v[97:98], -v[73:74]
	v_mul_f64 v[99:100], v[99:100], v[75:76]
	v_add_f64 v[61:62], v[61:62], -v[73:74]
	v_fma_f64 v[99:100], v[101:102], v[97:98], v[99:100]
	v_add_f64 v[63:64], v[63:64], -v[99:100]
	ds_read2_b64 v[99:102], v125 offset0:64 offset1:65
	s_waitcnt lgkmcnt(0)
	v_mul_f64 v[73:74], v[101:102], v[75:76]
	v_fma_f64 v[73:74], v[99:100], v[97:98], -v[73:74]
	v_mul_f64 v[99:100], v[99:100], v[75:76]
	v_add_f64 v[57:58], v[57:58], -v[73:74]
	v_fma_f64 v[99:100], v[101:102], v[97:98], v[99:100]
	v_add_f64 v[59:60], v[59:60], -v[99:100]
	ds_read2_b64 v[99:102], v125 offset0:66 offset1:67
	s_waitcnt lgkmcnt(0)
	v_mul_f64 v[73:74], v[101:102], v[75:76]
	v_fma_f64 v[73:74], v[99:100], v[97:98], -v[73:74]
	v_mul_f64 v[99:100], v[99:100], v[75:76]
	v_add_f64 v[53:54], v[53:54], -v[73:74]
	v_fma_f64 v[99:100], v[101:102], v[97:98], v[99:100]
	v_add_f64 v[55:56], v[55:56], -v[99:100]
	ds_read2_b64 v[99:102], v125 offset0:68 offset1:69
	s_waitcnt lgkmcnt(0)
	v_mul_f64 v[73:74], v[101:102], v[75:76]
	v_fma_f64 v[73:74], v[99:100], v[97:98], -v[73:74]
	v_mul_f64 v[99:100], v[99:100], v[75:76]
	v_add_f64 v[49:50], v[49:50], -v[73:74]
	v_fma_f64 v[99:100], v[101:102], v[97:98], v[99:100]
	v_add_f64 v[51:52], v[51:52], -v[99:100]
	ds_read2_b64 v[99:102], v125 offset0:70 offset1:71
	s_waitcnt lgkmcnt(0)
	v_mul_f64 v[73:74], v[101:102], v[75:76]
	v_fma_f64 v[73:74], v[99:100], v[97:98], -v[73:74]
	v_mul_f64 v[99:100], v[99:100], v[75:76]
	v_add_f64 v[45:46], v[45:46], -v[73:74]
	v_fma_f64 v[99:100], v[101:102], v[97:98], v[99:100]
	v_add_f64 v[47:48], v[47:48], -v[99:100]
	ds_read2_b64 v[99:102], v125 offset0:72 offset1:73
	s_waitcnt lgkmcnt(0)
	v_mul_f64 v[73:74], v[101:102], v[75:76]
	v_fma_f64 v[73:74], v[99:100], v[97:98], -v[73:74]
	v_mul_f64 v[99:100], v[99:100], v[75:76]
	v_add_f64 v[41:42], v[41:42], -v[73:74]
	v_fma_f64 v[99:100], v[101:102], v[97:98], v[99:100]
	v_add_f64 v[43:44], v[43:44], -v[99:100]
	ds_read2_b64 v[99:102], v125 offset0:74 offset1:75
	s_waitcnt lgkmcnt(0)
	v_mul_f64 v[73:74], v[101:102], v[75:76]
	v_fma_f64 v[73:74], v[99:100], v[97:98], -v[73:74]
	v_mul_f64 v[99:100], v[99:100], v[75:76]
	v_add_f64 v[37:38], v[37:38], -v[73:74]
	v_fma_f64 v[99:100], v[101:102], v[97:98], v[99:100]
	v_add_f64 v[39:40], v[39:40], -v[99:100]
	ds_read2_b64 v[99:102], v125 offset0:76 offset1:77
	s_waitcnt lgkmcnt(0)
	v_mul_f64 v[73:74], v[101:102], v[75:76]
	v_fma_f64 v[73:74], v[99:100], v[97:98], -v[73:74]
	v_mul_f64 v[99:100], v[99:100], v[75:76]
	v_add_f64 v[33:34], v[33:34], -v[73:74]
	v_fma_f64 v[99:100], v[101:102], v[97:98], v[99:100]
	v_add_f64 v[35:36], v[35:36], -v[99:100]
	ds_read2_b64 v[99:102], v125 offset0:78 offset1:79
	s_waitcnt lgkmcnt(0)
	v_mul_f64 v[73:74], v[101:102], v[75:76]
	v_fma_f64 v[73:74], v[99:100], v[97:98], -v[73:74]
	v_mul_f64 v[99:100], v[99:100], v[75:76]
	v_add_f64 v[29:30], v[29:30], -v[73:74]
	v_fma_f64 v[99:100], v[101:102], v[97:98], v[99:100]
	v_add_f64 v[31:32], v[31:32], -v[99:100]
	ds_read2_b64 v[99:102], v125 offset0:80 offset1:81
	s_waitcnt lgkmcnt(0)
	v_mul_f64 v[73:74], v[101:102], v[75:76]
	v_fma_f64 v[73:74], v[99:100], v[97:98], -v[73:74]
	v_mul_f64 v[99:100], v[99:100], v[75:76]
	v_add_f64 v[25:26], v[25:26], -v[73:74]
	v_fma_f64 v[99:100], v[101:102], v[97:98], v[99:100]
	v_add_f64 v[27:28], v[27:28], -v[99:100]
	ds_read2_b64 v[99:102], v125 offset0:82 offset1:83
	s_waitcnt lgkmcnt(0)
	v_mul_f64 v[73:74], v[101:102], v[75:76]
	v_fma_f64 v[73:74], v[99:100], v[97:98], -v[73:74]
	v_mul_f64 v[99:100], v[99:100], v[75:76]
	v_add_f64 v[21:22], v[21:22], -v[73:74]
	v_fma_f64 v[99:100], v[101:102], v[97:98], v[99:100]
	v_add_f64 v[23:24], v[23:24], -v[99:100]
	ds_read2_b64 v[99:102], v125 offset0:84 offset1:85
	s_waitcnt lgkmcnt(0)
	v_mul_f64 v[73:74], v[101:102], v[75:76]
	v_fma_f64 v[73:74], v[99:100], v[97:98], -v[73:74]
	v_mul_f64 v[99:100], v[99:100], v[75:76]
	v_add_f64 v[17:18], v[17:18], -v[73:74]
	v_fma_f64 v[99:100], v[101:102], v[97:98], v[99:100]
	v_add_f64 v[19:20], v[19:20], -v[99:100]
	ds_read2_b64 v[99:102], v125 offset0:86 offset1:87
	s_waitcnt lgkmcnt(0)
	v_mul_f64 v[73:74], v[101:102], v[75:76]
	v_fma_f64 v[73:74], v[99:100], v[97:98], -v[73:74]
	v_mul_f64 v[99:100], v[99:100], v[75:76]
	v_add_f64 v[13:14], v[13:14], -v[73:74]
	v_fma_f64 v[99:100], v[101:102], v[97:98], v[99:100]
	v_add_f64 v[15:16], v[15:16], -v[99:100]
	ds_read2_b64 v[99:102], v125 offset0:88 offset1:89
	s_waitcnt lgkmcnt(0)
	v_mul_f64 v[73:74], v[101:102], v[75:76]
	v_fma_f64 v[73:74], v[99:100], v[97:98], -v[73:74]
	v_mul_f64 v[99:100], v[99:100], v[75:76]
	v_add_f64 v[9:10], v[9:10], -v[73:74]
	v_fma_f64 v[99:100], v[101:102], v[97:98], v[99:100]
	v_add_f64 v[11:12], v[11:12], -v[99:100]
	ds_read2_b64 v[99:102], v125 offset0:90 offset1:91
	s_waitcnt lgkmcnt(0)
	v_mul_f64 v[73:74], v[101:102], v[75:76]
	v_fma_f64 v[73:74], v[99:100], v[97:98], -v[73:74]
	v_mul_f64 v[99:100], v[99:100], v[75:76]
	v_add_f64 v[5:6], v[5:6], -v[73:74]
	v_fma_f64 v[99:100], v[101:102], v[97:98], v[99:100]
	v_add_f64 v[7:8], v[7:8], -v[99:100]
	ds_read2_b64 v[99:102], v125 offset0:92 offset1:93
	s_waitcnt lgkmcnt(0)
	v_mul_f64 v[73:74], v[101:102], v[75:76]
	v_fma_f64 v[73:74], v[99:100], v[97:98], -v[73:74]
	v_mul_f64 v[99:100], v[99:100], v[75:76]
	v_add_f64 v[1:2], v[1:2], -v[73:74]
	v_fma_f64 v[99:100], v[101:102], v[97:98], v[99:100]
	v_add_f64 v[3:4], v[3:4], -v[99:100]
	ds_read2_b64 v[99:102], v125 offset0:94 offset1:95
	s_waitcnt lgkmcnt(0)
	v_mul_f64 v[73:74], v[101:102], v[75:76]
	v_fma_f64 v[73:74], v[99:100], v[97:98], -v[73:74]
	v_mul_f64 v[99:100], v[99:100], v[75:76]
	v_add_f64 v[77:78], v[77:78], -v[73:74]
	v_fma_f64 v[99:100], v[101:102], v[97:98], v[99:100]
	v_mov_b32_e32 v73, v97
	v_mov_b32_e32 v74, v98
	buffer_store_dword v73, off, s[20:23], 0 offset:16 ; 4-byte Folded Spill
	s_nop 0
	buffer_store_dword v74, off, s[20:23], 0 offset:20 ; 4-byte Folded Spill
	buffer_store_dword v75, off, s[20:23], 0 offset:24 ; 4-byte Folded Spill
	;; [unrolled: 1-line block ×3, first 2 shown]
	v_add_f64 v[79:80], v[79:80], -v[99:100]
	v_mov_b32_e32 v73, v77
	v_mov_b32_e32 v74, v78
	;; [unrolled: 1-line block ×4, first 2 shown]
.LBB95_262:
	s_or_b64 exec, exec, s[2:3]
	v_cmp_eq_u32_e32 vcc, 29, v0
	s_waitcnt vmcnt(0)
	s_barrier
	s_and_saveexec_b64 s[4:5], vcc
	s_cbranch_execz .LBB95_269
; %bb.263:
	buffer_load_dword v69, off, s[20:23], 0 ; 4-byte Folded Reload
	buffer_load_dword v70, off, s[20:23], 0 offset:4 ; 4-byte Folded Reload
	buffer_load_dword v71, off, s[20:23], 0 offset:8 ; 4-byte Folded Reload
	buffer_load_dword v72, off, s[20:23], 0 offset:12 ; 4-byte Folded Reload
	s_waitcnt vmcnt(0)
	ds_write2_b64 v127, v[69:70], v[71:72] offset1:1
	ds_write2_b64 v125, v[65:66], v[67:68] offset0:60 offset1:61
	ds_write2_b64 v125, v[61:62], v[63:64] offset0:62 offset1:63
	;; [unrolled: 1-line block ×18, first 2 shown]
	ds_read2_b64 v[97:100], v127 offset1:1
	s_waitcnt lgkmcnt(0)
	v_cmp_neq_f64_e32 vcc, 0, v[97:98]
	v_cmp_neq_f64_e64 s[2:3], 0, v[99:100]
	s_or_b64 s[2:3], vcc, s[2:3]
	s_and_b64 exec, exec, s[2:3]
	s_cbranch_execz .LBB95_269
; %bb.264:
	v_cmp_ngt_f64_e64 s[2:3], |v[97:98]|, |v[99:100]|
                                        ; implicit-def: $vgpr101_vgpr102
	s_and_saveexec_b64 s[6:7], s[2:3]
	s_xor_b64 s[2:3], exec, s[6:7]
                                        ; implicit-def: $vgpr103_vgpr104
	s_cbranch_execz .LBB95_266
; %bb.265:
	v_div_scale_f64 v[101:102], s[6:7], v[99:100], v[99:100], v[97:98]
	v_rcp_f64_e32 v[103:104], v[101:102]
	v_fma_f64 v[105:106], -v[101:102], v[103:104], 1.0
	v_fma_f64 v[103:104], v[103:104], v[105:106], v[103:104]
	v_div_scale_f64 v[105:106], vcc, v[97:98], v[99:100], v[97:98]
	v_fma_f64 v[107:108], -v[101:102], v[103:104], 1.0
	v_fma_f64 v[103:104], v[103:104], v[107:108], v[103:104]
	v_mul_f64 v[107:108], v[105:106], v[103:104]
	v_fma_f64 v[101:102], -v[101:102], v[107:108], v[105:106]
	v_div_fmas_f64 v[101:102], v[101:102], v[103:104], v[107:108]
	v_div_fixup_f64 v[101:102], v[101:102], v[99:100], v[97:98]
	v_fma_f64 v[97:98], v[97:98], v[101:102], v[99:100]
	v_div_scale_f64 v[99:100], s[6:7], v[97:98], v[97:98], 1.0
	v_div_scale_f64 v[107:108], vcc, 1.0, v[97:98], 1.0
	v_rcp_f64_e32 v[103:104], v[99:100]
	v_fma_f64 v[105:106], -v[99:100], v[103:104], 1.0
	v_fma_f64 v[103:104], v[103:104], v[105:106], v[103:104]
	v_fma_f64 v[105:106], -v[99:100], v[103:104], 1.0
	v_fma_f64 v[103:104], v[103:104], v[105:106], v[103:104]
	v_mul_f64 v[105:106], v[107:108], v[103:104]
	v_fma_f64 v[99:100], -v[99:100], v[105:106], v[107:108]
	v_div_fmas_f64 v[99:100], v[99:100], v[103:104], v[105:106]
	v_div_fixup_f64 v[103:104], v[99:100], v[97:98], 1.0
                                        ; implicit-def: $vgpr97_vgpr98
	v_mul_f64 v[101:102], v[101:102], v[103:104]
	v_xor_b32_e32 v104, 0x80000000, v104
.LBB95_266:
	s_andn2_saveexec_b64 s[2:3], s[2:3]
	s_cbranch_execz .LBB95_268
; %bb.267:
	v_div_scale_f64 v[101:102], s[6:7], v[97:98], v[97:98], v[99:100]
	v_rcp_f64_e32 v[103:104], v[101:102]
	v_fma_f64 v[105:106], -v[101:102], v[103:104], 1.0
	v_fma_f64 v[103:104], v[103:104], v[105:106], v[103:104]
	v_div_scale_f64 v[105:106], vcc, v[99:100], v[97:98], v[99:100]
	v_fma_f64 v[107:108], -v[101:102], v[103:104], 1.0
	v_fma_f64 v[103:104], v[103:104], v[107:108], v[103:104]
	v_mul_f64 v[107:108], v[105:106], v[103:104]
	v_fma_f64 v[101:102], -v[101:102], v[107:108], v[105:106]
	v_div_fmas_f64 v[101:102], v[101:102], v[103:104], v[107:108]
	v_div_fixup_f64 v[103:104], v[101:102], v[97:98], v[99:100]
	v_fma_f64 v[97:98], v[99:100], v[103:104], v[97:98]
	v_div_scale_f64 v[99:100], s[6:7], v[97:98], v[97:98], 1.0
	v_div_scale_f64 v[107:108], vcc, 1.0, v[97:98], 1.0
	v_rcp_f64_e32 v[101:102], v[99:100]
	v_fma_f64 v[105:106], -v[99:100], v[101:102], 1.0
	v_fma_f64 v[101:102], v[101:102], v[105:106], v[101:102]
	v_fma_f64 v[105:106], -v[99:100], v[101:102], 1.0
	v_fma_f64 v[101:102], v[101:102], v[105:106], v[101:102]
	v_mul_f64 v[105:106], v[107:108], v[101:102]
	v_fma_f64 v[99:100], -v[99:100], v[105:106], v[107:108]
	v_div_fmas_f64 v[99:100], v[99:100], v[101:102], v[105:106]
	v_div_fixup_f64 v[101:102], v[99:100], v[97:98], 1.0
	v_mul_f64 v[103:104], v[103:104], -v[101:102]
.LBB95_268:
	s_or_b64 exec, exec, s[2:3]
	ds_write2_b64 v127, v[101:102], v[103:104] offset1:1
.LBB95_269:
	s_or_b64 exec, exec, s[4:5]
	s_waitcnt lgkmcnt(0)
	s_barrier
	ds_read2_b64 v[69:72], v127 offset1:1
	v_cmp_lt_u32_e32 vcc, 29, v0
	s_waitcnt lgkmcnt(0)
	buffer_store_dword v69, off, s[20:23], 0 offset:1240 ; 4-byte Folded Spill
	s_nop 0
	buffer_store_dword v70, off, s[20:23], 0 offset:1244 ; 4-byte Folded Spill
	buffer_store_dword v71, off, s[20:23], 0 offset:1248 ; 4-byte Folded Spill
	;; [unrolled: 1-line block ×3, first 2 shown]
	s_and_saveexec_b64 s[2:3], vcc
	s_cbranch_execz .LBB95_271
; %bb.270:
	buffer_load_dword v69, off, s[20:23], 0 ; 4-byte Folded Reload
	buffer_load_dword v70, off, s[20:23], 0 offset:4 ; 4-byte Folded Reload
	buffer_load_dword v71, off, s[20:23], 0 offset:8 ; 4-byte Folded Reload
	;; [unrolled: 1-line block ×7, first 2 shown]
	ds_read2_b64 v[99:102], v125 offset0:60 offset1:61
	s_waitcnt vmcnt(0)
	v_mul_f64 v[97:98], v[79:80], v[71:72]
	v_mul_f64 v[71:72], v[77:78], v[71:72]
	v_fma_f64 v[97:98], v[77:78], v[69:70], -v[97:98]
	v_fma_f64 v[71:72], v[79:80], v[69:70], v[71:72]
	s_waitcnt lgkmcnt(0)
	v_mul_f64 v[69:70], v[101:102], v[71:72]
	v_fma_f64 v[69:70], v[99:100], v[97:98], -v[69:70]
	v_mul_f64 v[99:100], v[99:100], v[71:72]
	v_add_f64 v[65:66], v[65:66], -v[69:70]
	v_fma_f64 v[99:100], v[101:102], v[97:98], v[99:100]
	v_add_f64 v[67:68], v[67:68], -v[99:100]
	ds_read2_b64 v[99:102], v125 offset0:62 offset1:63
	s_waitcnt lgkmcnt(0)
	v_mul_f64 v[69:70], v[101:102], v[71:72]
	v_fma_f64 v[69:70], v[99:100], v[97:98], -v[69:70]
	v_mul_f64 v[99:100], v[99:100], v[71:72]
	v_add_f64 v[61:62], v[61:62], -v[69:70]
	v_fma_f64 v[99:100], v[101:102], v[97:98], v[99:100]
	v_add_f64 v[63:64], v[63:64], -v[99:100]
	ds_read2_b64 v[99:102], v125 offset0:64 offset1:65
	;; [unrolled: 8-line block ×17, first 2 shown]
	s_waitcnt lgkmcnt(0)
	v_mul_f64 v[69:70], v[101:102], v[71:72]
	v_fma_f64 v[69:70], v[99:100], v[97:98], -v[69:70]
	v_mul_f64 v[99:100], v[99:100], v[71:72]
	v_add_f64 v[73:74], v[73:74], -v[69:70]
	v_fma_f64 v[99:100], v[101:102], v[97:98], v[99:100]
	v_mov_b32_e32 v69, v97
	v_mov_b32_e32 v70, v98
	buffer_store_dword v69, off, s[20:23], 0 ; 4-byte Folded Spill
	s_nop 0
	buffer_store_dword v70, off, s[20:23], 0 offset:4 ; 4-byte Folded Spill
	buffer_store_dword v71, off, s[20:23], 0 offset:8 ; 4-byte Folded Spill
	;; [unrolled: 1-line block ×3, first 2 shown]
	v_add_f64 v[75:76], v[75:76], -v[99:100]
.LBB95_271:
	s_or_b64 exec, exec, s[2:3]
	v_cmp_eq_u32_e32 vcc, 30, v0
	s_waitcnt vmcnt(0)
	s_barrier
	s_and_saveexec_b64 s[4:5], vcc
	s_cbranch_execz .LBB95_278
; %bb.272:
	ds_write2_b64 v127, v[65:66], v[67:68] offset1:1
	ds_write2_b64 v125, v[61:62], v[63:64] offset0:62 offset1:63
	ds_write2_b64 v125, v[57:58], v[59:60] offset0:64 offset1:65
	;; [unrolled: 1-line block ×17, first 2 shown]
	ds_read2_b64 v[97:100], v127 offset1:1
	s_waitcnt lgkmcnt(0)
	v_cmp_neq_f64_e32 vcc, 0, v[97:98]
	v_cmp_neq_f64_e64 s[2:3], 0, v[99:100]
	s_or_b64 s[2:3], vcc, s[2:3]
	s_and_b64 exec, exec, s[2:3]
	s_cbranch_execz .LBB95_278
; %bb.273:
	v_cmp_ngt_f64_e64 s[2:3], |v[97:98]|, |v[99:100]|
                                        ; implicit-def: $vgpr101_vgpr102
	s_and_saveexec_b64 s[6:7], s[2:3]
	s_xor_b64 s[2:3], exec, s[6:7]
                                        ; implicit-def: $vgpr103_vgpr104
	s_cbranch_execz .LBB95_275
; %bb.274:
	v_div_scale_f64 v[101:102], s[6:7], v[99:100], v[99:100], v[97:98]
	v_rcp_f64_e32 v[103:104], v[101:102]
	v_fma_f64 v[105:106], -v[101:102], v[103:104], 1.0
	v_fma_f64 v[103:104], v[103:104], v[105:106], v[103:104]
	v_div_scale_f64 v[105:106], vcc, v[97:98], v[99:100], v[97:98]
	v_fma_f64 v[107:108], -v[101:102], v[103:104], 1.0
	v_fma_f64 v[103:104], v[103:104], v[107:108], v[103:104]
	v_mul_f64 v[107:108], v[105:106], v[103:104]
	v_fma_f64 v[101:102], -v[101:102], v[107:108], v[105:106]
	v_div_fmas_f64 v[101:102], v[101:102], v[103:104], v[107:108]
	v_div_fixup_f64 v[101:102], v[101:102], v[99:100], v[97:98]
	v_fma_f64 v[97:98], v[97:98], v[101:102], v[99:100]
	v_div_scale_f64 v[99:100], s[6:7], v[97:98], v[97:98], 1.0
	v_div_scale_f64 v[107:108], vcc, 1.0, v[97:98], 1.0
	v_rcp_f64_e32 v[103:104], v[99:100]
	v_fma_f64 v[105:106], -v[99:100], v[103:104], 1.0
	v_fma_f64 v[103:104], v[103:104], v[105:106], v[103:104]
	v_fma_f64 v[105:106], -v[99:100], v[103:104], 1.0
	v_fma_f64 v[103:104], v[103:104], v[105:106], v[103:104]
	v_mul_f64 v[105:106], v[107:108], v[103:104]
	v_fma_f64 v[99:100], -v[99:100], v[105:106], v[107:108]
	v_div_fmas_f64 v[99:100], v[99:100], v[103:104], v[105:106]
	v_div_fixup_f64 v[103:104], v[99:100], v[97:98], 1.0
                                        ; implicit-def: $vgpr97_vgpr98
	v_mul_f64 v[101:102], v[101:102], v[103:104]
	v_xor_b32_e32 v104, 0x80000000, v104
.LBB95_275:
	s_andn2_saveexec_b64 s[2:3], s[2:3]
	s_cbranch_execz .LBB95_277
; %bb.276:
	v_div_scale_f64 v[101:102], s[6:7], v[97:98], v[97:98], v[99:100]
	v_rcp_f64_e32 v[103:104], v[101:102]
	v_fma_f64 v[105:106], -v[101:102], v[103:104], 1.0
	v_fma_f64 v[103:104], v[103:104], v[105:106], v[103:104]
	v_div_scale_f64 v[105:106], vcc, v[99:100], v[97:98], v[99:100]
	v_fma_f64 v[107:108], -v[101:102], v[103:104], 1.0
	v_fma_f64 v[103:104], v[103:104], v[107:108], v[103:104]
	v_mul_f64 v[107:108], v[105:106], v[103:104]
	v_fma_f64 v[101:102], -v[101:102], v[107:108], v[105:106]
	v_div_fmas_f64 v[101:102], v[101:102], v[103:104], v[107:108]
	v_div_fixup_f64 v[103:104], v[101:102], v[97:98], v[99:100]
	v_fma_f64 v[97:98], v[99:100], v[103:104], v[97:98]
	v_div_scale_f64 v[99:100], s[6:7], v[97:98], v[97:98], 1.0
	v_div_scale_f64 v[107:108], vcc, 1.0, v[97:98], 1.0
	v_rcp_f64_e32 v[101:102], v[99:100]
	v_fma_f64 v[105:106], -v[99:100], v[101:102], 1.0
	v_fma_f64 v[101:102], v[101:102], v[105:106], v[101:102]
	v_fma_f64 v[105:106], -v[99:100], v[101:102], 1.0
	v_fma_f64 v[101:102], v[101:102], v[105:106], v[101:102]
	v_mul_f64 v[105:106], v[107:108], v[101:102]
	v_fma_f64 v[99:100], -v[99:100], v[105:106], v[107:108]
	v_div_fmas_f64 v[99:100], v[99:100], v[101:102], v[105:106]
	v_div_fixup_f64 v[101:102], v[99:100], v[97:98], 1.0
	v_mul_f64 v[103:104], v[103:104], -v[101:102]
.LBB95_277:
	s_or_b64 exec, exec, s[2:3]
	ds_write2_b64 v127, v[101:102], v[103:104] offset1:1
.LBB95_278:
	s_or_b64 exec, exec, s[4:5]
	s_waitcnt lgkmcnt(0)
	s_barrier
	ds_read2_b64 v[69:72], v127 offset1:1
	v_cmp_lt_u32_e32 vcc, 30, v0
	s_waitcnt lgkmcnt(0)
	buffer_store_dword v69, off, s[20:23], 0 offset:1256 ; 4-byte Folded Spill
	s_nop 0
	buffer_store_dword v70, off, s[20:23], 0 offset:1260 ; 4-byte Folded Spill
	buffer_store_dword v71, off, s[20:23], 0 offset:1264 ; 4-byte Folded Spill
	;; [unrolled: 1-line block ×3, first 2 shown]
	s_and_saveexec_b64 s[2:3], vcc
	s_cbranch_execz .LBB95_280
; %bb.279:
	buffer_load_dword v69, off, s[20:23], 0 offset:1256 ; 4-byte Folded Reload
	buffer_load_dword v70, off, s[20:23], 0 offset:1260 ; 4-byte Folded Reload
	;; [unrolled: 1-line block ×4, first 2 shown]
	ds_read2_b64 v[99:102], v125 offset0:62 offset1:63
	s_waitcnt vmcnt(0)
	v_mul_f64 v[97:98], v[71:72], v[67:68]
	v_mul_f64 v[67:68], v[69:70], v[67:68]
	v_fma_f64 v[97:98], v[69:70], v[65:66], -v[97:98]
	v_fma_f64 v[67:68], v[71:72], v[65:66], v[67:68]
	s_waitcnt lgkmcnt(0)
	v_mul_f64 v[65:66], v[101:102], v[67:68]
	v_fma_f64 v[65:66], v[99:100], v[97:98], -v[65:66]
	v_mul_f64 v[99:100], v[99:100], v[67:68]
	v_add_f64 v[61:62], v[61:62], -v[65:66]
	v_fma_f64 v[99:100], v[101:102], v[97:98], v[99:100]
	v_add_f64 v[63:64], v[63:64], -v[99:100]
	ds_read2_b64 v[99:102], v125 offset0:64 offset1:65
	s_waitcnt lgkmcnt(0)
	v_mul_f64 v[65:66], v[101:102], v[67:68]
	v_fma_f64 v[65:66], v[99:100], v[97:98], -v[65:66]
	v_mul_f64 v[99:100], v[99:100], v[67:68]
	v_add_f64 v[57:58], v[57:58], -v[65:66]
	v_fma_f64 v[99:100], v[101:102], v[97:98], v[99:100]
	v_add_f64 v[59:60], v[59:60], -v[99:100]
	ds_read2_b64 v[99:102], v125 offset0:66 offset1:67
	;; [unrolled: 8-line block ×16, first 2 shown]
	s_waitcnt lgkmcnt(0)
	v_mul_f64 v[65:66], v[101:102], v[67:68]
	v_fma_f64 v[65:66], v[99:100], v[97:98], -v[65:66]
	v_mul_f64 v[99:100], v[99:100], v[67:68]
	v_add_f64 v[73:74], v[73:74], -v[65:66]
	v_fma_f64 v[99:100], v[101:102], v[97:98], v[99:100]
	v_mov_b32_e32 v65, v97
	v_mov_b32_e32 v66, v98
	v_add_f64 v[75:76], v[75:76], -v[99:100]
.LBB95_280:
	s_or_b64 exec, exec, s[2:3]
	v_cmp_eq_u32_e32 vcc, 31, v0
	s_waitcnt vmcnt(0)
	s_barrier
	s_and_saveexec_b64 s[4:5], vcc
	s_cbranch_execz .LBB95_287
; %bb.281:
	ds_write2_b64 v127, v[61:62], v[63:64] offset1:1
	ds_write2_b64 v125, v[57:58], v[59:60] offset0:64 offset1:65
	ds_write2_b64 v125, v[53:54], v[55:56] offset0:66 offset1:67
	;; [unrolled: 1-line block ×16, first 2 shown]
	ds_read2_b64 v[97:100], v127 offset1:1
	s_waitcnt lgkmcnt(0)
	v_cmp_neq_f64_e32 vcc, 0, v[97:98]
	v_cmp_neq_f64_e64 s[2:3], 0, v[99:100]
	s_or_b64 s[2:3], vcc, s[2:3]
	s_and_b64 exec, exec, s[2:3]
	s_cbranch_execz .LBB95_287
; %bb.282:
	v_cmp_ngt_f64_e64 s[2:3], |v[97:98]|, |v[99:100]|
                                        ; implicit-def: $vgpr101_vgpr102
	s_and_saveexec_b64 s[6:7], s[2:3]
	s_xor_b64 s[2:3], exec, s[6:7]
                                        ; implicit-def: $vgpr103_vgpr104
	s_cbranch_execz .LBB95_284
; %bb.283:
	v_div_scale_f64 v[101:102], s[6:7], v[99:100], v[99:100], v[97:98]
	v_rcp_f64_e32 v[103:104], v[101:102]
	v_fma_f64 v[105:106], -v[101:102], v[103:104], 1.0
	v_fma_f64 v[103:104], v[103:104], v[105:106], v[103:104]
	v_div_scale_f64 v[105:106], vcc, v[97:98], v[99:100], v[97:98]
	v_fma_f64 v[107:108], -v[101:102], v[103:104], 1.0
	v_fma_f64 v[103:104], v[103:104], v[107:108], v[103:104]
	v_mul_f64 v[107:108], v[105:106], v[103:104]
	v_fma_f64 v[101:102], -v[101:102], v[107:108], v[105:106]
	v_div_fmas_f64 v[101:102], v[101:102], v[103:104], v[107:108]
	v_div_fixup_f64 v[101:102], v[101:102], v[99:100], v[97:98]
	v_fma_f64 v[97:98], v[97:98], v[101:102], v[99:100]
	v_div_scale_f64 v[99:100], s[6:7], v[97:98], v[97:98], 1.0
	v_div_scale_f64 v[107:108], vcc, 1.0, v[97:98], 1.0
	v_rcp_f64_e32 v[103:104], v[99:100]
	v_fma_f64 v[105:106], -v[99:100], v[103:104], 1.0
	v_fma_f64 v[103:104], v[103:104], v[105:106], v[103:104]
	v_fma_f64 v[105:106], -v[99:100], v[103:104], 1.0
	v_fma_f64 v[103:104], v[103:104], v[105:106], v[103:104]
	v_mul_f64 v[105:106], v[107:108], v[103:104]
	v_fma_f64 v[99:100], -v[99:100], v[105:106], v[107:108]
	v_div_fmas_f64 v[99:100], v[99:100], v[103:104], v[105:106]
	v_div_fixup_f64 v[103:104], v[99:100], v[97:98], 1.0
                                        ; implicit-def: $vgpr97_vgpr98
	v_mul_f64 v[101:102], v[101:102], v[103:104]
	v_xor_b32_e32 v104, 0x80000000, v104
.LBB95_284:
	s_andn2_saveexec_b64 s[2:3], s[2:3]
	s_cbranch_execz .LBB95_286
; %bb.285:
	v_div_scale_f64 v[101:102], s[6:7], v[97:98], v[97:98], v[99:100]
	v_rcp_f64_e32 v[103:104], v[101:102]
	v_fma_f64 v[105:106], -v[101:102], v[103:104], 1.0
	v_fma_f64 v[103:104], v[103:104], v[105:106], v[103:104]
	v_div_scale_f64 v[105:106], vcc, v[99:100], v[97:98], v[99:100]
	v_fma_f64 v[107:108], -v[101:102], v[103:104], 1.0
	v_fma_f64 v[103:104], v[103:104], v[107:108], v[103:104]
	v_mul_f64 v[107:108], v[105:106], v[103:104]
	v_fma_f64 v[101:102], -v[101:102], v[107:108], v[105:106]
	v_div_fmas_f64 v[101:102], v[101:102], v[103:104], v[107:108]
	v_div_fixup_f64 v[103:104], v[101:102], v[97:98], v[99:100]
	v_fma_f64 v[97:98], v[99:100], v[103:104], v[97:98]
	v_div_scale_f64 v[99:100], s[6:7], v[97:98], v[97:98], 1.0
	v_div_scale_f64 v[107:108], vcc, 1.0, v[97:98], 1.0
	v_rcp_f64_e32 v[101:102], v[99:100]
	v_fma_f64 v[105:106], -v[99:100], v[101:102], 1.0
	v_fma_f64 v[101:102], v[101:102], v[105:106], v[101:102]
	v_fma_f64 v[105:106], -v[99:100], v[101:102], 1.0
	v_fma_f64 v[101:102], v[101:102], v[105:106], v[101:102]
	v_mul_f64 v[105:106], v[107:108], v[101:102]
	v_fma_f64 v[99:100], -v[99:100], v[105:106], v[107:108]
	v_div_fmas_f64 v[99:100], v[99:100], v[101:102], v[105:106]
	v_div_fixup_f64 v[101:102], v[99:100], v[97:98], 1.0
	v_mul_f64 v[103:104], v[103:104], -v[101:102]
.LBB95_286:
	s_or_b64 exec, exec, s[2:3]
	ds_write2_b64 v127, v[101:102], v[103:104] offset1:1
.LBB95_287:
	s_or_b64 exec, exec, s[4:5]
	s_waitcnt lgkmcnt(0)
	s_barrier
	ds_read2_b64 v[69:72], v127 offset1:1
	v_cmp_lt_u32_e32 vcc, 31, v0
	s_waitcnt lgkmcnt(0)
	buffer_store_dword v69, off, s[20:23], 0 offset:1272 ; 4-byte Folded Spill
	s_nop 0
	buffer_store_dword v70, off, s[20:23], 0 offset:1276 ; 4-byte Folded Spill
	buffer_store_dword v71, off, s[20:23], 0 offset:1280 ; 4-byte Folded Spill
	;; [unrolled: 1-line block ×3, first 2 shown]
	s_and_saveexec_b64 s[2:3], vcc
	s_cbranch_execz .LBB95_289
; %bb.288:
	buffer_load_dword v69, off, s[20:23], 0 offset:1272 ; 4-byte Folded Reload
	buffer_load_dword v70, off, s[20:23], 0 offset:1276 ; 4-byte Folded Reload
	;; [unrolled: 1-line block ×4, first 2 shown]
	ds_read2_b64 v[99:102], v125 offset0:64 offset1:65
	s_waitcnt vmcnt(2)
	v_mul_f64 v[97:98], v[69:70], v[63:64]
	s_waitcnt vmcnt(0)
	v_mul_f64 v[63:64], v[71:72], v[63:64]
	v_fma_f64 v[97:98], v[71:72], v[61:62], v[97:98]
	v_fma_f64 v[61:62], v[69:70], v[61:62], -v[63:64]
	s_waitcnt lgkmcnt(0)
	v_mul_f64 v[63:64], v[101:102], v[97:98]
	v_fma_f64 v[63:64], v[99:100], v[61:62], -v[63:64]
	v_mul_f64 v[99:100], v[99:100], v[97:98]
	v_add_f64 v[57:58], v[57:58], -v[63:64]
	v_fma_f64 v[99:100], v[101:102], v[61:62], v[99:100]
	v_add_f64 v[59:60], v[59:60], -v[99:100]
	ds_read2_b64 v[99:102], v125 offset0:66 offset1:67
	s_waitcnt lgkmcnt(0)
	v_mul_f64 v[63:64], v[101:102], v[97:98]
	v_fma_f64 v[63:64], v[99:100], v[61:62], -v[63:64]
	v_mul_f64 v[99:100], v[99:100], v[97:98]
	v_add_f64 v[53:54], v[53:54], -v[63:64]
	v_fma_f64 v[99:100], v[101:102], v[61:62], v[99:100]
	v_add_f64 v[55:56], v[55:56], -v[99:100]
	ds_read2_b64 v[99:102], v125 offset0:68 offset1:69
	;; [unrolled: 8-line block ×15, first 2 shown]
	s_waitcnt lgkmcnt(0)
	v_mul_f64 v[63:64], v[101:102], v[97:98]
	v_fma_f64 v[63:64], v[99:100], v[61:62], -v[63:64]
	v_mul_f64 v[99:100], v[99:100], v[97:98]
	v_add_f64 v[73:74], v[73:74], -v[63:64]
	v_fma_f64 v[99:100], v[101:102], v[61:62], v[99:100]
	v_mov_b32_e32 v63, v97
	v_mov_b32_e32 v64, v98
	v_add_f64 v[75:76], v[75:76], -v[99:100]
.LBB95_289:
	s_or_b64 exec, exec, s[2:3]
	v_cmp_eq_u32_e32 vcc, 32, v0
	s_waitcnt vmcnt(0)
	s_barrier
	s_and_saveexec_b64 s[4:5], vcc
	s_cbranch_execz .LBB95_296
; %bb.290:
	ds_write2_b64 v127, v[57:58], v[59:60] offset1:1
	ds_write2_b64 v125, v[53:54], v[55:56] offset0:66 offset1:67
	ds_write2_b64 v125, v[49:50], v[51:52] offset0:68 offset1:69
	;; [unrolled: 1-line block ×15, first 2 shown]
	ds_read2_b64 v[97:100], v127 offset1:1
	s_waitcnt lgkmcnt(0)
	v_cmp_neq_f64_e32 vcc, 0, v[97:98]
	v_cmp_neq_f64_e64 s[2:3], 0, v[99:100]
	s_or_b64 s[2:3], vcc, s[2:3]
	s_and_b64 exec, exec, s[2:3]
	s_cbranch_execz .LBB95_296
; %bb.291:
	v_cmp_ngt_f64_e64 s[2:3], |v[97:98]|, |v[99:100]|
                                        ; implicit-def: $vgpr101_vgpr102
	s_and_saveexec_b64 s[6:7], s[2:3]
	s_xor_b64 s[2:3], exec, s[6:7]
                                        ; implicit-def: $vgpr103_vgpr104
	s_cbranch_execz .LBB95_293
; %bb.292:
	v_div_scale_f64 v[101:102], s[6:7], v[99:100], v[99:100], v[97:98]
	v_rcp_f64_e32 v[103:104], v[101:102]
	v_fma_f64 v[105:106], -v[101:102], v[103:104], 1.0
	v_fma_f64 v[103:104], v[103:104], v[105:106], v[103:104]
	v_div_scale_f64 v[105:106], vcc, v[97:98], v[99:100], v[97:98]
	v_fma_f64 v[107:108], -v[101:102], v[103:104], 1.0
	v_fma_f64 v[103:104], v[103:104], v[107:108], v[103:104]
	v_mul_f64 v[107:108], v[105:106], v[103:104]
	v_fma_f64 v[101:102], -v[101:102], v[107:108], v[105:106]
	v_div_fmas_f64 v[101:102], v[101:102], v[103:104], v[107:108]
	v_div_fixup_f64 v[101:102], v[101:102], v[99:100], v[97:98]
	v_fma_f64 v[97:98], v[97:98], v[101:102], v[99:100]
	v_div_scale_f64 v[99:100], s[6:7], v[97:98], v[97:98], 1.0
	v_div_scale_f64 v[107:108], vcc, 1.0, v[97:98], 1.0
	v_rcp_f64_e32 v[103:104], v[99:100]
	v_fma_f64 v[105:106], -v[99:100], v[103:104], 1.0
	v_fma_f64 v[103:104], v[103:104], v[105:106], v[103:104]
	v_fma_f64 v[105:106], -v[99:100], v[103:104], 1.0
	v_fma_f64 v[103:104], v[103:104], v[105:106], v[103:104]
	v_mul_f64 v[105:106], v[107:108], v[103:104]
	v_fma_f64 v[99:100], -v[99:100], v[105:106], v[107:108]
	v_div_fmas_f64 v[99:100], v[99:100], v[103:104], v[105:106]
	v_div_fixup_f64 v[103:104], v[99:100], v[97:98], 1.0
                                        ; implicit-def: $vgpr97_vgpr98
	v_mul_f64 v[101:102], v[101:102], v[103:104]
	v_xor_b32_e32 v104, 0x80000000, v104
.LBB95_293:
	s_andn2_saveexec_b64 s[2:3], s[2:3]
	s_cbranch_execz .LBB95_295
; %bb.294:
	v_div_scale_f64 v[101:102], s[6:7], v[97:98], v[97:98], v[99:100]
	v_rcp_f64_e32 v[103:104], v[101:102]
	v_fma_f64 v[105:106], -v[101:102], v[103:104], 1.0
	v_fma_f64 v[103:104], v[103:104], v[105:106], v[103:104]
	v_div_scale_f64 v[105:106], vcc, v[99:100], v[97:98], v[99:100]
	v_fma_f64 v[107:108], -v[101:102], v[103:104], 1.0
	v_fma_f64 v[103:104], v[103:104], v[107:108], v[103:104]
	v_mul_f64 v[107:108], v[105:106], v[103:104]
	v_fma_f64 v[101:102], -v[101:102], v[107:108], v[105:106]
	v_div_fmas_f64 v[101:102], v[101:102], v[103:104], v[107:108]
	v_div_fixup_f64 v[103:104], v[101:102], v[97:98], v[99:100]
	v_fma_f64 v[97:98], v[99:100], v[103:104], v[97:98]
	v_div_scale_f64 v[99:100], s[6:7], v[97:98], v[97:98], 1.0
	v_div_scale_f64 v[107:108], vcc, 1.0, v[97:98], 1.0
	v_rcp_f64_e32 v[101:102], v[99:100]
	v_fma_f64 v[105:106], -v[99:100], v[101:102], 1.0
	v_fma_f64 v[101:102], v[101:102], v[105:106], v[101:102]
	v_fma_f64 v[105:106], -v[99:100], v[101:102], 1.0
	v_fma_f64 v[101:102], v[101:102], v[105:106], v[101:102]
	v_mul_f64 v[105:106], v[107:108], v[101:102]
	v_fma_f64 v[99:100], -v[99:100], v[105:106], v[107:108]
	v_div_fmas_f64 v[99:100], v[99:100], v[101:102], v[105:106]
	v_div_fixup_f64 v[101:102], v[99:100], v[97:98], 1.0
	v_mul_f64 v[103:104], v[103:104], -v[101:102]
.LBB95_295:
	s_or_b64 exec, exec, s[2:3]
	ds_write2_b64 v127, v[101:102], v[103:104] offset1:1
.LBB95_296:
	s_or_b64 exec, exec, s[4:5]
	s_waitcnt lgkmcnt(0)
	s_barrier
	ds_read2_b64 v[69:72], v127 offset1:1
	v_cmp_lt_u32_e32 vcc, 32, v0
	s_waitcnt lgkmcnt(0)
	buffer_store_dword v69, off, s[20:23], 0 offset:1288 ; 4-byte Folded Spill
	s_nop 0
	buffer_store_dword v70, off, s[20:23], 0 offset:1292 ; 4-byte Folded Spill
	buffer_store_dword v71, off, s[20:23], 0 offset:1296 ; 4-byte Folded Spill
	;; [unrolled: 1-line block ×3, first 2 shown]
	s_and_saveexec_b64 s[2:3], vcc
	s_cbranch_execz .LBB95_298
; %bb.297:
	buffer_load_dword v69, off, s[20:23], 0 offset:1288 ; 4-byte Folded Reload
	buffer_load_dword v70, off, s[20:23], 0 offset:1292 ; 4-byte Folded Reload
	;; [unrolled: 1-line block ×4, first 2 shown]
	ds_read2_b64 v[99:102], v125 offset0:66 offset1:67
	s_waitcnt vmcnt(2)
	v_mul_f64 v[97:98], v[69:70], v[59:60]
	s_waitcnt vmcnt(0)
	v_mul_f64 v[59:60], v[71:72], v[59:60]
	v_fma_f64 v[97:98], v[71:72], v[57:58], v[97:98]
	v_fma_f64 v[57:58], v[69:70], v[57:58], -v[59:60]
	s_waitcnt lgkmcnt(0)
	v_mul_f64 v[59:60], v[101:102], v[97:98]
	v_fma_f64 v[59:60], v[99:100], v[57:58], -v[59:60]
	v_mul_f64 v[99:100], v[99:100], v[97:98]
	v_add_f64 v[53:54], v[53:54], -v[59:60]
	v_fma_f64 v[99:100], v[101:102], v[57:58], v[99:100]
	v_add_f64 v[55:56], v[55:56], -v[99:100]
	ds_read2_b64 v[99:102], v125 offset0:68 offset1:69
	s_waitcnt lgkmcnt(0)
	v_mul_f64 v[59:60], v[101:102], v[97:98]
	v_fma_f64 v[59:60], v[99:100], v[57:58], -v[59:60]
	v_mul_f64 v[99:100], v[99:100], v[97:98]
	v_add_f64 v[49:50], v[49:50], -v[59:60]
	v_fma_f64 v[99:100], v[101:102], v[57:58], v[99:100]
	v_add_f64 v[51:52], v[51:52], -v[99:100]
	ds_read2_b64 v[99:102], v125 offset0:70 offset1:71
	;; [unrolled: 8-line block ×14, first 2 shown]
	s_waitcnt lgkmcnt(0)
	v_mul_f64 v[59:60], v[101:102], v[97:98]
	v_fma_f64 v[59:60], v[99:100], v[57:58], -v[59:60]
	v_mul_f64 v[99:100], v[99:100], v[97:98]
	v_add_f64 v[73:74], v[73:74], -v[59:60]
	v_fma_f64 v[99:100], v[101:102], v[57:58], v[99:100]
	v_mov_b32_e32 v59, v97
	v_mov_b32_e32 v60, v98
	v_add_f64 v[75:76], v[75:76], -v[99:100]
.LBB95_298:
	s_or_b64 exec, exec, s[2:3]
	v_cmp_eq_u32_e32 vcc, 33, v0
	s_waitcnt vmcnt(0)
	s_barrier
	s_and_saveexec_b64 s[4:5], vcc
	s_cbranch_execz .LBB95_305
; %bb.299:
	ds_write2_b64 v127, v[53:54], v[55:56] offset1:1
	ds_write2_b64 v125, v[49:50], v[51:52] offset0:68 offset1:69
	ds_write2_b64 v125, v[45:46], v[47:48] offset0:70 offset1:71
	;; [unrolled: 1-line block ×14, first 2 shown]
	ds_read2_b64 v[97:100], v127 offset1:1
	s_waitcnt lgkmcnt(0)
	v_cmp_neq_f64_e32 vcc, 0, v[97:98]
	v_cmp_neq_f64_e64 s[2:3], 0, v[99:100]
	s_or_b64 s[2:3], vcc, s[2:3]
	s_and_b64 exec, exec, s[2:3]
	s_cbranch_execz .LBB95_305
; %bb.300:
	v_cmp_ngt_f64_e64 s[2:3], |v[97:98]|, |v[99:100]|
                                        ; implicit-def: $vgpr101_vgpr102
	s_and_saveexec_b64 s[6:7], s[2:3]
	s_xor_b64 s[2:3], exec, s[6:7]
                                        ; implicit-def: $vgpr103_vgpr104
	s_cbranch_execz .LBB95_302
; %bb.301:
	v_div_scale_f64 v[101:102], s[6:7], v[99:100], v[99:100], v[97:98]
	v_rcp_f64_e32 v[103:104], v[101:102]
	v_fma_f64 v[105:106], -v[101:102], v[103:104], 1.0
	v_fma_f64 v[103:104], v[103:104], v[105:106], v[103:104]
	v_div_scale_f64 v[105:106], vcc, v[97:98], v[99:100], v[97:98]
	v_fma_f64 v[107:108], -v[101:102], v[103:104], 1.0
	v_fma_f64 v[103:104], v[103:104], v[107:108], v[103:104]
	v_mul_f64 v[107:108], v[105:106], v[103:104]
	v_fma_f64 v[101:102], -v[101:102], v[107:108], v[105:106]
	v_div_fmas_f64 v[101:102], v[101:102], v[103:104], v[107:108]
	v_div_fixup_f64 v[101:102], v[101:102], v[99:100], v[97:98]
	v_fma_f64 v[97:98], v[97:98], v[101:102], v[99:100]
	v_div_scale_f64 v[99:100], s[6:7], v[97:98], v[97:98], 1.0
	v_div_scale_f64 v[107:108], vcc, 1.0, v[97:98], 1.0
	v_rcp_f64_e32 v[103:104], v[99:100]
	v_fma_f64 v[105:106], -v[99:100], v[103:104], 1.0
	v_fma_f64 v[103:104], v[103:104], v[105:106], v[103:104]
	v_fma_f64 v[105:106], -v[99:100], v[103:104], 1.0
	v_fma_f64 v[103:104], v[103:104], v[105:106], v[103:104]
	v_mul_f64 v[105:106], v[107:108], v[103:104]
	v_fma_f64 v[99:100], -v[99:100], v[105:106], v[107:108]
	v_div_fmas_f64 v[99:100], v[99:100], v[103:104], v[105:106]
	v_div_fixup_f64 v[103:104], v[99:100], v[97:98], 1.0
                                        ; implicit-def: $vgpr97_vgpr98
	v_mul_f64 v[101:102], v[101:102], v[103:104]
	v_xor_b32_e32 v104, 0x80000000, v104
.LBB95_302:
	s_andn2_saveexec_b64 s[2:3], s[2:3]
	s_cbranch_execz .LBB95_304
; %bb.303:
	v_div_scale_f64 v[101:102], s[6:7], v[97:98], v[97:98], v[99:100]
	v_rcp_f64_e32 v[103:104], v[101:102]
	v_fma_f64 v[105:106], -v[101:102], v[103:104], 1.0
	v_fma_f64 v[103:104], v[103:104], v[105:106], v[103:104]
	v_div_scale_f64 v[105:106], vcc, v[99:100], v[97:98], v[99:100]
	v_fma_f64 v[107:108], -v[101:102], v[103:104], 1.0
	v_fma_f64 v[103:104], v[103:104], v[107:108], v[103:104]
	v_mul_f64 v[107:108], v[105:106], v[103:104]
	v_fma_f64 v[101:102], -v[101:102], v[107:108], v[105:106]
	v_div_fmas_f64 v[101:102], v[101:102], v[103:104], v[107:108]
	v_div_fixup_f64 v[103:104], v[101:102], v[97:98], v[99:100]
	v_fma_f64 v[97:98], v[99:100], v[103:104], v[97:98]
	v_div_scale_f64 v[99:100], s[6:7], v[97:98], v[97:98], 1.0
	v_div_scale_f64 v[107:108], vcc, 1.0, v[97:98], 1.0
	v_rcp_f64_e32 v[101:102], v[99:100]
	v_fma_f64 v[105:106], -v[99:100], v[101:102], 1.0
	v_fma_f64 v[101:102], v[101:102], v[105:106], v[101:102]
	v_fma_f64 v[105:106], -v[99:100], v[101:102], 1.0
	v_fma_f64 v[101:102], v[101:102], v[105:106], v[101:102]
	v_mul_f64 v[105:106], v[107:108], v[101:102]
	v_fma_f64 v[99:100], -v[99:100], v[105:106], v[107:108]
	v_div_fmas_f64 v[99:100], v[99:100], v[101:102], v[105:106]
	v_div_fixup_f64 v[101:102], v[99:100], v[97:98], 1.0
	v_mul_f64 v[103:104], v[103:104], -v[101:102]
.LBB95_304:
	s_or_b64 exec, exec, s[2:3]
	ds_write2_b64 v127, v[101:102], v[103:104] offset1:1
.LBB95_305:
	s_or_b64 exec, exec, s[4:5]
	s_waitcnt lgkmcnt(0)
	s_barrier
	ds_read2_b64 v[69:72], v127 offset1:1
	v_cmp_lt_u32_e32 vcc, 33, v0
	s_waitcnt lgkmcnt(0)
	buffer_store_dword v69, off, s[20:23], 0 offset:1304 ; 4-byte Folded Spill
	s_nop 0
	buffer_store_dword v70, off, s[20:23], 0 offset:1308 ; 4-byte Folded Spill
	buffer_store_dword v71, off, s[20:23], 0 offset:1312 ; 4-byte Folded Spill
	;; [unrolled: 1-line block ×3, first 2 shown]
	s_and_saveexec_b64 s[2:3], vcc
	s_cbranch_execz .LBB95_307
; %bb.306:
	buffer_load_dword v69, off, s[20:23], 0 offset:1304 ; 4-byte Folded Reload
	buffer_load_dword v70, off, s[20:23], 0 offset:1308 ; 4-byte Folded Reload
	;; [unrolled: 1-line block ×4, first 2 shown]
	ds_read2_b64 v[99:102], v125 offset0:68 offset1:69
	s_waitcnt vmcnt(2)
	v_mul_f64 v[97:98], v[69:70], v[55:56]
	s_waitcnt vmcnt(0)
	v_mul_f64 v[55:56], v[71:72], v[55:56]
	v_fma_f64 v[97:98], v[71:72], v[53:54], v[97:98]
	v_fma_f64 v[53:54], v[69:70], v[53:54], -v[55:56]
	s_waitcnt lgkmcnt(0)
	v_mul_f64 v[55:56], v[101:102], v[97:98]
	v_fma_f64 v[55:56], v[99:100], v[53:54], -v[55:56]
	v_mul_f64 v[99:100], v[99:100], v[97:98]
	v_add_f64 v[49:50], v[49:50], -v[55:56]
	v_fma_f64 v[99:100], v[101:102], v[53:54], v[99:100]
	v_add_f64 v[51:52], v[51:52], -v[99:100]
	ds_read2_b64 v[99:102], v125 offset0:70 offset1:71
	s_waitcnt lgkmcnt(0)
	v_mul_f64 v[55:56], v[101:102], v[97:98]
	v_fma_f64 v[55:56], v[99:100], v[53:54], -v[55:56]
	v_mul_f64 v[99:100], v[99:100], v[97:98]
	v_add_f64 v[45:46], v[45:46], -v[55:56]
	v_fma_f64 v[99:100], v[101:102], v[53:54], v[99:100]
	v_add_f64 v[47:48], v[47:48], -v[99:100]
	ds_read2_b64 v[99:102], v125 offset0:72 offset1:73
	;; [unrolled: 8-line block ×13, first 2 shown]
	s_waitcnt lgkmcnt(0)
	v_mul_f64 v[55:56], v[101:102], v[97:98]
	v_fma_f64 v[55:56], v[99:100], v[53:54], -v[55:56]
	v_mul_f64 v[99:100], v[99:100], v[97:98]
	v_add_f64 v[73:74], v[73:74], -v[55:56]
	v_fma_f64 v[99:100], v[101:102], v[53:54], v[99:100]
	v_mov_b32_e32 v55, v97
	v_mov_b32_e32 v56, v98
	v_add_f64 v[75:76], v[75:76], -v[99:100]
.LBB95_307:
	s_or_b64 exec, exec, s[2:3]
	v_cmp_eq_u32_e32 vcc, 34, v0
	s_waitcnt vmcnt(0)
	s_barrier
	s_and_saveexec_b64 s[4:5], vcc
	s_cbranch_execz .LBB95_314
; %bb.308:
	ds_write2_b64 v127, v[49:50], v[51:52] offset1:1
	ds_write2_b64 v125, v[45:46], v[47:48] offset0:70 offset1:71
	ds_write2_b64 v125, v[41:42], v[43:44] offset0:72 offset1:73
	;; [unrolled: 1-line block ×13, first 2 shown]
	ds_read2_b64 v[97:100], v127 offset1:1
	s_waitcnt lgkmcnt(0)
	v_cmp_neq_f64_e32 vcc, 0, v[97:98]
	v_cmp_neq_f64_e64 s[2:3], 0, v[99:100]
	s_or_b64 s[2:3], vcc, s[2:3]
	s_and_b64 exec, exec, s[2:3]
	s_cbranch_execz .LBB95_314
; %bb.309:
	v_cmp_ngt_f64_e64 s[2:3], |v[97:98]|, |v[99:100]|
                                        ; implicit-def: $vgpr101_vgpr102
	s_and_saveexec_b64 s[6:7], s[2:3]
	s_xor_b64 s[2:3], exec, s[6:7]
                                        ; implicit-def: $vgpr103_vgpr104
	s_cbranch_execz .LBB95_311
; %bb.310:
	v_div_scale_f64 v[101:102], s[6:7], v[99:100], v[99:100], v[97:98]
	v_rcp_f64_e32 v[103:104], v[101:102]
	v_fma_f64 v[105:106], -v[101:102], v[103:104], 1.0
	v_fma_f64 v[103:104], v[103:104], v[105:106], v[103:104]
	v_div_scale_f64 v[105:106], vcc, v[97:98], v[99:100], v[97:98]
	v_fma_f64 v[107:108], -v[101:102], v[103:104], 1.0
	v_fma_f64 v[103:104], v[103:104], v[107:108], v[103:104]
	v_mul_f64 v[107:108], v[105:106], v[103:104]
	v_fma_f64 v[101:102], -v[101:102], v[107:108], v[105:106]
	v_div_fmas_f64 v[101:102], v[101:102], v[103:104], v[107:108]
	v_div_fixup_f64 v[101:102], v[101:102], v[99:100], v[97:98]
	v_fma_f64 v[97:98], v[97:98], v[101:102], v[99:100]
	v_div_scale_f64 v[99:100], s[6:7], v[97:98], v[97:98], 1.0
	v_div_scale_f64 v[107:108], vcc, 1.0, v[97:98], 1.0
	v_rcp_f64_e32 v[103:104], v[99:100]
	v_fma_f64 v[105:106], -v[99:100], v[103:104], 1.0
	v_fma_f64 v[103:104], v[103:104], v[105:106], v[103:104]
	v_fma_f64 v[105:106], -v[99:100], v[103:104], 1.0
	v_fma_f64 v[103:104], v[103:104], v[105:106], v[103:104]
	v_mul_f64 v[105:106], v[107:108], v[103:104]
	v_fma_f64 v[99:100], -v[99:100], v[105:106], v[107:108]
	v_div_fmas_f64 v[99:100], v[99:100], v[103:104], v[105:106]
	v_div_fixup_f64 v[103:104], v[99:100], v[97:98], 1.0
                                        ; implicit-def: $vgpr97_vgpr98
	v_mul_f64 v[101:102], v[101:102], v[103:104]
	v_xor_b32_e32 v104, 0x80000000, v104
.LBB95_311:
	s_andn2_saveexec_b64 s[2:3], s[2:3]
	s_cbranch_execz .LBB95_313
; %bb.312:
	v_div_scale_f64 v[101:102], s[6:7], v[97:98], v[97:98], v[99:100]
	v_rcp_f64_e32 v[103:104], v[101:102]
	v_fma_f64 v[105:106], -v[101:102], v[103:104], 1.0
	v_fma_f64 v[103:104], v[103:104], v[105:106], v[103:104]
	v_div_scale_f64 v[105:106], vcc, v[99:100], v[97:98], v[99:100]
	v_fma_f64 v[107:108], -v[101:102], v[103:104], 1.0
	v_fma_f64 v[103:104], v[103:104], v[107:108], v[103:104]
	v_mul_f64 v[107:108], v[105:106], v[103:104]
	v_fma_f64 v[101:102], -v[101:102], v[107:108], v[105:106]
	v_div_fmas_f64 v[101:102], v[101:102], v[103:104], v[107:108]
	v_div_fixup_f64 v[103:104], v[101:102], v[97:98], v[99:100]
	v_fma_f64 v[97:98], v[99:100], v[103:104], v[97:98]
	v_div_scale_f64 v[99:100], s[6:7], v[97:98], v[97:98], 1.0
	v_div_scale_f64 v[107:108], vcc, 1.0, v[97:98], 1.0
	v_rcp_f64_e32 v[101:102], v[99:100]
	v_fma_f64 v[105:106], -v[99:100], v[101:102], 1.0
	v_fma_f64 v[101:102], v[101:102], v[105:106], v[101:102]
	v_fma_f64 v[105:106], -v[99:100], v[101:102], 1.0
	v_fma_f64 v[101:102], v[101:102], v[105:106], v[101:102]
	v_mul_f64 v[105:106], v[107:108], v[101:102]
	v_fma_f64 v[99:100], -v[99:100], v[105:106], v[107:108]
	v_div_fmas_f64 v[99:100], v[99:100], v[101:102], v[105:106]
	v_div_fixup_f64 v[101:102], v[99:100], v[97:98], 1.0
	v_mul_f64 v[103:104], v[103:104], -v[101:102]
.LBB95_313:
	s_or_b64 exec, exec, s[2:3]
	ds_write2_b64 v127, v[101:102], v[103:104] offset1:1
.LBB95_314:
	s_or_b64 exec, exec, s[4:5]
	s_waitcnt lgkmcnt(0)
	s_barrier
	ds_read2_b64 v[69:72], v127 offset1:1
	v_cmp_lt_u32_e32 vcc, 34, v0
	s_waitcnt lgkmcnt(0)
	buffer_store_dword v69, off, s[20:23], 0 offset:1320 ; 4-byte Folded Spill
	s_nop 0
	buffer_store_dword v70, off, s[20:23], 0 offset:1324 ; 4-byte Folded Spill
	buffer_store_dword v71, off, s[20:23], 0 offset:1328 ; 4-byte Folded Spill
	;; [unrolled: 1-line block ×3, first 2 shown]
	s_and_saveexec_b64 s[2:3], vcc
	s_cbranch_execz .LBB95_316
; %bb.315:
	buffer_load_dword v69, off, s[20:23], 0 offset:1320 ; 4-byte Folded Reload
	buffer_load_dword v70, off, s[20:23], 0 offset:1324 ; 4-byte Folded Reload
	;; [unrolled: 1-line block ×4, first 2 shown]
	ds_read2_b64 v[99:102], v125 offset0:70 offset1:71
	s_waitcnt vmcnt(2)
	v_mul_f64 v[97:98], v[69:70], v[51:52]
	s_waitcnt vmcnt(0)
	v_mul_f64 v[51:52], v[71:72], v[51:52]
	v_fma_f64 v[97:98], v[71:72], v[49:50], v[97:98]
	v_fma_f64 v[49:50], v[69:70], v[49:50], -v[51:52]
	s_waitcnt lgkmcnt(0)
	v_mul_f64 v[51:52], v[101:102], v[97:98]
	v_fma_f64 v[51:52], v[99:100], v[49:50], -v[51:52]
	v_mul_f64 v[99:100], v[99:100], v[97:98]
	v_add_f64 v[45:46], v[45:46], -v[51:52]
	v_fma_f64 v[99:100], v[101:102], v[49:50], v[99:100]
	v_add_f64 v[47:48], v[47:48], -v[99:100]
	ds_read2_b64 v[99:102], v125 offset0:72 offset1:73
	s_waitcnt lgkmcnt(0)
	v_mul_f64 v[51:52], v[101:102], v[97:98]
	v_fma_f64 v[51:52], v[99:100], v[49:50], -v[51:52]
	v_mul_f64 v[99:100], v[99:100], v[97:98]
	v_add_f64 v[41:42], v[41:42], -v[51:52]
	v_fma_f64 v[99:100], v[101:102], v[49:50], v[99:100]
	v_add_f64 v[43:44], v[43:44], -v[99:100]
	ds_read2_b64 v[99:102], v125 offset0:74 offset1:75
	;; [unrolled: 8-line block ×12, first 2 shown]
	s_waitcnt lgkmcnt(0)
	v_mul_f64 v[51:52], v[101:102], v[97:98]
	v_fma_f64 v[51:52], v[99:100], v[49:50], -v[51:52]
	v_mul_f64 v[99:100], v[99:100], v[97:98]
	v_add_f64 v[73:74], v[73:74], -v[51:52]
	v_fma_f64 v[99:100], v[101:102], v[49:50], v[99:100]
	v_mov_b32_e32 v51, v97
	v_mov_b32_e32 v52, v98
	v_add_f64 v[75:76], v[75:76], -v[99:100]
.LBB95_316:
	s_or_b64 exec, exec, s[2:3]
	v_cmp_eq_u32_e32 vcc, 35, v0
	s_waitcnt vmcnt(0)
	s_barrier
	s_and_saveexec_b64 s[4:5], vcc
	s_cbranch_execz .LBB95_323
; %bb.317:
	ds_write2_b64 v127, v[45:46], v[47:48] offset1:1
	ds_write2_b64 v125, v[41:42], v[43:44] offset0:72 offset1:73
	ds_write2_b64 v125, v[37:38], v[39:40] offset0:74 offset1:75
	;; [unrolled: 1-line block ×12, first 2 shown]
	ds_read2_b64 v[97:100], v127 offset1:1
	s_waitcnt lgkmcnt(0)
	v_cmp_neq_f64_e32 vcc, 0, v[97:98]
	v_cmp_neq_f64_e64 s[2:3], 0, v[99:100]
	s_or_b64 s[2:3], vcc, s[2:3]
	s_and_b64 exec, exec, s[2:3]
	s_cbranch_execz .LBB95_323
; %bb.318:
	v_cmp_ngt_f64_e64 s[2:3], |v[97:98]|, |v[99:100]|
                                        ; implicit-def: $vgpr101_vgpr102
	s_and_saveexec_b64 s[6:7], s[2:3]
	s_xor_b64 s[2:3], exec, s[6:7]
                                        ; implicit-def: $vgpr103_vgpr104
	s_cbranch_execz .LBB95_320
; %bb.319:
	v_div_scale_f64 v[101:102], s[6:7], v[99:100], v[99:100], v[97:98]
	v_rcp_f64_e32 v[103:104], v[101:102]
	v_fma_f64 v[105:106], -v[101:102], v[103:104], 1.0
	v_fma_f64 v[103:104], v[103:104], v[105:106], v[103:104]
	v_div_scale_f64 v[105:106], vcc, v[97:98], v[99:100], v[97:98]
	v_fma_f64 v[107:108], -v[101:102], v[103:104], 1.0
	v_fma_f64 v[103:104], v[103:104], v[107:108], v[103:104]
	v_mul_f64 v[107:108], v[105:106], v[103:104]
	v_fma_f64 v[101:102], -v[101:102], v[107:108], v[105:106]
	v_div_fmas_f64 v[101:102], v[101:102], v[103:104], v[107:108]
	v_div_fixup_f64 v[101:102], v[101:102], v[99:100], v[97:98]
	v_fma_f64 v[97:98], v[97:98], v[101:102], v[99:100]
	v_div_scale_f64 v[99:100], s[6:7], v[97:98], v[97:98], 1.0
	v_div_scale_f64 v[107:108], vcc, 1.0, v[97:98], 1.0
	v_rcp_f64_e32 v[103:104], v[99:100]
	v_fma_f64 v[105:106], -v[99:100], v[103:104], 1.0
	v_fma_f64 v[103:104], v[103:104], v[105:106], v[103:104]
	v_fma_f64 v[105:106], -v[99:100], v[103:104], 1.0
	v_fma_f64 v[103:104], v[103:104], v[105:106], v[103:104]
	v_mul_f64 v[105:106], v[107:108], v[103:104]
	v_fma_f64 v[99:100], -v[99:100], v[105:106], v[107:108]
	v_div_fmas_f64 v[99:100], v[99:100], v[103:104], v[105:106]
	v_div_fixup_f64 v[103:104], v[99:100], v[97:98], 1.0
                                        ; implicit-def: $vgpr97_vgpr98
	v_mul_f64 v[101:102], v[101:102], v[103:104]
	v_xor_b32_e32 v104, 0x80000000, v104
.LBB95_320:
	s_andn2_saveexec_b64 s[2:3], s[2:3]
	s_cbranch_execz .LBB95_322
; %bb.321:
	v_div_scale_f64 v[101:102], s[6:7], v[97:98], v[97:98], v[99:100]
	v_rcp_f64_e32 v[103:104], v[101:102]
	v_fma_f64 v[105:106], -v[101:102], v[103:104], 1.0
	v_fma_f64 v[103:104], v[103:104], v[105:106], v[103:104]
	v_div_scale_f64 v[105:106], vcc, v[99:100], v[97:98], v[99:100]
	v_fma_f64 v[107:108], -v[101:102], v[103:104], 1.0
	v_fma_f64 v[103:104], v[103:104], v[107:108], v[103:104]
	v_mul_f64 v[107:108], v[105:106], v[103:104]
	v_fma_f64 v[101:102], -v[101:102], v[107:108], v[105:106]
	v_div_fmas_f64 v[101:102], v[101:102], v[103:104], v[107:108]
	v_div_fixup_f64 v[103:104], v[101:102], v[97:98], v[99:100]
	v_fma_f64 v[97:98], v[99:100], v[103:104], v[97:98]
	v_div_scale_f64 v[99:100], s[6:7], v[97:98], v[97:98], 1.0
	v_div_scale_f64 v[107:108], vcc, 1.0, v[97:98], 1.0
	v_rcp_f64_e32 v[101:102], v[99:100]
	v_fma_f64 v[105:106], -v[99:100], v[101:102], 1.0
	v_fma_f64 v[101:102], v[101:102], v[105:106], v[101:102]
	v_fma_f64 v[105:106], -v[99:100], v[101:102], 1.0
	v_fma_f64 v[101:102], v[101:102], v[105:106], v[101:102]
	v_mul_f64 v[105:106], v[107:108], v[101:102]
	v_fma_f64 v[99:100], -v[99:100], v[105:106], v[107:108]
	v_div_fmas_f64 v[99:100], v[99:100], v[101:102], v[105:106]
	v_div_fixup_f64 v[101:102], v[99:100], v[97:98], 1.0
	v_mul_f64 v[103:104], v[103:104], -v[101:102]
.LBB95_322:
	s_or_b64 exec, exec, s[2:3]
	ds_write2_b64 v127, v[101:102], v[103:104] offset1:1
.LBB95_323:
	s_or_b64 exec, exec, s[4:5]
	s_waitcnt lgkmcnt(0)
	s_barrier
	ds_read2_b64 v[69:72], v127 offset1:1
	v_cmp_lt_u32_e32 vcc, 35, v0
	s_waitcnt lgkmcnt(0)
	buffer_store_dword v69, off, s[20:23], 0 offset:1336 ; 4-byte Folded Spill
	s_nop 0
	buffer_store_dword v70, off, s[20:23], 0 offset:1340 ; 4-byte Folded Spill
	buffer_store_dword v71, off, s[20:23], 0 offset:1344 ; 4-byte Folded Spill
	;; [unrolled: 1-line block ×3, first 2 shown]
	s_and_saveexec_b64 s[2:3], vcc
	s_cbranch_execz .LBB95_325
; %bb.324:
	buffer_load_dword v69, off, s[20:23], 0 offset:1336 ; 4-byte Folded Reload
	buffer_load_dword v70, off, s[20:23], 0 offset:1340 ; 4-byte Folded Reload
	buffer_load_dword v71, off, s[20:23], 0 offset:1344 ; 4-byte Folded Reload
	buffer_load_dword v72, off, s[20:23], 0 offset:1348 ; 4-byte Folded Reload
	ds_read2_b64 v[99:102], v125 offset0:72 offset1:73
	s_waitcnt vmcnt(2)
	v_mul_f64 v[97:98], v[69:70], v[47:48]
	s_waitcnt vmcnt(0)
	v_mul_f64 v[47:48], v[71:72], v[47:48]
	v_fma_f64 v[97:98], v[71:72], v[45:46], v[97:98]
	v_fma_f64 v[45:46], v[69:70], v[45:46], -v[47:48]
	s_waitcnt lgkmcnt(0)
	v_mul_f64 v[47:48], v[101:102], v[97:98]
	v_fma_f64 v[47:48], v[99:100], v[45:46], -v[47:48]
	v_mul_f64 v[99:100], v[99:100], v[97:98]
	v_add_f64 v[41:42], v[41:42], -v[47:48]
	v_fma_f64 v[99:100], v[101:102], v[45:46], v[99:100]
	v_add_f64 v[43:44], v[43:44], -v[99:100]
	ds_read2_b64 v[99:102], v125 offset0:74 offset1:75
	s_waitcnt lgkmcnt(0)
	v_mul_f64 v[47:48], v[101:102], v[97:98]
	v_fma_f64 v[47:48], v[99:100], v[45:46], -v[47:48]
	v_mul_f64 v[99:100], v[99:100], v[97:98]
	v_add_f64 v[37:38], v[37:38], -v[47:48]
	v_fma_f64 v[99:100], v[101:102], v[45:46], v[99:100]
	v_add_f64 v[39:40], v[39:40], -v[99:100]
	ds_read2_b64 v[99:102], v125 offset0:76 offset1:77
	;; [unrolled: 8-line block ×11, first 2 shown]
	s_waitcnt lgkmcnt(0)
	v_mul_f64 v[47:48], v[101:102], v[97:98]
	v_fma_f64 v[47:48], v[99:100], v[45:46], -v[47:48]
	v_mul_f64 v[99:100], v[99:100], v[97:98]
	v_add_f64 v[73:74], v[73:74], -v[47:48]
	v_fma_f64 v[99:100], v[101:102], v[45:46], v[99:100]
	v_mov_b32_e32 v47, v97
	v_mov_b32_e32 v48, v98
	v_add_f64 v[75:76], v[75:76], -v[99:100]
.LBB95_325:
	s_or_b64 exec, exec, s[2:3]
	v_cmp_eq_u32_e32 vcc, 36, v0
	s_waitcnt vmcnt(0)
	s_barrier
	s_and_saveexec_b64 s[4:5], vcc
	s_cbranch_execz .LBB95_332
; %bb.326:
	ds_write2_b64 v127, v[41:42], v[43:44] offset1:1
	ds_write2_b64 v125, v[37:38], v[39:40] offset0:74 offset1:75
	ds_write2_b64 v125, v[33:34], v[35:36] offset0:76 offset1:77
	;; [unrolled: 1-line block ×11, first 2 shown]
	ds_read2_b64 v[97:100], v127 offset1:1
	s_waitcnt lgkmcnt(0)
	v_cmp_neq_f64_e32 vcc, 0, v[97:98]
	v_cmp_neq_f64_e64 s[2:3], 0, v[99:100]
	s_or_b64 s[2:3], vcc, s[2:3]
	s_and_b64 exec, exec, s[2:3]
	s_cbranch_execz .LBB95_332
; %bb.327:
	v_cmp_ngt_f64_e64 s[2:3], |v[97:98]|, |v[99:100]|
                                        ; implicit-def: $vgpr101_vgpr102
	s_and_saveexec_b64 s[6:7], s[2:3]
	s_xor_b64 s[2:3], exec, s[6:7]
                                        ; implicit-def: $vgpr103_vgpr104
	s_cbranch_execz .LBB95_329
; %bb.328:
	v_div_scale_f64 v[101:102], s[6:7], v[99:100], v[99:100], v[97:98]
	v_rcp_f64_e32 v[103:104], v[101:102]
	v_fma_f64 v[105:106], -v[101:102], v[103:104], 1.0
	v_fma_f64 v[103:104], v[103:104], v[105:106], v[103:104]
	v_div_scale_f64 v[105:106], vcc, v[97:98], v[99:100], v[97:98]
	v_fma_f64 v[107:108], -v[101:102], v[103:104], 1.0
	v_fma_f64 v[103:104], v[103:104], v[107:108], v[103:104]
	v_mul_f64 v[107:108], v[105:106], v[103:104]
	v_fma_f64 v[101:102], -v[101:102], v[107:108], v[105:106]
	v_div_fmas_f64 v[101:102], v[101:102], v[103:104], v[107:108]
	v_div_fixup_f64 v[101:102], v[101:102], v[99:100], v[97:98]
	v_fma_f64 v[97:98], v[97:98], v[101:102], v[99:100]
	v_div_scale_f64 v[99:100], s[6:7], v[97:98], v[97:98], 1.0
	v_div_scale_f64 v[107:108], vcc, 1.0, v[97:98], 1.0
	v_rcp_f64_e32 v[103:104], v[99:100]
	v_fma_f64 v[105:106], -v[99:100], v[103:104], 1.0
	v_fma_f64 v[103:104], v[103:104], v[105:106], v[103:104]
	v_fma_f64 v[105:106], -v[99:100], v[103:104], 1.0
	v_fma_f64 v[103:104], v[103:104], v[105:106], v[103:104]
	v_mul_f64 v[105:106], v[107:108], v[103:104]
	v_fma_f64 v[99:100], -v[99:100], v[105:106], v[107:108]
	v_div_fmas_f64 v[99:100], v[99:100], v[103:104], v[105:106]
	v_div_fixup_f64 v[103:104], v[99:100], v[97:98], 1.0
                                        ; implicit-def: $vgpr97_vgpr98
	v_mul_f64 v[101:102], v[101:102], v[103:104]
	v_xor_b32_e32 v104, 0x80000000, v104
.LBB95_329:
	s_andn2_saveexec_b64 s[2:3], s[2:3]
	s_cbranch_execz .LBB95_331
; %bb.330:
	v_div_scale_f64 v[101:102], s[6:7], v[97:98], v[97:98], v[99:100]
	v_rcp_f64_e32 v[103:104], v[101:102]
	v_fma_f64 v[105:106], -v[101:102], v[103:104], 1.0
	v_fma_f64 v[103:104], v[103:104], v[105:106], v[103:104]
	v_div_scale_f64 v[105:106], vcc, v[99:100], v[97:98], v[99:100]
	v_fma_f64 v[107:108], -v[101:102], v[103:104], 1.0
	v_fma_f64 v[103:104], v[103:104], v[107:108], v[103:104]
	v_mul_f64 v[107:108], v[105:106], v[103:104]
	v_fma_f64 v[101:102], -v[101:102], v[107:108], v[105:106]
	v_div_fmas_f64 v[101:102], v[101:102], v[103:104], v[107:108]
	v_div_fixup_f64 v[103:104], v[101:102], v[97:98], v[99:100]
	v_fma_f64 v[97:98], v[99:100], v[103:104], v[97:98]
	v_div_scale_f64 v[99:100], s[6:7], v[97:98], v[97:98], 1.0
	v_div_scale_f64 v[107:108], vcc, 1.0, v[97:98], 1.0
	v_rcp_f64_e32 v[101:102], v[99:100]
	v_fma_f64 v[105:106], -v[99:100], v[101:102], 1.0
	v_fma_f64 v[101:102], v[101:102], v[105:106], v[101:102]
	v_fma_f64 v[105:106], -v[99:100], v[101:102], 1.0
	v_fma_f64 v[101:102], v[101:102], v[105:106], v[101:102]
	v_mul_f64 v[105:106], v[107:108], v[101:102]
	v_fma_f64 v[99:100], -v[99:100], v[105:106], v[107:108]
	v_div_fmas_f64 v[99:100], v[99:100], v[101:102], v[105:106]
	v_div_fixup_f64 v[101:102], v[99:100], v[97:98], 1.0
	v_mul_f64 v[103:104], v[103:104], -v[101:102]
.LBB95_331:
	s_or_b64 exec, exec, s[2:3]
	ds_write2_b64 v127, v[101:102], v[103:104] offset1:1
.LBB95_332:
	s_or_b64 exec, exec, s[4:5]
	s_waitcnt lgkmcnt(0)
	s_barrier
	ds_read2_b64 v[69:72], v127 offset1:1
	v_cmp_lt_u32_e32 vcc, 36, v0
	s_waitcnt lgkmcnt(0)
	buffer_store_dword v69, off, s[20:23], 0 offset:1352 ; 4-byte Folded Spill
	s_nop 0
	buffer_store_dword v70, off, s[20:23], 0 offset:1356 ; 4-byte Folded Spill
	buffer_store_dword v71, off, s[20:23], 0 offset:1360 ; 4-byte Folded Spill
	;; [unrolled: 1-line block ×3, first 2 shown]
	s_and_saveexec_b64 s[2:3], vcc
	s_cbranch_execz .LBB95_334
; %bb.333:
	buffer_load_dword v69, off, s[20:23], 0 offset:1352 ; 4-byte Folded Reload
	buffer_load_dword v70, off, s[20:23], 0 offset:1356 ; 4-byte Folded Reload
	;; [unrolled: 1-line block ×4, first 2 shown]
	ds_read2_b64 v[99:102], v125 offset0:74 offset1:75
	s_waitcnt vmcnt(2)
	v_mul_f64 v[97:98], v[69:70], v[43:44]
	s_waitcnt vmcnt(0)
	v_mul_f64 v[43:44], v[71:72], v[43:44]
	v_fma_f64 v[97:98], v[71:72], v[41:42], v[97:98]
	v_fma_f64 v[41:42], v[69:70], v[41:42], -v[43:44]
	s_waitcnt lgkmcnt(0)
	v_mul_f64 v[43:44], v[101:102], v[97:98]
	v_fma_f64 v[43:44], v[99:100], v[41:42], -v[43:44]
	v_mul_f64 v[99:100], v[99:100], v[97:98]
	v_add_f64 v[37:38], v[37:38], -v[43:44]
	v_fma_f64 v[99:100], v[101:102], v[41:42], v[99:100]
	v_add_f64 v[39:40], v[39:40], -v[99:100]
	ds_read2_b64 v[99:102], v125 offset0:76 offset1:77
	s_waitcnt lgkmcnt(0)
	v_mul_f64 v[43:44], v[101:102], v[97:98]
	v_fma_f64 v[43:44], v[99:100], v[41:42], -v[43:44]
	v_mul_f64 v[99:100], v[99:100], v[97:98]
	v_add_f64 v[33:34], v[33:34], -v[43:44]
	v_fma_f64 v[99:100], v[101:102], v[41:42], v[99:100]
	v_add_f64 v[35:36], v[35:36], -v[99:100]
	ds_read2_b64 v[99:102], v125 offset0:78 offset1:79
	;; [unrolled: 8-line block ×10, first 2 shown]
	s_waitcnt lgkmcnt(0)
	v_mul_f64 v[43:44], v[101:102], v[97:98]
	v_fma_f64 v[43:44], v[99:100], v[41:42], -v[43:44]
	v_mul_f64 v[99:100], v[99:100], v[97:98]
	v_add_f64 v[73:74], v[73:74], -v[43:44]
	v_fma_f64 v[99:100], v[101:102], v[41:42], v[99:100]
	v_mov_b32_e32 v43, v97
	v_mov_b32_e32 v44, v98
	v_add_f64 v[75:76], v[75:76], -v[99:100]
.LBB95_334:
	s_or_b64 exec, exec, s[2:3]
	v_cmp_eq_u32_e32 vcc, 37, v0
	s_waitcnt vmcnt(0)
	s_barrier
	s_and_saveexec_b64 s[4:5], vcc
	s_cbranch_execz .LBB95_341
; %bb.335:
	ds_write2_b64 v127, v[37:38], v[39:40] offset1:1
	ds_write2_b64 v125, v[33:34], v[35:36] offset0:76 offset1:77
	ds_write2_b64 v125, v[29:30], v[31:32] offset0:78 offset1:79
	;; [unrolled: 1-line block ×10, first 2 shown]
	ds_read2_b64 v[97:100], v127 offset1:1
	s_waitcnt lgkmcnt(0)
	v_cmp_neq_f64_e32 vcc, 0, v[97:98]
	v_cmp_neq_f64_e64 s[2:3], 0, v[99:100]
	s_or_b64 s[2:3], vcc, s[2:3]
	s_and_b64 exec, exec, s[2:3]
	s_cbranch_execz .LBB95_341
; %bb.336:
	v_cmp_ngt_f64_e64 s[2:3], |v[97:98]|, |v[99:100]|
                                        ; implicit-def: $vgpr101_vgpr102
	s_and_saveexec_b64 s[6:7], s[2:3]
	s_xor_b64 s[2:3], exec, s[6:7]
                                        ; implicit-def: $vgpr103_vgpr104
	s_cbranch_execz .LBB95_338
; %bb.337:
	v_div_scale_f64 v[101:102], s[6:7], v[99:100], v[99:100], v[97:98]
	v_rcp_f64_e32 v[103:104], v[101:102]
	v_fma_f64 v[105:106], -v[101:102], v[103:104], 1.0
	v_fma_f64 v[103:104], v[103:104], v[105:106], v[103:104]
	v_div_scale_f64 v[105:106], vcc, v[97:98], v[99:100], v[97:98]
	v_fma_f64 v[107:108], -v[101:102], v[103:104], 1.0
	v_fma_f64 v[103:104], v[103:104], v[107:108], v[103:104]
	v_mul_f64 v[107:108], v[105:106], v[103:104]
	v_fma_f64 v[101:102], -v[101:102], v[107:108], v[105:106]
	v_div_fmas_f64 v[101:102], v[101:102], v[103:104], v[107:108]
	v_div_fixup_f64 v[101:102], v[101:102], v[99:100], v[97:98]
	v_fma_f64 v[97:98], v[97:98], v[101:102], v[99:100]
	v_div_scale_f64 v[99:100], s[6:7], v[97:98], v[97:98], 1.0
	v_div_scale_f64 v[107:108], vcc, 1.0, v[97:98], 1.0
	v_rcp_f64_e32 v[103:104], v[99:100]
	v_fma_f64 v[105:106], -v[99:100], v[103:104], 1.0
	v_fma_f64 v[103:104], v[103:104], v[105:106], v[103:104]
	v_fma_f64 v[105:106], -v[99:100], v[103:104], 1.0
	v_fma_f64 v[103:104], v[103:104], v[105:106], v[103:104]
	v_mul_f64 v[105:106], v[107:108], v[103:104]
	v_fma_f64 v[99:100], -v[99:100], v[105:106], v[107:108]
	v_div_fmas_f64 v[99:100], v[99:100], v[103:104], v[105:106]
	v_div_fixup_f64 v[103:104], v[99:100], v[97:98], 1.0
                                        ; implicit-def: $vgpr97_vgpr98
	v_mul_f64 v[101:102], v[101:102], v[103:104]
	v_xor_b32_e32 v104, 0x80000000, v104
.LBB95_338:
	s_andn2_saveexec_b64 s[2:3], s[2:3]
	s_cbranch_execz .LBB95_340
; %bb.339:
	v_div_scale_f64 v[101:102], s[6:7], v[97:98], v[97:98], v[99:100]
	v_rcp_f64_e32 v[103:104], v[101:102]
	v_fma_f64 v[105:106], -v[101:102], v[103:104], 1.0
	v_fma_f64 v[103:104], v[103:104], v[105:106], v[103:104]
	v_div_scale_f64 v[105:106], vcc, v[99:100], v[97:98], v[99:100]
	v_fma_f64 v[107:108], -v[101:102], v[103:104], 1.0
	v_fma_f64 v[103:104], v[103:104], v[107:108], v[103:104]
	v_mul_f64 v[107:108], v[105:106], v[103:104]
	v_fma_f64 v[101:102], -v[101:102], v[107:108], v[105:106]
	v_div_fmas_f64 v[101:102], v[101:102], v[103:104], v[107:108]
	v_div_fixup_f64 v[103:104], v[101:102], v[97:98], v[99:100]
	v_fma_f64 v[97:98], v[99:100], v[103:104], v[97:98]
	v_div_scale_f64 v[99:100], s[6:7], v[97:98], v[97:98], 1.0
	v_div_scale_f64 v[107:108], vcc, 1.0, v[97:98], 1.0
	v_rcp_f64_e32 v[101:102], v[99:100]
	v_fma_f64 v[105:106], -v[99:100], v[101:102], 1.0
	v_fma_f64 v[101:102], v[101:102], v[105:106], v[101:102]
	v_fma_f64 v[105:106], -v[99:100], v[101:102], 1.0
	v_fma_f64 v[101:102], v[101:102], v[105:106], v[101:102]
	v_mul_f64 v[105:106], v[107:108], v[101:102]
	v_fma_f64 v[99:100], -v[99:100], v[105:106], v[107:108]
	v_div_fmas_f64 v[99:100], v[99:100], v[101:102], v[105:106]
	v_div_fixup_f64 v[101:102], v[99:100], v[97:98], 1.0
	v_mul_f64 v[103:104], v[103:104], -v[101:102]
.LBB95_340:
	s_or_b64 exec, exec, s[2:3]
	ds_write2_b64 v127, v[101:102], v[103:104] offset1:1
.LBB95_341:
	s_or_b64 exec, exec, s[4:5]
	s_waitcnt lgkmcnt(0)
	s_barrier
	ds_read2_b64 v[69:72], v127 offset1:1
	v_cmp_lt_u32_e32 vcc, 37, v0
	s_waitcnt lgkmcnt(0)
	buffer_store_dword v69, off, s[20:23], 0 offset:1368 ; 4-byte Folded Spill
	s_nop 0
	buffer_store_dword v70, off, s[20:23], 0 offset:1372 ; 4-byte Folded Spill
	buffer_store_dword v71, off, s[20:23], 0 offset:1376 ; 4-byte Folded Spill
	;; [unrolled: 1-line block ×3, first 2 shown]
	s_and_saveexec_b64 s[2:3], vcc
	s_cbranch_execz .LBB95_343
; %bb.342:
	buffer_load_dword v69, off, s[20:23], 0 offset:1368 ; 4-byte Folded Reload
	buffer_load_dword v70, off, s[20:23], 0 offset:1372 ; 4-byte Folded Reload
	;; [unrolled: 1-line block ×4, first 2 shown]
	ds_read2_b64 v[99:102], v125 offset0:76 offset1:77
	s_waitcnt vmcnt(2)
	v_mul_f64 v[97:98], v[69:70], v[39:40]
	s_waitcnt vmcnt(0)
	v_mul_f64 v[39:40], v[71:72], v[39:40]
	v_fma_f64 v[97:98], v[71:72], v[37:38], v[97:98]
	v_fma_f64 v[37:38], v[69:70], v[37:38], -v[39:40]
	s_waitcnt lgkmcnt(0)
	v_mul_f64 v[39:40], v[101:102], v[97:98]
	v_fma_f64 v[39:40], v[99:100], v[37:38], -v[39:40]
	v_mul_f64 v[99:100], v[99:100], v[97:98]
	v_add_f64 v[33:34], v[33:34], -v[39:40]
	v_fma_f64 v[99:100], v[101:102], v[37:38], v[99:100]
	v_add_f64 v[35:36], v[35:36], -v[99:100]
	ds_read2_b64 v[99:102], v125 offset0:78 offset1:79
	s_waitcnt lgkmcnt(0)
	v_mul_f64 v[39:40], v[101:102], v[97:98]
	v_fma_f64 v[39:40], v[99:100], v[37:38], -v[39:40]
	v_mul_f64 v[99:100], v[99:100], v[97:98]
	v_add_f64 v[29:30], v[29:30], -v[39:40]
	v_fma_f64 v[99:100], v[101:102], v[37:38], v[99:100]
	v_add_f64 v[31:32], v[31:32], -v[99:100]
	ds_read2_b64 v[99:102], v125 offset0:80 offset1:81
	;; [unrolled: 8-line block ×9, first 2 shown]
	s_waitcnt lgkmcnt(0)
	v_mul_f64 v[39:40], v[101:102], v[97:98]
	v_fma_f64 v[39:40], v[99:100], v[37:38], -v[39:40]
	v_mul_f64 v[99:100], v[99:100], v[97:98]
	v_add_f64 v[73:74], v[73:74], -v[39:40]
	v_fma_f64 v[99:100], v[101:102], v[37:38], v[99:100]
	v_mov_b32_e32 v39, v97
	v_mov_b32_e32 v40, v98
	v_add_f64 v[75:76], v[75:76], -v[99:100]
.LBB95_343:
	s_or_b64 exec, exec, s[2:3]
	v_cmp_eq_u32_e32 vcc, 38, v0
	s_waitcnt vmcnt(0)
	s_barrier
	s_and_saveexec_b64 s[4:5], vcc
	s_cbranch_execz .LBB95_350
; %bb.344:
	ds_write2_b64 v127, v[33:34], v[35:36] offset1:1
	ds_write2_b64 v125, v[29:30], v[31:32] offset0:78 offset1:79
	ds_write2_b64 v125, v[25:26], v[27:28] offset0:80 offset1:81
	;; [unrolled: 1-line block ×9, first 2 shown]
	ds_read2_b64 v[97:100], v127 offset1:1
	s_waitcnt lgkmcnt(0)
	v_cmp_neq_f64_e32 vcc, 0, v[97:98]
	v_cmp_neq_f64_e64 s[2:3], 0, v[99:100]
	s_or_b64 s[2:3], vcc, s[2:3]
	s_and_b64 exec, exec, s[2:3]
	s_cbranch_execz .LBB95_350
; %bb.345:
	v_cmp_ngt_f64_e64 s[2:3], |v[97:98]|, |v[99:100]|
                                        ; implicit-def: $vgpr101_vgpr102
	s_and_saveexec_b64 s[6:7], s[2:3]
	s_xor_b64 s[2:3], exec, s[6:7]
                                        ; implicit-def: $vgpr103_vgpr104
	s_cbranch_execz .LBB95_347
; %bb.346:
	v_div_scale_f64 v[101:102], s[6:7], v[99:100], v[99:100], v[97:98]
	v_rcp_f64_e32 v[103:104], v[101:102]
	v_fma_f64 v[105:106], -v[101:102], v[103:104], 1.0
	v_fma_f64 v[103:104], v[103:104], v[105:106], v[103:104]
	v_div_scale_f64 v[105:106], vcc, v[97:98], v[99:100], v[97:98]
	v_fma_f64 v[107:108], -v[101:102], v[103:104], 1.0
	v_fma_f64 v[103:104], v[103:104], v[107:108], v[103:104]
	v_mul_f64 v[107:108], v[105:106], v[103:104]
	v_fma_f64 v[101:102], -v[101:102], v[107:108], v[105:106]
	v_div_fmas_f64 v[101:102], v[101:102], v[103:104], v[107:108]
	v_div_fixup_f64 v[101:102], v[101:102], v[99:100], v[97:98]
	v_fma_f64 v[97:98], v[97:98], v[101:102], v[99:100]
	v_div_scale_f64 v[99:100], s[6:7], v[97:98], v[97:98], 1.0
	v_div_scale_f64 v[107:108], vcc, 1.0, v[97:98], 1.0
	v_rcp_f64_e32 v[103:104], v[99:100]
	v_fma_f64 v[105:106], -v[99:100], v[103:104], 1.0
	v_fma_f64 v[103:104], v[103:104], v[105:106], v[103:104]
	v_fma_f64 v[105:106], -v[99:100], v[103:104], 1.0
	v_fma_f64 v[103:104], v[103:104], v[105:106], v[103:104]
	v_mul_f64 v[105:106], v[107:108], v[103:104]
	v_fma_f64 v[99:100], -v[99:100], v[105:106], v[107:108]
	v_div_fmas_f64 v[99:100], v[99:100], v[103:104], v[105:106]
	v_div_fixup_f64 v[103:104], v[99:100], v[97:98], 1.0
                                        ; implicit-def: $vgpr97_vgpr98
	v_mul_f64 v[101:102], v[101:102], v[103:104]
	v_xor_b32_e32 v104, 0x80000000, v104
.LBB95_347:
	s_andn2_saveexec_b64 s[2:3], s[2:3]
	s_cbranch_execz .LBB95_349
; %bb.348:
	v_div_scale_f64 v[101:102], s[6:7], v[97:98], v[97:98], v[99:100]
	v_rcp_f64_e32 v[103:104], v[101:102]
	v_fma_f64 v[105:106], -v[101:102], v[103:104], 1.0
	v_fma_f64 v[103:104], v[103:104], v[105:106], v[103:104]
	v_div_scale_f64 v[105:106], vcc, v[99:100], v[97:98], v[99:100]
	v_fma_f64 v[107:108], -v[101:102], v[103:104], 1.0
	v_fma_f64 v[103:104], v[103:104], v[107:108], v[103:104]
	v_mul_f64 v[107:108], v[105:106], v[103:104]
	v_fma_f64 v[101:102], -v[101:102], v[107:108], v[105:106]
	v_div_fmas_f64 v[101:102], v[101:102], v[103:104], v[107:108]
	v_div_fixup_f64 v[103:104], v[101:102], v[97:98], v[99:100]
	v_fma_f64 v[97:98], v[99:100], v[103:104], v[97:98]
	v_div_scale_f64 v[99:100], s[6:7], v[97:98], v[97:98], 1.0
	v_div_scale_f64 v[107:108], vcc, 1.0, v[97:98], 1.0
	v_rcp_f64_e32 v[101:102], v[99:100]
	v_fma_f64 v[105:106], -v[99:100], v[101:102], 1.0
	v_fma_f64 v[101:102], v[101:102], v[105:106], v[101:102]
	v_fma_f64 v[105:106], -v[99:100], v[101:102], 1.0
	v_fma_f64 v[101:102], v[101:102], v[105:106], v[101:102]
	v_mul_f64 v[105:106], v[107:108], v[101:102]
	v_fma_f64 v[99:100], -v[99:100], v[105:106], v[107:108]
	v_div_fmas_f64 v[99:100], v[99:100], v[101:102], v[105:106]
	v_div_fixup_f64 v[101:102], v[99:100], v[97:98], 1.0
	v_mul_f64 v[103:104], v[103:104], -v[101:102]
.LBB95_349:
	s_or_b64 exec, exec, s[2:3]
	ds_write2_b64 v127, v[101:102], v[103:104] offset1:1
.LBB95_350:
	s_or_b64 exec, exec, s[4:5]
	s_waitcnt lgkmcnt(0)
	s_barrier
	ds_read2_b64 v[69:72], v127 offset1:1
	v_cmp_lt_u32_e32 vcc, 38, v0
	s_waitcnt lgkmcnt(0)
	buffer_store_dword v69, off, s[20:23], 0 offset:1384 ; 4-byte Folded Spill
	s_nop 0
	buffer_store_dword v70, off, s[20:23], 0 offset:1388 ; 4-byte Folded Spill
	buffer_store_dword v71, off, s[20:23], 0 offset:1392 ; 4-byte Folded Spill
	;; [unrolled: 1-line block ×3, first 2 shown]
	s_and_saveexec_b64 s[2:3], vcc
	s_cbranch_execz .LBB95_352
; %bb.351:
	buffer_load_dword v69, off, s[20:23], 0 offset:1384 ; 4-byte Folded Reload
	buffer_load_dword v70, off, s[20:23], 0 offset:1388 ; 4-byte Folded Reload
	;; [unrolled: 1-line block ×4, first 2 shown]
	ds_read2_b64 v[99:102], v125 offset0:78 offset1:79
	s_waitcnt vmcnt(2)
	v_mul_f64 v[97:98], v[69:70], v[35:36]
	s_waitcnt vmcnt(0)
	v_mul_f64 v[35:36], v[71:72], v[35:36]
	v_fma_f64 v[97:98], v[71:72], v[33:34], v[97:98]
	v_fma_f64 v[33:34], v[69:70], v[33:34], -v[35:36]
	s_waitcnt lgkmcnt(0)
	v_mul_f64 v[35:36], v[101:102], v[97:98]
	v_fma_f64 v[35:36], v[99:100], v[33:34], -v[35:36]
	v_mul_f64 v[99:100], v[99:100], v[97:98]
	v_add_f64 v[29:30], v[29:30], -v[35:36]
	v_fma_f64 v[99:100], v[101:102], v[33:34], v[99:100]
	v_add_f64 v[31:32], v[31:32], -v[99:100]
	ds_read2_b64 v[99:102], v125 offset0:80 offset1:81
	s_waitcnt lgkmcnt(0)
	v_mul_f64 v[35:36], v[101:102], v[97:98]
	v_fma_f64 v[35:36], v[99:100], v[33:34], -v[35:36]
	v_mul_f64 v[99:100], v[99:100], v[97:98]
	v_add_f64 v[25:26], v[25:26], -v[35:36]
	v_fma_f64 v[99:100], v[101:102], v[33:34], v[99:100]
	v_add_f64 v[27:28], v[27:28], -v[99:100]
	ds_read2_b64 v[99:102], v125 offset0:82 offset1:83
	;; [unrolled: 8-line block ×8, first 2 shown]
	s_waitcnt lgkmcnt(0)
	v_mul_f64 v[35:36], v[101:102], v[97:98]
	v_fma_f64 v[35:36], v[99:100], v[33:34], -v[35:36]
	v_mul_f64 v[99:100], v[99:100], v[97:98]
	v_add_f64 v[73:74], v[73:74], -v[35:36]
	v_fma_f64 v[99:100], v[101:102], v[33:34], v[99:100]
	v_mov_b32_e32 v35, v97
	v_mov_b32_e32 v36, v98
	v_add_f64 v[75:76], v[75:76], -v[99:100]
.LBB95_352:
	s_or_b64 exec, exec, s[2:3]
	v_cmp_eq_u32_e32 vcc, 39, v0
	s_waitcnt vmcnt(0)
	s_barrier
	s_and_saveexec_b64 s[4:5], vcc
	s_cbranch_execz .LBB95_359
; %bb.353:
	ds_write2_b64 v127, v[29:30], v[31:32] offset1:1
	ds_write2_b64 v125, v[25:26], v[27:28] offset0:80 offset1:81
	ds_write2_b64 v125, v[21:22], v[23:24] offset0:82 offset1:83
	;; [unrolled: 1-line block ×8, first 2 shown]
	ds_read2_b64 v[97:100], v127 offset1:1
	s_waitcnt lgkmcnt(0)
	v_cmp_neq_f64_e32 vcc, 0, v[97:98]
	v_cmp_neq_f64_e64 s[2:3], 0, v[99:100]
	s_or_b64 s[2:3], vcc, s[2:3]
	s_and_b64 exec, exec, s[2:3]
	s_cbranch_execz .LBB95_359
; %bb.354:
	v_cmp_ngt_f64_e64 s[2:3], |v[97:98]|, |v[99:100]|
                                        ; implicit-def: $vgpr101_vgpr102
	s_and_saveexec_b64 s[6:7], s[2:3]
	s_xor_b64 s[2:3], exec, s[6:7]
                                        ; implicit-def: $vgpr103_vgpr104
	s_cbranch_execz .LBB95_356
; %bb.355:
	v_div_scale_f64 v[101:102], s[6:7], v[99:100], v[99:100], v[97:98]
	v_rcp_f64_e32 v[103:104], v[101:102]
	v_fma_f64 v[105:106], -v[101:102], v[103:104], 1.0
	v_fma_f64 v[103:104], v[103:104], v[105:106], v[103:104]
	v_div_scale_f64 v[105:106], vcc, v[97:98], v[99:100], v[97:98]
	v_fma_f64 v[107:108], -v[101:102], v[103:104], 1.0
	v_fma_f64 v[103:104], v[103:104], v[107:108], v[103:104]
	v_mul_f64 v[107:108], v[105:106], v[103:104]
	v_fma_f64 v[101:102], -v[101:102], v[107:108], v[105:106]
	v_div_fmas_f64 v[101:102], v[101:102], v[103:104], v[107:108]
	v_div_fixup_f64 v[101:102], v[101:102], v[99:100], v[97:98]
	v_fma_f64 v[97:98], v[97:98], v[101:102], v[99:100]
	v_div_scale_f64 v[99:100], s[6:7], v[97:98], v[97:98], 1.0
	v_div_scale_f64 v[107:108], vcc, 1.0, v[97:98], 1.0
	v_rcp_f64_e32 v[103:104], v[99:100]
	v_fma_f64 v[105:106], -v[99:100], v[103:104], 1.0
	v_fma_f64 v[103:104], v[103:104], v[105:106], v[103:104]
	v_fma_f64 v[105:106], -v[99:100], v[103:104], 1.0
	v_fma_f64 v[103:104], v[103:104], v[105:106], v[103:104]
	v_mul_f64 v[105:106], v[107:108], v[103:104]
	v_fma_f64 v[99:100], -v[99:100], v[105:106], v[107:108]
	v_div_fmas_f64 v[99:100], v[99:100], v[103:104], v[105:106]
	v_div_fixup_f64 v[103:104], v[99:100], v[97:98], 1.0
                                        ; implicit-def: $vgpr97_vgpr98
	v_mul_f64 v[101:102], v[101:102], v[103:104]
	v_xor_b32_e32 v104, 0x80000000, v104
.LBB95_356:
	s_andn2_saveexec_b64 s[2:3], s[2:3]
	s_cbranch_execz .LBB95_358
; %bb.357:
	v_div_scale_f64 v[101:102], s[6:7], v[97:98], v[97:98], v[99:100]
	v_rcp_f64_e32 v[103:104], v[101:102]
	v_fma_f64 v[105:106], -v[101:102], v[103:104], 1.0
	v_fma_f64 v[103:104], v[103:104], v[105:106], v[103:104]
	v_div_scale_f64 v[105:106], vcc, v[99:100], v[97:98], v[99:100]
	v_fma_f64 v[107:108], -v[101:102], v[103:104], 1.0
	v_fma_f64 v[103:104], v[103:104], v[107:108], v[103:104]
	v_mul_f64 v[107:108], v[105:106], v[103:104]
	v_fma_f64 v[101:102], -v[101:102], v[107:108], v[105:106]
	v_div_fmas_f64 v[101:102], v[101:102], v[103:104], v[107:108]
	v_div_fixup_f64 v[103:104], v[101:102], v[97:98], v[99:100]
	v_fma_f64 v[97:98], v[99:100], v[103:104], v[97:98]
	v_div_scale_f64 v[99:100], s[6:7], v[97:98], v[97:98], 1.0
	v_div_scale_f64 v[107:108], vcc, 1.0, v[97:98], 1.0
	v_rcp_f64_e32 v[101:102], v[99:100]
	v_fma_f64 v[105:106], -v[99:100], v[101:102], 1.0
	v_fma_f64 v[101:102], v[101:102], v[105:106], v[101:102]
	v_fma_f64 v[105:106], -v[99:100], v[101:102], 1.0
	v_fma_f64 v[101:102], v[101:102], v[105:106], v[101:102]
	v_mul_f64 v[105:106], v[107:108], v[101:102]
	v_fma_f64 v[99:100], -v[99:100], v[105:106], v[107:108]
	v_div_fmas_f64 v[99:100], v[99:100], v[101:102], v[105:106]
	v_div_fixup_f64 v[101:102], v[99:100], v[97:98], 1.0
	v_mul_f64 v[103:104], v[103:104], -v[101:102]
.LBB95_358:
	s_or_b64 exec, exec, s[2:3]
	ds_write2_b64 v127, v[101:102], v[103:104] offset1:1
.LBB95_359:
	s_or_b64 exec, exec, s[4:5]
	s_waitcnt lgkmcnt(0)
	s_barrier
	ds_read2_b64 v[69:72], v127 offset1:1
	v_cmp_lt_u32_e32 vcc, 39, v0
	s_waitcnt lgkmcnt(0)
	buffer_store_dword v69, off, s[20:23], 0 offset:1400 ; 4-byte Folded Spill
	s_nop 0
	buffer_store_dword v70, off, s[20:23], 0 offset:1404 ; 4-byte Folded Spill
	buffer_store_dword v71, off, s[20:23], 0 offset:1408 ; 4-byte Folded Spill
	;; [unrolled: 1-line block ×3, first 2 shown]
	s_and_saveexec_b64 s[2:3], vcc
	s_cbranch_execz .LBB95_361
; %bb.360:
	buffer_load_dword v69, off, s[20:23], 0 offset:1400 ; 4-byte Folded Reload
	buffer_load_dword v70, off, s[20:23], 0 offset:1404 ; 4-byte Folded Reload
	;; [unrolled: 1-line block ×4, first 2 shown]
	ds_read2_b64 v[99:102], v125 offset0:80 offset1:81
	s_waitcnt vmcnt(2)
	v_mul_f64 v[97:98], v[69:70], v[31:32]
	s_waitcnt vmcnt(0)
	v_mul_f64 v[31:32], v[71:72], v[31:32]
	v_fma_f64 v[97:98], v[71:72], v[29:30], v[97:98]
	v_fma_f64 v[29:30], v[69:70], v[29:30], -v[31:32]
	s_waitcnt lgkmcnt(0)
	v_mul_f64 v[31:32], v[101:102], v[97:98]
	v_fma_f64 v[31:32], v[99:100], v[29:30], -v[31:32]
	v_mul_f64 v[99:100], v[99:100], v[97:98]
	v_add_f64 v[25:26], v[25:26], -v[31:32]
	v_fma_f64 v[99:100], v[101:102], v[29:30], v[99:100]
	v_add_f64 v[27:28], v[27:28], -v[99:100]
	ds_read2_b64 v[99:102], v125 offset0:82 offset1:83
	s_waitcnt lgkmcnt(0)
	v_mul_f64 v[31:32], v[101:102], v[97:98]
	v_fma_f64 v[31:32], v[99:100], v[29:30], -v[31:32]
	v_mul_f64 v[99:100], v[99:100], v[97:98]
	v_add_f64 v[21:22], v[21:22], -v[31:32]
	v_fma_f64 v[99:100], v[101:102], v[29:30], v[99:100]
	v_add_f64 v[23:24], v[23:24], -v[99:100]
	ds_read2_b64 v[99:102], v125 offset0:84 offset1:85
	;; [unrolled: 8-line block ×7, first 2 shown]
	s_waitcnt lgkmcnt(0)
	v_mul_f64 v[31:32], v[101:102], v[97:98]
	v_fma_f64 v[31:32], v[99:100], v[29:30], -v[31:32]
	v_mul_f64 v[99:100], v[99:100], v[97:98]
	v_add_f64 v[73:74], v[73:74], -v[31:32]
	v_fma_f64 v[99:100], v[101:102], v[29:30], v[99:100]
	v_mov_b32_e32 v31, v97
	v_mov_b32_e32 v32, v98
	v_add_f64 v[75:76], v[75:76], -v[99:100]
.LBB95_361:
	s_or_b64 exec, exec, s[2:3]
	v_cmp_eq_u32_e32 vcc, 40, v0
	s_waitcnt vmcnt(0)
	s_barrier
	s_and_saveexec_b64 s[4:5], vcc
	s_cbranch_execz .LBB95_368
; %bb.362:
	ds_write2_b64 v127, v[25:26], v[27:28] offset1:1
	ds_write2_b64 v125, v[21:22], v[23:24] offset0:82 offset1:83
	ds_write2_b64 v125, v[17:18], v[19:20] offset0:84 offset1:85
	;; [unrolled: 1-line block ×7, first 2 shown]
	ds_read2_b64 v[97:100], v127 offset1:1
	s_waitcnt lgkmcnt(0)
	v_cmp_neq_f64_e32 vcc, 0, v[97:98]
	v_cmp_neq_f64_e64 s[2:3], 0, v[99:100]
	s_or_b64 s[2:3], vcc, s[2:3]
	s_and_b64 exec, exec, s[2:3]
	s_cbranch_execz .LBB95_368
; %bb.363:
	v_cmp_ngt_f64_e64 s[2:3], |v[97:98]|, |v[99:100]|
                                        ; implicit-def: $vgpr101_vgpr102
	s_and_saveexec_b64 s[6:7], s[2:3]
	s_xor_b64 s[2:3], exec, s[6:7]
                                        ; implicit-def: $vgpr103_vgpr104
	s_cbranch_execz .LBB95_365
; %bb.364:
	v_div_scale_f64 v[101:102], s[6:7], v[99:100], v[99:100], v[97:98]
	v_rcp_f64_e32 v[103:104], v[101:102]
	v_fma_f64 v[105:106], -v[101:102], v[103:104], 1.0
	v_fma_f64 v[103:104], v[103:104], v[105:106], v[103:104]
	v_div_scale_f64 v[105:106], vcc, v[97:98], v[99:100], v[97:98]
	v_fma_f64 v[107:108], -v[101:102], v[103:104], 1.0
	v_fma_f64 v[103:104], v[103:104], v[107:108], v[103:104]
	v_mul_f64 v[107:108], v[105:106], v[103:104]
	v_fma_f64 v[101:102], -v[101:102], v[107:108], v[105:106]
	v_div_fmas_f64 v[101:102], v[101:102], v[103:104], v[107:108]
	v_div_fixup_f64 v[101:102], v[101:102], v[99:100], v[97:98]
	v_fma_f64 v[97:98], v[97:98], v[101:102], v[99:100]
	v_div_scale_f64 v[99:100], s[6:7], v[97:98], v[97:98], 1.0
	v_div_scale_f64 v[107:108], vcc, 1.0, v[97:98], 1.0
	v_rcp_f64_e32 v[103:104], v[99:100]
	v_fma_f64 v[105:106], -v[99:100], v[103:104], 1.0
	v_fma_f64 v[103:104], v[103:104], v[105:106], v[103:104]
	v_fma_f64 v[105:106], -v[99:100], v[103:104], 1.0
	v_fma_f64 v[103:104], v[103:104], v[105:106], v[103:104]
	v_mul_f64 v[105:106], v[107:108], v[103:104]
	v_fma_f64 v[99:100], -v[99:100], v[105:106], v[107:108]
	v_div_fmas_f64 v[99:100], v[99:100], v[103:104], v[105:106]
	v_div_fixup_f64 v[103:104], v[99:100], v[97:98], 1.0
                                        ; implicit-def: $vgpr97_vgpr98
	v_mul_f64 v[101:102], v[101:102], v[103:104]
	v_xor_b32_e32 v104, 0x80000000, v104
.LBB95_365:
	s_andn2_saveexec_b64 s[2:3], s[2:3]
	s_cbranch_execz .LBB95_367
; %bb.366:
	v_div_scale_f64 v[101:102], s[6:7], v[97:98], v[97:98], v[99:100]
	v_rcp_f64_e32 v[103:104], v[101:102]
	v_fma_f64 v[105:106], -v[101:102], v[103:104], 1.0
	v_fma_f64 v[103:104], v[103:104], v[105:106], v[103:104]
	v_div_scale_f64 v[105:106], vcc, v[99:100], v[97:98], v[99:100]
	v_fma_f64 v[107:108], -v[101:102], v[103:104], 1.0
	v_fma_f64 v[103:104], v[103:104], v[107:108], v[103:104]
	v_mul_f64 v[107:108], v[105:106], v[103:104]
	v_fma_f64 v[101:102], -v[101:102], v[107:108], v[105:106]
	v_div_fmas_f64 v[101:102], v[101:102], v[103:104], v[107:108]
	v_div_fixup_f64 v[103:104], v[101:102], v[97:98], v[99:100]
	v_fma_f64 v[97:98], v[99:100], v[103:104], v[97:98]
	v_div_scale_f64 v[99:100], s[6:7], v[97:98], v[97:98], 1.0
	v_div_scale_f64 v[107:108], vcc, 1.0, v[97:98], 1.0
	v_rcp_f64_e32 v[101:102], v[99:100]
	v_fma_f64 v[105:106], -v[99:100], v[101:102], 1.0
	v_fma_f64 v[101:102], v[101:102], v[105:106], v[101:102]
	v_fma_f64 v[105:106], -v[99:100], v[101:102], 1.0
	v_fma_f64 v[101:102], v[101:102], v[105:106], v[101:102]
	v_mul_f64 v[105:106], v[107:108], v[101:102]
	v_fma_f64 v[99:100], -v[99:100], v[105:106], v[107:108]
	v_div_fmas_f64 v[99:100], v[99:100], v[101:102], v[105:106]
	v_div_fixup_f64 v[101:102], v[99:100], v[97:98], 1.0
	v_mul_f64 v[103:104], v[103:104], -v[101:102]
.LBB95_367:
	s_or_b64 exec, exec, s[2:3]
	ds_write2_b64 v127, v[101:102], v[103:104] offset1:1
.LBB95_368:
	s_or_b64 exec, exec, s[4:5]
	s_waitcnt lgkmcnt(0)
	s_barrier
	ds_read2_b64 v[69:72], v127 offset1:1
	v_cmp_lt_u32_e32 vcc, 40, v0
	s_waitcnt lgkmcnt(0)
	buffer_store_dword v69, off, s[20:23], 0 offset:1416 ; 4-byte Folded Spill
	s_nop 0
	buffer_store_dword v70, off, s[20:23], 0 offset:1420 ; 4-byte Folded Spill
	buffer_store_dword v71, off, s[20:23], 0 offset:1424 ; 4-byte Folded Spill
	;; [unrolled: 1-line block ×3, first 2 shown]
	s_and_saveexec_b64 s[2:3], vcc
	s_cbranch_execz .LBB95_370
; %bb.369:
	buffer_load_dword v69, off, s[20:23], 0 offset:1416 ; 4-byte Folded Reload
	buffer_load_dword v70, off, s[20:23], 0 offset:1420 ; 4-byte Folded Reload
	;; [unrolled: 1-line block ×4, first 2 shown]
	ds_read2_b64 v[99:102], v125 offset0:82 offset1:83
	s_waitcnt vmcnt(2)
	v_mul_f64 v[97:98], v[69:70], v[27:28]
	s_waitcnt vmcnt(0)
	v_mul_f64 v[27:28], v[71:72], v[27:28]
	v_fma_f64 v[97:98], v[71:72], v[25:26], v[97:98]
	v_fma_f64 v[25:26], v[69:70], v[25:26], -v[27:28]
	s_waitcnt lgkmcnt(0)
	v_mul_f64 v[27:28], v[101:102], v[97:98]
	v_fma_f64 v[27:28], v[99:100], v[25:26], -v[27:28]
	v_mul_f64 v[99:100], v[99:100], v[97:98]
	v_add_f64 v[21:22], v[21:22], -v[27:28]
	v_fma_f64 v[99:100], v[101:102], v[25:26], v[99:100]
	v_add_f64 v[23:24], v[23:24], -v[99:100]
	ds_read2_b64 v[99:102], v125 offset0:84 offset1:85
	s_waitcnt lgkmcnt(0)
	v_mul_f64 v[27:28], v[101:102], v[97:98]
	v_fma_f64 v[27:28], v[99:100], v[25:26], -v[27:28]
	v_mul_f64 v[99:100], v[99:100], v[97:98]
	v_add_f64 v[17:18], v[17:18], -v[27:28]
	v_fma_f64 v[99:100], v[101:102], v[25:26], v[99:100]
	v_add_f64 v[19:20], v[19:20], -v[99:100]
	ds_read2_b64 v[99:102], v125 offset0:86 offset1:87
	;; [unrolled: 8-line block ×6, first 2 shown]
	s_waitcnt lgkmcnt(0)
	v_mul_f64 v[27:28], v[101:102], v[97:98]
	v_fma_f64 v[27:28], v[99:100], v[25:26], -v[27:28]
	v_mul_f64 v[99:100], v[99:100], v[97:98]
	v_add_f64 v[73:74], v[73:74], -v[27:28]
	v_fma_f64 v[99:100], v[101:102], v[25:26], v[99:100]
	v_mov_b32_e32 v27, v97
	v_mov_b32_e32 v28, v98
	v_add_f64 v[75:76], v[75:76], -v[99:100]
.LBB95_370:
	s_or_b64 exec, exec, s[2:3]
	v_cmp_eq_u32_e32 vcc, 41, v0
	s_waitcnt vmcnt(0)
	s_barrier
	s_and_saveexec_b64 s[4:5], vcc
	s_cbranch_execz .LBB95_377
; %bb.371:
	ds_write2_b64 v127, v[21:22], v[23:24] offset1:1
	ds_write2_b64 v125, v[17:18], v[19:20] offset0:84 offset1:85
	ds_write2_b64 v125, v[13:14], v[15:16] offset0:86 offset1:87
	;; [unrolled: 1-line block ×6, first 2 shown]
	ds_read2_b64 v[97:100], v127 offset1:1
	s_waitcnt lgkmcnt(0)
	v_cmp_neq_f64_e32 vcc, 0, v[97:98]
	v_cmp_neq_f64_e64 s[2:3], 0, v[99:100]
	s_or_b64 s[2:3], vcc, s[2:3]
	s_and_b64 exec, exec, s[2:3]
	s_cbranch_execz .LBB95_377
; %bb.372:
	v_cmp_ngt_f64_e64 s[2:3], |v[97:98]|, |v[99:100]|
                                        ; implicit-def: $vgpr101_vgpr102
	s_and_saveexec_b64 s[6:7], s[2:3]
	s_xor_b64 s[2:3], exec, s[6:7]
                                        ; implicit-def: $vgpr103_vgpr104
	s_cbranch_execz .LBB95_374
; %bb.373:
	v_div_scale_f64 v[101:102], s[6:7], v[99:100], v[99:100], v[97:98]
	v_rcp_f64_e32 v[103:104], v[101:102]
	v_fma_f64 v[105:106], -v[101:102], v[103:104], 1.0
	v_fma_f64 v[103:104], v[103:104], v[105:106], v[103:104]
	v_div_scale_f64 v[105:106], vcc, v[97:98], v[99:100], v[97:98]
	v_fma_f64 v[107:108], -v[101:102], v[103:104], 1.0
	v_fma_f64 v[103:104], v[103:104], v[107:108], v[103:104]
	v_mul_f64 v[107:108], v[105:106], v[103:104]
	v_fma_f64 v[101:102], -v[101:102], v[107:108], v[105:106]
	v_div_fmas_f64 v[101:102], v[101:102], v[103:104], v[107:108]
	v_div_fixup_f64 v[101:102], v[101:102], v[99:100], v[97:98]
	v_fma_f64 v[97:98], v[97:98], v[101:102], v[99:100]
	v_div_scale_f64 v[99:100], s[6:7], v[97:98], v[97:98], 1.0
	v_div_scale_f64 v[107:108], vcc, 1.0, v[97:98], 1.0
	v_rcp_f64_e32 v[103:104], v[99:100]
	v_fma_f64 v[105:106], -v[99:100], v[103:104], 1.0
	v_fma_f64 v[103:104], v[103:104], v[105:106], v[103:104]
	v_fma_f64 v[105:106], -v[99:100], v[103:104], 1.0
	v_fma_f64 v[103:104], v[103:104], v[105:106], v[103:104]
	v_mul_f64 v[105:106], v[107:108], v[103:104]
	v_fma_f64 v[99:100], -v[99:100], v[105:106], v[107:108]
	v_div_fmas_f64 v[99:100], v[99:100], v[103:104], v[105:106]
	v_div_fixup_f64 v[103:104], v[99:100], v[97:98], 1.0
                                        ; implicit-def: $vgpr97_vgpr98
	v_mul_f64 v[101:102], v[101:102], v[103:104]
	v_xor_b32_e32 v104, 0x80000000, v104
.LBB95_374:
	s_andn2_saveexec_b64 s[2:3], s[2:3]
	s_cbranch_execz .LBB95_376
; %bb.375:
	v_div_scale_f64 v[101:102], s[6:7], v[97:98], v[97:98], v[99:100]
	v_rcp_f64_e32 v[103:104], v[101:102]
	v_fma_f64 v[105:106], -v[101:102], v[103:104], 1.0
	v_fma_f64 v[103:104], v[103:104], v[105:106], v[103:104]
	v_div_scale_f64 v[105:106], vcc, v[99:100], v[97:98], v[99:100]
	v_fma_f64 v[107:108], -v[101:102], v[103:104], 1.0
	v_fma_f64 v[103:104], v[103:104], v[107:108], v[103:104]
	v_mul_f64 v[107:108], v[105:106], v[103:104]
	v_fma_f64 v[101:102], -v[101:102], v[107:108], v[105:106]
	v_div_fmas_f64 v[101:102], v[101:102], v[103:104], v[107:108]
	v_div_fixup_f64 v[103:104], v[101:102], v[97:98], v[99:100]
	v_fma_f64 v[97:98], v[99:100], v[103:104], v[97:98]
	v_div_scale_f64 v[99:100], s[6:7], v[97:98], v[97:98], 1.0
	v_div_scale_f64 v[107:108], vcc, 1.0, v[97:98], 1.0
	v_rcp_f64_e32 v[101:102], v[99:100]
	v_fma_f64 v[105:106], -v[99:100], v[101:102], 1.0
	v_fma_f64 v[101:102], v[101:102], v[105:106], v[101:102]
	v_fma_f64 v[105:106], -v[99:100], v[101:102], 1.0
	v_fma_f64 v[101:102], v[101:102], v[105:106], v[101:102]
	v_mul_f64 v[105:106], v[107:108], v[101:102]
	v_fma_f64 v[99:100], -v[99:100], v[105:106], v[107:108]
	v_div_fmas_f64 v[99:100], v[99:100], v[101:102], v[105:106]
	v_div_fixup_f64 v[101:102], v[99:100], v[97:98], 1.0
	v_mul_f64 v[103:104], v[103:104], -v[101:102]
.LBB95_376:
	s_or_b64 exec, exec, s[2:3]
	ds_write2_b64 v127, v[101:102], v[103:104] offset1:1
.LBB95_377:
	s_or_b64 exec, exec, s[4:5]
	s_waitcnt lgkmcnt(0)
	s_barrier
	ds_read2_b64 v[69:72], v127 offset1:1
	v_cmp_lt_u32_e32 vcc, 41, v0
	s_waitcnt lgkmcnt(0)
	buffer_store_dword v69, off, s[20:23], 0 offset:1432 ; 4-byte Folded Spill
	s_nop 0
	buffer_store_dword v70, off, s[20:23], 0 offset:1436 ; 4-byte Folded Spill
	buffer_store_dword v71, off, s[20:23], 0 offset:1440 ; 4-byte Folded Spill
	;; [unrolled: 1-line block ×3, first 2 shown]
	s_and_saveexec_b64 s[2:3], vcc
	s_cbranch_execz .LBB95_379
; %bb.378:
	buffer_load_dword v69, off, s[20:23], 0 offset:1432 ; 4-byte Folded Reload
	buffer_load_dword v70, off, s[20:23], 0 offset:1436 ; 4-byte Folded Reload
	;; [unrolled: 1-line block ×4, first 2 shown]
	ds_read2_b64 v[99:102], v125 offset0:84 offset1:85
	s_waitcnt vmcnt(2)
	v_mul_f64 v[97:98], v[69:70], v[23:24]
	s_waitcnt vmcnt(0)
	v_mul_f64 v[23:24], v[71:72], v[23:24]
	v_fma_f64 v[97:98], v[71:72], v[21:22], v[97:98]
	v_fma_f64 v[21:22], v[69:70], v[21:22], -v[23:24]
	s_waitcnt lgkmcnt(0)
	v_mul_f64 v[23:24], v[101:102], v[97:98]
	v_fma_f64 v[23:24], v[99:100], v[21:22], -v[23:24]
	v_mul_f64 v[99:100], v[99:100], v[97:98]
	v_add_f64 v[17:18], v[17:18], -v[23:24]
	v_fma_f64 v[99:100], v[101:102], v[21:22], v[99:100]
	v_add_f64 v[19:20], v[19:20], -v[99:100]
	ds_read2_b64 v[99:102], v125 offset0:86 offset1:87
	s_waitcnt lgkmcnt(0)
	v_mul_f64 v[23:24], v[101:102], v[97:98]
	v_fma_f64 v[23:24], v[99:100], v[21:22], -v[23:24]
	v_mul_f64 v[99:100], v[99:100], v[97:98]
	v_add_f64 v[13:14], v[13:14], -v[23:24]
	v_fma_f64 v[99:100], v[101:102], v[21:22], v[99:100]
	v_add_f64 v[15:16], v[15:16], -v[99:100]
	ds_read2_b64 v[99:102], v125 offset0:88 offset1:89
	s_waitcnt lgkmcnt(0)
	v_mul_f64 v[23:24], v[101:102], v[97:98]
	v_fma_f64 v[23:24], v[99:100], v[21:22], -v[23:24]
	v_mul_f64 v[99:100], v[99:100], v[97:98]
	v_add_f64 v[9:10], v[9:10], -v[23:24]
	v_fma_f64 v[99:100], v[101:102], v[21:22], v[99:100]
	v_add_f64 v[11:12], v[11:12], -v[99:100]
	ds_read2_b64 v[99:102], v125 offset0:90 offset1:91
	s_waitcnt lgkmcnt(0)
	v_mul_f64 v[23:24], v[101:102], v[97:98]
	v_fma_f64 v[23:24], v[99:100], v[21:22], -v[23:24]
	v_mul_f64 v[99:100], v[99:100], v[97:98]
	v_add_f64 v[5:6], v[5:6], -v[23:24]
	v_fma_f64 v[99:100], v[101:102], v[21:22], v[99:100]
	v_add_f64 v[7:8], v[7:8], -v[99:100]
	ds_read2_b64 v[99:102], v125 offset0:92 offset1:93
	s_waitcnt lgkmcnt(0)
	v_mul_f64 v[23:24], v[101:102], v[97:98]
	v_fma_f64 v[23:24], v[99:100], v[21:22], -v[23:24]
	v_mul_f64 v[99:100], v[99:100], v[97:98]
	v_add_f64 v[1:2], v[1:2], -v[23:24]
	v_fma_f64 v[99:100], v[101:102], v[21:22], v[99:100]
	v_add_f64 v[3:4], v[3:4], -v[99:100]
	ds_read2_b64 v[99:102], v125 offset0:94 offset1:95
	s_waitcnt lgkmcnt(0)
	v_mul_f64 v[23:24], v[101:102], v[97:98]
	v_fma_f64 v[23:24], v[99:100], v[21:22], -v[23:24]
	v_mul_f64 v[99:100], v[99:100], v[97:98]
	v_add_f64 v[73:74], v[73:74], -v[23:24]
	v_fma_f64 v[99:100], v[101:102], v[21:22], v[99:100]
	v_mov_b32_e32 v23, v97
	v_mov_b32_e32 v24, v98
	v_add_f64 v[75:76], v[75:76], -v[99:100]
.LBB95_379:
	s_or_b64 exec, exec, s[2:3]
	v_cmp_eq_u32_e32 vcc, 42, v0
	s_waitcnt vmcnt(0)
	s_barrier
	s_and_saveexec_b64 s[4:5], vcc
	s_cbranch_execz .LBB95_386
; %bb.380:
	ds_write2_b64 v127, v[17:18], v[19:20] offset1:1
	ds_write2_b64 v125, v[13:14], v[15:16] offset0:86 offset1:87
	ds_write2_b64 v125, v[9:10], v[11:12] offset0:88 offset1:89
	;; [unrolled: 1-line block ×5, first 2 shown]
	ds_read2_b64 v[97:100], v127 offset1:1
	s_waitcnt lgkmcnt(0)
	v_cmp_neq_f64_e32 vcc, 0, v[97:98]
	v_cmp_neq_f64_e64 s[2:3], 0, v[99:100]
	s_or_b64 s[2:3], vcc, s[2:3]
	s_and_b64 exec, exec, s[2:3]
	s_cbranch_execz .LBB95_386
; %bb.381:
	v_cmp_ngt_f64_e64 s[2:3], |v[97:98]|, |v[99:100]|
                                        ; implicit-def: $vgpr101_vgpr102
	s_and_saveexec_b64 s[6:7], s[2:3]
	s_xor_b64 s[2:3], exec, s[6:7]
                                        ; implicit-def: $vgpr103_vgpr104
	s_cbranch_execz .LBB95_383
; %bb.382:
	v_div_scale_f64 v[101:102], s[6:7], v[99:100], v[99:100], v[97:98]
	v_rcp_f64_e32 v[103:104], v[101:102]
	v_fma_f64 v[105:106], -v[101:102], v[103:104], 1.0
	v_fma_f64 v[103:104], v[103:104], v[105:106], v[103:104]
	v_div_scale_f64 v[105:106], vcc, v[97:98], v[99:100], v[97:98]
	v_fma_f64 v[107:108], -v[101:102], v[103:104], 1.0
	v_fma_f64 v[103:104], v[103:104], v[107:108], v[103:104]
	v_mul_f64 v[107:108], v[105:106], v[103:104]
	v_fma_f64 v[101:102], -v[101:102], v[107:108], v[105:106]
	v_div_fmas_f64 v[101:102], v[101:102], v[103:104], v[107:108]
	v_div_fixup_f64 v[101:102], v[101:102], v[99:100], v[97:98]
	v_fma_f64 v[97:98], v[97:98], v[101:102], v[99:100]
	v_div_scale_f64 v[99:100], s[6:7], v[97:98], v[97:98], 1.0
	v_div_scale_f64 v[107:108], vcc, 1.0, v[97:98], 1.0
	v_rcp_f64_e32 v[103:104], v[99:100]
	v_fma_f64 v[105:106], -v[99:100], v[103:104], 1.0
	v_fma_f64 v[103:104], v[103:104], v[105:106], v[103:104]
	v_fma_f64 v[105:106], -v[99:100], v[103:104], 1.0
	v_fma_f64 v[103:104], v[103:104], v[105:106], v[103:104]
	v_mul_f64 v[105:106], v[107:108], v[103:104]
	v_fma_f64 v[99:100], -v[99:100], v[105:106], v[107:108]
	v_div_fmas_f64 v[99:100], v[99:100], v[103:104], v[105:106]
	v_div_fixup_f64 v[103:104], v[99:100], v[97:98], 1.0
                                        ; implicit-def: $vgpr97_vgpr98
	v_mul_f64 v[101:102], v[101:102], v[103:104]
	v_xor_b32_e32 v104, 0x80000000, v104
.LBB95_383:
	s_andn2_saveexec_b64 s[2:3], s[2:3]
	s_cbranch_execz .LBB95_385
; %bb.384:
	v_div_scale_f64 v[101:102], s[6:7], v[97:98], v[97:98], v[99:100]
	v_rcp_f64_e32 v[103:104], v[101:102]
	v_fma_f64 v[105:106], -v[101:102], v[103:104], 1.0
	v_fma_f64 v[103:104], v[103:104], v[105:106], v[103:104]
	v_div_scale_f64 v[105:106], vcc, v[99:100], v[97:98], v[99:100]
	v_fma_f64 v[107:108], -v[101:102], v[103:104], 1.0
	v_fma_f64 v[103:104], v[103:104], v[107:108], v[103:104]
	v_mul_f64 v[107:108], v[105:106], v[103:104]
	v_fma_f64 v[101:102], -v[101:102], v[107:108], v[105:106]
	v_div_fmas_f64 v[101:102], v[101:102], v[103:104], v[107:108]
	v_div_fixup_f64 v[103:104], v[101:102], v[97:98], v[99:100]
	v_fma_f64 v[97:98], v[99:100], v[103:104], v[97:98]
	v_div_scale_f64 v[99:100], s[6:7], v[97:98], v[97:98], 1.0
	v_div_scale_f64 v[107:108], vcc, 1.0, v[97:98], 1.0
	v_rcp_f64_e32 v[101:102], v[99:100]
	v_fma_f64 v[105:106], -v[99:100], v[101:102], 1.0
	v_fma_f64 v[101:102], v[101:102], v[105:106], v[101:102]
	v_fma_f64 v[105:106], -v[99:100], v[101:102], 1.0
	v_fma_f64 v[101:102], v[101:102], v[105:106], v[101:102]
	v_mul_f64 v[105:106], v[107:108], v[101:102]
	v_fma_f64 v[99:100], -v[99:100], v[105:106], v[107:108]
	v_div_fmas_f64 v[99:100], v[99:100], v[101:102], v[105:106]
	v_div_fixup_f64 v[101:102], v[99:100], v[97:98], 1.0
	v_mul_f64 v[103:104], v[103:104], -v[101:102]
.LBB95_385:
	s_or_b64 exec, exec, s[2:3]
	ds_write2_b64 v127, v[101:102], v[103:104] offset1:1
.LBB95_386:
	s_or_b64 exec, exec, s[4:5]
	s_waitcnt lgkmcnt(0)
	s_barrier
	ds_read2_b64 v[69:72], v127 offset1:1
	v_cmp_lt_u32_e32 vcc, 42, v0
	s_waitcnt lgkmcnt(0)
	buffer_store_dword v69, off, s[20:23], 0 offset:1448 ; 4-byte Folded Spill
	s_nop 0
	buffer_store_dword v70, off, s[20:23], 0 offset:1452 ; 4-byte Folded Spill
	buffer_store_dword v71, off, s[20:23], 0 offset:1456 ; 4-byte Folded Spill
	;; [unrolled: 1-line block ×3, first 2 shown]
	s_and_saveexec_b64 s[2:3], vcc
	s_cbranch_execz .LBB95_388
; %bb.387:
	buffer_load_dword v69, off, s[20:23], 0 offset:1448 ; 4-byte Folded Reload
	buffer_load_dword v70, off, s[20:23], 0 offset:1452 ; 4-byte Folded Reload
	buffer_load_dword v71, off, s[20:23], 0 offset:1456 ; 4-byte Folded Reload
	buffer_load_dword v72, off, s[20:23], 0 offset:1460 ; 4-byte Folded Reload
	s_waitcnt vmcnt(2)
	v_mul_f64 v[97:98], v[69:70], v[19:20]
	s_waitcnt vmcnt(0)
	v_mul_f64 v[19:20], v[71:72], v[19:20]
	v_fma_f64 v[101:102], v[71:72], v[17:18], v[97:98]
	ds_read2_b64 v[97:100], v125 offset0:86 offset1:87
	v_fma_f64 v[17:18], v[69:70], v[17:18], -v[19:20]
	s_waitcnt lgkmcnt(0)
	v_mul_f64 v[19:20], v[99:100], v[101:102]
	v_fma_f64 v[19:20], v[97:98], v[17:18], -v[19:20]
	v_mul_f64 v[97:98], v[97:98], v[101:102]
	v_add_f64 v[13:14], v[13:14], -v[19:20]
	v_fma_f64 v[97:98], v[99:100], v[17:18], v[97:98]
	v_add_f64 v[15:16], v[15:16], -v[97:98]
	ds_read2_b64 v[97:100], v125 offset0:88 offset1:89
	s_waitcnt lgkmcnt(0)
	v_mul_f64 v[19:20], v[99:100], v[101:102]
	v_fma_f64 v[19:20], v[97:98], v[17:18], -v[19:20]
	v_mul_f64 v[97:98], v[97:98], v[101:102]
	v_add_f64 v[9:10], v[9:10], -v[19:20]
	v_fma_f64 v[97:98], v[99:100], v[17:18], v[97:98]
	v_add_f64 v[11:12], v[11:12], -v[97:98]
	ds_read2_b64 v[97:100], v125 offset0:90 offset1:91
	;; [unrolled: 8-line block ×4, first 2 shown]
	s_waitcnt lgkmcnt(0)
	v_mul_f64 v[19:20], v[99:100], v[101:102]
	v_fma_f64 v[19:20], v[97:98], v[17:18], -v[19:20]
	v_mul_f64 v[97:98], v[97:98], v[101:102]
	v_add_f64 v[73:74], v[73:74], -v[19:20]
	v_fma_f64 v[97:98], v[99:100], v[17:18], v[97:98]
	v_mov_b32_e32 v19, v101
	v_mov_b32_e32 v20, v102
	v_add_f64 v[75:76], v[75:76], -v[97:98]
.LBB95_388:
	s_or_b64 exec, exec, s[2:3]
	v_cmp_eq_u32_e32 vcc, 43, v0
	s_waitcnt vmcnt(0)
	s_barrier
	s_and_saveexec_b64 s[4:5], vcc
	s_cbranch_execz .LBB95_395
; %bb.389:
	ds_write2_b64 v127, v[13:14], v[15:16] offset1:1
	ds_write2_b64 v125, v[9:10], v[11:12] offset0:88 offset1:89
	ds_write2_b64 v125, v[5:6], v[7:8] offset0:90 offset1:91
	;; [unrolled: 1-line block ×4, first 2 shown]
	ds_read2_b64 v[97:100], v127 offset1:1
	s_waitcnt lgkmcnt(0)
	v_cmp_neq_f64_e32 vcc, 0, v[97:98]
	v_cmp_neq_f64_e64 s[2:3], 0, v[99:100]
	s_or_b64 s[2:3], vcc, s[2:3]
	s_and_b64 exec, exec, s[2:3]
	s_cbranch_execz .LBB95_395
; %bb.390:
	v_cmp_ngt_f64_e64 s[2:3], |v[97:98]|, |v[99:100]|
                                        ; implicit-def: $vgpr101_vgpr102
	s_and_saveexec_b64 s[6:7], s[2:3]
	s_xor_b64 s[2:3], exec, s[6:7]
                                        ; implicit-def: $vgpr103_vgpr104
	s_cbranch_execz .LBB95_392
; %bb.391:
	v_div_scale_f64 v[101:102], s[6:7], v[99:100], v[99:100], v[97:98]
	v_rcp_f64_e32 v[103:104], v[101:102]
	v_fma_f64 v[105:106], -v[101:102], v[103:104], 1.0
	v_fma_f64 v[103:104], v[103:104], v[105:106], v[103:104]
	v_div_scale_f64 v[105:106], vcc, v[97:98], v[99:100], v[97:98]
	v_fma_f64 v[107:108], -v[101:102], v[103:104], 1.0
	v_fma_f64 v[103:104], v[103:104], v[107:108], v[103:104]
	v_mul_f64 v[107:108], v[105:106], v[103:104]
	v_fma_f64 v[101:102], -v[101:102], v[107:108], v[105:106]
	v_div_fmas_f64 v[101:102], v[101:102], v[103:104], v[107:108]
	v_div_fixup_f64 v[101:102], v[101:102], v[99:100], v[97:98]
	v_fma_f64 v[97:98], v[97:98], v[101:102], v[99:100]
	v_div_scale_f64 v[99:100], s[6:7], v[97:98], v[97:98], 1.0
	v_div_scale_f64 v[107:108], vcc, 1.0, v[97:98], 1.0
	v_rcp_f64_e32 v[103:104], v[99:100]
	v_fma_f64 v[105:106], -v[99:100], v[103:104], 1.0
	v_fma_f64 v[103:104], v[103:104], v[105:106], v[103:104]
	v_fma_f64 v[105:106], -v[99:100], v[103:104], 1.0
	v_fma_f64 v[103:104], v[103:104], v[105:106], v[103:104]
	v_mul_f64 v[105:106], v[107:108], v[103:104]
	v_fma_f64 v[99:100], -v[99:100], v[105:106], v[107:108]
	v_div_fmas_f64 v[99:100], v[99:100], v[103:104], v[105:106]
	v_div_fixup_f64 v[103:104], v[99:100], v[97:98], 1.0
                                        ; implicit-def: $vgpr97_vgpr98
	v_mul_f64 v[101:102], v[101:102], v[103:104]
	v_xor_b32_e32 v104, 0x80000000, v104
.LBB95_392:
	s_andn2_saveexec_b64 s[2:3], s[2:3]
	s_cbranch_execz .LBB95_394
; %bb.393:
	v_div_scale_f64 v[101:102], s[6:7], v[97:98], v[97:98], v[99:100]
	v_rcp_f64_e32 v[103:104], v[101:102]
	v_fma_f64 v[105:106], -v[101:102], v[103:104], 1.0
	v_fma_f64 v[103:104], v[103:104], v[105:106], v[103:104]
	v_div_scale_f64 v[105:106], vcc, v[99:100], v[97:98], v[99:100]
	v_fma_f64 v[107:108], -v[101:102], v[103:104], 1.0
	v_fma_f64 v[103:104], v[103:104], v[107:108], v[103:104]
	v_mul_f64 v[107:108], v[105:106], v[103:104]
	v_fma_f64 v[101:102], -v[101:102], v[107:108], v[105:106]
	v_div_fmas_f64 v[101:102], v[101:102], v[103:104], v[107:108]
	v_div_fixup_f64 v[103:104], v[101:102], v[97:98], v[99:100]
	v_fma_f64 v[97:98], v[99:100], v[103:104], v[97:98]
	v_div_scale_f64 v[99:100], s[6:7], v[97:98], v[97:98], 1.0
	v_div_scale_f64 v[107:108], vcc, 1.0, v[97:98], 1.0
	v_rcp_f64_e32 v[101:102], v[99:100]
	v_fma_f64 v[105:106], -v[99:100], v[101:102], 1.0
	v_fma_f64 v[101:102], v[101:102], v[105:106], v[101:102]
	v_fma_f64 v[105:106], -v[99:100], v[101:102], 1.0
	v_fma_f64 v[101:102], v[101:102], v[105:106], v[101:102]
	v_mul_f64 v[105:106], v[107:108], v[101:102]
	v_fma_f64 v[99:100], -v[99:100], v[105:106], v[107:108]
	v_div_fmas_f64 v[99:100], v[99:100], v[101:102], v[105:106]
	v_div_fixup_f64 v[101:102], v[99:100], v[97:98], 1.0
	v_mul_f64 v[103:104], v[103:104], -v[101:102]
.LBB95_394:
	s_or_b64 exec, exec, s[2:3]
	ds_write2_b64 v127, v[101:102], v[103:104] offset1:1
.LBB95_395:
	s_or_b64 exec, exec, s[4:5]
	s_waitcnt lgkmcnt(0)
	s_barrier
	ds_read2_b64 v[69:72], v127 offset1:1
	v_cmp_lt_u32_e32 vcc, 43, v0
	s_waitcnt lgkmcnt(0)
	buffer_store_dword v69, off, s[20:23], 0 offset:1464 ; 4-byte Folded Spill
	s_nop 0
	buffer_store_dword v70, off, s[20:23], 0 offset:1468 ; 4-byte Folded Spill
	buffer_store_dword v71, off, s[20:23], 0 offset:1472 ; 4-byte Folded Spill
	;; [unrolled: 1-line block ×3, first 2 shown]
	s_and_saveexec_b64 s[2:3], vcc
	s_cbranch_execz .LBB95_397
; %bb.396:
	buffer_load_dword v69, off, s[20:23], 0 offset:1464 ; 4-byte Folded Reload
	buffer_load_dword v70, off, s[20:23], 0 offset:1468 ; 4-byte Folded Reload
	;; [unrolled: 1-line block ×4, first 2 shown]
	s_waitcnt vmcnt(2)
	v_mul_f64 v[97:98], v[69:70], v[15:16]
	s_waitcnt vmcnt(0)
	v_mul_f64 v[15:16], v[71:72], v[15:16]
	v_fma_f64 v[101:102], v[71:72], v[13:14], v[97:98]
	ds_read2_b64 v[97:100], v125 offset0:88 offset1:89
	v_fma_f64 v[13:14], v[69:70], v[13:14], -v[15:16]
	s_waitcnt lgkmcnt(0)
	v_mul_f64 v[15:16], v[99:100], v[101:102]
	v_fma_f64 v[15:16], v[97:98], v[13:14], -v[15:16]
	v_mul_f64 v[97:98], v[97:98], v[101:102]
	v_add_f64 v[9:10], v[9:10], -v[15:16]
	v_fma_f64 v[97:98], v[99:100], v[13:14], v[97:98]
	v_add_f64 v[11:12], v[11:12], -v[97:98]
	ds_read2_b64 v[97:100], v125 offset0:90 offset1:91
	s_waitcnt lgkmcnt(0)
	v_mul_f64 v[15:16], v[99:100], v[101:102]
	v_fma_f64 v[15:16], v[97:98], v[13:14], -v[15:16]
	v_mul_f64 v[97:98], v[97:98], v[101:102]
	v_add_f64 v[5:6], v[5:6], -v[15:16]
	v_fma_f64 v[97:98], v[99:100], v[13:14], v[97:98]
	v_add_f64 v[7:8], v[7:8], -v[97:98]
	ds_read2_b64 v[97:100], v125 offset0:92 offset1:93
	;; [unrolled: 8-line block ×3, first 2 shown]
	s_waitcnt lgkmcnt(0)
	v_mul_f64 v[15:16], v[99:100], v[101:102]
	v_fma_f64 v[15:16], v[97:98], v[13:14], -v[15:16]
	v_mul_f64 v[97:98], v[97:98], v[101:102]
	v_add_f64 v[73:74], v[73:74], -v[15:16]
	v_fma_f64 v[97:98], v[99:100], v[13:14], v[97:98]
	v_mov_b32_e32 v15, v101
	v_mov_b32_e32 v16, v102
	v_add_f64 v[75:76], v[75:76], -v[97:98]
.LBB95_397:
	s_or_b64 exec, exec, s[2:3]
	v_cmp_eq_u32_e32 vcc, 44, v0
	s_waitcnt vmcnt(0)
	s_barrier
	s_and_saveexec_b64 s[4:5], vcc
	s_cbranch_execz .LBB95_404
; %bb.398:
	ds_write2_b64 v127, v[9:10], v[11:12] offset1:1
	ds_write2_b64 v125, v[5:6], v[7:8] offset0:90 offset1:91
	ds_write2_b64 v125, v[1:2], v[3:4] offset0:92 offset1:93
	ds_write2_b64 v125, v[73:74], v[75:76] offset0:94 offset1:95
	ds_read2_b64 v[97:100], v127 offset1:1
	s_waitcnt lgkmcnt(0)
	v_cmp_neq_f64_e32 vcc, 0, v[97:98]
	v_cmp_neq_f64_e64 s[2:3], 0, v[99:100]
	s_or_b64 s[2:3], vcc, s[2:3]
	s_and_b64 exec, exec, s[2:3]
	s_cbranch_execz .LBB95_404
; %bb.399:
	v_cmp_ngt_f64_e64 s[2:3], |v[97:98]|, |v[99:100]|
                                        ; implicit-def: $vgpr101_vgpr102
	s_and_saveexec_b64 s[6:7], s[2:3]
	s_xor_b64 s[2:3], exec, s[6:7]
                                        ; implicit-def: $vgpr103_vgpr104
	s_cbranch_execz .LBB95_401
; %bb.400:
	v_div_scale_f64 v[101:102], s[6:7], v[99:100], v[99:100], v[97:98]
	v_rcp_f64_e32 v[103:104], v[101:102]
	v_fma_f64 v[105:106], -v[101:102], v[103:104], 1.0
	v_fma_f64 v[103:104], v[103:104], v[105:106], v[103:104]
	v_div_scale_f64 v[105:106], vcc, v[97:98], v[99:100], v[97:98]
	v_fma_f64 v[107:108], -v[101:102], v[103:104], 1.0
	v_fma_f64 v[103:104], v[103:104], v[107:108], v[103:104]
	v_mul_f64 v[107:108], v[105:106], v[103:104]
	v_fma_f64 v[101:102], -v[101:102], v[107:108], v[105:106]
	v_div_fmas_f64 v[101:102], v[101:102], v[103:104], v[107:108]
	v_div_fixup_f64 v[101:102], v[101:102], v[99:100], v[97:98]
	v_fma_f64 v[97:98], v[97:98], v[101:102], v[99:100]
	v_div_scale_f64 v[99:100], s[6:7], v[97:98], v[97:98], 1.0
	v_div_scale_f64 v[107:108], vcc, 1.0, v[97:98], 1.0
	v_rcp_f64_e32 v[103:104], v[99:100]
	v_fma_f64 v[105:106], -v[99:100], v[103:104], 1.0
	v_fma_f64 v[103:104], v[103:104], v[105:106], v[103:104]
	v_fma_f64 v[105:106], -v[99:100], v[103:104], 1.0
	v_fma_f64 v[103:104], v[103:104], v[105:106], v[103:104]
	v_mul_f64 v[105:106], v[107:108], v[103:104]
	v_fma_f64 v[99:100], -v[99:100], v[105:106], v[107:108]
	v_div_fmas_f64 v[99:100], v[99:100], v[103:104], v[105:106]
	v_div_fixup_f64 v[103:104], v[99:100], v[97:98], 1.0
                                        ; implicit-def: $vgpr97_vgpr98
	v_mul_f64 v[101:102], v[101:102], v[103:104]
	v_xor_b32_e32 v104, 0x80000000, v104
.LBB95_401:
	s_andn2_saveexec_b64 s[2:3], s[2:3]
	s_cbranch_execz .LBB95_403
; %bb.402:
	v_div_scale_f64 v[101:102], s[6:7], v[97:98], v[97:98], v[99:100]
	v_rcp_f64_e32 v[103:104], v[101:102]
	v_fma_f64 v[105:106], -v[101:102], v[103:104], 1.0
	v_fma_f64 v[103:104], v[103:104], v[105:106], v[103:104]
	v_div_scale_f64 v[105:106], vcc, v[99:100], v[97:98], v[99:100]
	v_fma_f64 v[107:108], -v[101:102], v[103:104], 1.0
	v_fma_f64 v[103:104], v[103:104], v[107:108], v[103:104]
	v_mul_f64 v[107:108], v[105:106], v[103:104]
	v_fma_f64 v[101:102], -v[101:102], v[107:108], v[105:106]
	v_div_fmas_f64 v[101:102], v[101:102], v[103:104], v[107:108]
	v_div_fixup_f64 v[103:104], v[101:102], v[97:98], v[99:100]
	v_fma_f64 v[97:98], v[99:100], v[103:104], v[97:98]
	v_div_scale_f64 v[99:100], s[6:7], v[97:98], v[97:98], 1.0
	v_div_scale_f64 v[107:108], vcc, 1.0, v[97:98], 1.0
	v_rcp_f64_e32 v[101:102], v[99:100]
	v_fma_f64 v[105:106], -v[99:100], v[101:102], 1.0
	v_fma_f64 v[101:102], v[101:102], v[105:106], v[101:102]
	v_fma_f64 v[105:106], -v[99:100], v[101:102], 1.0
	v_fma_f64 v[101:102], v[101:102], v[105:106], v[101:102]
	v_mul_f64 v[105:106], v[107:108], v[101:102]
	v_fma_f64 v[99:100], -v[99:100], v[105:106], v[107:108]
	v_div_fmas_f64 v[99:100], v[99:100], v[101:102], v[105:106]
	v_div_fixup_f64 v[101:102], v[99:100], v[97:98], 1.0
	v_mul_f64 v[103:104], v[103:104], -v[101:102]
.LBB95_403:
	s_or_b64 exec, exec, s[2:3]
	ds_write2_b64 v127, v[101:102], v[103:104] offset1:1
.LBB95_404:
	s_or_b64 exec, exec, s[4:5]
	s_waitcnt lgkmcnt(0)
	s_barrier
	ds_read2_b64 v[69:72], v127 offset1:1
	v_cmp_lt_u32_e32 vcc, 44, v0
	s_waitcnt lgkmcnt(0)
	buffer_store_dword v69, off, s[20:23], 0 offset:1480 ; 4-byte Folded Spill
	s_nop 0
	buffer_store_dword v70, off, s[20:23], 0 offset:1484 ; 4-byte Folded Spill
	buffer_store_dword v71, off, s[20:23], 0 offset:1488 ; 4-byte Folded Spill
	;; [unrolled: 1-line block ×3, first 2 shown]
	s_and_saveexec_b64 s[2:3], vcc
	s_cbranch_execz .LBB95_406
; %bb.405:
	buffer_load_dword v69, off, s[20:23], 0 offset:1480 ; 4-byte Folded Reload
	buffer_load_dword v70, off, s[20:23], 0 offset:1484 ; 4-byte Folded Reload
	;; [unrolled: 1-line block ×4, first 2 shown]
	s_waitcnt vmcnt(2)
	v_mul_f64 v[97:98], v[69:70], v[11:12]
	s_waitcnt vmcnt(0)
	v_mul_f64 v[11:12], v[71:72], v[11:12]
	v_fma_f64 v[101:102], v[71:72], v[9:10], v[97:98]
	ds_read2_b64 v[97:100], v125 offset0:90 offset1:91
	v_fma_f64 v[9:10], v[69:70], v[9:10], -v[11:12]
	s_waitcnt lgkmcnt(0)
	v_mul_f64 v[11:12], v[99:100], v[101:102]
	v_fma_f64 v[11:12], v[97:98], v[9:10], -v[11:12]
	v_mul_f64 v[97:98], v[97:98], v[101:102]
	v_add_f64 v[5:6], v[5:6], -v[11:12]
	v_fma_f64 v[97:98], v[99:100], v[9:10], v[97:98]
	v_add_f64 v[7:8], v[7:8], -v[97:98]
	ds_read2_b64 v[97:100], v125 offset0:92 offset1:93
	s_waitcnt lgkmcnt(0)
	v_mul_f64 v[11:12], v[99:100], v[101:102]
	v_fma_f64 v[11:12], v[97:98], v[9:10], -v[11:12]
	v_mul_f64 v[97:98], v[97:98], v[101:102]
	v_add_f64 v[1:2], v[1:2], -v[11:12]
	v_fma_f64 v[97:98], v[99:100], v[9:10], v[97:98]
	v_add_f64 v[3:4], v[3:4], -v[97:98]
	ds_read2_b64 v[97:100], v125 offset0:94 offset1:95
	s_waitcnt lgkmcnt(0)
	v_mul_f64 v[11:12], v[99:100], v[101:102]
	v_fma_f64 v[11:12], v[97:98], v[9:10], -v[11:12]
	v_mul_f64 v[97:98], v[97:98], v[101:102]
	v_add_f64 v[73:74], v[73:74], -v[11:12]
	v_fma_f64 v[97:98], v[99:100], v[9:10], v[97:98]
	v_mov_b32_e32 v11, v101
	v_mov_b32_e32 v12, v102
	v_add_f64 v[75:76], v[75:76], -v[97:98]
.LBB95_406:
	s_or_b64 exec, exec, s[2:3]
	v_cmp_eq_u32_e32 vcc, 45, v0
	s_waitcnt vmcnt(0)
	s_barrier
	s_and_saveexec_b64 s[4:5], vcc
	s_cbranch_execz .LBB95_413
; %bb.407:
	ds_write2_b64 v127, v[5:6], v[7:8] offset1:1
	ds_write2_b64 v125, v[1:2], v[3:4] offset0:92 offset1:93
	ds_write2_b64 v125, v[73:74], v[75:76] offset0:94 offset1:95
	ds_read2_b64 v[97:100], v127 offset1:1
	s_waitcnt lgkmcnt(0)
	v_cmp_neq_f64_e32 vcc, 0, v[97:98]
	v_cmp_neq_f64_e64 s[2:3], 0, v[99:100]
	s_or_b64 s[2:3], vcc, s[2:3]
	s_and_b64 exec, exec, s[2:3]
	s_cbranch_execz .LBB95_413
; %bb.408:
	v_cmp_ngt_f64_e64 s[2:3], |v[97:98]|, |v[99:100]|
                                        ; implicit-def: $vgpr101_vgpr102
	s_and_saveexec_b64 s[6:7], s[2:3]
	s_xor_b64 s[2:3], exec, s[6:7]
                                        ; implicit-def: $vgpr103_vgpr104
	s_cbranch_execz .LBB95_410
; %bb.409:
	v_div_scale_f64 v[101:102], s[6:7], v[99:100], v[99:100], v[97:98]
	v_rcp_f64_e32 v[103:104], v[101:102]
	v_fma_f64 v[105:106], -v[101:102], v[103:104], 1.0
	v_fma_f64 v[103:104], v[103:104], v[105:106], v[103:104]
	v_div_scale_f64 v[105:106], vcc, v[97:98], v[99:100], v[97:98]
	v_fma_f64 v[107:108], -v[101:102], v[103:104], 1.0
	v_fma_f64 v[103:104], v[103:104], v[107:108], v[103:104]
	v_mul_f64 v[107:108], v[105:106], v[103:104]
	v_fma_f64 v[101:102], -v[101:102], v[107:108], v[105:106]
	v_div_fmas_f64 v[101:102], v[101:102], v[103:104], v[107:108]
	v_div_fixup_f64 v[101:102], v[101:102], v[99:100], v[97:98]
	v_fma_f64 v[97:98], v[97:98], v[101:102], v[99:100]
	v_div_scale_f64 v[99:100], s[6:7], v[97:98], v[97:98], 1.0
	v_div_scale_f64 v[107:108], vcc, 1.0, v[97:98], 1.0
	v_rcp_f64_e32 v[103:104], v[99:100]
	v_fma_f64 v[105:106], -v[99:100], v[103:104], 1.0
	v_fma_f64 v[103:104], v[103:104], v[105:106], v[103:104]
	v_fma_f64 v[105:106], -v[99:100], v[103:104], 1.0
	v_fma_f64 v[103:104], v[103:104], v[105:106], v[103:104]
	v_mul_f64 v[105:106], v[107:108], v[103:104]
	v_fma_f64 v[99:100], -v[99:100], v[105:106], v[107:108]
	v_div_fmas_f64 v[99:100], v[99:100], v[103:104], v[105:106]
	v_div_fixup_f64 v[103:104], v[99:100], v[97:98], 1.0
                                        ; implicit-def: $vgpr97_vgpr98
	v_mul_f64 v[101:102], v[101:102], v[103:104]
	v_xor_b32_e32 v104, 0x80000000, v104
.LBB95_410:
	s_andn2_saveexec_b64 s[2:3], s[2:3]
	s_cbranch_execz .LBB95_412
; %bb.411:
	v_div_scale_f64 v[101:102], s[6:7], v[97:98], v[97:98], v[99:100]
	v_rcp_f64_e32 v[103:104], v[101:102]
	v_fma_f64 v[105:106], -v[101:102], v[103:104], 1.0
	v_fma_f64 v[103:104], v[103:104], v[105:106], v[103:104]
	v_div_scale_f64 v[105:106], vcc, v[99:100], v[97:98], v[99:100]
	v_fma_f64 v[107:108], -v[101:102], v[103:104], 1.0
	v_fma_f64 v[103:104], v[103:104], v[107:108], v[103:104]
	v_mul_f64 v[107:108], v[105:106], v[103:104]
	v_fma_f64 v[101:102], -v[101:102], v[107:108], v[105:106]
	v_div_fmas_f64 v[101:102], v[101:102], v[103:104], v[107:108]
	v_div_fixup_f64 v[103:104], v[101:102], v[97:98], v[99:100]
	v_fma_f64 v[97:98], v[99:100], v[103:104], v[97:98]
	v_div_scale_f64 v[99:100], s[6:7], v[97:98], v[97:98], 1.0
	v_div_scale_f64 v[107:108], vcc, 1.0, v[97:98], 1.0
	v_rcp_f64_e32 v[101:102], v[99:100]
	v_fma_f64 v[105:106], -v[99:100], v[101:102], 1.0
	v_fma_f64 v[101:102], v[101:102], v[105:106], v[101:102]
	v_fma_f64 v[105:106], -v[99:100], v[101:102], 1.0
	v_fma_f64 v[101:102], v[101:102], v[105:106], v[101:102]
	v_mul_f64 v[105:106], v[107:108], v[101:102]
	v_fma_f64 v[99:100], -v[99:100], v[105:106], v[107:108]
	v_div_fmas_f64 v[99:100], v[99:100], v[101:102], v[105:106]
	v_div_fixup_f64 v[101:102], v[99:100], v[97:98], 1.0
	v_mul_f64 v[103:104], v[103:104], -v[101:102]
.LBB95_412:
	s_or_b64 exec, exec, s[2:3]
	ds_write2_b64 v127, v[101:102], v[103:104] offset1:1
.LBB95_413:
	s_or_b64 exec, exec, s[4:5]
	s_waitcnt lgkmcnt(0)
	s_barrier
	ds_read2_b64 v[69:72], v127 offset1:1
	v_cmp_lt_u32_e32 vcc, 45, v0
	s_and_saveexec_b64 s[2:3], vcc
	s_cbranch_execz .LBB95_415
; %bb.414:
	s_waitcnt lgkmcnt(0)
	v_mul_f64 v[97:98], v[69:70], v[7:8]
	v_mul_f64 v[7:8], v[71:72], v[7:8]
	v_fma_f64 v[105:106], v[71:72], v[5:6], v[97:98]
	ds_read2_b64 v[97:100], v125 offset0:92 offset1:93
	v_fma_f64 v[5:6], v[69:70], v[5:6], -v[7:8]
	s_waitcnt lgkmcnt(0)
	v_mul_f64 v[7:8], v[99:100], v[105:106]
	v_fma_f64 v[7:8], v[97:98], v[5:6], -v[7:8]
	v_mul_f64 v[97:98], v[97:98], v[105:106]
	v_add_f64 v[1:2], v[1:2], -v[7:8]
	v_fma_f64 v[97:98], v[99:100], v[5:6], v[97:98]
	v_add_f64 v[3:4], v[3:4], -v[97:98]
	ds_read2_b64 v[97:100], v125 offset0:94 offset1:95
	s_waitcnt lgkmcnt(0)
	v_mul_f64 v[7:8], v[99:100], v[105:106]
	v_fma_f64 v[7:8], v[97:98], v[5:6], -v[7:8]
	v_mul_f64 v[97:98], v[97:98], v[105:106]
	v_add_f64 v[73:74], v[73:74], -v[7:8]
	v_fma_f64 v[97:98], v[99:100], v[5:6], v[97:98]
	v_mov_b32_e32 v7, v105
	v_mov_b32_e32 v8, v106
	v_add_f64 v[75:76], v[75:76], -v[97:98]
.LBB95_415:
	s_or_b64 exec, exec, s[2:3]
	v_cmp_eq_u32_e32 vcc, 46, v0
	s_waitcnt lgkmcnt(0)
	s_barrier
	s_and_saveexec_b64 s[4:5], vcc
	s_cbranch_execz .LBB95_422
; %bb.416:
	ds_write2_b64 v127, v[1:2], v[3:4] offset1:1
	ds_write2_b64 v125, v[73:74], v[75:76] offset0:94 offset1:95
	ds_read2_b64 v[97:100], v127 offset1:1
	s_waitcnt lgkmcnt(0)
	v_cmp_neq_f64_e32 vcc, 0, v[97:98]
	v_cmp_neq_f64_e64 s[2:3], 0, v[99:100]
	s_or_b64 s[2:3], vcc, s[2:3]
	s_and_b64 exec, exec, s[2:3]
	s_cbranch_execz .LBB95_422
; %bb.417:
	v_cmp_ngt_f64_e64 s[2:3], |v[97:98]|, |v[99:100]|
                                        ; implicit-def: $vgpr105_vgpr106
	s_and_saveexec_b64 s[6:7], s[2:3]
	s_xor_b64 s[2:3], exec, s[6:7]
                                        ; implicit-def: $vgpr107_vgpr108
	s_cbranch_execz .LBB95_419
; %bb.418:
	v_div_scale_f64 v[105:106], s[6:7], v[99:100], v[99:100], v[97:98]
	v_mov_b32_e32 v77, v93
	v_mov_b32_e32 v78, v94
	;; [unrolled: 1-line block ×4, first 2 shown]
	v_div_scale_f64 v[95:96], vcc, v[97:98], v[99:100], v[97:98]
	v_rcp_f64_e32 v[107:108], v[105:106]
	v_fma_f64 v[93:94], -v[105:106], v[107:108], 1.0
	v_fma_f64 v[93:94], v[107:108], v[93:94], v[107:108]
	v_fma_f64 v[107:108], -v[105:106], v[93:94], 1.0
	v_fma_f64 v[93:94], v[93:94], v[107:108], v[93:94]
	v_mul_f64 v[107:108], v[95:96], v[93:94]
	v_fma_f64 v[95:96], -v[105:106], v[107:108], v[95:96]
	v_div_fmas_f64 v[93:94], v[95:96], v[93:94], v[107:108]
	v_div_fixup_f64 v[93:94], v[93:94], v[99:100], v[97:98]
	v_fma_f64 v[95:96], v[97:98], v[93:94], v[99:100]
	v_div_scale_f64 v[97:98], s[6:7], v[95:96], v[95:96], 1.0
	v_div_scale_f64 v[107:108], vcc, 1.0, v[95:96], 1.0
	v_rcp_f64_e32 v[99:100], v[97:98]
	v_fma_f64 v[105:106], -v[97:98], v[99:100], 1.0
	v_fma_f64 v[99:100], v[99:100], v[105:106], v[99:100]
	v_fma_f64 v[105:106], -v[97:98], v[99:100], 1.0
	v_fma_f64 v[99:100], v[99:100], v[105:106], v[99:100]
	v_mul_f64 v[105:106], v[107:108], v[99:100]
	v_fma_f64 v[97:98], -v[97:98], v[105:106], v[107:108]
	v_div_fmas_f64 v[97:98], v[97:98], v[99:100], v[105:106]
	v_div_fixup_f64 v[107:108], v[97:98], v[95:96], 1.0
                                        ; implicit-def: $vgpr97_vgpr98
	v_mul_f64 v[105:106], v[93:94], v[107:108]
	v_mov_b32_e32 v96, v80
	v_mov_b32_e32 v95, v79
	;; [unrolled: 1-line block ×4, first 2 shown]
	v_xor_b32_e32 v108, 0x80000000, v108
.LBB95_419:
	s_andn2_saveexec_b64 s[2:3], s[2:3]
	s_cbranch_execz .LBB95_421
; %bb.420:
	v_mov_b32_e32 v77, v117
	v_mov_b32_e32 v78, v118
	;; [unrolled: 1-line block ×8, first 2 shown]
	v_div_scale_f64 v[93:94], s[6:7], v[97:98], v[97:98], v[99:100]
	v_rcp_f64_e32 v[95:96], v[93:94]
	v_fma_f64 v[105:106], -v[93:94], v[95:96], 1.0
	v_fma_f64 v[95:96], v[95:96], v[105:106], v[95:96]
	v_div_scale_f64 v[105:106], vcc, v[99:100], v[97:98], v[99:100]
	v_fma_f64 v[107:108], -v[93:94], v[95:96], 1.0
	v_fma_f64 v[95:96], v[95:96], v[107:108], v[95:96]
	v_mul_f64 v[107:108], v[105:106], v[95:96]
	v_fma_f64 v[93:94], -v[93:94], v[107:108], v[105:106]
	v_div_fmas_f64 v[93:94], v[93:94], v[95:96], v[107:108]
	v_div_fixup_f64 v[93:94], v[93:94], v[97:98], v[99:100]
	v_fma_f64 v[95:96], v[99:100], v[93:94], v[97:98]
	v_div_scale_f64 v[97:98], s[6:7], v[95:96], v[95:96], 1.0
	v_div_scale_f64 v[107:108], vcc, 1.0, v[95:96], 1.0
	v_rcp_f64_e32 v[99:100], v[97:98]
	v_fma_f64 v[105:106], -v[97:98], v[99:100], 1.0
	v_fma_f64 v[99:100], v[99:100], v[105:106], v[99:100]
	v_fma_f64 v[105:106], -v[97:98], v[99:100], 1.0
	v_fma_f64 v[99:100], v[99:100], v[105:106], v[99:100]
	v_mul_f64 v[105:106], v[107:108], v[99:100]
	v_fma_f64 v[97:98], -v[97:98], v[105:106], v[107:108]
	v_div_fmas_f64 v[97:98], v[97:98], v[99:100], v[105:106]
	v_div_fixup_f64 v[105:106], v[97:98], v[95:96], 1.0
	v_mul_f64 v[107:108], v[93:94], -v[105:106]
	v_mov_b32_e32 v93, v117
	v_mov_b32_e32 v94, v118
	;; [unrolled: 1-line block ×8, first 2 shown]
.LBB95_421:
	s_or_b64 exec, exec, s[2:3]
	ds_write2_b64 v127, v[105:106], v[107:108] offset1:1
.LBB95_422:
	s_or_b64 exec, exec, s[4:5]
	s_waitcnt lgkmcnt(0)
	s_barrier
	ds_read2_b64 v[97:100], v127 offset1:1
	v_cmp_lt_u32_e32 vcc, 46, v0
	s_and_saveexec_b64 s[2:3], vcc
	s_cbranch_execz .LBB95_424
; %bb.423:
	v_mov_b32_e32 v77, v117
	v_mov_b32_e32 v78, v118
	;; [unrolled: 1-line block ×8, first 2 shown]
	s_waitcnt lgkmcnt(0)
	v_mul_f64 v[93:94], v[97:98], v[3:4]
	v_mul_f64 v[3:4], v[99:100], v[3:4]
	ds_read2_b64 v[105:108], v125 offset0:94 offset1:95
	v_fma_f64 v[93:94], v[99:100], v[1:2], v[93:94]
	v_fma_f64 v[1:2], v[97:98], v[1:2], -v[3:4]
	s_waitcnt lgkmcnt(0)
	v_mul_f64 v[3:4], v[107:108], v[93:94]
	v_mul_f64 v[95:96], v[105:106], v[93:94]
	v_fma_f64 v[3:4], v[105:106], v[1:2], -v[3:4]
	v_fma_f64 v[95:96], v[107:108], v[1:2], v[95:96]
	v_add_f64 v[73:74], v[73:74], -v[3:4]
	v_add_f64 v[75:76], v[75:76], -v[95:96]
	v_mov_b32_e32 v3, v93
	v_mov_b32_e32 v4, v94
	v_mov_b32_e32 v93, v117
	v_mov_b32_e32 v94, v118
	v_mov_b32_e32 v95, v119
	v_mov_b32_e32 v96, v120
	v_mov_b32_e32 v120, v80
	v_mov_b32_e32 v119, v79
	v_mov_b32_e32 v118, v78
	v_mov_b32_e32 v117, v77
.LBB95_424:
	s_or_b64 exec, exec, s[2:3]
	s_waitcnt lgkmcnt(0)
	s_barrier
	v_cmp_eq_u32_e32 vcc, 47, v0
	s_mov_b64 s[4:5], exec
	s_and_b64 s[2:3], s[4:5], vcc
	buffer_store_dword v73, off, s[20:23], 0 offset:400 ; 4-byte Folded Spill
	s_nop 0
	buffer_store_dword v74, off, s[20:23], 0 offset:404 ; 4-byte Folded Spill
	buffer_store_dword v75, off, s[20:23], 0 offset:408 ; 4-byte Folded Spill
	;; [unrolled: 1-line block ×3, first 2 shown]
	s_mov_b64 exec, s[2:3]
	s_cbranch_execz .LBB95_431
; %bb.425:
	v_cmp_neq_f64_e32 vcc, 0, v[73:74]
	v_cmp_neq_f64_e64 s[2:3], 0, v[75:76]
	ds_write2_b64 v127, v[73:74], v[75:76] offset1:1
	s_or_b64 s[2:3], vcc, s[2:3]
	s_and_b64 exec, exec, s[2:3]
	s_cbranch_execz .LBB95_431
; %bb.426:
	v_cmp_ngt_f64_e64 s[2:3], |v[73:74]|, |v[75:76]|
                                        ; implicit-def: $vgpr105_vgpr106
	s_and_saveexec_b64 s[6:7], s[2:3]
	s_xor_b64 s[2:3], exec, s[6:7]
                                        ; implicit-def: $vgpr107_vgpr108
	s_cbranch_execz .LBB95_428
; %bb.427:
	v_mov_b32_e32 v77, v93
	v_mov_b32_e32 v78, v94
	;; [unrolled: 1-line block ×4, first 2 shown]
	v_div_scale_f64 v[93:94], s[6:7], v[75:76], v[75:76], v[73:74]
	v_mov_b32_e32 v101, v117
	v_mov_b32_e32 v102, v118
	;; [unrolled: 1-line block ×10, first 2 shown]
	v_rcp_f64_e32 v[95:96], v[93:94]
	v_fma_f64 v[105:106], -v[93:94], v[95:96], 1.0
	v_fma_f64 v[95:96], v[95:96], v[105:106], v[95:96]
	v_div_scale_f64 v[105:106], vcc, v[73:74], v[75:76], v[73:74]
	v_fma_f64 v[107:108], -v[93:94], v[95:96], 1.0
	v_fma_f64 v[95:96], v[95:96], v[107:108], v[95:96]
	v_mul_f64 v[107:108], v[105:106], v[95:96]
	v_fma_f64 v[93:94], -v[93:94], v[107:108], v[105:106]
	v_div_fmas_f64 v[93:94], v[93:94], v[95:96], v[107:108]
	v_div_fixup_f64 v[93:94], v[93:94], v[75:76], v[73:74]
	v_fma_f64 v[95:96], v[73:74], v[93:94], v[75:76]
	v_mov_b32_e32 v73, v121
	v_mov_b32_e32 v74, v122
	;; [unrolled: 1-line block ×25, first 2 shown]
	v_div_scale_f64 v[105:106], s[6:7], v[95:96], v[95:96], 1.0
	v_mov_b32_e32 v14, v18
	v_mov_b32_e32 v15, v19
	;; [unrolled: 1-line block ×60, first 2 shown]
	v_rcp_f64_e32 v[107:108], v[105:106]
	v_mov_b32_e32 v47, v43
	v_mov_b32_e32 v46, v42
	;; [unrolled: 1-line block ×59, first 2 shown]
	buffer_load_dword v73, off, s[20:23], 0 offset:400 ; 4-byte Folded Reload
	buffer_load_dword v74, off, s[20:23], 0 offset:404 ; 4-byte Folded Reload
	;; [unrolled: 1-line block ×4, first 2 shown]
	v_fma_f64 v[125:126], -v[105:106], v[107:108], 1.0
	v_div_scale_f64 v[89:90], vcc, 1.0, v[95:96], 1.0
	v_fma_f64 v[107:108], v[107:108], v[125:126], v[107:108]
	v_fma_f64 v[125:126], -v[105:106], v[107:108], 1.0
	v_fma_f64 v[91:92], v[107:108], v[125:126], v[107:108]
	v_mul_f64 v[107:108], v[89:90], v[91:92]
	v_fma_f64 v[89:90], -v[105:106], v[107:108], v[89:90]
	v_div_fmas_f64 v[89:90], v[89:90], v[91:92], v[107:108]
	v_mov_b32_e32 v91, v117
	v_mov_b32_e32 v92, v118
	;; [unrolled: 1-line block ×6, first 2 shown]
	v_div_fixup_f64 v[107:108], v[89:90], v[95:96], 1.0
	v_mul_f64 v[105:106], v[93:94], v[107:108]
	v_mov_b32_e32 v96, v80
	v_mov_b32_e32 v95, v79
	;; [unrolled: 1-line block ×4, first 2 shown]
	v_xor_b32_e32 v108, 0x80000000, v108
.LBB95_428:
	s_andn2_saveexec_b64 s[2:3], s[2:3]
	s_cbranch_execz .LBB95_430
; %bb.429:
	s_waitcnt vmcnt(0)
	v_div_scale_f64 v[89:90], s[6:7], v[73:74], v[73:74], v[75:76]
	v_mov_b32_e32 v126, v92
	v_mov_b32_e32 v125, v91
	;; [unrolled: 1-line block ×6, first 2 shown]
	v_rcp_f64_e32 v[91:92], v[89:90]
	v_fma_f64 v[93:94], -v[89:90], v[91:92], 1.0
	v_fma_f64 v[91:92], v[91:92], v[93:94], v[91:92]
	v_div_scale_f64 v[93:94], vcc, v[75:76], v[73:74], v[75:76]
	v_fma_f64 v[95:96], -v[89:90], v[91:92], 1.0
	v_fma_f64 v[91:92], v[91:92], v[95:96], v[91:92]
	v_mul_f64 v[95:96], v[93:94], v[91:92]
	v_fma_f64 v[89:90], -v[89:90], v[95:96], v[93:94]
	v_div_fmas_f64 v[89:90], v[89:90], v[91:92], v[95:96]
	v_div_fixup_f64 v[89:90], v[89:90], v[73:74], v[75:76]
	v_fma_f64 v[91:92], v[75:76], v[89:90], v[73:74]
	v_div_scale_f64 v[93:94], s[6:7], v[91:92], v[91:92], 1.0
	v_div_scale_f64 v[107:108], vcc, 1.0, v[91:92], 1.0
	v_rcp_f64_e32 v[95:96], v[93:94]
	v_fma_f64 v[105:106], -v[93:94], v[95:96], 1.0
	v_fma_f64 v[95:96], v[95:96], v[105:106], v[95:96]
	v_fma_f64 v[105:106], -v[93:94], v[95:96], 1.0
	v_fma_f64 v[95:96], v[95:96], v[105:106], v[95:96]
	v_mul_f64 v[105:106], v[107:108], v[95:96]
	v_fma_f64 v[93:94], -v[93:94], v[105:106], v[107:108]
	v_div_fmas_f64 v[93:94], v[93:94], v[95:96], v[105:106]
	v_div_fixup_f64 v[105:106], v[93:94], v[91:92], 1.0
	v_mov_b32_e32 v96, v80
	v_mov_b32_e32 v91, v125
	;; [unrolled: 1-line block ×6, first 2 shown]
	v_mul_f64 v[107:108], v[89:90], -v[105:106]
.LBB95_430:
	s_or_b64 exec, exec, s[2:3]
	ds_write2_b64 v127, v[105:106], v[107:108] offset1:1
.LBB95_431:
	s_or_b64 exec, exec, s[4:5]
	s_waitcnt vmcnt(0) lgkmcnt(0)
	s_barrier
	ds_read2_b64 v[105:108], v127 offset1:1
	s_waitcnt lgkmcnt(0)
	s_barrier
	s_and_saveexec_b64 s[2:3], s[0:1]
	s_cbranch_execz .LBB95_434
; %bb.432:
	buffer_load_dword v73, off, s[20:23], 0 offset:776 ; 4-byte Folded Reload
	buffer_load_dword v74, off, s[20:23], 0 offset:780 ; 4-byte Folded Reload
	;; [unrolled: 1-line block ×4, first 2 shown]
	s_waitcnt vmcnt(2)
	v_cmp_eq_f64_e32 vcc, 0, v[73:74]
	s_waitcnt vmcnt(0)
	v_cmp_eq_f64_e64 s[0:1], 0, v[75:76]
	buffer_load_dword v73, off, s[20:23], 0 offset:792 ; 4-byte Folded Reload
	buffer_load_dword v74, off, s[20:23], 0 offset:796 ; 4-byte Folded Reload
	;; [unrolled: 1-line block ×4, first 2 shown]
	s_and_b64 s[4:5], vcc, s[0:1]
	v_cndmask_b32_e64 v89, 0, 1, s[4:5]
	s_waitcnt vmcnt(2)
	v_cmp_neq_f64_e32 vcc, 0, v[73:74]
	s_waitcnt vmcnt(0)
	v_cmp_neq_f64_e64 s[0:1], 0, v[75:76]
	buffer_load_dword v73, off, s[20:23], 0 offset:808 ; 4-byte Folded Reload
	buffer_load_dword v74, off, s[20:23], 0 offset:812 ; 4-byte Folded Reload
	;; [unrolled: 1-line block ×4, first 2 shown]
	s_or_b64 s[0:1], vcc, s[0:1]
	s_or_b64 vcc, s[0:1], s[4:5]
	v_cndmask_b32_e32 v89, 2, v89, vcc
	s_waitcnt vmcnt(2)
	v_cmp_eq_f64_e32 vcc, 0, v[73:74]
	s_waitcnt vmcnt(0)
	v_cmp_eq_f64_e64 s[0:1], 0, v[75:76]
	buffer_load_dword v73, off, s[20:23], 0 offset:824 ; 4-byte Folded Reload
	buffer_load_dword v74, off, s[20:23], 0 offset:828 ; 4-byte Folded Reload
	buffer_load_dword v75, off, s[20:23], 0 offset:832 ; 4-byte Folded Reload
	buffer_load_dword v76, off, s[20:23], 0 offset:836 ; 4-byte Folded Reload
	s_and_b64 s[0:1], vcc, s[0:1]
	v_cmp_eq_u32_e32 vcc, 0, v89
	s_and_b64 s[0:1], s[0:1], vcc
	v_cndmask_b32_e64 v89, v89, 3, s[0:1]
	s_waitcnt vmcnt(2)
	v_cmp_eq_f64_e32 vcc, 0, v[73:74]
	s_waitcnt vmcnt(0)
	v_cmp_eq_f64_e64 s[0:1], 0, v[75:76]
	buffer_load_dword v73, off, s[20:23], 0 offset:840 ; 4-byte Folded Reload
	buffer_load_dword v74, off, s[20:23], 0 offset:844 ; 4-byte Folded Reload
	buffer_load_dword v75, off, s[20:23], 0 offset:848 ; 4-byte Folded Reload
	buffer_load_dword v76, off, s[20:23], 0 offset:852 ; 4-byte Folded Reload
	s_and_b64 s[0:1], vcc, s[0:1]
	v_cmp_eq_u32_e32 vcc, 0, v89
	s_and_b64 s[0:1], s[0:1], vcc
	v_cndmask_b32_e64 v89, v89, 4, s[0:1]
	s_waitcnt vmcnt(2)
	v_cmp_eq_f64_e32 vcc, 0, v[73:74]
	s_waitcnt vmcnt(0)
	v_cmp_eq_f64_e64 s[0:1], 0, v[75:76]
	buffer_load_dword v73, off, s[20:23], 0 offset:856 ; 4-byte Folded Reload
	buffer_load_dword v74, off, s[20:23], 0 offset:860 ; 4-byte Folded Reload
	buffer_load_dword v75, off, s[20:23], 0 offset:864 ; 4-byte Folded Reload
	buffer_load_dword v76, off, s[20:23], 0 offset:868 ; 4-byte Folded Reload
	s_and_b64 s[0:1], vcc, s[0:1]
	v_cmp_eq_u32_e32 vcc, 0, v89
	s_and_b64 s[0:1], s[0:1], vcc
	v_cndmask_b32_e64 v89, v89, 5, s[0:1]
	s_waitcnt vmcnt(2)
	v_cmp_eq_f64_e32 vcc, 0, v[73:74]
	s_waitcnt vmcnt(0)
	v_cmp_eq_f64_e64 s[0:1], 0, v[75:76]
	buffer_load_dword v73, off, s[20:23], 0 offset:872 ; 4-byte Folded Reload
	buffer_load_dword v74, off, s[20:23], 0 offset:876 ; 4-byte Folded Reload
	buffer_load_dword v75, off, s[20:23], 0 offset:880 ; 4-byte Folded Reload
	buffer_load_dword v76, off, s[20:23], 0 offset:884 ; 4-byte Folded Reload
	s_and_b64 s[0:1], vcc, s[0:1]
	v_cmp_eq_u32_e32 vcc, 0, v89
	s_and_b64 s[0:1], s[0:1], vcc
	v_cndmask_b32_e64 v89, v89, 6, s[0:1]
	s_waitcnt vmcnt(2)
	v_cmp_eq_f64_e32 vcc, 0, v[73:74]
	s_waitcnt vmcnt(0)
	v_cmp_eq_f64_e64 s[0:1], 0, v[75:76]
	buffer_load_dword v73, off, s[20:23], 0 offset:888 ; 4-byte Folded Reload
	buffer_load_dword v74, off, s[20:23], 0 offset:892 ; 4-byte Folded Reload
	buffer_load_dword v75, off, s[20:23], 0 offset:896 ; 4-byte Folded Reload
	buffer_load_dword v76, off, s[20:23], 0 offset:900 ; 4-byte Folded Reload
	s_and_b64 s[0:1], vcc, s[0:1]
	v_cmp_eq_u32_e32 vcc, 0, v89
	s_and_b64 s[0:1], s[0:1], vcc
	v_cndmask_b32_e64 v89, v89, 7, s[0:1]
	s_waitcnt vmcnt(2)
	v_cmp_eq_f64_e32 vcc, 0, v[73:74]
	s_waitcnt vmcnt(0)
	v_cmp_eq_f64_e64 s[0:1], 0, v[75:76]
	buffer_load_dword v73, off, s[20:23], 0 offset:904 ; 4-byte Folded Reload
	buffer_load_dword v74, off, s[20:23], 0 offset:908 ; 4-byte Folded Reload
	buffer_load_dword v75, off, s[20:23], 0 offset:912 ; 4-byte Folded Reload
	buffer_load_dword v76, off, s[20:23], 0 offset:916 ; 4-byte Folded Reload
	s_and_b64 s[0:1], vcc, s[0:1]
	v_cmp_eq_u32_e32 vcc, 0, v89
	s_and_b64 s[0:1], s[0:1], vcc
	v_cndmask_b32_e64 v89, v89, 8, s[0:1]
	s_waitcnt vmcnt(2)
	v_cmp_eq_f64_e32 vcc, 0, v[73:74]
	s_waitcnt vmcnt(0)
	v_cmp_eq_f64_e64 s[0:1], 0, v[75:76]
	buffer_load_dword v73, off, s[20:23], 0 offset:920 ; 4-byte Folded Reload
	buffer_load_dword v74, off, s[20:23], 0 offset:924 ; 4-byte Folded Reload
	buffer_load_dword v75, off, s[20:23], 0 offset:928 ; 4-byte Folded Reload
	buffer_load_dword v76, off, s[20:23], 0 offset:932 ; 4-byte Folded Reload
	s_and_b64 s[0:1], vcc, s[0:1]
	v_cmp_eq_u32_e32 vcc, 0, v89
	s_and_b64 s[0:1], s[0:1], vcc
	v_cndmask_b32_e64 v89, v89, 9, s[0:1]
	s_waitcnt vmcnt(2)
	v_cmp_eq_f64_e32 vcc, 0, v[73:74]
	s_waitcnt vmcnt(0)
	v_cmp_eq_f64_e64 s[0:1], 0, v[75:76]
	buffer_load_dword v73, off, s[20:23], 0 offset:936 ; 4-byte Folded Reload
	buffer_load_dword v74, off, s[20:23], 0 offset:940 ; 4-byte Folded Reload
	buffer_load_dword v75, off, s[20:23], 0 offset:944 ; 4-byte Folded Reload
	buffer_load_dword v76, off, s[20:23], 0 offset:948 ; 4-byte Folded Reload
	s_and_b64 s[0:1], vcc, s[0:1]
	v_cmp_eq_u32_e32 vcc, 0, v89
	s_and_b64 s[0:1], s[0:1], vcc
	v_cndmask_b32_e64 v89, v89, 10, s[0:1]
	s_waitcnt vmcnt(2)
	v_cmp_eq_f64_e32 vcc, 0, v[73:74]
	s_waitcnt vmcnt(0)
	v_cmp_eq_f64_e64 s[0:1], 0, v[75:76]
	buffer_load_dword v73, off, s[20:23], 0 offset:952 ; 4-byte Folded Reload
	buffer_load_dword v74, off, s[20:23], 0 offset:956 ; 4-byte Folded Reload
	buffer_load_dword v75, off, s[20:23], 0 offset:960 ; 4-byte Folded Reload
	buffer_load_dword v76, off, s[20:23], 0 offset:964 ; 4-byte Folded Reload
	s_and_b64 s[0:1], vcc, s[0:1]
	v_cmp_eq_u32_e32 vcc, 0, v89
	s_and_b64 s[0:1], s[0:1], vcc
	v_cndmask_b32_e64 v89, v89, 11, s[0:1]
	s_waitcnt vmcnt(2)
	v_cmp_eq_f64_e32 vcc, 0, v[73:74]
	s_waitcnt vmcnt(0)
	v_cmp_eq_f64_e64 s[0:1], 0, v[75:76]
	buffer_load_dword v73, off, s[20:23], 0 offset:968 ; 4-byte Folded Reload
	buffer_load_dword v74, off, s[20:23], 0 offset:972 ; 4-byte Folded Reload
	buffer_load_dword v75, off, s[20:23], 0 offset:976 ; 4-byte Folded Reload
	buffer_load_dword v76, off, s[20:23], 0 offset:980 ; 4-byte Folded Reload
	s_and_b64 s[0:1], vcc, s[0:1]
	v_cmp_eq_u32_e32 vcc, 0, v89
	s_and_b64 s[0:1], s[0:1], vcc
	v_cndmask_b32_e64 v89, v89, 12, s[0:1]
	s_waitcnt vmcnt(2)
	v_cmp_eq_f64_e32 vcc, 0, v[73:74]
	s_waitcnt vmcnt(0)
	v_cmp_eq_f64_e64 s[0:1], 0, v[75:76]
	buffer_load_dword v73, off, s[20:23], 0 offset:984 ; 4-byte Folded Reload
	buffer_load_dword v74, off, s[20:23], 0 offset:988 ; 4-byte Folded Reload
	buffer_load_dword v75, off, s[20:23], 0 offset:992 ; 4-byte Folded Reload
	buffer_load_dword v76, off, s[20:23], 0 offset:996 ; 4-byte Folded Reload
	s_and_b64 s[0:1], vcc, s[0:1]
	v_cmp_eq_u32_e32 vcc, 0, v89
	s_and_b64 s[0:1], s[0:1], vcc
	v_cndmask_b32_e64 v89, v89, 13, s[0:1]
	s_waitcnt vmcnt(2)
	v_cmp_eq_f64_e32 vcc, 0, v[73:74]
	s_waitcnt vmcnt(0)
	v_cmp_eq_f64_e64 s[0:1], 0, v[75:76]
	buffer_load_dword v73, off, s[20:23], 0 offset:1000 ; 4-byte Folded Reload
	buffer_load_dword v74, off, s[20:23], 0 offset:1004 ; 4-byte Folded Reload
	buffer_load_dword v75, off, s[20:23], 0 offset:1008 ; 4-byte Folded Reload
	buffer_load_dword v76, off, s[20:23], 0 offset:1012 ; 4-byte Folded Reload
	s_and_b64 s[0:1], vcc, s[0:1]
	v_cmp_eq_u32_e32 vcc, 0, v89
	s_and_b64 s[0:1], s[0:1], vcc
	v_cndmask_b32_e64 v89, v89, 14, s[0:1]
	s_waitcnt vmcnt(2)
	v_cmp_eq_f64_e32 vcc, 0, v[73:74]
	s_waitcnt vmcnt(0)
	v_cmp_eq_f64_e64 s[0:1], 0, v[75:76]
	buffer_load_dword v73, off, s[20:23], 0 offset:1016 ; 4-byte Folded Reload
	buffer_load_dword v74, off, s[20:23], 0 offset:1020 ; 4-byte Folded Reload
	buffer_load_dword v75, off, s[20:23], 0 offset:1024 ; 4-byte Folded Reload
	buffer_load_dword v76, off, s[20:23], 0 offset:1028 ; 4-byte Folded Reload
	s_and_b64 s[0:1], vcc, s[0:1]
	v_cmp_eq_u32_e32 vcc, 0, v89
	s_and_b64 s[0:1], s[0:1], vcc
	v_cndmask_b32_e64 v89, v89, 15, s[0:1]
	s_waitcnt vmcnt(2)
	v_cmp_eq_f64_e32 vcc, 0, v[73:74]
	s_waitcnt vmcnt(0)
	v_cmp_eq_f64_e64 s[0:1], 0, v[75:76]
	buffer_load_dword v73, off, s[20:23], 0 offset:1032 ; 4-byte Folded Reload
	buffer_load_dword v74, off, s[20:23], 0 offset:1036 ; 4-byte Folded Reload
	buffer_load_dword v75, off, s[20:23], 0 offset:1040 ; 4-byte Folded Reload
	buffer_load_dword v76, off, s[20:23], 0 offset:1044 ; 4-byte Folded Reload
	s_and_b64 s[0:1], vcc, s[0:1]
	v_cmp_eq_u32_e32 vcc, 0, v89
	s_and_b64 s[0:1], s[0:1], vcc
	v_cndmask_b32_e64 v89, v89, 16, s[0:1]
	s_waitcnt vmcnt(2)
	v_cmp_eq_f64_e32 vcc, 0, v[73:74]
	s_waitcnt vmcnt(0)
	v_cmp_eq_f64_e64 s[0:1], 0, v[75:76]
	buffer_load_dword v73, off, s[20:23], 0 offset:1048 ; 4-byte Folded Reload
	buffer_load_dword v74, off, s[20:23], 0 offset:1052 ; 4-byte Folded Reload
	buffer_load_dword v75, off, s[20:23], 0 offset:1056 ; 4-byte Folded Reload
	buffer_load_dword v76, off, s[20:23], 0 offset:1060 ; 4-byte Folded Reload
	s_and_b64 s[0:1], vcc, s[0:1]
	v_cmp_eq_u32_e32 vcc, 0, v89
	s_and_b64 s[0:1], s[0:1], vcc
	v_cndmask_b32_e64 v89, v89, 17, s[0:1]
	s_waitcnt vmcnt(2)
	v_cmp_eq_f64_e32 vcc, 0, v[73:74]
	s_waitcnt vmcnt(0)
	v_cmp_eq_f64_e64 s[0:1], 0, v[75:76]
	buffer_load_dword v73, off, s[20:23], 0 offset:1064 ; 4-byte Folded Reload
	buffer_load_dword v74, off, s[20:23], 0 offset:1068 ; 4-byte Folded Reload
	buffer_load_dword v75, off, s[20:23], 0 offset:1072 ; 4-byte Folded Reload
	buffer_load_dword v76, off, s[20:23], 0 offset:1076 ; 4-byte Folded Reload
	s_and_b64 s[0:1], vcc, s[0:1]
	v_cmp_eq_u32_e32 vcc, 0, v89
	s_and_b64 s[0:1], s[0:1], vcc
	v_cndmask_b32_e64 v89, v89, 18, s[0:1]
	s_waitcnt vmcnt(2)
	v_cmp_eq_f64_e32 vcc, 0, v[73:74]
	s_waitcnt vmcnt(0)
	v_cmp_eq_f64_e64 s[0:1], 0, v[75:76]
	buffer_load_dword v73, off, s[20:23], 0 offset:1080 ; 4-byte Folded Reload
	buffer_load_dword v74, off, s[20:23], 0 offset:1084 ; 4-byte Folded Reload
	buffer_load_dword v75, off, s[20:23], 0 offset:1088 ; 4-byte Folded Reload
	buffer_load_dword v76, off, s[20:23], 0 offset:1092 ; 4-byte Folded Reload
	s_and_b64 s[0:1], vcc, s[0:1]
	v_cmp_eq_u32_e32 vcc, 0, v89
	s_and_b64 s[0:1], s[0:1], vcc
	v_cndmask_b32_e64 v89, v89, 19, s[0:1]
	s_waitcnt vmcnt(2)
	v_cmp_eq_f64_e32 vcc, 0, v[73:74]
	s_waitcnt vmcnt(0)
	v_cmp_eq_f64_e64 s[0:1], 0, v[75:76]
	buffer_load_dword v73, off, s[20:23], 0 offset:1096 ; 4-byte Folded Reload
	buffer_load_dword v74, off, s[20:23], 0 offset:1100 ; 4-byte Folded Reload
	buffer_load_dword v75, off, s[20:23], 0 offset:1104 ; 4-byte Folded Reload
	buffer_load_dword v76, off, s[20:23], 0 offset:1108 ; 4-byte Folded Reload
	s_and_b64 s[0:1], vcc, s[0:1]
	v_cmp_eq_u32_e32 vcc, 0, v89
	s_and_b64 s[0:1], s[0:1], vcc
	v_cndmask_b32_e64 v89, v89, 20, s[0:1]
	s_waitcnt vmcnt(2)
	v_cmp_eq_f64_e32 vcc, 0, v[73:74]
	s_waitcnt vmcnt(0)
	v_cmp_eq_f64_e64 s[0:1], 0, v[75:76]
	buffer_load_dword v73, off, s[20:23], 0 offset:1112 ; 4-byte Folded Reload
	buffer_load_dword v74, off, s[20:23], 0 offset:1116 ; 4-byte Folded Reload
	buffer_load_dword v75, off, s[20:23], 0 offset:1120 ; 4-byte Folded Reload
	buffer_load_dword v76, off, s[20:23], 0 offset:1124 ; 4-byte Folded Reload
	s_and_b64 s[0:1], vcc, s[0:1]
	v_cmp_eq_u32_e32 vcc, 0, v89
	s_and_b64 s[0:1], s[0:1], vcc
	v_cndmask_b32_e64 v89, v89, 21, s[0:1]
	s_waitcnt vmcnt(2)
	v_cmp_eq_f64_e32 vcc, 0, v[73:74]
	s_waitcnt vmcnt(0)
	v_cmp_eq_f64_e64 s[0:1], 0, v[75:76]
	buffer_load_dword v73, off, s[20:23], 0 offset:1128 ; 4-byte Folded Reload
	buffer_load_dword v74, off, s[20:23], 0 offset:1132 ; 4-byte Folded Reload
	buffer_load_dword v75, off, s[20:23], 0 offset:1136 ; 4-byte Folded Reload
	buffer_load_dword v76, off, s[20:23], 0 offset:1140 ; 4-byte Folded Reload
	s_and_b64 s[0:1], vcc, s[0:1]
	v_cmp_eq_u32_e32 vcc, 0, v89
	s_and_b64 s[0:1], s[0:1], vcc
	v_cndmask_b32_e64 v89, v89, 22, s[0:1]
	s_waitcnt vmcnt(2)
	v_cmp_eq_f64_e32 vcc, 0, v[73:74]
	s_waitcnt vmcnt(0)
	v_cmp_eq_f64_e64 s[0:1], 0, v[75:76]
	buffer_load_dword v73, off, s[20:23], 0 offset:1144 ; 4-byte Folded Reload
	buffer_load_dword v74, off, s[20:23], 0 offset:1148 ; 4-byte Folded Reload
	buffer_load_dword v75, off, s[20:23], 0 offset:1152 ; 4-byte Folded Reload
	buffer_load_dword v76, off, s[20:23], 0 offset:1156 ; 4-byte Folded Reload
	s_and_b64 s[0:1], vcc, s[0:1]
	v_cmp_eq_u32_e32 vcc, 0, v89
	s_and_b64 s[0:1], s[0:1], vcc
	v_cndmask_b32_e64 v89, v89, 23, s[0:1]
	s_waitcnt vmcnt(2)
	v_cmp_eq_f64_e32 vcc, 0, v[73:74]
	s_waitcnt vmcnt(0)
	v_cmp_eq_f64_e64 s[0:1], 0, v[75:76]
	buffer_load_dword v73, off, s[20:23], 0 offset:1160 ; 4-byte Folded Reload
	buffer_load_dword v74, off, s[20:23], 0 offset:1164 ; 4-byte Folded Reload
	buffer_load_dword v75, off, s[20:23], 0 offset:1168 ; 4-byte Folded Reload
	buffer_load_dword v76, off, s[20:23], 0 offset:1172 ; 4-byte Folded Reload
	s_and_b64 s[0:1], vcc, s[0:1]
	v_cmp_eq_u32_e32 vcc, 0, v89
	s_and_b64 s[0:1], s[0:1], vcc
	v_cndmask_b32_e64 v89, v89, 24, s[0:1]
	s_waitcnt vmcnt(2)
	v_cmp_eq_f64_e32 vcc, 0, v[73:74]
	s_waitcnt vmcnt(0)
	v_cmp_eq_f64_e64 s[0:1], 0, v[75:76]
	buffer_load_dword v73, off, s[20:23], 0 offset:1176 ; 4-byte Folded Reload
	buffer_load_dword v74, off, s[20:23], 0 offset:1180 ; 4-byte Folded Reload
	buffer_load_dword v75, off, s[20:23], 0 offset:1184 ; 4-byte Folded Reload
	buffer_load_dword v76, off, s[20:23], 0 offset:1188 ; 4-byte Folded Reload
	s_and_b64 s[0:1], vcc, s[0:1]
	v_cmp_eq_u32_e32 vcc, 0, v89
	s_and_b64 s[0:1], s[0:1], vcc
	v_cndmask_b32_e64 v89, v89, 25, s[0:1]
	s_waitcnt vmcnt(2)
	v_cmp_eq_f64_e32 vcc, 0, v[73:74]
	s_waitcnt vmcnt(0)
	v_cmp_eq_f64_e64 s[0:1], 0, v[75:76]
	buffer_load_dword v73, off, s[20:23], 0 offset:1192 ; 4-byte Folded Reload
	buffer_load_dword v74, off, s[20:23], 0 offset:1196 ; 4-byte Folded Reload
	buffer_load_dword v75, off, s[20:23], 0 offset:1200 ; 4-byte Folded Reload
	buffer_load_dword v76, off, s[20:23], 0 offset:1204 ; 4-byte Folded Reload
	s_and_b64 s[0:1], vcc, s[0:1]
	v_cmp_eq_u32_e32 vcc, 0, v89
	s_and_b64 s[0:1], s[0:1], vcc
	v_cndmask_b32_e64 v89, v89, 26, s[0:1]
	s_waitcnt vmcnt(2)
	v_cmp_eq_f64_e32 vcc, 0, v[73:74]
	s_waitcnt vmcnt(0)
	v_cmp_eq_f64_e64 s[0:1], 0, v[75:76]
	buffer_load_dword v73, off, s[20:23], 0 offset:1208 ; 4-byte Folded Reload
	buffer_load_dword v74, off, s[20:23], 0 offset:1212 ; 4-byte Folded Reload
	buffer_load_dword v75, off, s[20:23], 0 offset:1216 ; 4-byte Folded Reload
	buffer_load_dword v76, off, s[20:23], 0 offset:1220 ; 4-byte Folded Reload
	s_and_b64 s[0:1], vcc, s[0:1]
	v_cmp_eq_u32_e32 vcc, 0, v89
	s_and_b64 s[0:1], s[0:1], vcc
	v_cndmask_b32_e64 v89, v89, 27, s[0:1]
	s_waitcnt vmcnt(2)
	v_cmp_eq_f64_e32 vcc, 0, v[73:74]
	s_waitcnt vmcnt(0)
	v_cmp_eq_f64_e64 s[0:1], 0, v[75:76]
	buffer_load_dword v73, off, s[20:23], 0 offset:1224 ; 4-byte Folded Reload
	buffer_load_dword v74, off, s[20:23], 0 offset:1228 ; 4-byte Folded Reload
	buffer_load_dword v75, off, s[20:23], 0 offset:1232 ; 4-byte Folded Reload
	buffer_load_dword v76, off, s[20:23], 0 offset:1236 ; 4-byte Folded Reload
	s_and_b64 s[0:1], vcc, s[0:1]
	v_cmp_eq_u32_e32 vcc, 0, v89
	s_and_b64 s[0:1], s[0:1], vcc
	v_cndmask_b32_e64 v89, v89, 28, s[0:1]
	s_waitcnt vmcnt(2)
	v_cmp_eq_f64_e32 vcc, 0, v[73:74]
	s_waitcnt vmcnt(0)
	v_cmp_eq_f64_e64 s[0:1], 0, v[75:76]
	buffer_load_dword v73, off, s[20:23], 0 offset:1240 ; 4-byte Folded Reload
	buffer_load_dword v74, off, s[20:23], 0 offset:1244 ; 4-byte Folded Reload
	buffer_load_dword v75, off, s[20:23], 0 offset:1248 ; 4-byte Folded Reload
	buffer_load_dword v76, off, s[20:23], 0 offset:1252 ; 4-byte Folded Reload
	s_and_b64 s[0:1], vcc, s[0:1]
	v_cmp_eq_u32_e32 vcc, 0, v89
	s_and_b64 s[0:1], s[0:1], vcc
	v_cndmask_b32_e64 v89, v89, 29, s[0:1]
	s_waitcnt vmcnt(2)
	v_cmp_eq_f64_e32 vcc, 0, v[73:74]
	s_waitcnt vmcnt(0)
	v_cmp_eq_f64_e64 s[0:1], 0, v[75:76]
	buffer_load_dword v73, off, s[20:23], 0 offset:1256 ; 4-byte Folded Reload
	buffer_load_dword v74, off, s[20:23], 0 offset:1260 ; 4-byte Folded Reload
	buffer_load_dword v75, off, s[20:23], 0 offset:1264 ; 4-byte Folded Reload
	buffer_load_dword v76, off, s[20:23], 0 offset:1268 ; 4-byte Folded Reload
	s_and_b64 s[0:1], vcc, s[0:1]
	v_cmp_eq_u32_e32 vcc, 0, v89
	s_and_b64 s[0:1], s[0:1], vcc
	v_cndmask_b32_e64 v89, v89, 30, s[0:1]
	s_waitcnt vmcnt(2)
	v_cmp_eq_f64_e32 vcc, 0, v[73:74]
	s_waitcnt vmcnt(0)
	v_cmp_eq_f64_e64 s[0:1], 0, v[75:76]
	buffer_load_dword v73, off, s[20:23], 0 offset:1272 ; 4-byte Folded Reload
	buffer_load_dword v74, off, s[20:23], 0 offset:1276 ; 4-byte Folded Reload
	buffer_load_dword v75, off, s[20:23], 0 offset:1280 ; 4-byte Folded Reload
	buffer_load_dword v76, off, s[20:23], 0 offset:1284 ; 4-byte Folded Reload
	s_and_b64 s[0:1], vcc, s[0:1]
	v_cmp_eq_u32_e32 vcc, 0, v89
	s_and_b64 s[0:1], s[0:1], vcc
	v_cndmask_b32_e64 v89, v89, 31, s[0:1]
	s_waitcnt vmcnt(2)
	v_cmp_eq_f64_e32 vcc, 0, v[73:74]
	s_waitcnt vmcnt(0)
	v_cmp_eq_f64_e64 s[0:1], 0, v[75:76]
	buffer_load_dword v73, off, s[20:23], 0 offset:1288 ; 4-byte Folded Reload
	buffer_load_dword v74, off, s[20:23], 0 offset:1292 ; 4-byte Folded Reload
	buffer_load_dword v75, off, s[20:23], 0 offset:1296 ; 4-byte Folded Reload
	buffer_load_dword v76, off, s[20:23], 0 offset:1300 ; 4-byte Folded Reload
	s_and_b64 s[0:1], vcc, s[0:1]
	v_cmp_eq_u32_e32 vcc, 0, v89
	s_and_b64 s[0:1], s[0:1], vcc
	v_cndmask_b32_e64 v89, v89, 32, s[0:1]
	s_waitcnt vmcnt(2)
	v_cmp_eq_f64_e32 vcc, 0, v[73:74]
	s_waitcnt vmcnt(0)
	v_cmp_eq_f64_e64 s[0:1], 0, v[75:76]
	buffer_load_dword v73, off, s[20:23], 0 offset:1304 ; 4-byte Folded Reload
	buffer_load_dword v74, off, s[20:23], 0 offset:1308 ; 4-byte Folded Reload
	buffer_load_dword v75, off, s[20:23], 0 offset:1312 ; 4-byte Folded Reload
	buffer_load_dword v76, off, s[20:23], 0 offset:1316 ; 4-byte Folded Reload
	s_and_b64 s[0:1], vcc, s[0:1]
	v_cmp_eq_u32_e32 vcc, 0, v89
	s_and_b64 s[0:1], s[0:1], vcc
	v_cndmask_b32_e64 v89, v89, 33, s[0:1]
	s_waitcnt vmcnt(2)
	v_cmp_eq_f64_e32 vcc, 0, v[73:74]
	s_waitcnt vmcnt(0)
	v_cmp_eq_f64_e64 s[0:1], 0, v[75:76]
	buffer_load_dword v73, off, s[20:23], 0 offset:1320 ; 4-byte Folded Reload
	buffer_load_dword v74, off, s[20:23], 0 offset:1324 ; 4-byte Folded Reload
	buffer_load_dword v75, off, s[20:23], 0 offset:1328 ; 4-byte Folded Reload
	buffer_load_dword v76, off, s[20:23], 0 offset:1332 ; 4-byte Folded Reload
	s_and_b64 s[0:1], vcc, s[0:1]
	v_cmp_eq_u32_e32 vcc, 0, v89
	s_and_b64 s[0:1], s[0:1], vcc
	v_cndmask_b32_e64 v89, v89, 34, s[0:1]
	s_waitcnt vmcnt(2)
	v_cmp_eq_f64_e32 vcc, 0, v[73:74]
	s_waitcnt vmcnt(0)
	v_cmp_eq_f64_e64 s[0:1], 0, v[75:76]
	buffer_load_dword v73, off, s[20:23], 0 offset:1336 ; 4-byte Folded Reload
	buffer_load_dword v74, off, s[20:23], 0 offset:1340 ; 4-byte Folded Reload
	buffer_load_dword v75, off, s[20:23], 0 offset:1344 ; 4-byte Folded Reload
	buffer_load_dword v76, off, s[20:23], 0 offset:1348 ; 4-byte Folded Reload
	s_and_b64 s[0:1], vcc, s[0:1]
	v_cmp_eq_u32_e32 vcc, 0, v89
	s_and_b64 s[0:1], s[0:1], vcc
	v_cndmask_b32_e64 v89, v89, 35, s[0:1]
	s_waitcnt vmcnt(2)
	v_cmp_eq_f64_e32 vcc, 0, v[73:74]
	s_waitcnt vmcnt(0)
	v_cmp_eq_f64_e64 s[0:1], 0, v[75:76]
	buffer_load_dword v73, off, s[20:23], 0 offset:1352 ; 4-byte Folded Reload
	buffer_load_dword v74, off, s[20:23], 0 offset:1356 ; 4-byte Folded Reload
	buffer_load_dword v75, off, s[20:23], 0 offset:1360 ; 4-byte Folded Reload
	buffer_load_dword v76, off, s[20:23], 0 offset:1364 ; 4-byte Folded Reload
	s_and_b64 s[0:1], vcc, s[0:1]
	v_cmp_eq_u32_e32 vcc, 0, v89
	s_and_b64 s[0:1], s[0:1], vcc
	v_cndmask_b32_e64 v89, v89, 36, s[0:1]
	s_waitcnt vmcnt(2)
	v_cmp_eq_f64_e32 vcc, 0, v[73:74]
	s_waitcnt vmcnt(0)
	v_cmp_eq_f64_e64 s[0:1], 0, v[75:76]
	buffer_load_dword v73, off, s[20:23], 0 offset:1368 ; 4-byte Folded Reload
	buffer_load_dword v74, off, s[20:23], 0 offset:1372 ; 4-byte Folded Reload
	buffer_load_dword v75, off, s[20:23], 0 offset:1376 ; 4-byte Folded Reload
	buffer_load_dword v76, off, s[20:23], 0 offset:1380 ; 4-byte Folded Reload
	s_and_b64 s[0:1], vcc, s[0:1]
	v_cmp_eq_u32_e32 vcc, 0, v89
	s_and_b64 s[0:1], s[0:1], vcc
	v_cndmask_b32_e64 v89, v89, 37, s[0:1]
	s_waitcnt vmcnt(2)
	v_cmp_eq_f64_e32 vcc, 0, v[73:74]
	s_waitcnt vmcnt(0)
	v_cmp_eq_f64_e64 s[0:1], 0, v[75:76]
	buffer_load_dword v73, off, s[20:23], 0 offset:1384 ; 4-byte Folded Reload
	buffer_load_dword v74, off, s[20:23], 0 offset:1388 ; 4-byte Folded Reload
	buffer_load_dword v75, off, s[20:23], 0 offset:1392 ; 4-byte Folded Reload
	buffer_load_dword v76, off, s[20:23], 0 offset:1396 ; 4-byte Folded Reload
	s_and_b64 s[0:1], vcc, s[0:1]
	v_cmp_eq_u32_e32 vcc, 0, v89
	s_and_b64 s[0:1], s[0:1], vcc
	v_cndmask_b32_e64 v89, v89, 38, s[0:1]
	s_waitcnt vmcnt(2)
	v_cmp_eq_f64_e32 vcc, 0, v[73:74]
	s_waitcnt vmcnt(0)
	v_cmp_eq_f64_e64 s[0:1], 0, v[75:76]
	buffer_load_dword v73, off, s[20:23], 0 offset:1400 ; 4-byte Folded Reload
	buffer_load_dword v74, off, s[20:23], 0 offset:1404 ; 4-byte Folded Reload
	buffer_load_dword v75, off, s[20:23], 0 offset:1408 ; 4-byte Folded Reload
	buffer_load_dword v76, off, s[20:23], 0 offset:1412 ; 4-byte Folded Reload
	s_and_b64 s[0:1], vcc, s[0:1]
	v_cmp_eq_u32_e32 vcc, 0, v89
	s_and_b64 s[0:1], s[0:1], vcc
	v_cndmask_b32_e64 v89, v89, 39, s[0:1]
	s_waitcnt vmcnt(2)
	v_cmp_eq_f64_e32 vcc, 0, v[73:74]
	s_waitcnt vmcnt(0)
	v_cmp_eq_f64_e64 s[0:1], 0, v[75:76]
	buffer_load_dword v73, off, s[20:23], 0 offset:1416 ; 4-byte Folded Reload
	buffer_load_dword v74, off, s[20:23], 0 offset:1420 ; 4-byte Folded Reload
	buffer_load_dword v75, off, s[20:23], 0 offset:1424 ; 4-byte Folded Reload
	buffer_load_dword v76, off, s[20:23], 0 offset:1428 ; 4-byte Folded Reload
	s_and_b64 s[0:1], vcc, s[0:1]
	v_cmp_eq_u32_e32 vcc, 0, v89
	s_and_b64 s[0:1], s[0:1], vcc
	v_cndmask_b32_e64 v89, v89, 40, s[0:1]
	s_waitcnt vmcnt(2)
	v_cmp_eq_f64_e32 vcc, 0, v[73:74]
	s_waitcnt vmcnt(0)
	v_cmp_eq_f64_e64 s[0:1], 0, v[75:76]
	buffer_load_dword v73, off, s[20:23], 0 offset:1432 ; 4-byte Folded Reload
	buffer_load_dword v74, off, s[20:23], 0 offset:1436 ; 4-byte Folded Reload
	buffer_load_dword v75, off, s[20:23], 0 offset:1440 ; 4-byte Folded Reload
	buffer_load_dword v76, off, s[20:23], 0 offset:1444 ; 4-byte Folded Reload
	s_and_b64 s[0:1], vcc, s[0:1]
	v_cmp_eq_u32_e32 vcc, 0, v89
	s_and_b64 s[0:1], s[0:1], vcc
	v_cndmask_b32_e64 v89, v89, 41, s[0:1]
	s_waitcnt vmcnt(2)
	v_cmp_eq_f64_e32 vcc, 0, v[73:74]
	s_waitcnt vmcnt(0)
	v_cmp_eq_f64_e64 s[0:1], 0, v[75:76]
	buffer_load_dword v73, off, s[20:23], 0 offset:1448 ; 4-byte Folded Reload
	buffer_load_dword v74, off, s[20:23], 0 offset:1452 ; 4-byte Folded Reload
	buffer_load_dword v75, off, s[20:23], 0 offset:1456 ; 4-byte Folded Reload
	buffer_load_dword v76, off, s[20:23], 0 offset:1460 ; 4-byte Folded Reload
	s_and_b64 s[0:1], vcc, s[0:1]
	v_cmp_eq_u32_e32 vcc, 0, v89
	s_and_b64 s[0:1], s[0:1], vcc
	v_cndmask_b32_e64 v89, v89, 42, s[0:1]
	s_waitcnt vmcnt(2)
	v_cmp_eq_f64_e32 vcc, 0, v[73:74]
	s_waitcnt vmcnt(0)
	v_cmp_eq_f64_e64 s[0:1], 0, v[75:76]
	buffer_load_dword v73, off, s[20:23], 0 offset:1464 ; 4-byte Folded Reload
	buffer_load_dword v74, off, s[20:23], 0 offset:1468 ; 4-byte Folded Reload
	buffer_load_dword v75, off, s[20:23], 0 offset:1472 ; 4-byte Folded Reload
	buffer_load_dword v76, off, s[20:23], 0 offset:1476 ; 4-byte Folded Reload
	s_and_b64 s[0:1], vcc, s[0:1]
	v_cmp_eq_u32_e32 vcc, 0, v89
	s_and_b64 s[0:1], s[0:1], vcc
	v_cndmask_b32_e64 v89, v89, 43, s[0:1]
	s_waitcnt vmcnt(2)
	v_cmp_eq_f64_e32 vcc, 0, v[73:74]
	s_waitcnt vmcnt(0)
	v_cmp_eq_f64_e64 s[0:1], 0, v[75:76]
	buffer_load_dword v73, off, s[20:23], 0 offset:1480 ; 4-byte Folded Reload
	buffer_load_dword v74, off, s[20:23], 0 offset:1484 ; 4-byte Folded Reload
	buffer_load_dword v75, off, s[20:23], 0 offset:1488 ; 4-byte Folded Reload
	buffer_load_dword v76, off, s[20:23], 0 offset:1492 ; 4-byte Folded Reload
	s_and_b64 s[0:1], vcc, s[0:1]
	v_cmp_eq_u32_e32 vcc, 0, v89
	s_and_b64 s[0:1], s[0:1], vcc
	v_cndmask_b32_e64 v89, v89, 44, s[0:1]
	s_waitcnt vmcnt(2)
	v_cmp_eq_f64_e32 vcc, 0, v[73:74]
	s_waitcnt vmcnt(0)
	v_cmp_eq_f64_e64 s[0:1], 0, v[75:76]
	s_and_b64 s[0:1], vcc, s[0:1]
	v_cmp_eq_u32_e32 vcc, 0, v89
	s_and_b64 s[0:1], s[0:1], vcc
	v_cndmask_b32_e64 v89, v89, 45, s[0:1]
	v_cmp_eq_f64_e32 vcc, 0, v[69:70]
	v_cmp_eq_f64_e64 s[0:1], 0, v[71:72]
	s_and_b64 s[0:1], vcc, s[0:1]
	v_cmp_eq_u32_e32 vcc, 0, v89
	s_and_b64 s[0:1], s[0:1], vcc
	v_cndmask_b32_e64 v89, v89, 46, s[0:1]
	v_cmp_eq_f64_e32 vcc, 0, v[97:98]
	;; [unrolled: 6-line block ×3, first 2 shown]
	v_cmp_eq_f64_e64 s[0:1], 0, v[107:108]
	s_and_b64 s[0:1], vcc, s[0:1]
	v_cmp_eq_u32_e32 vcc, 0, v89
	s_and_b64 s[0:1], s[0:1], vcc
	v_cndmask_b32_e64 v99, v89, 48, s[0:1]
	v_lshlrev_b64 v[89:90], 2, v[87:88]
	v_cmp_ne_u32_e64 s[0:1], 0, v99
	v_add_co_u32_e32 v97, vcc, s10, v89
	v_mov_b32_e32 v89, s11
	v_addc_co_u32_e32 v98, vcc, v89, v90, vcc
	global_load_dword v89, v[97:98], off
	s_waitcnt vmcnt(0)
	v_cmp_eq_u32_e32 vcc, 0, v89
	s_and_b64 s[0:1], vcc, s[0:1]
	s_and_b64 exec, exec, s[0:1]
	s_cbranch_execz .LBB95_434
; %bb.433:
	v_add_u32_e32 v89, s13, v99
	global_store_dword v[97:98], v89, off
.LBB95_434:
	s_or_b64 exec, exec, s[2:3]
	buffer_load_dword v69, off, s[20:23], 0 offset:760 ; 4-byte Folded Reload
	buffer_load_dword v70, off, s[20:23], 0 offset:764 ; 4-byte Folded Reload
	;; [unrolled: 1-line block ×6, first 2 shown]
	v_cmp_lt_u32_e32 vcc, 47, v0
	s_waitcnt vmcnt(0)
	global_store_dwordx4 v[69:70], v[71:74], off
	buffer_load_dword v69, off, s[20:23], 0 offset:768 ; 4-byte Folded Reload
	s_nop 0
	buffer_load_dword v70, off, s[20:23], 0 offset:772 ; 4-byte Folded Reload
	buffer_load_dword v71, off, s[20:23], 0 offset:368 ; 4-byte Folded Reload
	;; [unrolled: 1-line block ×5, first 2 shown]
	s_waitcnt vmcnt(0)
	global_store_dwordx4 v[69:70], v[71:74], off
	buffer_load_dword v69, off, s[20:23], 0 offset:352 ; 4-byte Folded Reload
	s_nop 0
	buffer_load_dword v70, off, s[20:23], 0 offset:356 ; 4-byte Folded Reload
	buffer_load_dword v71, off, s[20:23], 0 offset:360 ; 4-byte Folded Reload
	;; [unrolled: 1-line block ×3, first 2 shown]
	s_waitcnt vmcnt(0)
	global_store_dwordx4 v[91:92], v[69:72], off
	buffer_load_dword v77, off, s[20:23], 0 offset:752 ; 4-byte Folded Reload
	buffer_load_dword v78, off, s[20:23], 0 offset:756 ; 4-byte Folded Reload
	s_nop 0
	buffer_load_dword v69, off, s[20:23], 0 offset:336 ; 4-byte Folded Reload
	buffer_load_dword v70, off, s[20:23], 0 offset:340 ; 4-byte Folded Reload
	;; [unrolled: 1-line block ×4, first 2 shown]
	s_waitcnt vmcnt(0)
	global_store_dwordx4 v[77:78], v[69:72], off
	buffer_load_dword v77, off, s[20:23], 0 offset:744 ; 4-byte Folded Reload
	s_nop 0
	buffer_load_dword v78, off, s[20:23], 0 offset:748 ; 4-byte Folded Reload
	buffer_load_dword v69, off, s[20:23], 0 offset:320 ; 4-byte Folded Reload
	;; [unrolled: 1-line block ×5, first 2 shown]
	s_waitcnt vmcnt(0)
	global_store_dwordx4 v[77:78], v[69:72], off
	buffer_load_dword v87, off, s[20:23], 0 offset:416 ; 4-byte Folded Reload
	buffer_load_dword v88, off, s[20:23], 0 offset:420 ; 4-byte Folded Reload
	s_nop 0
	buffer_load_dword v69, off, s[20:23], 0 offset:304 ; 4-byte Folded Reload
	buffer_load_dword v70, off, s[20:23], 0 offset:308 ; 4-byte Folded Reload
	;; [unrolled: 1-line block ×4, first 2 shown]
	s_waitcnt vmcnt(0)
	global_store_dwordx4 v[87:88], v[69:72], off
	buffer_load_dword v69, off, s[20:23], 0 offset:288 ; 4-byte Folded Reload
	s_nop 0
	buffer_load_dword v70, off, s[20:23], 0 offset:292 ; 4-byte Folded Reload
	buffer_load_dword v71, off, s[20:23], 0 offset:296 ; 4-byte Folded Reload
	;; [unrolled: 1-line block ×3, first 2 shown]
	s_waitcnt vmcnt(0)
	global_store_dwordx4 v[85:86], v[69:72], off
	buffer_load_dword v85, off, s[20:23], 0 offset:424 ; 4-byte Folded Reload
	s_nop 0
	buffer_load_dword v86, off, s[20:23], 0 offset:428 ; 4-byte Folded Reload
	buffer_load_dword v69, off, s[20:23], 0 offset:272 ; 4-byte Folded Reload
	;; [unrolled: 1-line block ×5, first 2 shown]
	s_waitcnt vmcnt(0)
	global_store_dwordx4 v[85:86], v[69:72], off
	buffer_load_dword v69, off, s[20:23], 0 offset:400 ; 4-byte Folded Reload
	s_nop 0
	buffer_load_dword v70, off, s[20:23], 0 offset:404 ; 4-byte Folded Reload
	buffer_load_dword v71, off, s[20:23], 0 offset:408 ; 4-byte Folded Reload
	;; [unrolled: 1-line block ×3, first 2 shown]
	s_waitcnt vmcnt(0)
	v_mul_f64 v[89:90], v[105:106], v[71:72]
	v_mul_f64 v[91:92], v[107:108], v[71:72]
	v_fma_f64 v[89:90], v[107:108], v[69:70], v[89:90]
	v_fma_f64 v[91:92], v[105:106], v[69:70], -v[91:92]
	v_cndmask_b32_e32 v100, v72, v90, vcc
	v_cndmask_b32_e32 v99, v71, v89, vcc
	;; [unrolled: 1-line block ×4, first 2 shown]
	buffer_load_dword v85, off, s[20:23], 0 offset:432 ; 4-byte Folded Reload
	buffer_load_dword v86, off, s[20:23], 0 offset:436 ; 4-byte Folded Reload
	;; [unrolled: 1-line block ×6, first 2 shown]
	s_waitcnt vmcnt(0)
	global_store_dwordx4 v[85:86], v[69:72], off
	buffer_load_dword v85, off, s[20:23], 0 offset:440 ; 4-byte Folded Reload
	s_nop 0
	buffer_load_dword v86, off, s[20:23], 0 offset:444 ; 4-byte Folded Reload
	buffer_load_dword v69, off, s[20:23], 0 offset:240 ; 4-byte Folded Reload
	buffer_load_dword v70, off, s[20:23], 0 offset:244 ; 4-byte Folded Reload
	buffer_load_dword v71, off, s[20:23], 0 offset:248 ; 4-byte Folded Reload
	buffer_load_dword v72, off, s[20:23], 0 offset:252 ; 4-byte Folded Reload
	s_waitcnt vmcnt(0)
	global_store_dwordx4 v[85:86], v[69:72], off
	buffer_load_dword v85, off, s[20:23], 0 offset:448 ; 4-byte Folded Reload
	s_nop 0
	buffer_load_dword v86, off, s[20:23], 0 offset:452 ; 4-byte Folded Reload
	buffer_load_dword v69, off, s[20:23], 0 offset:224 ; 4-byte Folded Reload
	buffer_load_dword v70, off, s[20:23], 0 offset:228 ; 4-byte Folded Reload
	buffer_load_dword v71, off, s[20:23], 0 offset:232 ; 4-byte Folded Reload
	buffer_load_dword v72, off, s[20:23], 0 offset:236 ; 4-byte Folded Reload
	;; [unrolled: 9-line block ×13, first 2 shown]
	s_waitcnt vmcnt(0)
	global_store_dwordx4 v[85:86], v[69:72], off
	buffer_load_dword v85, off, s[20:23], 0 offset:544 ; 4-byte Folded Reload
	s_nop 0
	buffer_load_dword v86, off, s[20:23], 0 offset:548 ; 4-byte Folded Reload
	s_waitcnt vmcnt(0)
	global_store_dwordx4 v[85:86], v[121:124], off
	buffer_load_dword v83, off, s[20:23], 0 offset:552 ; 4-byte Folded Reload
	buffer_load_dword v84, off, s[20:23], 0 offset:556 ; 4-byte Folded Reload
	s_waitcnt vmcnt(0)
	global_store_dwordx4 v[83:84], v[117:120], off
	global_store_dwordx4 v[81:82], v[109:112], off
	buffer_load_dword v81, off, s[20:23], 0 offset:560 ; 4-byte Folded Reload
	s_nop 0
	buffer_load_dword v82, off, s[20:23], 0 offset:564 ; 4-byte Folded Reload
	s_waitcnt vmcnt(0)
	global_store_dwordx4 v[81:82], v[113:116], off
	buffer_load_dword v81, off, s[20:23], 0 offset:568 ; 4-byte Folded Reload
	s_nop 0
	buffer_load_dword v82, off, s[20:23], 0 offset:572 ; 4-byte Folded Reload
	s_waitcnt vmcnt(0)
	global_store_dwordx4 v[81:82], v[93:96], off
	buffer_load_dword v81, off, s[20:23], 0 offset:576 ; 4-byte Folded Reload
	s_nop 0
	buffer_load_dword v82, off, s[20:23], 0 offset:580 ; 4-byte Folded Reload
	buffer_load_dword v77, off, s[20:23], 0 offset:32 ; 4-byte Folded Reload
	;; [unrolled: 1-line block ×5, first 2 shown]
	s_waitcnt vmcnt(0)
	global_store_dwordx4 v[81:82], v[77:80], off
	buffer_load_dword v77, off, s[20:23], 0 offset:584 ; 4-byte Folded Reload
	s_nop 0
	buffer_load_dword v78, off, s[20:23], 0 offset:588 ; 4-byte Folded Reload
	buffer_load_dword v73, off, s[20:23], 0 offset:16 ; 4-byte Folded Reload
	;; [unrolled: 1-line block ×5, first 2 shown]
	s_waitcnt vmcnt(0)
	global_store_dwordx4 v[77:78], v[73:76], off
	buffer_load_dword v73, off, s[20:23], 0 offset:592 ; 4-byte Folded Reload
	s_nop 0
	buffer_load_dword v74, off, s[20:23], 0 offset:596 ; 4-byte Folded Reload
	buffer_load_dword v69, off, s[20:23], 0 ; 4-byte Folded Reload
	buffer_load_dword v70, off, s[20:23], 0 offset:4 ; 4-byte Folded Reload
	buffer_load_dword v71, off, s[20:23], 0 offset:8 ; 4-byte Folded Reload
	;; [unrolled: 1-line block ×3, first 2 shown]
	s_waitcnt vmcnt(0)
	global_store_dwordx4 v[73:74], v[69:72], off
	buffer_load_dword v69, off, s[20:23], 0 offset:600 ; 4-byte Folded Reload
	s_nop 0
	buffer_load_dword v70, off, s[20:23], 0 offset:604 ; 4-byte Folded Reload
	s_waitcnt vmcnt(0)
	global_store_dwordx4 v[69:70], v[65:68], off
	buffer_load_dword v65, off, s[20:23], 0 offset:608 ; 4-byte Folded Reload
	s_nop 0
	buffer_load_dword v66, off, s[20:23], 0 offset:612 ; 4-byte Folded Reload
	;; [unrolled: 5-line block ×18, first 2 shown]
	s_waitcnt vmcnt(0)
	global_store_dwordx4 v[0:1], v[97:100], off
.LBB95_435:
	s_endpgm
	.section	.rodata,"a",@progbits
	.p2align	6, 0x0
	.amdhsa_kernel _ZN9rocsolver6v33100L23getf2_npvt_small_kernelILi48E19rocblas_complex_numIdEiiPS3_EEvT1_T3_lS5_lPT2_S5_S5_
		.amdhsa_group_segment_fixed_size 0
		.amdhsa_private_segment_fixed_size 1500
		.amdhsa_kernarg_size 312
		.amdhsa_user_sgpr_count 6
		.amdhsa_user_sgpr_private_segment_buffer 1
		.amdhsa_user_sgpr_dispatch_ptr 0
		.amdhsa_user_sgpr_queue_ptr 0
		.amdhsa_user_sgpr_kernarg_segment_ptr 1
		.amdhsa_user_sgpr_dispatch_id 0
		.amdhsa_user_sgpr_flat_scratch_init 0
		.amdhsa_user_sgpr_private_segment_size 0
		.amdhsa_uses_dynamic_stack 0
		.amdhsa_system_sgpr_private_segment_wavefront_offset 1
		.amdhsa_system_sgpr_workgroup_id_x 1
		.amdhsa_system_sgpr_workgroup_id_y 1
		.amdhsa_system_sgpr_workgroup_id_z 0
		.amdhsa_system_sgpr_workgroup_info 0
		.amdhsa_system_vgpr_workitem_id 1
		.amdhsa_next_free_vgpr 128
		.amdhsa_next_free_sgpr 24
		.amdhsa_reserve_vcc 1
		.amdhsa_reserve_flat_scratch 0
		.amdhsa_float_round_mode_32 0
		.amdhsa_float_round_mode_16_64 0
		.amdhsa_float_denorm_mode_32 3
		.amdhsa_float_denorm_mode_16_64 3
		.amdhsa_dx10_clamp 1
		.amdhsa_ieee_mode 1
		.amdhsa_fp16_overflow 0
		.amdhsa_exception_fp_ieee_invalid_op 0
		.amdhsa_exception_fp_denorm_src 0
		.amdhsa_exception_fp_ieee_div_zero 0
		.amdhsa_exception_fp_ieee_overflow 0
		.amdhsa_exception_fp_ieee_underflow 0
		.amdhsa_exception_fp_ieee_inexact 0
		.amdhsa_exception_int_div_zero 0
	.end_amdhsa_kernel
	.section	.text._ZN9rocsolver6v33100L23getf2_npvt_small_kernelILi48E19rocblas_complex_numIdEiiPS3_EEvT1_T3_lS5_lPT2_S5_S5_,"axG",@progbits,_ZN9rocsolver6v33100L23getf2_npvt_small_kernelILi48E19rocblas_complex_numIdEiiPS3_EEvT1_T3_lS5_lPT2_S5_S5_,comdat
.Lfunc_end95:
	.size	_ZN9rocsolver6v33100L23getf2_npvt_small_kernelILi48E19rocblas_complex_numIdEiiPS3_EEvT1_T3_lS5_lPT2_S5_S5_, .Lfunc_end95-_ZN9rocsolver6v33100L23getf2_npvt_small_kernelILi48E19rocblas_complex_numIdEiiPS3_EEvT1_T3_lS5_lPT2_S5_S5_
                                        ; -- End function
	.set _ZN9rocsolver6v33100L23getf2_npvt_small_kernelILi48E19rocblas_complex_numIdEiiPS3_EEvT1_T3_lS5_lPT2_S5_S5_.num_vgpr, 128
	.set _ZN9rocsolver6v33100L23getf2_npvt_small_kernelILi48E19rocblas_complex_numIdEiiPS3_EEvT1_T3_lS5_lPT2_S5_S5_.num_agpr, 0
	.set _ZN9rocsolver6v33100L23getf2_npvt_small_kernelILi48E19rocblas_complex_numIdEiiPS3_EEvT1_T3_lS5_lPT2_S5_S5_.numbered_sgpr, 24
	.set _ZN9rocsolver6v33100L23getf2_npvt_small_kernelILi48E19rocblas_complex_numIdEiiPS3_EEvT1_T3_lS5_lPT2_S5_S5_.num_named_barrier, 0
	.set _ZN9rocsolver6v33100L23getf2_npvt_small_kernelILi48E19rocblas_complex_numIdEiiPS3_EEvT1_T3_lS5_lPT2_S5_S5_.private_seg_size, 1500
	.set _ZN9rocsolver6v33100L23getf2_npvt_small_kernelILi48E19rocblas_complex_numIdEiiPS3_EEvT1_T3_lS5_lPT2_S5_S5_.uses_vcc, 1
	.set _ZN9rocsolver6v33100L23getf2_npvt_small_kernelILi48E19rocblas_complex_numIdEiiPS3_EEvT1_T3_lS5_lPT2_S5_S5_.uses_flat_scratch, 0
	.set _ZN9rocsolver6v33100L23getf2_npvt_small_kernelILi48E19rocblas_complex_numIdEiiPS3_EEvT1_T3_lS5_lPT2_S5_S5_.has_dyn_sized_stack, 0
	.set _ZN9rocsolver6v33100L23getf2_npvt_small_kernelILi48E19rocblas_complex_numIdEiiPS3_EEvT1_T3_lS5_lPT2_S5_S5_.has_recursion, 0
	.set _ZN9rocsolver6v33100L23getf2_npvt_small_kernelILi48E19rocblas_complex_numIdEiiPS3_EEvT1_T3_lS5_lPT2_S5_S5_.has_indirect_call, 0
	.section	.AMDGPU.csdata,"",@progbits
; Kernel info:
; codeLenInByte = 157468
; TotalNumSgprs: 28
; NumVgprs: 128
; ScratchSize: 1500
; MemoryBound: 1
; FloatMode: 240
; IeeeMode: 1
; LDSByteSize: 0 bytes/workgroup (compile time only)
; SGPRBlocks: 3
; VGPRBlocks: 31
; NumSGPRsForWavesPerEU: 28
; NumVGPRsForWavesPerEU: 128
; Occupancy: 2
; WaveLimiterHint : 0
; COMPUTE_PGM_RSRC2:SCRATCH_EN: 1
; COMPUTE_PGM_RSRC2:USER_SGPR: 6
; COMPUTE_PGM_RSRC2:TRAP_HANDLER: 0
; COMPUTE_PGM_RSRC2:TGID_X_EN: 1
; COMPUTE_PGM_RSRC2:TGID_Y_EN: 1
; COMPUTE_PGM_RSRC2:TGID_Z_EN: 0
; COMPUTE_PGM_RSRC2:TIDIG_COMP_CNT: 1
	.section	.text._ZN9rocsolver6v33100L18getf2_small_kernelILi49E19rocblas_complex_numIdEiiPS3_EEvT1_T3_lS5_lPS5_llPT2_S5_S5_S7_l,"axG",@progbits,_ZN9rocsolver6v33100L18getf2_small_kernelILi49E19rocblas_complex_numIdEiiPS3_EEvT1_T3_lS5_lPS5_llPT2_S5_S5_S7_l,comdat
	.globl	_ZN9rocsolver6v33100L18getf2_small_kernelILi49E19rocblas_complex_numIdEiiPS3_EEvT1_T3_lS5_lPS5_llPT2_S5_S5_S7_l ; -- Begin function _ZN9rocsolver6v33100L18getf2_small_kernelILi49E19rocblas_complex_numIdEiiPS3_EEvT1_T3_lS5_lPS5_llPT2_S5_S5_S7_l
	.p2align	8
	.type	_ZN9rocsolver6v33100L18getf2_small_kernelILi49E19rocblas_complex_numIdEiiPS3_EEvT1_T3_lS5_lPS5_llPT2_S5_S5_S7_l,@function
_ZN9rocsolver6v33100L18getf2_small_kernelILi49E19rocblas_complex_numIdEiiPS3_EEvT1_T3_lS5_lPS5_llPT2_S5_S5_S7_l: ; @_ZN9rocsolver6v33100L18getf2_small_kernelILi49E19rocblas_complex_numIdEiiPS3_EEvT1_T3_lS5_lPS5_llPT2_S5_S5_S7_l
; %bb.0:
	s_mov_b64 s[26:27], s[2:3]
	s_mov_b64 s[24:25], s[0:1]
	s_load_dword s0, s[4:5], 0x6c
	s_load_dwordx2 s[16:17], s[4:5], 0x48
	s_add_u32 s24, s24, s8
	s_addc_u32 s25, s25, 0
	s_waitcnt lgkmcnt(0)
	s_lshr_b32 s0, s0, 16
	s_mul_i32 s7, s7, s0
	v_add_u32_e32 v6, s7, v1
	v_cmp_gt_i32_e32 vcc, s16, v6
	s_and_saveexec_b64 s[0:1], vcc
	s_cbranch_execnz .LBB96_1
; %bb.1031:
	s_getpc_b64 s[28:29]
.Lpost_getpc10:
	s_add_u32 s28, s28, (.LBB96_1030-.Lpost_getpc10)&4294967295
	s_addc_u32 s29, s29, (.LBB96_1030-.Lpost_getpc10)>>32
	s_setpc_b64 s[28:29]
.LBB96_1:
	s_load_dwordx4 s[0:3], s[4:5], 0x50
	v_mov_b32_e32 v2, 0
	v_ashrrev_i32_e32 v7, 31, v6
	v_mov_b32_e32 v3, 0
	buffer_store_dword v2, off, s[24:27], 0 offset:352 ; 4-byte Folded Spill
	s_nop 0
	buffer_store_dword v3, off, s[24:27], 0 offset:356 ; 4-byte Folded Spill
	s_waitcnt lgkmcnt(0)
	s_cmp_eq_u64 s[0:1], 0
	s_cselect_b64 s[6:7], -1, 0
	s_and_b64 vcc, exec, s[6:7]
	s_cbranch_vccnz .LBB96_3
; %bb.2:
	v_mul_lo_u32 v4, s3, v6
	v_mul_lo_u32 v5, s2, v7
	v_mad_u64_u32 v[2:3], s[2:3], s2, v6, 0
	v_add3_u32 v3, v3, v5, v4
	v_lshlrev_b64 v[2:3], 2, v[2:3]
	v_mov_b32_e32 v4, s1
	v_add_co_u32_e32 v2, vcc, s0, v2
	v_addc_co_u32_e32 v3, vcc, v4, v3, vcc
	buffer_store_dword v2, off, s[24:27], 0 offset:352 ; 4-byte Folded Spill
	s_nop 0
	buffer_store_dword v3, off, s[24:27], 0 offset:356 ; 4-byte Folded Spill
.LBB96_3:
	s_load_dwordx8 s[8:15], s[4:5], 0x20
	s_load_dwordx4 s[20:23], s[4:5], 0x8
	s_load_dword s2, s[4:5], 0x18
	v_lshlrev_b32_e32 v68, 4, v0
	s_waitcnt lgkmcnt(0)
	v_mul_lo_u32 v4, s9, v6
	v_mul_lo_u32 v5, s8, v7
	buffer_store_dword v6, off, s[24:27], 0 offset:392 ; 4-byte Folded Spill
	s_nop 0
	buffer_store_dword v7, off, s[24:27], 0 offset:396 ; 4-byte Folded Spill
	s_add_i32 s16, s2, s2
	s_ashr_i32 s3, s2, 31
	v_mad_u64_u32 v[2:3], s[0:1], s8, v6, 0
	v_mov_b32_e32 v6, s21
	s_lshl_b64 s[0:1], s[22:23], 4
	v_add3_u32 v3, v3, v5, v4
	v_lshlrev_b64 v[2:3], 4, v[2:3]
	v_mov_b32_e32 v4, s1
	v_add_co_u32_e32 v2, vcc, s20, v2
	v_addc_co_u32_e32 v3, vcc, v6, v3, vcc
	v_add_co_u32_e32 v127, vcc, s0, v2
	v_addc_co_u32_e32 v89, vcc, v3, v4, vcc
	v_add_u32_e32 v4, s16, v0
	v_ashrrev_i32_e32 v5, 31, v4
	v_lshlrev_b64 v[2:3], 4, v[4:5]
	v_add_u32_e32 v6, s2, v4
	v_ashrrev_i32_e32 v7, 31, v6
	v_add_co_u32_e32 v69, vcc, v127, v2
	v_lshlrev_b64 v[4:5], 4, v[6:7]
	v_add_u32_e32 v8, s2, v6
	v_addc_co_u32_e32 v70, vcc, v89, v3, vcc
	v_ashrrev_i32_e32 v9, 31, v8
	v_add_co_u32_e32 v4, vcc, v127, v4
	v_lshlrev_b64 v[6:7], 4, v[8:9]
	v_add_u32_e32 v10, s2, v8
	v_addc_co_u32_e32 v5, vcc, v89, v5, vcc
	;; [unrolled: 5-line block ×30, first 2 shown]
	v_ashrrev_i32_e32 v65, 31, v64
	v_add_co_u32_e32 v62, vcc, v127, v62
	v_lshlrev_b64 v[65:66], 4, v[64:65]
	v_addc_co_u32_e32 v63, vcc, v89, v63, vcc
	v_add_u32_e32 v64, s2, v64
	v_add_co_u32_e32 v117, vcc, v127, v65
	v_ashrrev_i32_e32 v65, 31, v64
	v_addc_co_u32_e32 v118, vcc, v89, v66, vcc
	v_lshlrev_b64 v[65:66], 4, v[64:65]
	v_add_u32_e32 v64, s2, v64
	v_add_co_u32_e32 v119, vcc, v127, v65
	v_ashrrev_i32_e32 v65, 31, v64
	v_addc_co_u32_e32 v120, vcc, v89, v66, vcc
	v_lshlrev_b64 v[65:66], 4, v[64:65]
	;; [unrolled: 5-line block ×14, first 2 shown]
	v_add_u32_e32 v64, s2, v64
	v_add_co_u32_e32 v99, vcc, v127, v65
	v_ashrrev_i32_e32 v65, 31, v64
	v_lshlrev_b64 v[64:65], 4, v[64:65]
	v_addc_co_u32_e32 v100, vcc, v89, v66, vcc
	v_add_co_u32_e32 v93, vcc, v127, v64
	v_addc_co_u32_e32 v94, vcc, v89, v65, vcc
	v_add_co_u32_e32 v66, vcc, v127, v68
	v_addc_co_u32_e32 v67, vcc, 0, v89, vcc
	s_lshl_b64 s[8:9], s[2:3], 4
	v_mov_b32_e32 v65, s9
	v_add_co_u32_e32 v64, vcc, s8, v66
	v_addc_co_u32_e32 v65, vcc, v67, v65, vcc
	global_load_dwordx4 v[71:74], v[66:67], off
	s_nop 0
	global_load_dwordx4 v[64:67], v[64:65], off
	s_waitcnt vmcnt(0)
	buffer_store_dword v64, off, s[24:27], 0 offset:376 ; 4-byte Folded Spill
	s_nop 0
	buffer_store_dword v65, off, s[24:27], 0 offset:380 ; 4-byte Folded Spill
	buffer_store_dword v66, off, s[24:27], 0 offset:384 ; 4-byte Folded Spill
	;; [unrolled: 1-line block ×4, first 2 shown]
	s_nop 0
	buffer_store_dword v72, off, s[24:27], 0 offset:412 ; 4-byte Folded Spill
	buffer_store_dword v73, off, s[24:27], 0 offset:416 ; 4-byte Folded Spill
	;; [unrolled: 1-line block ×3, first 2 shown]
	global_load_dwordx4 v[64:67], v[69:70], off
	s_load_dword s3, s[4:5], 0x0
	s_waitcnt lgkmcnt(0)
	s_max_i32 s0, s3, 49
	v_mul_lo_u32 v91, s0, v1
	s_load_dwordx2 s[4:5], s[4:5], 0x40
	s_cmp_lt_i32 s3, 2
	v_lshl_add_u32 v90, v91, 4, 0
	v_add_u32_e32 v1, v90, v68
	ds_write2_b64 v1, v[71:72], v[73:74] offset1:1
	s_waitcnt vmcnt(0)
	buffer_store_dword v64, off, s[24:27], 0 offset:360 ; 4-byte Folded Spill
	s_nop 0
	buffer_store_dword v65, off, s[24:27], 0 offset:364 ; 4-byte Folded Spill
	buffer_store_dword v66, off, s[24:27], 0 offset:368 ; 4-byte Folded Spill
	buffer_store_dword v67, off, s[24:27], 0 offset:372 ; 4-byte Folded Spill
	global_load_dwordx4 v[64:67], v[4:5], off
	s_waitcnt vmcnt(0)
	buffer_store_dword v64, off, s[24:27], 0 offset:336 ; 4-byte Folded Spill
	s_nop 0
	buffer_store_dword v65, off, s[24:27], 0 offset:340 ; 4-byte Folded Spill
	buffer_store_dword v66, off, s[24:27], 0 offset:344 ; 4-byte Folded Spill
	buffer_store_dword v67, off, s[24:27], 0 offset:348 ; 4-byte Folded Spill
	global_load_dwordx4 v[4:7], v[6:7], off
	;; [unrolled: 7-line block ×22, first 2 shown]
	global_load_dwordx4 v[107:110], v[48:49], off
	global_load_dwordx4 v[113:116], v[50:51], off
	;; [unrolled: 1-line block ×7, first 2 shown]
	s_waitcnt vmcnt(0)
	buffer_store_dword v4, off, s[24:27], 0 ; 4-byte Folded Spill
	s_nop 0
	buffer_store_dword v5, off, s[24:27], 0 offset:4 ; 4-byte Folded Spill
	buffer_store_dword v6, off, s[24:27], 0 offset:8 ; 4-byte Folded Spill
	;; [unrolled: 1-line block ×3, first 2 shown]
	global_load_dwordx4 v[61:64], v[62:63], off
	s_nop 0
	global_load_dwordx4 v[57:60], v[117:118], off
	global_load_dwordx4 v[53:56], v[119:120], off
	;; [unrolled: 1-line block ×14, first 2 shown]
	s_nop 0
	global_load_dwordx4 v[1:4], v[99:100], off
	global_load_dwordx4 v[121:124], v[93:94], off
	s_waitcnt vmcnt(0) lgkmcnt(0)
	s_barrier
	ds_read2_b64 v[117:120], v90 offset1:1
	v_lshlrev_b32_e32 v97, 4, v91
	v_mov_b32_e32 v93, 0
	s_cbranch_scc1 .LBB96_6
; %bb.4:
	v_add3_u32 v91, v97, 0, 16
	s_mov_b32 s0, 1
	v_mov_b32_e32 v93, 0
.LBB96_5:                               ; =>This Inner Loop Header: Depth=1
	s_waitcnt lgkmcnt(0)
	v_cmp_gt_f64_e32 vcc, 0, v[117:118]
	v_xor_b32_e32 v92, 0x80000000, v118
	ds_read2_b64 v[98:101], v91 offset1:1
	v_mov_b32_e32 v94, v117
	v_mov_b32_e32 v102, v119
	v_add_u32_e32 v91, 16, v91
	s_waitcnt lgkmcnt(0)
	v_mov_b32_e32 v104, v100
	v_cndmask_b32_e32 v95, v118, v92, vcc
	v_cmp_gt_f64_e32 vcc, 0, v[119:120]
	v_xor_b32_e32 v92, 0x80000000, v120
	v_cndmask_b32_e32 v103, v120, v92, vcc
	v_cmp_gt_f64_e32 vcc, 0, v[98:99]
	v_xor_b32_e32 v92, 0x80000000, v99
	v_add_f64 v[94:95], v[94:95], v[102:103]
	v_mov_b32_e32 v102, v98
	v_cndmask_b32_e32 v103, v99, v92, vcc
	v_cmp_gt_f64_e32 vcc, 0, v[100:101]
	v_xor_b32_e32 v92, 0x80000000, v101
	v_cndmask_b32_e32 v105, v101, v92, vcc
	v_add_f64 v[102:103], v[102:103], v[104:105]
	v_mov_b32_e32 v92, s0
	s_add_i32 s0, s0, 1
	s_cmp_eq_u32 s3, s0
	v_cmp_lt_f64_e32 vcc, v[94:95], v[102:103]
	v_cndmask_b32_e32 v118, v118, v99, vcc
	v_cndmask_b32_e32 v117, v117, v98, vcc
	;; [unrolled: 1-line block ×5, first 2 shown]
	s_cbranch_scc0 .LBB96_5
.LBB96_6:
	buffer_load_dword v111, off, s[24:27], 0 offset:392 ; 4-byte Folded Reload
	buffer_load_dword v112, off, s[24:27], 0 offset:396 ; 4-byte Folded Reload
	s_waitcnt lgkmcnt(0)
	v_cmp_neq_f64_e32 vcc, 0, v[117:118]
	v_cmp_neq_f64_e64 s[0:1], 0, v[119:120]
	v_mov_b32_e32 v88, v68
	v_mov_b32_e32 v87, v67
	;; [unrolled: 1-line block ×6, first 2 shown]
	s_or_b64 s[18:19], vcc, s[0:1]
	s_and_saveexec_b64 s[0:1], s[18:19]
	s_cbranch_execz .LBB96_12
; %bb.7:
	v_cmp_ngt_f64_e64 s[18:19], |v[117:118]|, |v[119:120]|
	s_and_saveexec_b64 s[20:21], s[18:19]
	s_xor_b64 s[18:19], exec, s[20:21]
	s_cbranch_execz .LBB96_9
; %bb.8:
	v_div_scale_f64 v[91:92], s[20:21], v[119:120], v[119:120], v[117:118]
	v_rcp_f64_e32 v[94:95], v[91:92]
	v_fma_f64 v[98:99], -v[91:92], v[94:95], 1.0
	v_fma_f64 v[94:95], v[94:95], v[98:99], v[94:95]
	v_div_scale_f64 v[98:99], vcc, v[117:118], v[119:120], v[117:118]
	v_fma_f64 v[100:101], -v[91:92], v[94:95], 1.0
	v_fma_f64 v[94:95], v[94:95], v[100:101], v[94:95]
	v_mul_f64 v[100:101], v[98:99], v[94:95]
	v_fma_f64 v[91:92], -v[91:92], v[100:101], v[98:99]
	v_div_fmas_f64 v[91:92], v[91:92], v[94:95], v[100:101]
	v_div_fixup_f64 v[91:92], v[91:92], v[119:120], v[117:118]
	v_fma_f64 v[94:95], v[117:118], v[91:92], v[119:120]
	v_div_scale_f64 v[98:99], s[20:21], v[94:95], v[94:95], 1.0
	v_div_scale_f64 v[104:105], vcc, 1.0, v[94:95], 1.0
	v_rcp_f64_e32 v[100:101], v[98:99]
	v_fma_f64 v[102:103], -v[98:99], v[100:101], 1.0
	v_fma_f64 v[100:101], v[100:101], v[102:103], v[100:101]
	v_fma_f64 v[102:103], -v[98:99], v[100:101], 1.0
	v_fma_f64 v[100:101], v[100:101], v[102:103], v[100:101]
	v_mul_f64 v[102:103], v[104:105], v[100:101]
	v_fma_f64 v[98:99], -v[98:99], v[102:103], v[104:105]
	v_div_fmas_f64 v[98:99], v[98:99], v[100:101], v[102:103]
	v_div_fixup_f64 v[119:120], v[98:99], v[94:95], 1.0
	v_mul_f64 v[117:118], v[91:92], v[119:120]
	v_xor_b32_e32 v120, 0x80000000, v120
.LBB96_9:
	s_andn2_saveexec_b64 s[18:19], s[18:19]
	s_cbranch_execz .LBB96_11
; %bb.10:
	v_div_scale_f64 v[91:92], s[20:21], v[117:118], v[117:118], v[119:120]
	v_rcp_f64_e32 v[94:95], v[91:92]
	v_fma_f64 v[98:99], -v[91:92], v[94:95], 1.0
	v_fma_f64 v[94:95], v[94:95], v[98:99], v[94:95]
	v_div_scale_f64 v[98:99], vcc, v[119:120], v[117:118], v[119:120]
	v_fma_f64 v[100:101], -v[91:92], v[94:95], 1.0
	v_fma_f64 v[94:95], v[94:95], v[100:101], v[94:95]
	v_mul_f64 v[100:101], v[98:99], v[94:95]
	v_fma_f64 v[91:92], -v[91:92], v[100:101], v[98:99]
	v_div_fmas_f64 v[91:92], v[91:92], v[94:95], v[100:101]
	v_div_fixup_f64 v[91:92], v[91:92], v[117:118], v[119:120]
	v_fma_f64 v[94:95], v[119:120], v[91:92], v[117:118]
	v_div_scale_f64 v[98:99], s[20:21], v[94:95], v[94:95], 1.0
	v_div_scale_f64 v[104:105], vcc, 1.0, v[94:95], 1.0
	v_rcp_f64_e32 v[100:101], v[98:99]
	v_fma_f64 v[102:103], -v[98:99], v[100:101], 1.0
	v_fma_f64 v[100:101], v[100:101], v[102:103], v[100:101]
	v_fma_f64 v[102:103], -v[98:99], v[100:101], 1.0
	v_fma_f64 v[100:101], v[100:101], v[102:103], v[100:101]
	v_mul_f64 v[102:103], v[104:105], v[100:101]
	v_fma_f64 v[98:99], -v[98:99], v[102:103], v[104:105]
	v_div_fmas_f64 v[98:99], v[98:99], v[100:101], v[102:103]
	v_div_fixup_f64 v[117:118], v[98:99], v[94:95], 1.0
	v_mul_f64 v[119:120], v[91:92], -v[117:118]
.LBB96_11:
	s_or_b64 exec, exec, s[18:19]
	v_mov_b32_e32 v98, 0
	v_mov_b32_e32 v91, 2
.LBB96_12:
	s_or_b64 exec, exec, s[0:1]
	v_cmp_ne_u32_e32 vcc, v0, v93
	s_and_saveexec_b64 s[0:1], vcc
	s_xor_b64 s[0:1], exec, s[0:1]
	s_cbranch_execz .LBB96_18
; %bb.13:
	v_cmp_eq_u32_e32 vcc, 0, v0
	s_and_saveexec_b64 s[18:19], vcc
	s_cbranch_execz .LBB96_17
; %bb.14:
	v_cmp_ne_u32_e32 vcc, 0, v93
	s_xor_b64 s[20:21], s[6:7], -1
	s_and_b64 s[22:23], s[20:21], vcc
	s_and_saveexec_b64 s[20:21], s[22:23]
	s_cbranch_execz .LBB96_16
; %bb.15:
	buffer_load_dword v85, off, s[24:27], 0 offset:352 ; 4-byte Folded Reload
	buffer_load_dword v86, off, s[24:27], 0 offset:356 ; 4-byte Folded Reload
	v_ashrrev_i32_e32 v94, 31, v93
	v_lshlrev_b64 v[94:95], 2, v[93:94]
	s_waitcnt vmcnt(1)
	v_add_co_u32_e32 v94, vcc, v85, v94
	s_waitcnt vmcnt(0)
	v_addc_co_u32_e32 v95, vcc, v86, v95, vcc
	global_load_dword v0, v[94:95], off
	global_load_dword v92, v[85:86], off
	s_waitcnt vmcnt(1)
	global_store_dword v[85:86], v0, off
	v_mov_b32_e32 v88, v68
	v_mov_b32_e32 v87, v67
	;; [unrolled: 1-line block ×4, first 2 shown]
	s_waitcnt vmcnt(1)
	global_store_dword v[94:95], v92, off
.LBB96_16:
	s_or_b64 exec, exec, s[20:21]
	v_mov_b32_e32 v0, v93
.LBB96_17:
	s_or_b64 exec, exec, s[18:19]
.LBB96_18:
	s_or_saveexec_b64 s[0:1], s[0:1]
	v_mov_b32_e32 v92, v0
	s_xor_b64 exec, exec, s[0:1]
	s_cbranch_execz .LBB96_20
; %bb.19:
	buffer_load_dword v65, off, s[24:27], 0 offset:376 ; 4-byte Folded Reload
	buffer_load_dword v66, off, s[24:27], 0 offset:380 ; 4-byte Folded Reload
	;; [unrolled: 1-line block ×4, first 2 shown]
	v_mov_b32_e32 v92, 0
	s_waitcnt vmcnt(0)
	ds_write2_b64 v90, v[65:66], v[67:68] offset0:2 offset1:3
	buffer_load_dword v65, off, s[24:27], 0 offset:360 ; 4-byte Folded Reload
	buffer_load_dword v66, off, s[24:27], 0 offset:364 ; 4-byte Folded Reload
	buffer_load_dword v67, off, s[24:27], 0 offset:368 ; 4-byte Folded Reload
	buffer_load_dword v68, off, s[24:27], 0 offset:372 ; 4-byte Folded Reload
	s_waitcnt vmcnt(0)
	ds_write2_b64 v90, v[65:66], v[67:68] offset0:4 offset1:5
	buffer_load_dword v65, off, s[24:27], 0 offset:336 ; 4-byte Folded Reload
	buffer_load_dword v66, off, s[24:27], 0 offset:340 ; 4-byte Folded Reload
	buffer_load_dword v67, off, s[24:27], 0 offset:344 ; 4-byte Folded Reload
	buffer_load_dword v68, off, s[24:27], 0 offset:348 ; 4-byte Folded Reload
	;; [unrolled: 6-line block ×22, first 2 shown]
	s_waitcnt vmcnt(0)
	ds_write2_b64 v90, v[65:66], v[67:68] offset0:46 offset1:47
	ds_write2_b64 v90, v[85:86], v[87:88] offset0:48 offset1:49
	;; [unrolled: 1-line block ×8, first 2 shown]
	buffer_load_dword v65, off, s[24:27], 0 ; 4-byte Folded Reload
	buffer_load_dword v66, off, s[24:27], 0 offset:4 ; 4-byte Folded Reload
	buffer_load_dword v67, off, s[24:27], 0 offset:8 ; 4-byte Folded Reload
	;; [unrolled: 1-line block ×3, first 2 shown]
	s_waitcnt vmcnt(0)
	ds_write2_b64 v90, v[65:66], v[67:68] offset0:62 offset1:63
	ds_write2_b64 v90, v[61:62], v[63:64] offset0:64 offset1:65
	;; [unrolled: 1-line block ×18, first 2 shown]
.LBB96_20:
	s_or_b64 exec, exec, s[0:1]
	v_cmp_lt_i32_e32 vcc, 0, v92
	s_waitcnt vmcnt(0) lgkmcnt(0)
	s_barrier
	s_and_saveexec_b64 s[0:1], vcc
	s_cbranch_execz .LBB96_22
; %bb.21:
	buffer_load_dword v101, off, s[24:27], 0 offset:408 ; 4-byte Folded Reload
	buffer_load_dword v102, off, s[24:27], 0 offset:412 ; 4-byte Folded Reload
	;; [unrolled: 1-line block ×4, first 2 shown]
	s_waitcnt vmcnt(0)
	v_mul_f64 v[93:94], v[119:120], v[103:104]
	v_fma_f64 v[125:126], v[117:118], v[101:102], -v[93:94]
	v_mul_f64 v[93:94], v[117:118], v[103:104]
	v_fma_f64 v[103:104], v[119:120], v[101:102], v[93:94]
	ds_read2_b64 v[93:96], v90 offset0:2 offset1:3
	buffer_load_dword v65, off, s[24:27], 0 offset:376 ; 4-byte Folded Reload
	buffer_load_dword v66, off, s[24:27], 0 offset:380 ; 4-byte Folded Reload
	buffer_load_dword v67, off, s[24:27], 0 offset:384 ; 4-byte Folded Reload
	buffer_load_dword v68, off, s[24:27], 0 offset:388 ; 4-byte Folded Reload
	s_waitcnt lgkmcnt(0)
	v_mul_f64 v[99:100], v[95:96], v[103:104]
	v_fma_f64 v[99:100], v[93:94], v[125:126], -v[99:100]
	v_mul_f64 v[93:94], v[93:94], v[103:104]
	v_fma_f64 v[93:94], v[95:96], v[125:126], v[93:94]
	s_waitcnt vmcnt(2)
	v_add_f64 v[65:66], v[65:66], -v[99:100]
	s_waitcnt vmcnt(0)
	v_add_f64 v[67:68], v[67:68], -v[93:94]
	buffer_store_dword v65, off, s[24:27], 0 offset:376 ; 4-byte Folded Spill
	s_nop 0
	buffer_store_dword v66, off, s[24:27], 0 offset:380 ; 4-byte Folded Spill
	buffer_store_dword v67, off, s[24:27], 0 offset:384 ; 4-byte Folded Spill
	buffer_store_dword v68, off, s[24:27], 0 offset:388 ; 4-byte Folded Spill
	ds_read2_b64 v[93:96], v90 offset0:4 offset1:5
	buffer_load_dword v65, off, s[24:27], 0 offset:360 ; 4-byte Folded Reload
	buffer_load_dword v66, off, s[24:27], 0 offset:364 ; 4-byte Folded Reload
	buffer_load_dword v67, off, s[24:27], 0 offset:368 ; 4-byte Folded Reload
	buffer_load_dword v68, off, s[24:27], 0 offset:372 ; 4-byte Folded Reload
	s_waitcnt lgkmcnt(0)
	v_mul_f64 v[99:100], v[95:96], v[103:104]
	v_fma_f64 v[99:100], v[93:94], v[125:126], -v[99:100]
	v_mul_f64 v[93:94], v[93:94], v[103:104]
	v_fma_f64 v[93:94], v[95:96], v[125:126], v[93:94]
	s_waitcnt vmcnt(2)
	v_add_f64 v[65:66], v[65:66], -v[99:100]
	s_waitcnt vmcnt(0)
	v_add_f64 v[67:68], v[67:68], -v[93:94]
	buffer_store_dword v65, off, s[24:27], 0 offset:360 ; 4-byte Folded Spill
	s_nop 0
	buffer_store_dword v66, off, s[24:27], 0 offset:364 ; 4-byte Folded Spill
	buffer_store_dword v67, off, s[24:27], 0 offset:368 ; 4-byte Folded Spill
	buffer_store_dword v68, off, s[24:27], 0 offset:372 ; 4-byte Folded Spill
	;; [unrolled: 19-line block ×23, first 2 shown]
	ds_read2_b64 v[93:96], v90 offset0:48 offset1:49
	s_waitcnt lgkmcnt(0)
	v_mul_f64 v[99:100], v[95:96], v[103:104]
	v_fma_f64 v[99:100], v[93:94], v[125:126], -v[99:100]
	v_mul_f64 v[93:94], v[93:94], v[103:104]
	v_add_f64 v[85:86], v[85:86], -v[99:100]
	v_fma_f64 v[93:94], v[95:96], v[125:126], v[93:94]
	v_add_f64 v[87:88], v[87:88], -v[93:94]
	ds_read2_b64 v[93:96], v90 offset0:50 offset1:51
	s_waitcnt lgkmcnt(0)
	v_mul_f64 v[99:100], v[95:96], v[103:104]
	v_fma_f64 v[99:100], v[93:94], v[125:126], -v[99:100]
	v_mul_f64 v[93:94], v[93:94], v[103:104]
	v_add_f64 v[107:108], v[107:108], -v[99:100]
	v_fma_f64 v[93:94], v[95:96], v[125:126], v[93:94]
	v_add_f64 v[109:110], v[109:110], -v[93:94]
	ds_read2_b64 v[93:96], v90 offset0:52 offset1:53
	s_waitcnt lgkmcnt(0)
	v_mul_f64 v[99:100], v[95:96], v[103:104]
	v_fma_f64 v[99:100], v[93:94], v[125:126], -v[99:100]
	v_mul_f64 v[93:94], v[93:94], v[103:104]
	v_add_f64 v[113:114], v[113:114], -v[99:100]
	v_fma_f64 v[93:94], v[95:96], v[125:126], v[93:94]
	v_add_f64 v[115:116], v[115:116], -v[93:94]
	ds_read2_b64 v[93:96], v90 offset0:54 offset1:55
	s_waitcnt lgkmcnt(0)
	v_mul_f64 v[99:100], v[95:96], v[103:104]
	v_fma_f64 v[99:100], v[93:94], v[125:126], -v[99:100]
	v_mul_f64 v[93:94], v[93:94], v[103:104]
	v_add_f64 v[81:82], v[81:82], -v[99:100]
	v_fma_f64 v[93:94], v[95:96], v[125:126], v[93:94]
	v_add_f64 v[83:84], v[83:84], -v[93:94]
	ds_read2_b64 v[93:96], v90 offset0:56 offset1:57
	s_waitcnt lgkmcnt(0)
	v_mul_f64 v[99:100], v[95:96], v[103:104]
	v_fma_f64 v[99:100], v[93:94], v[125:126], -v[99:100]
	v_mul_f64 v[93:94], v[93:94], v[103:104]
	v_add_f64 v[77:78], v[77:78], -v[99:100]
	v_fma_f64 v[93:94], v[95:96], v[125:126], v[93:94]
	v_add_f64 v[79:80], v[79:80], -v[93:94]
	ds_read2_b64 v[93:96], v90 offset0:58 offset1:59
	s_waitcnt lgkmcnt(0)
	v_mul_f64 v[99:100], v[95:96], v[103:104]
	v_fma_f64 v[99:100], v[93:94], v[125:126], -v[99:100]
	v_mul_f64 v[93:94], v[93:94], v[103:104]
	v_add_f64 v[73:74], v[73:74], -v[99:100]
	v_fma_f64 v[93:94], v[95:96], v[125:126], v[93:94]
	v_add_f64 v[75:76], v[75:76], -v[93:94]
	ds_read2_b64 v[93:96], v90 offset0:60 offset1:61
	s_waitcnt lgkmcnt(0)
	v_mul_f64 v[99:100], v[95:96], v[103:104]
	v_fma_f64 v[99:100], v[93:94], v[125:126], -v[99:100]
	v_mul_f64 v[93:94], v[93:94], v[103:104]
	v_add_f64 v[69:70], v[69:70], -v[99:100]
	v_fma_f64 v[93:94], v[95:96], v[125:126], v[93:94]
	v_add_f64 v[71:72], v[71:72], -v[93:94]
	ds_read2_b64 v[93:96], v90 offset0:62 offset1:63
	buffer_load_dword v65, off, s[24:27], 0 ; 4-byte Folded Reload
	buffer_load_dword v66, off, s[24:27], 0 offset:4 ; 4-byte Folded Reload
	buffer_load_dword v67, off, s[24:27], 0 offset:8 ; 4-byte Folded Reload
	buffer_load_dword v68, off, s[24:27], 0 offset:12 ; 4-byte Folded Reload
	s_waitcnt lgkmcnt(0)
	v_mul_f64 v[99:100], v[95:96], v[103:104]
	v_fma_f64 v[99:100], v[93:94], v[125:126], -v[99:100]
	v_mul_f64 v[93:94], v[93:94], v[103:104]
	v_fma_f64 v[93:94], v[95:96], v[125:126], v[93:94]
	s_waitcnt vmcnt(2)
	v_add_f64 v[65:66], v[65:66], -v[99:100]
	s_waitcnt vmcnt(0)
	v_add_f64 v[67:68], v[67:68], -v[93:94]
	buffer_store_dword v65, off, s[24:27], 0 ; 4-byte Folded Spill
	s_nop 0
	buffer_store_dword v66, off, s[24:27], 0 offset:4 ; 4-byte Folded Spill
	buffer_store_dword v67, off, s[24:27], 0 offset:8 ; 4-byte Folded Spill
	;; [unrolled: 1-line block ×3, first 2 shown]
	ds_read2_b64 v[93:96], v90 offset0:64 offset1:65
	s_waitcnt lgkmcnt(0)
	v_mul_f64 v[99:100], v[95:96], v[103:104]
	v_fma_f64 v[99:100], v[93:94], v[125:126], -v[99:100]
	v_mul_f64 v[93:94], v[93:94], v[103:104]
	v_add_f64 v[61:62], v[61:62], -v[99:100]
	v_fma_f64 v[93:94], v[95:96], v[125:126], v[93:94]
	v_add_f64 v[63:64], v[63:64], -v[93:94]
	ds_read2_b64 v[93:96], v90 offset0:66 offset1:67
	s_waitcnt lgkmcnt(0)
	v_mul_f64 v[99:100], v[95:96], v[103:104]
	v_fma_f64 v[99:100], v[93:94], v[125:126], -v[99:100]
	v_mul_f64 v[93:94], v[93:94], v[103:104]
	v_add_f64 v[57:58], v[57:58], -v[99:100]
	v_fma_f64 v[93:94], v[95:96], v[125:126], v[93:94]
	v_add_f64 v[59:60], v[59:60], -v[93:94]
	;; [unrolled: 8-line block ×15, first 2 shown]
	ds_read2_b64 v[93:96], v90 offset0:94 offset1:95
	s_waitcnt lgkmcnt(0)
	v_mul_f64 v[99:100], v[95:96], v[103:104]
	v_fma_f64 v[99:100], v[93:94], v[125:126], -v[99:100]
	v_mul_f64 v[93:94], v[93:94], v[103:104]
	v_add_f64 v[1:2], v[1:2], -v[99:100]
	v_fma_f64 v[93:94], v[95:96], v[125:126], v[93:94]
	ds_read2_b64 v[99:102], v90 offset0:96 offset1:97
	s_waitcnt lgkmcnt(0)
	v_mul_f64 v[95:96], v[99:100], v[103:104]
	v_add_f64 v[3:4], v[3:4], -v[93:94]
	v_mul_f64 v[93:94], v[101:102], v[103:104]
	v_fma_f64 v[95:96], v[101:102], v[125:126], v[95:96]
	v_mov_b32_e32 v101, v125
	v_mov_b32_e32 v102, v126
	v_fma_f64 v[93:94], v[99:100], v[125:126], -v[93:94]
	buffer_store_dword v101, off, s[24:27], 0 offset:408 ; 4-byte Folded Spill
	s_nop 0
	buffer_store_dword v102, off, s[24:27], 0 offset:412 ; 4-byte Folded Spill
	buffer_store_dword v103, off, s[24:27], 0 offset:416 ; 4-byte Folded Spill
	;; [unrolled: 1-line block ×3, first 2 shown]
	v_add_f64 v[123:124], v[123:124], -v[95:96]
	v_add_f64 v[121:122], v[121:122], -v[93:94]
.LBB96_22:
	s_or_b64 exec, exec, s[0:1]
	s_waitcnt vmcnt(0)
	s_barrier
	buffer_load_dword v65, off, s[24:27], 0 offset:376 ; 4-byte Folded Reload
	buffer_load_dword v66, off, s[24:27], 0 offset:380 ; 4-byte Folded Reload
	;; [unrolled: 1-line block ×4, first 2 shown]
	v_lshl_add_u32 v93, v92, 4, v90
	s_cmp_lt_i32 s3, 3
	s_waitcnt vmcnt(0)
	ds_write2_b64 v93, v[65:66], v[67:68] offset1:1
	s_waitcnt lgkmcnt(0)
	s_barrier
	ds_read2_b64 v[117:120], v90 offset0:2 offset1:3
	v_mov_b32_e32 v93, 1
	s_cbranch_scc1 .LBB96_25
; %bb.23:
	v_add3_u32 v94, v97, 0, 32
	s_mov_b32 s0, 2
	v_mov_b32_e32 v93, 1
.LBB96_24:                              ; =>This Inner Loop Header: Depth=1
	s_waitcnt lgkmcnt(0)
	v_cmp_gt_f64_e32 vcc, 0, v[117:118]
	v_xor_b32_e32 v95, 0x80000000, v118
	ds_read2_b64 v[99:102], v94 offset1:1
	v_xor_b32_e32 v103, 0x80000000, v120
	v_add_u32_e32 v94, 16, v94
	s_waitcnt lgkmcnt(0)
	v_xor_b32_e32 v105, 0x80000000, v102
	v_cndmask_b32_e32 v96, v118, v95, vcc
	v_cmp_gt_f64_e32 vcc, 0, v[119:120]
	v_mov_b32_e32 v95, v117
	v_cndmask_b32_e32 v104, v120, v103, vcc
	v_cmp_gt_f64_e32 vcc, 0, v[99:100]
	v_mov_b32_e32 v103, v119
	v_add_f64 v[95:96], v[95:96], v[103:104]
	v_xor_b32_e32 v103, 0x80000000, v100
	v_cndmask_b32_e32 v104, v100, v103, vcc
	v_cmp_gt_f64_e32 vcc, 0, v[101:102]
	v_mov_b32_e32 v103, v99
	v_cndmask_b32_e32 v106, v102, v105, vcc
	v_mov_b32_e32 v105, v101
	v_add_f64 v[103:104], v[103:104], v[105:106]
	v_cmp_lt_f64_e32 vcc, v[95:96], v[103:104]
	v_mov_b32_e32 v95, s0
	s_add_i32 s0, s0, 1
	s_cmp_lg_u32 s3, s0
	v_cndmask_b32_e32 v118, v118, v100, vcc
	v_cndmask_b32_e32 v117, v117, v99, vcc
	;; [unrolled: 1-line block ×5, first 2 shown]
	s_cbranch_scc1 .LBB96_24
.LBB96_25:
	s_waitcnt lgkmcnt(0)
	v_cmp_neq_f64_e32 vcc, 0, v[117:118]
	v_cmp_neq_f64_e64 s[0:1], 0, v[119:120]
	s_or_b64 s[18:19], vcc, s[0:1]
	s_and_saveexec_b64 s[0:1], s[18:19]
	s_cbranch_execz .LBB96_31
; %bb.26:
	v_cmp_ngt_f64_e64 s[18:19], |v[117:118]|, |v[119:120]|
	s_and_saveexec_b64 s[20:21], s[18:19]
	s_xor_b64 s[18:19], exec, s[20:21]
	s_cbranch_execz .LBB96_28
; %bb.27:
	v_div_scale_f64 v[94:95], s[20:21], v[119:120], v[119:120], v[117:118]
	v_mov_b32_e32 v65, v85
	v_mov_b32_e32 v66, v86
	;; [unrolled: 1-line block ×8, first 2 shown]
	v_rcp_f64_e32 v[99:100], v[94:95]
	v_fma_f64 v[101:102], -v[94:95], v[99:100], 1.0
	v_fma_f64 v[99:100], v[99:100], v[101:102], v[99:100]
	v_div_scale_f64 v[101:102], vcc, v[117:118], v[119:120], v[117:118]
	v_fma_f64 v[103:104], -v[94:95], v[99:100], 1.0
	v_fma_f64 v[99:100], v[99:100], v[103:104], v[99:100]
	v_mul_f64 v[103:104], v[101:102], v[99:100]
	v_fma_f64 v[94:95], -v[94:95], v[103:104], v[101:102]
	v_div_fmas_f64 v[94:95], v[94:95], v[99:100], v[103:104]
	v_div_fixup_f64 v[94:95], v[94:95], v[119:120], v[117:118]
	v_fma_f64 v[99:100], v[117:118], v[94:95], v[119:120]
	v_div_scale_f64 v[101:102], s[20:21], v[99:100], v[99:100], 1.0
	v_div_scale_f64 v[107:108], vcc, 1.0, v[99:100], 1.0
	v_rcp_f64_e32 v[103:104], v[101:102]
	v_fma_f64 v[105:106], -v[101:102], v[103:104], 1.0
	v_fma_f64 v[103:104], v[103:104], v[105:106], v[103:104]
	v_fma_f64 v[105:106], -v[101:102], v[103:104], 1.0
	v_fma_f64 v[103:104], v[103:104], v[105:106], v[103:104]
	v_mul_f64 v[105:106], v[107:108], v[103:104]
	v_fma_f64 v[101:102], -v[101:102], v[105:106], v[107:108]
	v_mov_b32_e32 v110, v88
	v_mov_b32_e32 v109, v87
	;; [unrolled: 1-line block ×7, first 2 shown]
	v_div_fmas_f64 v[101:102], v[101:102], v[103:104], v[105:106]
	v_mov_b32_e32 v85, v65
	v_div_fixup_f64 v[119:120], v[101:102], v[99:100], 1.0
	v_mul_f64 v[117:118], v[94:95], v[119:120]
	v_xor_b32_e32 v120, 0x80000000, v120
.LBB96_28:
	s_andn2_saveexec_b64 s[18:19], s[18:19]
	s_cbranch_execz .LBB96_30
; %bb.29:
	v_div_scale_f64 v[94:95], s[20:21], v[117:118], v[117:118], v[119:120]
	v_mov_b32_e32 v65, v85
	v_mov_b32_e32 v66, v86
	;; [unrolled: 1-line block ×8, first 2 shown]
	v_rcp_f64_e32 v[99:100], v[94:95]
	v_fma_f64 v[101:102], -v[94:95], v[99:100], 1.0
	v_fma_f64 v[99:100], v[99:100], v[101:102], v[99:100]
	v_div_scale_f64 v[101:102], vcc, v[119:120], v[117:118], v[119:120]
	v_fma_f64 v[103:104], -v[94:95], v[99:100], 1.0
	v_fma_f64 v[99:100], v[99:100], v[103:104], v[99:100]
	v_mul_f64 v[103:104], v[101:102], v[99:100]
	v_fma_f64 v[94:95], -v[94:95], v[103:104], v[101:102]
	v_div_fmas_f64 v[94:95], v[94:95], v[99:100], v[103:104]
	v_div_fixup_f64 v[94:95], v[94:95], v[117:118], v[119:120]
	v_fma_f64 v[99:100], v[119:120], v[94:95], v[117:118]
	v_div_scale_f64 v[101:102], s[20:21], v[99:100], v[99:100], 1.0
	v_div_scale_f64 v[107:108], vcc, 1.0, v[99:100], 1.0
	v_rcp_f64_e32 v[103:104], v[101:102]
	v_fma_f64 v[105:106], -v[101:102], v[103:104], 1.0
	v_fma_f64 v[103:104], v[103:104], v[105:106], v[103:104]
	v_fma_f64 v[105:106], -v[101:102], v[103:104], 1.0
	v_fma_f64 v[103:104], v[103:104], v[105:106], v[103:104]
	v_mul_f64 v[105:106], v[107:108], v[103:104]
	v_fma_f64 v[101:102], -v[101:102], v[105:106], v[107:108]
	v_mov_b32_e32 v110, v88
	v_mov_b32_e32 v109, v87
	;; [unrolled: 1-line block ×7, first 2 shown]
	v_div_fmas_f64 v[101:102], v[101:102], v[103:104], v[105:106]
	v_mov_b32_e32 v85, v65
	v_div_fixup_f64 v[117:118], v[101:102], v[99:100], 1.0
	v_mul_f64 v[119:120], v[94:95], -v[117:118]
.LBB96_30:
	s_or_b64 exec, exec, s[18:19]
	v_mov_b32_e32 v91, v98
.LBB96_31:
	s_or_b64 exec, exec, s[0:1]
	v_cmp_ne_u32_e32 vcc, v92, v93
	s_and_saveexec_b64 s[0:1], vcc
	s_xor_b64 s[0:1], exec, s[0:1]
	s_cbranch_execz .LBB96_37
; %bb.32:
	v_cmp_eq_u32_e32 vcc, 1, v92
	s_and_saveexec_b64 s[18:19], vcc
	s_cbranch_execz .LBB96_36
; %bb.33:
	v_cmp_ne_u32_e32 vcc, 1, v93
	s_xor_b64 s[20:21], s[6:7], -1
	s_and_b64 s[22:23], s[20:21], vcc
	s_and_saveexec_b64 s[20:21], s[22:23]
	s_cbranch_execz .LBB96_35
; %bb.34:
	v_mov_b32_e32 v65, v85
	v_mov_b32_e32 v66, v86
	;; [unrolled: 1-line block ×4, first 2 shown]
	buffer_load_dword v85, off, s[24:27], 0 offset:352 ; 4-byte Folded Reload
	buffer_load_dword v86, off, s[24:27], 0 offset:356 ; 4-byte Folded Reload
	v_ashrrev_i32_e32 v94, 31, v93
	v_lshlrev_b64 v[94:95], 2, v[93:94]
	s_waitcnt vmcnt(1)
	v_add_co_u32_e32 v94, vcc, v85, v94
	s_waitcnt vmcnt(0)
	v_addc_co_u32_e32 v95, vcc, v86, v95, vcc
	global_load_dword v0, v[94:95], off
	global_load_dword v92, v[85:86], off offset:4
	s_waitcnt vmcnt(1)
	global_store_dword v[85:86], v0, off offset:4
	v_mov_b32_e32 v88, v68
	v_mov_b32_e32 v87, v67
	;; [unrolled: 1-line block ×4, first 2 shown]
	s_waitcnt vmcnt(1)
	global_store_dword v[94:95], v92, off
.LBB96_35:
	s_or_b64 exec, exec, s[20:21]
	v_mov_b32_e32 v92, v93
	v_mov_b32_e32 v0, v93
.LBB96_36:
	s_or_b64 exec, exec, s[18:19]
.LBB96_37:
	s_andn2_saveexec_b64 s[0:1], s[0:1]
	s_cbranch_execz .LBB96_39
; %bb.38:
	buffer_load_dword v65, off, s[24:27], 0 offset:360 ; 4-byte Folded Reload
	buffer_load_dword v66, off, s[24:27], 0 offset:364 ; 4-byte Folded Reload
	;; [unrolled: 1-line block ×4, first 2 shown]
	v_mov_b32_e32 v92, 1
	s_waitcnt vmcnt(0)
	ds_write2_b64 v90, v[65:66], v[67:68] offset0:4 offset1:5
	buffer_load_dword v65, off, s[24:27], 0 offset:336 ; 4-byte Folded Reload
	buffer_load_dword v66, off, s[24:27], 0 offset:340 ; 4-byte Folded Reload
	buffer_load_dword v67, off, s[24:27], 0 offset:344 ; 4-byte Folded Reload
	buffer_load_dword v68, off, s[24:27], 0 offset:348 ; 4-byte Folded Reload
	s_waitcnt vmcnt(0)
	ds_write2_b64 v90, v[65:66], v[67:68] offset0:6 offset1:7
	buffer_load_dword v65, off, s[24:27], 0 offset:320 ; 4-byte Folded Reload
	buffer_load_dword v66, off, s[24:27], 0 offset:324 ; 4-byte Folded Reload
	buffer_load_dword v67, off, s[24:27], 0 offset:328 ; 4-byte Folded Reload
	buffer_load_dword v68, off, s[24:27], 0 offset:332 ; 4-byte Folded Reload
	;; [unrolled: 6-line block ×21, first 2 shown]
	s_waitcnt vmcnt(0)
	ds_write2_b64 v90, v[65:66], v[67:68] offset0:46 offset1:47
	ds_write2_b64 v90, v[85:86], v[87:88] offset0:48 offset1:49
	;; [unrolled: 1-line block ×8, first 2 shown]
	buffer_load_dword v65, off, s[24:27], 0 ; 4-byte Folded Reload
	buffer_load_dword v66, off, s[24:27], 0 offset:4 ; 4-byte Folded Reload
	buffer_load_dword v67, off, s[24:27], 0 offset:8 ; 4-byte Folded Reload
	;; [unrolled: 1-line block ×3, first 2 shown]
	s_waitcnt vmcnt(0)
	ds_write2_b64 v90, v[65:66], v[67:68] offset0:62 offset1:63
	ds_write2_b64 v90, v[61:62], v[63:64] offset0:64 offset1:65
	;; [unrolled: 1-line block ×18, first 2 shown]
.LBB96_39:
	s_or_b64 exec, exec, s[0:1]
	v_cmp_lt_i32_e32 vcc, 1, v92
	s_waitcnt vmcnt(0) lgkmcnt(0)
	s_barrier
	s_and_saveexec_b64 s[0:1], vcc
	s_cbranch_execz .LBB96_41
; %bb.40:
	buffer_load_dword v100, off, s[24:27], 0 offset:376 ; 4-byte Folded Reload
	buffer_load_dword v101, off, s[24:27], 0 offset:380 ; 4-byte Folded Reload
	;; [unrolled: 1-line block ×4, first 2 shown]
	s_waitcnt vmcnt(0)
	v_mul_f64 v[93:94], v[119:120], v[102:103]
	v_fma_f64 v[125:126], v[117:118], v[100:101], -v[93:94]
	v_mul_f64 v[93:94], v[117:118], v[102:103]
	v_fma_f64 v[102:103], v[119:120], v[100:101], v[93:94]
	ds_read2_b64 v[93:96], v90 offset0:4 offset1:5
	buffer_load_dword v65, off, s[24:27], 0 offset:360 ; 4-byte Folded Reload
	buffer_load_dword v66, off, s[24:27], 0 offset:364 ; 4-byte Folded Reload
	buffer_load_dword v67, off, s[24:27], 0 offset:368 ; 4-byte Folded Reload
	buffer_load_dword v68, off, s[24:27], 0 offset:372 ; 4-byte Folded Reload
	s_waitcnt lgkmcnt(0)
	v_mul_f64 v[98:99], v[95:96], v[102:103]
	v_fma_f64 v[98:99], v[93:94], v[125:126], -v[98:99]
	v_mul_f64 v[93:94], v[93:94], v[102:103]
	v_fma_f64 v[93:94], v[95:96], v[125:126], v[93:94]
	s_waitcnt vmcnt(2)
	v_add_f64 v[65:66], v[65:66], -v[98:99]
	s_waitcnt vmcnt(0)
	v_add_f64 v[67:68], v[67:68], -v[93:94]
	buffer_store_dword v65, off, s[24:27], 0 offset:360 ; 4-byte Folded Spill
	s_nop 0
	buffer_store_dword v66, off, s[24:27], 0 offset:364 ; 4-byte Folded Spill
	buffer_store_dword v67, off, s[24:27], 0 offset:368 ; 4-byte Folded Spill
	buffer_store_dword v68, off, s[24:27], 0 offset:372 ; 4-byte Folded Spill
	ds_read2_b64 v[93:96], v90 offset0:6 offset1:7
	buffer_load_dword v65, off, s[24:27], 0 offset:336 ; 4-byte Folded Reload
	buffer_load_dword v66, off, s[24:27], 0 offset:340 ; 4-byte Folded Reload
	buffer_load_dword v67, off, s[24:27], 0 offset:344 ; 4-byte Folded Reload
	buffer_load_dword v68, off, s[24:27], 0 offset:348 ; 4-byte Folded Reload
	s_waitcnt lgkmcnt(0)
	v_mul_f64 v[98:99], v[95:96], v[102:103]
	v_fma_f64 v[98:99], v[93:94], v[125:126], -v[98:99]
	v_mul_f64 v[93:94], v[93:94], v[102:103]
	v_fma_f64 v[93:94], v[95:96], v[125:126], v[93:94]
	s_waitcnt vmcnt(2)
	v_add_f64 v[65:66], v[65:66], -v[98:99]
	s_waitcnt vmcnt(0)
	v_add_f64 v[67:68], v[67:68], -v[93:94]
	buffer_store_dword v65, off, s[24:27], 0 offset:336 ; 4-byte Folded Spill
	s_nop 0
	buffer_store_dword v66, off, s[24:27], 0 offset:340 ; 4-byte Folded Spill
	buffer_store_dword v67, off, s[24:27], 0 offset:344 ; 4-byte Folded Spill
	buffer_store_dword v68, off, s[24:27], 0 offset:348 ; 4-byte Folded Spill
	;; [unrolled: 19-line block ×22, first 2 shown]
	ds_read2_b64 v[93:96], v90 offset0:48 offset1:49
	s_waitcnt lgkmcnt(0)
	v_mul_f64 v[98:99], v[95:96], v[102:103]
	v_fma_f64 v[98:99], v[93:94], v[125:126], -v[98:99]
	v_mul_f64 v[93:94], v[93:94], v[102:103]
	v_add_f64 v[85:86], v[85:86], -v[98:99]
	v_fma_f64 v[93:94], v[95:96], v[125:126], v[93:94]
	v_add_f64 v[87:88], v[87:88], -v[93:94]
	ds_read2_b64 v[93:96], v90 offset0:50 offset1:51
	s_waitcnt lgkmcnt(0)
	v_mul_f64 v[98:99], v[95:96], v[102:103]
	v_fma_f64 v[98:99], v[93:94], v[125:126], -v[98:99]
	v_mul_f64 v[93:94], v[93:94], v[102:103]
	v_add_f64 v[107:108], v[107:108], -v[98:99]
	v_fma_f64 v[93:94], v[95:96], v[125:126], v[93:94]
	v_add_f64 v[109:110], v[109:110], -v[93:94]
	;; [unrolled: 8-line block ×7, first 2 shown]
	ds_read2_b64 v[93:96], v90 offset0:62 offset1:63
	buffer_load_dword v65, off, s[24:27], 0 ; 4-byte Folded Reload
	buffer_load_dword v66, off, s[24:27], 0 offset:4 ; 4-byte Folded Reload
	buffer_load_dword v67, off, s[24:27], 0 offset:8 ; 4-byte Folded Reload
	;; [unrolled: 1-line block ×3, first 2 shown]
	s_waitcnt lgkmcnt(0)
	v_mul_f64 v[98:99], v[95:96], v[102:103]
	v_fma_f64 v[98:99], v[93:94], v[125:126], -v[98:99]
	v_mul_f64 v[93:94], v[93:94], v[102:103]
	v_fma_f64 v[93:94], v[95:96], v[125:126], v[93:94]
	s_waitcnt vmcnt(2)
	v_add_f64 v[65:66], v[65:66], -v[98:99]
	s_waitcnt vmcnt(0)
	v_add_f64 v[67:68], v[67:68], -v[93:94]
	buffer_store_dword v65, off, s[24:27], 0 ; 4-byte Folded Spill
	s_nop 0
	buffer_store_dword v66, off, s[24:27], 0 offset:4 ; 4-byte Folded Spill
	buffer_store_dword v67, off, s[24:27], 0 offset:8 ; 4-byte Folded Spill
	;; [unrolled: 1-line block ×3, first 2 shown]
	ds_read2_b64 v[93:96], v90 offset0:64 offset1:65
	s_waitcnt lgkmcnt(0)
	v_mul_f64 v[98:99], v[95:96], v[102:103]
	v_fma_f64 v[98:99], v[93:94], v[125:126], -v[98:99]
	v_mul_f64 v[93:94], v[93:94], v[102:103]
	v_add_f64 v[61:62], v[61:62], -v[98:99]
	v_fma_f64 v[93:94], v[95:96], v[125:126], v[93:94]
	v_add_f64 v[63:64], v[63:64], -v[93:94]
	ds_read2_b64 v[93:96], v90 offset0:66 offset1:67
	s_waitcnt lgkmcnt(0)
	v_mul_f64 v[98:99], v[95:96], v[102:103]
	v_fma_f64 v[98:99], v[93:94], v[125:126], -v[98:99]
	v_mul_f64 v[93:94], v[93:94], v[102:103]
	v_add_f64 v[57:58], v[57:58], -v[98:99]
	v_fma_f64 v[93:94], v[95:96], v[125:126], v[93:94]
	v_add_f64 v[59:60], v[59:60], -v[93:94]
	;; [unrolled: 8-line block ×15, first 2 shown]
	ds_read2_b64 v[93:96], v90 offset0:94 offset1:95
	s_waitcnt lgkmcnt(0)
	v_mul_f64 v[98:99], v[95:96], v[102:103]
	v_fma_f64 v[98:99], v[93:94], v[125:126], -v[98:99]
	v_mul_f64 v[93:94], v[93:94], v[102:103]
	v_add_f64 v[1:2], v[1:2], -v[98:99]
	v_fma_f64 v[93:94], v[95:96], v[125:126], v[93:94]
	ds_read2_b64 v[98:101], v90 offset0:96 offset1:97
	s_waitcnt lgkmcnt(0)
	v_mul_f64 v[95:96], v[98:99], v[102:103]
	v_add_f64 v[3:4], v[3:4], -v[93:94]
	v_mul_f64 v[93:94], v[100:101], v[102:103]
	v_fma_f64 v[95:96], v[100:101], v[125:126], v[95:96]
	v_mov_b32_e32 v100, v125
	v_mov_b32_e32 v101, v126
	v_fma_f64 v[93:94], v[98:99], v[125:126], -v[93:94]
	buffer_store_dword v100, off, s[24:27], 0 offset:376 ; 4-byte Folded Spill
	s_nop 0
	buffer_store_dword v101, off, s[24:27], 0 offset:380 ; 4-byte Folded Spill
	buffer_store_dword v102, off, s[24:27], 0 offset:384 ; 4-byte Folded Spill
	;; [unrolled: 1-line block ×3, first 2 shown]
	v_add_f64 v[123:124], v[123:124], -v[95:96]
	v_add_f64 v[121:122], v[121:122], -v[93:94]
.LBB96_41:
	s_or_b64 exec, exec, s[0:1]
	s_waitcnt vmcnt(0)
	s_barrier
	buffer_load_dword v65, off, s[24:27], 0 offset:360 ; 4-byte Folded Reload
	buffer_load_dword v66, off, s[24:27], 0 offset:364 ; 4-byte Folded Reload
	;; [unrolled: 1-line block ×4, first 2 shown]
	v_lshl_add_u32 v93, v92, 4, v90
	s_cmp_lt_i32 s3, 4
	s_waitcnt vmcnt(0)
	ds_write2_b64 v93, v[65:66], v[67:68] offset1:1
	s_waitcnt lgkmcnt(0)
	s_barrier
	ds_read2_b64 v[117:120], v90 offset0:4 offset1:5
	v_mov_b32_e32 v93, 2
	s_cbranch_scc1 .LBB96_44
; %bb.42:
	v_add3_u32 v94, v97, 0, 48
	s_mov_b32 s0, 3
	v_mov_b32_e32 v93, 2
.LBB96_43:                              ; =>This Inner Loop Header: Depth=1
	s_waitcnt lgkmcnt(0)
	v_cmp_gt_f64_e32 vcc, 0, v[117:118]
	v_xor_b32_e32 v95, 0x80000000, v118
	ds_read2_b64 v[98:101], v94 offset1:1
	v_xor_b32_e32 v102, 0x80000000, v120
	v_add_u32_e32 v94, 16, v94
	s_waitcnt lgkmcnt(0)
	v_xor_b32_e32 v104, 0x80000000, v101
	v_cndmask_b32_e32 v96, v118, v95, vcc
	v_cmp_gt_f64_e32 vcc, 0, v[119:120]
	v_mov_b32_e32 v95, v117
	v_cndmask_b32_e32 v103, v120, v102, vcc
	v_cmp_gt_f64_e32 vcc, 0, v[98:99]
	v_mov_b32_e32 v102, v119
	v_add_f64 v[95:96], v[95:96], v[102:103]
	v_xor_b32_e32 v102, 0x80000000, v99
	v_cndmask_b32_e32 v103, v99, v102, vcc
	v_cmp_gt_f64_e32 vcc, 0, v[100:101]
	v_mov_b32_e32 v102, v98
	v_cndmask_b32_e32 v105, v101, v104, vcc
	v_mov_b32_e32 v104, v100
	v_add_f64 v[102:103], v[102:103], v[104:105]
	v_cmp_lt_f64_e32 vcc, v[95:96], v[102:103]
	v_mov_b32_e32 v95, s0
	s_add_i32 s0, s0, 1
	s_cmp_lg_u32 s3, s0
	v_cndmask_b32_e32 v118, v118, v99, vcc
	v_cndmask_b32_e32 v117, v117, v98, vcc
	;; [unrolled: 1-line block ×5, first 2 shown]
	s_cbranch_scc1 .LBB96_43
.LBB96_44:
	s_waitcnt lgkmcnt(0)
	v_cmp_eq_f64_e32 vcc, 0, v[117:118]
	v_cmp_eq_f64_e64 s[0:1], 0, v[119:120]
	s_and_b64 s[0:1], vcc, s[0:1]
	s_and_saveexec_b64 s[18:19], s[0:1]
	s_xor_b64 s[0:1], exec, s[18:19]
; %bb.45:
	v_cmp_ne_u32_e32 vcc, 0, v91
	v_cndmask_b32_e32 v91, 3, v91, vcc
; %bb.46:
	s_andn2_saveexec_b64 s[0:1], s[0:1]
	s_cbranch_execz .LBB96_52
; %bb.47:
	v_cmp_ngt_f64_e64 s[18:19], |v[117:118]|, |v[119:120]|
	s_and_saveexec_b64 s[20:21], s[18:19]
	s_xor_b64 s[18:19], exec, s[20:21]
	s_cbranch_execz .LBB96_49
; %bb.48:
	v_div_scale_f64 v[94:95], s[20:21], v[119:120], v[119:120], v[117:118]
	v_mov_b32_e32 v65, v85
	v_mov_b32_e32 v66, v86
	v_mov_b32_e32 v67, v87
	v_mov_b32_e32 v68, v88
	v_mov_b32_e32 v85, v107
	v_mov_b32_e32 v86, v108
	v_mov_b32_e32 v87, v109
	v_mov_b32_e32 v88, v110
	v_rcp_f64_e32 v[98:99], v[94:95]
	v_fma_f64 v[100:101], -v[94:95], v[98:99], 1.0
	v_fma_f64 v[98:99], v[98:99], v[100:101], v[98:99]
	v_div_scale_f64 v[100:101], vcc, v[117:118], v[119:120], v[117:118]
	v_fma_f64 v[102:103], -v[94:95], v[98:99], 1.0
	v_fma_f64 v[98:99], v[98:99], v[102:103], v[98:99]
	v_mul_f64 v[102:103], v[100:101], v[98:99]
	v_fma_f64 v[94:95], -v[94:95], v[102:103], v[100:101]
	v_div_fmas_f64 v[94:95], v[94:95], v[98:99], v[102:103]
	v_div_fixup_f64 v[94:95], v[94:95], v[119:120], v[117:118]
	v_fma_f64 v[98:99], v[117:118], v[94:95], v[119:120]
	v_div_scale_f64 v[100:101], s[20:21], v[98:99], v[98:99], 1.0
	v_div_scale_f64 v[106:107], vcc, 1.0, v[98:99], 1.0
	v_rcp_f64_e32 v[102:103], v[100:101]
	v_fma_f64 v[104:105], -v[100:101], v[102:103], 1.0
	v_fma_f64 v[102:103], v[102:103], v[104:105], v[102:103]
	v_fma_f64 v[104:105], -v[100:101], v[102:103], 1.0
	v_fma_f64 v[102:103], v[102:103], v[104:105], v[102:103]
	v_mul_f64 v[104:105], v[106:107], v[102:103]
	v_fma_f64 v[100:101], -v[100:101], v[104:105], v[106:107]
	v_mov_b32_e32 v110, v88
	v_mov_b32_e32 v109, v87
	;; [unrolled: 1-line block ×7, first 2 shown]
	v_div_fmas_f64 v[100:101], v[100:101], v[102:103], v[104:105]
	v_mov_b32_e32 v85, v65
	v_div_fixup_f64 v[119:120], v[100:101], v[98:99], 1.0
	v_mul_f64 v[117:118], v[94:95], v[119:120]
	v_xor_b32_e32 v120, 0x80000000, v120
.LBB96_49:
	s_andn2_saveexec_b64 s[18:19], s[18:19]
	s_cbranch_execz .LBB96_51
; %bb.50:
	v_div_scale_f64 v[94:95], s[20:21], v[117:118], v[117:118], v[119:120]
	v_mov_b32_e32 v65, v85
	v_mov_b32_e32 v66, v86
	;; [unrolled: 1-line block ×8, first 2 shown]
	v_rcp_f64_e32 v[98:99], v[94:95]
	v_fma_f64 v[100:101], -v[94:95], v[98:99], 1.0
	v_fma_f64 v[98:99], v[98:99], v[100:101], v[98:99]
	v_div_scale_f64 v[100:101], vcc, v[119:120], v[117:118], v[119:120]
	v_fma_f64 v[102:103], -v[94:95], v[98:99], 1.0
	v_fma_f64 v[98:99], v[98:99], v[102:103], v[98:99]
	v_mul_f64 v[102:103], v[100:101], v[98:99]
	v_fma_f64 v[94:95], -v[94:95], v[102:103], v[100:101]
	v_div_fmas_f64 v[94:95], v[94:95], v[98:99], v[102:103]
	v_div_fixup_f64 v[94:95], v[94:95], v[117:118], v[119:120]
	v_fma_f64 v[98:99], v[119:120], v[94:95], v[117:118]
	v_div_scale_f64 v[100:101], s[20:21], v[98:99], v[98:99], 1.0
	v_div_scale_f64 v[106:107], vcc, 1.0, v[98:99], 1.0
	v_rcp_f64_e32 v[102:103], v[100:101]
	v_fma_f64 v[104:105], -v[100:101], v[102:103], 1.0
	v_fma_f64 v[102:103], v[102:103], v[104:105], v[102:103]
	v_fma_f64 v[104:105], -v[100:101], v[102:103], 1.0
	v_fma_f64 v[102:103], v[102:103], v[104:105], v[102:103]
	v_mul_f64 v[104:105], v[106:107], v[102:103]
	v_fma_f64 v[100:101], -v[100:101], v[104:105], v[106:107]
	v_mov_b32_e32 v110, v88
	v_mov_b32_e32 v109, v87
	;; [unrolled: 1-line block ×7, first 2 shown]
	v_div_fmas_f64 v[100:101], v[100:101], v[102:103], v[104:105]
	v_mov_b32_e32 v85, v65
	v_div_fixup_f64 v[117:118], v[100:101], v[98:99], 1.0
	v_mul_f64 v[119:120], v[94:95], -v[117:118]
.LBB96_51:
	s_or_b64 exec, exec, s[18:19]
.LBB96_52:
	s_or_b64 exec, exec, s[0:1]
	v_cmp_ne_u32_e32 vcc, v92, v93
	s_and_saveexec_b64 s[0:1], vcc
	s_xor_b64 s[0:1], exec, s[0:1]
	s_cbranch_execz .LBB96_58
; %bb.53:
	v_cmp_eq_u32_e32 vcc, 2, v92
	s_and_saveexec_b64 s[18:19], vcc
	s_cbranch_execz .LBB96_57
; %bb.54:
	v_cmp_ne_u32_e32 vcc, 2, v93
	s_xor_b64 s[20:21], s[6:7], -1
	s_and_b64 s[22:23], s[20:21], vcc
	s_and_saveexec_b64 s[20:21], s[22:23]
	s_cbranch_execz .LBB96_56
; %bb.55:
	v_mov_b32_e32 v65, v85
	v_mov_b32_e32 v66, v86
	;; [unrolled: 1-line block ×4, first 2 shown]
	buffer_load_dword v85, off, s[24:27], 0 offset:352 ; 4-byte Folded Reload
	buffer_load_dword v86, off, s[24:27], 0 offset:356 ; 4-byte Folded Reload
	v_ashrrev_i32_e32 v94, 31, v93
	v_lshlrev_b64 v[94:95], 2, v[93:94]
	s_waitcnt vmcnt(1)
	v_add_co_u32_e32 v94, vcc, v85, v94
	s_waitcnt vmcnt(0)
	v_addc_co_u32_e32 v95, vcc, v86, v95, vcc
	global_load_dword v0, v[94:95], off
	global_load_dword v92, v[85:86], off offset:8
	s_waitcnt vmcnt(1)
	global_store_dword v[85:86], v0, off offset:8
	v_mov_b32_e32 v88, v68
	v_mov_b32_e32 v87, v67
	v_mov_b32_e32 v86, v66
	v_mov_b32_e32 v85, v65
	s_waitcnt vmcnt(1)
	global_store_dword v[94:95], v92, off
.LBB96_56:
	s_or_b64 exec, exec, s[20:21]
	v_mov_b32_e32 v92, v93
	v_mov_b32_e32 v0, v93
.LBB96_57:
	s_or_b64 exec, exec, s[18:19]
.LBB96_58:
	s_andn2_saveexec_b64 s[0:1], s[0:1]
	s_cbranch_execz .LBB96_60
; %bb.59:
	buffer_load_dword v65, off, s[24:27], 0 offset:336 ; 4-byte Folded Reload
	buffer_load_dword v66, off, s[24:27], 0 offset:340 ; 4-byte Folded Reload
	buffer_load_dword v67, off, s[24:27], 0 offset:344 ; 4-byte Folded Reload
	buffer_load_dword v68, off, s[24:27], 0 offset:348 ; 4-byte Folded Reload
	v_mov_b32_e32 v92, 2
	s_waitcnt vmcnt(0)
	ds_write2_b64 v90, v[65:66], v[67:68] offset0:6 offset1:7
	buffer_load_dword v65, off, s[24:27], 0 offset:320 ; 4-byte Folded Reload
	buffer_load_dword v66, off, s[24:27], 0 offset:324 ; 4-byte Folded Reload
	buffer_load_dword v67, off, s[24:27], 0 offset:328 ; 4-byte Folded Reload
	buffer_load_dword v68, off, s[24:27], 0 offset:332 ; 4-byte Folded Reload
	s_waitcnt vmcnt(0)
	ds_write2_b64 v90, v[65:66], v[67:68] offset0:8 offset1:9
	buffer_load_dword v65, off, s[24:27], 0 offset:304 ; 4-byte Folded Reload
	buffer_load_dword v66, off, s[24:27], 0 offset:308 ; 4-byte Folded Reload
	buffer_load_dword v67, off, s[24:27], 0 offset:312 ; 4-byte Folded Reload
	buffer_load_dword v68, off, s[24:27], 0 offset:316 ; 4-byte Folded Reload
	;; [unrolled: 6-line block ×20, first 2 shown]
	s_waitcnt vmcnt(0)
	ds_write2_b64 v90, v[65:66], v[67:68] offset0:46 offset1:47
	ds_write2_b64 v90, v[85:86], v[87:88] offset0:48 offset1:49
	;; [unrolled: 1-line block ×8, first 2 shown]
	buffer_load_dword v65, off, s[24:27], 0 ; 4-byte Folded Reload
	buffer_load_dword v66, off, s[24:27], 0 offset:4 ; 4-byte Folded Reload
	buffer_load_dword v67, off, s[24:27], 0 offset:8 ; 4-byte Folded Reload
	;; [unrolled: 1-line block ×3, first 2 shown]
	s_waitcnt vmcnt(0)
	ds_write2_b64 v90, v[65:66], v[67:68] offset0:62 offset1:63
	ds_write2_b64 v90, v[61:62], v[63:64] offset0:64 offset1:65
	ds_write2_b64 v90, v[57:58], v[59:60] offset0:66 offset1:67
	ds_write2_b64 v90, v[53:54], v[55:56] offset0:68 offset1:69
	ds_write2_b64 v90, v[49:50], v[51:52] offset0:70 offset1:71
	ds_write2_b64 v90, v[45:46], v[47:48] offset0:72 offset1:73
	ds_write2_b64 v90, v[41:42], v[43:44] offset0:74 offset1:75
	ds_write2_b64 v90, v[37:38], v[39:40] offset0:76 offset1:77
	ds_write2_b64 v90, v[33:34], v[35:36] offset0:78 offset1:79
	ds_write2_b64 v90, v[29:30], v[31:32] offset0:80 offset1:81
	ds_write2_b64 v90, v[25:26], v[27:28] offset0:82 offset1:83
	ds_write2_b64 v90, v[21:22], v[23:24] offset0:84 offset1:85
	ds_write2_b64 v90, v[17:18], v[19:20] offset0:86 offset1:87
	ds_write2_b64 v90, v[13:14], v[15:16] offset0:88 offset1:89
	ds_write2_b64 v90, v[9:10], v[11:12] offset0:90 offset1:91
	ds_write2_b64 v90, v[5:6], v[7:8] offset0:92 offset1:93
	ds_write2_b64 v90, v[1:2], v[3:4] offset0:94 offset1:95
	ds_write2_b64 v90, v[121:122], v[123:124] offset0:96 offset1:97
.LBB96_60:
	s_or_b64 exec, exec, s[0:1]
	v_cmp_lt_i32_e32 vcc, 2, v92
	s_waitcnt vmcnt(0) lgkmcnt(0)
	s_barrier
	s_and_saveexec_b64 s[0:1], vcc
	s_cbranch_execz .LBB96_62
; %bb.61:
	buffer_load_dword v100, off, s[24:27], 0 offset:360 ; 4-byte Folded Reload
	buffer_load_dword v101, off, s[24:27], 0 offset:364 ; 4-byte Folded Reload
	;; [unrolled: 1-line block ×4, first 2 shown]
	s_waitcnt vmcnt(0)
	v_mul_f64 v[93:94], v[119:120], v[102:103]
	v_fma_f64 v[125:126], v[117:118], v[100:101], -v[93:94]
	v_mul_f64 v[93:94], v[117:118], v[102:103]
	v_fma_f64 v[102:103], v[119:120], v[100:101], v[93:94]
	ds_read2_b64 v[93:96], v90 offset0:6 offset1:7
	buffer_load_dword v65, off, s[24:27], 0 offset:336 ; 4-byte Folded Reload
	buffer_load_dword v66, off, s[24:27], 0 offset:340 ; 4-byte Folded Reload
	buffer_load_dword v67, off, s[24:27], 0 offset:344 ; 4-byte Folded Reload
	buffer_load_dword v68, off, s[24:27], 0 offset:348 ; 4-byte Folded Reload
	s_waitcnt lgkmcnt(0)
	v_mul_f64 v[98:99], v[95:96], v[102:103]
	v_fma_f64 v[98:99], v[93:94], v[125:126], -v[98:99]
	v_mul_f64 v[93:94], v[93:94], v[102:103]
	v_fma_f64 v[93:94], v[95:96], v[125:126], v[93:94]
	s_waitcnt vmcnt(2)
	v_add_f64 v[65:66], v[65:66], -v[98:99]
	s_waitcnt vmcnt(0)
	v_add_f64 v[67:68], v[67:68], -v[93:94]
	buffer_store_dword v65, off, s[24:27], 0 offset:336 ; 4-byte Folded Spill
	s_nop 0
	buffer_store_dword v66, off, s[24:27], 0 offset:340 ; 4-byte Folded Spill
	buffer_store_dword v67, off, s[24:27], 0 offset:344 ; 4-byte Folded Spill
	buffer_store_dword v68, off, s[24:27], 0 offset:348 ; 4-byte Folded Spill
	ds_read2_b64 v[93:96], v90 offset0:8 offset1:9
	buffer_load_dword v65, off, s[24:27], 0 offset:320 ; 4-byte Folded Reload
	buffer_load_dword v66, off, s[24:27], 0 offset:324 ; 4-byte Folded Reload
	buffer_load_dword v67, off, s[24:27], 0 offset:328 ; 4-byte Folded Reload
	buffer_load_dword v68, off, s[24:27], 0 offset:332 ; 4-byte Folded Reload
	s_waitcnt lgkmcnt(0)
	v_mul_f64 v[98:99], v[95:96], v[102:103]
	v_fma_f64 v[98:99], v[93:94], v[125:126], -v[98:99]
	v_mul_f64 v[93:94], v[93:94], v[102:103]
	v_fma_f64 v[93:94], v[95:96], v[125:126], v[93:94]
	s_waitcnt vmcnt(2)
	v_add_f64 v[65:66], v[65:66], -v[98:99]
	s_waitcnt vmcnt(0)
	v_add_f64 v[67:68], v[67:68], -v[93:94]
	buffer_store_dword v65, off, s[24:27], 0 offset:320 ; 4-byte Folded Spill
	s_nop 0
	buffer_store_dword v66, off, s[24:27], 0 offset:324 ; 4-byte Folded Spill
	buffer_store_dword v67, off, s[24:27], 0 offset:328 ; 4-byte Folded Spill
	buffer_store_dword v68, off, s[24:27], 0 offset:332 ; 4-byte Folded Spill
	;; [unrolled: 19-line block ×21, first 2 shown]
	ds_read2_b64 v[93:96], v90 offset0:48 offset1:49
	s_waitcnt lgkmcnt(0)
	v_mul_f64 v[98:99], v[95:96], v[102:103]
	v_fma_f64 v[98:99], v[93:94], v[125:126], -v[98:99]
	v_mul_f64 v[93:94], v[93:94], v[102:103]
	v_add_f64 v[85:86], v[85:86], -v[98:99]
	v_fma_f64 v[93:94], v[95:96], v[125:126], v[93:94]
	v_add_f64 v[87:88], v[87:88], -v[93:94]
	ds_read2_b64 v[93:96], v90 offset0:50 offset1:51
	s_waitcnt lgkmcnt(0)
	v_mul_f64 v[98:99], v[95:96], v[102:103]
	v_fma_f64 v[98:99], v[93:94], v[125:126], -v[98:99]
	v_mul_f64 v[93:94], v[93:94], v[102:103]
	v_add_f64 v[107:108], v[107:108], -v[98:99]
	v_fma_f64 v[93:94], v[95:96], v[125:126], v[93:94]
	v_add_f64 v[109:110], v[109:110], -v[93:94]
	;; [unrolled: 8-line block ×7, first 2 shown]
	ds_read2_b64 v[93:96], v90 offset0:62 offset1:63
	buffer_load_dword v65, off, s[24:27], 0 ; 4-byte Folded Reload
	buffer_load_dword v66, off, s[24:27], 0 offset:4 ; 4-byte Folded Reload
	buffer_load_dword v67, off, s[24:27], 0 offset:8 ; 4-byte Folded Reload
	;; [unrolled: 1-line block ×3, first 2 shown]
	s_waitcnt lgkmcnt(0)
	v_mul_f64 v[98:99], v[95:96], v[102:103]
	v_fma_f64 v[98:99], v[93:94], v[125:126], -v[98:99]
	v_mul_f64 v[93:94], v[93:94], v[102:103]
	v_fma_f64 v[93:94], v[95:96], v[125:126], v[93:94]
	s_waitcnt vmcnt(2)
	v_add_f64 v[65:66], v[65:66], -v[98:99]
	s_waitcnt vmcnt(0)
	v_add_f64 v[67:68], v[67:68], -v[93:94]
	buffer_store_dword v65, off, s[24:27], 0 ; 4-byte Folded Spill
	s_nop 0
	buffer_store_dword v66, off, s[24:27], 0 offset:4 ; 4-byte Folded Spill
	buffer_store_dword v67, off, s[24:27], 0 offset:8 ; 4-byte Folded Spill
	;; [unrolled: 1-line block ×3, first 2 shown]
	ds_read2_b64 v[93:96], v90 offset0:64 offset1:65
	s_waitcnt lgkmcnt(0)
	v_mul_f64 v[98:99], v[95:96], v[102:103]
	v_fma_f64 v[98:99], v[93:94], v[125:126], -v[98:99]
	v_mul_f64 v[93:94], v[93:94], v[102:103]
	v_add_f64 v[61:62], v[61:62], -v[98:99]
	v_fma_f64 v[93:94], v[95:96], v[125:126], v[93:94]
	v_add_f64 v[63:64], v[63:64], -v[93:94]
	ds_read2_b64 v[93:96], v90 offset0:66 offset1:67
	s_waitcnt lgkmcnt(0)
	v_mul_f64 v[98:99], v[95:96], v[102:103]
	v_fma_f64 v[98:99], v[93:94], v[125:126], -v[98:99]
	v_mul_f64 v[93:94], v[93:94], v[102:103]
	v_add_f64 v[57:58], v[57:58], -v[98:99]
	v_fma_f64 v[93:94], v[95:96], v[125:126], v[93:94]
	v_add_f64 v[59:60], v[59:60], -v[93:94]
	;; [unrolled: 8-line block ×15, first 2 shown]
	ds_read2_b64 v[93:96], v90 offset0:94 offset1:95
	s_waitcnt lgkmcnt(0)
	v_mul_f64 v[98:99], v[95:96], v[102:103]
	v_fma_f64 v[98:99], v[93:94], v[125:126], -v[98:99]
	v_mul_f64 v[93:94], v[93:94], v[102:103]
	v_add_f64 v[1:2], v[1:2], -v[98:99]
	v_fma_f64 v[93:94], v[95:96], v[125:126], v[93:94]
	ds_read2_b64 v[98:101], v90 offset0:96 offset1:97
	s_waitcnt lgkmcnt(0)
	v_mul_f64 v[95:96], v[98:99], v[102:103]
	v_add_f64 v[3:4], v[3:4], -v[93:94]
	v_mul_f64 v[93:94], v[100:101], v[102:103]
	v_fma_f64 v[95:96], v[100:101], v[125:126], v[95:96]
	v_mov_b32_e32 v100, v125
	v_mov_b32_e32 v101, v126
	v_fma_f64 v[93:94], v[98:99], v[125:126], -v[93:94]
	buffer_store_dword v100, off, s[24:27], 0 offset:360 ; 4-byte Folded Spill
	s_nop 0
	buffer_store_dword v101, off, s[24:27], 0 offset:364 ; 4-byte Folded Spill
	buffer_store_dword v102, off, s[24:27], 0 offset:368 ; 4-byte Folded Spill
	;; [unrolled: 1-line block ×3, first 2 shown]
	v_add_f64 v[123:124], v[123:124], -v[95:96]
	v_add_f64 v[121:122], v[121:122], -v[93:94]
.LBB96_62:
	s_or_b64 exec, exec, s[0:1]
	s_waitcnt vmcnt(0)
	s_barrier
	buffer_load_dword v65, off, s[24:27], 0 offset:336 ; 4-byte Folded Reload
	buffer_load_dword v66, off, s[24:27], 0 offset:340 ; 4-byte Folded Reload
	;; [unrolled: 1-line block ×4, first 2 shown]
	v_lshl_add_u32 v93, v92, 4, v90
	s_mov_b32 s0, 4
	s_cmp_lt_i32 s3, 5
	s_waitcnt vmcnt(0)
	ds_write2_b64 v93, v[65:66], v[67:68] offset1:1
	s_waitcnt lgkmcnt(0)
	s_barrier
	ds_read2_b64 v[117:120], v90 offset0:6 offset1:7
	v_mov_b32_e32 v93, 3
	s_cbranch_scc1 .LBB96_65
; %bb.63:
	v_add3_u32 v94, v97, 0, 64
	v_mov_b32_e32 v93, 3
.LBB96_64:                              ; =>This Inner Loop Header: Depth=1
	s_waitcnt lgkmcnt(0)
	v_cmp_gt_f64_e32 vcc, 0, v[117:118]
	v_xor_b32_e32 v99, 0x80000000, v118
	ds_read2_b64 v[95:98], v94 offset1:1
	v_xor_b32_e32 v101, 0x80000000, v120
	v_add_u32_e32 v94, 16, v94
	s_waitcnt lgkmcnt(0)
	v_xor_b32_e32 v103, 0x80000000, v98
	v_cndmask_b32_e32 v100, v118, v99, vcc
	v_cmp_gt_f64_e32 vcc, 0, v[119:120]
	v_mov_b32_e32 v99, v117
	v_cndmask_b32_e32 v102, v120, v101, vcc
	v_cmp_gt_f64_e32 vcc, 0, v[95:96]
	v_mov_b32_e32 v101, v119
	v_add_f64 v[99:100], v[99:100], v[101:102]
	v_xor_b32_e32 v101, 0x80000000, v96
	v_cndmask_b32_e32 v102, v96, v101, vcc
	v_cmp_gt_f64_e32 vcc, 0, v[97:98]
	v_mov_b32_e32 v101, v95
	v_cndmask_b32_e32 v104, v98, v103, vcc
	v_mov_b32_e32 v103, v97
	v_add_f64 v[101:102], v[101:102], v[103:104]
	v_cmp_lt_f64_e32 vcc, v[99:100], v[101:102]
	v_cndmask_b32_e32 v117, v117, v95, vcc
	v_mov_b32_e32 v95, s0
	s_add_i32 s0, s0, 1
	v_cndmask_b32_e32 v118, v118, v96, vcc
	v_cndmask_b32_e32 v120, v120, v98, vcc
	;; [unrolled: 1-line block ×4, first 2 shown]
	s_cmp_lg_u32 s3, s0
	s_cbranch_scc1 .LBB96_64
.LBB96_65:
	s_waitcnt lgkmcnt(0)
	v_cmp_eq_f64_e32 vcc, 0, v[117:118]
	v_cmp_eq_f64_e64 s[0:1], 0, v[119:120]
	s_and_b64 s[0:1], vcc, s[0:1]
	s_and_saveexec_b64 s[18:19], s[0:1]
	s_xor_b64 s[0:1], exec, s[18:19]
; %bb.66:
	v_cmp_ne_u32_e32 vcc, 0, v91
	v_cndmask_b32_e32 v91, 4, v91, vcc
; %bb.67:
	s_andn2_saveexec_b64 s[0:1], s[0:1]
	s_cbranch_execz .LBB96_73
; %bb.68:
	v_cmp_ngt_f64_e64 s[18:19], |v[117:118]|, |v[119:120]|
	s_and_saveexec_b64 s[20:21], s[18:19]
	s_xor_b64 s[18:19], exec, s[20:21]
	s_cbranch_execz .LBB96_70
; %bb.69:
	v_div_scale_f64 v[94:95], s[20:21], v[119:120], v[119:120], v[117:118]
	v_rcp_f64_e32 v[96:97], v[94:95]
	v_fma_f64 v[98:99], -v[94:95], v[96:97], 1.0
	v_fma_f64 v[96:97], v[96:97], v[98:99], v[96:97]
	v_div_scale_f64 v[98:99], vcc, v[117:118], v[119:120], v[117:118]
	v_fma_f64 v[100:101], -v[94:95], v[96:97], 1.0
	v_fma_f64 v[96:97], v[96:97], v[100:101], v[96:97]
	v_mul_f64 v[100:101], v[98:99], v[96:97]
	v_fma_f64 v[94:95], -v[94:95], v[100:101], v[98:99]
	v_div_fmas_f64 v[94:95], v[94:95], v[96:97], v[100:101]
	v_div_fixup_f64 v[94:95], v[94:95], v[119:120], v[117:118]
	v_fma_f64 v[96:97], v[117:118], v[94:95], v[119:120]
	v_div_scale_f64 v[98:99], s[20:21], v[96:97], v[96:97], 1.0
	v_div_scale_f64 v[104:105], vcc, 1.0, v[96:97], 1.0
	v_rcp_f64_e32 v[100:101], v[98:99]
	v_fma_f64 v[102:103], -v[98:99], v[100:101], 1.0
	v_fma_f64 v[100:101], v[100:101], v[102:103], v[100:101]
	v_fma_f64 v[102:103], -v[98:99], v[100:101], 1.0
	v_fma_f64 v[100:101], v[100:101], v[102:103], v[100:101]
	v_mul_f64 v[102:103], v[104:105], v[100:101]
	v_fma_f64 v[98:99], -v[98:99], v[102:103], v[104:105]
	v_div_fmas_f64 v[98:99], v[98:99], v[100:101], v[102:103]
	v_div_fixup_f64 v[119:120], v[98:99], v[96:97], 1.0
	v_mul_f64 v[117:118], v[94:95], v[119:120]
	v_xor_b32_e32 v120, 0x80000000, v120
.LBB96_70:
	s_andn2_saveexec_b64 s[18:19], s[18:19]
	s_cbranch_execz .LBB96_72
; %bb.71:
	v_div_scale_f64 v[94:95], s[20:21], v[117:118], v[117:118], v[119:120]
	v_rcp_f64_e32 v[96:97], v[94:95]
	v_fma_f64 v[98:99], -v[94:95], v[96:97], 1.0
	v_fma_f64 v[96:97], v[96:97], v[98:99], v[96:97]
	v_div_scale_f64 v[98:99], vcc, v[119:120], v[117:118], v[119:120]
	v_fma_f64 v[100:101], -v[94:95], v[96:97], 1.0
	v_fma_f64 v[96:97], v[96:97], v[100:101], v[96:97]
	v_mul_f64 v[100:101], v[98:99], v[96:97]
	v_fma_f64 v[94:95], -v[94:95], v[100:101], v[98:99]
	v_div_fmas_f64 v[94:95], v[94:95], v[96:97], v[100:101]
	v_div_fixup_f64 v[94:95], v[94:95], v[117:118], v[119:120]
	v_fma_f64 v[96:97], v[119:120], v[94:95], v[117:118]
	v_div_scale_f64 v[98:99], s[20:21], v[96:97], v[96:97], 1.0
	v_div_scale_f64 v[104:105], vcc, 1.0, v[96:97], 1.0
	v_rcp_f64_e32 v[100:101], v[98:99]
	v_fma_f64 v[102:103], -v[98:99], v[100:101], 1.0
	v_fma_f64 v[100:101], v[100:101], v[102:103], v[100:101]
	v_fma_f64 v[102:103], -v[98:99], v[100:101], 1.0
	v_fma_f64 v[100:101], v[100:101], v[102:103], v[100:101]
	v_mul_f64 v[102:103], v[104:105], v[100:101]
	v_fma_f64 v[98:99], -v[98:99], v[102:103], v[104:105]
	v_div_fmas_f64 v[98:99], v[98:99], v[100:101], v[102:103]
	v_div_fixup_f64 v[117:118], v[98:99], v[96:97], 1.0
	v_mul_f64 v[119:120], v[94:95], -v[117:118]
.LBB96_72:
	s_or_b64 exec, exec, s[18:19]
.LBB96_73:
	s_or_b64 exec, exec, s[0:1]
	v_cmp_ne_u32_e32 vcc, v92, v93
	s_and_saveexec_b64 s[0:1], vcc
	s_xor_b64 s[0:1], exec, s[0:1]
	s_cbranch_execz .LBB96_79
; %bb.74:
	v_cmp_eq_u32_e32 vcc, 3, v92
	s_and_saveexec_b64 s[18:19], vcc
	s_cbranch_execz .LBB96_78
; %bb.75:
	v_cmp_ne_u32_e32 vcc, 3, v93
	s_xor_b64 s[20:21], s[6:7], -1
	s_and_b64 s[22:23], s[20:21], vcc
	s_and_saveexec_b64 s[20:21], s[22:23]
	s_cbranch_execz .LBB96_77
; %bb.76:
	v_mov_b32_e32 v65, v85
	v_mov_b32_e32 v66, v86
	;; [unrolled: 1-line block ×4, first 2 shown]
	buffer_load_dword v85, off, s[24:27], 0 offset:352 ; 4-byte Folded Reload
	buffer_load_dword v86, off, s[24:27], 0 offset:356 ; 4-byte Folded Reload
	v_ashrrev_i32_e32 v94, 31, v93
	v_lshlrev_b64 v[94:95], 2, v[93:94]
	s_waitcnt vmcnt(1)
	v_add_co_u32_e32 v94, vcc, v85, v94
	s_waitcnt vmcnt(0)
	v_addc_co_u32_e32 v95, vcc, v86, v95, vcc
	global_load_dword v0, v[94:95], off
	global_load_dword v92, v[85:86], off offset:12
	s_waitcnt vmcnt(1)
	global_store_dword v[85:86], v0, off offset:12
	v_mov_b32_e32 v88, v68
	v_mov_b32_e32 v87, v67
	;; [unrolled: 1-line block ×4, first 2 shown]
	s_waitcnt vmcnt(1)
	global_store_dword v[94:95], v92, off
.LBB96_77:
	s_or_b64 exec, exec, s[20:21]
	v_mov_b32_e32 v92, v93
	v_mov_b32_e32 v0, v93
.LBB96_78:
	s_or_b64 exec, exec, s[18:19]
.LBB96_79:
	s_andn2_saveexec_b64 s[0:1], s[0:1]
	s_cbranch_execz .LBB96_81
; %bb.80:
	buffer_load_dword v65, off, s[24:27], 0 offset:320 ; 4-byte Folded Reload
	buffer_load_dword v66, off, s[24:27], 0 offset:324 ; 4-byte Folded Reload
	;; [unrolled: 1-line block ×4, first 2 shown]
	v_mov_b32_e32 v92, 3
	s_waitcnt vmcnt(0)
	ds_write2_b64 v90, v[65:66], v[67:68] offset0:8 offset1:9
	buffer_load_dword v65, off, s[24:27], 0 offset:304 ; 4-byte Folded Reload
	buffer_load_dword v66, off, s[24:27], 0 offset:308 ; 4-byte Folded Reload
	buffer_load_dword v67, off, s[24:27], 0 offset:312 ; 4-byte Folded Reload
	buffer_load_dword v68, off, s[24:27], 0 offset:316 ; 4-byte Folded Reload
	s_waitcnt vmcnt(0)
	ds_write2_b64 v90, v[65:66], v[67:68] offset0:10 offset1:11
	buffer_load_dword v65, off, s[24:27], 0 offset:288 ; 4-byte Folded Reload
	buffer_load_dword v66, off, s[24:27], 0 offset:292 ; 4-byte Folded Reload
	buffer_load_dword v67, off, s[24:27], 0 offset:296 ; 4-byte Folded Reload
	buffer_load_dword v68, off, s[24:27], 0 offset:300 ; 4-byte Folded Reload
	;; [unrolled: 6-line block ×19, first 2 shown]
	s_waitcnt vmcnt(0)
	ds_write2_b64 v90, v[65:66], v[67:68] offset0:46 offset1:47
	ds_write2_b64 v90, v[85:86], v[87:88] offset0:48 offset1:49
	;; [unrolled: 1-line block ×8, first 2 shown]
	buffer_load_dword v65, off, s[24:27], 0 ; 4-byte Folded Reload
	buffer_load_dword v66, off, s[24:27], 0 offset:4 ; 4-byte Folded Reload
	buffer_load_dword v67, off, s[24:27], 0 offset:8 ; 4-byte Folded Reload
	;; [unrolled: 1-line block ×3, first 2 shown]
	s_waitcnt vmcnt(0)
	ds_write2_b64 v90, v[65:66], v[67:68] offset0:62 offset1:63
	ds_write2_b64 v90, v[61:62], v[63:64] offset0:64 offset1:65
	ds_write2_b64 v90, v[57:58], v[59:60] offset0:66 offset1:67
	ds_write2_b64 v90, v[53:54], v[55:56] offset0:68 offset1:69
	ds_write2_b64 v90, v[49:50], v[51:52] offset0:70 offset1:71
	ds_write2_b64 v90, v[45:46], v[47:48] offset0:72 offset1:73
	ds_write2_b64 v90, v[41:42], v[43:44] offset0:74 offset1:75
	ds_write2_b64 v90, v[37:38], v[39:40] offset0:76 offset1:77
	ds_write2_b64 v90, v[33:34], v[35:36] offset0:78 offset1:79
	ds_write2_b64 v90, v[29:30], v[31:32] offset0:80 offset1:81
	ds_write2_b64 v90, v[25:26], v[27:28] offset0:82 offset1:83
	ds_write2_b64 v90, v[21:22], v[23:24] offset0:84 offset1:85
	ds_write2_b64 v90, v[17:18], v[19:20] offset0:86 offset1:87
	ds_write2_b64 v90, v[13:14], v[15:16] offset0:88 offset1:89
	ds_write2_b64 v90, v[9:10], v[11:12] offset0:90 offset1:91
	ds_write2_b64 v90, v[5:6], v[7:8] offset0:92 offset1:93
	ds_write2_b64 v90, v[1:2], v[3:4] offset0:94 offset1:95
	ds_write2_b64 v90, v[121:122], v[123:124] offset0:96 offset1:97
.LBB96_81:
	s_or_b64 exec, exec, s[0:1]
	v_cmp_lt_i32_e32 vcc, 3, v92
	s_waitcnt vmcnt(0) lgkmcnt(0)
	s_barrier
	s_and_saveexec_b64 s[0:1], vcc
	s_cbranch_execz .LBB96_83
; %bb.82:
	buffer_load_dword v97, off, s[24:27], 0 offset:336 ; 4-byte Folded Reload
	buffer_load_dword v98, off, s[24:27], 0 offset:340 ; 4-byte Folded Reload
	;; [unrolled: 1-line block ×4, first 2 shown]
	s_waitcnt vmcnt(0)
	v_mul_f64 v[93:94], v[119:120], v[99:100]
	v_fma_f64 v[125:126], v[117:118], v[97:98], -v[93:94]
	v_mul_f64 v[93:94], v[117:118], v[99:100]
	v_fma_f64 v[99:100], v[119:120], v[97:98], v[93:94]
	ds_read2_b64 v[93:96], v90 offset0:8 offset1:9
	buffer_load_dword v65, off, s[24:27], 0 offset:320 ; 4-byte Folded Reload
	buffer_load_dword v66, off, s[24:27], 0 offset:324 ; 4-byte Folded Reload
	buffer_load_dword v67, off, s[24:27], 0 offset:328 ; 4-byte Folded Reload
	buffer_load_dword v68, off, s[24:27], 0 offset:332 ; 4-byte Folded Reload
	s_waitcnt lgkmcnt(0)
	v_mul_f64 v[97:98], v[95:96], v[99:100]
	v_fma_f64 v[97:98], v[93:94], v[125:126], -v[97:98]
	v_mul_f64 v[93:94], v[93:94], v[99:100]
	v_fma_f64 v[93:94], v[95:96], v[125:126], v[93:94]
	s_waitcnt vmcnt(2)
	v_add_f64 v[65:66], v[65:66], -v[97:98]
	s_waitcnt vmcnt(0)
	v_add_f64 v[67:68], v[67:68], -v[93:94]
	buffer_store_dword v65, off, s[24:27], 0 offset:320 ; 4-byte Folded Spill
	s_nop 0
	buffer_store_dword v66, off, s[24:27], 0 offset:324 ; 4-byte Folded Spill
	buffer_store_dword v67, off, s[24:27], 0 offset:328 ; 4-byte Folded Spill
	buffer_store_dword v68, off, s[24:27], 0 offset:332 ; 4-byte Folded Spill
	ds_read2_b64 v[93:96], v90 offset0:10 offset1:11
	buffer_load_dword v65, off, s[24:27], 0 offset:304 ; 4-byte Folded Reload
	buffer_load_dword v66, off, s[24:27], 0 offset:308 ; 4-byte Folded Reload
	buffer_load_dword v67, off, s[24:27], 0 offset:312 ; 4-byte Folded Reload
	buffer_load_dword v68, off, s[24:27], 0 offset:316 ; 4-byte Folded Reload
	s_waitcnt lgkmcnt(0)
	v_mul_f64 v[97:98], v[95:96], v[99:100]
	v_fma_f64 v[97:98], v[93:94], v[125:126], -v[97:98]
	v_mul_f64 v[93:94], v[93:94], v[99:100]
	v_fma_f64 v[93:94], v[95:96], v[125:126], v[93:94]
	s_waitcnt vmcnt(2)
	v_add_f64 v[65:66], v[65:66], -v[97:98]
	s_waitcnt vmcnt(0)
	v_add_f64 v[67:68], v[67:68], -v[93:94]
	buffer_store_dword v65, off, s[24:27], 0 offset:304 ; 4-byte Folded Spill
	s_nop 0
	buffer_store_dword v66, off, s[24:27], 0 offset:308 ; 4-byte Folded Spill
	buffer_store_dword v67, off, s[24:27], 0 offset:312 ; 4-byte Folded Spill
	buffer_store_dword v68, off, s[24:27], 0 offset:316 ; 4-byte Folded Spill
	;; [unrolled: 19-line block ×20, first 2 shown]
	ds_read2_b64 v[93:96], v90 offset0:48 offset1:49
	s_waitcnt lgkmcnt(0)
	v_mul_f64 v[97:98], v[95:96], v[99:100]
	v_fma_f64 v[97:98], v[93:94], v[125:126], -v[97:98]
	v_mul_f64 v[93:94], v[93:94], v[99:100]
	v_add_f64 v[85:86], v[85:86], -v[97:98]
	v_fma_f64 v[93:94], v[95:96], v[125:126], v[93:94]
	v_add_f64 v[87:88], v[87:88], -v[93:94]
	ds_read2_b64 v[93:96], v90 offset0:50 offset1:51
	s_waitcnt lgkmcnt(0)
	v_mul_f64 v[97:98], v[95:96], v[99:100]
	v_fma_f64 v[97:98], v[93:94], v[125:126], -v[97:98]
	v_mul_f64 v[93:94], v[93:94], v[99:100]
	v_add_f64 v[107:108], v[107:108], -v[97:98]
	v_fma_f64 v[93:94], v[95:96], v[125:126], v[93:94]
	v_add_f64 v[109:110], v[109:110], -v[93:94]
	;; [unrolled: 8-line block ×7, first 2 shown]
	ds_read2_b64 v[93:96], v90 offset0:62 offset1:63
	buffer_load_dword v65, off, s[24:27], 0 ; 4-byte Folded Reload
	buffer_load_dword v66, off, s[24:27], 0 offset:4 ; 4-byte Folded Reload
	buffer_load_dword v67, off, s[24:27], 0 offset:8 ; 4-byte Folded Reload
	;; [unrolled: 1-line block ×3, first 2 shown]
	s_waitcnt lgkmcnt(0)
	v_mul_f64 v[97:98], v[95:96], v[99:100]
	v_fma_f64 v[97:98], v[93:94], v[125:126], -v[97:98]
	v_mul_f64 v[93:94], v[93:94], v[99:100]
	v_fma_f64 v[93:94], v[95:96], v[125:126], v[93:94]
	s_waitcnt vmcnt(2)
	v_add_f64 v[65:66], v[65:66], -v[97:98]
	s_waitcnt vmcnt(0)
	v_add_f64 v[67:68], v[67:68], -v[93:94]
	buffer_store_dword v65, off, s[24:27], 0 ; 4-byte Folded Spill
	s_nop 0
	buffer_store_dword v66, off, s[24:27], 0 offset:4 ; 4-byte Folded Spill
	buffer_store_dword v67, off, s[24:27], 0 offset:8 ; 4-byte Folded Spill
	;; [unrolled: 1-line block ×3, first 2 shown]
	ds_read2_b64 v[93:96], v90 offset0:64 offset1:65
	s_waitcnt lgkmcnt(0)
	v_mul_f64 v[97:98], v[95:96], v[99:100]
	v_fma_f64 v[97:98], v[93:94], v[125:126], -v[97:98]
	v_mul_f64 v[93:94], v[93:94], v[99:100]
	v_add_f64 v[61:62], v[61:62], -v[97:98]
	v_fma_f64 v[93:94], v[95:96], v[125:126], v[93:94]
	v_add_f64 v[63:64], v[63:64], -v[93:94]
	ds_read2_b64 v[93:96], v90 offset0:66 offset1:67
	s_waitcnt lgkmcnt(0)
	v_mul_f64 v[97:98], v[95:96], v[99:100]
	v_fma_f64 v[97:98], v[93:94], v[125:126], -v[97:98]
	v_mul_f64 v[93:94], v[93:94], v[99:100]
	v_add_f64 v[57:58], v[57:58], -v[97:98]
	v_fma_f64 v[93:94], v[95:96], v[125:126], v[93:94]
	v_add_f64 v[59:60], v[59:60], -v[93:94]
	;; [unrolled: 8-line block ×15, first 2 shown]
	ds_read2_b64 v[93:96], v90 offset0:94 offset1:95
	s_waitcnt lgkmcnt(0)
	v_mul_f64 v[97:98], v[95:96], v[99:100]
	v_fma_f64 v[97:98], v[93:94], v[125:126], -v[97:98]
	v_mul_f64 v[93:94], v[93:94], v[99:100]
	v_add_f64 v[1:2], v[1:2], -v[97:98]
	v_fma_f64 v[93:94], v[95:96], v[125:126], v[93:94]
	ds_read2_b64 v[95:98], v90 offset0:96 offset1:97
	v_add_f64 v[3:4], v[3:4], -v[93:94]
	s_waitcnt lgkmcnt(0)
	v_mul_f64 v[93:94], v[97:98], v[99:100]
	v_fma_f64 v[93:94], v[95:96], v[125:126], -v[93:94]
	v_mul_f64 v[95:96], v[95:96], v[99:100]
	v_add_f64 v[121:122], v[121:122], -v[93:94]
	v_fma_f64 v[95:96], v[97:98], v[125:126], v[95:96]
	v_mov_b32_e32 v97, v125
	v_mov_b32_e32 v98, v126
	buffer_store_dword v97, off, s[24:27], 0 offset:336 ; 4-byte Folded Spill
	s_nop 0
	buffer_store_dword v98, off, s[24:27], 0 offset:340 ; 4-byte Folded Spill
	buffer_store_dword v99, off, s[24:27], 0 offset:344 ; 4-byte Folded Spill
	;; [unrolled: 1-line block ×3, first 2 shown]
	v_add_f64 v[123:124], v[123:124], -v[95:96]
.LBB96_83:
	s_or_b64 exec, exec, s[0:1]
	s_waitcnt vmcnt(0)
	s_barrier
	buffer_load_dword v65, off, s[24:27], 0 offset:320 ; 4-byte Folded Reload
	buffer_load_dword v66, off, s[24:27], 0 offset:324 ; 4-byte Folded Reload
	;; [unrolled: 1-line block ×4, first 2 shown]
	v_lshl_add_u32 v93, v92, 4, v90
	s_cmp_lt_i32 s3, 6
	s_waitcnt vmcnt(0)
	ds_write2_b64 v93, v[65:66], v[67:68] offset1:1
	s_waitcnt lgkmcnt(0)
	s_barrier
	ds_read2_b64 v[117:120], v90 offset0:8 offset1:9
	v_mov_b32_e32 v93, 4
	s_cbranch_scc1 .LBB96_86
; %bb.84:
	v_mov_b32_e32 v93, 4
	v_add_u32_e32 v94, 0x50, v90
	s_mov_b32 s0, 5
.LBB96_85:                              ; =>This Inner Loop Header: Depth=1
	s_waitcnt lgkmcnt(0)
	v_cmp_gt_f64_e32 vcc, 0, v[117:118]
	v_xor_b32_e32 v99, 0x80000000, v118
	ds_read2_b64 v[95:98], v94 offset1:1
	v_xor_b32_e32 v101, 0x80000000, v120
	v_add_u32_e32 v94, 16, v94
	s_waitcnt lgkmcnt(0)
	v_xor_b32_e32 v103, 0x80000000, v98
	v_cndmask_b32_e32 v100, v118, v99, vcc
	v_cmp_gt_f64_e32 vcc, 0, v[119:120]
	v_mov_b32_e32 v99, v117
	v_cndmask_b32_e32 v102, v120, v101, vcc
	v_cmp_gt_f64_e32 vcc, 0, v[95:96]
	v_mov_b32_e32 v101, v119
	v_add_f64 v[99:100], v[99:100], v[101:102]
	v_xor_b32_e32 v101, 0x80000000, v96
	v_cndmask_b32_e32 v102, v96, v101, vcc
	v_cmp_gt_f64_e32 vcc, 0, v[97:98]
	v_mov_b32_e32 v101, v95
	v_cndmask_b32_e32 v104, v98, v103, vcc
	v_mov_b32_e32 v103, v97
	v_add_f64 v[101:102], v[101:102], v[103:104]
	v_cmp_lt_f64_e32 vcc, v[99:100], v[101:102]
	v_cndmask_b32_e32 v117, v117, v95, vcc
	v_mov_b32_e32 v95, s0
	s_add_i32 s0, s0, 1
	v_cndmask_b32_e32 v118, v118, v96, vcc
	v_cndmask_b32_e32 v120, v120, v98, vcc
	;; [unrolled: 1-line block ×4, first 2 shown]
	s_cmp_lg_u32 s3, s0
	s_cbranch_scc1 .LBB96_85
.LBB96_86:
	s_waitcnt lgkmcnt(0)
	v_cmp_eq_f64_e32 vcc, 0, v[117:118]
	v_cmp_eq_f64_e64 s[0:1], 0, v[119:120]
	s_and_b64 s[0:1], vcc, s[0:1]
	s_and_saveexec_b64 s[18:19], s[0:1]
	s_xor_b64 s[0:1], exec, s[18:19]
; %bb.87:
	v_cmp_ne_u32_e32 vcc, 0, v91
	v_cndmask_b32_e32 v91, 5, v91, vcc
; %bb.88:
	s_andn2_saveexec_b64 s[0:1], s[0:1]
	s_cbranch_execz .LBB96_94
; %bb.89:
	v_cmp_ngt_f64_e64 s[18:19], |v[117:118]|, |v[119:120]|
	s_and_saveexec_b64 s[20:21], s[18:19]
	s_xor_b64 s[18:19], exec, s[20:21]
	s_cbranch_execz .LBB96_91
; %bb.90:
	v_div_scale_f64 v[94:95], s[20:21], v[119:120], v[119:120], v[117:118]
	v_rcp_f64_e32 v[96:97], v[94:95]
	v_fma_f64 v[98:99], -v[94:95], v[96:97], 1.0
	v_fma_f64 v[96:97], v[96:97], v[98:99], v[96:97]
	v_div_scale_f64 v[98:99], vcc, v[117:118], v[119:120], v[117:118]
	v_fma_f64 v[100:101], -v[94:95], v[96:97], 1.0
	v_fma_f64 v[96:97], v[96:97], v[100:101], v[96:97]
	v_mul_f64 v[100:101], v[98:99], v[96:97]
	v_fma_f64 v[94:95], -v[94:95], v[100:101], v[98:99]
	v_div_fmas_f64 v[94:95], v[94:95], v[96:97], v[100:101]
	v_div_fixup_f64 v[94:95], v[94:95], v[119:120], v[117:118]
	v_fma_f64 v[96:97], v[117:118], v[94:95], v[119:120]
	v_div_scale_f64 v[98:99], s[20:21], v[96:97], v[96:97], 1.0
	v_div_scale_f64 v[104:105], vcc, 1.0, v[96:97], 1.0
	v_rcp_f64_e32 v[100:101], v[98:99]
	v_fma_f64 v[102:103], -v[98:99], v[100:101], 1.0
	v_fma_f64 v[100:101], v[100:101], v[102:103], v[100:101]
	v_fma_f64 v[102:103], -v[98:99], v[100:101], 1.0
	v_fma_f64 v[100:101], v[100:101], v[102:103], v[100:101]
	v_mul_f64 v[102:103], v[104:105], v[100:101]
	v_fma_f64 v[98:99], -v[98:99], v[102:103], v[104:105]
	v_div_fmas_f64 v[98:99], v[98:99], v[100:101], v[102:103]
	v_div_fixup_f64 v[119:120], v[98:99], v[96:97], 1.0
	v_mul_f64 v[117:118], v[94:95], v[119:120]
	v_xor_b32_e32 v120, 0x80000000, v120
.LBB96_91:
	s_andn2_saveexec_b64 s[18:19], s[18:19]
	s_cbranch_execz .LBB96_93
; %bb.92:
	v_div_scale_f64 v[94:95], s[20:21], v[117:118], v[117:118], v[119:120]
	v_rcp_f64_e32 v[96:97], v[94:95]
	v_fma_f64 v[98:99], -v[94:95], v[96:97], 1.0
	v_fma_f64 v[96:97], v[96:97], v[98:99], v[96:97]
	v_div_scale_f64 v[98:99], vcc, v[119:120], v[117:118], v[119:120]
	v_fma_f64 v[100:101], -v[94:95], v[96:97], 1.0
	v_fma_f64 v[96:97], v[96:97], v[100:101], v[96:97]
	v_mul_f64 v[100:101], v[98:99], v[96:97]
	v_fma_f64 v[94:95], -v[94:95], v[100:101], v[98:99]
	v_div_fmas_f64 v[94:95], v[94:95], v[96:97], v[100:101]
	v_div_fixup_f64 v[94:95], v[94:95], v[117:118], v[119:120]
	v_fma_f64 v[96:97], v[119:120], v[94:95], v[117:118]
	v_div_scale_f64 v[98:99], s[20:21], v[96:97], v[96:97], 1.0
	v_div_scale_f64 v[104:105], vcc, 1.0, v[96:97], 1.0
	v_rcp_f64_e32 v[100:101], v[98:99]
	v_fma_f64 v[102:103], -v[98:99], v[100:101], 1.0
	v_fma_f64 v[100:101], v[100:101], v[102:103], v[100:101]
	v_fma_f64 v[102:103], -v[98:99], v[100:101], 1.0
	v_fma_f64 v[100:101], v[100:101], v[102:103], v[100:101]
	v_mul_f64 v[102:103], v[104:105], v[100:101]
	v_fma_f64 v[98:99], -v[98:99], v[102:103], v[104:105]
	v_div_fmas_f64 v[98:99], v[98:99], v[100:101], v[102:103]
	v_div_fixup_f64 v[117:118], v[98:99], v[96:97], 1.0
	v_mul_f64 v[119:120], v[94:95], -v[117:118]
.LBB96_93:
	s_or_b64 exec, exec, s[18:19]
.LBB96_94:
	s_or_b64 exec, exec, s[0:1]
	v_cmp_ne_u32_e32 vcc, v92, v93
	s_and_saveexec_b64 s[0:1], vcc
	s_xor_b64 s[0:1], exec, s[0:1]
	s_cbranch_execz .LBB96_100
; %bb.95:
	v_cmp_eq_u32_e32 vcc, 4, v92
	s_and_saveexec_b64 s[18:19], vcc
	s_cbranch_execz .LBB96_99
; %bb.96:
	v_cmp_ne_u32_e32 vcc, 4, v93
	s_xor_b64 s[20:21], s[6:7], -1
	s_and_b64 s[22:23], s[20:21], vcc
	s_and_saveexec_b64 s[20:21], s[22:23]
	s_cbranch_execz .LBB96_98
; %bb.97:
	v_mov_b32_e32 v65, v85
	v_mov_b32_e32 v66, v86
	;; [unrolled: 1-line block ×4, first 2 shown]
	buffer_load_dword v85, off, s[24:27], 0 offset:352 ; 4-byte Folded Reload
	buffer_load_dword v86, off, s[24:27], 0 offset:356 ; 4-byte Folded Reload
	v_ashrrev_i32_e32 v94, 31, v93
	v_lshlrev_b64 v[94:95], 2, v[93:94]
	s_waitcnt vmcnt(1)
	v_add_co_u32_e32 v94, vcc, v85, v94
	s_waitcnt vmcnt(0)
	v_addc_co_u32_e32 v95, vcc, v86, v95, vcc
	global_load_dword v0, v[94:95], off
	global_load_dword v92, v[85:86], off offset:16
	s_waitcnt vmcnt(1)
	global_store_dword v[85:86], v0, off offset:16
	v_mov_b32_e32 v88, v68
	v_mov_b32_e32 v87, v67
	;; [unrolled: 1-line block ×4, first 2 shown]
	s_waitcnt vmcnt(1)
	global_store_dword v[94:95], v92, off
.LBB96_98:
	s_or_b64 exec, exec, s[20:21]
	v_mov_b32_e32 v92, v93
	v_mov_b32_e32 v0, v93
.LBB96_99:
	s_or_b64 exec, exec, s[18:19]
.LBB96_100:
	s_andn2_saveexec_b64 s[0:1], s[0:1]
	s_cbranch_execz .LBB96_102
; %bb.101:
	buffer_load_dword v65, off, s[24:27], 0 offset:304 ; 4-byte Folded Reload
	buffer_load_dword v66, off, s[24:27], 0 offset:308 ; 4-byte Folded Reload
	buffer_load_dword v67, off, s[24:27], 0 offset:312 ; 4-byte Folded Reload
	buffer_load_dword v68, off, s[24:27], 0 offset:316 ; 4-byte Folded Reload
	v_mov_b32_e32 v92, 4
	s_waitcnt vmcnt(0)
	ds_write2_b64 v90, v[65:66], v[67:68] offset0:10 offset1:11
	buffer_load_dword v65, off, s[24:27], 0 offset:288 ; 4-byte Folded Reload
	buffer_load_dword v66, off, s[24:27], 0 offset:292 ; 4-byte Folded Reload
	buffer_load_dword v67, off, s[24:27], 0 offset:296 ; 4-byte Folded Reload
	buffer_load_dword v68, off, s[24:27], 0 offset:300 ; 4-byte Folded Reload
	s_waitcnt vmcnt(0)
	ds_write2_b64 v90, v[65:66], v[67:68] offset0:12 offset1:13
	buffer_load_dword v65, off, s[24:27], 0 offset:272 ; 4-byte Folded Reload
	buffer_load_dword v66, off, s[24:27], 0 offset:276 ; 4-byte Folded Reload
	buffer_load_dword v67, off, s[24:27], 0 offset:280 ; 4-byte Folded Reload
	buffer_load_dword v68, off, s[24:27], 0 offset:284 ; 4-byte Folded Reload
	;; [unrolled: 6-line block ×18, first 2 shown]
	s_waitcnt vmcnt(0)
	ds_write2_b64 v90, v[65:66], v[67:68] offset0:46 offset1:47
	ds_write2_b64 v90, v[85:86], v[87:88] offset0:48 offset1:49
	;; [unrolled: 1-line block ×8, first 2 shown]
	buffer_load_dword v65, off, s[24:27], 0 ; 4-byte Folded Reload
	buffer_load_dword v66, off, s[24:27], 0 offset:4 ; 4-byte Folded Reload
	buffer_load_dword v67, off, s[24:27], 0 offset:8 ; 4-byte Folded Reload
	;; [unrolled: 1-line block ×3, first 2 shown]
	s_waitcnt vmcnt(0)
	ds_write2_b64 v90, v[65:66], v[67:68] offset0:62 offset1:63
	ds_write2_b64 v90, v[61:62], v[63:64] offset0:64 offset1:65
	;; [unrolled: 1-line block ×18, first 2 shown]
.LBB96_102:
	s_or_b64 exec, exec, s[0:1]
	v_cmp_lt_i32_e32 vcc, 4, v92
	s_waitcnt vmcnt(0) lgkmcnt(0)
	s_barrier
	s_and_saveexec_b64 s[0:1], vcc
	s_cbranch_execz .LBB96_104
; %bb.103:
	buffer_load_dword v97, off, s[24:27], 0 offset:320 ; 4-byte Folded Reload
	buffer_load_dword v98, off, s[24:27], 0 offset:324 ; 4-byte Folded Reload
	;; [unrolled: 1-line block ×4, first 2 shown]
	s_waitcnt vmcnt(0)
	v_mul_f64 v[93:94], v[119:120], v[99:100]
	v_fma_f64 v[125:126], v[117:118], v[97:98], -v[93:94]
	v_mul_f64 v[93:94], v[117:118], v[99:100]
	v_fma_f64 v[99:100], v[119:120], v[97:98], v[93:94]
	ds_read2_b64 v[93:96], v90 offset0:10 offset1:11
	buffer_load_dword v65, off, s[24:27], 0 offset:304 ; 4-byte Folded Reload
	buffer_load_dword v66, off, s[24:27], 0 offset:308 ; 4-byte Folded Reload
	buffer_load_dword v67, off, s[24:27], 0 offset:312 ; 4-byte Folded Reload
	buffer_load_dword v68, off, s[24:27], 0 offset:316 ; 4-byte Folded Reload
	s_waitcnt lgkmcnt(0)
	v_mul_f64 v[97:98], v[95:96], v[99:100]
	v_fma_f64 v[97:98], v[93:94], v[125:126], -v[97:98]
	v_mul_f64 v[93:94], v[93:94], v[99:100]
	v_fma_f64 v[93:94], v[95:96], v[125:126], v[93:94]
	s_waitcnt vmcnt(2)
	v_add_f64 v[65:66], v[65:66], -v[97:98]
	s_waitcnt vmcnt(0)
	v_add_f64 v[67:68], v[67:68], -v[93:94]
	buffer_store_dword v65, off, s[24:27], 0 offset:304 ; 4-byte Folded Spill
	s_nop 0
	buffer_store_dword v66, off, s[24:27], 0 offset:308 ; 4-byte Folded Spill
	buffer_store_dword v67, off, s[24:27], 0 offset:312 ; 4-byte Folded Spill
	buffer_store_dword v68, off, s[24:27], 0 offset:316 ; 4-byte Folded Spill
	ds_read2_b64 v[93:96], v90 offset0:12 offset1:13
	buffer_load_dword v65, off, s[24:27], 0 offset:288 ; 4-byte Folded Reload
	buffer_load_dword v66, off, s[24:27], 0 offset:292 ; 4-byte Folded Reload
	buffer_load_dword v67, off, s[24:27], 0 offset:296 ; 4-byte Folded Reload
	buffer_load_dword v68, off, s[24:27], 0 offset:300 ; 4-byte Folded Reload
	s_waitcnt lgkmcnt(0)
	v_mul_f64 v[97:98], v[95:96], v[99:100]
	v_fma_f64 v[97:98], v[93:94], v[125:126], -v[97:98]
	v_mul_f64 v[93:94], v[93:94], v[99:100]
	v_fma_f64 v[93:94], v[95:96], v[125:126], v[93:94]
	s_waitcnt vmcnt(2)
	v_add_f64 v[65:66], v[65:66], -v[97:98]
	s_waitcnt vmcnt(0)
	v_add_f64 v[67:68], v[67:68], -v[93:94]
	buffer_store_dword v65, off, s[24:27], 0 offset:288 ; 4-byte Folded Spill
	s_nop 0
	buffer_store_dword v66, off, s[24:27], 0 offset:292 ; 4-byte Folded Spill
	buffer_store_dword v67, off, s[24:27], 0 offset:296 ; 4-byte Folded Spill
	buffer_store_dword v68, off, s[24:27], 0 offset:300 ; 4-byte Folded Spill
	;; [unrolled: 19-line block ×19, first 2 shown]
	ds_read2_b64 v[93:96], v90 offset0:48 offset1:49
	s_waitcnt lgkmcnt(0)
	v_mul_f64 v[97:98], v[95:96], v[99:100]
	v_fma_f64 v[97:98], v[93:94], v[125:126], -v[97:98]
	v_mul_f64 v[93:94], v[93:94], v[99:100]
	v_add_f64 v[85:86], v[85:86], -v[97:98]
	v_fma_f64 v[93:94], v[95:96], v[125:126], v[93:94]
	v_add_f64 v[87:88], v[87:88], -v[93:94]
	ds_read2_b64 v[93:96], v90 offset0:50 offset1:51
	s_waitcnt lgkmcnt(0)
	v_mul_f64 v[97:98], v[95:96], v[99:100]
	v_fma_f64 v[97:98], v[93:94], v[125:126], -v[97:98]
	v_mul_f64 v[93:94], v[93:94], v[99:100]
	v_add_f64 v[107:108], v[107:108], -v[97:98]
	v_fma_f64 v[93:94], v[95:96], v[125:126], v[93:94]
	v_add_f64 v[109:110], v[109:110], -v[93:94]
	;; [unrolled: 8-line block ×7, first 2 shown]
	ds_read2_b64 v[93:96], v90 offset0:62 offset1:63
	buffer_load_dword v65, off, s[24:27], 0 ; 4-byte Folded Reload
	buffer_load_dword v66, off, s[24:27], 0 offset:4 ; 4-byte Folded Reload
	buffer_load_dword v67, off, s[24:27], 0 offset:8 ; 4-byte Folded Reload
	;; [unrolled: 1-line block ×3, first 2 shown]
	s_waitcnt lgkmcnt(0)
	v_mul_f64 v[97:98], v[95:96], v[99:100]
	v_fma_f64 v[97:98], v[93:94], v[125:126], -v[97:98]
	v_mul_f64 v[93:94], v[93:94], v[99:100]
	v_fma_f64 v[93:94], v[95:96], v[125:126], v[93:94]
	s_waitcnt vmcnt(2)
	v_add_f64 v[65:66], v[65:66], -v[97:98]
	s_waitcnt vmcnt(0)
	v_add_f64 v[67:68], v[67:68], -v[93:94]
	buffer_store_dword v65, off, s[24:27], 0 ; 4-byte Folded Spill
	s_nop 0
	buffer_store_dword v66, off, s[24:27], 0 offset:4 ; 4-byte Folded Spill
	buffer_store_dword v67, off, s[24:27], 0 offset:8 ; 4-byte Folded Spill
	;; [unrolled: 1-line block ×3, first 2 shown]
	ds_read2_b64 v[93:96], v90 offset0:64 offset1:65
	s_waitcnt lgkmcnt(0)
	v_mul_f64 v[97:98], v[95:96], v[99:100]
	v_fma_f64 v[97:98], v[93:94], v[125:126], -v[97:98]
	v_mul_f64 v[93:94], v[93:94], v[99:100]
	v_add_f64 v[61:62], v[61:62], -v[97:98]
	v_fma_f64 v[93:94], v[95:96], v[125:126], v[93:94]
	v_add_f64 v[63:64], v[63:64], -v[93:94]
	ds_read2_b64 v[93:96], v90 offset0:66 offset1:67
	s_waitcnt lgkmcnt(0)
	v_mul_f64 v[97:98], v[95:96], v[99:100]
	v_fma_f64 v[97:98], v[93:94], v[125:126], -v[97:98]
	v_mul_f64 v[93:94], v[93:94], v[99:100]
	v_add_f64 v[57:58], v[57:58], -v[97:98]
	v_fma_f64 v[93:94], v[95:96], v[125:126], v[93:94]
	v_add_f64 v[59:60], v[59:60], -v[93:94]
	;; [unrolled: 8-line block ×15, first 2 shown]
	ds_read2_b64 v[93:96], v90 offset0:94 offset1:95
	s_waitcnt lgkmcnt(0)
	v_mul_f64 v[97:98], v[95:96], v[99:100]
	v_fma_f64 v[97:98], v[93:94], v[125:126], -v[97:98]
	v_mul_f64 v[93:94], v[93:94], v[99:100]
	v_add_f64 v[1:2], v[1:2], -v[97:98]
	v_fma_f64 v[93:94], v[95:96], v[125:126], v[93:94]
	ds_read2_b64 v[95:98], v90 offset0:96 offset1:97
	v_add_f64 v[3:4], v[3:4], -v[93:94]
	s_waitcnt lgkmcnt(0)
	v_mul_f64 v[93:94], v[97:98], v[99:100]
	v_fma_f64 v[93:94], v[95:96], v[125:126], -v[93:94]
	v_mul_f64 v[95:96], v[95:96], v[99:100]
	v_add_f64 v[121:122], v[121:122], -v[93:94]
	v_fma_f64 v[95:96], v[97:98], v[125:126], v[95:96]
	v_mov_b32_e32 v97, v125
	v_mov_b32_e32 v98, v126
	buffer_store_dword v97, off, s[24:27], 0 offset:320 ; 4-byte Folded Spill
	s_nop 0
	buffer_store_dword v98, off, s[24:27], 0 offset:324 ; 4-byte Folded Spill
	buffer_store_dword v99, off, s[24:27], 0 offset:328 ; 4-byte Folded Spill
	buffer_store_dword v100, off, s[24:27], 0 offset:332 ; 4-byte Folded Spill
	v_add_f64 v[123:124], v[123:124], -v[95:96]
.LBB96_104:
	s_or_b64 exec, exec, s[0:1]
	s_waitcnt vmcnt(0)
	s_barrier
	buffer_load_dword v65, off, s[24:27], 0 offset:304 ; 4-byte Folded Reload
	buffer_load_dword v66, off, s[24:27], 0 offset:308 ; 4-byte Folded Reload
	;; [unrolled: 1-line block ×4, first 2 shown]
	v_lshl_add_u32 v93, v92, 4, v90
	s_cmp_lt_i32 s3, 7
	s_waitcnt vmcnt(0)
	ds_write2_b64 v93, v[65:66], v[67:68] offset1:1
	s_waitcnt lgkmcnt(0)
	s_barrier
	ds_read2_b64 v[117:120], v90 offset0:10 offset1:11
	v_mov_b32_e32 v93, 5
	s_cbranch_scc1 .LBB96_107
; %bb.105:
	v_add_u32_e32 v94, 0x60, v90
	s_mov_b32 s0, 6
	v_mov_b32_e32 v93, 5
.LBB96_106:                             ; =>This Inner Loop Header: Depth=1
	s_waitcnt lgkmcnt(0)
	v_cmp_gt_f64_e32 vcc, 0, v[117:118]
	v_xor_b32_e32 v99, 0x80000000, v118
	ds_read2_b64 v[95:98], v94 offset1:1
	v_xor_b32_e32 v101, 0x80000000, v120
	v_add_u32_e32 v94, 16, v94
	s_waitcnt lgkmcnt(0)
	v_xor_b32_e32 v103, 0x80000000, v98
	v_cndmask_b32_e32 v100, v118, v99, vcc
	v_cmp_gt_f64_e32 vcc, 0, v[119:120]
	v_mov_b32_e32 v99, v117
	v_cndmask_b32_e32 v102, v120, v101, vcc
	v_cmp_gt_f64_e32 vcc, 0, v[95:96]
	v_mov_b32_e32 v101, v119
	v_add_f64 v[99:100], v[99:100], v[101:102]
	v_xor_b32_e32 v101, 0x80000000, v96
	v_cndmask_b32_e32 v102, v96, v101, vcc
	v_cmp_gt_f64_e32 vcc, 0, v[97:98]
	v_mov_b32_e32 v101, v95
	v_cndmask_b32_e32 v104, v98, v103, vcc
	v_mov_b32_e32 v103, v97
	v_add_f64 v[101:102], v[101:102], v[103:104]
	v_cmp_lt_f64_e32 vcc, v[99:100], v[101:102]
	v_cndmask_b32_e32 v117, v117, v95, vcc
	v_mov_b32_e32 v95, s0
	s_add_i32 s0, s0, 1
	v_cndmask_b32_e32 v118, v118, v96, vcc
	v_cndmask_b32_e32 v120, v120, v98, vcc
	v_cndmask_b32_e32 v119, v119, v97, vcc
	v_cndmask_b32_e32 v93, v93, v95, vcc
	s_cmp_lg_u32 s3, s0
	s_cbranch_scc1 .LBB96_106
.LBB96_107:
	s_waitcnt lgkmcnt(0)
	v_cmp_eq_f64_e32 vcc, 0, v[117:118]
	v_cmp_eq_f64_e64 s[0:1], 0, v[119:120]
	s_and_b64 s[0:1], vcc, s[0:1]
	s_and_saveexec_b64 s[18:19], s[0:1]
	s_xor_b64 s[0:1], exec, s[18:19]
; %bb.108:
	v_cmp_ne_u32_e32 vcc, 0, v91
	v_cndmask_b32_e32 v91, 6, v91, vcc
; %bb.109:
	s_andn2_saveexec_b64 s[0:1], s[0:1]
	s_cbranch_execz .LBB96_115
; %bb.110:
	v_cmp_ngt_f64_e64 s[18:19], |v[117:118]|, |v[119:120]|
	s_and_saveexec_b64 s[20:21], s[18:19]
	s_xor_b64 s[18:19], exec, s[20:21]
	s_cbranch_execz .LBB96_112
; %bb.111:
	v_div_scale_f64 v[94:95], s[20:21], v[119:120], v[119:120], v[117:118]
	v_rcp_f64_e32 v[96:97], v[94:95]
	v_fma_f64 v[98:99], -v[94:95], v[96:97], 1.0
	v_fma_f64 v[96:97], v[96:97], v[98:99], v[96:97]
	v_div_scale_f64 v[98:99], vcc, v[117:118], v[119:120], v[117:118]
	v_fma_f64 v[100:101], -v[94:95], v[96:97], 1.0
	v_fma_f64 v[96:97], v[96:97], v[100:101], v[96:97]
	v_mul_f64 v[100:101], v[98:99], v[96:97]
	v_fma_f64 v[94:95], -v[94:95], v[100:101], v[98:99]
	v_div_fmas_f64 v[94:95], v[94:95], v[96:97], v[100:101]
	v_div_fixup_f64 v[94:95], v[94:95], v[119:120], v[117:118]
	v_fma_f64 v[96:97], v[117:118], v[94:95], v[119:120]
	v_div_scale_f64 v[98:99], s[20:21], v[96:97], v[96:97], 1.0
	v_div_scale_f64 v[104:105], vcc, 1.0, v[96:97], 1.0
	v_rcp_f64_e32 v[100:101], v[98:99]
	v_fma_f64 v[102:103], -v[98:99], v[100:101], 1.0
	v_fma_f64 v[100:101], v[100:101], v[102:103], v[100:101]
	v_fma_f64 v[102:103], -v[98:99], v[100:101], 1.0
	v_fma_f64 v[100:101], v[100:101], v[102:103], v[100:101]
	v_mul_f64 v[102:103], v[104:105], v[100:101]
	v_fma_f64 v[98:99], -v[98:99], v[102:103], v[104:105]
	v_div_fmas_f64 v[98:99], v[98:99], v[100:101], v[102:103]
	v_div_fixup_f64 v[119:120], v[98:99], v[96:97], 1.0
	v_mul_f64 v[117:118], v[94:95], v[119:120]
	v_xor_b32_e32 v120, 0x80000000, v120
.LBB96_112:
	s_andn2_saveexec_b64 s[18:19], s[18:19]
	s_cbranch_execz .LBB96_114
; %bb.113:
	v_div_scale_f64 v[94:95], s[20:21], v[117:118], v[117:118], v[119:120]
	v_rcp_f64_e32 v[96:97], v[94:95]
	v_fma_f64 v[98:99], -v[94:95], v[96:97], 1.0
	v_fma_f64 v[96:97], v[96:97], v[98:99], v[96:97]
	v_div_scale_f64 v[98:99], vcc, v[119:120], v[117:118], v[119:120]
	v_fma_f64 v[100:101], -v[94:95], v[96:97], 1.0
	v_fma_f64 v[96:97], v[96:97], v[100:101], v[96:97]
	v_mul_f64 v[100:101], v[98:99], v[96:97]
	v_fma_f64 v[94:95], -v[94:95], v[100:101], v[98:99]
	v_div_fmas_f64 v[94:95], v[94:95], v[96:97], v[100:101]
	v_div_fixup_f64 v[94:95], v[94:95], v[117:118], v[119:120]
	v_fma_f64 v[96:97], v[119:120], v[94:95], v[117:118]
	v_div_scale_f64 v[98:99], s[20:21], v[96:97], v[96:97], 1.0
	v_div_scale_f64 v[104:105], vcc, 1.0, v[96:97], 1.0
	v_rcp_f64_e32 v[100:101], v[98:99]
	v_fma_f64 v[102:103], -v[98:99], v[100:101], 1.0
	v_fma_f64 v[100:101], v[100:101], v[102:103], v[100:101]
	v_fma_f64 v[102:103], -v[98:99], v[100:101], 1.0
	v_fma_f64 v[100:101], v[100:101], v[102:103], v[100:101]
	v_mul_f64 v[102:103], v[104:105], v[100:101]
	v_fma_f64 v[98:99], -v[98:99], v[102:103], v[104:105]
	v_div_fmas_f64 v[98:99], v[98:99], v[100:101], v[102:103]
	v_div_fixup_f64 v[117:118], v[98:99], v[96:97], 1.0
	v_mul_f64 v[119:120], v[94:95], -v[117:118]
.LBB96_114:
	s_or_b64 exec, exec, s[18:19]
.LBB96_115:
	s_or_b64 exec, exec, s[0:1]
	v_cmp_ne_u32_e32 vcc, v92, v93
	s_and_saveexec_b64 s[0:1], vcc
	s_xor_b64 s[0:1], exec, s[0:1]
	s_cbranch_execz .LBB96_121
; %bb.116:
	v_cmp_eq_u32_e32 vcc, 5, v92
	s_and_saveexec_b64 s[18:19], vcc
	s_cbranch_execz .LBB96_120
; %bb.117:
	v_cmp_ne_u32_e32 vcc, 5, v93
	s_xor_b64 s[20:21], s[6:7], -1
	s_and_b64 s[22:23], s[20:21], vcc
	s_and_saveexec_b64 s[20:21], s[22:23]
	s_cbranch_execz .LBB96_119
; %bb.118:
	v_mov_b32_e32 v65, v85
	v_mov_b32_e32 v66, v86
	;; [unrolled: 1-line block ×4, first 2 shown]
	buffer_load_dword v85, off, s[24:27], 0 offset:352 ; 4-byte Folded Reload
	buffer_load_dword v86, off, s[24:27], 0 offset:356 ; 4-byte Folded Reload
	v_ashrrev_i32_e32 v94, 31, v93
	v_lshlrev_b64 v[94:95], 2, v[93:94]
	s_waitcnt vmcnt(1)
	v_add_co_u32_e32 v94, vcc, v85, v94
	s_waitcnt vmcnt(0)
	v_addc_co_u32_e32 v95, vcc, v86, v95, vcc
	global_load_dword v0, v[94:95], off
	global_load_dword v92, v[85:86], off offset:20
	s_waitcnt vmcnt(1)
	global_store_dword v[85:86], v0, off offset:20
	v_mov_b32_e32 v88, v68
	v_mov_b32_e32 v87, v67
	;; [unrolled: 1-line block ×4, first 2 shown]
	s_waitcnt vmcnt(1)
	global_store_dword v[94:95], v92, off
.LBB96_119:
	s_or_b64 exec, exec, s[20:21]
	v_mov_b32_e32 v92, v93
	v_mov_b32_e32 v0, v93
.LBB96_120:
	s_or_b64 exec, exec, s[18:19]
.LBB96_121:
	s_andn2_saveexec_b64 s[0:1], s[0:1]
	s_cbranch_execz .LBB96_123
; %bb.122:
	buffer_load_dword v65, off, s[24:27], 0 offset:288 ; 4-byte Folded Reload
	buffer_load_dword v66, off, s[24:27], 0 offset:292 ; 4-byte Folded Reload
	;; [unrolled: 1-line block ×4, first 2 shown]
	v_mov_b32_e32 v92, 5
	s_waitcnt vmcnt(0)
	ds_write2_b64 v90, v[65:66], v[67:68] offset0:12 offset1:13
	buffer_load_dword v65, off, s[24:27], 0 offset:272 ; 4-byte Folded Reload
	buffer_load_dword v66, off, s[24:27], 0 offset:276 ; 4-byte Folded Reload
	buffer_load_dword v67, off, s[24:27], 0 offset:280 ; 4-byte Folded Reload
	buffer_load_dword v68, off, s[24:27], 0 offset:284 ; 4-byte Folded Reload
	s_waitcnt vmcnt(0)
	ds_write2_b64 v90, v[65:66], v[67:68] offset0:14 offset1:15
	buffer_load_dword v65, off, s[24:27], 0 offset:256 ; 4-byte Folded Reload
	buffer_load_dword v66, off, s[24:27], 0 offset:260 ; 4-byte Folded Reload
	buffer_load_dword v67, off, s[24:27], 0 offset:264 ; 4-byte Folded Reload
	buffer_load_dword v68, off, s[24:27], 0 offset:268 ; 4-byte Folded Reload
	;; [unrolled: 6-line block ×17, first 2 shown]
	s_waitcnt vmcnt(0)
	ds_write2_b64 v90, v[65:66], v[67:68] offset0:46 offset1:47
	ds_write2_b64 v90, v[85:86], v[87:88] offset0:48 offset1:49
	;; [unrolled: 1-line block ×8, first 2 shown]
	buffer_load_dword v65, off, s[24:27], 0 ; 4-byte Folded Reload
	buffer_load_dword v66, off, s[24:27], 0 offset:4 ; 4-byte Folded Reload
	buffer_load_dword v67, off, s[24:27], 0 offset:8 ; 4-byte Folded Reload
	buffer_load_dword v68, off, s[24:27], 0 offset:12 ; 4-byte Folded Reload
	s_waitcnt vmcnt(0)
	ds_write2_b64 v90, v[65:66], v[67:68] offset0:62 offset1:63
	ds_write2_b64 v90, v[61:62], v[63:64] offset0:64 offset1:65
	;; [unrolled: 1-line block ×18, first 2 shown]
.LBB96_123:
	s_or_b64 exec, exec, s[0:1]
	v_cmp_lt_i32_e32 vcc, 5, v92
	s_waitcnt vmcnt(0) lgkmcnt(0)
	s_barrier
	s_and_saveexec_b64 s[0:1], vcc
	s_cbranch_execz .LBB96_125
; %bb.124:
	buffer_load_dword v97, off, s[24:27], 0 offset:304 ; 4-byte Folded Reload
	buffer_load_dword v98, off, s[24:27], 0 offset:308 ; 4-byte Folded Reload
	;; [unrolled: 1-line block ×4, first 2 shown]
	s_waitcnt vmcnt(0)
	v_mul_f64 v[93:94], v[119:120], v[99:100]
	v_fma_f64 v[125:126], v[117:118], v[97:98], -v[93:94]
	v_mul_f64 v[93:94], v[117:118], v[99:100]
	v_fma_f64 v[99:100], v[119:120], v[97:98], v[93:94]
	ds_read2_b64 v[93:96], v90 offset0:12 offset1:13
	buffer_load_dword v65, off, s[24:27], 0 offset:288 ; 4-byte Folded Reload
	buffer_load_dword v66, off, s[24:27], 0 offset:292 ; 4-byte Folded Reload
	buffer_load_dword v67, off, s[24:27], 0 offset:296 ; 4-byte Folded Reload
	buffer_load_dword v68, off, s[24:27], 0 offset:300 ; 4-byte Folded Reload
	s_waitcnt lgkmcnt(0)
	v_mul_f64 v[97:98], v[95:96], v[99:100]
	v_fma_f64 v[97:98], v[93:94], v[125:126], -v[97:98]
	v_mul_f64 v[93:94], v[93:94], v[99:100]
	v_fma_f64 v[93:94], v[95:96], v[125:126], v[93:94]
	s_waitcnt vmcnt(2)
	v_add_f64 v[65:66], v[65:66], -v[97:98]
	s_waitcnt vmcnt(0)
	v_add_f64 v[67:68], v[67:68], -v[93:94]
	buffer_store_dword v65, off, s[24:27], 0 offset:288 ; 4-byte Folded Spill
	s_nop 0
	buffer_store_dword v66, off, s[24:27], 0 offset:292 ; 4-byte Folded Spill
	buffer_store_dword v67, off, s[24:27], 0 offset:296 ; 4-byte Folded Spill
	buffer_store_dword v68, off, s[24:27], 0 offset:300 ; 4-byte Folded Spill
	ds_read2_b64 v[93:96], v90 offset0:14 offset1:15
	buffer_load_dword v65, off, s[24:27], 0 offset:272 ; 4-byte Folded Reload
	buffer_load_dword v66, off, s[24:27], 0 offset:276 ; 4-byte Folded Reload
	buffer_load_dword v67, off, s[24:27], 0 offset:280 ; 4-byte Folded Reload
	buffer_load_dword v68, off, s[24:27], 0 offset:284 ; 4-byte Folded Reload
	s_waitcnt lgkmcnt(0)
	v_mul_f64 v[97:98], v[95:96], v[99:100]
	v_fma_f64 v[97:98], v[93:94], v[125:126], -v[97:98]
	v_mul_f64 v[93:94], v[93:94], v[99:100]
	v_fma_f64 v[93:94], v[95:96], v[125:126], v[93:94]
	s_waitcnt vmcnt(2)
	v_add_f64 v[65:66], v[65:66], -v[97:98]
	s_waitcnt vmcnt(0)
	v_add_f64 v[67:68], v[67:68], -v[93:94]
	buffer_store_dword v65, off, s[24:27], 0 offset:272 ; 4-byte Folded Spill
	s_nop 0
	buffer_store_dword v66, off, s[24:27], 0 offset:276 ; 4-byte Folded Spill
	buffer_store_dword v67, off, s[24:27], 0 offset:280 ; 4-byte Folded Spill
	buffer_store_dword v68, off, s[24:27], 0 offset:284 ; 4-byte Folded Spill
	;; [unrolled: 19-line block ×18, first 2 shown]
	ds_read2_b64 v[93:96], v90 offset0:48 offset1:49
	s_waitcnt lgkmcnt(0)
	v_mul_f64 v[97:98], v[95:96], v[99:100]
	v_fma_f64 v[97:98], v[93:94], v[125:126], -v[97:98]
	v_mul_f64 v[93:94], v[93:94], v[99:100]
	v_add_f64 v[85:86], v[85:86], -v[97:98]
	v_fma_f64 v[93:94], v[95:96], v[125:126], v[93:94]
	v_add_f64 v[87:88], v[87:88], -v[93:94]
	ds_read2_b64 v[93:96], v90 offset0:50 offset1:51
	s_waitcnt lgkmcnt(0)
	v_mul_f64 v[97:98], v[95:96], v[99:100]
	v_fma_f64 v[97:98], v[93:94], v[125:126], -v[97:98]
	v_mul_f64 v[93:94], v[93:94], v[99:100]
	v_add_f64 v[107:108], v[107:108], -v[97:98]
	v_fma_f64 v[93:94], v[95:96], v[125:126], v[93:94]
	v_add_f64 v[109:110], v[109:110], -v[93:94]
	;; [unrolled: 8-line block ×7, first 2 shown]
	ds_read2_b64 v[93:96], v90 offset0:62 offset1:63
	buffer_load_dword v65, off, s[24:27], 0 ; 4-byte Folded Reload
	buffer_load_dword v66, off, s[24:27], 0 offset:4 ; 4-byte Folded Reload
	buffer_load_dword v67, off, s[24:27], 0 offset:8 ; 4-byte Folded Reload
	;; [unrolled: 1-line block ×3, first 2 shown]
	s_waitcnt lgkmcnt(0)
	v_mul_f64 v[97:98], v[95:96], v[99:100]
	v_fma_f64 v[97:98], v[93:94], v[125:126], -v[97:98]
	v_mul_f64 v[93:94], v[93:94], v[99:100]
	v_fma_f64 v[93:94], v[95:96], v[125:126], v[93:94]
	s_waitcnt vmcnt(2)
	v_add_f64 v[65:66], v[65:66], -v[97:98]
	s_waitcnt vmcnt(0)
	v_add_f64 v[67:68], v[67:68], -v[93:94]
	buffer_store_dword v65, off, s[24:27], 0 ; 4-byte Folded Spill
	s_nop 0
	buffer_store_dword v66, off, s[24:27], 0 offset:4 ; 4-byte Folded Spill
	buffer_store_dword v67, off, s[24:27], 0 offset:8 ; 4-byte Folded Spill
	;; [unrolled: 1-line block ×3, first 2 shown]
	ds_read2_b64 v[93:96], v90 offset0:64 offset1:65
	s_waitcnt lgkmcnt(0)
	v_mul_f64 v[97:98], v[95:96], v[99:100]
	v_fma_f64 v[97:98], v[93:94], v[125:126], -v[97:98]
	v_mul_f64 v[93:94], v[93:94], v[99:100]
	v_add_f64 v[61:62], v[61:62], -v[97:98]
	v_fma_f64 v[93:94], v[95:96], v[125:126], v[93:94]
	v_add_f64 v[63:64], v[63:64], -v[93:94]
	ds_read2_b64 v[93:96], v90 offset0:66 offset1:67
	s_waitcnt lgkmcnt(0)
	v_mul_f64 v[97:98], v[95:96], v[99:100]
	v_fma_f64 v[97:98], v[93:94], v[125:126], -v[97:98]
	v_mul_f64 v[93:94], v[93:94], v[99:100]
	v_add_f64 v[57:58], v[57:58], -v[97:98]
	v_fma_f64 v[93:94], v[95:96], v[125:126], v[93:94]
	v_add_f64 v[59:60], v[59:60], -v[93:94]
	;; [unrolled: 8-line block ×15, first 2 shown]
	ds_read2_b64 v[93:96], v90 offset0:94 offset1:95
	s_waitcnt lgkmcnt(0)
	v_mul_f64 v[97:98], v[95:96], v[99:100]
	v_fma_f64 v[97:98], v[93:94], v[125:126], -v[97:98]
	v_mul_f64 v[93:94], v[93:94], v[99:100]
	v_add_f64 v[1:2], v[1:2], -v[97:98]
	v_fma_f64 v[93:94], v[95:96], v[125:126], v[93:94]
	ds_read2_b64 v[95:98], v90 offset0:96 offset1:97
	v_add_f64 v[3:4], v[3:4], -v[93:94]
	s_waitcnt lgkmcnt(0)
	v_mul_f64 v[93:94], v[97:98], v[99:100]
	v_fma_f64 v[93:94], v[95:96], v[125:126], -v[93:94]
	v_mul_f64 v[95:96], v[95:96], v[99:100]
	v_add_f64 v[121:122], v[121:122], -v[93:94]
	v_fma_f64 v[95:96], v[97:98], v[125:126], v[95:96]
	v_mov_b32_e32 v97, v125
	v_mov_b32_e32 v98, v126
	buffer_store_dword v97, off, s[24:27], 0 offset:304 ; 4-byte Folded Spill
	s_nop 0
	buffer_store_dword v98, off, s[24:27], 0 offset:308 ; 4-byte Folded Spill
	buffer_store_dword v99, off, s[24:27], 0 offset:312 ; 4-byte Folded Spill
	;; [unrolled: 1-line block ×3, first 2 shown]
	v_add_f64 v[123:124], v[123:124], -v[95:96]
.LBB96_125:
	s_or_b64 exec, exec, s[0:1]
	s_waitcnt vmcnt(0)
	s_barrier
	buffer_load_dword v65, off, s[24:27], 0 offset:288 ; 4-byte Folded Reload
	buffer_load_dword v66, off, s[24:27], 0 offset:292 ; 4-byte Folded Reload
	;; [unrolled: 1-line block ×4, first 2 shown]
	v_lshl_add_u32 v93, v92, 4, v90
	s_cmp_lt_i32 s3, 8
	s_waitcnt vmcnt(0)
	ds_write2_b64 v93, v[65:66], v[67:68] offset1:1
	s_waitcnt lgkmcnt(0)
	s_barrier
	ds_read2_b64 v[117:120], v90 offset0:12 offset1:13
	v_mov_b32_e32 v93, 6
	s_cbranch_scc1 .LBB96_128
; %bb.126:
	v_add_u32_e32 v94, 0x70, v90
	s_mov_b32 s0, 7
	v_mov_b32_e32 v93, 6
.LBB96_127:                             ; =>This Inner Loop Header: Depth=1
	s_waitcnt lgkmcnt(0)
	v_cmp_gt_f64_e32 vcc, 0, v[117:118]
	v_xor_b32_e32 v99, 0x80000000, v118
	ds_read2_b64 v[95:98], v94 offset1:1
	v_xor_b32_e32 v101, 0x80000000, v120
	v_add_u32_e32 v94, 16, v94
	s_waitcnt lgkmcnt(0)
	v_xor_b32_e32 v103, 0x80000000, v98
	v_cndmask_b32_e32 v100, v118, v99, vcc
	v_cmp_gt_f64_e32 vcc, 0, v[119:120]
	v_mov_b32_e32 v99, v117
	v_cndmask_b32_e32 v102, v120, v101, vcc
	v_cmp_gt_f64_e32 vcc, 0, v[95:96]
	v_mov_b32_e32 v101, v119
	v_add_f64 v[99:100], v[99:100], v[101:102]
	v_xor_b32_e32 v101, 0x80000000, v96
	v_cndmask_b32_e32 v102, v96, v101, vcc
	v_cmp_gt_f64_e32 vcc, 0, v[97:98]
	v_mov_b32_e32 v101, v95
	v_cndmask_b32_e32 v104, v98, v103, vcc
	v_mov_b32_e32 v103, v97
	v_add_f64 v[101:102], v[101:102], v[103:104]
	v_cmp_lt_f64_e32 vcc, v[99:100], v[101:102]
	v_cndmask_b32_e32 v117, v117, v95, vcc
	v_mov_b32_e32 v95, s0
	s_add_i32 s0, s0, 1
	v_cndmask_b32_e32 v118, v118, v96, vcc
	v_cndmask_b32_e32 v120, v120, v98, vcc
	;; [unrolled: 1-line block ×4, first 2 shown]
	s_cmp_lg_u32 s3, s0
	s_cbranch_scc1 .LBB96_127
.LBB96_128:
	s_waitcnt lgkmcnt(0)
	v_cmp_eq_f64_e32 vcc, 0, v[117:118]
	v_cmp_eq_f64_e64 s[0:1], 0, v[119:120]
	s_and_b64 s[0:1], vcc, s[0:1]
	s_and_saveexec_b64 s[18:19], s[0:1]
	s_xor_b64 s[0:1], exec, s[18:19]
; %bb.129:
	v_cmp_ne_u32_e32 vcc, 0, v91
	v_cndmask_b32_e32 v91, 7, v91, vcc
; %bb.130:
	s_andn2_saveexec_b64 s[0:1], s[0:1]
	s_cbranch_execz .LBB96_136
; %bb.131:
	v_cmp_ngt_f64_e64 s[18:19], |v[117:118]|, |v[119:120]|
	s_and_saveexec_b64 s[20:21], s[18:19]
	s_xor_b64 s[18:19], exec, s[20:21]
	s_cbranch_execz .LBB96_133
; %bb.132:
	v_div_scale_f64 v[94:95], s[20:21], v[119:120], v[119:120], v[117:118]
	v_rcp_f64_e32 v[96:97], v[94:95]
	v_fma_f64 v[98:99], -v[94:95], v[96:97], 1.0
	v_fma_f64 v[96:97], v[96:97], v[98:99], v[96:97]
	v_div_scale_f64 v[98:99], vcc, v[117:118], v[119:120], v[117:118]
	v_fma_f64 v[100:101], -v[94:95], v[96:97], 1.0
	v_fma_f64 v[96:97], v[96:97], v[100:101], v[96:97]
	v_mul_f64 v[100:101], v[98:99], v[96:97]
	v_fma_f64 v[94:95], -v[94:95], v[100:101], v[98:99]
	v_div_fmas_f64 v[94:95], v[94:95], v[96:97], v[100:101]
	v_div_fixup_f64 v[94:95], v[94:95], v[119:120], v[117:118]
	v_fma_f64 v[96:97], v[117:118], v[94:95], v[119:120]
	v_div_scale_f64 v[98:99], s[20:21], v[96:97], v[96:97], 1.0
	v_div_scale_f64 v[104:105], vcc, 1.0, v[96:97], 1.0
	v_rcp_f64_e32 v[100:101], v[98:99]
	v_fma_f64 v[102:103], -v[98:99], v[100:101], 1.0
	v_fma_f64 v[100:101], v[100:101], v[102:103], v[100:101]
	v_fma_f64 v[102:103], -v[98:99], v[100:101], 1.0
	v_fma_f64 v[100:101], v[100:101], v[102:103], v[100:101]
	v_mul_f64 v[102:103], v[104:105], v[100:101]
	v_fma_f64 v[98:99], -v[98:99], v[102:103], v[104:105]
	v_div_fmas_f64 v[98:99], v[98:99], v[100:101], v[102:103]
	v_div_fixup_f64 v[119:120], v[98:99], v[96:97], 1.0
	v_mul_f64 v[117:118], v[94:95], v[119:120]
	v_xor_b32_e32 v120, 0x80000000, v120
.LBB96_133:
	s_andn2_saveexec_b64 s[18:19], s[18:19]
	s_cbranch_execz .LBB96_135
; %bb.134:
	v_div_scale_f64 v[94:95], s[20:21], v[117:118], v[117:118], v[119:120]
	v_rcp_f64_e32 v[96:97], v[94:95]
	v_fma_f64 v[98:99], -v[94:95], v[96:97], 1.0
	v_fma_f64 v[96:97], v[96:97], v[98:99], v[96:97]
	v_div_scale_f64 v[98:99], vcc, v[119:120], v[117:118], v[119:120]
	v_fma_f64 v[100:101], -v[94:95], v[96:97], 1.0
	v_fma_f64 v[96:97], v[96:97], v[100:101], v[96:97]
	v_mul_f64 v[100:101], v[98:99], v[96:97]
	v_fma_f64 v[94:95], -v[94:95], v[100:101], v[98:99]
	v_div_fmas_f64 v[94:95], v[94:95], v[96:97], v[100:101]
	v_div_fixup_f64 v[94:95], v[94:95], v[117:118], v[119:120]
	v_fma_f64 v[96:97], v[119:120], v[94:95], v[117:118]
	v_div_scale_f64 v[98:99], s[20:21], v[96:97], v[96:97], 1.0
	v_div_scale_f64 v[104:105], vcc, 1.0, v[96:97], 1.0
	v_rcp_f64_e32 v[100:101], v[98:99]
	v_fma_f64 v[102:103], -v[98:99], v[100:101], 1.0
	v_fma_f64 v[100:101], v[100:101], v[102:103], v[100:101]
	v_fma_f64 v[102:103], -v[98:99], v[100:101], 1.0
	v_fma_f64 v[100:101], v[100:101], v[102:103], v[100:101]
	v_mul_f64 v[102:103], v[104:105], v[100:101]
	v_fma_f64 v[98:99], -v[98:99], v[102:103], v[104:105]
	v_div_fmas_f64 v[98:99], v[98:99], v[100:101], v[102:103]
	v_div_fixup_f64 v[117:118], v[98:99], v[96:97], 1.0
	v_mul_f64 v[119:120], v[94:95], -v[117:118]
.LBB96_135:
	s_or_b64 exec, exec, s[18:19]
.LBB96_136:
	s_or_b64 exec, exec, s[0:1]
	v_cmp_ne_u32_e32 vcc, v92, v93
	s_and_saveexec_b64 s[0:1], vcc
	s_xor_b64 s[0:1], exec, s[0:1]
	s_cbranch_execz .LBB96_142
; %bb.137:
	v_cmp_eq_u32_e32 vcc, 6, v92
	s_and_saveexec_b64 s[18:19], vcc
	s_cbranch_execz .LBB96_141
; %bb.138:
	v_cmp_ne_u32_e32 vcc, 6, v93
	s_xor_b64 s[20:21], s[6:7], -1
	s_and_b64 s[22:23], s[20:21], vcc
	s_and_saveexec_b64 s[20:21], s[22:23]
	s_cbranch_execz .LBB96_140
; %bb.139:
	v_mov_b32_e32 v65, v85
	v_mov_b32_e32 v66, v86
	;; [unrolled: 1-line block ×4, first 2 shown]
	buffer_load_dword v85, off, s[24:27], 0 offset:352 ; 4-byte Folded Reload
	buffer_load_dword v86, off, s[24:27], 0 offset:356 ; 4-byte Folded Reload
	v_ashrrev_i32_e32 v94, 31, v93
	v_lshlrev_b64 v[94:95], 2, v[93:94]
	s_waitcnt vmcnt(1)
	v_add_co_u32_e32 v94, vcc, v85, v94
	s_waitcnt vmcnt(0)
	v_addc_co_u32_e32 v95, vcc, v86, v95, vcc
	global_load_dword v0, v[94:95], off
	global_load_dword v92, v[85:86], off offset:24
	s_waitcnt vmcnt(1)
	global_store_dword v[85:86], v0, off offset:24
	v_mov_b32_e32 v88, v68
	v_mov_b32_e32 v87, v67
	;; [unrolled: 1-line block ×4, first 2 shown]
	s_waitcnt vmcnt(1)
	global_store_dword v[94:95], v92, off
.LBB96_140:
	s_or_b64 exec, exec, s[20:21]
	v_mov_b32_e32 v92, v93
	v_mov_b32_e32 v0, v93
.LBB96_141:
	s_or_b64 exec, exec, s[18:19]
.LBB96_142:
	s_andn2_saveexec_b64 s[0:1], s[0:1]
	s_cbranch_execz .LBB96_144
; %bb.143:
	buffer_load_dword v65, off, s[24:27], 0 offset:272 ; 4-byte Folded Reload
	buffer_load_dword v66, off, s[24:27], 0 offset:276 ; 4-byte Folded Reload
	;; [unrolled: 1-line block ×4, first 2 shown]
	v_mov_b32_e32 v92, 6
	s_waitcnt vmcnt(0)
	ds_write2_b64 v90, v[65:66], v[67:68] offset0:14 offset1:15
	buffer_load_dword v65, off, s[24:27], 0 offset:256 ; 4-byte Folded Reload
	buffer_load_dword v66, off, s[24:27], 0 offset:260 ; 4-byte Folded Reload
	buffer_load_dword v67, off, s[24:27], 0 offset:264 ; 4-byte Folded Reload
	buffer_load_dword v68, off, s[24:27], 0 offset:268 ; 4-byte Folded Reload
	s_waitcnt vmcnt(0)
	ds_write2_b64 v90, v[65:66], v[67:68] offset0:16 offset1:17
	buffer_load_dword v65, off, s[24:27], 0 offset:240 ; 4-byte Folded Reload
	buffer_load_dword v66, off, s[24:27], 0 offset:244 ; 4-byte Folded Reload
	buffer_load_dword v67, off, s[24:27], 0 offset:248 ; 4-byte Folded Reload
	buffer_load_dword v68, off, s[24:27], 0 offset:252 ; 4-byte Folded Reload
	;; [unrolled: 6-line block ×16, first 2 shown]
	s_waitcnt vmcnt(0)
	ds_write2_b64 v90, v[65:66], v[67:68] offset0:46 offset1:47
	ds_write2_b64 v90, v[85:86], v[87:88] offset0:48 offset1:49
	;; [unrolled: 1-line block ×8, first 2 shown]
	buffer_load_dword v65, off, s[24:27], 0 ; 4-byte Folded Reload
	buffer_load_dword v66, off, s[24:27], 0 offset:4 ; 4-byte Folded Reload
	buffer_load_dword v67, off, s[24:27], 0 offset:8 ; 4-byte Folded Reload
	;; [unrolled: 1-line block ×3, first 2 shown]
	s_waitcnt vmcnt(0)
	ds_write2_b64 v90, v[65:66], v[67:68] offset0:62 offset1:63
	ds_write2_b64 v90, v[61:62], v[63:64] offset0:64 offset1:65
	;; [unrolled: 1-line block ×18, first 2 shown]
.LBB96_144:
	s_or_b64 exec, exec, s[0:1]
	v_cmp_lt_i32_e32 vcc, 6, v92
	s_waitcnt vmcnt(0) lgkmcnt(0)
	s_barrier
	s_and_saveexec_b64 s[0:1], vcc
	s_cbranch_execz .LBB96_146
; %bb.145:
	buffer_load_dword v97, off, s[24:27], 0 offset:288 ; 4-byte Folded Reload
	buffer_load_dword v98, off, s[24:27], 0 offset:292 ; 4-byte Folded Reload
	;; [unrolled: 1-line block ×4, first 2 shown]
	s_waitcnt vmcnt(0)
	v_mul_f64 v[93:94], v[119:120], v[99:100]
	v_fma_f64 v[125:126], v[117:118], v[97:98], -v[93:94]
	v_mul_f64 v[93:94], v[117:118], v[99:100]
	v_fma_f64 v[99:100], v[119:120], v[97:98], v[93:94]
	ds_read2_b64 v[93:96], v90 offset0:14 offset1:15
	buffer_load_dword v65, off, s[24:27], 0 offset:272 ; 4-byte Folded Reload
	buffer_load_dword v66, off, s[24:27], 0 offset:276 ; 4-byte Folded Reload
	buffer_load_dword v67, off, s[24:27], 0 offset:280 ; 4-byte Folded Reload
	buffer_load_dword v68, off, s[24:27], 0 offset:284 ; 4-byte Folded Reload
	s_waitcnt lgkmcnt(0)
	v_mul_f64 v[97:98], v[95:96], v[99:100]
	v_fma_f64 v[97:98], v[93:94], v[125:126], -v[97:98]
	v_mul_f64 v[93:94], v[93:94], v[99:100]
	v_fma_f64 v[93:94], v[95:96], v[125:126], v[93:94]
	s_waitcnt vmcnt(2)
	v_add_f64 v[65:66], v[65:66], -v[97:98]
	s_waitcnt vmcnt(0)
	v_add_f64 v[67:68], v[67:68], -v[93:94]
	buffer_store_dword v65, off, s[24:27], 0 offset:272 ; 4-byte Folded Spill
	s_nop 0
	buffer_store_dword v66, off, s[24:27], 0 offset:276 ; 4-byte Folded Spill
	buffer_store_dword v67, off, s[24:27], 0 offset:280 ; 4-byte Folded Spill
	buffer_store_dword v68, off, s[24:27], 0 offset:284 ; 4-byte Folded Spill
	ds_read2_b64 v[93:96], v90 offset0:16 offset1:17
	buffer_load_dword v65, off, s[24:27], 0 offset:256 ; 4-byte Folded Reload
	buffer_load_dword v66, off, s[24:27], 0 offset:260 ; 4-byte Folded Reload
	buffer_load_dword v67, off, s[24:27], 0 offset:264 ; 4-byte Folded Reload
	buffer_load_dword v68, off, s[24:27], 0 offset:268 ; 4-byte Folded Reload
	s_waitcnt lgkmcnt(0)
	v_mul_f64 v[97:98], v[95:96], v[99:100]
	v_fma_f64 v[97:98], v[93:94], v[125:126], -v[97:98]
	v_mul_f64 v[93:94], v[93:94], v[99:100]
	v_fma_f64 v[93:94], v[95:96], v[125:126], v[93:94]
	s_waitcnt vmcnt(2)
	v_add_f64 v[65:66], v[65:66], -v[97:98]
	s_waitcnt vmcnt(0)
	v_add_f64 v[67:68], v[67:68], -v[93:94]
	buffer_store_dword v65, off, s[24:27], 0 offset:256 ; 4-byte Folded Spill
	s_nop 0
	buffer_store_dword v66, off, s[24:27], 0 offset:260 ; 4-byte Folded Spill
	buffer_store_dword v67, off, s[24:27], 0 offset:264 ; 4-byte Folded Spill
	buffer_store_dword v68, off, s[24:27], 0 offset:268 ; 4-byte Folded Spill
	;; [unrolled: 19-line block ×17, first 2 shown]
	ds_read2_b64 v[93:96], v90 offset0:48 offset1:49
	s_waitcnt lgkmcnt(0)
	v_mul_f64 v[97:98], v[95:96], v[99:100]
	v_fma_f64 v[97:98], v[93:94], v[125:126], -v[97:98]
	v_mul_f64 v[93:94], v[93:94], v[99:100]
	v_add_f64 v[85:86], v[85:86], -v[97:98]
	v_fma_f64 v[93:94], v[95:96], v[125:126], v[93:94]
	v_add_f64 v[87:88], v[87:88], -v[93:94]
	ds_read2_b64 v[93:96], v90 offset0:50 offset1:51
	s_waitcnt lgkmcnt(0)
	v_mul_f64 v[97:98], v[95:96], v[99:100]
	v_fma_f64 v[97:98], v[93:94], v[125:126], -v[97:98]
	v_mul_f64 v[93:94], v[93:94], v[99:100]
	v_add_f64 v[107:108], v[107:108], -v[97:98]
	v_fma_f64 v[93:94], v[95:96], v[125:126], v[93:94]
	v_add_f64 v[109:110], v[109:110], -v[93:94]
	;; [unrolled: 8-line block ×7, first 2 shown]
	ds_read2_b64 v[93:96], v90 offset0:62 offset1:63
	buffer_load_dword v65, off, s[24:27], 0 ; 4-byte Folded Reload
	buffer_load_dword v66, off, s[24:27], 0 offset:4 ; 4-byte Folded Reload
	buffer_load_dword v67, off, s[24:27], 0 offset:8 ; 4-byte Folded Reload
	;; [unrolled: 1-line block ×3, first 2 shown]
	s_waitcnt lgkmcnt(0)
	v_mul_f64 v[97:98], v[95:96], v[99:100]
	v_fma_f64 v[97:98], v[93:94], v[125:126], -v[97:98]
	v_mul_f64 v[93:94], v[93:94], v[99:100]
	v_fma_f64 v[93:94], v[95:96], v[125:126], v[93:94]
	s_waitcnt vmcnt(2)
	v_add_f64 v[65:66], v[65:66], -v[97:98]
	s_waitcnt vmcnt(0)
	v_add_f64 v[67:68], v[67:68], -v[93:94]
	buffer_store_dword v65, off, s[24:27], 0 ; 4-byte Folded Spill
	s_nop 0
	buffer_store_dword v66, off, s[24:27], 0 offset:4 ; 4-byte Folded Spill
	buffer_store_dword v67, off, s[24:27], 0 offset:8 ; 4-byte Folded Spill
	;; [unrolled: 1-line block ×3, first 2 shown]
	ds_read2_b64 v[93:96], v90 offset0:64 offset1:65
	s_waitcnt lgkmcnt(0)
	v_mul_f64 v[97:98], v[95:96], v[99:100]
	v_fma_f64 v[97:98], v[93:94], v[125:126], -v[97:98]
	v_mul_f64 v[93:94], v[93:94], v[99:100]
	v_add_f64 v[61:62], v[61:62], -v[97:98]
	v_fma_f64 v[93:94], v[95:96], v[125:126], v[93:94]
	v_add_f64 v[63:64], v[63:64], -v[93:94]
	ds_read2_b64 v[93:96], v90 offset0:66 offset1:67
	s_waitcnt lgkmcnt(0)
	v_mul_f64 v[97:98], v[95:96], v[99:100]
	v_fma_f64 v[97:98], v[93:94], v[125:126], -v[97:98]
	v_mul_f64 v[93:94], v[93:94], v[99:100]
	v_add_f64 v[57:58], v[57:58], -v[97:98]
	v_fma_f64 v[93:94], v[95:96], v[125:126], v[93:94]
	v_add_f64 v[59:60], v[59:60], -v[93:94]
	;; [unrolled: 8-line block ×16, first 2 shown]
	ds_read2_b64 v[93:96], v90 offset0:96 offset1:97
	s_waitcnt lgkmcnt(0)
	v_mul_f64 v[97:98], v[95:96], v[99:100]
	v_fma_f64 v[97:98], v[93:94], v[125:126], -v[97:98]
	v_mul_f64 v[93:94], v[93:94], v[99:100]
	v_add_f64 v[121:122], v[121:122], -v[97:98]
	v_fma_f64 v[93:94], v[95:96], v[125:126], v[93:94]
	v_mov_b32_e32 v97, v125
	v_mov_b32_e32 v98, v126
	buffer_store_dword v97, off, s[24:27], 0 offset:288 ; 4-byte Folded Spill
	s_nop 0
	buffer_store_dword v98, off, s[24:27], 0 offset:292 ; 4-byte Folded Spill
	buffer_store_dword v99, off, s[24:27], 0 offset:296 ; 4-byte Folded Spill
	;; [unrolled: 1-line block ×3, first 2 shown]
	v_add_f64 v[123:124], v[123:124], -v[93:94]
.LBB96_146:
	s_or_b64 exec, exec, s[0:1]
	s_waitcnt vmcnt(0)
	s_barrier
	buffer_load_dword v65, off, s[24:27], 0 offset:272 ; 4-byte Folded Reload
	buffer_load_dword v66, off, s[24:27], 0 offset:276 ; 4-byte Folded Reload
	;; [unrolled: 1-line block ×4, first 2 shown]
	v_lshl_add_u32 v93, v92, 4, v90
	s_cmp_lt_i32 s3, 9
	s_waitcnt vmcnt(0)
	ds_write2_b64 v93, v[65:66], v[67:68] offset1:1
	s_waitcnt lgkmcnt(0)
	s_barrier
	ds_read2_b64 v[117:120], v90 offset0:14 offset1:15
	v_mov_b32_e32 v93, 7
	s_cbranch_scc1 .LBB96_149
; %bb.147:
	v_add_u32_e32 v94, 0x80, v90
	s_mov_b32 s0, 8
	v_mov_b32_e32 v93, 7
.LBB96_148:                             ; =>This Inner Loop Header: Depth=1
	s_waitcnt lgkmcnt(0)
	v_cmp_gt_f64_e32 vcc, 0, v[117:118]
	v_xor_b32_e32 v99, 0x80000000, v118
	ds_read2_b64 v[95:98], v94 offset1:1
	v_xor_b32_e32 v101, 0x80000000, v120
	v_add_u32_e32 v94, 16, v94
	s_waitcnt lgkmcnt(0)
	v_xor_b32_e32 v103, 0x80000000, v98
	v_cndmask_b32_e32 v100, v118, v99, vcc
	v_cmp_gt_f64_e32 vcc, 0, v[119:120]
	v_mov_b32_e32 v99, v117
	v_cndmask_b32_e32 v102, v120, v101, vcc
	v_cmp_gt_f64_e32 vcc, 0, v[95:96]
	v_mov_b32_e32 v101, v119
	v_add_f64 v[99:100], v[99:100], v[101:102]
	v_xor_b32_e32 v101, 0x80000000, v96
	v_cndmask_b32_e32 v102, v96, v101, vcc
	v_cmp_gt_f64_e32 vcc, 0, v[97:98]
	v_mov_b32_e32 v101, v95
	v_cndmask_b32_e32 v104, v98, v103, vcc
	v_mov_b32_e32 v103, v97
	v_add_f64 v[101:102], v[101:102], v[103:104]
	v_cmp_lt_f64_e32 vcc, v[99:100], v[101:102]
	v_cndmask_b32_e32 v117, v117, v95, vcc
	v_mov_b32_e32 v95, s0
	s_add_i32 s0, s0, 1
	v_cndmask_b32_e32 v118, v118, v96, vcc
	v_cndmask_b32_e32 v120, v120, v98, vcc
	;; [unrolled: 1-line block ×4, first 2 shown]
	s_cmp_lg_u32 s3, s0
	s_cbranch_scc1 .LBB96_148
.LBB96_149:
	s_waitcnt lgkmcnt(0)
	v_cmp_eq_f64_e32 vcc, 0, v[117:118]
	v_cmp_eq_f64_e64 s[0:1], 0, v[119:120]
	s_and_b64 s[0:1], vcc, s[0:1]
	s_and_saveexec_b64 s[18:19], s[0:1]
	s_xor_b64 s[0:1], exec, s[18:19]
; %bb.150:
	v_cmp_ne_u32_e32 vcc, 0, v91
	v_cndmask_b32_e32 v91, 8, v91, vcc
; %bb.151:
	s_andn2_saveexec_b64 s[0:1], s[0:1]
	s_cbranch_execz .LBB96_157
; %bb.152:
	v_cmp_ngt_f64_e64 s[18:19], |v[117:118]|, |v[119:120]|
	s_and_saveexec_b64 s[20:21], s[18:19]
	s_xor_b64 s[18:19], exec, s[20:21]
	s_cbranch_execz .LBB96_154
; %bb.153:
	v_div_scale_f64 v[94:95], s[20:21], v[119:120], v[119:120], v[117:118]
	v_rcp_f64_e32 v[96:97], v[94:95]
	v_fma_f64 v[98:99], -v[94:95], v[96:97], 1.0
	v_fma_f64 v[96:97], v[96:97], v[98:99], v[96:97]
	v_div_scale_f64 v[98:99], vcc, v[117:118], v[119:120], v[117:118]
	v_fma_f64 v[100:101], -v[94:95], v[96:97], 1.0
	v_fma_f64 v[96:97], v[96:97], v[100:101], v[96:97]
	v_mul_f64 v[100:101], v[98:99], v[96:97]
	v_fma_f64 v[94:95], -v[94:95], v[100:101], v[98:99]
	v_div_fmas_f64 v[94:95], v[94:95], v[96:97], v[100:101]
	v_div_fixup_f64 v[94:95], v[94:95], v[119:120], v[117:118]
	v_fma_f64 v[96:97], v[117:118], v[94:95], v[119:120]
	v_div_scale_f64 v[98:99], s[20:21], v[96:97], v[96:97], 1.0
	v_div_scale_f64 v[104:105], vcc, 1.0, v[96:97], 1.0
	v_rcp_f64_e32 v[100:101], v[98:99]
	v_fma_f64 v[102:103], -v[98:99], v[100:101], 1.0
	v_fma_f64 v[100:101], v[100:101], v[102:103], v[100:101]
	v_fma_f64 v[102:103], -v[98:99], v[100:101], 1.0
	v_fma_f64 v[100:101], v[100:101], v[102:103], v[100:101]
	v_mul_f64 v[102:103], v[104:105], v[100:101]
	v_fma_f64 v[98:99], -v[98:99], v[102:103], v[104:105]
	v_div_fmas_f64 v[98:99], v[98:99], v[100:101], v[102:103]
	v_div_fixup_f64 v[119:120], v[98:99], v[96:97], 1.0
	v_mul_f64 v[117:118], v[94:95], v[119:120]
	v_xor_b32_e32 v120, 0x80000000, v120
.LBB96_154:
	s_andn2_saveexec_b64 s[18:19], s[18:19]
	s_cbranch_execz .LBB96_156
; %bb.155:
	v_div_scale_f64 v[94:95], s[20:21], v[117:118], v[117:118], v[119:120]
	v_rcp_f64_e32 v[96:97], v[94:95]
	v_fma_f64 v[98:99], -v[94:95], v[96:97], 1.0
	v_fma_f64 v[96:97], v[96:97], v[98:99], v[96:97]
	v_div_scale_f64 v[98:99], vcc, v[119:120], v[117:118], v[119:120]
	v_fma_f64 v[100:101], -v[94:95], v[96:97], 1.0
	v_fma_f64 v[96:97], v[96:97], v[100:101], v[96:97]
	v_mul_f64 v[100:101], v[98:99], v[96:97]
	v_fma_f64 v[94:95], -v[94:95], v[100:101], v[98:99]
	v_div_fmas_f64 v[94:95], v[94:95], v[96:97], v[100:101]
	v_div_fixup_f64 v[94:95], v[94:95], v[117:118], v[119:120]
	v_fma_f64 v[96:97], v[119:120], v[94:95], v[117:118]
	v_div_scale_f64 v[98:99], s[20:21], v[96:97], v[96:97], 1.0
	v_div_scale_f64 v[104:105], vcc, 1.0, v[96:97], 1.0
	v_rcp_f64_e32 v[100:101], v[98:99]
	v_fma_f64 v[102:103], -v[98:99], v[100:101], 1.0
	v_fma_f64 v[100:101], v[100:101], v[102:103], v[100:101]
	v_fma_f64 v[102:103], -v[98:99], v[100:101], 1.0
	v_fma_f64 v[100:101], v[100:101], v[102:103], v[100:101]
	v_mul_f64 v[102:103], v[104:105], v[100:101]
	v_fma_f64 v[98:99], -v[98:99], v[102:103], v[104:105]
	v_div_fmas_f64 v[98:99], v[98:99], v[100:101], v[102:103]
	v_div_fixup_f64 v[117:118], v[98:99], v[96:97], 1.0
	v_mul_f64 v[119:120], v[94:95], -v[117:118]
.LBB96_156:
	s_or_b64 exec, exec, s[18:19]
.LBB96_157:
	s_or_b64 exec, exec, s[0:1]
	v_cmp_ne_u32_e32 vcc, v92, v93
	s_and_saveexec_b64 s[0:1], vcc
	s_xor_b64 s[0:1], exec, s[0:1]
	s_cbranch_execz .LBB96_163
; %bb.158:
	v_cmp_eq_u32_e32 vcc, 7, v92
	s_and_saveexec_b64 s[18:19], vcc
	s_cbranch_execz .LBB96_162
; %bb.159:
	v_cmp_ne_u32_e32 vcc, 7, v93
	s_xor_b64 s[20:21], s[6:7], -1
	s_and_b64 s[22:23], s[20:21], vcc
	s_and_saveexec_b64 s[20:21], s[22:23]
	s_cbranch_execz .LBB96_161
; %bb.160:
	v_mov_b32_e32 v65, v85
	v_mov_b32_e32 v66, v86
	v_mov_b32_e32 v67, v87
	v_mov_b32_e32 v68, v88
	buffer_load_dword v85, off, s[24:27], 0 offset:352 ; 4-byte Folded Reload
	buffer_load_dword v86, off, s[24:27], 0 offset:356 ; 4-byte Folded Reload
	v_ashrrev_i32_e32 v94, 31, v93
	v_lshlrev_b64 v[94:95], 2, v[93:94]
	s_waitcnt vmcnt(1)
	v_add_co_u32_e32 v94, vcc, v85, v94
	s_waitcnt vmcnt(0)
	v_addc_co_u32_e32 v95, vcc, v86, v95, vcc
	global_load_dword v0, v[94:95], off
	global_load_dword v92, v[85:86], off offset:28
	s_waitcnt vmcnt(1)
	global_store_dword v[85:86], v0, off offset:28
	v_mov_b32_e32 v88, v68
	v_mov_b32_e32 v87, v67
	v_mov_b32_e32 v86, v66
	v_mov_b32_e32 v85, v65
	s_waitcnt vmcnt(1)
	global_store_dword v[94:95], v92, off
.LBB96_161:
	s_or_b64 exec, exec, s[20:21]
	v_mov_b32_e32 v92, v93
	v_mov_b32_e32 v0, v93
.LBB96_162:
	s_or_b64 exec, exec, s[18:19]
.LBB96_163:
	s_andn2_saveexec_b64 s[0:1], s[0:1]
	s_cbranch_execz .LBB96_165
; %bb.164:
	buffer_load_dword v65, off, s[24:27], 0 offset:256 ; 4-byte Folded Reload
	buffer_load_dword v66, off, s[24:27], 0 offset:260 ; 4-byte Folded Reload
	;; [unrolled: 1-line block ×4, first 2 shown]
	v_mov_b32_e32 v92, 7
	s_waitcnt vmcnt(0)
	ds_write2_b64 v90, v[65:66], v[67:68] offset0:16 offset1:17
	buffer_load_dword v65, off, s[24:27], 0 offset:240 ; 4-byte Folded Reload
	buffer_load_dword v66, off, s[24:27], 0 offset:244 ; 4-byte Folded Reload
	buffer_load_dword v67, off, s[24:27], 0 offset:248 ; 4-byte Folded Reload
	buffer_load_dword v68, off, s[24:27], 0 offset:252 ; 4-byte Folded Reload
	s_waitcnt vmcnt(0)
	ds_write2_b64 v90, v[65:66], v[67:68] offset0:18 offset1:19
	buffer_load_dword v65, off, s[24:27], 0 offset:224 ; 4-byte Folded Reload
	buffer_load_dword v66, off, s[24:27], 0 offset:228 ; 4-byte Folded Reload
	buffer_load_dword v67, off, s[24:27], 0 offset:232 ; 4-byte Folded Reload
	buffer_load_dword v68, off, s[24:27], 0 offset:236 ; 4-byte Folded Reload
	;; [unrolled: 6-line block ×15, first 2 shown]
	s_waitcnt vmcnt(0)
	ds_write2_b64 v90, v[65:66], v[67:68] offset0:46 offset1:47
	ds_write2_b64 v90, v[85:86], v[87:88] offset0:48 offset1:49
	;; [unrolled: 1-line block ×8, first 2 shown]
	buffer_load_dword v65, off, s[24:27], 0 ; 4-byte Folded Reload
	buffer_load_dword v66, off, s[24:27], 0 offset:4 ; 4-byte Folded Reload
	buffer_load_dword v67, off, s[24:27], 0 offset:8 ; 4-byte Folded Reload
	;; [unrolled: 1-line block ×3, first 2 shown]
	s_waitcnt vmcnt(0)
	ds_write2_b64 v90, v[65:66], v[67:68] offset0:62 offset1:63
	ds_write2_b64 v90, v[61:62], v[63:64] offset0:64 offset1:65
	;; [unrolled: 1-line block ×18, first 2 shown]
.LBB96_165:
	s_or_b64 exec, exec, s[0:1]
	v_cmp_lt_i32_e32 vcc, 7, v92
	s_waitcnt vmcnt(0) lgkmcnt(0)
	s_barrier
	s_and_saveexec_b64 s[0:1], vcc
	s_cbranch_execz .LBB96_167
; %bb.166:
	buffer_load_dword v97, off, s[24:27], 0 offset:272 ; 4-byte Folded Reload
	buffer_load_dword v98, off, s[24:27], 0 offset:276 ; 4-byte Folded Reload
	;; [unrolled: 1-line block ×4, first 2 shown]
	s_waitcnt vmcnt(0)
	v_mul_f64 v[93:94], v[119:120], v[99:100]
	v_fma_f64 v[125:126], v[117:118], v[97:98], -v[93:94]
	v_mul_f64 v[93:94], v[117:118], v[99:100]
	v_fma_f64 v[99:100], v[119:120], v[97:98], v[93:94]
	ds_read2_b64 v[93:96], v90 offset0:16 offset1:17
	buffer_load_dword v65, off, s[24:27], 0 offset:256 ; 4-byte Folded Reload
	buffer_load_dword v66, off, s[24:27], 0 offset:260 ; 4-byte Folded Reload
	buffer_load_dword v67, off, s[24:27], 0 offset:264 ; 4-byte Folded Reload
	buffer_load_dword v68, off, s[24:27], 0 offset:268 ; 4-byte Folded Reload
	s_waitcnt lgkmcnt(0)
	v_mul_f64 v[97:98], v[95:96], v[99:100]
	v_fma_f64 v[97:98], v[93:94], v[125:126], -v[97:98]
	v_mul_f64 v[93:94], v[93:94], v[99:100]
	v_fma_f64 v[93:94], v[95:96], v[125:126], v[93:94]
	s_waitcnt vmcnt(2)
	v_add_f64 v[65:66], v[65:66], -v[97:98]
	s_waitcnt vmcnt(0)
	v_add_f64 v[67:68], v[67:68], -v[93:94]
	buffer_store_dword v65, off, s[24:27], 0 offset:256 ; 4-byte Folded Spill
	s_nop 0
	buffer_store_dword v66, off, s[24:27], 0 offset:260 ; 4-byte Folded Spill
	buffer_store_dword v67, off, s[24:27], 0 offset:264 ; 4-byte Folded Spill
	buffer_store_dword v68, off, s[24:27], 0 offset:268 ; 4-byte Folded Spill
	ds_read2_b64 v[93:96], v90 offset0:18 offset1:19
	buffer_load_dword v65, off, s[24:27], 0 offset:240 ; 4-byte Folded Reload
	buffer_load_dword v66, off, s[24:27], 0 offset:244 ; 4-byte Folded Reload
	buffer_load_dword v67, off, s[24:27], 0 offset:248 ; 4-byte Folded Reload
	buffer_load_dword v68, off, s[24:27], 0 offset:252 ; 4-byte Folded Reload
	s_waitcnt lgkmcnt(0)
	v_mul_f64 v[97:98], v[95:96], v[99:100]
	v_fma_f64 v[97:98], v[93:94], v[125:126], -v[97:98]
	v_mul_f64 v[93:94], v[93:94], v[99:100]
	v_fma_f64 v[93:94], v[95:96], v[125:126], v[93:94]
	s_waitcnt vmcnt(2)
	v_add_f64 v[65:66], v[65:66], -v[97:98]
	s_waitcnt vmcnt(0)
	v_add_f64 v[67:68], v[67:68], -v[93:94]
	buffer_store_dword v65, off, s[24:27], 0 offset:240 ; 4-byte Folded Spill
	s_nop 0
	buffer_store_dword v66, off, s[24:27], 0 offset:244 ; 4-byte Folded Spill
	buffer_store_dword v67, off, s[24:27], 0 offset:248 ; 4-byte Folded Spill
	buffer_store_dword v68, off, s[24:27], 0 offset:252 ; 4-byte Folded Spill
	;; [unrolled: 19-line block ×16, first 2 shown]
	ds_read2_b64 v[93:96], v90 offset0:48 offset1:49
	s_waitcnt lgkmcnt(0)
	v_mul_f64 v[97:98], v[95:96], v[99:100]
	v_fma_f64 v[97:98], v[93:94], v[125:126], -v[97:98]
	v_mul_f64 v[93:94], v[93:94], v[99:100]
	v_add_f64 v[85:86], v[85:86], -v[97:98]
	v_fma_f64 v[93:94], v[95:96], v[125:126], v[93:94]
	v_add_f64 v[87:88], v[87:88], -v[93:94]
	ds_read2_b64 v[93:96], v90 offset0:50 offset1:51
	s_waitcnt lgkmcnt(0)
	v_mul_f64 v[97:98], v[95:96], v[99:100]
	v_fma_f64 v[97:98], v[93:94], v[125:126], -v[97:98]
	v_mul_f64 v[93:94], v[93:94], v[99:100]
	v_add_f64 v[107:108], v[107:108], -v[97:98]
	v_fma_f64 v[93:94], v[95:96], v[125:126], v[93:94]
	v_add_f64 v[109:110], v[109:110], -v[93:94]
	;; [unrolled: 8-line block ×7, first 2 shown]
	ds_read2_b64 v[93:96], v90 offset0:62 offset1:63
	buffer_load_dword v65, off, s[24:27], 0 ; 4-byte Folded Reload
	buffer_load_dword v66, off, s[24:27], 0 offset:4 ; 4-byte Folded Reload
	buffer_load_dword v67, off, s[24:27], 0 offset:8 ; 4-byte Folded Reload
	;; [unrolled: 1-line block ×3, first 2 shown]
	s_waitcnt lgkmcnt(0)
	v_mul_f64 v[97:98], v[95:96], v[99:100]
	v_fma_f64 v[97:98], v[93:94], v[125:126], -v[97:98]
	v_mul_f64 v[93:94], v[93:94], v[99:100]
	v_fma_f64 v[93:94], v[95:96], v[125:126], v[93:94]
	s_waitcnt vmcnt(2)
	v_add_f64 v[65:66], v[65:66], -v[97:98]
	s_waitcnt vmcnt(0)
	v_add_f64 v[67:68], v[67:68], -v[93:94]
	buffer_store_dword v65, off, s[24:27], 0 ; 4-byte Folded Spill
	s_nop 0
	buffer_store_dword v66, off, s[24:27], 0 offset:4 ; 4-byte Folded Spill
	buffer_store_dword v67, off, s[24:27], 0 offset:8 ; 4-byte Folded Spill
	;; [unrolled: 1-line block ×3, first 2 shown]
	ds_read2_b64 v[93:96], v90 offset0:64 offset1:65
	s_waitcnt lgkmcnt(0)
	v_mul_f64 v[97:98], v[95:96], v[99:100]
	v_fma_f64 v[97:98], v[93:94], v[125:126], -v[97:98]
	v_mul_f64 v[93:94], v[93:94], v[99:100]
	v_add_f64 v[61:62], v[61:62], -v[97:98]
	v_fma_f64 v[93:94], v[95:96], v[125:126], v[93:94]
	v_add_f64 v[63:64], v[63:64], -v[93:94]
	ds_read2_b64 v[93:96], v90 offset0:66 offset1:67
	s_waitcnt lgkmcnt(0)
	v_mul_f64 v[97:98], v[95:96], v[99:100]
	v_fma_f64 v[97:98], v[93:94], v[125:126], -v[97:98]
	v_mul_f64 v[93:94], v[93:94], v[99:100]
	v_add_f64 v[57:58], v[57:58], -v[97:98]
	v_fma_f64 v[93:94], v[95:96], v[125:126], v[93:94]
	v_add_f64 v[59:60], v[59:60], -v[93:94]
	;; [unrolled: 8-line block ×16, first 2 shown]
	ds_read2_b64 v[93:96], v90 offset0:96 offset1:97
	s_waitcnt lgkmcnt(0)
	v_mul_f64 v[97:98], v[95:96], v[99:100]
	v_fma_f64 v[97:98], v[93:94], v[125:126], -v[97:98]
	v_mul_f64 v[93:94], v[93:94], v[99:100]
	v_add_f64 v[121:122], v[121:122], -v[97:98]
	v_fma_f64 v[93:94], v[95:96], v[125:126], v[93:94]
	v_mov_b32_e32 v97, v125
	v_mov_b32_e32 v98, v126
	buffer_store_dword v97, off, s[24:27], 0 offset:272 ; 4-byte Folded Spill
	s_nop 0
	buffer_store_dword v98, off, s[24:27], 0 offset:276 ; 4-byte Folded Spill
	buffer_store_dword v99, off, s[24:27], 0 offset:280 ; 4-byte Folded Spill
	;; [unrolled: 1-line block ×3, first 2 shown]
	v_add_f64 v[123:124], v[123:124], -v[93:94]
.LBB96_167:
	s_or_b64 exec, exec, s[0:1]
	s_waitcnt vmcnt(0)
	s_barrier
	buffer_load_dword v65, off, s[24:27], 0 offset:256 ; 4-byte Folded Reload
	buffer_load_dword v66, off, s[24:27], 0 offset:260 ; 4-byte Folded Reload
	;; [unrolled: 1-line block ×4, first 2 shown]
	v_lshl_add_u32 v93, v92, 4, v90
	s_cmp_lt_i32 s3, 10
	s_waitcnt vmcnt(0)
	ds_write2_b64 v93, v[65:66], v[67:68] offset1:1
	s_waitcnt lgkmcnt(0)
	s_barrier
	ds_read2_b64 v[117:120], v90 offset0:16 offset1:17
	v_mov_b32_e32 v93, 8
	s_cbranch_scc1 .LBB96_170
; %bb.168:
	v_add_u32_e32 v94, 0x90, v90
	s_mov_b32 s0, 9
	v_mov_b32_e32 v93, 8
.LBB96_169:                             ; =>This Inner Loop Header: Depth=1
	s_waitcnt lgkmcnt(0)
	v_cmp_gt_f64_e32 vcc, 0, v[117:118]
	v_xor_b32_e32 v99, 0x80000000, v118
	ds_read2_b64 v[95:98], v94 offset1:1
	v_xor_b32_e32 v101, 0x80000000, v120
	v_add_u32_e32 v94, 16, v94
	s_waitcnt lgkmcnt(0)
	v_xor_b32_e32 v103, 0x80000000, v98
	v_cndmask_b32_e32 v100, v118, v99, vcc
	v_cmp_gt_f64_e32 vcc, 0, v[119:120]
	v_mov_b32_e32 v99, v117
	v_cndmask_b32_e32 v102, v120, v101, vcc
	v_cmp_gt_f64_e32 vcc, 0, v[95:96]
	v_mov_b32_e32 v101, v119
	v_add_f64 v[99:100], v[99:100], v[101:102]
	v_xor_b32_e32 v101, 0x80000000, v96
	v_cndmask_b32_e32 v102, v96, v101, vcc
	v_cmp_gt_f64_e32 vcc, 0, v[97:98]
	v_mov_b32_e32 v101, v95
	v_cndmask_b32_e32 v104, v98, v103, vcc
	v_mov_b32_e32 v103, v97
	v_add_f64 v[101:102], v[101:102], v[103:104]
	v_cmp_lt_f64_e32 vcc, v[99:100], v[101:102]
	v_cndmask_b32_e32 v117, v117, v95, vcc
	v_mov_b32_e32 v95, s0
	s_add_i32 s0, s0, 1
	v_cndmask_b32_e32 v118, v118, v96, vcc
	v_cndmask_b32_e32 v120, v120, v98, vcc
	;; [unrolled: 1-line block ×4, first 2 shown]
	s_cmp_lg_u32 s3, s0
	s_cbranch_scc1 .LBB96_169
.LBB96_170:
	s_waitcnt lgkmcnt(0)
	v_cmp_eq_f64_e32 vcc, 0, v[117:118]
	v_cmp_eq_f64_e64 s[0:1], 0, v[119:120]
	s_and_b64 s[0:1], vcc, s[0:1]
	s_and_saveexec_b64 s[18:19], s[0:1]
	s_xor_b64 s[0:1], exec, s[18:19]
; %bb.171:
	v_cmp_ne_u32_e32 vcc, 0, v91
	v_cndmask_b32_e32 v91, 9, v91, vcc
; %bb.172:
	s_andn2_saveexec_b64 s[0:1], s[0:1]
	s_cbranch_execz .LBB96_178
; %bb.173:
	v_cmp_ngt_f64_e64 s[18:19], |v[117:118]|, |v[119:120]|
	s_and_saveexec_b64 s[20:21], s[18:19]
	s_xor_b64 s[18:19], exec, s[20:21]
	s_cbranch_execz .LBB96_175
; %bb.174:
	v_div_scale_f64 v[94:95], s[20:21], v[119:120], v[119:120], v[117:118]
	v_rcp_f64_e32 v[96:97], v[94:95]
	v_fma_f64 v[98:99], -v[94:95], v[96:97], 1.0
	v_fma_f64 v[96:97], v[96:97], v[98:99], v[96:97]
	v_div_scale_f64 v[98:99], vcc, v[117:118], v[119:120], v[117:118]
	v_fma_f64 v[100:101], -v[94:95], v[96:97], 1.0
	v_fma_f64 v[96:97], v[96:97], v[100:101], v[96:97]
	v_mul_f64 v[100:101], v[98:99], v[96:97]
	v_fma_f64 v[94:95], -v[94:95], v[100:101], v[98:99]
	v_div_fmas_f64 v[94:95], v[94:95], v[96:97], v[100:101]
	v_div_fixup_f64 v[94:95], v[94:95], v[119:120], v[117:118]
	v_fma_f64 v[96:97], v[117:118], v[94:95], v[119:120]
	v_div_scale_f64 v[98:99], s[20:21], v[96:97], v[96:97], 1.0
	v_div_scale_f64 v[104:105], vcc, 1.0, v[96:97], 1.0
	v_rcp_f64_e32 v[100:101], v[98:99]
	v_fma_f64 v[102:103], -v[98:99], v[100:101], 1.0
	v_fma_f64 v[100:101], v[100:101], v[102:103], v[100:101]
	v_fma_f64 v[102:103], -v[98:99], v[100:101], 1.0
	v_fma_f64 v[100:101], v[100:101], v[102:103], v[100:101]
	v_mul_f64 v[102:103], v[104:105], v[100:101]
	v_fma_f64 v[98:99], -v[98:99], v[102:103], v[104:105]
	v_div_fmas_f64 v[98:99], v[98:99], v[100:101], v[102:103]
	v_div_fixup_f64 v[119:120], v[98:99], v[96:97], 1.0
	v_mul_f64 v[117:118], v[94:95], v[119:120]
	v_xor_b32_e32 v120, 0x80000000, v120
.LBB96_175:
	s_andn2_saveexec_b64 s[18:19], s[18:19]
	s_cbranch_execz .LBB96_177
; %bb.176:
	v_div_scale_f64 v[94:95], s[20:21], v[117:118], v[117:118], v[119:120]
	v_rcp_f64_e32 v[96:97], v[94:95]
	v_fma_f64 v[98:99], -v[94:95], v[96:97], 1.0
	v_fma_f64 v[96:97], v[96:97], v[98:99], v[96:97]
	v_div_scale_f64 v[98:99], vcc, v[119:120], v[117:118], v[119:120]
	v_fma_f64 v[100:101], -v[94:95], v[96:97], 1.0
	v_fma_f64 v[96:97], v[96:97], v[100:101], v[96:97]
	v_mul_f64 v[100:101], v[98:99], v[96:97]
	v_fma_f64 v[94:95], -v[94:95], v[100:101], v[98:99]
	v_div_fmas_f64 v[94:95], v[94:95], v[96:97], v[100:101]
	v_div_fixup_f64 v[94:95], v[94:95], v[117:118], v[119:120]
	v_fma_f64 v[96:97], v[119:120], v[94:95], v[117:118]
	v_div_scale_f64 v[98:99], s[20:21], v[96:97], v[96:97], 1.0
	v_div_scale_f64 v[104:105], vcc, 1.0, v[96:97], 1.0
	v_rcp_f64_e32 v[100:101], v[98:99]
	v_fma_f64 v[102:103], -v[98:99], v[100:101], 1.0
	v_fma_f64 v[100:101], v[100:101], v[102:103], v[100:101]
	v_fma_f64 v[102:103], -v[98:99], v[100:101], 1.0
	v_fma_f64 v[100:101], v[100:101], v[102:103], v[100:101]
	v_mul_f64 v[102:103], v[104:105], v[100:101]
	v_fma_f64 v[98:99], -v[98:99], v[102:103], v[104:105]
	v_div_fmas_f64 v[98:99], v[98:99], v[100:101], v[102:103]
	v_div_fixup_f64 v[117:118], v[98:99], v[96:97], 1.0
	v_mul_f64 v[119:120], v[94:95], -v[117:118]
.LBB96_177:
	s_or_b64 exec, exec, s[18:19]
.LBB96_178:
	s_or_b64 exec, exec, s[0:1]
	v_cmp_ne_u32_e32 vcc, v92, v93
	s_and_saveexec_b64 s[0:1], vcc
	s_xor_b64 s[0:1], exec, s[0:1]
	s_cbranch_execz .LBB96_184
; %bb.179:
	v_cmp_eq_u32_e32 vcc, 8, v92
	s_and_saveexec_b64 s[18:19], vcc
	s_cbranch_execz .LBB96_183
; %bb.180:
	v_cmp_ne_u32_e32 vcc, 8, v93
	s_xor_b64 s[20:21], s[6:7], -1
	s_and_b64 s[22:23], s[20:21], vcc
	s_and_saveexec_b64 s[20:21], s[22:23]
	s_cbranch_execz .LBB96_182
; %bb.181:
	v_mov_b32_e32 v65, v85
	v_mov_b32_e32 v66, v86
	;; [unrolled: 1-line block ×4, first 2 shown]
	buffer_load_dword v85, off, s[24:27], 0 offset:352 ; 4-byte Folded Reload
	buffer_load_dword v86, off, s[24:27], 0 offset:356 ; 4-byte Folded Reload
	v_ashrrev_i32_e32 v94, 31, v93
	v_lshlrev_b64 v[94:95], 2, v[93:94]
	s_waitcnt vmcnt(1)
	v_add_co_u32_e32 v94, vcc, v85, v94
	s_waitcnt vmcnt(0)
	v_addc_co_u32_e32 v95, vcc, v86, v95, vcc
	global_load_dword v0, v[94:95], off
	global_load_dword v92, v[85:86], off offset:32
	s_waitcnt vmcnt(1)
	global_store_dword v[85:86], v0, off offset:32
	v_mov_b32_e32 v88, v68
	v_mov_b32_e32 v87, v67
	;; [unrolled: 1-line block ×4, first 2 shown]
	s_waitcnt vmcnt(1)
	global_store_dword v[94:95], v92, off
.LBB96_182:
	s_or_b64 exec, exec, s[20:21]
	v_mov_b32_e32 v92, v93
	v_mov_b32_e32 v0, v93
.LBB96_183:
	s_or_b64 exec, exec, s[18:19]
.LBB96_184:
	s_andn2_saveexec_b64 s[0:1], s[0:1]
	s_cbranch_execz .LBB96_186
; %bb.185:
	buffer_load_dword v65, off, s[24:27], 0 offset:240 ; 4-byte Folded Reload
	buffer_load_dword v66, off, s[24:27], 0 offset:244 ; 4-byte Folded Reload
	buffer_load_dword v67, off, s[24:27], 0 offset:248 ; 4-byte Folded Reload
	buffer_load_dword v68, off, s[24:27], 0 offset:252 ; 4-byte Folded Reload
	v_mov_b32_e32 v92, 8
	s_waitcnt vmcnt(0)
	ds_write2_b64 v90, v[65:66], v[67:68] offset0:18 offset1:19
	buffer_load_dword v65, off, s[24:27], 0 offset:224 ; 4-byte Folded Reload
	buffer_load_dword v66, off, s[24:27], 0 offset:228 ; 4-byte Folded Reload
	buffer_load_dword v67, off, s[24:27], 0 offset:232 ; 4-byte Folded Reload
	buffer_load_dword v68, off, s[24:27], 0 offset:236 ; 4-byte Folded Reload
	s_waitcnt vmcnt(0)
	ds_write2_b64 v90, v[65:66], v[67:68] offset0:20 offset1:21
	buffer_load_dword v65, off, s[24:27], 0 offset:208 ; 4-byte Folded Reload
	buffer_load_dword v66, off, s[24:27], 0 offset:212 ; 4-byte Folded Reload
	buffer_load_dword v67, off, s[24:27], 0 offset:216 ; 4-byte Folded Reload
	buffer_load_dword v68, off, s[24:27], 0 offset:220 ; 4-byte Folded Reload
	;; [unrolled: 6-line block ×14, first 2 shown]
	s_waitcnt vmcnt(0)
	ds_write2_b64 v90, v[65:66], v[67:68] offset0:46 offset1:47
	ds_write2_b64 v90, v[85:86], v[87:88] offset0:48 offset1:49
	;; [unrolled: 1-line block ×8, first 2 shown]
	buffer_load_dword v65, off, s[24:27], 0 ; 4-byte Folded Reload
	buffer_load_dword v66, off, s[24:27], 0 offset:4 ; 4-byte Folded Reload
	buffer_load_dword v67, off, s[24:27], 0 offset:8 ; 4-byte Folded Reload
	;; [unrolled: 1-line block ×3, first 2 shown]
	s_waitcnt vmcnt(0)
	ds_write2_b64 v90, v[65:66], v[67:68] offset0:62 offset1:63
	ds_write2_b64 v90, v[61:62], v[63:64] offset0:64 offset1:65
	;; [unrolled: 1-line block ×18, first 2 shown]
.LBB96_186:
	s_or_b64 exec, exec, s[0:1]
	v_cmp_lt_i32_e32 vcc, 8, v92
	s_waitcnt vmcnt(0) lgkmcnt(0)
	s_barrier
	s_and_saveexec_b64 s[0:1], vcc
	s_cbranch_execz .LBB96_188
; %bb.187:
	buffer_load_dword v97, off, s[24:27], 0 offset:256 ; 4-byte Folded Reload
	buffer_load_dword v98, off, s[24:27], 0 offset:260 ; 4-byte Folded Reload
	;; [unrolled: 1-line block ×4, first 2 shown]
	s_waitcnt vmcnt(0)
	v_mul_f64 v[93:94], v[119:120], v[99:100]
	v_fma_f64 v[125:126], v[117:118], v[97:98], -v[93:94]
	v_mul_f64 v[93:94], v[117:118], v[99:100]
	v_fma_f64 v[99:100], v[119:120], v[97:98], v[93:94]
	ds_read2_b64 v[93:96], v90 offset0:18 offset1:19
	buffer_load_dword v65, off, s[24:27], 0 offset:240 ; 4-byte Folded Reload
	buffer_load_dword v66, off, s[24:27], 0 offset:244 ; 4-byte Folded Reload
	buffer_load_dword v67, off, s[24:27], 0 offset:248 ; 4-byte Folded Reload
	buffer_load_dword v68, off, s[24:27], 0 offset:252 ; 4-byte Folded Reload
	s_waitcnt lgkmcnt(0)
	v_mul_f64 v[97:98], v[95:96], v[99:100]
	v_fma_f64 v[97:98], v[93:94], v[125:126], -v[97:98]
	v_mul_f64 v[93:94], v[93:94], v[99:100]
	v_fma_f64 v[93:94], v[95:96], v[125:126], v[93:94]
	s_waitcnt vmcnt(2)
	v_add_f64 v[65:66], v[65:66], -v[97:98]
	s_waitcnt vmcnt(0)
	v_add_f64 v[67:68], v[67:68], -v[93:94]
	buffer_store_dword v65, off, s[24:27], 0 offset:240 ; 4-byte Folded Spill
	s_nop 0
	buffer_store_dword v66, off, s[24:27], 0 offset:244 ; 4-byte Folded Spill
	buffer_store_dword v67, off, s[24:27], 0 offset:248 ; 4-byte Folded Spill
	buffer_store_dword v68, off, s[24:27], 0 offset:252 ; 4-byte Folded Spill
	ds_read2_b64 v[93:96], v90 offset0:20 offset1:21
	buffer_load_dword v65, off, s[24:27], 0 offset:224 ; 4-byte Folded Reload
	buffer_load_dword v66, off, s[24:27], 0 offset:228 ; 4-byte Folded Reload
	buffer_load_dword v67, off, s[24:27], 0 offset:232 ; 4-byte Folded Reload
	buffer_load_dword v68, off, s[24:27], 0 offset:236 ; 4-byte Folded Reload
	s_waitcnt lgkmcnt(0)
	v_mul_f64 v[97:98], v[95:96], v[99:100]
	v_fma_f64 v[97:98], v[93:94], v[125:126], -v[97:98]
	v_mul_f64 v[93:94], v[93:94], v[99:100]
	v_fma_f64 v[93:94], v[95:96], v[125:126], v[93:94]
	s_waitcnt vmcnt(2)
	v_add_f64 v[65:66], v[65:66], -v[97:98]
	s_waitcnt vmcnt(0)
	v_add_f64 v[67:68], v[67:68], -v[93:94]
	buffer_store_dword v65, off, s[24:27], 0 offset:224 ; 4-byte Folded Spill
	s_nop 0
	buffer_store_dword v66, off, s[24:27], 0 offset:228 ; 4-byte Folded Spill
	buffer_store_dword v67, off, s[24:27], 0 offset:232 ; 4-byte Folded Spill
	buffer_store_dword v68, off, s[24:27], 0 offset:236 ; 4-byte Folded Spill
	;; [unrolled: 19-line block ×15, first 2 shown]
	ds_read2_b64 v[93:96], v90 offset0:48 offset1:49
	s_waitcnt lgkmcnt(0)
	v_mul_f64 v[97:98], v[95:96], v[99:100]
	v_fma_f64 v[97:98], v[93:94], v[125:126], -v[97:98]
	v_mul_f64 v[93:94], v[93:94], v[99:100]
	v_add_f64 v[85:86], v[85:86], -v[97:98]
	v_fma_f64 v[93:94], v[95:96], v[125:126], v[93:94]
	v_add_f64 v[87:88], v[87:88], -v[93:94]
	ds_read2_b64 v[93:96], v90 offset0:50 offset1:51
	s_waitcnt lgkmcnt(0)
	v_mul_f64 v[97:98], v[95:96], v[99:100]
	v_fma_f64 v[97:98], v[93:94], v[125:126], -v[97:98]
	v_mul_f64 v[93:94], v[93:94], v[99:100]
	v_add_f64 v[107:108], v[107:108], -v[97:98]
	v_fma_f64 v[93:94], v[95:96], v[125:126], v[93:94]
	v_add_f64 v[109:110], v[109:110], -v[93:94]
	;; [unrolled: 8-line block ×7, first 2 shown]
	ds_read2_b64 v[93:96], v90 offset0:62 offset1:63
	buffer_load_dword v65, off, s[24:27], 0 ; 4-byte Folded Reload
	buffer_load_dword v66, off, s[24:27], 0 offset:4 ; 4-byte Folded Reload
	buffer_load_dword v67, off, s[24:27], 0 offset:8 ; 4-byte Folded Reload
	;; [unrolled: 1-line block ×3, first 2 shown]
	s_waitcnt lgkmcnt(0)
	v_mul_f64 v[97:98], v[95:96], v[99:100]
	v_fma_f64 v[97:98], v[93:94], v[125:126], -v[97:98]
	v_mul_f64 v[93:94], v[93:94], v[99:100]
	v_fma_f64 v[93:94], v[95:96], v[125:126], v[93:94]
	s_waitcnt vmcnt(2)
	v_add_f64 v[65:66], v[65:66], -v[97:98]
	s_waitcnt vmcnt(0)
	v_add_f64 v[67:68], v[67:68], -v[93:94]
	buffer_store_dword v65, off, s[24:27], 0 ; 4-byte Folded Spill
	s_nop 0
	buffer_store_dword v66, off, s[24:27], 0 offset:4 ; 4-byte Folded Spill
	buffer_store_dword v67, off, s[24:27], 0 offset:8 ; 4-byte Folded Spill
	;; [unrolled: 1-line block ×3, first 2 shown]
	ds_read2_b64 v[93:96], v90 offset0:64 offset1:65
	s_waitcnt lgkmcnt(0)
	v_mul_f64 v[97:98], v[95:96], v[99:100]
	v_fma_f64 v[97:98], v[93:94], v[125:126], -v[97:98]
	v_mul_f64 v[93:94], v[93:94], v[99:100]
	v_add_f64 v[61:62], v[61:62], -v[97:98]
	v_fma_f64 v[93:94], v[95:96], v[125:126], v[93:94]
	v_add_f64 v[63:64], v[63:64], -v[93:94]
	ds_read2_b64 v[93:96], v90 offset0:66 offset1:67
	s_waitcnt lgkmcnt(0)
	v_mul_f64 v[97:98], v[95:96], v[99:100]
	v_fma_f64 v[97:98], v[93:94], v[125:126], -v[97:98]
	v_mul_f64 v[93:94], v[93:94], v[99:100]
	v_add_f64 v[57:58], v[57:58], -v[97:98]
	v_fma_f64 v[93:94], v[95:96], v[125:126], v[93:94]
	v_add_f64 v[59:60], v[59:60], -v[93:94]
	;; [unrolled: 8-line block ×16, first 2 shown]
	ds_read2_b64 v[93:96], v90 offset0:96 offset1:97
	s_waitcnt lgkmcnt(0)
	v_mul_f64 v[97:98], v[95:96], v[99:100]
	v_fma_f64 v[97:98], v[93:94], v[125:126], -v[97:98]
	v_mul_f64 v[93:94], v[93:94], v[99:100]
	v_add_f64 v[121:122], v[121:122], -v[97:98]
	v_fma_f64 v[93:94], v[95:96], v[125:126], v[93:94]
	v_mov_b32_e32 v97, v125
	v_mov_b32_e32 v98, v126
	buffer_store_dword v97, off, s[24:27], 0 offset:256 ; 4-byte Folded Spill
	s_nop 0
	buffer_store_dword v98, off, s[24:27], 0 offset:260 ; 4-byte Folded Spill
	buffer_store_dword v99, off, s[24:27], 0 offset:264 ; 4-byte Folded Spill
	;; [unrolled: 1-line block ×3, first 2 shown]
	v_add_f64 v[123:124], v[123:124], -v[93:94]
.LBB96_188:
	s_or_b64 exec, exec, s[0:1]
	s_waitcnt vmcnt(0)
	s_barrier
	buffer_load_dword v65, off, s[24:27], 0 offset:240 ; 4-byte Folded Reload
	buffer_load_dword v66, off, s[24:27], 0 offset:244 ; 4-byte Folded Reload
	;; [unrolled: 1-line block ×4, first 2 shown]
	v_lshl_add_u32 v93, v92, 4, v90
	s_cmp_lt_i32 s3, 11
	s_waitcnt vmcnt(0)
	ds_write2_b64 v93, v[65:66], v[67:68] offset1:1
	s_waitcnt lgkmcnt(0)
	s_barrier
	ds_read2_b64 v[117:120], v90 offset0:18 offset1:19
	v_mov_b32_e32 v93, 9
	s_cbranch_scc1 .LBB96_191
; %bb.189:
	v_add_u32_e32 v94, 0xa0, v90
	s_mov_b32 s0, 10
	v_mov_b32_e32 v93, 9
.LBB96_190:                             ; =>This Inner Loop Header: Depth=1
	s_waitcnt lgkmcnt(0)
	v_cmp_gt_f64_e32 vcc, 0, v[117:118]
	v_xor_b32_e32 v99, 0x80000000, v118
	ds_read2_b64 v[95:98], v94 offset1:1
	v_xor_b32_e32 v101, 0x80000000, v120
	v_add_u32_e32 v94, 16, v94
	s_waitcnt lgkmcnt(0)
	v_xor_b32_e32 v103, 0x80000000, v98
	v_cndmask_b32_e32 v100, v118, v99, vcc
	v_cmp_gt_f64_e32 vcc, 0, v[119:120]
	v_mov_b32_e32 v99, v117
	v_cndmask_b32_e32 v102, v120, v101, vcc
	v_cmp_gt_f64_e32 vcc, 0, v[95:96]
	v_mov_b32_e32 v101, v119
	v_add_f64 v[99:100], v[99:100], v[101:102]
	v_xor_b32_e32 v101, 0x80000000, v96
	v_cndmask_b32_e32 v102, v96, v101, vcc
	v_cmp_gt_f64_e32 vcc, 0, v[97:98]
	v_mov_b32_e32 v101, v95
	v_cndmask_b32_e32 v104, v98, v103, vcc
	v_mov_b32_e32 v103, v97
	v_add_f64 v[101:102], v[101:102], v[103:104]
	v_cmp_lt_f64_e32 vcc, v[99:100], v[101:102]
	v_cndmask_b32_e32 v117, v117, v95, vcc
	v_mov_b32_e32 v95, s0
	s_add_i32 s0, s0, 1
	v_cndmask_b32_e32 v118, v118, v96, vcc
	v_cndmask_b32_e32 v120, v120, v98, vcc
	;; [unrolled: 1-line block ×4, first 2 shown]
	s_cmp_lg_u32 s3, s0
	s_cbranch_scc1 .LBB96_190
.LBB96_191:
	s_waitcnt lgkmcnt(0)
	v_cmp_eq_f64_e32 vcc, 0, v[117:118]
	v_cmp_eq_f64_e64 s[0:1], 0, v[119:120]
	s_and_b64 s[0:1], vcc, s[0:1]
	s_and_saveexec_b64 s[18:19], s[0:1]
	s_xor_b64 s[0:1], exec, s[18:19]
; %bb.192:
	v_cmp_ne_u32_e32 vcc, 0, v91
	v_cndmask_b32_e32 v91, 10, v91, vcc
; %bb.193:
	s_andn2_saveexec_b64 s[0:1], s[0:1]
	s_cbranch_execz .LBB96_199
; %bb.194:
	v_cmp_ngt_f64_e64 s[18:19], |v[117:118]|, |v[119:120]|
	s_and_saveexec_b64 s[20:21], s[18:19]
	s_xor_b64 s[18:19], exec, s[20:21]
	s_cbranch_execz .LBB96_196
; %bb.195:
	v_div_scale_f64 v[94:95], s[20:21], v[119:120], v[119:120], v[117:118]
	v_rcp_f64_e32 v[96:97], v[94:95]
	v_fma_f64 v[98:99], -v[94:95], v[96:97], 1.0
	v_fma_f64 v[96:97], v[96:97], v[98:99], v[96:97]
	v_div_scale_f64 v[98:99], vcc, v[117:118], v[119:120], v[117:118]
	v_fma_f64 v[100:101], -v[94:95], v[96:97], 1.0
	v_fma_f64 v[96:97], v[96:97], v[100:101], v[96:97]
	v_mul_f64 v[100:101], v[98:99], v[96:97]
	v_fma_f64 v[94:95], -v[94:95], v[100:101], v[98:99]
	v_div_fmas_f64 v[94:95], v[94:95], v[96:97], v[100:101]
	v_div_fixup_f64 v[94:95], v[94:95], v[119:120], v[117:118]
	v_fma_f64 v[96:97], v[117:118], v[94:95], v[119:120]
	v_div_scale_f64 v[98:99], s[20:21], v[96:97], v[96:97], 1.0
	v_div_scale_f64 v[104:105], vcc, 1.0, v[96:97], 1.0
	v_rcp_f64_e32 v[100:101], v[98:99]
	v_fma_f64 v[102:103], -v[98:99], v[100:101], 1.0
	v_fma_f64 v[100:101], v[100:101], v[102:103], v[100:101]
	v_fma_f64 v[102:103], -v[98:99], v[100:101], 1.0
	v_fma_f64 v[100:101], v[100:101], v[102:103], v[100:101]
	v_mul_f64 v[102:103], v[104:105], v[100:101]
	v_fma_f64 v[98:99], -v[98:99], v[102:103], v[104:105]
	v_div_fmas_f64 v[98:99], v[98:99], v[100:101], v[102:103]
	v_div_fixup_f64 v[119:120], v[98:99], v[96:97], 1.0
	v_mul_f64 v[117:118], v[94:95], v[119:120]
	v_xor_b32_e32 v120, 0x80000000, v120
.LBB96_196:
	s_andn2_saveexec_b64 s[18:19], s[18:19]
	s_cbranch_execz .LBB96_198
; %bb.197:
	v_div_scale_f64 v[94:95], s[20:21], v[117:118], v[117:118], v[119:120]
	v_rcp_f64_e32 v[96:97], v[94:95]
	v_fma_f64 v[98:99], -v[94:95], v[96:97], 1.0
	v_fma_f64 v[96:97], v[96:97], v[98:99], v[96:97]
	v_div_scale_f64 v[98:99], vcc, v[119:120], v[117:118], v[119:120]
	v_fma_f64 v[100:101], -v[94:95], v[96:97], 1.0
	v_fma_f64 v[96:97], v[96:97], v[100:101], v[96:97]
	v_mul_f64 v[100:101], v[98:99], v[96:97]
	v_fma_f64 v[94:95], -v[94:95], v[100:101], v[98:99]
	v_div_fmas_f64 v[94:95], v[94:95], v[96:97], v[100:101]
	v_div_fixup_f64 v[94:95], v[94:95], v[117:118], v[119:120]
	v_fma_f64 v[96:97], v[119:120], v[94:95], v[117:118]
	v_div_scale_f64 v[98:99], s[20:21], v[96:97], v[96:97], 1.0
	v_div_scale_f64 v[104:105], vcc, 1.0, v[96:97], 1.0
	v_rcp_f64_e32 v[100:101], v[98:99]
	v_fma_f64 v[102:103], -v[98:99], v[100:101], 1.0
	v_fma_f64 v[100:101], v[100:101], v[102:103], v[100:101]
	v_fma_f64 v[102:103], -v[98:99], v[100:101], 1.0
	v_fma_f64 v[100:101], v[100:101], v[102:103], v[100:101]
	v_mul_f64 v[102:103], v[104:105], v[100:101]
	v_fma_f64 v[98:99], -v[98:99], v[102:103], v[104:105]
	v_div_fmas_f64 v[98:99], v[98:99], v[100:101], v[102:103]
	v_div_fixup_f64 v[117:118], v[98:99], v[96:97], 1.0
	v_mul_f64 v[119:120], v[94:95], -v[117:118]
.LBB96_198:
	s_or_b64 exec, exec, s[18:19]
.LBB96_199:
	s_or_b64 exec, exec, s[0:1]
	v_cmp_ne_u32_e32 vcc, v92, v93
	s_and_saveexec_b64 s[0:1], vcc
	s_xor_b64 s[0:1], exec, s[0:1]
	s_cbranch_execz .LBB96_205
; %bb.200:
	v_cmp_eq_u32_e32 vcc, 9, v92
	s_and_saveexec_b64 s[18:19], vcc
	s_cbranch_execz .LBB96_204
; %bb.201:
	v_cmp_ne_u32_e32 vcc, 9, v93
	s_xor_b64 s[20:21], s[6:7], -1
	s_and_b64 s[22:23], s[20:21], vcc
	s_and_saveexec_b64 s[20:21], s[22:23]
	s_cbranch_execz .LBB96_203
; %bb.202:
	v_mov_b32_e32 v65, v85
	v_mov_b32_e32 v66, v86
	;; [unrolled: 1-line block ×4, first 2 shown]
	buffer_load_dword v85, off, s[24:27], 0 offset:352 ; 4-byte Folded Reload
	buffer_load_dword v86, off, s[24:27], 0 offset:356 ; 4-byte Folded Reload
	v_ashrrev_i32_e32 v94, 31, v93
	v_lshlrev_b64 v[94:95], 2, v[93:94]
	s_waitcnt vmcnt(1)
	v_add_co_u32_e32 v94, vcc, v85, v94
	s_waitcnt vmcnt(0)
	v_addc_co_u32_e32 v95, vcc, v86, v95, vcc
	global_load_dword v0, v[94:95], off
	global_load_dword v92, v[85:86], off offset:36
	s_waitcnt vmcnt(1)
	global_store_dword v[85:86], v0, off offset:36
	v_mov_b32_e32 v88, v68
	v_mov_b32_e32 v87, v67
	;; [unrolled: 1-line block ×4, first 2 shown]
	s_waitcnt vmcnt(1)
	global_store_dword v[94:95], v92, off
.LBB96_203:
	s_or_b64 exec, exec, s[20:21]
	v_mov_b32_e32 v92, v93
	v_mov_b32_e32 v0, v93
.LBB96_204:
	s_or_b64 exec, exec, s[18:19]
.LBB96_205:
	s_andn2_saveexec_b64 s[0:1], s[0:1]
	s_cbranch_execz .LBB96_207
; %bb.206:
	buffer_load_dword v65, off, s[24:27], 0 offset:224 ; 4-byte Folded Reload
	buffer_load_dword v66, off, s[24:27], 0 offset:228 ; 4-byte Folded Reload
	buffer_load_dword v67, off, s[24:27], 0 offset:232 ; 4-byte Folded Reload
	buffer_load_dword v68, off, s[24:27], 0 offset:236 ; 4-byte Folded Reload
	v_mov_b32_e32 v92, 9
	s_waitcnt vmcnt(0)
	ds_write2_b64 v90, v[65:66], v[67:68] offset0:20 offset1:21
	buffer_load_dword v65, off, s[24:27], 0 offset:208 ; 4-byte Folded Reload
	buffer_load_dword v66, off, s[24:27], 0 offset:212 ; 4-byte Folded Reload
	buffer_load_dword v67, off, s[24:27], 0 offset:216 ; 4-byte Folded Reload
	buffer_load_dword v68, off, s[24:27], 0 offset:220 ; 4-byte Folded Reload
	s_waitcnt vmcnt(0)
	ds_write2_b64 v90, v[65:66], v[67:68] offset0:22 offset1:23
	buffer_load_dword v65, off, s[24:27], 0 offset:192 ; 4-byte Folded Reload
	buffer_load_dword v66, off, s[24:27], 0 offset:196 ; 4-byte Folded Reload
	buffer_load_dword v67, off, s[24:27], 0 offset:200 ; 4-byte Folded Reload
	buffer_load_dword v68, off, s[24:27], 0 offset:204 ; 4-byte Folded Reload
	;; [unrolled: 6-line block ×13, first 2 shown]
	s_waitcnt vmcnt(0)
	ds_write2_b64 v90, v[65:66], v[67:68] offset0:46 offset1:47
	ds_write2_b64 v90, v[85:86], v[87:88] offset0:48 offset1:49
	;; [unrolled: 1-line block ×8, first 2 shown]
	buffer_load_dword v65, off, s[24:27], 0 ; 4-byte Folded Reload
	buffer_load_dword v66, off, s[24:27], 0 offset:4 ; 4-byte Folded Reload
	buffer_load_dword v67, off, s[24:27], 0 offset:8 ; 4-byte Folded Reload
	;; [unrolled: 1-line block ×3, first 2 shown]
	s_waitcnt vmcnt(0)
	ds_write2_b64 v90, v[65:66], v[67:68] offset0:62 offset1:63
	ds_write2_b64 v90, v[61:62], v[63:64] offset0:64 offset1:65
	;; [unrolled: 1-line block ×18, first 2 shown]
.LBB96_207:
	s_or_b64 exec, exec, s[0:1]
	v_cmp_lt_i32_e32 vcc, 9, v92
	s_waitcnt vmcnt(0) lgkmcnt(0)
	s_barrier
	s_and_saveexec_b64 s[0:1], vcc
	s_cbranch_execz .LBB96_209
; %bb.208:
	buffer_load_dword v97, off, s[24:27], 0 offset:240 ; 4-byte Folded Reload
	buffer_load_dword v98, off, s[24:27], 0 offset:244 ; 4-byte Folded Reload
	;; [unrolled: 1-line block ×4, first 2 shown]
	s_waitcnt vmcnt(0)
	v_mul_f64 v[93:94], v[119:120], v[99:100]
	v_fma_f64 v[125:126], v[117:118], v[97:98], -v[93:94]
	v_mul_f64 v[93:94], v[117:118], v[99:100]
	v_fma_f64 v[99:100], v[119:120], v[97:98], v[93:94]
	ds_read2_b64 v[93:96], v90 offset0:20 offset1:21
	buffer_load_dword v65, off, s[24:27], 0 offset:224 ; 4-byte Folded Reload
	buffer_load_dword v66, off, s[24:27], 0 offset:228 ; 4-byte Folded Reload
	buffer_load_dword v67, off, s[24:27], 0 offset:232 ; 4-byte Folded Reload
	buffer_load_dword v68, off, s[24:27], 0 offset:236 ; 4-byte Folded Reload
	s_waitcnt lgkmcnt(0)
	v_mul_f64 v[97:98], v[95:96], v[99:100]
	v_fma_f64 v[97:98], v[93:94], v[125:126], -v[97:98]
	v_mul_f64 v[93:94], v[93:94], v[99:100]
	v_fma_f64 v[93:94], v[95:96], v[125:126], v[93:94]
	s_waitcnt vmcnt(2)
	v_add_f64 v[65:66], v[65:66], -v[97:98]
	s_waitcnt vmcnt(0)
	v_add_f64 v[67:68], v[67:68], -v[93:94]
	buffer_store_dword v65, off, s[24:27], 0 offset:224 ; 4-byte Folded Spill
	s_nop 0
	buffer_store_dword v66, off, s[24:27], 0 offset:228 ; 4-byte Folded Spill
	buffer_store_dword v67, off, s[24:27], 0 offset:232 ; 4-byte Folded Spill
	buffer_store_dword v68, off, s[24:27], 0 offset:236 ; 4-byte Folded Spill
	ds_read2_b64 v[93:96], v90 offset0:22 offset1:23
	buffer_load_dword v65, off, s[24:27], 0 offset:208 ; 4-byte Folded Reload
	buffer_load_dword v66, off, s[24:27], 0 offset:212 ; 4-byte Folded Reload
	buffer_load_dword v67, off, s[24:27], 0 offset:216 ; 4-byte Folded Reload
	buffer_load_dword v68, off, s[24:27], 0 offset:220 ; 4-byte Folded Reload
	s_waitcnt lgkmcnt(0)
	v_mul_f64 v[97:98], v[95:96], v[99:100]
	v_fma_f64 v[97:98], v[93:94], v[125:126], -v[97:98]
	v_mul_f64 v[93:94], v[93:94], v[99:100]
	v_fma_f64 v[93:94], v[95:96], v[125:126], v[93:94]
	s_waitcnt vmcnt(2)
	v_add_f64 v[65:66], v[65:66], -v[97:98]
	s_waitcnt vmcnt(0)
	v_add_f64 v[67:68], v[67:68], -v[93:94]
	buffer_store_dword v65, off, s[24:27], 0 offset:208 ; 4-byte Folded Spill
	s_nop 0
	buffer_store_dword v66, off, s[24:27], 0 offset:212 ; 4-byte Folded Spill
	buffer_store_dword v67, off, s[24:27], 0 offset:216 ; 4-byte Folded Spill
	buffer_store_dword v68, off, s[24:27], 0 offset:220 ; 4-byte Folded Spill
	;; [unrolled: 19-line block ×14, first 2 shown]
	ds_read2_b64 v[93:96], v90 offset0:48 offset1:49
	s_waitcnt lgkmcnt(0)
	v_mul_f64 v[97:98], v[95:96], v[99:100]
	v_fma_f64 v[97:98], v[93:94], v[125:126], -v[97:98]
	v_mul_f64 v[93:94], v[93:94], v[99:100]
	v_add_f64 v[85:86], v[85:86], -v[97:98]
	v_fma_f64 v[93:94], v[95:96], v[125:126], v[93:94]
	v_add_f64 v[87:88], v[87:88], -v[93:94]
	ds_read2_b64 v[93:96], v90 offset0:50 offset1:51
	s_waitcnt lgkmcnt(0)
	v_mul_f64 v[97:98], v[95:96], v[99:100]
	v_fma_f64 v[97:98], v[93:94], v[125:126], -v[97:98]
	v_mul_f64 v[93:94], v[93:94], v[99:100]
	v_add_f64 v[107:108], v[107:108], -v[97:98]
	v_fma_f64 v[93:94], v[95:96], v[125:126], v[93:94]
	v_add_f64 v[109:110], v[109:110], -v[93:94]
	;; [unrolled: 8-line block ×7, first 2 shown]
	ds_read2_b64 v[93:96], v90 offset0:62 offset1:63
	buffer_load_dword v65, off, s[24:27], 0 ; 4-byte Folded Reload
	buffer_load_dword v66, off, s[24:27], 0 offset:4 ; 4-byte Folded Reload
	buffer_load_dword v67, off, s[24:27], 0 offset:8 ; 4-byte Folded Reload
	;; [unrolled: 1-line block ×3, first 2 shown]
	s_waitcnt lgkmcnt(0)
	v_mul_f64 v[97:98], v[95:96], v[99:100]
	v_fma_f64 v[97:98], v[93:94], v[125:126], -v[97:98]
	v_mul_f64 v[93:94], v[93:94], v[99:100]
	v_fma_f64 v[93:94], v[95:96], v[125:126], v[93:94]
	s_waitcnt vmcnt(2)
	v_add_f64 v[65:66], v[65:66], -v[97:98]
	s_waitcnt vmcnt(0)
	v_add_f64 v[67:68], v[67:68], -v[93:94]
	buffer_store_dword v65, off, s[24:27], 0 ; 4-byte Folded Spill
	s_nop 0
	buffer_store_dword v66, off, s[24:27], 0 offset:4 ; 4-byte Folded Spill
	buffer_store_dword v67, off, s[24:27], 0 offset:8 ; 4-byte Folded Spill
	;; [unrolled: 1-line block ×3, first 2 shown]
	ds_read2_b64 v[93:96], v90 offset0:64 offset1:65
	s_waitcnt lgkmcnt(0)
	v_mul_f64 v[97:98], v[95:96], v[99:100]
	v_fma_f64 v[97:98], v[93:94], v[125:126], -v[97:98]
	v_mul_f64 v[93:94], v[93:94], v[99:100]
	v_add_f64 v[61:62], v[61:62], -v[97:98]
	v_fma_f64 v[93:94], v[95:96], v[125:126], v[93:94]
	v_add_f64 v[63:64], v[63:64], -v[93:94]
	ds_read2_b64 v[93:96], v90 offset0:66 offset1:67
	s_waitcnt lgkmcnt(0)
	v_mul_f64 v[97:98], v[95:96], v[99:100]
	v_fma_f64 v[97:98], v[93:94], v[125:126], -v[97:98]
	v_mul_f64 v[93:94], v[93:94], v[99:100]
	v_add_f64 v[57:58], v[57:58], -v[97:98]
	v_fma_f64 v[93:94], v[95:96], v[125:126], v[93:94]
	v_add_f64 v[59:60], v[59:60], -v[93:94]
	;; [unrolled: 8-line block ×16, first 2 shown]
	ds_read2_b64 v[93:96], v90 offset0:96 offset1:97
	s_waitcnt lgkmcnt(0)
	v_mul_f64 v[97:98], v[95:96], v[99:100]
	v_fma_f64 v[97:98], v[93:94], v[125:126], -v[97:98]
	v_mul_f64 v[93:94], v[93:94], v[99:100]
	v_add_f64 v[121:122], v[121:122], -v[97:98]
	v_fma_f64 v[93:94], v[95:96], v[125:126], v[93:94]
	v_mov_b32_e32 v97, v125
	v_mov_b32_e32 v98, v126
	buffer_store_dword v97, off, s[24:27], 0 offset:240 ; 4-byte Folded Spill
	s_nop 0
	buffer_store_dword v98, off, s[24:27], 0 offset:244 ; 4-byte Folded Spill
	buffer_store_dword v99, off, s[24:27], 0 offset:248 ; 4-byte Folded Spill
	;; [unrolled: 1-line block ×3, first 2 shown]
	v_add_f64 v[123:124], v[123:124], -v[93:94]
.LBB96_209:
	s_or_b64 exec, exec, s[0:1]
	s_waitcnt vmcnt(0)
	s_barrier
	buffer_load_dword v65, off, s[24:27], 0 offset:224 ; 4-byte Folded Reload
	buffer_load_dword v66, off, s[24:27], 0 offset:228 ; 4-byte Folded Reload
	;; [unrolled: 1-line block ×4, first 2 shown]
	v_lshl_add_u32 v93, v92, 4, v90
	s_cmp_lt_i32 s3, 12
	s_waitcnt vmcnt(0)
	ds_write2_b64 v93, v[65:66], v[67:68] offset1:1
	s_waitcnt lgkmcnt(0)
	s_barrier
	ds_read2_b64 v[117:120], v90 offset0:20 offset1:21
	v_mov_b32_e32 v93, 10
	s_cbranch_scc1 .LBB96_212
; %bb.210:
	v_add_u32_e32 v94, 0xb0, v90
	s_mov_b32 s0, 11
	v_mov_b32_e32 v93, 10
.LBB96_211:                             ; =>This Inner Loop Header: Depth=1
	s_waitcnt lgkmcnt(0)
	v_cmp_gt_f64_e32 vcc, 0, v[117:118]
	v_xor_b32_e32 v99, 0x80000000, v118
	ds_read2_b64 v[95:98], v94 offset1:1
	v_xor_b32_e32 v101, 0x80000000, v120
	v_add_u32_e32 v94, 16, v94
	s_waitcnt lgkmcnt(0)
	v_xor_b32_e32 v103, 0x80000000, v98
	v_cndmask_b32_e32 v100, v118, v99, vcc
	v_cmp_gt_f64_e32 vcc, 0, v[119:120]
	v_mov_b32_e32 v99, v117
	v_cndmask_b32_e32 v102, v120, v101, vcc
	v_cmp_gt_f64_e32 vcc, 0, v[95:96]
	v_mov_b32_e32 v101, v119
	v_add_f64 v[99:100], v[99:100], v[101:102]
	v_xor_b32_e32 v101, 0x80000000, v96
	v_cndmask_b32_e32 v102, v96, v101, vcc
	v_cmp_gt_f64_e32 vcc, 0, v[97:98]
	v_mov_b32_e32 v101, v95
	v_cndmask_b32_e32 v104, v98, v103, vcc
	v_mov_b32_e32 v103, v97
	v_add_f64 v[101:102], v[101:102], v[103:104]
	v_cmp_lt_f64_e32 vcc, v[99:100], v[101:102]
	v_cndmask_b32_e32 v117, v117, v95, vcc
	v_mov_b32_e32 v95, s0
	s_add_i32 s0, s0, 1
	v_cndmask_b32_e32 v118, v118, v96, vcc
	v_cndmask_b32_e32 v120, v120, v98, vcc
	;; [unrolled: 1-line block ×4, first 2 shown]
	s_cmp_lg_u32 s3, s0
	s_cbranch_scc1 .LBB96_211
.LBB96_212:
	s_waitcnt lgkmcnt(0)
	v_cmp_eq_f64_e32 vcc, 0, v[117:118]
	v_cmp_eq_f64_e64 s[0:1], 0, v[119:120]
	s_and_b64 s[0:1], vcc, s[0:1]
	s_and_saveexec_b64 s[18:19], s[0:1]
	s_xor_b64 s[0:1], exec, s[18:19]
; %bb.213:
	v_cmp_ne_u32_e32 vcc, 0, v91
	v_cndmask_b32_e32 v91, 11, v91, vcc
; %bb.214:
	s_andn2_saveexec_b64 s[0:1], s[0:1]
	s_cbranch_execz .LBB96_220
; %bb.215:
	v_cmp_ngt_f64_e64 s[18:19], |v[117:118]|, |v[119:120]|
	s_and_saveexec_b64 s[20:21], s[18:19]
	s_xor_b64 s[18:19], exec, s[20:21]
	s_cbranch_execz .LBB96_217
; %bb.216:
	v_div_scale_f64 v[94:95], s[20:21], v[119:120], v[119:120], v[117:118]
	v_rcp_f64_e32 v[96:97], v[94:95]
	v_fma_f64 v[98:99], -v[94:95], v[96:97], 1.0
	v_fma_f64 v[96:97], v[96:97], v[98:99], v[96:97]
	v_div_scale_f64 v[98:99], vcc, v[117:118], v[119:120], v[117:118]
	v_fma_f64 v[100:101], -v[94:95], v[96:97], 1.0
	v_fma_f64 v[96:97], v[96:97], v[100:101], v[96:97]
	v_mul_f64 v[100:101], v[98:99], v[96:97]
	v_fma_f64 v[94:95], -v[94:95], v[100:101], v[98:99]
	v_div_fmas_f64 v[94:95], v[94:95], v[96:97], v[100:101]
	v_div_fixup_f64 v[94:95], v[94:95], v[119:120], v[117:118]
	v_fma_f64 v[96:97], v[117:118], v[94:95], v[119:120]
	v_div_scale_f64 v[98:99], s[20:21], v[96:97], v[96:97], 1.0
	v_div_scale_f64 v[104:105], vcc, 1.0, v[96:97], 1.0
	v_rcp_f64_e32 v[100:101], v[98:99]
	v_fma_f64 v[102:103], -v[98:99], v[100:101], 1.0
	v_fma_f64 v[100:101], v[100:101], v[102:103], v[100:101]
	v_fma_f64 v[102:103], -v[98:99], v[100:101], 1.0
	v_fma_f64 v[100:101], v[100:101], v[102:103], v[100:101]
	v_mul_f64 v[102:103], v[104:105], v[100:101]
	v_fma_f64 v[98:99], -v[98:99], v[102:103], v[104:105]
	v_div_fmas_f64 v[98:99], v[98:99], v[100:101], v[102:103]
	v_div_fixup_f64 v[119:120], v[98:99], v[96:97], 1.0
	v_mul_f64 v[117:118], v[94:95], v[119:120]
	v_xor_b32_e32 v120, 0x80000000, v120
.LBB96_217:
	s_andn2_saveexec_b64 s[18:19], s[18:19]
	s_cbranch_execz .LBB96_219
; %bb.218:
	v_div_scale_f64 v[94:95], s[20:21], v[117:118], v[117:118], v[119:120]
	v_rcp_f64_e32 v[96:97], v[94:95]
	v_fma_f64 v[98:99], -v[94:95], v[96:97], 1.0
	v_fma_f64 v[96:97], v[96:97], v[98:99], v[96:97]
	v_div_scale_f64 v[98:99], vcc, v[119:120], v[117:118], v[119:120]
	v_fma_f64 v[100:101], -v[94:95], v[96:97], 1.0
	v_fma_f64 v[96:97], v[96:97], v[100:101], v[96:97]
	v_mul_f64 v[100:101], v[98:99], v[96:97]
	v_fma_f64 v[94:95], -v[94:95], v[100:101], v[98:99]
	v_div_fmas_f64 v[94:95], v[94:95], v[96:97], v[100:101]
	v_div_fixup_f64 v[94:95], v[94:95], v[117:118], v[119:120]
	v_fma_f64 v[96:97], v[119:120], v[94:95], v[117:118]
	v_div_scale_f64 v[98:99], s[20:21], v[96:97], v[96:97], 1.0
	v_div_scale_f64 v[104:105], vcc, 1.0, v[96:97], 1.0
	v_rcp_f64_e32 v[100:101], v[98:99]
	v_fma_f64 v[102:103], -v[98:99], v[100:101], 1.0
	v_fma_f64 v[100:101], v[100:101], v[102:103], v[100:101]
	v_fma_f64 v[102:103], -v[98:99], v[100:101], 1.0
	v_fma_f64 v[100:101], v[100:101], v[102:103], v[100:101]
	v_mul_f64 v[102:103], v[104:105], v[100:101]
	v_fma_f64 v[98:99], -v[98:99], v[102:103], v[104:105]
	v_div_fmas_f64 v[98:99], v[98:99], v[100:101], v[102:103]
	v_div_fixup_f64 v[117:118], v[98:99], v[96:97], 1.0
	v_mul_f64 v[119:120], v[94:95], -v[117:118]
.LBB96_219:
	s_or_b64 exec, exec, s[18:19]
.LBB96_220:
	s_or_b64 exec, exec, s[0:1]
	v_cmp_ne_u32_e32 vcc, v92, v93
	s_and_saveexec_b64 s[0:1], vcc
	s_xor_b64 s[0:1], exec, s[0:1]
	s_cbranch_execz .LBB96_226
; %bb.221:
	v_cmp_eq_u32_e32 vcc, 10, v92
	s_and_saveexec_b64 s[18:19], vcc
	s_cbranch_execz .LBB96_225
; %bb.222:
	v_cmp_ne_u32_e32 vcc, 10, v93
	s_xor_b64 s[20:21], s[6:7], -1
	s_and_b64 s[22:23], s[20:21], vcc
	s_and_saveexec_b64 s[20:21], s[22:23]
	s_cbranch_execz .LBB96_224
; %bb.223:
	v_mov_b32_e32 v65, v85
	v_mov_b32_e32 v66, v86
	;; [unrolled: 1-line block ×4, first 2 shown]
	buffer_load_dword v85, off, s[24:27], 0 offset:352 ; 4-byte Folded Reload
	buffer_load_dword v86, off, s[24:27], 0 offset:356 ; 4-byte Folded Reload
	v_ashrrev_i32_e32 v94, 31, v93
	v_lshlrev_b64 v[94:95], 2, v[93:94]
	s_waitcnt vmcnt(1)
	v_add_co_u32_e32 v94, vcc, v85, v94
	s_waitcnt vmcnt(0)
	v_addc_co_u32_e32 v95, vcc, v86, v95, vcc
	global_load_dword v0, v[94:95], off
	global_load_dword v92, v[85:86], off offset:40
	s_waitcnt vmcnt(1)
	global_store_dword v[85:86], v0, off offset:40
	v_mov_b32_e32 v88, v68
	v_mov_b32_e32 v87, v67
	;; [unrolled: 1-line block ×4, first 2 shown]
	s_waitcnt vmcnt(1)
	global_store_dword v[94:95], v92, off
.LBB96_224:
	s_or_b64 exec, exec, s[20:21]
	v_mov_b32_e32 v92, v93
	v_mov_b32_e32 v0, v93
.LBB96_225:
	s_or_b64 exec, exec, s[18:19]
.LBB96_226:
	s_andn2_saveexec_b64 s[0:1], s[0:1]
	s_cbranch_execz .LBB96_228
; %bb.227:
	buffer_load_dword v65, off, s[24:27], 0 offset:208 ; 4-byte Folded Reload
	buffer_load_dword v66, off, s[24:27], 0 offset:212 ; 4-byte Folded Reload
	;; [unrolled: 1-line block ×4, first 2 shown]
	v_mov_b32_e32 v92, 10
	s_waitcnt vmcnt(0)
	ds_write2_b64 v90, v[65:66], v[67:68] offset0:22 offset1:23
	buffer_load_dword v65, off, s[24:27], 0 offset:192 ; 4-byte Folded Reload
	buffer_load_dword v66, off, s[24:27], 0 offset:196 ; 4-byte Folded Reload
	buffer_load_dword v67, off, s[24:27], 0 offset:200 ; 4-byte Folded Reload
	buffer_load_dword v68, off, s[24:27], 0 offset:204 ; 4-byte Folded Reload
	s_waitcnt vmcnt(0)
	ds_write2_b64 v90, v[65:66], v[67:68] offset0:24 offset1:25
	buffer_load_dword v65, off, s[24:27], 0 offset:176 ; 4-byte Folded Reload
	buffer_load_dword v66, off, s[24:27], 0 offset:180 ; 4-byte Folded Reload
	buffer_load_dword v67, off, s[24:27], 0 offset:184 ; 4-byte Folded Reload
	buffer_load_dword v68, off, s[24:27], 0 offset:188 ; 4-byte Folded Reload
	;; [unrolled: 6-line block ×12, first 2 shown]
	s_waitcnt vmcnt(0)
	ds_write2_b64 v90, v[65:66], v[67:68] offset0:46 offset1:47
	ds_write2_b64 v90, v[85:86], v[87:88] offset0:48 offset1:49
	;; [unrolled: 1-line block ×8, first 2 shown]
	buffer_load_dword v65, off, s[24:27], 0 ; 4-byte Folded Reload
	buffer_load_dword v66, off, s[24:27], 0 offset:4 ; 4-byte Folded Reload
	buffer_load_dword v67, off, s[24:27], 0 offset:8 ; 4-byte Folded Reload
	buffer_load_dword v68, off, s[24:27], 0 offset:12 ; 4-byte Folded Reload
	s_waitcnt vmcnt(0)
	ds_write2_b64 v90, v[65:66], v[67:68] offset0:62 offset1:63
	ds_write2_b64 v90, v[61:62], v[63:64] offset0:64 offset1:65
	;; [unrolled: 1-line block ×18, first 2 shown]
.LBB96_228:
	s_or_b64 exec, exec, s[0:1]
	v_cmp_lt_i32_e32 vcc, 10, v92
	s_waitcnt vmcnt(0) lgkmcnt(0)
	s_barrier
	s_and_saveexec_b64 s[0:1], vcc
	s_cbranch_execz .LBB96_230
; %bb.229:
	buffer_load_dword v97, off, s[24:27], 0 offset:224 ; 4-byte Folded Reload
	buffer_load_dword v98, off, s[24:27], 0 offset:228 ; 4-byte Folded Reload
	;; [unrolled: 1-line block ×4, first 2 shown]
	s_waitcnt vmcnt(0)
	v_mul_f64 v[93:94], v[119:120], v[99:100]
	v_fma_f64 v[125:126], v[117:118], v[97:98], -v[93:94]
	v_mul_f64 v[93:94], v[117:118], v[99:100]
	v_fma_f64 v[99:100], v[119:120], v[97:98], v[93:94]
	ds_read2_b64 v[93:96], v90 offset0:22 offset1:23
	buffer_load_dword v65, off, s[24:27], 0 offset:208 ; 4-byte Folded Reload
	buffer_load_dword v66, off, s[24:27], 0 offset:212 ; 4-byte Folded Reload
	buffer_load_dword v67, off, s[24:27], 0 offset:216 ; 4-byte Folded Reload
	buffer_load_dword v68, off, s[24:27], 0 offset:220 ; 4-byte Folded Reload
	s_waitcnt lgkmcnt(0)
	v_mul_f64 v[97:98], v[95:96], v[99:100]
	v_fma_f64 v[97:98], v[93:94], v[125:126], -v[97:98]
	v_mul_f64 v[93:94], v[93:94], v[99:100]
	v_fma_f64 v[93:94], v[95:96], v[125:126], v[93:94]
	s_waitcnt vmcnt(2)
	v_add_f64 v[65:66], v[65:66], -v[97:98]
	s_waitcnt vmcnt(0)
	v_add_f64 v[67:68], v[67:68], -v[93:94]
	buffer_store_dword v65, off, s[24:27], 0 offset:208 ; 4-byte Folded Spill
	s_nop 0
	buffer_store_dword v66, off, s[24:27], 0 offset:212 ; 4-byte Folded Spill
	buffer_store_dword v67, off, s[24:27], 0 offset:216 ; 4-byte Folded Spill
	buffer_store_dword v68, off, s[24:27], 0 offset:220 ; 4-byte Folded Spill
	ds_read2_b64 v[93:96], v90 offset0:24 offset1:25
	buffer_load_dword v65, off, s[24:27], 0 offset:192 ; 4-byte Folded Reload
	buffer_load_dword v66, off, s[24:27], 0 offset:196 ; 4-byte Folded Reload
	buffer_load_dword v67, off, s[24:27], 0 offset:200 ; 4-byte Folded Reload
	buffer_load_dword v68, off, s[24:27], 0 offset:204 ; 4-byte Folded Reload
	s_waitcnt lgkmcnt(0)
	v_mul_f64 v[97:98], v[95:96], v[99:100]
	v_fma_f64 v[97:98], v[93:94], v[125:126], -v[97:98]
	v_mul_f64 v[93:94], v[93:94], v[99:100]
	v_fma_f64 v[93:94], v[95:96], v[125:126], v[93:94]
	s_waitcnt vmcnt(2)
	v_add_f64 v[65:66], v[65:66], -v[97:98]
	s_waitcnt vmcnt(0)
	v_add_f64 v[67:68], v[67:68], -v[93:94]
	buffer_store_dword v65, off, s[24:27], 0 offset:192 ; 4-byte Folded Spill
	s_nop 0
	buffer_store_dword v66, off, s[24:27], 0 offset:196 ; 4-byte Folded Spill
	buffer_store_dword v67, off, s[24:27], 0 offset:200 ; 4-byte Folded Spill
	buffer_store_dword v68, off, s[24:27], 0 offset:204 ; 4-byte Folded Spill
	;; [unrolled: 19-line block ×13, first 2 shown]
	ds_read2_b64 v[93:96], v90 offset0:48 offset1:49
	s_waitcnt lgkmcnt(0)
	v_mul_f64 v[97:98], v[95:96], v[99:100]
	v_fma_f64 v[97:98], v[93:94], v[125:126], -v[97:98]
	v_mul_f64 v[93:94], v[93:94], v[99:100]
	v_add_f64 v[85:86], v[85:86], -v[97:98]
	v_fma_f64 v[93:94], v[95:96], v[125:126], v[93:94]
	v_add_f64 v[87:88], v[87:88], -v[93:94]
	ds_read2_b64 v[93:96], v90 offset0:50 offset1:51
	s_waitcnt lgkmcnt(0)
	v_mul_f64 v[97:98], v[95:96], v[99:100]
	v_fma_f64 v[97:98], v[93:94], v[125:126], -v[97:98]
	v_mul_f64 v[93:94], v[93:94], v[99:100]
	v_add_f64 v[107:108], v[107:108], -v[97:98]
	v_fma_f64 v[93:94], v[95:96], v[125:126], v[93:94]
	v_add_f64 v[109:110], v[109:110], -v[93:94]
	ds_read2_b64 v[93:96], v90 offset0:52 offset1:53
	s_waitcnt lgkmcnt(0)
	v_mul_f64 v[97:98], v[95:96], v[99:100]
	v_fma_f64 v[97:98], v[93:94], v[125:126], -v[97:98]
	v_mul_f64 v[93:94], v[93:94], v[99:100]
	v_add_f64 v[113:114], v[113:114], -v[97:98]
	v_fma_f64 v[93:94], v[95:96], v[125:126], v[93:94]
	v_add_f64 v[115:116], v[115:116], -v[93:94]
	ds_read2_b64 v[93:96], v90 offset0:54 offset1:55
	s_waitcnt lgkmcnt(0)
	v_mul_f64 v[97:98], v[95:96], v[99:100]
	v_fma_f64 v[97:98], v[93:94], v[125:126], -v[97:98]
	v_mul_f64 v[93:94], v[93:94], v[99:100]
	v_add_f64 v[81:82], v[81:82], -v[97:98]
	v_fma_f64 v[93:94], v[95:96], v[125:126], v[93:94]
	v_add_f64 v[83:84], v[83:84], -v[93:94]
	ds_read2_b64 v[93:96], v90 offset0:56 offset1:57
	s_waitcnt lgkmcnt(0)
	v_mul_f64 v[97:98], v[95:96], v[99:100]
	v_fma_f64 v[97:98], v[93:94], v[125:126], -v[97:98]
	v_mul_f64 v[93:94], v[93:94], v[99:100]
	v_add_f64 v[77:78], v[77:78], -v[97:98]
	v_fma_f64 v[93:94], v[95:96], v[125:126], v[93:94]
	v_add_f64 v[79:80], v[79:80], -v[93:94]
	ds_read2_b64 v[93:96], v90 offset0:58 offset1:59
	s_waitcnt lgkmcnt(0)
	v_mul_f64 v[97:98], v[95:96], v[99:100]
	v_fma_f64 v[97:98], v[93:94], v[125:126], -v[97:98]
	v_mul_f64 v[93:94], v[93:94], v[99:100]
	v_add_f64 v[73:74], v[73:74], -v[97:98]
	v_fma_f64 v[93:94], v[95:96], v[125:126], v[93:94]
	v_add_f64 v[75:76], v[75:76], -v[93:94]
	ds_read2_b64 v[93:96], v90 offset0:60 offset1:61
	s_waitcnt lgkmcnt(0)
	v_mul_f64 v[97:98], v[95:96], v[99:100]
	v_fma_f64 v[97:98], v[93:94], v[125:126], -v[97:98]
	v_mul_f64 v[93:94], v[93:94], v[99:100]
	v_add_f64 v[69:70], v[69:70], -v[97:98]
	v_fma_f64 v[93:94], v[95:96], v[125:126], v[93:94]
	v_add_f64 v[71:72], v[71:72], -v[93:94]
	ds_read2_b64 v[93:96], v90 offset0:62 offset1:63
	buffer_load_dword v65, off, s[24:27], 0 ; 4-byte Folded Reload
	buffer_load_dword v66, off, s[24:27], 0 offset:4 ; 4-byte Folded Reload
	buffer_load_dword v67, off, s[24:27], 0 offset:8 ; 4-byte Folded Reload
	;; [unrolled: 1-line block ×3, first 2 shown]
	s_waitcnt lgkmcnt(0)
	v_mul_f64 v[97:98], v[95:96], v[99:100]
	v_fma_f64 v[97:98], v[93:94], v[125:126], -v[97:98]
	v_mul_f64 v[93:94], v[93:94], v[99:100]
	v_fma_f64 v[93:94], v[95:96], v[125:126], v[93:94]
	s_waitcnt vmcnt(2)
	v_add_f64 v[65:66], v[65:66], -v[97:98]
	s_waitcnt vmcnt(0)
	v_add_f64 v[67:68], v[67:68], -v[93:94]
	buffer_store_dword v65, off, s[24:27], 0 ; 4-byte Folded Spill
	s_nop 0
	buffer_store_dword v66, off, s[24:27], 0 offset:4 ; 4-byte Folded Spill
	buffer_store_dword v67, off, s[24:27], 0 offset:8 ; 4-byte Folded Spill
	;; [unrolled: 1-line block ×3, first 2 shown]
	ds_read2_b64 v[93:96], v90 offset0:64 offset1:65
	s_waitcnt lgkmcnt(0)
	v_mul_f64 v[97:98], v[95:96], v[99:100]
	v_fma_f64 v[97:98], v[93:94], v[125:126], -v[97:98]
	v_mul_f64 v[93:94], v[93:94], v[99:100]
	v_add_f64 v[61:62], v[61:62], -v[97:98]
	v_fma_f64 v[93:94], v[95:96], v[125:126], v[93:94]
	v_add_f64 v[63:64], v[63:64], -v[93:94]
	ds_read2_b64 v[93:96], v90 offset0:66 offset1:67
	s_waitcnt lgkmcnt(0)
	v_mul_f64 v[97:98], v[95:96], v[99:100]
	v_fma_f64 v[97:98], v[93:94], v[125:126], -v[97:98]
	v_mul_f64 v[93:94], v[93:94], v[99:100]
	v_add_f64 v[57:58], v[57:58], -v[97:98]
	v_fma_f64 v[93:94], v[95:96], v[125:126], v[93:94]
	v_add_f64 v[59:60], v[59:60], -v[93:94]
	;; [unrolled: 8-line block ×16, first 2 shown]
	ds_read2_b64 v[93:96], v90 offset0:96 offset1:97
	s_waitcnt lgkmcnt(0)
	v_mul_f64 v[97:98], v[95:96], v[99:100]
	v_fma_f64 v[97:98], v[93:94], v[125:126], -v[97:98]
	v_mul_f64 v[93:94], v[93:94], v[99:100]
	v_add_f64 v[121:122], v[121:122], -v[97:98]
	v_fma_f64 v[93:94], v[95:96], v[125:126], v[93:94]
	v_mov_b32_e32 v97, v125
	v_mov_b32_e32 v98, v126
	buffer_store_dword v97, off, s[24:27], 0 offset:224 ; 4-byte Folded Spill
	s_nop 0
	buffer_store_dword v98, off, s[24:27], 0 offset:228 ; 4-byte Folded Spill
	buffer_store_dword v99, off, s[24:27], 0 offset:232 ; 4-byte Folded Spill
	;; [unrolled: 1-line block ×3, first 2 shown]
	v_add_f64 v[123:124], v[123:124], -v[93:94]
.LBB96_230:
	s_or_b64 exec, exec, s[0:1]
	s_waitcnt vmcnt(0)
	s_barrier
	buffer_load_dword v65, off, s[24:27], 0 offset:208 ; 4-byte Folded Reload
	buffer_load_dword v66, off, s[24:27], 0 offset:212 ; 4-byte Folded Reload
	;; [unrolled: 1-line block ×4, first 2 shown]
	v_lshl_add_u32 v93, v92, 4, v90
	s_cmp_lt_i32 s3, 13
	s_waitcnt vmcnt(0)
	ds_write2_b64 v93, v[65:66], v[67:68] offset1:1
	s_waitcnt lgkmcnt(0)
	s_barrier
	ds_read2_b64 v[117:120], v90 offset0:22 offset1:23
	v_mov_b32_e32 v93, 11
	s_cbranch_scc1 .LBB96_233
; %bb.231:
	v_add_u32_e32 v94, 0xc0, v90
	s_mov_b32 s0, 12
	v_mov_b32_e32 v93, 11
.LBB96_232:                             ; =>This Inner Loop Header: Depth=1
	s_waitcnt lgkmcnt(0)
	v_cmp_gt_f64_e32 vcc, 0, v[117:118]
	v_xor_b32_e32 v99, 0x80000000, v118
	ds_read2_b64 v[95:98], v94 offset1:1
	v_xor_b32_e32 v101, 0x80000000, v120
	v_add_u32_e32 v94, 16, v94
	s_waitcnt lgkmcnt(0)
	v_xor_b32_e32 v103, 0x80000000, v98
	v_cndmask_b32_e32 v100, v118, v99, vcc
	v_cmp_gt_f64_e32 vcc, 0, v[119:120]
	v_mov_b32_e32 v99, v117
	v_cndmask_b32_e32 v102, v120, v101, vcc
	v_cmp_gt_f64_e32 vcc, 0, v[95:96]
	v_mov_b32_e32 v101, v119
	v_add_f64 v[99:100], v[99:100], v[101:102]
	v_xor_b32_e32 v101, 0x80000000, v96
	v_cndmask_b32_e32 v102, v96, v101, vcc
	v_cmp_gt_f64_e32 vcc, 0, v[97:98]
	v_mov_b32_e32 v101, v95
	v_cndmask_b32_e32 v104, v98, v103, vcc
	v_mov_b32_e32 v103, v97
	v_add_f64 v[101:102], v[101:102], v[103:104]
	v_cmp_lt_f64_e32 vcc, v[99:100], v[101:102]
	v_cndmask_b32_e32 v117, v117, v95, vcc
	v_mov_b32_e32 v95, s0
	s_add_i32 s0, s0, 1
	v_cndmask_b32_e32 v118, v118, v96, vcc
	v_cndmask_b32_e32 v120, v120, v98, vcc
	;; [unrolled: 1-line block ×4, first 2 shown]
	s_cmp_lg_u32 s3, s0
	s_cbranch_scc1 .LBB96_232
.LBB96_233:
	s_waitcnt lgkmcnt(0)
	v_cmp_eq_f64_e32 vcc, 0, v[117:118]
	v_cmp_eq_f64_e64 s[0:1], 0, v[119:120]
	s_and_b64 s[0:1], vcc, s[0:1]
	s_and_saveexec_b64 s[18:19], s[0:1]
	s_xor_b64 s[0:1], exec, s[18:19]
; %bb.234:
	v_cmp_ne_u32_e32 vcc, 0, v91
	v_cndmask_b32_e32 v91, 12, v91, vcc
; %bb.235:
	s_andn2_saveexec_b64 s[0:1], s[0:1]
	s_cbranch_execz .LBB96_241
; %bb.236:
	v_cmp_ngt_f64_e64 s[18:19], |v[117:118]|, |v[119:120]|
	s_and_saveexec_b64 s[20:21], s[18:19]
	s_xor_b64 s[18:19], exec, s[20:21]
	s_cbranch_execz .LBB96_238
; %bb.237:
	v_div_scale_f64 v[94:95], s[20:21], v[119:120], v[119:120], v[117:118]
	v_rcp_f64_e32 v[96:97], v[94:95]
	v_fma_f64 v[98:99], -v[94:95], v[96:97], 1.0
	v_fma_f64 v[96:97], v[96:97], v[98:99], v[96:97]
	v_div_scale_f64 v[98:99], vcc, v[117:118], v[119:120], v[117:118]
	v_fma_f64 v[100:101], -v[94:95], v[96:97], 1.0
	v_fma_f64 v[96:97], v[96:97], v[100:101], v[96:97]
	v_mul_f64 v[100:101], v[98:99], v[96:97]
	v_fma_f64 v[94:95], -v[94:95], v[100:101], v[98:99]
	v_div_fmas_f64 v[94:95], v[94:95], v[96:97], v[100:101]
	v_div_fixup_f64 v[94:95], v[94:95], v[119:120], v[117:118]
	v_fma_f64 v[96:97], v[117:118], v[94:95], v[119:120]
	v_div_scale_f64 v[98:99], s[20:21], v[96:97], v[96:97], 1.0
	v_div_scale_f64 v[104:105], vcc, 1.0, v[96:97], 1.0
	v_rcp_f64_e32 v[100:101], v[98:99]
	v_fma_f64 v[102:103], -v[98:99], v[100:101], 1.0
	v_fma_f64 v[100:101], v[100:101], v[102:103], v[100:101]
	v_fma_f64 v[102:103], -v[98:99], v[100:101], 1.0
	v_fma_f64 v[100:101], v[100:101], v[102:103], v[100:101]
	v_mul_f64 v[102:103], v[104:105], v[100:101]
	v_fma_f64 v[98:99], -v[98:99], v[102:103], v[104:105]
	v_div_fmas_f64 v[98:99], v[98:99], v[100:101], v[102:103]
	v_div_fixup_f64 v[119:120], v[98:99], v[96:97], 1.0
	v_mul_f64 v[117:118], v[94:95], v[119:120]
	v_xor_b32_e32 v120, 0x80000000, v120
.LBB96_238:
	s_andn2_saveexec_b64 s[18:19], s[18:19]
	s_cbranch_execz .LBB96_240
; %bb.239:
	v_div_scale_f64 v[94:95], s[20:21], v[117:118], v[117:118], v[119:120]
	v_rcp_f64_e32 v[96:97], v[94:95]
	v_fma_f64 v[98:99], -v[94:95], v[96:97], 1.0
	v_fma_f64 v[96:97], v[96:97], v[98:99], v[96:97]
	v_div_scale_f64 v[98:99], vcc, v[119:120], v[117:118], v[119:120]
	v_fma_f64 v[100:101], -v[94:95], v[96:97], 1.0
	v_fma_f64 v[96:97], v[96:97], v[100:101], v[96:97]
	v_mul_f64 v[100:101], v[98:99], v[96:97]
	v_fma_f64 v[94:95], -v[94:95], v[100:101], v[98:99]
	v_div_fmas_f64 v[94:95], v[94:95], v[96:97], v[100:101]
	v_div_fixup_f64 v[94:95], v[94:95], v[117:118], v[119:120]
	v_fma_f64 v[96:97], v[119:120], v[94:95], v[117:118]
	v_div_scale_f64 v[98:99], s[20:21], v[96:97], v[96:97], 1.0
	v_div_scale_f64 v[104:105], vcc, 1.0, v[96:97], 1.0
	v_rcp_f64_e32 v[100:101], v[98:99]
	v_fma_f64 v[102:103], -v[98:99], v[100:101], 1.0
	v_fma_f64 v[100:101], v[100:101], v[102:103], v[100:101]
	v_fma_f64 v[102:103], -v[98:99], v[100:101], 1.0
	v_fma_f64 v[100:101], v[100:101], v[102:103], v[100:101]
	v_mul_f64 v[102:103], v[104:105], v[100:101]
	v_fma_f64 v[98:99], -v[98:99], v[102:103], v[104:105]
	v_div_fmas_f64 v[98:99], v[98:99], v[100:101], v[102:103]
	v_div_fixup_f64 v[117:118], v[98:99], v[96:97], 1.0
	v_mul_f64 v[119:120], v[94:95], -v[117:118]
.LBB96_240:
	s_or_b64 exec, exec, s[18:19]
.LBB96_241:
	s_or_b64 exec, exec, s[0:1]
	v_cmp_ne_u32_e32 vcc, v92, v93
	s_and_saveexec_b64 s[0:1], vcc
	s_xor_b64 s[0:1], exec, s[0:1]
	s_cbranch_execz .LBB96_247
; %bb.242:
	v_cmp_eq_u32_e32 vcc, 11, v92
	s_and_saveexec_b64 s[18:19], vcc
	s_cbranch_execz .LBB96_246
; %bb.243:
	v_cmp_ne_u32_e32 vcc, 11, v93
	s_xor_b64 s[20:21], s[6:7], -1
	s_and_b64 s[22:23], s[20:21], vcc
	s_and_saveexec_b64 s[20:21], s[22:23]
	s_cbranch_execz .LBB96_245
; %bb.244:
	v_mov_b32_e32 v65, v85
	v_mov_b32_e32 v66, v86
	v_mov_b32_e32 v67, v87
	v_mov_b32_e32 v68, v88
	buffer_load_dword v85, off, s[24:27], 0 offset:352 ; 4-byte Folded Reload
	buffer_load_dword v86, off, s[24:27], 0 offset:356 ; 4-byte Folded Reload
	v_ashrrev_i32_e32 v94, 31, v93
	v_lshlrev_b64 v[94:95], 2, v[93:94]
	s_waitcnt vmcnt(1)
	v_add_co_u32_e32 v94, vcc, v85, v94
	s_waitcnt vmcnt(0)
	v_addc_co_u32_e32 v95, vcc, v86, v95, vcc
	global_load_dword v0, v[94:95], off
	global_load_dword v92, v[85:86], off offset:44
	s_waitcnt vmcnt(1)
	global_store_dword v[85:86], v0, off offset:44
	v_mov_b32_e32 v88, v68
	v_mov_b32_e32 v87, v67
	;; [unrolled: 1-line block ×4, first 2 shown]
	s_waitcnt vmcnt(1)
	global_store_dword v[94:95], v92, off
.LBB96_245:
	s_or_b64 exec, exec, s[20:21]
	v_mov_b32_e32 v92, v93
	v_mov_b32_e32 v0, v93
.LBB96_246:
	s_or_b64 exec, exec, s[18:19]
.LBB96_247:
	s_andn2_saveexec_b64 s[0:1], s[0:1]
	s_cbranch_execz .LBB96_249
; %bb.248:
	buffer_load_dword v65, off, s[24:27], 0 offset:192 ; 4-byte Folded Reload
	buffer_load_dword v66, off, s[24:27], 0 offset:196 ; 4-byte Folded Reload
	;; [unrolled: 1-line block ×4, first 2 shown]
	v_mov_b32_e32 v92, 11
	s_waitcnt vmcnt(0)
	ds_write2_b64 v90, v[65:66], v[67:68] offset0:24 offset1:25
	buffer_load_dword v65, off, s[24:27], 0 offset:176 ; 4-byte Folded Reload
	buffer_load_dword v66, off, s[24:27], 0 offset:180 ; 4-byte Folded Reload
	buffer_load_dword v67, off, s[24:27], 0 offset:184 ; 4-byte Folded Reload
	buffer_load_dword v68, off, s[24:27], 0 offset:188 ; 4-byte Folded Reload
	s_waitcnt vmcnt(0)
	ds_write2_b64 v90, v[65:66], v[67:68] offset0:26 offset1:27
	buffer_load_dword v65, off, s[24:27], 0 offset:160 ; 4-byte Folded Reload
	buffer_load_dword v66, off, s[24:27], 0 offset:164 ; 4-byte Folded Reload
	buffer_load_dword v67, off, s[24:27], 0 offset:168 ; 4-byte Folded Reload
	buffer_load_dword v68, off, s[24:27], 0 offset:172 ; 4-byte Folded Reload
	s_waitcnt vmcnt(0)
	ds_write2_b64 v90, v[65:66], v[67:68] offset0:28 offset1:29
	buffer_load_dword v65, off, s[24:27], 0 offset:144 ; 4-byte Folded Reload
	buffer_load_dword v66, off, s[24:27], 0 offset:148 ; 4-byte Folded Reload
	buffer_load_dword v67, off, s[24:27], 0 offset:152 ; 4-byte Folded Reload
	buffer_load_dword v68, off, s[24:27], 0 offset:156 ; 4-byte Folded Reload
	s_waitcnt vmcnt(0)
	ds_write2_b64 v90, v[65:66], v[67:68] offset0:30 offset1:31
	buffer_load_dword v65, off, s[24:27], 0 offset:128 ; 4-byte Folded Reload
	buffer_load_dword v66, off, s[24:27], 0 offset:132 ; 4-byte Folded Reload
	buffer_load_dword v67, off, s[24:27], 0 offset:136 ; 4-byte Folded Reload
	buffer_load_dword v68, off, s[24:27], 0 offset:140 ; 4-byte Folded Reload
	s_waitcnt vmcnt(0)
	ds_write2_b64 v90, v[65:66], v[67:68] offset0:32 offset1:33
	buffer_load_dword v65, off, s[24:27], 0 offset:112 ; 4-byte Folded Reload
	buffer_load_dword v66, off, s[24:27], 0 offset:116 ; 4-byte Folded Reload
	buffer_load_dword v67, off, s[24:27], 0 offset:120 ; 4-byte Folded Reload
	buffer_load_dword v68, off, s[24:27], 0 offset:124 ; 4-byte Folded Reload
	s_waitcnt vmcnt(0)
	ds_write2_b64 v90, v[65:66], v[67:68] offset0:34 offset1:35
	buffer_load_dword v65, off, s[24:27], 0 offset:96 ; 4-byte Folded Reload
	buffer_load_dword v66, off, s[24:27], 0 offset:100 ; 4-byte Folded Reload
	buffer_load_dword v67, off, s[24:27], 0 offset:104 ; 4-byte Folded Reload
	buffer_load_dword v68, off, s[24:27], 0 offset:108 ; 4-byte Folded Reload
	s_waitcnt vmcnt(0)
	ds_write2_b64 v90, v[65:66], v[67:68] offset0:36 offset1:37
	buffer_load_dword v65, off, s[24:27], 0 offset:80 ; 4-byte Folded Reload
	buffer_load_dword v66, off, s[24:27], 0 offset:84 ; 4-byte Folded Reload
	buffer_load_dword v67, off, s[24:27], 0 offset:88 ; 4-byte Folded Reload
	buffer_load_dword v68, off, s[24:27], 0 offset:92 ; 4-byte Folded Reload
	s_waitcnt vmcnt(0)
	ds_write2_b64 v90, v[65:66], v[67:68] offset0:38 offset1:39
	buffer_load_dword v65, off, s[24:27], 0 offset:64 ; 4-byte Folded Reload
	buffer_load_dword v66, off, s[24:27], 0 offset:68 ; 4-byte Folded Reload
	buffer_load_dword v67, off, s[24:27], 0 offset:72 ; 4-byte Folded Reload
	buffer_load_dword v68, off, s[24:27], 0 offset:76 ; 4-byte Folded Reload
	s_waitcnt vmcnt(0)
	ds_write2_b64 v90, v[65:66], v[67:68] offset0:40 offset1:41
	buffer_load_dword v65, off, s[24:27], 0 offset:48 ; 4-byte Folded Reload
	buffer_load_dword v66, off, s[24:27], 0 offset:52 ; 4-byte Folded Reload
	buffer_load_dword v67, off, s[24:27], 0 offset:56 ; 4-byte Folded Reload
	buffer_load_dword v68, off, s[24:27], 0 offset:60 ; 4-byte Folded Reload
	s_waitcnt vmcnt(0)
	ds_write2_b64 v90, v[65:66], v[67:68] offset0:42 offset1:43
	buffer_load_dword v65, off, s[24:27], 0 offset:32 ; 4-byte Folded Reload
	buffer_load_dword v66, off, s[24:27], 0 offset:36 ; 4-byte Folded Reload
	buffer_load_dword v67, off, s[24:27], 0 offset:40 ; 4-byte Folded Reload
	buffer_load_dword v68, off, s[24:27], 0 offset:44 ; 4-byte Folded Reload
	s_waitcnt vmcnt(0)
	ds_write2_b64 v90, v[65:66], v[67:68] offset0:44 offset1:45
	buffer_load_dword v65, off, s[24:27], 0 offset:16 ; 4-byte Folded Reload
	buffer_load_dword v66, off, s[24:27], 0 offset:20 ; 4-byte Folded Reload
	buffer_load_dword v67, off, s[24:27], 0 offset:24 ; 4-byte Folded Reload
	buffer_load_dword v68, off, s[24:27], 0 offset:28 ; 4-byte Folded Reload
	s_waitcnt vmcnt(0)
	ds_write2_b64 v90, v[65:66], v[67:68] offset0:46 offset1:47
	ds_write2_b64 v90, v[85:86], v[87:88] offset0:48 offset1:49
	;; [unrolled: 1-line block ×8, first 2 shown]
	buffer_load_dword v65, off, s[24:27], 0 ; 4-byte Folded Reload
	buffer_load_dword v66, off, s[24:27], 0 offset:4 ; 4-byte Folded Reload
	buffer_load_dword v67, off, s[24:27], 0 offset:8 ; 4-byte Folded Reload
	;; [unrolled: 1-line block ×3, first 2 shown]
	s_waitcnt vmcnt(0)
	ds_write2_b64 v90, v[65:66], v[67:68] offset0:62 offset1:63
	ds_write2_b64 v90, v[61:62], v[63:64] offset0:64 offset1:65
	;; [unrolled: 1-line block ×18, first 2 shown]
.LBB96_249:
	s_or_b64 exec, exec, s[0:1]
	v_cmp_lt_i32_e32 vcc, 11, v92
	s_waitcnt vmcnt(0) lgkmcnt(0)
	s_barrier
	s_and_saveexec_b64 s[0:1], vcc
	s_cbranch_execz .LBB96_251
; %bb.250:
	buffer_load_dword v97, off, s[24:27], 0 offset:208 ; 4-byte Folded Reload
	buffer_load_dword v98, off, s[24:27], 0 offset:212 ; 4-byte Folded Reload
	;; [unrolled: 1-line block ×4, first 2 shown]
	s_waitcnt vmcnt(0)
	v_mul_f64 v[93:94], v[119:120], v[99:100]
	v_fma_f64 v[125:126], v[117:118], v[97:98], -v[93:94]
	v_mul_f64 v[93:94], v[117:118], v[99:100]
	v_fma_f64 v[99:100], v[119:120], v[97:98], v[93:94]
	ds_read2_b64 v[93:96], v90 offset0:24 offset1:25
	buffer_load_dword v65, off, s[24:27], 0 offset:192 ; 4-byte Folded Reload
	buffer_load_dword v66, off, s[24:27], 0 offset:196 ; 4-byte Folded Reload
	buffer_load_dword v67, off, s[24:27], 0 offset:200 ; 4-byte Folded Reload
	buffer_load_dword v68, off, s[24:27], 0 offset:204 ; 4-byte Folded Reload
	s_waitcnt lgkmcnt(0)
	v_mul_f64 v[97:98], v[95:96], v[99:100]
	v_fma_f64 v[97:98], v[93:94], v[125:126], -v[97:98]
	v_mul_f64 v[93:94], v[93:94], v[99:100]
	v_fma_f64 v[93:94], v[95:96], v[125:126], v[93:94]
	s_waitcnt vmcnt(2)
	v_add_f64 v[65:66], v[65:66], -v[97:98]
	s_waitcnt vmcnt(0)
	v_add_f64 v[67:68], v[67:68], -v[93:94]
	buffer_store_dword v65, off, s[24:27], 0 offset:192 ; 4-byte Folded Spill
	s_nop 0
	buffer_store_dword v66, off, s[24:27], 0 offset:196 ; 4-byte Folded Spill
	buffer_store_dword v67, off, s[24:27], 0 offset:200 ; 4-byte Folded Spill
	buffer_store_dword v68, off, s[24:27], 0 offset:204 ; 4-byte Folded Spill
	ds_read2_b64 v[93:96], v90 offset0:26 offset1:27
	buffer_load_dword v65, off, s[24:27], 0 offset:176 ; 4-byte Folded Reload
	buffer_load_dword v66, off, s[24:27], 0 offset:180 ; 4-byte Folded Reload
	buffer_load_dword v67, off, s[24:27], 0 offset:184 ; 4-byte Folded Reload
	buffer_load_dword v68, off, s[24:27], 0 offset:188 ; 4-byte Folded Reload
	s_waitcnt lgkmcnt(0)
	v_mul_f64 v[97:98], v[95:96], v[99:100]
	v_fma_f64 v[97:98], v[93:94], v[125:126], -v[97:98]
	v_mul_f64 v[93:94], v[93:94], v[99:100]
	v_fma_f64 v[93:94], v[95:96], v[125:126], v[93:94]
	s_waitcnt vmcnt(2)
	v_add_f64 v[65:66], v[65:66], -v[97:98]
	s_waitcnt vmcnt(0)
	v_add_f64 v[67:68], v[67:68], -v[93:94]
	buffer_store_dword v65, off, s[24:27], 0 offset:176 ; 4-byte Folded Spill
	s_nop 0
	buffer_store_dword v66, off, s[24:27], 0 offset:180 ; 4-byte Folded Spill
	buffer_store_dword v67, off, s[24:27], 0 offset:184 ; 4-byte Folded Spill
	buffer_store_dword v68, off, s[24:27], 0 offset:188 ; 4-byte Folded Spill
	ds_read2_b64 v[93:96], v90 offset0:28 offset1:29
	buffer_load_dword v65, off, s[24:27], 0 offset:160 ; 4-byte Folded Reload
	buffer_load_dword v66, off, s[24:27], 0 offset:164 ; 4-byte Folded Reload
	buffer_load_dword v67, off, s[24:27], 0 offset:168 ; 4-byte Folded Reload
	buffer_load_dword v68, off, s[24:27], 0 offset:172 ; 4-byte Folded Reload
	s_waitcnt lgkmcnt(0)
	v_mul_f64 v[97:98], v[95:96], v[99:100]
	v_fma_f64 v[97:98], v[93:94], v[125:126], -v[97:98]
	v_mul_f64 v[93:94], v[93:94], v[99:100]
	v_fma_f64 v[93:94], v[95:96], v[125:126], v[93:94]
	s_waitcnt vmcnt(2)
	v_add_f64 v[65:66], v[65:66], -v[97:98]
	s_waitcnt vmcnt(0)
	v_add_f64 v[67:68], v[67:68], -v[93:94]
	buffer_store_dword v65, off, s[24:27], 0 offset:160 ; 4-byte Folded Spill
	s_nop 0
	buffer_store_dword v66, off, s[24:27], 0 offset:164 ; 4-byte Folded Spill
	buffer_store_dword v67, off, s[24:27], 0 offset:168 ; 4-byte Folded Spill
	buffer_store_dword v68, off, s[24:27], 0 offset:172 ; 4-byte Folded Spill
	ds_read2_b64 v[93:96], v90 offset0:30 offset1:31
	buffer_load_dword v65, off, s[24:27], 0 offset:144 ; 4-byte Folded Reload
	buffer_load_dword v66, off, s[24:27], 0 offset:148 ; 4-byte Folded Reload
	buffer_load_dword v67, off, s[24:27], 0 offset:152 ; 4-byte Folded Reload
	buffer_load_dword v68, off, s[24:27], 0 offset:156 ; 4-byte Folded Reload
	s_waitcnt lgkmcnt(0)
	v_mul_f64 v[97:98], v[95:96], v[99:100]
	v_fma_f64 v[97:98], v[93:94], v[125:126], -v[97:98]
	v_mul_f64 v[93:94], v[93:94], v[99:100]
	v_fma_f64 v[93:94], v[95:96], v[125:126], v[93:94]
	s_waitcnt vmcnt(2)
	v_add_f64 v[65:66], v[65:66], -v[97:98]
	s_waitcnt vmcnt(0)
	v_add_f64 v[67:68], v[67:68], -v[93:94]
	buffer_store_dword v65, off, s[24:27], 0 offset:144 ; 4-byte Folded Spill
	s_nop 0
	buffer_store_dword v66, off, s[24:27], 0 offset:148 ; 4-byte Folded Spill
	buffer_store_dword v67, off, s[24:27], 0 offset:152 ; 4-byte Folded Spill
	buffer_store_dword v68, off, s[24:27], 0 offset:156 ; 4-byte Folded Spill
	ds_read2_b64 v[93:96], v90 offset0:32 offset1:33
	buffer_load_dword v65, off, s[24:27], 0 offset:128 ; 4-byte Folded Reload
	buffer_load_dword v66, off, s[24:27], 0 offset:132 ; 4-byte Folded Reload
	buffer_load_dword v67, off, s[24:27], 0 offset:136 ; 4-byte Folded Reload
	buffer_load_dword v68, off, s[24:27], 0 offset:140 ; 4-byte Folded Reload
	s_waitcnt lgkmcnt(0)
	v_mul_f64 v[97:98], v[95:96], v[99:100]
	v_fma_f64 v[97:98], v[93:94], v[125:126], -v[97:98]
	v_mul_f64 v[93:94], v[93:94], v[99:100]
	v_fma_f64 v[93:94], v[95:96], v[125:126], v[93:94]
	s_waitcnt vmcnt(2)
	v_add_f64 v[65:66], v[65:66], -v[97:98]
	s_waitcnt vmcnt(0)
	v_add_f64 v[67:68], v[67:68], -v[93:94]
	buffer_store_dword v65, off, s[24:27], 0 offset:128 ; 4-byte Folded Spill
	s_nop 0
	buffer_store_dword v66, off, s[24:27], 0 offset:132 ; 4-byte Folded Spill
	buffer_store_dword v67, off, s[24:27], 0 offset:136 ; 4-byte Folded Spill
	buffer_store_dword v68, off, s[24:27], 0 offset:140 ; 4-byte Folded Spill
	ds_read2_b64 v[93:96], v90 offset0:34 offset1:35
	buffer_load_dword v65, off, s[24:27], 0 offset:112 ; 4-byte Folded Reload
	buffer_load_dword v66, off, s[24:27], 0 offset:116 ; 4-byte Folded Reload
	buffer_load_dword v67, off, s[24:27], 0 offset:120 ; 4-byte Folded Reload
	buffer_load_dword v68, off, s[24:27], 0 offset:124 ; 4-byte Folded Reload
	s_waitcnt lgkmcnt(0)
	v_mul_f64 v[97:98], v[95:96], v[99:100]
	v_fma_f64 v[97:98], v[93:94], v[125:126], -v[97:98]
	v_mul_f64 v[93:94], v[93:94], v[99:100]
	v_fma_f64 v[93:94], v[95:96], v[125:126], v[93:94]
	s_waitcnt vmcnt(2)
	v_add_f64 v[65:66], v[65:66], -v[97:98]
	s_waitcnt vmcnt(0)
	v_add_f64 v[67:68], v[67:68], -v[93:94]
	buffer_store_dword v65, off, s[24:27], 0 offset:112 ; 4-byte Folded Spill
	s_nop 0
	buffer_store_dword v66, off, s[24:27], 0 offset:116 ; 4-byte Folded Spill
	buffer_store_dword v67, off, s[24:27], 0 offset:120 ; 4-byte Folded Spill
	buffer_store_dword v68, off, s[24:27], 0 offset:124 ; 4-byte Folded Spill
	ds_read2_b64 v[93:96], v90 offset0:36 offset1:37
	buffer_load_dword v65, off, s[24:27], 0 offset:96 ; 4-byte Folded Reload
	buffer_load_dword v66, off, s[24:27], 0 offset:100 ; 4-byte Folded Reload
	buffer_load_dword v67, off, s[24:27], 0 offset:104 ; 4-byte Folded Reload
	buffer_load_dword v68, off, s[24:27], 0 offset:108 ; 4-byte Folded Reload
	s_waitcnt lgkmcnt(0)
	v_mul_f64 v[97:98], v[95:96], v[99:100]
	v_fma_f64 v[97:98], v[93:94], v[125:126], -v[97:98]
	v_mul_f64 v[93:94], v[93:94], v[99:100]
	v_fma_f64 v[93:94], v[95:96], v[125:126], v[93:94]
	s_waitcnt vmcnt(2)
	v_add_f64 v[65:66], v[65:66], -v[97:98]
	s_waitcnt vmcnt(0)
	v_add_f64 v[67:68], v[67:68], -v[93:94]
	buffer_store_dword v65, off, s[24:27], 0 offset:96 ; 4-byte Folded Spill
	s_nop 0
	buffer_store_dword v66, off, s[24:27], 0 offset:100 ; 4-byte Folded Spill
	buffer_store_dword v67, off, s[24:27], 0 offset:104 ; 4-byte Folded Spill
	buffer_store_dword v68, off, s[24:27], 0 offset:108 ; 4-byte Folded Spill
	ds_read2_b64 v[93:96], v90 offset0:38 offset1:39
	buffer_load_dword v65, off, s[24:27], 0 offset:80 ; 4-byte Folded Reload
	buffer_load_dword v66, off, s[24:27], 0 offset:84 ; 4-byte Folded Reload
	buffer_load_dword v67, off, s[24:27], 0 offset:88 ; 4-byte Folded Reload
	buffer_load_dword v68, off, s[24:27], 0 offset:92 ; 4-byte Folded Reload
	s_waitcnt lgkmcnt(0)
	v_mul_f64 v[97:98], v[95:96], v[99:100]
	v_fma_f64 v[97:98], v[93:94], v[125:126], -v[97:98]
	v_mul_f64 v[93:94], v[93:94], v[99:100]
	v_fma_f64 v[93:94], v[95:96], v[125:126], v[93:94]
	s_waitcnt vmcnt(2)
	v_add_f64 v[65:66], v[65:66], -v[97:98]
	s_waitcnt vmcnt(0)
	v_add_f64 v[67:68], v[67:68], -v[93:94]
	buffer_store_dword v65, off, s[24:27], 0 offset:80 ; 4-byte Folded Spill
	s_nop 0
	buffer_store_dword v66, off, s[24:27], 0 offset:84 ; 4-byte Folded Spill
	buffer_store_dword v67, off, s[24:27], 0 offset:88 ; 4-byte Folded Spill
	buffer_store_dword v68, off, s[24:27], 0 offset:92 ; 4-byte Folded Spill
	ds_read2_b64 v[93:96], v90 offset0:40 offset1:41
	buffer_load_dword v65, off, s[24:27], 0 offset:64 ; 4-byte Folded Reload
	buffer_load_dword v66, off, s[24:27], 0 offset:68 ; 4-byte Folded Reload
	buffer_load_dword v67, off, s[24:27], 0 offset:72 ; 4-byte Folded Reload
	buffer_load_dword v68, off, s[24:27], 0 offset:76 ; 4-byte Folded Reload
	s_waitcnt lgkmcnt(0)
	v_mul_f64 v[97:98], v[95:96], v[99:100]
	v_fma_f64 v[97:98], v[93:94], v[125:126], -v[97:98]
	v_mul_f64 v[93:94], v[93:94], v[99:100]
	v_fma_f64 v[93:94], v[95:96], v[125:126], v[93:94]
	s_waitcnt vmcnt(2)
	v_add_f64 v[65:66], v[65:66], -v[97:98]
	s_waitcnt vmcnt(0)
	v_add_f64 v[67:68], v[67:68], -v[93:94]
	buffer_store_dword v65, off, s[24:27], 0 offset:64 ; 4-byte Folded Spill
	s_nop 0
	buffer_store_dword v66, off, s[24:27], 0 offset:68 ; 4-byte Folded Spill
	buffer_store_dword v67, off, s[24:27], 0 offset:72 ; 4-byte Folded Spill
	buffer_store_dword v68, off, s[24:27], 0 offset:76 ; 4-byte Folded Spill
	ds_read2_b64 v[93:96], v90 offset0:42 offset1:43
	buffer_load_dword v65, off, s[24:27], 0 offset:48 ; 4-byte Folded Reload
	buffer_load_dword v66, off, s[24:27], 0 offset:52 ; 4-byte Folded Reload
	buffer_load_dword v67, off, s[24:27], 0 offset:56 ; 4-byte Folded Reload
	buffer_load_dword v68, off, s[24:27], 0 offset:60 ; 4-byte Folded Reload
	s_waitcnt lgkmcnt(0)
	v_mul_f64 v[97:98], v[95:96], v[99:100]
	v_fma_f64 v[97:98], v[93:94], v[125:126], -v[97:98]
	v_mul_f64 v[93:94], v[93:94], v[99:100]
	v_fma_f64 v[93:94], v[95:96], v[125:126], v[93:94]
	s_waitcnt vmcnt(2)
	v_add_f64 v[65:66], v[65:66], -v[97:98]
	s_waitcnt vmcnt(0)
	v_add_f64 v[67:68], v[67:68], -v[93:94]
	buffer_store_dword v65, off, s[24:27], 0 offset:48 ; 4-byte Folded Spill
	s_nop 0
	buffer_store_dword v66, off, s[24:27], 0 offset:52 ; 4-byte Folded Spill
	buffer_store_dword v67, off, s[24:27], 0 offset:56 ; 4-byte Folded Spill
	buffer_store_dword v68, off, s[24:27], 0 offset:60 ; 4-byte Folded Spill
	ds_read2_b64 v[93:96], v90 offset0:44 offset1:45
	buffer_load_dword v65, off, s[24:27], 0 offset:32 ; 4-byte Folded Reload
	buffer_load_dword v66, off, s[24:27], 0 offset:36 ; 4-byte Folded Reload
	buffer_load_dword v67, off, s[24:27], 0 offset:40 ; 4-byte Folded Reload
	buffer_load_dword v68, off, s[24:27], 0 offset:44 ; 4-byte Folded Reload
	s_waitcnt lgkmcnt(0)
	v_mul_f64 v[97:98], v[95:96], v[99:100]
	v_fma_f64 v[97:98], v[93:94], v[125:126], -v[97:98]
	v_mul_f64 v[93:94], v[93:94], v[99:100]
	v_fma_f64 v[93:94], v[95:96], v[125:126], v[93:94]
	s_waitcnt vmcnt(2)
	v_add_f64 v[65:66], v[65:66], -v[97:98]
	s_waitcnt vmcnt(0)
	v_add_f64 v[67:68], v[67:68], -v[93:94]
	buffer_store_dword v65, off, s[24:27], 0 offset:32 ; 4-byte Folded Spill
	s_nop 0
	buffer_store_dword v66, off, s[24:27], 0 offset:36 ; 4-byte Folded Spill
	buffer_store_dword v67, off, s[24:27], 0 offset:40 ; 4-byte Folded Spill
	buffer_store_dword v68, off, s[24:27], 0 offset:44 ; 4-byte Folded Spill
	ds_read2_b64 v[93:96], v90 offset0:46 offset1:47
	buffer_load_dword v65, off, s[24:27], 0 offset:16 ; 4-byte Folded Reload
	buffer_load_dword v66, off, s[24:27], 0 offset:20 ; 4-byte Folded Reload
	buffer_load_dword v67, off, s[24:27], 0 offset:24 ; 4-byte Folded Reload
	buffer_load_dword v68, off, s[24:27], 0 offset:28 ; 4-byte Folded Reload
	s_waitcnt lgkmcnt(0)
	v_mul_f64 v[97:98], v[95:96], v[99:100]
	v_fma_f64 v[97:98], v[93:94], v[125:126], -v[97:98]
	v_mul_f64 v[93:94], v[93:94], v[99:100]
	v_fma_f64 v[93:94], v[95:96], v[125:126], v[93:94]
	s_waitcnt vmcnt(2)
	v_add_f64 v[65:66], v[65:66], -v[97:98]
	s_waitcnt vmcnt(0)
	v_add_f64 v[67:68], v[67:68], -v[93:94]
	buffer_store_dword v65, off, s[24:27], 0 offset:16 ; 4-byte Folded Spill
	s_nop 0
	buffer_store_dword v66, off, s[24:27], 0 offset:20 ; 4-byte Folded Spill
	buffer_store_dword v67, off, s[24:27], 0 offset:24 ; 4-byte Folded Spill
	buffer_store_dword v68, off, s[24:27], 0 offset:28 ; 4-byte Folded Spill
	ds_read2_b64 v[93:96], v90 offset0:48 offset1:49
	s_waitcnt lgkmcnt(0)
	v_mul_f64 v[97:98], v[95:96], v[99:100]
	v_fma_f64 v[97:98], v[93:94], v[125:126], -v[97:98]
	v_mul_f64 v[93:94], v[93:94], v[99:100]
	v_add_f64 v[85:86], v[85:86], -v[97:98]
	v_fma_f64 v[93:94], v[95:96], v[125:126], v[93:94]
	v_add_f64 v[87:88], v[87:88], -v[93:94]
	ds_read2_b64 v[93:96], v90 offset0:50 offset1:51
	s_waitcnt lgkmcnt(0)
	v_mul_f64 v[97:98], v[95:96], v[99:100]
	v_fma_f64 v[97:98], v[93:94], v[125:126], -v[97:98]
	v_mul_f64 v[93:94], v[93:94], v[99:100]
	v_add_f64 v[107:108], v[107:108], -v[97:98]
	v_fma_f64 v[93:94], v[95:96], v[125:126], v[93:94]
	v_add_f64 v[109:110], v[109:110], -v[93:94]
	;; [unrolled: 8-line block ×7, first 2 shown]
	ds_read2_b64 v[93:96], v90 offset0:62 offset1:63
	buffer_load_dword v65, off, s[24:27], 0 ; 4-byte Folded Reload
	buffer_load_dword v66, off, s[24:27], 0 offset:4 ; 4-byte Folded Reload
	buffer_load_dword v67, off, s[24:27], 0 offset:8 ; 4-byte Folded Reload
	buffer_load_dword v68, off, s[24:27], 0 offset:12 ; 4-byte Folded Reload
	s_waitcnt lgkmcnt(0)
	v_mul_f64 v[97:98], v[95:96], v[99:100]
	v_fma_f64 v[97:98], v[93:94], v[125:126], -v[97:98]
	v_mul_f64 v[93:94], v[93:94], v[99:100]
	v_fma_f64 v[93:94], v[95:96], v[125:126], v[93:94]
	s_waitcnt vmcnt(2)
	v_add_f64 v[65:66], v[65:66], -v[97:98]
	s_waitcnt vmcnt(0)
	v_add_f64 v[67:68], v[67:68], -v[93:94]
	buffer_store_dword v65, off, s[24:27], 0 ; 4-byte Folded Spill
	s_nop 0
	buffer_store_dword v66, off, s[24:27], 0 offset:4 ; 4-byte Folded Spill
	buffer_store_dword v67, off, s[24:27], 0 offset:8 ; 4-byte Folded Spill
	;; [unrolled: 1-line block ×3, first 2 shown]
	ds_read2_b64 v[93:96], v90 offset0:64 offset1:65
	s_waitcnt lgkmcnt(0)
	v_mul_f64 v[97:98], v[95:96], v[99:100]
	v_fma_f64 v[97:98], v[93:94], v[125:126], -v[97:98]
	v_mul_f64 v[93:94], v[93:94], v[99:100]
	v_add_f64 v[61:62], v[61:62], -v[97:98]
	v_fma_f64 v[93:94], v[95:96], v[125:126], v[93:94]
	v_add_f64 v[63:64], v[63:64], -v[93:94]
	ds_read2_b64 v[93:96], v90 offset0:66 offset1:67
	s_waitcnt lgkmcnt(0)
	v_mul_f64 v[97:98], v[95:96], v[99:100]
	v_fma_f64 v[97:98], v[93:94], v[125:126], -v[97:98]
	v_mul_f64 v[93:94], v[93:94], v[99:100]
	v_add_f64 v[57:58], v[57:58], -v[97:98]
	v_fma_f64 v[93:94], v[95:96], v[125:126], v[93:94]
	v_add_f64 v[59:60], v[59:60], -v[93:94]
	;; [unrolled: 8-line block ×16, first 2 shown]
	ds_read2_b64 v[93:96], v90 offset0:96 offset1:97
	s_waitcnt lgkmcnt(0)
	v_mul_f64 v[97:98], v[95:96], v[99:100]
	v_fma_f64 v[97:98], v[93:94], v[125:126], -v[97:98]
	v_mul_f64 v[93:94], v[93:94], v[99:100]
	v_add_f64 v[121:122], v[121:122], -v[97:98]
	v_fma_f64 v[93:94], v[95:96], v[125:126], v[93:94]
	v_mov_b32_e32 v97, v125
	v_mov_b32_e32 v98, v126
	buffer_store_dword v97, off, s[24:27], 0 offset:208 ; 4-byte Folded Spill
	s_nop 0
	buffer_store_dword v98, off, s[24:27], 0 offset:212 ; 4-byte Folded Spill
	buffer_store_dword v99, off, s[24:27], 0 offset:216 ; 4-byte Folded Spill
	buffer_store_dword v100, off, s[24:27], 0 offset:220 ; 4-byte Folded Spill
	v_add_f64 v[123:124], v[123:124], -v[93:94]
.LBB96_251:
	s_or_b64 exec, exec, s[0:1]
	s_waitcnt vmcnt(0)
	s_barrier
	buffer_load_dword v65, off, s[24:27], 0 offset:192 ; 4-byte Folded Reload
	buffer_load_dword v66, off, s[24:27], 0 offset:196 ; 4-byte Folded Reload
	buffer_load_dword v67, off, s[24:27], 0 offset:200 ; 4-byte Folded Reload
	buffer_load_dword v68, off, s[24:27], 0 offset:204 ; 4-byte Folded Reload
	v_lshl_add_u32 v93, v92, 4, v90
	s_cmp_lt_i32 s3, 14
	s_waitcnt vmcnt(0)
	ds_write2_b64 v93, v[65:66], v[67:68] offset1:1
	s_waitcnt lgkmcnt(0)
	s_barrier
	ds_read2_b64 v[117:120], v90 offset0:24 offset1:25
	v_mov_b32_e32 v93, 12
	s_cbranch_scc1 .LBB96_254
; %bb.252:
	v_add_u32_e32 v94, 0xd0, v90
	s_mov_b32 s0, 13
	v_mov_b32_e32 v93, 12
.LBB96_253:                             ; =>This Inner Loop Header: Depth=1
	s_waitcnt lgkmcnt(0)
	v_cmp_gt_f64_e32 vcc, 0, v[117:118]
	v_xor_b32_e32 v99, 0x80000000, v118
	ds_read2_b64 v[95:98], v94 offset1:1
	v_xor_b32_e32 v101, 0x80000000, v120
	v_add_u32_e32 v94, 16, v94
	s_waitcnt lgkmcnt(0)
	v_xor_b32_e32 v103, 0x80000000, v98
	v_cndmask_b32_e32 v100, v118, v99, vcc
	v_cmp_gt_f64_e32 vcc, 0, v[119:120]
	v_mov_b32_e32 v99, v117
	v_cndmask_b32_e32 v102, v120, v101, vcc
	v_cmp_gt_f64_e32 vcc, 0, v[95:96]
	v_mov_b32_e32 v101, v119
	v_add_f64 v[99:100], v[99:100], v[101:102]
	v_xor_b32_e32 v101, 0x80000000, v96
	v_cndmask_b32_e32 v102, v96, v101, vcc
	v_cmp_gt_f64_e32 vcc, 0, v[97:98]
	v_mov_b32_e32 v101, v95
	v_cndmask_b32_e32 v104, v98, v103, vcc
	v_mov_b32_e32 v103, v97
	v_add_f64 v[101:102], v[101:102], v[103:104]
	v_cmp_lt_f64_e32 vcc, v[99:100], v[101:102]
	v_cndmask_b32_e32 v117, v117, v95, vcc
	v_mov_b32_e32 v95, s0
	s_add_i32 s0, s0, 1
	v_cndmask_b32_e32 v118, v118, v96, vcc
	v_cndmask_b32_e32 v120, v120, v98, vcc
	;; [unrolled: 1-line block ×4, first 2 shown]
	s_cmp_lg_u32 s3, s0
	s_cbranch_scc1 .LBB96_253
.LBB96_254:
	s_waitcnt lgkmcnt(0)
	v_cmp_eq_f64_e32 vcc, 0, v[117:118]
	v_cmp_eq_f64_e64 s[0:1], 0, v[119:120]
	s_and_b64 s[0:1], vcc, s[0:1]
	s_and_saveexec_b64 s[18:19], s[0:1]
	s_xor_b64 s[0:1], exec, s[18:19]
; %bb.255:
	v_cmp_ne_u32_e32 vcc, 0, v91
	v_cndmask_b32_e32 v91, 13, v91, vcc
; %bb.256:
	s_andn2_saveexec_b64 s[0:1], s[0:1]
	s_cbranch_execz .LBB96_262
; %bb.257:
	v_cmp_ngt_f64_e64 s[18:19], |v[117:118]|, |v[119:120]|
	s_and_saveexec_b64 s[20:21], s[18:19]
	s_xor_b64 s[18:19], exec, s[20:21]
	s_cbranch_execz .LBB96_259
; %bb.258:
	v_div_scale_f64 v[94:95], s[20:21], v[119:120], v[119:120], v[117:118]
	v_rcp_f64_e32 v[96:97], v[94:95]
	v_fma_f64 v[98:99], -v[94:95], v[96:97], 1.0
	v_fma_f64 v[96:97], v[96:97], v[98:99], v[96:97]
	v_div_scale_f64 v[98:99], vcc, v[117:118], v[119:120], v[117:118]
	v_fma_f64 v[100:101], -v[94:95], v[96:97], 1.0
	v_fma_f64 v[96:97], v[96:97], v[100:101], v[96:97]
	v_mul_f64 v[100:101], v[98:99], v[96:97]
	v_fma_f64 v[94:95], -v[94:95], v[100:101], v[98:99]
	v_div_fmas_f64 v[94:95], v[94:95], v[96:97], v[100:101]
	v_div_fixup_f64 v[94:95], v[94:95], v[119:120], v[117:118]
	v_fma_f64 v[96:97], v[117:118], v[94:95], v[119:120]
	v_div_scale_f64 v[98:99], s[20:21], v[96:97], v[96:97], 1.0
	v_div_scale_f64 v[104:105], vcc, 1.0, v[96:97], 1.0
	v_rcp_f64_e32 v[100:101], v[98:99]
	v_fma_f64 v[102:103], -v[98:99], v[100:101], 1.0
	v_fma_f64 v[100:101], v[100:101], v[102:103], v[100:101]
	v_fma_f64 v[102:103], -v[98:99], v[100:101], 1.0
	v_fma_f64 v[100:101], v[100:101], v[102:103], v[100:101]
	v_mul_f64 v[102:103], v[104:105], v[100:101]
	v_fma_f64 v[98:99], -v[98:99], v[102:103], v[104:105]
	v_div_fmas_f64 v[98:99], v[98:99], v[100:101], v[102:103]
	v_div_fixup_f64 v[119:120], v[98:99], v[96:97], 1.0
	v_mul_f64 v[117:118], v[94:95], v[119:120]
	v_xor_b32_e32 v120, 0x80000000, v120
.LBB96_259:
	s_andn2_saveexec_b64 s[18:19], s[18:19]
	s_cbranch_execz .LBB96_261
; %bb.260:
	v_div_scale_f64 v[94:95], s[20:21], v[117:118], v[117:118], v[119:120]
	v_rcp_f64_e32 v[96:97], v[94:95]
	v_fma_f64 v[98:99], -v[94:95], v[96:97], 1.0
	v_fma_f64 v[96:97], v[96:97], v[98:99], v[96:97]
	v_div_scale_f64 v[98:99], vcc, v[119:120], v[117:118], v[119:120]
	v_fma_f64 v[100:101], -v[94:95], v[96:97], 1.0
	v_fma_f64 v[96:97], v[96:97], v[100:101], v[96:97]
	v_mul_f64 v[100:101], v[98:99], v[96:97]
	v_fma_f64 v[94:95], -v[94:95], v[100:101], v[98:99]
	v_div_fmas_f64 v[94:95], v[94:95], v[96:97], v[100:101]
	v_div_fixup_f64 v[94:95], v[94:95], v[117:118], v[119:120]
	v_fma_f64 v[96:97], v[119:120], v[94:95], v[117:118]
	v_div_scale_f64 v[98:99], s[20:21], v[96:97], v[96:97], 1.0
	v_div_scale_f64 v[104:105], vcc, 1.0, v[96:97], 1.0
	v_rcp_f64_e32 v[100:101], v[98:99]
	v_fma_f64 v[102:103], -v[98:99], v[100:101], 1.0
	v_fma_f64 v[100:101], v[100:101], v[102:103], v[100:101]
	v_fma_f64 v[102:103], -v[98:99], v[100:101], 1.0
	v_fma_f64 v[100:101], v[100:101], v[102:103], v[100:101]
	v_mul_f64 v[102:103], v[104:105], v[100:101]
	v_fma_f64 v[98:99], -v[98:99], v[102:103], v[104:105]
	v_div_fmas_f64 v[98:99], v[98:99], v[100:101], v[102:103]
	v_div_fixup_f64 v[117:118], v[98:99], v[96:97], 1.0
	v_mul_f64 v[119:120], v[94:95], -v[117:118]
.LBB96_261:
	s_or_b64 exec, exec, s[18:19]
.LBB96_262:
	s_or_b64 exec, exec, s[0:1]
	v_cmp_ne_u32_e32 vcc, v92, v93
	s_and_saveexec_b64 s[0:1], vcc
	s_xor_b64 s[0:1], exec, s[0:1]
	s_cbranch_execz .LBB96_268
; %bb.263:
	v_cmp_eq_u32_e32 vcc, 12, v92
	s_and_saveexec_b64 s[18:19], vcc
	s_cbranch_execz .LBB96_267
; %bb.264:
	v_cmp_ne_u32_e32 vcc, 12, v93
	s_xor_b64 s[20:21], s[6:7], -1
	s_and_b64 s[22:23], s[20:21], vcc
	s_and_saveexec_b64 s[20:21], s[22:23]
	s_cbranch_execz .LBB96_266
; %bb.265:
	v_mov_b32_e32 v65, v85
	v_mov_b32_e32 v66, v86
	;; [unrolled: 1-line block ×4, first 2 shown]
	buffer_load_dword v85, off, s[24:27], 0 offset:352 ; 4-byte Folded Reload
	buffer_load_dword v86, off, s[24:27], 0 offset:356 ; 4-byte Folded Reload
	v_ashrrev_i32_e32 v94, 31, v93
	v_lshlrev_b64 v[94:95], 2, v[93:94]
	s_waitcnt vmcnt(1)
	v_add_co_u32_e32 v94, vcc, v85, v94
	s_waitcnt vmcnt(0)
	v_addc_co_u32_e32 v95, vcc, v86, v95, vcc
	global_load_dword v0, v[94:95], off
	global_load_dword v92, v[85:86], off offset:48
	s_waitcnt vmcnt(1)
	global_store_dword v[85:86], v0, off offset:48
	v_mov_b32_e32 v88, v68
	v_mov_b32_e32 v87, v67
	;; [unrolled: 1-line block ×4, first 2 shown]
	s_waitcnt vmcnt(1)
	global_store_dword v[94:95], v92, off
.LBB96_266:
	s_or_b64 exec, exec, s[20:21]
	v_mov_b32_e32 v92, v93
	v_mov_b32_e32 v0, v93
.LBB96_267:
	s_or_b64 exec, exec, s[18:19]
.LBB96_268:
	s_andn2_saveexec_b64 s[0:1], s[0:1]
	s_cbranch_execz .LBB96_270
; %bb.269:
	buffer_load_dword v65, off, s[24:27], 0 offset:176 ; 4-byte Folded Reload
	buffer_load_dword v66, off, s[24:27], 0 offset:180 ; 4-byte Folded Reload
	;; [unrolled: 1-line block ×4, first 2 shown]
	v_mov_b32_e32 v92, 12
	s_waitcnt vmcnt(0)
	ds_write2_b64 v90, v[65:66], v[67:68] offset0:26 offset1:27
	buffer_load_dword v65, off, s[24:27], 0 offset:160 ; 4-byte Folded Reload
	buffer_load_dword v66, off, s[24:27], 0 offset:164 ; 4-byte Folded Reload
	buffer_load_dword v67, off, s[24:27], 0 offset:168 ; 4-byte Folded Reload
	buffer_load_dword v68, off, s[24:27], 0 offset:172 ; 4-byte Folded Reload
	s_waitcnt vmcnt(0)
	ds_write2_b64 v90, v[65:66], v[67:68] offset0:28 offset1:29
	buffer_load_dword v65, off, s[24:27], 0 offset:144 ; 4-byte Folded Reload
	buffer_load_dword v66, off, s[24:27], 0 offset:148 ; 4-byte Folded Reload
	buffer_load_dword v67, off, s[24:27], 0 offset:152 ; 4-byte Folded Reload
	buffer_load_dword v68, off, s[24:27], 0 offset:156 ; 4-byte Folded Reload
	;; [unrolled: 6-line block ×10, first 2 shown]
	s_waitcnt vmcnt(0)
	ds_write2_b64 v90, v[65:66], v[67:68] offset0:46 offset1:47
	ds_write2_b64 v90, v[85:86], v[87:88] offset0:48 offset1:49
	;; [unrolled: 1-line block ×8, first 2 shown]
	buffer_load_dword v65, off, s[24:27], 0 ; 4-byte Folded Reload
	buffer_load_dword v66, off, s[24:27], 0 offset:4 ; 4-byte Folded Reload
	buffer_load_dword v67, off, s[24:27], 0 offset:8 ; 4-byte Folded Reload
	;; [unrolled: 1-line block ×3, first 2 shown]
	s_waitcnt vmcnt(0)
	ds_write2_b64 v90, v[65:66], v[67:68] offset0:62 offset1:63
	ds_write2_b64 v90, v[61:62], v[63:64] offset0:64 offset1:65
	;; [unrolled: 1-line block ×18, first 2 shown]
.LBB96_270:
	s_or_b64 exec, exec, s[0:1]
	v_cmp_lt_i32_e32 vcc, 12, v92
	s_waitcnt vmcnt(0) lgkmcnt(0)
	s_barrier
	s_and_saveexec_b64 s[0:1], vcc
	s_cbranch_execz .LBB96_272
; %bb.271:
	buffer_load_dword v97, off, s[24:27], 0 offset:192 ; 4-byte Folded Reload
	buffer_load_dword v98, off, s[24:27], 0 offset:196 ; 4-byte Folded Reload
	;; [unrolled: 1-line block ×4, first 2 shown]
	s_waitcnt vmcnt(0)
	v_mul_f64 v[93:94], v[119:120], v[99:100]
	v_fma_f64 v[125:126], v[117:118], v[97:98], -v[93:94]
	v_mul_f64 v[93:94], v[117:118], v[99:100]
	v_fma_f64 v[99:100], v[119:120], v[97:98], v[93:94]
	ds_read2_b64 v[93:96], v90 offset0:26 offset1:27
	buffer_load_dword v65, off, s[24:27], 0 offset:176 ; 4-byte Folded Reload
	buffer_load_dword v66, off, s[24:27], 0 offset:180 ; 4-byte Folded Reload
	buffer_load_dword v67, off, s[24:27], 0 offset:184 ; 4-byte Folded Reload
	buffer_load_dword v68, off, s[24:27], 0 offset:188 ; 4-byte Folded Reload
	s_waitcnt lgkmcnt(0)
	v_mul_f64 v[97:98], v[95:96], v[99:100]
	v_fma_f64 v[97:98], v[93:94], v[125:126], -v[97:98]
	v_mul_f64 v[93:94], v[93:94], v[99:100]
	v_fma_f64 v[93:94], v[95:96], v[125:126], v[93:94]
	s_waitcnt vmcnt(2)
	v_add_f64 v[65:66], v[65:66], -v[97:98]
	s_waitcnt vmcnt(0)
	v_add_f64 v[67:68], v[67:68], -v[93:94]
	buffer_store_dword v65, off, s[24:27], 0 offset:176 ; 4-byte Folded Spill
	s_nop 0
	buffer_store_dword v66, off, s[24:27], 0 offset:180 ; 4-byte Folded Spill
	buffer_store_dword v67, off, s[24:27], 0 offset:184 ; 4-byte Folded Spill
	buffer_store_dword v68, off, s[24:27], 0 offset:188 ; 4-byte Folded Spill
	ds_read2_b64 v[93:96], v90 offset0:28 offset1:29
	buffer_load_dword v65, off, s[24:27], 0 offset:160 ; 4-byte Folded Reload
	buffer_load_dword v66, off, s[24:27], 0 offset:164 ; 4-byte Folded Reload
	buffer_load_dword v67, off, s[24:27], 0 offset:168 ; 4-byte Folded Reload
	buffer_load_dword v68, off, s[24:27], 0 offset:172 ; 4-byte Folded Reload
	s_waitcnt lgkmcnt(0)
	v_mul_f64 v[97:98], v[95:96], v[99:100]
	v_fma_f64 v[97:98], v[93:94], v[125:126], -v[97:98]
	v_mul_f64 v[93:94], v[93:94], v[99:100]
	v_fma_f64 v[93:94], v[95:96], v[125:126], v[93:94]
	s_waitcnt vmcnt(2)
	v_add_f64 v[65:66], v[65:66], -v[97:98]
	s_waitcnt vmcnt(0)
	v_add_f64 v[67:68], v[67:68], -v[93:94]
	buffer_store_dword v65, off, s[24:27], 0 offset:160 ; 4-byte Folded Spill
	s_nop 0
	buffer_store_dword v66, off, s[24:27], 0 offset:164 ; 4-byte Folded Spill
	buffer_store_dword v67, off, s[24:27], 0 offset:168 ; 4-byte Folded Spill
	buffer_store_dword v68, off, s[24:27], 0 offset:172 ; 4-byte Folded Spill
	;; [unrolled: 19-line block ×11, first 2 shown]
	ds_read2_b64 v[93:96], v90 offset0:48 offset1:49
	s_waitcnt lgkmcnt(0)
	v_mul_f64 v[97:98], v[95:96], v[99:100]
	v_fma_f64 v[97:98], v[93:94], v[125:126], -v[97:98]
	v_mul_f64 v[93:94], v[93:94], v[99:100]
	v_add_f64 v[85:86], v[85:86], -v[97:98]
	v_fma_f64 v[93:94], v[95:96], v[125:126], v[93:94]
	v_add_f64 v[87:88], v[87:88], -v[93:94]
	ds_read2_b64 v[93:96], v90 offset0:50 offset1:51
	s_waitcnt lgkmcnt(0)
	v_mul_f64 v[97:98], v[95:96], v[99:100]
	v_fma_f64 v[97:98], v[93:94], v[125:126], -v[97:98]
	v_mul_f64 v[93:94], v[93:94], v[99:100]
	v_add_f64 v[107:108], v[107:108], -v[97:98]
	v_fma_f64 v[93:94], v[95:96], v[125:126], v[93:94]
	v_add_f64 v[109:110], v[109:110], -v[93:94]
	;; [unrolled: 8-line block ×7, first 2 shown]
	ds_read2_b64 v[93:96], v90 offset0:62 offset1:63
	buffer_load_dword v65, off, s[24:27], 0 ; 4-byte Folded Reload
	buffer_load_dword v66, off, s[24:27], 0 offset:4 ; 4-byte Folded Reload
	buffer_load_dword v67, off, s[24:27], 0 offset:8 ; 4-byte Folded Reload
	;; [unrolled: 1-line block ×3, first 2 shown]
	s_waitcnt lgkmcnt(0)
	v_mul_f64 v[97:98], v[95:96], v[99:100]
	v_fma_f64 v[97:98], v[93:94], v[125:126], -v[97:98]
	v_mul_f64 v[93:94], v[93:94], v[99:100]
	v_fma_f64 v[93:94], v[95:96], v[125:126], v[93:94]
	s_waitcnt vmcnt(2)
	v_add_f64 v[65:66], v[65:66], -v[97:98]
	s_waitcnt vmcnt(0)
	v_add_f64 v[67:68], v[67:68], -v[93:94]
	buffer_store_dword v65, off, s[24:27], 0 ; 4-byte Folded Spill
	s_nop 0
	buffer_store_dword v66, off, s[24:27], 0 offset:4 ; 4-byte Folded Spill
	buffer_store_dword v67, off, s[24:27], 0 offset:8 ; 4-byte Folded Spill
	;; [unrolled: 1-line block ×3, first 2 shown]
	ds_read2_b64 v[93:96], v90 offset0:64 offset1:65
	s_waitcnt lgkmcnt(0)
	v_mul_f64 v[97:98], v[95:96], v[99:100]
	v_fma_f64 v[97:98], v[93:94], v[125:126], -v[97:98]
	v_mul_f64 v[93:94], v[93:94], v[99:100]
	v_add_f64 v[61:62], v[61:62], -v[97:98]
	v_fma_f64 v[93:94], v[95:96], v[125:126], v[93:94]
	v_add_f64 v[63:64], v[63:64], -v[93:94]
	ds_read2_b64 v[93:96], v90 offset0:66 offset1:67
	s_waitcnt lgkmcnt(0)
	v_mul_f64 v[97:98], v[95:96], v[99:100]
	v_fma_f64 v[97:98], v[93:94], v[125:126], -v[97:98]
	v_mul_f64 v[93:94], v[93:94], v[99:100]
	v_add_f64 v[57:58], v[57:58], -v[97:98]
	v_fma_f64 v[93:94], v[95:96], v[125:126], v[93:94]
	v_add_f64 v[59:60], v[59:60], -v[93:94]
	;; [unrolled: 8-line block ×16, first 2 shown]
	ds_read2_b64 v[93:96], v90 offset0:96 offset1:97
	s_waitcnt lgkmcnt(0)
	v_mul_f64 v[97:98], v[95:96], v[99:100]
	v_fma_f64 v[97:98], v[93:94], v[125:126], -v[97:98]
	v_mul_f64 v[93:94], v[93:94], v[99:100]
	v_add_f64 v[121:122], v[121:122], -v[97:98]
	v_fma_f64 v[93:94], v[95:96], v[125:126], v[93:94]
	v_mov_b32_e32 v97, v125
	v_mov_b32_e32 v98, v126
	buffer_store_dword v97, off, s[24:27], 0 offset:192 ; 4-byte Folded Spill
	s_nop 0
	buffer_store_dword v98, off, s[24:27], 0 offset:196 ; 4-byte Folded Spill
	buffer_store_dword v99, off, s[24:27], 0 offset:200 ; 4-byte Folded Spill
	;; [unrolled: 1-line block ×3, first 2 shown]
	v_add_f64 v[123:124], v[123:124], -v[93:94]
.LBB96_272:
	s_or_b64 exec, exec, s[0:1]
	s_waitcnt vmcnt(0)
	s_barrier
	buffer_load_dword v65, off, s[24:27], 0 offset:176 ; 4-byte Folded Reload
	buffer_load_dword v66, off, s[24:27], 0 offset:180 ; 4-byte Folded Reload
	;; [unrolled: 1-line block ×4, first 2 shown]
	v_lshl_add_u32 v93, v92, 4, v90
	s_cmp_lt_i32 s3, 15
	s_waitcnt vmcnt(0)
	ds_write2_b64 v93, v[65:66], v[67:68] offset1:1
	s_waitcnt lgkmcnt(0)
	s_barrier
	ds_read2_b64 v[117:120], v90 offset0:26 offset1:27
	v_mov_b32_e32 v93, 13
	s_cbranch_scc1 .LBB96_275
; %bb.273:
	v_add_u32_e32 v94, 0xe0, v90
	s_mov_b32 s0, 14
	v_mov_b32_e32 v93, 13
.LBB96_274:                             ; =>This Inner Loop Header: Depth=1
	s_waitcnt lgkmcnt(0)
	v_cmp_gt_f64_e32 vcc, 0, v[117:118]
	v_xor_b32_e32 v99, 0x80000000, v118
	ds_read2_b64 v[95:98], v94 offset1:1
	v_xor_b32_e32 v101, 0x80000000, v120
	v_add_u32_e32 v94, 16, v94
	s_waitcnt lgkmcnt(0)
	v_xor_b32_e32 v103, 0x80000000, v98
	v_cndmask_b32_e32 v100, v118, v99, vcc
	v_cmp_gt_f64_e32 vcc, 0, v[119:120]
	v_mov_b32_e32 v99, v117
	v_cndmask_b32_e32 v102, v120, v101, vcc
	v_cmp_gt_f64_e32 vcc, 0, v[95:96]
	v_mov_b32_e32 v101, v119
	v_add_f64 v[99:100], v[99:100], v[101:102]
	v_xor_b32_e32 v101, 0x80000000, v96
	v_cndmask_b32_e32 v102, v96, v101, vcc
	v_cmp_gt_f64_e32 vcc, 0, v[97:98]
	v_mov_b32_e32 v101, v95
	v_cndmask_b32_e32 v104, v98, v103, vcc
	v_mov_b32_e32 v103, v97
	v_add_f64 v[101:102], v[101:102], v[103:104]
	v_cmp_lt_f64_e32 vcc, v[99:100], v[101:102]
	v_cndmask_b32_e32 v117, v117, v95, vcc
	v_mov_b32_e32 v95, s0
	s_add_i32 s0, s0, 1
	v_cndmask_b32_e32 v118, v118, v96, vcc
	v_cndmask_b32_e32 v120, v120, v98, vcc
	;; [unrolled: 1-line block ×4, first 2 shown]
	s_cmp_lg_u32 s3, s0
	s_cbranch_scc1 .LBB96_274
.LBB96_275:
	s_waitcnt lgkmcnt(0)
	v_cmp_eq_f64_e32 vcc, 0, v[117:118]
	v_cmp_eq_f64_e64 s[0:1], 0, v[119:120]
	s_and_b64 s[0:1], vcc, s[0:1]
	s_and_saveexec_b64 s[18:19], s[0:1]
	s_xor_b64 s[0:1], exec, s[18:19]
; %bb.276:
	v_cmp_ne_u32_e32 vcc, 0, v91
	v_cndmask_b32_e32 v91, 14, v91, vcc
; %bb.277:
	s_andn2_saveexec_b64 s[0:1], s[0:1]
	s_cbranch_execz .LBB96_283
; %bb.278:
	v_cmp_ngt_f64_e64 s[18:19], |v[117:118]|, |v[119:120]|
	s_and_saveexec_b64 s[20:21], s[18:19]
	s_xor_b64 s[18:19], exec, s[20:21]
	s_cbranch_execz .LBB96_280
; %bb.279:
	v_div_scale_f64 v[94:95], s[20:21], v[119:120], v[119:120], v[117:118]
	v_rcp_f64_e32 v[96:97], v[94:95]
	v_fma_f64 v[98:99], -v[94:95], v[96:97], 1.0
	v_fma_f64 v[96:97], v[96:97], v[98:99], v[96:97]
	v_div_scale_f64 v[98:99], vcc, v[117:118], v[119:120], v[117:118]
	v_fma_f64 v[100:101], -v[94:95], v[96:97], 1.0
	v_fma_f64 v[96:97], v[96:97], v[100:101], v[96:97]
	v_mul_f64 v[100:101], v[98:99], v[96:97]
	v_fma_f64 v[94:95], -v[94:95], v[100:101], v[98:99]
	v_div_fmas_f64 v[94:95], v[94:95], v[96:97], v[100:101]
	v_div_fixup_f64 v[94:95], v[94:95], v[119:120], v[117:118]
	v_fma_f64 v[96:97], v[117:118], v[94:95], v[119:120]
	v_div_scale_f64 v[98:99], s[20:21], v[96:97], v[96:97], 1.0
	v_div_scale_f64 v[104:105], vcc, 1.0, v[96:97], 1.0
	v_rcp_f64_e32 v[100:101], v[98:99]
	v_fma_f64 v[102:103], -v[98:99], v[100:101], 1.0
	v_fma_f64 v[100:101], v[100:101], v[102:103], v[100:101]
	v_fma_f64 v[102:103], -v[98:99], v[100:101], 1.0
	v_fma_f64 v[100:101], v[100:101], v[102:103], v[100:101]
	v_mul_f64 v[102:103], v[104:105], v[100:101]
	v_fma_f64 v[98:99], -v[98:99], v[102:103], v[104:105]
	v_div_fmas_f64 v[98:99], v[98:99], v[100:101], v[102:103]
	v_div_fixup_f64 v[119:120], v[98:99], v[96:97], 1.0
	v_mul_f64 v[117:118], v[94:95], v[119:120]
	v_xor_b32_e32 v120, 0x80000000, v120
.LBB96_280:
	s_andn2_saveexec_b64 s[18:19], s[18:19]
	s_cbranch_execz .LBB96_282
; %bb.281:
	v_div_scale_f64 v[94:95], s[20:21], v[117:118], v[117:118], v[119:120]
	v_rcp_f64_e32 v[96:97], v[94:95]
	v_fma_f64 v[98:99], -v[94:95], v[96:97], 1.0
	v_fma_f64 v[96:97], v[96:97], v[98:99], v[96:97]
	v_div_scale_f64 v[98:99], vcc, v[119:120], v[117:118], v[119:120]
	v_fma_f64 v[100:101], -v[94:95], v[96:97], 1.0
	v_fma_f64 v[96:97], v[96:97], v[100:101], v[96:97]
	v_mul_f64 v[100:101], v[98:99], v[96:97]
	v_fma_f64 v[94:95], -v[94:95], v[100:101], v[98:99]
	v_div_fmas_f64 v[94:95], v[94:95], v[96:97], v[100:101]
	v_div_fixup_f64 v[94:95], v[94:95], v[117:118], v[119:120]
	v_fma_f64 v[96:97], v[119:120], v[94:95], v[117:118]
	v_div_scale_f64 v[98:99], s[20:21], v[96:97], v[96:97], 1.0
	v_div_scale_f64 v[104:105], vcc, 1.0, v[96:97], 1.0
	v_rcp_f64_e32 v[100:101], v[98:99]
	v_fma_f64 v[102:103], -v[98:99], v[100:101], 1.0
	v_fma_f64 v[100:101], v[100:101], v[102:103], v[100:101]
	v_fma_f64 v[102:103], -v[98:99], v[100:101], 1.0
	v_fma_f64 v[100:101], v[100:101], v[102:103], v[100:101]
	v_mul_f64 v[102:103], v[104:105], v[100:101]
	v_fma_f64 v[98:99], -v[98:99], v[102:103], v[104:105]
	v_div_fmas_f64 v[98:99], v[98:99], v[100:101], v[102:103]
	v_div_fixup_f64 v[117:118], v[98:99], v[96:97], 1.0
	v_mul_f64 v[119:120], v[94:95], -v[117:118]
.LBB96_282:
	s_or_b64 exec, exec, s[18:19]
.LBB96_283:
	s_or_b64 exec, exec, s[0:1]
	v_cmp_ne_u32_e32 vcc, v92, v93
	s_and_saveexec_b64 s[0:1], vcc
	s_xor_b64 s[0:1], exec, s[0:1]
	s_cbranch_execz .LBB96_289
; %bb.284:
	v_cmp_eq_u32_e32 vcc, 13, v92
	s_and_saveexec_b64 s[18:19], vcc
	s_cbranch_execz .LBB96_288
; %bb.285:
	v_cmp_ne_u32_e32 vcc, 13, v93
	s_xor_b64 s[20:21], s[6:7], -1
	s_and_b64 s[22:23], s[20:21], vcc
	s_and_saveexec_b64 s[20:21], s[22:23]
	s_cbranch_execz .LBB96_287
; %bb.286:
	v_mov_b32_e32 v65, v85
	v_mov_b32_e32 v66, v86
	;; [unrolled: 1-line block ×4, first 2 shown]
	buffer_load_dword v85, off, s[24:27], 0 offset:352 ; 4-byte Folded Reload
	buffer_load_dword v86, off, s[24:27], 0 offset:356 ; 4-byte Folded Reload
	v_ashrrev_i32_e32 v94, 31, v93
	v_lshlrev_b64 v[94:95], 2, v[93:94]
	s_waitcnt vmcnt(1)
	v_add_co_u32_e32 v94, vcc, v85, v94
	s_waitcnt vmcnt(0)
	v_addc_co_u32_e32 v95, vcc, v86, v95, vcc
	global_load_dword v0, v[94:95], off
	global_load_dword v92, v[85:86], off offset:52
	s_waitcnt vmcnt(1)
	global_store_dword v[85:86], v0, off offset:52
	v_mov_b32_e32 v88, v68
	v_mov_b32_e32 v87, v67
	;; [unrolled: 1-line block ×4, first 2 shown]
	s_waitcnt vmcnt(1)
	global_store_dword v[94:95], v92, off
.LBB96_287:
	s_or_b64 exec, exec, s[20:21]
	v_mov_b32_e32 v92, v93
	v_mov_b32_e32 v0, v93
.LBB96_288:
	s_or_b64 exec, exec, s[18:19]
.LBB96_289:
	s_andn2_saveexec_b64 s[0:1], s[0:1]
	s_cbranch_execz .LBB96_291
; %bb.290:
	buffer_load_dword v65, off, s[24:27], 0 offset:160 ; 4-byte Folded Reload
	buffer_load_dword v66, off, s[24:27], 0 offset:164 ; 4-byte Folded Reload
	;; [unrolled: 1-line block ×4, first 2 shown]
	v_mov_b32_e32 v92, 13
	s_waitcnt vmcnt(0)
	ds_write2_b64 v90, v[65:66], v[67:68] offset0:28 offset1:29
	buffer_load_dword v65, off, s[24:27], 0 offset:144 ; 4-byte Folded Reload
	buffer_load_dword v66, off, s[24:27], 0 offset:148 ; 4-byte Folded Reload
	buffer_load_dword v67, off, s[24:27], 0 offset:152 ; 4-byte Folded Reload
	buffer_load_dword v68, off, s[24:27], 0 offset:156 ; 4-byte Folded Reload
	s_waitcnt vmcnt(0)
	ds_write2_b64 v90, v[65:66], v[67:68] offset0:30 offset1:31
	buffer_load_dword v65, off, s[24:27], 0 offset:128 ; 4-byte Folded Reload
	buffer_load_dword v66, off, s[24:27], 0 offset:132 ; 4-byte Folded Reload
	buffer_load_dword v67, off, s[24:27], 0 offset:136 ; 4-byte Folded Reload
	buffer_load_dword v68, off, s[24:27], 0 offset:140 ; 4-byte Folded Reload
	;; [unrolled: 6-line block ×9, first 2 shown]
	s_waitcnt vmcnt(0)
	ds_write2_b64 v90, v[65:66], v[67:68] offset0:46 offset1:47
	ds_write2_b64 v90, v[85:86], v[87:88] offset0:48 offset1:49
	;; [unrolled: 1-line block ×8, first 2 shown]
	buffer_load_dword v65, off, s[24:27], 0 ; 4-byte Folded Reload
	buffer_load_dword v66, off, s[24:27], 0 offset:4 ; 4-byte Folded Reload
	buffer_load_dword v67, off, s[24:27], 0 offset:8 ; 4-byte Folded Reload
	;; [unrolled: 1-line block ×3, first 2 shown]
	s_waitcnt vmcnt(0)
	ds_write2_b64 v90, v[65:66], v[67:68] offset0:62 offset1:63
	ds_write2_b64 v90, v[61:62], v[63:64] offset0:64 offset1:65
	;; [unrolled: 1-line block ×18, first 2 shown]
.LBB96_291:
	s_or_b64 exec, exec, s[0:1]
	v_cmp_lt_i32_e32 vcc, 13, v92
	s_waitcnt vmcnt(0) lgkmcnt(0)
	s_barrier
	s_and_saveexec_b64 s[0:1], vcc
	s_cbranch_execz .LBB96_293
; %bb.292:
	buffer_load_dword v97, off, s[24:27], 0 offset:176 ; 4-byte Folded Reload
	buffer_load_dword v98, off, s[24:27], 0 offset:180 ; 4-byte Folded Reload
	;; [unrolled: 1-line block ×4, first 2 shown]
	s_waitcnt vmcnt(0)
	v_mul_f64 v[93:94], v[119:120], v[99:100]
	v_fma_f64 v[125:126], v[117:118], v[97:98], -v[93:94]
	v_mul_f64 v[93:94], v[117:118], v[99:100]
	v_fma_f64 v[99:100], v[119:120], v[97:98], v[93:94]
	ds_read2_b64 v[93:96], v90 offset0:28 offset1:29
	buffer_load_dword v65, off, s[24:27], 0 offset:160 ; 4-byte Folded Reload
	buffer_load_dword v66, off, s[24:27], 0 offset:164 ; 4-byte Folded Reload
	buffer_load_dword v67, off, s[24:27], 0 offset:168 ; 4-byte Folded Reload
	buffer_load_dword v68, off, s[24:27], 0 offset:172 ; 4-byte Folded Reload
	s_waitcnt lgkmcnt(0)
	v_mul_f64 v[97:98], v[95:96], v[99:100]
	v_fma_f64 v[97:98], v[93:94], v[125:126], -v[97:98]
	v_mul_f64 v[93:94], v[93:94], v[99:100]
	v_fma_f64 v[93:94], v[95:96], v[125:126], v[93:94]
	s_waitcnt vmcnt(2)
	v_add_f64 v[65:66], v[65:66], -v[97:98]
	s_waitcnt vmcnt(0)
	v_add_f64 v[67:68], v[67:68], -v[93:94]
	buffer_store_dword v65, off, s[24:27], 0 offset:160 ; 4-byte Folded Spill
	s_nop 0
	buffer_store_dword v66, off, s[24:27], 0 offset:164 ; 4-byte Folded Spill
	buffer_store_dword v67, off, s[24:27], 0 offset:168 ; 4-byte Folded Spill
	buffer_store_dword v68, off, s[24:27], 0 offset:172 ; 4-byte Folded Spill
	ds_read2_b64 v[93:96], v90 offset0:30 offset1:31
	buffer_load_dword v65, off, s[24:27], 0 offset:144 ; 4-byte Folded Reload
	buffer_load_dword v66, off, s[24:27], 0 offset:148 ; 4-byte Folded Reload
	buffer_load_dword v67, off, s[24:27], 0 offset:152 ; 4-byte Folded Reload
	buffer_load_dword v68, off, s[24:27], 0 offset:156 ; 4-byte Folded Reload
	s_waitcnt lgkmcnt(0)
	v_mul_f64 v[97:98], v[95:96], v[99:100]
	v_fma_f64 v[97:98], v[93:94], v[125:126], -v[97:98]
	v_mul_f64 v[93:94], v[93:94], v[99:100]
	v_fma_f64 v[93:94], v[95:96], v[125:126], v[93:94]
	s_waitcnt vmcnt(2)
	v_add_f64 v[65:66], v[65:66], -v[97:98]
	s_waitcnt vmcnt(0)
	v_add_f64 v[67:68], v[67:68], -v[93:94]
	buffer_store_dword v65, off, s[24:27], 0 offset:144 ; 4-byte Folded Spill
	s_nop 0
	buffer_store_dword v66, off, s[24:27], 0 offset:148 ; 4-byte Folded Spill
	buffer_store_dword v67, off, s[24:27], 0 offset:152 ; 4-byte Folded Spill
	buffer_store_dword v68, off, s[24:27], 0 offset:156 ; 4-byte Folded Spill
	;; [unrolled: 19-line block ×10, first 2 shown]
	ds_read2_b64 v[93:96], v90 offset0:48 offset1:49
	s_waitcnt lgkmcnt(0)
	v_mul_f64 v[97:98], v[95:96], v[99:100]
	v_fma_f64 v[97:98], v[93:94], v[125:126], -v[97:98]
	v_mul_f64 v[93:94], v[93:94], v[99:100]
	v_add_f64 v[85:86], v[85:86], -v[97:98]
	v_fma_f64 v[93:94], v[95:96], v[125:126], v[93:94]
	v_add_f64 v[87:88], v[87:88], -v[93:94]
	ds_read2_b64 v[93:96], v90 offset0:50 offset1:51
	s_waitcnt lgkmcnt(0)
	v_mul_f64 v[97:98], v[95:96], v[99:100]
	v_fma_f64 v[97:98], v[93:94], v[125:126], -v[97:98]
	v_mul_f64 v[93:94], v[93:94], v[99:100]
	v_add_f64 v[107:108], v[107:108], -v[97:98]
	v_fma_f64 v[93:94], v[95:96], v[125:126], v[93:94]
	v_add_f64 v[109:110], v[109:110], -v[93:94]
	;; [unrolled: 8-line block ×7, first 2 shown]
	ds_read2_b64 v[93:96], v90 offset0:62 offset1:63
	buffer_load_dword v65, off, s[24:27], 0 ; 4-byte Folded Reload
	buffer_load_dword v66, off, s[24:27], 0 offset:4 ; 4-byte Folded Reload
	buffer_load_dword v67, off, s[24:27], 0 offset:8 ; 4-byte Folded Reload
	;; [unrolled: 1-line block ×3, first 2 shown]
	s_waitcnt lgkmcnt(0)
	v_mul_f64 v[97:98], v[95:96], v[99:100]
	v_fma_f64 v[97:98], v[93:94], v[125:126], -v[97:98]
	v_mul_f64 v[93:94], v[93:94], v[99:100]
	v_fma_f64 v[93:94], v[95:96], v[125:126], v[93:94]
	s_waitcnt vmcnt(2)
	v_add_f64 v[65:66], v[65:66], -v[97:98]
	s_waitcnt vmcnt(0)
	v_add_f64 v[67:68], v[67:68], -v[93:94]
	buffer_store_dword v65, off, s[24:27], 0 ; 4-byte Folded Spill
	s_nop 0
	buffer_store_dword v66, off, s[24:27], 0 offset:4 ; 4-byte Folded Spill
	buffer_store_dword v67, off, s[24:27], 0 offset:8 ; 4-byte Folded Spill
	;; [unrolled: 1-line block ×3, first 2 shown]
	ds_read2_b64 v[93:96], v90 offset0:64 offset1:65
	s_waitcnt lgkmcnt(0)
	v_mul_f64 v[97:98], v[95:96], v[99:100]
	v_fma_f64 v[97:98], v[93:94], v[125:126], -v[97:98]
	v_mul_f64 v[93:94], v[93:94], v[99:100]
	v_add_f64 v[61:62], v[61:62], -v[97:98]
	v_fma_f64 v[93:94], v[95:96], v[125:126], v[93:94]
	v_add_f64 v[63:64], v[63:64], -v[93:94]
	ds_read2_b64 v[93:96], v90 offset0:66 offset1:67
	s_waitcnt lgkmcnt(0)
	v_mul_f64 v[97:98], v[95:96], v[99:100]
	v_fma_f64 v[97:98], v[93:94], v[125:126], -v[97:98]
	v_mul_f64 v[93:94], v[93:94], v[99:100]
	v_add_f64 v[57:58], v[57:58], -v[97:98]
	v_fma_f64 v[93:94], v[95:96], v[125:126], v[93:94]
	v_add_f64 v[59:60], v[59:60], -v[93:94]
	ds_read2_b64 v[93:96], v90 offset0:68 offset1:69
	s_waitcnt lgkmcnt(0)
	v_mul_f64 v[97:98], v[95:96], v[99:100]
	v_fma_f64 v[97:98], v[93:94], v[125:126], -v[97:98]
	v_mul_f64 v[93:94], v[93:94], v[99:100]
	v_add_f64 v[53:54], v[53:54], -v[97:98]
	v_fma_f64 v[93:94], v[95:96], v[125:126], v[93:94]
	v_add_f64 v[55:56], v[55:56], -v[93:94]
	ds_read2_b64 v[93:96], v90 offset0:70 offset1:71
	s_waitcnt lgkmcnt(0)
	v_mul_f64 v[97:98], v[95:96], v[99:100]
	v_fma_f64 v[97:98], v[93:94], v[125:126], -v[97:98]
	v_mul_f64 v[93:94], v[93:94], v[99:100]
	v_add_f64 v[49:50], v[49:50], -v[97:98]
	v_fma_f64 v[93:94], v[95:96], v[125:126], v[93:94]
	v_add_f64 v[51:52], v[51:52], -v[93:94]
	ds_read2_b64 v[93:96], v90 offset0:72 offset1:73
	s_waitcnt lgkmcnt(0)
	v_mul_f64 v[97:98], v[95:96], v[99:100]
	v_fma_f64 v[97:98], v[93:94], v[125:126], -v[97:98]
	v_mul_f64 v[93:94], v[93:94], v[99:100]
	v_add_f64 v[45:46], v[45:46], -v[97:98]
	v_fma_f64 v[93:94], v[95:96], v[125:126], v[93:94]
	v_add_f64 v[47:48], v[47:48], -v[93:94]
	ds_read2_b64 v[93:96], v90 offset0:74 offset1:75
	s_waitcnt lgkmcnt(0)
	v_mul_f64 v[97:98], v[95:96], v[99:100]
	v_fma_f64 v[97:98], v[93:94], v[125:126], -v[97:98]
	v_mul_f64 v[93:94], v[93:94], v[99:100]
	v_add_f64 v[41:42], v[41:42], -v[97:98]
	v_fma_f64 v[93:94], v[95:96], v[125:126], v[93:94]
	v_add_f64 v[43:44], v[43:44], -v[93:94]
	ds_read2_b64 v[93:96], v90 offset0:76 offset1:77
	s_waitcnt lgkmcnt(0)
	v_mul_f64 v[97:98], v[95:96], v[99:100]
	v_fma_f64 v[97:98], v[93:94], v[125:126], -v[97:98]
	v_mul_f64 v[93:94], v[93:94], v[99:100]
	v_add_f64 v[37:38], v[37:38], -v[97:98]
	v_fma_f64 v[93:94], v[95:96], v[125:126], v[93:94]
	v_add_f64 v[39:40], v[39:40], -v[93:94]
	ds_read2_b64 v[93:96], v90 offset0:78 offset1:79
	s_waitcnt lgkmcnt(0)
	v_mul_f64 v[97:98], v[95:96], v[99:100]
	v_fma_f64 v[97:98], v[93:94], v[125:126], -v[97:98]
	v_mul_f64 v[93:94], v[93:94], v[99:100]
	v_add_f64 v[33:34], v[33:34], -v[97:98]
	v_fma_f64 v[93:94], v[95:96], v[125:126], v[93:94]
	v_add_f64 v[35:36], v[35:36], -v[93:94]
	ds_read2_b64 v[93:96], v90 offset0:80 offset1:81
	s_waitcnt lgkmcnt(0)
	v_mul_f64 v[97:98], v[95:96], v[99:100]
	v_fma_f64 v[97:98], v[93:94], v[125:126], -v[97:98]
	v_mul_f64 v[93:94], v[93:94], v[99:100]
	v_add_f64 v[29:30], v[29:30], -v[97:98]
	v_fma_f64 v[93:94], v[95:96], v[125:126], v[93:94]
	v_add_f64 v[31:32], v[31:32], -v[93:94]
	ds_read2_b64 v[93:96], v90 offset0:82 offset1:83
	s_waitcnt lgkmcnt(0)
	v_mul_f64 v[97:98], v[95:96], v[99:100]
	v_fma_f64 v[97:98], v[93:94], v[125:126], -v[97:98]
	v_mul_f64 v[93:94], v[93:94], v[99:100]
	v_add_f64 v[25:26], v[25:26], -v[97:98]
	v_fma_f64 v[93:94], v[95:96], v[125:126], v[93:94]
	v_add_f64 v[27:28], v[27:28], -v[93:94]
	ds_read2_b64 v[93:96], v90 offset0:84 offset1:85
	s_waitcnt lgkmcnt(0)
	v_mul_f64 v[97:98], v[95:96], v[99:100]
	v_fma_f64 v[97:98], v[93:94], v[125:126], -v[97:98]
	v_mul_f64 v[93:94], v[93:94], v[99:100]
	v_add_f64 v[21:22], v[21:22], -v[97:98]
	v_fma_f64 v[93:94], v[95:96], v[125:126], v[93:94]
	v_add_f64 v[23:24], v[23:24], -v[93:94]
	ds_read2_b64 v[93:96], v90 offset0:86 offset1:87
	s_waitcnt lgkmcnt(0)
	v_mul_f64 v[97:98], v[95:96], v[99:100]
	v_fma_f64 v[97:98], v[93:94], v[125:126], -v[97:98]
	v_mul_f64 v[93:94], v[93:94], v[99:100]
	v_add_f64 v[17:18], v[17:18], -v[97:98]
	v_fma_f64 v[93:94], v[95:96], v[125:126], v[93:94]
	v_add_f64 v[19:20], v[19:20], -v[93:94]
	ds_read2_b64 v[93:96], v90 offset0:88 offset1:89
	s_waitcnt lgkmcnt(0)
	v_mul_f64 v[97:98], v[95:96], v[99:100]
	v_fma_f64 v[97:98], v[93:94], v[125:126], -v[97:98]
	v_mul_f64 v[93:94], v[93:94], v[99:100]
	v_add_f64 v[13:14], v[13:14], -v[97:98]
	v_fma_f64 v[93:94], v[95:96], v[125:126], v[93:94]
	v_add_f64 v[15:16], v[15:16], -v[93:94]
	ds_read2_b64 v[93:96], v90 offset0:90 offset1:91
	s_waitcnt lgkmcnt(0)
	v_mul_f64 v[97:98], v[95:96], v[99:100]
	v_fma_f64 v[97:98], v[93:94], v[125:126], -v[97:98]
	v_mul_f64 v[93:94], v[93:94], v[99:100]
	v_add_f64 v[9:10], v[9:10], -v[97:98]
	v_fma_f64 v[93:94], v[95:96], v[125:126], v[93:94]
	v_add_f64 v[11:12], v[11:12], -v[93:94]
	ds_read2_b64 v[93:96], v90 offset0:92 offset1:93
	s_waitcnt lgkmcnt(0)
	v_mul_f64 v[97:98], v[95:96], v[99:100]
	v_fma_f64 v[97:98], v[93:94], v[125:126], -v[97:98]
	v_mul_f64 v[93:94], v[93:94], v[99:100]
	v_add_f64 v[5:6], v[5:6], -v[97:98]
	v_fma_f64 v[93:94], v[95:96], v[125:126], v[93:94]
	v_add_f64 v[7:8], v[7:8], -v[93:94]
	ds_read2_b64 v[93:96], v90 offset0:94 offset1:95
	s_waitcnt lgkmcnt(0)
	v_mul_f64 v[97:98], v[95:96], v[99:100]
	v_fma_f64 v[97:98], v[93:94], v[125:126], -v[97:98]
	v_mul_f64 v[93:94], v[93:94], v[99:100]
	v_add_f64 v[1:2], v[1:2], -v[97:98]
	v_fma_f64 v[93:94], v[95:96], v[125:126], v[93:94]
	v_add_f64 v[3:4], v[3:4], -v[93:94]
	ds_read2_b64 v[93:96], v90 offset0:96 offset1:97
	s_waitcnt lgkmcnt(0)
	v_mul_f64 v[97:98], v[95:96], v[99:100]
	v_fma_f64 v[97:98], v[93:94], v[125:126], -v[97:98]
	v_mul_f64 v[93:94], v[93:94], v[99:100]
	v_add_f64 v[121:122], v[121:122], -v[97:98]
	v_fma_f64 v[93:94], v[95:96], v[125:126], v[93:94]
	v_mov_b32_e32 v97, v125
	v_mov_b32_e32 v98, v126
	buffer_store_dword v97, off, s[24:27], 0 offset:176 ; 4-byte Folded Spill
	s_nop 0
	buffer_store_dword v98, off, s[24:27], 0 offset:180 ; 4-byte Folded Spill
	buffer_store_dword v99, off, s[24:27], 0 offset:184 ; 4-byte Folded Spill
	;; [unrolled: 1-line block ×3, first 2 shown]
	v_add_f64 v[123:124], v[123:124], -v[93:94]
.LBB96_293:
	s_or_b64 exec, exec, s[0:1]
	s_waitcnt vmcnt(0)
	s_barrier
	buffer_load_dword v65, off, s[24:27], 0 offset:160 ; 4-byte Folded Reload
	buffer_load_dword v66, off, s[24:27], 0 offset:164 ; 4-byte Folded Reload
	buffer_load_dword v67, off, s[24:27], 0 offset:168 ; 4-byte Folded Reload
	buffer_load_dword v68, off, s[24:27], 0 offset:172 ; 4-byte Folded Reload
	v_lshl_add_u32 v93, v92, 4, v90
	s_cmp_lt_i32 s3, 16
	s_waitcnt vmcnt(0)
	ds_write2_b64 v93, v[65:66], v[67:68] offset1:1
	s_waitcnt lgkmcnt(0)
	s_barrier
	ds_read2_b64 v[117:120], v90 offset0:28 offset1:29
	v_mov_b32_e32 v93, 14
	s_cbranch_scc1 .LBB96_296
; %bb.294:
	v_add_u32_e32 v94, 0xf0, v90
	s_mov_b32 s0, 15
	v_mov_b32_e32 v93, 14
.LBB96_295:                             ; =>This Inner Loop Header: Depth=1
	s_waitcnt lgkmcnt(0)
	v_cmp_gt_f64_e32 vcc, 0, v[117:118]
	v_xor_b32_e32 v99, 0x80000000, v118
	ds_read2_b64 v[95:98], v94 offset1:1
	v_xor_b32_e32 v101, 0x80000000, v120
	v_add_u32_e32 v94, 16, v94
	s_waitcnt lgkmcnt(0)
	v_xor_b32_e32 v103, 0x80000000, v98
	v_cndmask_b32_e32 v100, v118, v99, vcc
	v_cmp_gt_f64_e32 vcc, 0, v[119:120]
	v_mov_b32_e32 v99, v117
	v_cndmask_b32_e32 v102, v120, v101, vcc
	v_cmp_gt_f64_e32 vcc, 0, v[95:96]
	v_mov_b32_e32 v101, v119
	v_add_f64 v[99:100], v[99:100], v[101:102]
	v_xor_b32_e32 v101, 0x80000000, v96
	v_cndmask_b32_e32 v102, v96, v101, vcc
	v_cmp_gt_f64_e32 vcc, 0, v[97:98]
	v_mov_b32_e32 v101, v95
	v_cndmask_b32_e32 v104, v98, v103, vcc
	v_mov_b32_e32 v103, v97
	v_add_f64 v[101:102], v[101:102], v[103:104]
	v_cmp_lt_f64_e32 vcc, v[99:100], v[101:102]
	v_cndmask_b32_e32 v117, v117, v95, vcc
	v_mov_b32_e32 v95, s0
	s_add_i32 s0, s0, 1
	v_cndmask_b32_e32 v118, v118, v96, vcc
	v_cndmask_b32_e32 v120, v120, v98, vcc
	v_cndmask_b32_e32 v119, v119, v97, vcc
	v_cndmask_b32_e32 v93, v93, v95, vcc
	s_cmp_lg_u32 s3, s0
	s_cbranch_scc1 .LBB96_295
.LBB96_296:
	s_waitcnt lgkmcnt(0)
	v_cmp_eq_f64_e32 vcc, 0, v[117:118]
	v_cmp_eq_f64_e64 s[0:1], 0, v[119:120]
	s_and_b64 s[0:1], vcc, s[0:1]
	s_and_saveexec_b64 s[18:19], s[0:1]
	s_xor_b64 s[0:1], exec, s[18:19]
; %bb.297:
	v_cmp_ne_u32_e32 vcc, 0, v91
	v_cndmask_b32_e32 v91, 15, v91, vcc
; %bb.298:
	s_andn2_saveexec_b64 s[0:1], s[0:1]
	s_cbranch_execz .LBB96_304
; %bb.299:
	v_cmp_ngt_f64_e64 s[18:19], |v[117:118]|, |v[119:120]|
	s_and_saveexec_b64 s[20:21], s[18:19]
	s_xor_b64 s[18:19], exec, s[20:21]
	s_cbranch_execz .LBB96_301
; %bb.300:
	v_div_scale_f64 v[94:95], s[20:21], v[119:120], v[119:120], v[117:118]
	v_rcp_f64_e32 v[96:97], v[94:95]
	v_fma_f64 v[98:99], -v[94:95], v[96:97], 1.0
	v_fma_f64 v[96:97], v[96:97], v[98:99], v[96:97]
	v_div_scale_f64 v[98:99], vcc, v[117:118], v[119:120], v[117:118]
	v_fma_f64 v[100:101], -v[94:95], v[96:97], 1.0
	v_fma_f64 v[96:97], v[96:97], v[100:101], v[96:97]
	v_mul_f64 v[100:101], v[98:99], v[96:97]
	v_fma_f64 v[94:95], -v[94:95], v[100:101], v[98:99]
	v_div_fmas_f64 v[94:95], v[94:95], v[96:97], v[100:101]
	v_div_fixup_f64 v[94:95], v[94:95], v[119:120], v[117:118]
	v_fma_f64 v[96:97], v[117:118], v[94:95], v[119:120]
	v_div_scale_f64 v[98:99], s[20:21], v[96:97], v[96:97], 1.0
	v_div_scale_f64 v[104:105], vcc, 1.0, v[96:97], 1.0
	v_rcp_f64_e32 v[100:101], v[98:99]
	v_fma_f64 v[102:103], -v[98:99], v[100:101], 1.0
	v_fma_f64 v[100:101], v[100:101], v[102:103], v[100:101]
	v_fma_f64 v[102:103], -v[98:99], v[100:101], 1.0
	v_fma_f64 v[100:101], v[100:101], v[102:103], v[100:101]
	v_mul_f64 v[102:103], v[104:105], v[100:101]
	v_fma_f64 v[98:99], -v[98:99], v[102:103], v[104:105]
	v_div_fmas_f64 v[98:99], v[98:99], v[100:101], v[102:103]
	v_div_fixup_f64 v[119:120], v[98:99], v[96:97], 1.0
	v_mul_f64 v[117:118], v[94:95], v[119:120]
	v_xor_b32_e32 v120, 0x80000000, v120
.LBB96_301:
	s_andn2_saveexec_b64 s[18:19], s[18:19]
	s_cbranch_execz .LBB96_303
; %bb.302:
	v_div_scale_f64 v[94:95], s[20:21], v[117:118], v[117:118], v[119:120]
	v_rcp_f64_e32 v[96:97], v[94:95]
	v_fma_f64 v[98:99], -v[94:95], v[96:97], 1.0
	v_fma_f64 v[96:97], v[96:97], v[98:99], v[96:97]
	v_div_scale_f64 v[98:99], vcc, v[119:120], v[117:118], v[119:120]
	v_fma_f64 v[100:101], -v[94:95], v[96:97], 1.0
	v_fma_f64 v[96:97], v[96:97], v[100:101], v[96:97]
	v_mul_f64 v[100:101], v[98:99], v[96:97]
	v_fma_f64 v[94:95], -v[94:95], v[100:101], v[98:99]
	v_div_fmas_f64 v[94:95], v[94:95], v[96:97], v[100:101]
	v_div_fixup_f64 v[94:95], v[94:95], v[117:118], v[119:120]
	v_fma_f64 v[96:97], v[119:120], v[94:95], v[117:118]
	v_div_scale_f64 v[98:99], s[20:21], v[96:97], v[96:97], 1.0
	v_div_scale_f64 v[104:105], vcc, 1.0, v[96:97], 1.0
	v_rcp_f64_e32 v[100:101], v[98:99]
	v_fma_f64 v[102:103], -v[98:99], v[100:101], 1.0
	v_fma_f64 v[100:101], v[100:101], v[102:103], v[100:101]
	v_fma_f64 v[102:103], -v[98:99], v[100:101], 1.0
	v_fma_f64 v[100:101], v[100:101], v[102:103], v[100:101]
	v_mul_f64 v[102:103], v[104:105], v[100:101]
	v_fma_f64 v[98:99], -v[98:99], v[102:103], v[104:105]
	v_div_fmas_f64 v[98:99], v[98:99], v[100:101], v[102:103]
	v_div_fixup_f64 v[117:118], v[98:99], v[96:97], 1.0
	v_mul_f64 v[119:120], v[94:95], -v[117:118]
.LBB96_303:
	s_or_b64 exec, exec, s[18:19]
.LBB96_304:
	s_or_b64 exec, exec, s[0:1]
	v_cmp_ne_u32_e32 vcc, v92, v93
	s_and_saveexec_b64 s[0:1], vcc
	s_xor_b64 s[0:1], exec, s[0:1]
	s_cbranch_execz .LBB96_310
; %bb.305:
	v_cmp_eq_u32_e32 vcc, 14, v92
	s_and_saveexec_b64 s[18:19], vcc
	s_cbranch_execz .LBB96_309
; %bb.306:
	v_cmp_ne_u32_e32 vcc, 14, v93
	s_xor_b64 s[20:21], s[6:7], -1
	s_and_b64 s[22:23], s[20:21], vcc
	s_and_saveexec_b64 s[20:21], s[22:23]
	s_cbranch_execz .LBB96_308
; %bb.307:
	v_mov_b32_e32 v65, v85
	v_mov_b32_e32 v66, v86
	v_mov_b32_e32 v67, v87
	v_mov_b32_e32 v68, v88
	buffer_load_dword v85, off, s[24:27], 0 offset:352 ; 4-byte Folded Reload
	buffer_load_dword v86, off, s[24:27], 0 offset:356 ; 4-byte Folded Reload
	v_ashrrev_i32_e32 v94, 31, v93
	v_lshlrev_b64 v[94:95], 2, v[93:94]
	s_waitcnt vmcnt(1)
	v_add_co_u32_e32 v94, vcc, v85, v94
	s_waitcnt vmcnt(0)
	v_addc_co_u32_e32 v95, vcc, v86, v95, vcc
	global_load_dword v0, v[94:95], off
	global_load_dword v92, v[85:86], off offset:56
	s_waitcnt vmcnt(1)
	global_store_dword v[85:86], v0, off offset:56
	v_mov_b32_e32 v88, v68
	v_mov_b32_e32 v87, v67
	;; [unrolled: 1-line block ×4, first 2 shown]
	s_waitcnt vmcnt(1)
	global_store_dword v[94:95], v92, off
.LBB96_308:
	s_or_b64 exec, exec, s[20:21]
	v_mov_b32_e32 v92, v93
	v_mov_b32_e32 v0, v93
.LBB96_309:
	s_or_b64 exec, exec, s[18:19]
.LBB96_310:
	s_andn2_saveexec_b64 s[0:1], s[0:1]
	s_cbranch_execz .LBB96_312
; %bb.311:
	buffer_load_dword v65, off, s[24:27], 0 offset:144 ; 4-byte Folded Reload
	buffer_load_dword v66, off, s[24:27], 0 offset:148 ; 4-byte Folded Reload
	;; [unrolled: 1-line block ×4, first 2 shown]
	v_mov_b32_e32 v92, 14
	s_waitcnt vmcnt(0)
	ds_write2_b64 v90, v[65:66], v[67:68] offset0:30 offset1:31
	buffer_load_dword v65, off, s[24:27], 0 offset:128 ; 4-byte Folded Reload
	buffer_load_dword v66, off, s[24:27], 0 offset:132 ; 4-byte Folded Reload
	buffer_load_dword v67, off, s[24:27], 0 offset:136 ; 4-byte Folded Reload
	buffer_load_dword v68, off, s[24:27], 0 offset:140 ; 4-byte Folded Reload
	s_waitcnt vmcnt(0)
	ds_write2_b64 v90, v[65:66], v[67:68] offset0:32 offset1:33
	buffer_load_dword v65, off, s[24:27], 0 offset:112 ; 4-byte Folded Reload
	buffer_load_dword v66, off, s[24:27], 0 offset:116 ; 4-byte Folded Reload
	buffer_load_dword v67, off, s[24:27], 0 offset:120 ; 4-byte Folded Reload
	buffer_load_dword v68, off, s[24:27], 0 offset:124 ; 4-byte Folded Reload
	;; [unrolled: 6-line block ×8, first 2 shown]
	s_waitcnt vmcnt(0)
	ds_write2_b64 v90, v[65:66], v[67:68] offset0:46 offset1:47
	ds_write2_b64 v90, v[85:86], v[87:88] offset0:48 offset1:49
	;; [unrolled: 1-line block ×8, first 2 shown]
	buffer_load_dword v65, off, s[24:27], 0 ; 4-byte Folded Reload
	buffer_load_dword v66, off, s[24:27], 0 offset:4 ; 4-byte Folded Reload
	buffer_load_dword v67, off, s[24:27], 0 offset:8 ; 4-byte Folded Reload
	;; [unrolled: 1-line block ×3, first 2 shown]
	s_waitcnt vmcnt(0)
	ds_write2_b64 v90, v[65:66], v[67:68] offset0:62 offset1:63
	ds_write2_b64 v90, v[61:62], v[63:64] offset0:64 offset1:65
	;; [unrolled: 1-line block ×18, first 2 shown]
.LBB96_312:
	s_or_b64 exec, exec, s[0:1]
	v_cmp_lt_i32_e32 vcc, 14, v92
	s_waitcnt vmcnt(0) lgkmcnt(0)
	s_barrier
	s_and_saveexec_b64 s[0:1], vcc
	s_cbranch_execz .LBB96_314
; %bb.313:
	buffer_load_dword v97, off, s[24:27], 0 offset:160 ; 4-byte Folded Reload
	buffer_load_dword v98, off, s[24:27], 0 offset:164 ; 4-byte Folded Reload
	;; [unrolled: 1-line block ×4, first 2 shown]
	s_waitcnt vmcnt(0)
	v_mul_f64 v[93:94], v[119:120], v[99:100]
	v_fma_f64 v[125:126], v[117:118], v[97:98], -v[93:94]
	v_mul_f64 v[93:94], v[117:118], v[99:100]
	v_fma_f64 v[99:100], v[119:120], v[97:98], v[93:94]
	ds_read2_b64 v[93:96], v90 offset0:30 offset1:31
	buffer_load_dword v65, off, s[24:27], 0 offset:144 ; 4-byte Folded Reload
	buffer_load_dword v66, off, s[24:27], 0 offset:148 ; 4-byte Folded Reload
	buffer_load_dword v67, off, s[24:27], 0 offset:152 ; 4-byte Folded Reload
	buffer_load_dword v68, off, s[24:27], 0 offset:156 ; 4-byte Folded Reload
	s_waitcnt lgkmcnt(0)
	v_mul_f64 v[97:98], v[95:96], v[99:100]
	v_fma_f64 v[97:98], v[93:94], v[125:126], -v[97:98]
	v_mul_f64 v[93:94], v[93:94], v[99:100]
	v_fma_f64 v[93:94], v[95:96], v[125:126], v[93:94]
	s_waitcnt vmcnt(2)
	v_add_f64 v[65:66], v[65:66], -v[97:98]
	s_waitcnt vmcnt(0)
	v_add_f64 v[67:68], v[67:68], -v[93:94]
	buffer_store_dword v65, off, s[24:27], 0 offset:144 ; 4-byte Folded Spill
	s_nop 0
	buffer_store_dword v66, off, s[24:27], 0 offset:148 ; 4-byte Folded Spill
	buffer_store_dword v67, off, s[24:27], 0 offset:152 ; 4-byte Folded Spill
	buffer_store_dword v68, off, s[24:27], 0 offset:156 ; 4-byte Folded Spill
	ds_read2_b64 v[93:96], v90 offset0:32 offset1:33
	buffer_load_dword v65, off, s[24:27], 0 offset:128 ; 4-byte Folded Reload
	buffer_load_dword v66, off, s[24:27], 0 offset:132 ; 4-byte Folded Reload
	buffer_load_dword v67, off, s[24:27], 0 offset:136 ; 4-byte Folded Reload
	buffer_load_dword v68, off, s[24:27], 0 offset:140 ; 4-byte Folded Reload
	s_waitcnt lgkmcnt(0)
	v_mul_f64 v[97:98], v[95:96], v[99:100]
	v_fma_f64 v[97:98], v[93:94], v[125:126], -v[97:98]
	v_mul_f64 v[93:94], v[93:94], v[99:100]
	v_fma_f64 v[93:94], v[95:96], v[125:126], v[93:94]
	s_waitcnt vmcnt(2)
	v_add_f64 v[65:66], v[65:66], -v[97:98]
	s_waitcnt vmcnt(0)
	v_add_f64 v[67:68], v[67:68], -v[93:94]
	buffer_store_dword v65, off, s[24:27], 0 offset:128 ; 4-byte Folded Spill
	s_nop 0
	buffer_store_dword v66, off, s[24:27], 0 offset:132 ; 4-byte Folded Spill
	buffer_store_dword v67, off, s[24:27], 0 offset:136 ; 4-byte Folded Spill
	buffer_store_dword v68, off, s[24:27], 0 offset:140 ; 4-byte Folded Spill
	;; [unrolled: 19-line block ×9, first 2 shown]
	ds_read2_b64 v[93:96], v90 offset0:48 offset1:49
	s_waitcnt lgkmcnt(0)
	v_mul_f64 v[97:98], v[95:96], v[99:100]
	v_fma_f64 v[97:98], v[93:94], v[125:126], -v[97:98]
	v_mul_f64 v[93:94], v[93:94], v[99:100]
	v_add_f64 v[85:86], v[85:86], -v[97:98]
	v_fma_f64 v[93:94], v[95:96], v[125:126], v[93:94]
	v_add_f64 v[87:88], v[87:88], -v[93:94]
	ds_read2_b64 v[93:96], v90 offset0:50 offset1:51
	s_waitcnt lgkmcnt(0)
	v_mul_f64 v[97:98], v[95:96], v[99:100]
	v_fma_f64 v[97:98], v[93:94], v[125:126], -v[97:98]
	v_mul_f64 v[93:94], v[93:94], v[99:100]
	v_add_f64 v[107:108], v[107:108], -v[97:98]
	v_fma_f64 v[93:94], v[95:96], v[125:126], v[93:94]
	v_add_f64 v[109:110], v[109:110], -v[93:94]
	;; [unrolled: 8-line block ×7, first 2 shown]
	ds_read2_b64 v[93:96], v90 offset0:62 offset1:63
	buffer_load_dword v65, off, s[24:27], 0 ; 4-byte Folded Reload
	buffer_load_dword v66, off, s[24:27], 0 offset:4 ; 4-byte Folded Reload
	buffer_load_dword v67, off, s[24:27], 0 offset:8 ; 4-byte Folded Reload
	;; [unrolled: 1-line block ×3, first 2 shown]
	s_waitcnt lgkmcnt(0)
	v_mul_f64 v[97:98], v[95:96], v[99:100]
	v_fma_f64 v[97:98], v[93:94], v[125:126], -v[97:98]
	v_mul_f64 v[93:94], v[93:94], v[99:100]
	v_fma_f64 v[93:94], v[95:96], v[125:126], v[93:94]
	s_waitcnt vmcnt(2)
	v_add_f64 v[65:66], v[65:66], -v[97:98]
	s_waitcnt vmcnt(0)
	v_add_f64 v[67:68], v[67:68], -v[93:94]
	buffer_store_dword v65, off, s[24:27], 0 ; 4-byte Folded Spill
	s_nop 0
	buffer_store_dword v66, off, s[24:27], 0 offset:4 ; 4-byte Folded Spill
	buffer_store_dword v67, off, s[24:27], 0 offset:8 ; 4-byte Folded Spill
	;; [unrolled: 1-line block ×3, first 2 shown]
	ds_read2_b64 v[93:96], v90 offset0:64 offset1:65
	s_waitcnt lgkmcnt(0)
	v_mul_f64 v[97:98], v[95:96], v[99:100]
	v_fma_f64 v[97:98], v[93:94], v[125:126], -v[97:98]
	v_mul_f64 v[93:94], v[93:94], v[99:100]
	v_add_f64 v[61:62], v[61:62], -v[97:98]
	v_fma_f64 v[93:94], v[95:96], v[125:126], v[93:94]
	v_add_f64 v[63:64], v[63:64], -v[93:94]
	ds_read2_b64 v[93:96], v90 offset0:66 offset1:67
	s_waitcnt lgkmcnt(0)
	v_mul_f64 v[97:98], v[95:96], v[99:100]
	v_fma_f64 v[97:98], v[93:94], v[125:126], -v[97:98]
	v_mul_f64 v[93:94], v[93:94], v[99:100]
	v_add_f64 v[57:58], v[57:58], -v[97:98]
	v_fma_f64 v[93:94], v[95:96], v[125:126], v[93:94]
	v_add_f64 v[59:60], v[59:60], -v[93:94]
	;; [unrolled: 8-line block ×16, first 2 shown]
	ds_read2_b64 v[93:96], v90 offset0:96 offset1:97
	s_waitcnt lgkmcnt(0)
	v_mul_f64 v[97:98], v[95:96], v[99:100]
	v_fma_f64 v[97:98], v[93:94], v[125:126], -v[97:98]
	v_mul_f64 v[93:94], v[93:94], v[99:100]
	v_add_f64 v[121:122], v[121:122], -v[97:98]
	v_fma_f64 v[93:94], v[95:96], v[125:126], v[93:94]
	v_mov_b32_e32 v97, v125
	v_mov_b32_e32 v98, v126
	buffer_store_dword v97, off, s[24:27], 0 offset:160 ; 4-byte Folded Spill
	s_nop 0
	buffer_store_dword v98, off, s[24:27], 0 offset:164 ; 4-byte Folded Spill
	buffer_store_dword v99, off, s[24:27], 0 offset:168 ; 4-byte Folded Spill
	;; [unrolled: 1-line block ×3, first 2 shown]
	v_add_f64 v[123:124], v[123:124], -v[93:94]
.LBB96_314:
	s_or_b64 exec, exec, s[0:1]
	s_waitcnt vmcnt(0)
	s_barrier
	buffer_load_dword v65, off, s[24:27], 0 offset:144 ; 4-byte Folded Reload
	buffer_load_dword v66, off, s[24:27], 0 offset:148 ; 4-byte Folded Reload
	;; [unrolled: 1-line block ×4, first 2 shown]
	v_lshl_add_u32 v93, v92, 4, v90
	s_cmp_lt_i32 s3, 17
	s_waitcnt vmcnt(0)
	ds_write2_b64 v93, v[65:66], v[67:68] offset1:1
	s_waitcnt lgkmcnt(0)
	s_barrier
	ds_read2_b64 v[117:120], v90 offset0:30 offset1:31
	v_mov_b32_e32 v93, 15
	s_cbranch_scc1 .LBB96_317
; %bb.315:
	v_add_u32_e32 v94, 0x100, v90
	s_mov_b32 s0, 16
	v_mov_b32_e32 v93, 15
.LBB96_316:                             ; =>This Inner Loop Header: Depth=1
	s_waitcnt lgkmcnt(0)
	v_cmp_gt_f64_e32 vcc, 0, v[117:118]
	v_xor_b32_e32 v99, 0x80000000, v118
	ds_read2_b64 v[95:98], v94 offset1:1
	v_xor_b32_e32 v101, 0x80000000, v120
	v_add_u32_e32 v94, 16, v94
	s_waitcnt lgkmcnt(0)
	v_xor_b32_e32 v103, 0x80000000, v98
	v_cndmask_b32_e32 v100, v118, v99, vcc
	v_cmp_gt_f64_e32 vcc, 0, v[119:120]
	v_mov_b32_e32 v99, v117
	v_cndmask_b32_e32 v102, v120, v101, vcc
	v_cmp_gt_f64_e32 vcc, 0, v[95:96]
	v_mov_b32_e32 v101, v119
	v_add_f64 v[99:100], v[99:100], v[101:102]
	v_xor_b32_e32 v101, 0x80000000, v96
	v_cndmask_b32_e32 v102, v96, v101, vcc
	v_cmp_gt_f64_e32 vcc, 0, v[97:98]
	v_mov_b32_e32 v101, v95
	v_cndmask_b32_e32 v104, v98, v103, vcc
	v_mov_b32_e32 v103, v97
	v_add_f64 v[101:102], v[101:102], v[103:104]
	v_cmp_lt_f64_e32 vcc, v[99:100], v[101:102]
	v_cndmask_b32_e32 v117, v117, v95, vcc
	v_mov_b32_e32 v95, s0
	s_add_i32 s0, s0, 1
	v_cndmask_b32_e32 v118, v118, v96, vcc
	v_cndmask_b32_e32 v120, v120, v98, vcc
	;; [unrolled: 1-line block ×4, first 2 shown]
	s_cmp_lg_u32 s3, s0
	s_cbranch_scc1 .LBB96_316
.LBB96_317:
	s_waitcnt lgkmcnt(0)
	v_cmp_eq_f64_e32 vcc, 0, v[117:118]
	v_cmp_eq_f64_e64 s[0:1], 0, v[119:120]
	s_and_b64 s[0:1], vcc, s[0:1]
	s_and_saveexec_b64 s[18:19], s[0:1]
	s_xor_b64 s[0:1], exec, s[18:19]
; %bb.318:
	v_cmp_ne_u32_e32 vcc, 0, v91
	v_cndmask_b32_e32 v91, 16, v91, vcc
; %bb.319:
	s_andn2_saveexec_b64 s[0:1], s[0:1]
	s_cbranch_execz .LBB96_325
; %bb.320:
	v_cmp_ngt_f64_e64 s[18:19], |v[117:118]|, |v[119:120]|
	s_and_saveexec_b64 s[20:21], s[18:19]
	s_xor_b64 s[18:19], exec, s[20:21]
	s_cbranch_execz .LBB96_322
; %bb.321:
	v_div_scale_f64 v[94:95], s[20:21], v[119:120], v[119:120], v[117:118]
	v_rcp_f64_e32 v[96:97], v[94:95]
	v_fma_f64 v[98:99], -v[94:95], v[96:97], 1.0
	v_fma_f64 v[96:97], v[96:97], v[98:99], v[96:97]
	v_div_scale_f64 v[98:99], vcc, v[117:118], v[119:120], v[117:118]
	v_fma_f64 v[100:101], -v[94:95], v[96:97], 1.0
	v_fma_f64 v[96:97], v[96:97], v[100:101], v[96:97]
	v_mul_f64 v[100:101], v[98:99], v[96:97]
	v_fma_f64 v[94:95], -v[94:95], v[100:101], v[98:99]
	v_div_fmas_f64 v[94:95], v[94:95], v[96:97], v[100:101]
	v_div_fixup_f64 v[94:95], v[94:95], v[119:120], v[117:118]
	v_fma_f64 v[96:97], v[117:118], v[94:95], v[119:120]
	v_div_scale_f64 v[98:99], s[20:21], v[96:97], v[96:97], 1.0
	v_div_scale_f64 v[104:105], vcc, 1.0, v[96:97], 1.0
	v_rcp_f64_e32 v[100:101], v[98:99]
	v_fma_f64 v[102:103], -v[98:99], v[100:101], 1.0
	v_fma_f64 v[100:101], v[100:101], v[102:103], v[100:101]
	v_fma_f64 v[102:103], -v[98:99], v[100:101], 1.0
	v_fma_f64 v[100:101], v[100:101], v[102:103], v[100:101]
	v_mul_f64 v[102:103], v[104:105], v[100:101]
	v_fma_f64 v[98:99], -v[98:99], v[102:103], v[104:105]
	v_div_fmas_f64 v[98:99], v[98:99], v[100:101], v[102:103]
	v_div_fixup_f64 v[119:120], v[98:99], v[96:97], 1.0
	v_mul_f64 v[117:118], v[94:95], v[119:120]
	v_xor_b32_e32 v120, 0x80000000, v120
.LBB96_322:
	s_andn2_saveexec_b64 s[18:19], s[18:19]
	s_cbranch_execz .LBB96_324
; %bb.323:
	v_div_scale_f64 v[94:95], s[20:21], v[117:118], v[117:118], v[119:120]
	v_rcp_f64_e32 v[96:97], v[94:95]
	v_fma_f64 v[98:99], -v[94:95], v[96:97], 1.0
	v_fma_f64 v[96:97], v[96:97], v[98:99], v[96:97]
	v_div_scale_f64 v[98:99], vcc, v[119:120], v[117:118], v[119:120]
	v_fma_f64 v[100:101], -v[94:95], v[96:97], 1.0
	v_fma_f64 v[96:97], v[96:97], v[100:101], v[96:97]
	v_mul_f64 v[100:101], v[98:99], v[96:97]
	v_fma_f64 v[94:95], -v[94:95], v[100:101], v[98:99]
	v_div_fmas_f64 v[94:95], v[94:95], v[96:97], v[100:101]
	v_div_fixup_f64 v[94:95], v[94:95], v[117:118], v[119:120]
	v_fma_f64 v[96:97], v[119:120], v[94:95], v[117:118]
	v_div_scale_f64 v[98:99], s[20:21], v[96:97], v[96:97], 1.0
	v_div_scale_f64 v[104:105], vcc, 1.0, v[96:97], 1.0
	v_rcp_f64_e32 v[100:101], v[98:99]
	v_fma_f64 v[102:103], -v[98:99], v[100:101], 1.0
	v_fma_f64 v[100:101], v[100:101], v[102:103], v[100:101]
	v_fma_f64 v[102:103], -v[98:99], v[100:101], 1.0
	v_fma_f64 v[100:101], v[100:101], v[102:103], v[100:101]
	v_mul_f64 v[102:103], v[104:105], v[100:101]
	v_fma_f64 v[98:99], -v[98:99], v[102:103], v[104:105]
	v_div_fmas_f64 v[98:99], v[98:99], v[100:101], v[102:103]
	v_div_fixup_f64 v[117:118], v[98:99], v[96:97], 1.0
	v_mul_f64 v[119:120], v[94:95], -v[117:118]
.LBB96_324:
	s_or_b64 exec, exec, s[18:19]
.LBB96_325:
	s_or_b64 exec, exec, s[0:1]
	v_cmp_ne_u32_e32 vcc, v92, v93
	s_and_saveexec_b64 s[0:1], vcc
	s_xor_b64 s[0:1], exec, s[0:1]
	s_cbranch_execz .LBB96_331
; %bb.326:
	v_cmp_eq_u32_e32 vcc, 15, v92
	s_and_saveexec_b64 s[18:19], vcc
	s_cbranch_execz .LBB96_330
; %bb.327:
	v_cmp_ne_u32_e32 vcc, 15, v93
	s_xor_b64 s[20:21], s[6:7], -1
	s_and_b64 s[22:23], s[20:21], vcc
	s_and_saveexec_b64 s[20:21], s[22:23]
	s_cbranch_execz .LBB96_329
; %bb.328:
	v_mov_b32_e32 v65, v85
	v_mov_b32_e32 v66, v86
	;; [unrolled: 1-line block ×4, first 2 shown]
	buffer_load_dword v85, off, s[24:27], 0 offset:352 ; 4-byte Folded Reload
	buffer_load_dword v86, off, s[24:27], 0 offset:356 ; 4-byte Folded Reload
	v_ashrrev_i32_e32 v94, 31, v93
	v_lshlrev_b64 v[94:95], 2, v[93:94]
	s_waitcnt vmcnt(1)
	v_add_co_u32_e32 v94, vcc, v85, v94
	s_waitcnt vmcnt(0)
	v_addc_co_u32_e32 v95, vcc, v86, v95, vcc
	global_load_dword v0, v[94:95], off
	global_load_dword v92, v[85:86], off offset:60
	s_waitcnt vmcnt(1)
	global_store_dword v[85:86], v0, off offset:60
	v_mov_b32_e32 v88, v68
	v_mov_b32_e32 v87, v67
	v_mov_b32_e32 v86, v66
	v_mov_b32_e32 v85, v65
	s_waitcnt vmcnt(1)
	global_store_dword v[94:95], v92, off
.LBB96_329:
	s_or_b64 exec, exec, s[20:21]
	v_mov_b32_e32 v92, v93
	v_mov_b32_e32 v0, v93
.LBB96_330:
	s_or_b64 exec, exec, s[18:19]
.LBB96_331:
	s_andn2_saveexec_b64 s[0:1], s[0:1]
	s_cbranch_execz .LBB96_333
; %bb.332:
	buffer_load_dword v65, off, s[24:27], 0 offset:128 ; 4-byte Folded Reload
	buffer_load_dword v66, off, s[24:27], 0 offset:132 ; 4-byte Folded Reload
	;; [unrolled: 1-line block ×4, first 2 shown]
	v_mov_b32_e32 v92, 15
	s_waitcnt vmcnt(0)
	ds_write2_b64 v90, v[65:66], v[67:68] offset0:32 offset1:33
	buffer_load_dword v65, off, s[24:27], 0 offset:112 ; 4-byte Folded Reload
	buffer_load_dword v66, off, s[24:27], 0 offset:116 ; 4-byte Folded Reload
	buffer_load_dword v67, off, s[24:27], 0 offset:120 ; 4-byte Folded Reload
	buffer_load_dword v68, off, s[24:27], 0 offset:124 ; 4-byte Folded Reload
	s_waitcnt vmcnt(0)
	ds_write2_b64 v90, v[65:66], v[67:68] offset0:34 offset1:35
	buffer_load_dword v65, off, s[24:27], 0 offset:96 ; 4-byte Folded Reload
	buffer_load_dword v66, off, s[24:27], 0 offset:100 ; 4-byte Folded Reload
	buffer_load_dword v67, off, s[24:27], 0 offset:104 ; 4-byte Folded Reload
	buffer_load_dword v68, off, s[24:27], 0 offset:108 ; 4-byte Folded Reload
	;; [unrolled: 6-line block ×7, first 2 shown]
	s_waitcnt vmcnt(0)
	ds_write2_b64 v90, v[65:66], v[67:68] offset0:46 offset1:47
	ds_write2_b64 v90, v[85:86], v[87:88] offset0:48 offset1:49
	;; [unrolled: 1-line block ×8, first 2 shown]
	buffer_load_dword v65, off, s[24:27], 0 ; 4-byte Folded Reload
	buffer_load_dword v66, off, s[24:27], 0 offset:4 ; 4-byte Folded Reload
	buffer_load_dword v67, off, s[24:27], 0 offset:8 ; 4-byte Folded Reload
	;; [unrolled: 1-line block ×3, first 2 shown]
	s_waitcnt vmcnt(0)
	ds_write2_b64 v90, v[65:66], v[67:68] offset0:62 offset1:63
	ds_write2_b64 v90, v[61:62], v[63:64] offset0:64 offset1:65
	;; [unrolled: 1-line block ×18, first 2 shown]
.LBB96_333:
	s_or_b64 exec, exec, s[0:1]
	v_cmp_lt_i32_e32 vcc, 15, v92
	s_waitcnt vmcnt(0) lgkmcnt(0)
	s_barrier
	s_and_saveexec_b64 s[0:1], vcc
	s_cbranch_execz .LBB96_335
; %bb.334:
	buffer_load_dword v97, off, s[24:27], 0 offset:144 ; 4-byte Folded Reload
	buffer_load_dword v98, off, s[24:27], 0 offset:148 ; 4-byte Folded Reload
	;; [unrolled: 1-line block ×4, first 2 shown]
	s_waitcnt vmcnt(0)
	v_mul_f64 v[93:94], v[119:120], v[99:100]
	v_fma_f64 v[125:126], v[117:118], v[97:98], -v[93:94]
	v_mul_f64 v[93:94], v[117:118], v[99:100]
	v_fma_f64 v[99:100], v[119:120], v[97:98], v[93:94]
	ds_read2_b64 v[93:96], v90 offset0:32 offset1:33
	buffer_load_dword v65, off, s[24:27], 0 offset:128 ; 4-byte Folded Reload
	buffer_load_dword v66, off, s[24:27], 0 offset:132 ; 4-byte Folded Reload
	buffer_load_dword v67, off, s[24:27], 0 offset:136 ; 4-byte Folded Reload
	buffer_load_dword v68, off, s[24:27], 0 offset:140 ; 4-byte Folded Reload
	s_waitcnt lgkmcnt(0)
	v_mul_f64 v[97:98], v[95:96], v[99:100]
	v_fma_f64 v[97:98], v[93:94], v[125:126], -v[97:98]
	v_mul_f64 v[93:94], v[93:94], v[99:100]
	v_fma_f64 v[93:94], v[95:96], v[125:126], v[93:94]
	s_waitcnt vmcnt(2)
	v_add_f64 v[65:66], v[65:66], -v[97:98]
	s_waitcnt vmcnt(0)
	v_add_f64 v[67:68], v[67:68], -v[93:94]
	buffer_store_dword v65, off, s[24:27], 0 offset:128 ; 4-byte Folded Spill
	s_nop 0
	buffer_store_dword v66, off, s[24:27], 0 offset:132 ; 4-byte Folded Spill
	buffer_store_dword v67, off, s[24:27], 0 offset:136 ; 4-byte Folded Spill
	buffer_store_dword v68, off, s[24:27], 0 offset:140 ; 4-byte Folded Spill
	ds_read2_b64 v[93:96], v90 offset0:34 offset1:35
	buffer_load_dword v65, off, s[24:27], 0 offset:112 ; 4-byte Folded Reload
	buffer_load_dword v66, off, s[24:27], 0 offset:116 ; 4-byte Folded Reload
	buffer_load_dword v67, off, s[24:27], 0 offset:120 ; 4-byte Folded Reload
	buffer_load_dword v68, off, s[24:27], 0 offset:124 ; 4-byte Folded Reload
	s_waitcnt lgkmcnt(0)
	v_mul_f64 v[97:98], v[95:96], v[99:100]
	v_fma_f64 v[97:98], v[93:94], v[125:126], -v[97:98]
	v_mul_f64 v[93:94], v[93:94], v[99:100]
	v_fma_f64 v[93:94], v[95:96], v[125:126], v[93:94]
	s_waitcnt vmcnt(2)
	v_add_f64 v[65:66], v[65:66], -v[97:98]
	s_waitcnt vmcnt(0)
	v_add_f64 v[67:68], v[67:68], -v[93:94]
	buffer_store_dword v65, off, s[24:27], 0 offset:112 ; 4-byte Folded Spill
	s_nop 0
	buffer_store_dword v66, off, s[24:27], 0 offset:116 ; 4-byte Folded Spill
	buffer_store_dword v67, off, s[24:27], 0 offset:120 ; 4-byte Folded Spill
	buffer_store_dword v68, off, s[24:27], 0 offset:124 ; 4-byte Folded Spill
	ds_read2_b64 v[93:96], v90 offset0:36 offset1:37
	buffer_load_dword v65, off, s[24:27], 0 offset:96 ; 4-byte Folded Reload
	buffer_load_dword v66, off, s[24:27], 0 offset:100 ; 4-byte Folded Reload
	buffer_load_dword v67, off, s[24:27], 0 offset:104 ; 4-byte Folded Reload
	buffer_load_dword v68, off, s[24:27], 0 offset:108 ; 4-byte Folded Reload
	s_waitcnt lgkmcnt(0)
	v_mul_f64 v[97:98], v[95:96], v[99:100]
	v_fma_f64 v[97:98], v[93:94], v[125:126], -v[97:98]
	v_mul_f64 v[93:94], v[93:94], v[99:100]
	v_fma_f64 v[93:94], v[95:96], v[125:126], v[93:94]
	s_waitcnt vmcnt(2)
	v_add_f64 v[65:66], v[65:66], -v[97:98]
	s_waitcnt vmcnt(0)
	v_add_f64 v[67:68], v[67:68], -v[93:94]
	buffer_store_dword v65, off, s[24:27], 0 offset:96 ; 4-byte Folded Spill
	s_nop 0
	buffer_store_dword v66, off, s[24:27], 0 offset:100 ; 4-byte Folded Spill
	buffer_store_dword v67, off, s[24:27], 0 offset:104 ; 4-byte Folded Spill
	buffer_store_dword v68, off, s[24:27], 0 offset:108 ; 4-byte Folded Spill
	ds_read2_b64 v[93:96], v90 offset0:38 offset1:39
	buffer_load_dword v65, off, s[24:27], 0 offset:80 ; 4-byte Folded Reload
	buffer_load_dword v66, off, s[24:27], 0 offset:84 ; 4-byte Folded Reload
	buffer_load_dword v67, off, s[24:27], 0 offset:88 ; 4-byte Folded Reload
	buffer_load_dword v68, off, s[24:27], 0 offset:92 ; 4-byte Folded Reload
	s_waitcnt lgkmcnt(0)
	v_mul_f64 v[97:98], v[95:96], v[99:100]
	v_fma_f64 v[97:98], v[93:94], v[125:126], -v[97:98]
	v_mul_f64 v[93:94], v[93:94], v[99:100]
	v_fma_f64 v[93:94], v[95:96], v[125:126], v[93:94]
	s_waitcnt vmcnt(2)
	v_add_f64 v[65:66], v[65:66], -v[97:98]
	s_waitcnt vmcnt(0)
	v_add_f64 v[67:68], v[67:68], -v[93:94]
	buffer_store_dword v65, off, s[24:27], 0 offset:80 ; 4-byte Folded Spill
	s_nop 0
	buffer_store_dword v66, off, s[24:27], 0 offset:84 ; 4-byte Folded Spill
	buffer_store_dword v67, off, s[24:27], 0 offset:88 ; 4-byte Folded Spill
	buffer_store_dword v68, off, s[24:27], 0 offset:92 ; 4-byte Folded Spill
	ds_read2_b64 v[93:96], v90 offset0:40 offset1:41
	buffer_load_dword v65, off, s[24:27], 0 offset:64 ; 4-byte Folded Reload
	buffer_load_dword v66, off, s[24:27], 0 offset:68 ; 4-byte Folded Reload
	buffer_load_dword v67, off, s[24:27], 0 offset:72 ; 4-byte Folded Reload
	buffer_load_dword v68, off, s[24:27], 0 offset:76 ; 4-byte Folded Reload
	s_waitcnt lgkmcnt(0)
	v_mul_f64 v[97:98], v[95:96], v[99:100]
	v_fma_f64 v[97:98], v[93:94], v[125:126], -v[97:98]
	v_mul_f64 v[93:94], v[93:94], v[99:100]
	v_fma_f64 v[93:94], v[95:96], v[125:126], v[93:94]
	s_waitcnt vmcnt(2)
	v_add_f64 v[65:66], v[65:66], -v[97:98]
	s_waitcnt vmcnt(0)
	v_add_f64 v[67:68], v[67:68], -v[93:94]
	buffer_store_dword v65, off, s[24:27], 0 offset:64 ; 4-byte Folded Spill
	s_nop 0
	buffer_store_dword v66, off, s[24:27], 0 offset:68 ; 4-byte Folded Spill
	buffer_store_dword v67, off, s[24:27], 0 offset:72 ; 4-byte Folded Spill
	buffer_store_dword v68, off, s[24:27], 0 offset:76 ; 4-byte Folded Spill
	ds_read2_b64 v[93:96], v90 offset0:42 offset1:43
	buffer_load_dword v65, off, s[24:27], 0 offset:48 ; 4-byte Folded Reload
	buffer_load_dword v66, off, s[24:27], 0 offset:52 ; 4-byte Folded Reload
	buffer_load_dword v67, off, s[24:27], 0 offset:56 ; 4-byte Folded Reload
	buffer_load_dword v68, off, s[24:27], 0 offset:60 ; 4-byte Folded Reload
	s_waitcnt lgkmcnt(0)
	v_mul_f64 v[97:98], v[95:96], v[99:100]
	v_fma_f64 v[97:98], v[93:94], v[125:126], -v[97:98]
	v_mul_f64 v[93:94], v[93:94], v[99:100]
	v_fma_f64 v[93:94], v[95:96], v[125:126], v[93:94]
	s_waitcnt vmcnt(2)
	v_add_f64 v[65:66], v[65:66], -v[97:98]
	s_waitcnt vmcnt(0)
	v_add_f64 v[67:68], v[67:68], -v[93:94]
	buffer_store_dword v65, off, s[24:27], 0 offset:48 ; 4-byte Folded Spill
	s_nop 0
	buffer_store_dword v66, off, s[24:27], 0 offset:52 ; 4-byte Folded Spill
	buffer_store_dword v67, off, s[24:27], 0 offset:56 ; 4-byte Folded Spill
	buffer_store_dword v68, off, s[24:27], 0 offset:60 ; 4-byte Folded Spill
	ds_read2_b64 v[93:96], v90 offset0:44 offset1:45
	buffer_load_dword v65, off, s[24:27], 0 offset:32 ; 4-byte Folded Reload
	buffer_load_dword v66, off, s[24:27], 0 offset:36 ; 4-byte Folded Reload
	buffer_load_dword v67, off, s[24:27], 0 offset:40 ; 4-byte Folded Reload
	buffer_load_dword v68, off, s[24:27], 0 offset:44 ; 4-byte Folded Reload
	s_waitcnt lgkmcnt(0)
	v_mul_f64 v[97:98], v[95:96], v[99:100]
	v_fma_f64 v[97:98], v[93:94], v[125:126], -v[97:98]
	v_mul_f64 v[93:94], v[93:94], v[99:100]
	v_fma_f64 v[93:94], v[95:96], v[125:126], v[93:94]
	s_waitcnt vmcnt(2)
	v_add_f64 v[65:66], v[65:66], -v[97:98]
	s_waitcnt vmcnt(0)
	v_add_f64 v[67:68], v[67:68], -v[93:94]
	buffer_store_dword v65, off, s[24:27], 0 offset:32 ; 4-byte Folded Spill
	s_nop 0
	buffer_store_dword v66, off, s[24:27], 0 offset:36 ; 4-byte Folded Spill
	buffer_store_dword v67, off, s[24:27], 0 offset:40 ; 4-byte Folded Spill
	buffer_store_dword v68, off, s[24:27], 0 offset:44 ; 4-byte Folded Spill
	ds_read2_b64 v[93:96], v90 offset0:46 offset1:47
	buffer_load_dword v65, off, s[24:27], 0 offset:16 ; 4-byte Folded Reload
	buffer_load_dword v66, off, s[24:27], 0 offset:20 ; 4-byte Folded Reload
	buffer_load_dword v67, off, s[24:27], 0 offset:24 ; 4-byte Folded Reload
	buffer_load_dword v68, off, s[24:27], 0 offset:28 ; 4-byte Folded Reload
	s_waitcnt lgkmcnt(0)
	v_mul_f64 v[97:98], v[95:96], v[99:100]
	v_fma_f64 v[97:98], v[93:94], v[125:126], -v[97:98]
	v_mul_f64 v[93:94], v[93:94], v[99:100]
	v_fma_f64 v[93:94], v[95:96], v[125:126], v[93:94]
	s_waitcnt vmcnt(2)
	v_add_f64 v[65:66], v[65:66], -v[97:98]
	s_waitcnt vmcnt(0)
	v_add_f64 v[67:68], v[67:68], -v[93:94]
	buffer_store_dword v65, off, s[24:27], 0 offset:16 ; 4-byte Folded Spill
	s_nop 0
	buffer_store_dword v66, off, s[24:27], 0 offset:20 ; 4-byte Folded Spill
	buffer_store_dword v67, off, s[24:27], 0 offset:24 ; 4-byte Folded Spill
	buffer_store_dword v68, off, s[24:27], 0 offset:28 ; 4-byte Folded Spill
	ds_read2_b64 v[93:96], v90 offset0:48 offset1:49
	s_waitcnt lgkmcnt(0)
	v_mul_f64 v[97:98], v[95:96], v[99:100]
	v_fma_f64 v[97:98], v[93:94], v[125:126], -v[97:98]
	v_mul_f64 v[93:94], v[93:94], v[99:100]
	v_add_f64 v[85:86], v[85:86], -v[97:98]
	v_fma_f64 v[93:94], v[95:96], v[125:126], v[93:94]
	v_add_f64 v[87:88], v[87:88], -v[93:94]
	ds_read2_b64 v[93:96], v90 offset0:50 offset1:51
	s_waitcnt lgkmcnt(0)
	v_mul_f64 v[97:98], v[95:96], v[99:100]
	v_fma_f64 v[97:98], v[93:94], v[125:126], -v[97:98]
	v_mul_f64 v[93:94], v[93:94], v[99:100]
	v_add_f64 v[107:108], v[107:108], -v[97:98]
	v_fma_f64 v[93:94], v[95:96], v[125:126], v[93:94]
	v_add_f64 v[109:110], v[109:110], -v[93:94]
	;; [unrolled: 8-line block ×7, first 2 shown]
	ds_read2_b64 v[93:96], v90 offset0:62 offset1:63
	buffer_load_dword v65, off, s[24:27], 0 ; 4-byte Folded Reload
	buffer_load_dword v66, off, s[24:27], 0 offset:4 ; 4-byte Folded Reload
	buffer_load_dword v67, off, s[24:27], 0 offset:8 ; 4-byte Folded Reload
	;; [unrolled: 1-line block ×3, first 2 shown]
	s_waitcnt lgkmcnt(0)
	v_mul_f64 v[97:98], v[95:96], v[99:100]
	v_fma_f64 v[97:98], v[93:94], v[125:126], -v[97:98]
	v_mul_f64 v[93:94], v[93:94], v[99:100]
	v_fma_f64 v[93:94], v[95:96], v[125:126], v[93:94]
	s_waitcnt vmcnt(2)
	v_add_f64 v[65:66], v[65:66], -v[97:98]
	s_waitcnt vmcnt(0)
	v_add_f64 v[67:68], v[67:68], -v[93:94]
	buffer_store_dword v65, off, s[24:27], 0 ; 4-byte Folded Spill
	s_nop 0
	buffer_store_dword v66, off, s[24:27], 0 offset:4 ; 4-byte Folded Spill
	buffer_store_dword v67, off, s[24:27], 0 offset:8 ; 4-byte Folded Spill
	;; [unrolled: 1-line block ×3, first 2 shown]
	ds_read2_b64 v[93:96], v90 offset0:64 offset1:65
	s_waitcnt lgkmcnt(0)
	v_mul_f64 v[97:98], v[95:96], v[99:100]
	v_fma_f64 v[97:98], v[93:94], v[125:126], -v[97:98]
	v_mul_f64 v[93:94], v[93:94], v[99:100]
	v_add_f64 v[61:62], v[61:62], -v[97:98]
	v_fma_f64 v[93:94], v[95:96], v[125:126], v[93:94]
	v_add_f64 v[63:64], v[63:64], -v[93:94]
	ds_read2_b64 v[93:96], v90 offset0:66 offset1:67
	s_waitcnt lgkmcnt(0)
	v_mul_f64 v[97:98], v[95:96], v[99:100]
	v_fma_f64 v[97:98], v[93:94], v[125:126], -v[97:98]
	v_mul_f64 v[93:94], v[93:94], v[99:100]
	v_add_f64 v[57:58], v[57:58], -v[97:98]
	v_fma_f64 v[93:94], v[95:96], v[125:126], v[93:94]
	v_add_f64 v[59:60], v[59:60], -v[93:94]
	;; [unrolled: 8-line block ×16, first 2 shown]
	ds_read2_b64 v[93:96], v90 offset0:96 offset1:97
	s_waitcnt lgkmcnt(0)
	v_mul_f64 v[97:98], v[95:96], v[99:100]
	v_fma_f64 v[97:98], v[93:94], v[125:126], -v[97:98]
	v_mul_f64 v[93:94], v[93:94], v[99:100]
	v_add_f64 v[121:122], v[121:122], -v[97:98]
	v_fma_f64 v[93:94], v[95:96], v[125:126], v[93:94]
	v_mov_b32_e32 v97, v125
	v_mov_b32_e32 v98, v126
	buffer_store_dword v97, off, s[24:27], 0 offset:144 ; 4-byte Folded Spill
	s_nop 0
	buffer_store_dword v98, off, s[24:27], 0 offset:148 ; 4-byte Folded Spill
	buffer_store_dword v99, off, s[24:27], 0 offset:152 ; 4-byte Folded Spill
	;; [unrolled: 1-line block ×3, first 2 shown]
	v_add_f64 v[123:124], v[123:124], -v[93:94]
.LBB96_335:
	s_or_b64 exec, exec, s[0:1]
	s_waitcnt vmcnt(0)
	s_barrier
	buffer_load_dword v65, off, s[24:27], 0 offset:128 ; 4-byte Folded Reload
	buffer_load_dword v66, off, s[24:27], 0 offset:132 ; 4-byte Folded Reload
	buffer_load_dword v67, off, s[24:27], 0 offset:136 ; 4-byte Folded Reload
	buffer_load_dword v68, off, s[24:27], 0 offset:140 ; 4-byte Folded Reload
	v_lshl_add_u32 v93, v92, 4, v90
	s_cmp_lt_i32 s3, 18
	s_waitcnt vmcnt(0)
	ds_write2_b64 v93, v[65:66], v[67:68] offset1:1
	s_waitcnt lgkmcnt(0)
	s_barrier
	ds_read2_b64 v[117:120], v90 offset0:32 offset1:33
	v_mov_b32_e32 v93, 16
	s_cbranch_scc1 .LBB96_338
; %bb.336:
	v_add_u32_e32 v94, 0x110, v90
	s_mov_b32 s0, 17
	v_mov_b32_e32 v93, 16
.LBB96_337:                             ; =>This Inner Loop Header: Depth=1
	s_waitcnt lgkmcnt(0)
	v_cmp_gt_f64_e32 vcc, 0, v[117:118]
	v_xor_b32_e32 v99, 0x80000000, v118
	ds_read2_b64 v[95:98], v94 offset1:1
	v_xor_b32_e32 v101, 0x80000000, v120
	v_add_u32_e32 v94, 16, v94
	s_waitcnt lgkmcnt(0)
	v_xor_b32_e32 v103, 0x80000000, v98
	v_cndmask_b32_e32 v100, v118, v99, vcc
	v_cmp_gt_f64_e32 vcc, 0, v[119:120]
	v_mov_b32_e32 v99, v117
	v_cndmask_b32_e32 v102, v120, v101, vcc
	v_cmp_gt_f64_e32 vcc, 0, v[95:96]
	v_mov_b32_e32 v101, v119
	v_add_f64 v[99:100], v[99:100], v[101:102]
	v_xor_b32_e32 v101, 0x80000000, v96
	v_cndmask_b32_e32 v102, v96, v101, vcc
	v_cmp_gt_f64_e32 vcc, 0, v[97:98]
	v_mov_b32_e32 v101, v95
	v_cndmask_b32_e32 v104, v98, v103, vcc
	v_mov_b32_e32 v103, v97
	v_add_f64 v[101:102], v[101:102], v[103:104]
	v_cmp_lt_f64_e32 vcc, v[99:100], v[101:102]
	v_cndmask_b32_e32 v117, v117, v95, vcc
	v_mov_b32_e32 v95, s0
	s_add_i32 s0, s0, 1
	v_cndmask_b32_e32 v118, v118, v96, vcc
	v_cndmask_b32_e32 v120, v120, v98, vcc
	;; [unrolled: 1-line block ×4, first 2 shown]
	s_cmp_lg_u32 s3, s0
	s_cbranch_scc1 .LBB96_337
.LBB96_338:
	s_waitcnt lgkmcnt(0)
	v_cmp_eq_f64_e32 vcc, 0, v[117:118]
	v_cmp_eq_f64_e64 s[0:1], 0, v[119:120]
	s_and_b64 s[0:1], vcc, s[0:1]
	s_and_saveexec_b64 s[18:19], s[0:1]
	s_xor_b64 s[0:1], exec, s[18:19]
; %bb.339:
	v_cmp_ne_u32_e32 vcc, 0, v91
	v_cndmask_b32_e32 v91, 17, v91, vcc
; %bb.340:
	s_andn2_saveexec_b64 s[0:1], s[0:1]
	s_cbranch_execz .LBB96_346
; %bb.341:
	v_cmp_ngt_f64_e64 s[18:19], |v[117:118]|, |v[119:120]|
	s_and_saveexec_b64 s[20:21], s[18:19]
	s_xor_b64 s[18:19], exec, s[20:21]
	s_cbranch_execz .LBB96_343
; %bb.342:
	v_div_scale_f64 v[94:95], s[20:21], v[119:120], v[119:120], v[117:118]
	v_rcp_f64_e32 v[96:97], v[94:95]
	v_fma_f64 v[98:99], -v[94:95], v[96:97], 1.0
	v_fma_f64 v[96:97], v[96:97], v[98:99], v[96:97]
	v_div_scale_f64 v[98:99], vcc, v[117:118], v[119:120], v[117:118]
	v_fma_f64 v[100:101], -v[94:95], v[96:97], 1.0
	v_fma_f64 v[96:97], v[96:97], v[100:101], v[96:97]
	v_mul_f64 v[100:101], v[98:99], v[96:97]
	v_fma_f64 v[94:95], -v[94:95], v[100:101], v[98:99]
	v_div_fmas_f64 v[94:95], v[94:95], v[96:97], v[100:101]
	v_div_fixup_f64 v[94:95], v[94:95], v[119:120], v[117:118]
	v_fma_f64 v[96:97], v[117:118], v[94:95], v[119:120]
	v_div_scale_f64 v[98:99], s[20:21], v[96:97], v[96:97], 1.0
	v_div_scale_f64 v[104:105], vcc, 1.0, v[96:97], 1.0
	v_rcp_f64_e32 v[100:101], v[98:99]
	v_fma_f64 v[102:103], -v[98:99], v[100:101], 1.0
	v_fma_f64 v[100:101], v[100:101], v[102:103], v[100:101]
	v_fma_f64 v[102:103], -v[98:99], v[100:101], 1.0
	v_fma_f64 v[100:101], v[100:101], v[102:103], v[100:101]
	v_mul_f64 v[102:103], v[104:105], v[100:101]
	v_fma_f64 v[98:99], -v[98:99], v[102:103], v[104:105]
	v_div_fmas_f64 v[98:99], v[98:99], v[100:101], v[102:103]
	v_div_fixup_f64 v[119:120], v[98:99], v[96:97], 1.0
	v_mul_f64 v[117:118], v[94:95], v[119:120]
	v_xor_b32_e32 v120, 0x80000000, v120
.LBB96_343:
	s_andn2_saveexec_b64 s[18:19], s[18:19]
	s_cbranch_execz .LBB96_345
; %bb.344:
	v_div_scale_f64 v[94:95], s[20:21], v[117:118], v[117:118], v[119:120]
	v_rcp_f64_e32 v[96:97], v[94:95]
	v_fma_f64 v[98:99], -v[94:95], v[96:97], 1.0
	v_fma_f64 v[96:97], v[96:97], v[98:99], v[96:97]
	v_div_scale_f64 v[98:99], vcc, v[119:120], v[117:118], v[119:120]
	v_fma_f64 v[100:101], -v[94:95], v[96:97], 1.0
	v_fma_f64 v[96:97], v[96:97], v[100:101], v[96:97]
	v_mul_f64 v[100:101], v[98:99], v[96:97]
	v_fma_f64 v[94:95], -v[94:95], v[100:101], v[98:99]
	v_div_fmas_f64 v[94:95], v[94:95], v[96:97], v[100:101]
	v_div_fixup_f64 v[94:95], v[94:95], v[117:118], v[119:120]
	v_fma_f64 v[96:97], v[119:120], v[94:95], v[117:118]
	v_div_scale_f64 v[98:99], s[20:21], v[96:97], v[96:97], 1.0
	v_div_scale_f64 v[104:105], vcc, 1.0, v[96:97], 1.0
	v_rcp_f64_e32 v[100:101], v[98:99]
	v_fma_f64 v[102:103], -v[98:99], v[100:101], 1.0
	v_fma_f64 v[100:101], v[100:101], v[102:103], v[100:101]
	v_fma_f64 v[102:103], -v[98:99], v[100:101], 1.0
	v_fma_f64 v[100:101], v[100:101], v[102:103], v[100:101]
	v_mul_f64 v[102:103], v[104:105], v[100:101]
	v_fma_f64 v[98:99], -v[98:99], v[102:103], v[104:105]
	v_div_fmas_f64 v[98:99], v[98:99], v[100:101], v[102:103]
	v_div_fixup_f64 v[117:118], v[98:99], v[96:97], 1.0
	v_mul_f64 v[119:120], v[94:95], -v[117:118]
.LBB96_345:
	s_or_b64 exec, exec, s[18:19]
.LBB96_346:
	s_or_b64 exec, exec, s[0:1]
	v_cmp_ne_u32_e32 vcc, v92, v93
	s_and_saveexec_b64 s[0:1], vcc
	s_xor_b64 s[0:1], exec, s[0:1]
	s_cbranch_execz .LBB96_352
; %bb.347:
	v_cmp_eq_u32_e32 vcc, 16, v92
	s_and_saveexec_b64 s[18:19], vcc
	s_cbranch_execz .LBB96_351
; %bb.348:
	v_cmp_ne_u32_e32 vcc, 16, v93
	s_xor_b64 s[20:21], s[6:7], -1
	s_and_b64 s[22:23], s[20:21], vcc
	s_and_saveexec_b64 s[20:21], s[22:23]
	s_cbranch_execz .LBB96_350
; %bb.349:
	v_mov_b32_e32 v65, v85
	v_mov_b32_e32 v66, v86
	;; [unrolled: 1-line block ×4, first 2 shown]
	buffer_load_dword v85, off, s[24:27], 0 offset:352 ; 4-byte Folded Reload
	buffer_load_dword v86, off, s[24:27], 0 offset:356 ; 4-byte Folded Reload
	v_ashrrev_i32_e32 v94, 31, v93
	v_lshlrev_b64 v[94:95], 2, v[93:94]
	s_waitcnt vmcnt(1)
	v_add_co_u32_e32 v94, vcc, v85, v94
	s_waitcnt vmcnt(0)
	v_addc_co_u32_e32 v95, vcc, v86, v95, vcc
	global_load_dword v0, v[94:95], off
	global_load_dword v92, v[85:86], off offset:64
	s_waitcnt vmcnt(1)
	global_store_dword v[85:86], v0, off offset:64
	v_mov_b32_e32 v88, v68
	v_mov_b32_e32 v87, v67
	;; [unrolled: 1-line block ×4, first 2 shown]
	s_waitcnt vmcnt(1)
	global_store_dword v[94:95], v92, off
.LBB96_350:
	s_or_b64 exec, exec, s[20:21]
	v_mov_b32_e32 v92, v93
	v_mov_b32_e32 v0, v93
.LBB96_351:
	s_or_b64 exec, exec, s[18:19]
.LBB96_352:
	s_andn2_saveexec_b64 s[0:1], s[0:1]
	s_cbranch_execz .LBB96_354
; %bb.353:
	buffer_load_dword v65, off, s[24:27], 0 offset:112 ; 4-byte Folded Reload
	buffer_load_dword v66, off, s[24:27], 0 offset:116 ; 4-byte Folded Reload
	;; [unrolled: 1-line block ×4, first 2 shown]
	v_mov_b32_e32 v92, 16
	s_waitcnt vmcnt(0)
	ds_write2_b64 v90, v[65:66], v[67:68] offset0:34 offset1:35
	buffer_load_dword v65, off, s[24:27], 0 offset:96 ; 4-byte Folded Reload
	buffer_load_dword v66, off, s[24:27], 0 offset:100 ; 4-byte Folded Reload
	buffer_load_dword v67, off, s[24:27], 0 offset:104 ; 4-byte Folded Reload
	buffer_load_dword v68, off, s[24:27], 0 offset:108 ; 4-byte Folded Reload
	s_waitcnt vmcnt(0)
	ds_write2_b64 v90, v[65:66], v[67:68] offset0:36 offset1:37
	buffer_load_dword v65, off, s[24:27], 0 offset:80 ; 4-byte Folded Reload
	buffer_load_dword v66, off, s[24:27], 0 offset:84 ; 4-byte Folded Reload
	buffer_load_dword v67, off, s[24:27], 0 offset:88 ; 4-byte Folded Reload
	buffer_load_dword v68, off, s[24:27], 0 offset:92 ; 4-byte Folded Reload
	;; [unrolled: 6-line block ×6, first 2 shown]
	s_waitcnt vmcnt(0)
	ds_write2_b64 v90, v[65:66], v[67:68] offset0:46 offset1:47
	ds_write2_b64 v90, v[85:86], v[87:88] offset0:48 offset1:49
	;; [unrolled: 1-line block ×8, first 2 shown]
	buffer_load_dword v65, off, s[24:27], 0 ; 4-byte Folded Reload
	buffer_load_dword v66, off, s[24:27], 0 offset:4 ; 4-byte Folded Reload
	buffer_load_dword v67, off, s[24:27], 0 offset:8 ; 4-byte Folded Reload
	;; [unrolled: 1-line block ×3, first 2 shown]
	s_waitcnt vmcnt(0)
	ds_write2_b64 v90, v[65:66], v[67:68] offset0:62 offset1:63
	ds_write2_b64 v90, v[61:62], v[63:64] offset0:64 offset1:65
	;; [unrolled: 1-line block ×18, first 2 shown]
.LBB96_354:
	s_or_b64 exec, exec, s[0:1]
	v_cmp_lt_i32_e32 vcc, 16, v92
	s_waitcnt vmcnt(0) lgkmcnt(0)
	s_barrier
	s_and_saveexec_b64 s[0:1], vcc
	s_cbranch_execz .LBB96_356
; %bb.355:
	buffer_load_dword v97, off, s[24:27], 0 offset:128 ; 4-byte Folded Reload
	buffer_load_dword v98, off, s[24:27], 0 offset:132 ; 4-byte Folded Reload
	;; [unrolled: 1-line block ×4, first 2 shown]
	s_waitcnt vmcnt(0)
	v_mul_f64 v[93:94], v[119:120], v[99:100]
	v_fma_f64 v[125:126], v[117:118], v[97:98], -v[93:94]
	v_mul_f64 v[93:94], v[117:118], v[99:100]
	v_fma_f64 v[99:100], v[119:120], v[97:98], v[93:94]
	ds_read2_b64 v[93:96], v90 offset0:34 offset1:35
	buffer_load_dword v65, off, s[24:27], 0 offset:112 ; 4-byte Folded Reload
	buffer_load_dword v66, off, s[24:27], 0 offset:116 ; 4-byte Folded Reload
	buffer_load_dword v67, off, s[24:27], 0 offset:120 ; 4-byte Folded Reload
	buffer_load_dword v68, off, s[24:27], 0 offset:124 ; 4-byte Folded Reload
	s_waitcnt lgkmcnt(0)
	v_mul_f64 v[97:98], v[95:96], v[99:100]
	v_fma_f64 v[97:98], v[93:94], v[125:126], -v[97:98]
	v_mul_f64 v[93:94], v[93:94], v[99:100]
	v_fma_f64 v[93:94], v[95:96], v[125:126], v[93:94]
	s_waitcnt vmcnt(2)
	v_add_f64 v[65:66], v[65:66], -v[97:98]
	s_waitcnt vmcnt(0)
	v_add_f64 v[67:68], v[67:68], -v[93:94]
	buffer_store_dword v65, off, s[24:27], 0 offset:112 ; 4-byte Folded Spill
	s_nop 0
	buffer_store_dword v66, off, s[24:27], 0 offset:116 ; 4-byte Folded Spill
	buffer_store_dword v67, off, s[24:27], 0 offset:120 ; 4-byte Folded Spill
	buffer_store_dword v68, off, s[24:27], 0 offset:124 ; 4-byte Folded Spill
	ds_read2_b64 v[93:96], v90 offset0:36 offset1:37
	buffer_load_dword v65, off, s[24:27], 0 offset:96 ; 4-byte Folded Reload
	buffer_load_dword v66, off, s[24:27], 0 offset:100 ; 4-byte Folded Reload
	buffer_load_dword v67, off, s[24:27], 0 offset:104 ; 4-byte Folded Reload
	buffer_load_dword v68, off, s[24:27], 0 offset:108 ; 4-byte Folded Reload
	s_waitcnt lgkmcnt(0)
	v_mul_f64 v[97:98], v[95:96], v[99:100]
	v_fma_f64 v[97:98], v[93:94], v[125:126], -v[97:98]
	v_mul_f64 v[93:94], v[93:94], v[99:100]
	v_fma_f64 v[93:94], v[95:96], v[125:126], v[93:94]
	s_waitcnt vmcnt(2)
	v_add_f64 v[65:66], v[65:66], -v[97:98]
	s_waitcnt vmcnt(0)
	v_add_f64 v[67:68], v[67:68], -v[93:94]
	buffer_store_dword v65, off, s[24:27], 0 offset:96 ; 4-byte Folded Spill
	s_nop 0
	buffer_store_dword v66, off, s[24:27], 0 offset:100 ; 4-byte Folded Spill
	buffer_store_dword v67, off, s[24:27], 0 offset:104 ; 4-byte Folded Spill
	buffer_store_dword v68, off, s[24:27], 0 offset:108 ; 4-byte Folded Spill
	;; [unrolled: 19-line block ×7, first 2 shown]
	ds_read2_b64 v[93:96], v90 offset0:48 offset1:49
	s_waitcnt lgkmcnt(0)
	v_mul_f64 v[97:98], v[95:96], v[99:100]
	v_fma_f64 v[97:98], v[93:94], v[125:126], -v[97:98]
	v_mul_f64 v[93:94], v[93:94], v[99:100]
	v_add_f64 v[85:86], v[85:86], -v[97:98]
	v_fma_f64 v[93:94], v[95:96], v[125:126], v[93:94]
	v_add_f64 v[87:88], v[87:88], -v[93:94]
	ds_read2_b64 v[93:96], v90 offset0:50 offset1:51
	s_waitcnt lgkmcnt(0)
	v_mul_f64 v[97:98], v[95:96], v[99:100]
	v_fma_f64 v[97:98], v[93:94], v[125:126], -v[97:98]
	v_mul_f64 v[93:94], v[93:94], v[99:100]
	v_add_f64 v[107:108], v[107:108], -v[97:98]
	v_fma_f64 v[93:94], v[95:96], v[125:126], v[93:94]
	v_add_f64 v[109:110], v[109:110], -v[93:94]
	;; [unrolled: 8-line block ×7, first 2 shown]
	ds_read2_b64 v[93:96], v90 offset0:62 offset1:63
	buffer_load_dword v65, off, s[24:27], 0 ; 4-byte Folded Reload
	buffer_load_dword v66, off, s[24:27], 0 offset:4 ; 4-byte Folded Reload
	buffer_load_dword v67, off, s[24:27], 0 offset:8 ; 4-byte Folded Reload
	buffer_load_dword v68, off, s[24:27], 0 offset:12 ; 4-byte Folded Reload
	s_waitcnt lgkmcnt(0)
	v_mul_f64 v[97:98], v[95:96], v[99:100]
	v_fma_f64 v[97:98], v[93:94], v[125:126], -v[97:98]
	v_mul_f64 v[93:94], v[93:94], v[99:100]
	v_fma_f64 v[93:94], v[95:96], v[125:126], v[93:94]
	s_waitcnt vmcnt(2)
	v_add_f64 v[65:66], v[65:66], -v[97:98]
	s_waitcnt vmcnt(0)
	v_add_f64 v[67:68], v[67:68], -v[93:94]
	buffer_store_dword v65, off, s[24:27], 0 ; 4-byte Folded Spill
	s_nop 0
	buffer_store_dword v66, off, s[24:27], 0 offset:4 ; 4-byte Folded Spill
	buffer_store_dword v67, off, s[24:27], 0 offset:8 ; 4-byte Folded Spill
	;; [unrolled: 1-line block ×3, first 2 shown]
	ds_read2_b64 v[93:96], v90 offset0:64 offset1:65
	s_waitcnt lgkmcnt(0)
	v_mul_f64 v[97:98], v[95:96], v[99:100]
	v_fma_f64 v[97:98], v[93:94], v[125:126], -v[97:98]
	v_mul_f64 v[93:94], v[93:94], v[99:100]
	v_add_f64 v[61:62], v[61:62], -v[97:98]
	v_fma_f64 v[93:94], v[95:96], v[125:126], v[93:94]
	v_add_f64 v[63:64], v[63:64], -v[93:94]
	ds_read2_b64 v[93:96], v90 offset0:66 offset1:67
	s_waitcnt lgkmcnt(0)
	v_mul_f64 v[97:98], v[95:96], v[99:100]
	v_fma_f64 v[97:98], v[93:94], v[125:126], -v[97:98]
	v_mul_f64 v[93:94], v[93:94], v[99:100]
	v_add_f64 v[57:58], v[57:58], -v[97:98]
	v_fma_f64 v[93:94], v[95:96], v[125:126], v[93:94]
	v_add_f64 v[59:60], v[59:60], -v[93:94]
	;; [unrolled: 8-line block ×16, first 2 shown]
	ds_read2_b64 v[93:96], v90 offset0:96 offset1:97
	s_waitcnt lgkmcnt(0)
	v_mul_f64 v[97:98], v[95:96], v[99:100]
	v_fma_f64 v[97:98], v[93:94], v[125:126], -v[97:98]
	v_mul_f64 v[93:94], v[93:94], v[99:100]
	v_add_f64 v[121:122], v[121:122], -v[97:98]
	v_fma_f64 v[93:94], v[95:96], v[125:126], v[93:94]
	v_mov_b32_e32 v97, v125
	v_mov_b32_e32 v98, v126
	buffer_store_dword v97, off, s[24:27], 0 offset:128 ; 4-byte Folded Spill
	s_nop 0
	buffer_store_dword v98, off, s[24:27], 0 offset:132 ; 4-byte Folded Spill
	buffer_store_dword v99, off, s[24:27], 0 offset:136 ; 4-byte Folded Spill
	;; [unrolled: 1-line block ×3, first 2 shown]
	v_add_f64 v[123:124], v[123:124], -v[93:94]
.LBB96_356:
	s_or_b64 exec, exec, s[0:1]
	s_waitcnt vmcnt(0)
	s_barrier
	buffer_load_dword v65, off, s[24:27], 0 offset:112 ; 4-byte Folded Reload
	buffer_load_dword v66, off, s[24:27], 0 offset:116 ; 4-byte Folded Reload
	;; [unrolled: 1-line block ×4, first 2 shown]
	v_lshl_add_u32 v93, v92, 4, v90
	s_cmp_lt_i32 s3, 19
	s_waitcnt vmcnt(0)
	ds_write2_b64 v93, v[65:66], v[67:68] offset1:1
	s_waitcnt lgkmcnt(0)
	s_barrier
	ds_read2_b64 v[117:120], v90 offset0:34 offset1:35
	v_mov_b32_e32 v93, 17
	s_cbranch_scc1 .LBB96_359
; %bb.357:
	v_add_u32_e32 v94, 0x120, v90
	s_mov_b32 s0, 18
	v_mov_b32_e32 v93, 17
.LBB96_358:                             ; =>This Inner Loop Header: Depth=1
	s_waitcnt lgkmcnt(0)
	v_cmp_gt_f64_e32 vcc, 0, v[117:118]
	v_xor_b32_e32 v99, 0x80000000, v118
	ds_read2_b64 v[95:98], v94 offset1:1
	v_xor_b32_e32 v101, 0x80000000, v120
	v_add_u32_e32 v94, 16, v94
	s_waitcnt lgkmcnt(0)
	v_xor_b32_e32 v103, 0x80000000, v98
	v_cndmask_b32_e32 v100, v118, v99, vcc
	v_cmp_gt_f64_e32 vcc, 0, v[119:120]
	v_mov_b32_e32 v99, v117
	v_cndmask_b32_e32 v102, v120, v101, vcc
	v_cmp_gt_f64_e32 vcc, 0, v[95:96]
	v_mov_b32_e32 v101, v119
	v_add_f64 v[99:100], v[99:100], v[101:102]
	v_xor_b32_e32 v101, 0x80000000, v96
	v_cndmask_b32_e32 v102, v96, v101, vcc
	v_cmp_gt_f64_e32 vcc, 0, v[97:98]
	v_mov_b32_e32 v101, v95
	v_cndmask_b32_e32 v104, v98, v103, vcc
	v_mov_b32_e32 v103, v97
	v_add_f64 v[101:102], v[101:102], v[103:104]
	v_cmp_lt_f64_e32 vcc, v[99:100], v[101:102]
	v_cndmask_b32_e32 v117, v117, v95, vcc
	v_mov_b32_e32 v95, s0
	s_add_i32 s0, s0, 1
	v_cndmask_b32_e32 v118, v118, v96, vcc
	v_cndmask_b32_e32 v120, v120, v98, vcc
	;; [unrolled: 1-line block ×4, first 2 shown]
	s_cmp_lg_u32 s3, s0
	s_cbranch_scc1 .LBB96_358
.LBB96_359:
	s_waitcnt lgkmcnt(0)
	v_cmp_eq_f64_e32 vcc, 0, v[117:118]
	v_cmp_eq_f64_e64 s[0:1], 0, v[119:120]
	s_and_b64 s[0:1], vcc, s[0:1]
	s_and_saveexec_b64 s[18:19], s[0:1]
	s_xor_b64 s[0:1], exec, s[18:19]
; %bb.360:
	v_cmp_ne_u32_e32 vcc, 0, v91
	v_cndmask_b32_e32 v91, 18, v91, vcc
; %bb.361:
	s_andn2_saveexec_b64 s[0:1], s[0:1]
	s_cbranch_execz .LBB96_367
; %bb.362:
	v_cmp_ngt_f64_e64 s[18:19], |v[117:118]|, |v[119:120]|
	s_and_saveexec_b64 s[20:21], s[18:19]
	s_xor_b64 s[18:19], exec, s[20:21]
	s_cbranch_execz .LBB96_364
; %bb.363:
	v_div_scale_f64 v[94:95], s[20:21], v[119:120], v[119:120], v[117:118]
	v_rcp_f64_e32 v[96:97], v[94:95]
	v_fma_f64 v[98:99], -v[94:95], v[96:97], 1.0
	v_fma_f64 v[96:97], v[96:97], v[98:99], v[96:97]
	v_div_scale_f64 v[98:99], vcc, v[117:118], v[119:120], v[117:118]
	v_fma_f64 v[100:101], -v[94:95], v[96:97], 1.0
	v_fma_f64 v[96:97], v[96:97], v[100:101], v[96:97]
	v_mul_f64 v[100:101], v[98:99], v[96:97]
	v_fma_f64 v[94:95], -v[94:95], v[100:101], v[98:99]
	v_div_fmas_f64 v[94:95], v[94:95], v[96:97], v[100:101]
	v_div_fixup_f64 v[94:95], v[94:95], v[119:120], v[117:118]
	v_fma_f64 v[96:97], v[117:118], v[94:95], v[119:120]
	v_div_scale_f64 v[98:99], s[20:21], v[96:97], v[96:97], 1.0
	v_div_scale_f64 v[104:105], vcc, 1.0, v[96:97], 1.0
	v_rcp_f64_e32 v[100:101], v[98:99]
	v_fma_f64 v[102:103], -v[98:99], v[100:101], 1.0
	v_fma_f64 v[100:101], v[100:101], v[102:103], v[100:101]
	v_fma_f64 v[102:103], -v[98:99], v[100:101], 1.0
	v_fma_f64 v[100:101], v[100:101], v[102:103], v[100:101]
	v_mul_f64 v[102:103], v[104:105], v[100:101]
	v_fma_f64 v[98:99], -v[98:99], v[102:103], v[104:105]
	v_div_fmas_f64 v[98:99], v[98:99], v[100:101], v[102:103]
	v_div_fixup_f64 v[119:120], v[98:99], v[96:97], 1.0
	v_mul_f64 v[117:118], v[94:95], v[119:120]
	v_xor_b32_e32 v120, 0x80000000, v120
.LBB96_364:
	s_andn2_saveexec_b64 s[18:19], s[18:19]
	s_cbranch_execz .LBB96_366
; %bb.365:
	v_div_scale_f64 v[94:95], s[20:21], v[117:118], v[117:118], v[119:120]
	v_rcp_f64_e32 v[96:97], v[94:95]
	v_fma_f64 v[98:99], -v[94:95], v[96:97], 1.0
	v_fma_f64 v[96:97], v[96:97], v[98:99], v[96:97]
	v_div_scale_f64 v[98:99], vcc, v[119:120], v[117:118], v[119:120]
	v_fma_f64 v[100:101], -v[94:95], v[96:97], 1.0
	v_fma_f64 v[96:97], v[96:97], v[100:101], v[96:97]
	v_mul_f64 v[100:101], v[98:99], v[96:97]
	v_fma_f64 v[94:95], -v[94:95], v[100:101], v[98:99]
	v_div_fmas_f64 v[94:95], v[94:95], v[96:97], v[100:101]
	v_div_fixup_f64 v[94:95], v[94:95], v[117:118], v[119:120]
	v_fma_f64 v[96:97], v[119:120], v[94:95], v[117:118]
	v_div_scale_f64 v[98:99], s[20:21], v[96:97], v[96:97], 1.0
	v_div_scale_f64 v[104:105], vcc, 1.0, v[96:97], 1.0
	v_rcp_f64_e32 v[100:101], v[98:99]
	v_fma_f64 v[102:103], -v[98:99], v[100:101], 1.0
	v_fma_f64 v[100:101], v[100:101], v[102:103], v[100:101]
	v_fma_f64 v[102:103], -v[98:99], v[100:101], 1.0
	v_fma_f64 v[100:101], v[100:101], v[102:103], v[100:101]
	v_mul_f64 v[102:103], v[104:105], v[100:101]
	v_fma_f64 v[98:99], -v[98:99], v[102:103], v[104:105]
	v_div_fmas_f64 v[98:99], v[98:99], v[100:101], v[102:103]
	v_div_fixup_f64 v[117:118], v[98:99], v[96:97], 1.0
	v_mul_f64 v[119:120], v[94:95], -v[117:118]
.LBB96_366:
	s_or_b64 exec, exec, s[18:19]
.LBB96_367:
	s_or_b64 exec, exec, s[0:1]
	v_cmp_ne_u32_e32 vcc, v92, v93
	s_and_saveexec_b64 s[0:1], vcc
	s_xor_b64 s[0:1], exec, s[0:1]
	s_cbranch_execz .LBB96_373
; %bb.368:
	v_cmp_eq_u32_e32 vcc, 17, v92
	s_and_saveexec_b64 s[18:19], vcc
	s_cbranch_execz .LBB96_372
; %bb.369:
	v_cmp_ne_u32_e32 vcc, 17, v93
	s_xor_b64 s[20:21], s[6:7], -1
	s_and_b64 s[22:23], s[20:21], vcc
	s_and_saveexec_b64 s[20:21], s[22:23]
	s_cbranch_execz .LBB96_371
; %bb.370:
	v_mov_b32_e32 v65, v85
	v_mov_b32_e32 v66, v86
	;; [unrolled: 1-line block ×4, first 2 shown]
	buffer_load_dword v85, off, s[24:27], 0 offset:352 ; 4-byte Folded Reload
	buffer_load_dword v86, off, s[24:27], 0 offset:356 ; 4-byte Folded Reload
	v_ashrrev_i32_e32 v94, 31, v93
	v_lshlrev_b64 v[94:95], 2, v[93:94]
	s_waitcnt vmcnt(1)
	v_add_co_u32_e32 v94, vcc, v85, v94
	s_waitcnt vmcnt(0)
	v_addc_co_u32_e32 v95, vcc, v86, v95, vcc
	global_load_dword v0, v[94:95], off
	global_load_dword v92, v[85:86], off offset:68
	s_waitcnt vmcnt(1)
	global_store_dword v[85:86], v0, off offset:68
	v_mov_b32_e32 v88, v68
	v_mov_b32_e32 v87, v67
	;; [unrolled: 1-line block ×4, first 2 shown]
	s_waitcnt vmcnt(1)
	global_store_dword v[94:95], v92, off
.LBB96_371:
	s_or_b64 exec, exec, s[20:21]
	v_mov_b32_e32 v92, v93
	v_mov_b32_e32 v0, v93
.LBB96_372:
	s_or_b64 exec, exec, s[18:19]
.LBB96_373:
	s_andn2_saveexec_b64 s[0:1], s[0:1]
	s_cbranch_execz .LBB96_375
; %bb.374:
	buffer_load_dword v65, off, s[24:27], 0 offset:96 ; 4-byte Folded Reload
	buffer_load_dword v66, off, s[24:27], 0 offset:100 ; 4-byte Folded Reload
	buffer_load_dword v67, off, s[24:27], 0 offset:104 ; 4-byte Folded Reload
	buffer_load_dword v68, off, s[24:27], 0 offset:108 ; 4-byte Folded Reload
	v_mov_b32_e32 v92, 17
	s_waitcnt vmcnt(0)
	ds_write2_b64 v90, v[65:66], v[67:68] offset0:36 offset1:37
	buffer_load_dword v65, off, s[24:27], 0 offset:80 ; 4-byte Folded Reload
	buffer_load_dword v66, off, s[24:27], 0 offset:84 ; 4-byte Folded Reload
	buffer_load_dword v67, off, s[24:27], 0 offset:88 ; 4-byte Folded Reload
	buffer_load_dword v68, off, s[24:27], 0 offset:92 ; 4-byte Folded Reload
	s_waitcnt vmcnt(0)
	ds_write2_b64 v90, v[65:66], v[67:68] offset0:38 offset1:39
	buffer_load_dword v65, off, s[24:27], 0 offset:64 ; 4-byte Folded Reload
	buffer_load_dword v66, off, s[24:27], 0 offset:68 ; 4-byte Folded Reload
	buffer_load_dword v67, off, s[24:27], 0 offset:72 ; 4-byte Folded Reload
	buffer_load_dword v68, off, s[24:27], 0 offset:76 ; 4-byte Folded Reload
	s_waitcnt vmcnt(0)
	ds_write2_b64 v90, v[65:66], v[67:68] offset0:40 offset1:41
	buffer_load_dword v65, off, s[24:27], 0 offset:48 ; 4-byte Folded Reload
	buffer_load_dword v66, off, s[24:27], 0 offset:52 ; 4-byte Folded Reload
	buffer_load_dword v67, off, s[24:27], 0 offset:56 ; 4-byte Folded Reload
	buffer_load_dword v68, off, s[24:27], 0 offset:60 ; 4-byte Folded Reload
	s_waitcnt vmcnt(0)
	ds_write2_b64 v90, v[65:66], v[67:68] offset0:42 offset1:43
	buffer_load_dword v65, off, s[24:27], 0 offset:32 ; 4-byte Folded Reload
	buffer_load_dword v66, off, s[24:27], 0 offset:36 ; 4-byte Folded Reload
	buffer_load_dword v67, off, s[24:27], 0 offset:40 ; 4-byte Folded Reload
	buffer_load_dword v68, off, s[24:27], 0 offset:44 ; 4-byte Folded Reload
	s_waitcnt vmcnt(0)
	ds_write2_b64 v90, v[65:66], v[67:68] offset0:44 offset1:45
	buffer_load_dword v65, off, s[24:27], 0 offset:16 ; 4-byte Folded Reload
	buffer_load_dword v66, off, s[24:27], 0 offset:20 ; 4-byte Folded Reload
	buffer_load_dword v67, off, s[24:27], 0 offset:24 ; 4-byte Folded Reload
	buffer_load_dword v68, off, s[24:27], 0 offset:28 ; 4-byte Folded Reload
	s_waitcnt vmcnt(0)
	ds_write2_b64 v90, v[65:66], v[67:68] offset0:46 offset1:47
	ds_write2_b64 v90, v[85:86], v[87:88] offset0:48 offset1:49
	ds_write2_b64 v90, v[107:108], v[109:110] offset0:50 offset1:51
	ds_write2_b64 v90, v[113:114], v[115:116] offset0:52 offset1:53
	ds_write2_b64 v90, v[81:82], v[83:84] offset0:54 offset1:55
	ds_write2_b64 v90, v[77:78], v[79:80] offset0:56 offset1:57
	ds_write2_b64 v90, v[73:74], v[75:76] offset0:58 offset1:59
	ds_write2_b64 v90, v[69:70], v[71:72] offset0:60 offset1:61
	buffer_load_dword v65, off, s[24:27], 0 ; 4-byte Folded Reload
	buffer_load_dword v66, off, s[24:27], 0 offset:4 ; 4-byte Folded Reload
	buffer_load_dword v67, off, s[24:27], 0 offset:8 ; 4-byte Folded Reload
	;; [unrolled: 1-line block ×3, first 2 shown]
	s_waitcnt vmcnt(0)
	ds_write2_b64 v90, v[65:66], v[67:68] offset0:62 offset1:63
	ds_write2_b64 v90, v[61:62], v[63:64] offset0:64 offset1:65
	;; [unrolled: 1-line block ×18, first 2 shown]
.LBB96_375:
	s_or_b64 exec, exec, s[0:1]
	v_cmp_lt_i32_e32 vcc, 17, v92
	s_waitcnt vmcnt(0) lgkmcnt(0)
	s_barrier
	s_and_saveexec_b64 s[0:1], vcc
	s_cbranch_execz .LBB96_377
; %bb.376:
	buffer_load_dword v97, off, s[24:27], 0 offset:112 ; 4-byte Folded Reload
	buffer_load_dword v98, off, s[24:27], 0 offset:116 ; 4-byte Folded Reload
	;; [unrolled: 1-line block ×4, first 2 shown]
	s_waitcnt vmcnt(0)
	v_mul_f64 v[93:94], v[119:120], v[99:100]
	v_fma_f64 v[125:126], v[117:118], v[97:98], -v[93:94]
	v_mul_f64 v[93:94], v[117:118], v[99:100]
	v_fma_f64 v[99:100], v[119:120], v[97:98], v[93:94]
	ds_read2_b64 v[93:96], v90 offset0:36 offset1:37
	buffer_load_dword v65, off, s[24:27], 0 offset:96 ; 4-byte Folded Reload
	buffer_load_dword v66, off, s[24:27], 0 offset:100 ; 4-byte Folded Reload
	buffer_load_dword v67, off, s[24:27], 0 offset:104 ; 4-byte Folded Reload
	buffer_load_dword v68, off, s[24:27], 0 offset:108 ; 4-byte Folded Reload
	s_waitcnt lgkmcnt(0)
	v_mul_f64 v[97:98], v[95:96], v[99:100]
	v_fma_f64 v[97:98], v[93:94], v[125:126], -v[97:98]
	v_mul_f64 v[93:94], v[93:94], v[99:100]
	v_fma_f64 v[93:94], v[95:96], v[125:126], v[93:94]
	s_waitcnt vmcnt(2)
	v_add_f64 v[65:66], v[65:66], -v[97:98]
	s_waitcnt vmcnt(0)
	v_add_f64 v[67:68], v[67:68], -v[93:94]
	buffer_store_dword v65, off, s[24:27], 0 offset:96 ; 4-byte Folded Spill
	s_nop 0
	buffer_store_dword v66, off, s[24:27], 0 offset:100 ; 4-byte Folded Spill
	buffer_store_dword v67, off, s[24:27], 0 offset:104 ; 4-byte Folded Spill
	buffer_store_dword v68, off, s[24:27], 0 offset:108 ; 4-byte Folded Spill
	ds_read2_b64 v[93:96], v90 offset0:38 offset1:39
	buffer_load_dword v65, off, s[24:27], 0 offset:80 ; 4-byte Folded Reload
	buffer_load_dword v66, off, s[24:27], 0 offset:84 ; 4-byte Folded Reload
	buffer_load_dword v67, off, s[24:27], 0 offset:88 ; 4-byte Folded Reload
	buffer_load_dword v68, off, s[24:27], 0 offset:92 ; 4-byte Folded Reload
	s_waitcnt lgkmcnt(0)
	v_mul_f64 v[97:98], v[95:96], v[99:100]
	v_fma_f64 v[97:98], v[93:94], v[125:126], -v[97:98]
	v_mul_f64 v[93:94], v[93:94], v[99:100]
	v_fma_f64 v[93:94], v[95:96], v[125:126], v[93:94]
	s_waitcnt vmcnt(2)
	v_add_f64 v[65:66], v[65:66], -v[97:98]
	s_waitcnt vmcnt(0)
	v_add_f64 v[67:68], v[67:68], -v[93:94]
	buffer_store_dword v65, off, s[24:27], 0 offset:80 ; 4-byte Folded Spill
	s_nop 0
	buffer_store_dword v66, off, s[24:27], 0 offset:84 ; 4-byte Folded Spill
	buffer_store_dword v67, off, s[24:27], 0 offset:88 ; 4-byte Folded Spill
	buffer_store_dword v68, off, s[24:27], 0 offset:92 ; 4-byte Folded Spill
	;; [unrolled: 19-line block ×6, first 2 shown]
	ds_read2_b64 v[93:96], v90 offset0:48 offset1:49
	s_waitcnt lgkmcnt(0)
	v_mul_f64 v[97:98], v[95:96], v[99:100]
	v_fma_f64 v[97:98], v[93:94], v[125:126], -v[97:98]
	v_mul_f64 v[93:94], v[93:94], v[99:100]
	v_add_f64 v[85:86], v[85:86], -v[97:98]
	v_fma_f64 v[93:94], v[95:96], v[125:126], v[93:94]
	v_add_f64 v[87:88], v[87:88], -v[93:94]
	ds_read2_b64 v[93:96], v90 offset0:50 offset1:51
	s_waitcnt lgkmcnt(0)
	v_mul_f64 v[97:98], v[95:96], v[99:100]
	v_fma_f64 v[97:98], v[93:94], v[125:126], -v[97:98]
	v_mul_f64 v[93:94], v[93:94], v[99:100]
	v_add_f64 v[107:108], v[107:108], -v[97:98]
	v_fma_f64 v[93:94], v[95:96], v[125:126], v[93:94]
	v_add_f64 v[109:110], v[109:110], -v[93:94]
	;; [unrolled: 8-line block ×7, first 2 shown]
	ds_read2_b64 v[93:96], v90 offset0:62 offset1:63
	buffer_load_dword v65, off, s[24:27], 0 ; 4-byte Folded Reload
	buffer_load_dword v66, off, s[24:27], 0 offset:4 ; 4-byte Folded Reload
	buffer_load_dword v67, off, s[24:27], 0 offset:8 ; 4-byte Folded Reload
	;; [unrolled: 1-line block ×3, first 2 shown]
	s_waitcnt lgkmcnt(0)
	v_mul_f64 v[97:98], v[95:96], v[99:100]
	v_fma_f64 v[97:98], v[93:94], v[125:126], -v[97:98]
	v_mul_f64 v[93:94], v[93:94], v[99:100]
	v_fma_f64 v[93:94], v[95:96], v[125:126], v[93:94]
	s_waitcnt vmcnt(2)
	v_add_f64 v[65:66], v[65:66], -v[97:98]
	s_waitcnt vmcnt(0)
	v_add_f64 v[67:68], v[67:68], -v[93:94]
	buffer_store_dword v65, off, s[24:27], 0 ; 4-byte Folded Spill
	s_nop 0
	buffer_store_dword v66, off, s[24:27], 0 offset:4 ; 4-byte Folded Spill
	buffer_store_dword v67, off, s[24:27], 0 offset:8 ; 4-byte Folded Spill
	;; [unrolled: 1-line block ×3, first 2 shown]
	ds_read2_b64 v[93:96], v90 offset0:64 offset1:65
	s_waitcnt lgkmcnt(0)
	v_mul_f64 v[97:98], v[95:96], v[99:100]
	v_fma_f64 v[97:98], v[93:94], v[125:126], -v[97:98]
	v_mul_f64 v[93:94], v[93:94], v[99:100]
	v_add_f64 v[61:62], v[61:62], -v[97:98]
	v_fma_f64 v[93:94], v[95:96], v[125:126], v[93:94]
	v_add_f64 v[63:64], v[63:64], -v[93:94]
	ds_read2_b64 v[93:96], v90 offset0:66 offset1:67
	s_waitcnt lgkmcnt(0)
	v_mul_f64 v[97:98], v[95:96], v[99:100]
	v_fma_f64 v[97:98], v[93:94], v[125:126], -v[97:98]
	v_mul_f64 v[93:94], v[93:94], v[99:100]
	v_add_f64 v[57:58], v[57:58], -v[97:98]
	v_fma_f64 v[93:94], v[95:96], v[125:126], v[93:94]
	v_add_f64 v[59:60], v[59:60], -v[93:94]
	;; [unrolled: 8-line block ×16, first 2 shown]
	ds_read2_b64 v[93:96], v90 offset0:96 offset1:97
	s_waitcnt lgkmcnt(0)
	v_mul_f64 v[97:98], v[95:96], v[99:100]
	v_fma_f64 v[97:98], v[93:94], v[125:126], -v[97:98]
	v_mul_f64 v[93:94], v[93:94], v[99:100]
	v_add_f64 v[121:122], v[121:122], -v[97:98]
	v_fma_f64 v[93:94], v[95:96], v[125:126], v[93:94]
	v_mov_b32_e32 v97, v125
	v_mov_b32_e32 v98, v126
	buffer_store_dword v97, off, s[24:27], 0 offset:112 ; 4-byte Folded Spill
	s_nop 0
	buffer_store_dword v98, off, s[24:27], 0 offset:116 ; 4-byte Folded Spill
	buffer_store_dword v99, off, s[24:27], 0 offset:120 ; 4-byte Folded Spill
	;; [unrolled: 1-line block ×3, first 2 shown]
	v_add_f64 v[123:124], v[123:124], -v[93:94]
.LBB96_377:
	s_or_b64 exec, exec, s[0:1]
	s_waitcnt vmcnt(0)
	s_barrier
	buffer_load_dword v65, off, s[24:27], 0 offset:96 ; 4-byte Folded Reload
	buffer_load_dword v66, off, s[24:27], 0 offset:100 ; 4-byte Folded Reload
	;; [unrolled: 1-line block ×4, first 2 shown]
	v_lshl_add_u32 v93, v92, 4, v90
	s_cmp_lt_i32 s3, 20
	s_waitcnt vmcnt(0)
	ds_write2_b64 v93, v[65:66], v[67:68] offset1:1
	s_waitcnt lgkmcnt(0)
	s_barrier
	ds_read2_b64 v[117:120], v90 offset0:36 offset1:37
	v_mov_b32_e32 v93, 18
	s_cbranch_scc1 .LBB96_380
; %bb.378:
	v_add_u32_e32 v94, 0x130, v90
	s_mov_b32 s0, 19
	v_mov_b32_e32 v93, 18
.LBB96_379:                             ; =>This Inner Loop Header: Depth=1
	s_waitcnt lgkmcnt(0)
	v_cmp_gt_f64_e32 vcc, 0, v[117:118]
	v_xor_b32_e32 v99, 0x80000000, v118
	ds_read2_b64 v[95:98], v94 offset1:1
	v_xor_b32_e32 v101, 0x80000000, v120
	v_add_u32_e32 v94, 16, v94
	s_waitcnt lgkmcnt(0)
	v_xor_b32_e32 v103, 0x80000000, v98
	v_cndmask_b32_e32 v100, v118, v99, vcc
	v_cmp_gt_f64_e32 vcc, 0, v[119:120]
	v_mov_b32_e32 v99, v117
	v_cndmask_b32_e32 v102, v120, v101, vcc
	v_cmp_gt_f64_e32 vcc, 0, v[95:96]
	v_mov_b32_e32 v101, v119
	v_add_f64 v[99:100], v[99:100], v[101:102]
	v_xor_b32_e32 v101, 0x80000000, v96
	v_cndmask_b32_e32 v102, v96, v101, vcc
	v_cmp_gt_f64_e32 vcc, 0, v[97:98]
	v_mov_b32_e32 v101, v95
	v_cndmask_b32_e32 v104, v98, v103, vcc
	v_mov_b32_e32 v103, v97
	v_add_f64 v[101:102], v[101:102], v[103:104]
	v_cmp_lt_f64_e32 vcc, v[99:100], v[101:102]
	v_cndmask_b32_e32 v117, v117, v95, vcc
	v_mov_b32_e32 v95, s0
	s_add_i32 s0, s0, 1
	v_cndmask_b32_e32 v118, v118, v96, vcc
	v_cndmask_b32_e32 v120, v120, v98, vcc
	;; [unrolled: 1-line block ×4, first 2 shown]
	s_cmp_lg_u32 s3, s0
	s_cbranch_scc1 .LBB96_379
.LBB96_380:
	s_waitcnt lgkmcnt(0)
	v_cmp_eq_f64_e32 vcc, 0, v[117:118]
	v_cmp_eq_f64_e64 s[0:1], 0, v[119:120]
	s_and_b64 s[0:1], vcc, s[0:1]
	s_and_saveexec_b64 s[18:19], s[0:1]
	s_xor_b64 s[0:1], exec, s[18:19]
; %bb.381:
	v_cmp_ne_u32_e32 vcc, 0, v91
	v_cndmask_b32_e32 v91, 19, v91, vcc
; %bb.382:
	s_andn2_saveexec_b64 s[0:1], s[0:1]
	s_cbranch_execz .LBB96_388
; %bb.383:
	v_cmp_ngt_f64_e64 s[18:19], |v[117:118]|, |v[119:120]|
	s_and_saveexec_b64 s[20:21], s[18:19]
	s_xor_b64 s[18:19], exec, s[20:21]
	s_cbranch_execz .LBB96_385
; %bb.384:
	v_div_scale_f64 v[94:95], s[20:21], v[119:120], v[119:120], v[117:118]
	v_rcp_f64_e32 v[96:97], v[94:95]
	v_fma_f64 v[98:99], -v[94:95], v[96:97], 1.0
	v_fma_f64 v[96:97], v[96:97], v[98:99], v[96:97]
	v_div_scale_f64 v[98:99], vcc, v[117:118], v[119:120], v[117:118]
	v_fma_f64 v[100:101], -v[94:95], v[96:97], 1.0
	v_fma_f64 v[96:97], v[96:97], v[100:101], v[96:97]
	v_mul_f64 v[100:101], v[98:99], v[96:97]
	v_fma_f64 v[94:95], -v[94:95], v[100:101], v[98:99]
	v_div_fmas_f64 v[94:95], v[94:95], v[96:97], v[100:101]
	v_div_fixup_f64 v[94:95], v[94:95], v[119:120], v[117:118]
	v_fma_f64 v[96:97], v[117:118], v[94:95], v[119:120]
	v_div_scale_f64 v[98:99], s[20:21], v[96:97], v[96:97], 1.0
	v_div_scale_f64 v[104:105], vcc, 1.0, v[96:97], 1.0
	v_rcp_f64_e32 v[100:101], v[98:99]
	v_fma_f64 v[102:103], -v[98:99], v[100:101], 1.0
	v_fma_f64 v[100:101], v[100:101], v[102:103], v[100:101]
	v_fma_f64 v[102:103], -v[98:99], v[100:101], 1.0
	v_fma_f64 v[100:101], v[100:101], v[102:103], v[100:101]
	v_mul_f64 v[102:103], v[104:105], v[100:101]
	v_fma_f64 v[98:99], -v[98:99], v[102:103], v[104:105]
	v_div_fmas_f64 v[98:99], v[98:99], v[100:101], v[102:103]
	v_div_fixup_f64 v[119:120], v[98:99], v[96:97], 1.0
	v_mul_f64 v[117:118], v[94:95], v[119:120]
	v_xor_b32_e32 v120, 0x80000000, v120
.LBB96_385:
	s_andn2_saveexec_b64 s[18:19], s[18:19]
	s_cbranch_execz .LBB96_387
; %bb.386:
	v_div_scale_f64 v[94:95], s[20:21], v[117:118], v[117:118], v[119:120]
	v_rcp_f64_e32 v[96:97], v[94:95]
	v_fma_f64 v[98:99], -v[94:95], v[96:97], 1.0
	v_fma_f64 v[96:97], v[96:97], v[98:99], v[96:97]
	v_div_scale_f64 v[98:99], vcc, v[119:120], v[117:118], v[119:120]
	v_fma_f64 v[100:101], -v[94:95], v[96:97], 1.0
	v_fma_f64 v[96:97], v[96:97], v[100:101], v[96:97]
	v_mul_f64 v[100:101], v[98:99], v[96:97]
	v_fma_f64 v[94:95], -v[94:95], v[100:101], v[98:99]
	v_div_fmas_f64 v[94:95], v[94:95], v[96:97], v[100:101]
	v_div_fixup_f64 v[94:95], v[94:95], v[117:118], v[119:120]
	v_fma_f64 v[96:97], v[119:120], v[94:95], v[117:118]
	v_div_scale_f64 v[98:99], s[20:21], v[96:97], v[96:97], 1.0
	v_div_scale_f64 v[104:105], vcc, 1.0, v[96:97], 1.0
	v_rcp_f64_e32 v[100:101], v[98:99]
	v_fma_f64 v[102:103], -v[98:99], v[100:101], 1.0
	v_fma_f64 v[100:101], v[100:101], v[102:103], v[100:101]
	v_fma_f64 v[102:103], -v[98:99], v[100:101], 1.0
	v_fma_f64 v[100:101], v[100:101], v[102:103], v[100:101]
	v_mul_f64 v[102:103], v[104:105], v[100:101]
	v_fma_f64 v[98:99], -v[98:99], v[102:103], v[104:105]
	v_div_fmas_f64 v[98:99], v[98:99], v[100:101], v[102:103]
	v_div_fixup_f64 v[117:118], v[98:99], v[96:97], 1.0
	v_mul_f64 v[119:120], v[94:95], -v[117:118]
.LBB96_387:
	s_or_b64 exec, exec, s[18:19]
.LBB96_388:
	s_or_b64 exec, exec, s[0:1]
	v_cmp_ne_u32_e32 vcc, v92, v93
	s_and_saveexec_b64 s[0:1], vcc
	s_xor_b64 s[0:1], exec, s[0:1]
	s_cbranch_execz .LBB96_394
; %bb.389:
	v_cmp_eq_u32_e32 vcc, 18, v92
	s_and_saveexec_b64 s[18:19], vcc
	s_cbranch_execz .LBB96_393
; %bb.390:
	v_cmp_ne_u32_e32 vcc, 18, v93
	s_xor_b64 s[20:21], s[6:7], -1
	s_and_b64 s[22:23], s[20:21], vcc
	s_and_saveexec_b64 s[20:21], s[22:23]
	s_cbranch_execz .LBB96_392
; %bb.391:
	v_mov_b32_e32 v65, v85
	v_mov_b32_e32 v66, v86
	;; [unrolled: 1-line block ×4, first 2 shown]
	buffer_load_dword v85, off, s[24:27], 0 offset:352 ; 4-byte Folded Reload
	buffer_load_dword v86, off, s[24:27], 0 offset:356 ; 4-byte Folded Reload
	v_ashrrev_i32_e32 v94, 31, v93
	v_lshlrev_b64 v[94:95], 2, v[93:94]
	s_waitcnt vmcnt(1)
	v_add_co_u32_e32 v94, vcc, v85, v94
	s_waitcnt vmcnt(0)
	v_addc_co_u32_e32 v95, vcc, v86, v95, vcc
	global_load_dword v0, v[94:95], off
	global_load_dword v92, v[85:86], off offset:72
	s_waitcnt vmcnt(1)
	global_store_dword v[85:86], v0, off offset:72
	v_mov_b32_e32 v88, v68
	v_mov_b32_e32 v87, v67
	v_mov_b32_e32 v86, v66
	v_mov_b32_e32 v85, v65
	s_waitcnt vmcnt(1)
	global_store_dword v[94:95], v92, off
.LBB96_392:
	s_or_b64 exec, exec, s[20:21]
	v_mov_b32_e32 v92, v93
	v_mov_b32_e32 v0, v93
.LBB96_393:
	s_or_b64 exec, exec, s[18:19]
.LBB96_394:
	s_andn2_saveexec_b64 s[0:1], s[0:1]
	s_cbranch_execz .LBB96_396
; %bb.395:
	buffer_load_dword v65, off, s[24:27], 0 offset:80 ; 4-byte Folded Reload
	buffer_load_dword v66, off, s[24:27], 0 offset:84 ; 4-byte Folded Reload
	;; [unrolled: 1-line block ×4, first 2 shown]
	v_mov_b32_e32 v92, 18
	s_waitcnt vmcnt(0)
	ds_write2_b64 v90, v[65:66], v[67:68] offset0:38 offset1:39
	buffer_load_dword v65, off, s[24:27], 0 offset:64 ; 4-byte Folded Reload
	buffer_load_dword v66, off, s[24:27], 0 offset:68 ; 4-byte Folded Reload
	buffer_load_dword v67, off, s[24:27], 0 offset:72 ; 4-byte Folded Reload
	buffer_load_dword v68, off, s[24:27], 0 offset:76 ; 4-byte Folded Reload
	s_waitcnt vmcnt(0)
	ds_write2_b64 v90, v[65:66], v[67:68] offset0:40 offset1:41
	buffer_load_dword v65, off, s[24:27], 0 offset:48 ; 4-byte Folded Reload
	buffer_load_dword v66, off, s[24:27], 0 offset:52 ; 4-byte Folded Reload
	buffer_load_dword v67, off, s[24:27], 0 offset:56 ; 4-byte Folded Reload
	buffer_load_dword v68, off, s[24:27], 0 offset:60 ; 4-byte Folded Reload
	;; [unrolled: 6-line block ×4, first 2 shown]
	s_waitcnt vmcnt(0)
	ds_write2_b64 v90, v[65:66], v[67:68] offset0:46 offset1:47
	ds_write2_b64 v90, v[85:86], v[87:88] offset0:48 offset1:49
	ds_write2_b64 v90, v[107:108], v[109:110] offset0:50 offset1:51
	ds_write2_b64 v90, v[113:114], v[115:116] offset0:52 offset1:53
	ds_write2_b64 v90, v[81:82], v[83:84] offset0:54 offset1:55
	ds_write2_b64 v90, v[77:78], v[79:80] offset0:56 offset1:57
	ds_write2_b64 v90, v[73:74], v[75:76] offset0:58 offset1:59
	ds_write2_b64 v90, v[69:70], v[71:72] offset0:60 offset1:61
	buffer_load_dword v65, off, s[24:27], 0 ; 4-byte Folded Reload
	buffer_load_dword v66, off, s[24:27], 0 offset:4 ; 4-byte Folded Reload
	buffer_load_dword v67, off, s[24:27], 0 offset:8 ; 4-byte Folded Reload
	;; [unrolled: 1-line block ×3, first 2 shown]
	s_waitcnt vmcnt(0)
	ds_write2_b64 v90, v[65:66], v[67:68] offset0:62 offset1:63
	ds_write2_b64 v90, v[61:62], v[63:64] offset0:64 offset1:65
	;; [unrolled: 1-line block ×18, first 2 shown]
.LBB96_396:
	s_or_b64 exec, exec, s[0:1]
	v_cmp_lt_i32_e32 vcc, 18, v92
	s_waitcnt vmcnt(0) lgkmcnt(0)
	s_barrier
	s_and_saveexec_b64 s[0:1], vcc
	s_cbranch_execz .LBB96_398
; %bb.397:
	buffer_load_dword v103, off, s[24:27], 0 offset:96 ; 4-byte Folded Reload
	buffer_load_dword v104, off, s[24:27], 0 offset:100 ; 4-byte Folded Reload
	;; [unrolled: 1-line block ×4, first 2 shown]
	v_mov_b32_e32 v102, v88
	v_mov_b32_e32 v101, v87
	;; [unrolled: 1-line block ×8, first 2 shown]
	s_waitcnt vmcnt(0)
	v_mul_f64 v[93:94], v[119:120], v[105:106]
	v_fma_f64 v[109:110], v[117:118], v[103:104], -v[93:94]
	v_mul_f64 v[93:94], v[117:118], v[105:106]
	v_fma_f64 v[105:106], v[119:120], v[103:104], v[93:94]
	ds_read2_b64 v[93:96], v90 offset0:38 offset1:39
	buffer_load_dword v65, off, s[24:27], 0 offset:80 ; 4-byte Folded Reload
	buffer_load_dword v66, off, s[24:27], 0 offset:84 ; 4-byte Folded Reload
	;; [unrolled: 1-line block ×4, first 2 shown]
	v_mov_b32_e32 v103, v109
	v_mov_b32_e32 v104, v110
	s_waitcnt lgkmcnt(0)
	v_mul_f64 v[97:98], v[95:96], v[105:106]
	v_fma_f64 v[97:98], v[93:94], v[109:110], -v[97:98]
	v_mul_f64 v[93:94], v[93:94], v[105:106]
	v_fma_f64 v[93:94], v[95:96], v[109:110], v[93:94]
	s_waitcnt vmcnt(2)
	v_add_f64 v[65:66], v[65:66], -v[97:98]
	s_waitcnt vmcnt(0)
	v_add_f64 v[67:68], v[67:68], -v[93:94]
	buffer_store_dword v65, off, s[24:27], 0 offset:80 ; 4-byte Folded Spill
	s_nop 0
	buffer_store_dword v66, off, s[24:27], 0 offset:84 ; 4-byte Folded Spill
	buffer_store_dword v67, off, s[24:27], 0 offset:88 ; 4-byte Folded Spill
	buffer_store_dword v68, off, s[24:27], 0 offset:92 ; 4-byte Folded Spill
	ds_read2_b64 v[93:96], v90 offset0:40 offset1:41
	buffer_load_dword v65, off, s[24:27], 0 offset:64 ; 4-byte Folded Reload
	buffer_load_dword v66, off, s[24:27], 0 offset:68 ; 4-byte Folded Reload
	buffer_load_dword v67, off, s[24:27], 0 offset:72 ; 4-byte Folded Reload
	buffer_load_dword v68, off, s[24:27], 0 offset:76 ; 4-byte Folded Reload
	s_waitcnt lgkmcnt(0)
	v_mul_f64 v[97:98], v[95:96], v[105:106]
	v_fma_f64 v[97:98], v[93:94], v[109:110], -v[97:98]
	v_mul_f64 v[93:94], v[93:94], v[105:106]
	v_fma_f64 v[93:94], v[95:96], v[109:110], v[93:94]
	s_waitcnt vmcnt(2)
	v_add_f64 v[65:66], v[65:66], -v[97:98]
	s_waitcnt vmcnt(0)
	v_add_f64 v[67:68], v[67:68], -v[93:94]
	buffer_store_dword v65, off, s[24:27], 0 offset:64 ; 4-byte Folded Spill
	s_nop 0
	buffer_store_dword v66, off, s[24:27], 0 offset:68 ; 4-byte Folded Spill
	buffer_store_dword v67, off, s[24:27], 0 offset:72 ; 4-byte Folded Spill
	buffer_store_dword v68, off, s[24:27], 0 offset:76 ; 4-byte Folded Spill
	ds_read2_b64 v[93:96], v90 offset0:42 offset1:43
	buffer_load_dword v65, off, s[24:27], 0 offset:48 ; 4-byte Folded Reload
	buffer_load_dword v66, off, s[24:27], 0 offset:52 ; 4-byte Folded Reload
	buffer_load_dword v67, off, s[24:27], 0 offset:56 ; 4-byte Folded Reload
	buffer_load_dword v68, off, s[24:27], 0 offset:60 ; 4-byte Folded Reload
	;; [unrolled: 19-line block ×4, first 2 shown]
	s_waitcnt lgkmcnt(0)
	v_mul_f64 v[97:98], v[95:96], v[105:106]
	v_fma_f64 v[97:98], v[93:94], v[109:110], -v[97:98]
	v_mul_f64 v[93:94], v[93:94], v[105:106]
	v_fma_f64 v[93:94], v[95:96], v[109:110], v[93:94]
	s_waitcnt vmcnt(2)
	v_add_f64 v[65:66], v[65:66], -v[97:98]
	s_waitcnt vmcnt(0)
	v_add_f64 v[67:68], v[67:68], -v[93:94]
	buffer_store_dword v65, off, s[24:27], 0 offset:16 ; 4-byte Folded Spill
	s_nop 0
	buffer_store_dword v66, off, s[24:27], 0 offset:20 ; 4-byte Folded Spill
	buffer_store_dword v67, off, s[24:27], 0 offset:24 ; 4-byte Folded Spill
	;; [unrolled: 1-line block ×3, first 2 shown]
	ds_read2_b64 v[93:96], v90 offset0:48 offset1:49
	s_waitcnt lgkmcnt(0)
	v_mul_f64 v[97:98], v[95:96], v[105:106]
	v_fma_f64 v[97:98], v[93:94], v[109:110], -v[97:98]
	v_mul_f64 v[93:94], v[93:94], v[105:106]
	v_add_f64 v[99:100], v[99:100], -v[97:98]
	v_fma_f64 v[93:94], v[95:96], v[109:110], v[93:94]
	v_add_f64 v[101:102], v[101:102], -v[93:94]
	ds_read2_b64 v[93:96], v90 offset0:50 offset1:51
	s_waitcnt lgkmcnt(0)
	v_mul_f64 v[97:98], v[95:96], v[105:106]
	v_fma_f64 v[97:98], v[93:94], v[109:110], -v[97:98]
	v_mul_f64 v[93:94], v[93:94], v[105:106]
	v_add_f64 v[85:86], v[85:86], -v[97:98]
	v_fma_f64 v[93:94], v[95:96], v[109:110], v[93:94]
	v_add_f64 v[87:88], v[87:88], -v[93:94]
	ds_read2_b64 v[93:96], v90 offset0:52 offset1:53
	s_waitcnt lgkmcnt(0)
	v_mul_f64 v[97:98], v[95:96], v[105:106]
	v_fma_f64 v[97:98], v[93:94], v[109:110], -v[97:98]
	v_mul_f64 v[93:94], v[93:94], v[105:106]
	v_add_f64 v[113:114], v[113:114], -v[97:98]
	v_fma_f64 v[93:94], v[95:96], v[109:110], v[93:94]
	v_add_f64 v[115:116], v[115:116], -v[93:94]
	ds_read2_b64 v[93:96], v90 offset0:54 offset1:55
	s_waitcnt lgkmcnt(0)
	v_mul_f64 v[97:98], v[95:96], v[105:106]
	v_fma_f64 v[97:98], v[93:94], v[109:110], -v[97:98]
	v_mul_f64 v[93:94], v[93:94], v[105:106]
	v_add_f64 v[81:82], v[81:82], -v[97:98]
	v_fma_f64 v[93:94], v[95:96], v[109:110], v[93:94]
	v_add_f64 v[83:84], v[83:84], -v[93:94]
	ds_read2_b64 v[93:96], v90 offset0:56 offset1:57
	s_waitcnt lgkmcnt(0)
	v_mul_f64 v[97:98], v[95:96], v[105:106]
	v_fma_f64 v[97:98], v[93:94], v[109:110], -v[97:98]
	v_mul_f64 v[93:94], v[93:94], v[105:106]
	v_add_f64 v[77:78], v[77:78], -v[97:98]
	v_fma_f64 v[93:94], v[95:96], v[109:110], v[93:94]
	v_add_f64 v[79:80], v[79:80], -v[93:94]
	ds_read2_b64 v[93:96], v90 offset0:58 offset1:59
	s_waitcnt lgkmcnt(0)
	v_mul_f64 v[97:98], v[95:96], v[105:106]
	v_fma_f64 v[97:98], v[93:94], v[109:110], -v[97:98]
	v_mul_f64 v[93:94], v[93:94], v[105:106]
	v_add_f64 v[73:74], v[73:74], -v[97:98]
	v_fma_f64 v[93:94], v[95:96], v[109:110], v[93:94]
	v_add_f64 v[75:76], v[75:76], -v[93:94]
	ds_read2_b64 v[93:96], v90 offset0:60 offset1:61
	s_waitcnt lgkmcnt(0)
	v_mul_f64 v[97:98], v[95:96], v[105:106]
	v_fma_f64 v[97:98], v[93:94], v[109:110], -v[97:98]
	v_mul_f64 v[93:94], v[93:94], v[105:106]
	v_add_f64 v[69:70], v[69:70], -v[97:98]
	v_fma_f64 v[93:94], v[95:96], v[109:110], v[93:94]
	v_add_f64 v[71:72], v[71:72], -v[93:94]
	ds_read2_b64 v[93:96], v90 offset0:62 offset1:63
	buffer_load_dword v65, off, s[24:27], 0 ; 4-byte Folded Reload
	buffer_load_dword v66, off, s[24:27], 0 offset:4 ; 4-byte Folded Reload
	buffer_load_dword v67, off, s[24:27], 0 offset:8 ; 4-byte Folded Reload
	;; [unrolled: 1-line block ×3, first 2 shown]
	s_waitcnt lgkmcnt(0)
	v_mul_f64 v[97:98], v[95:96], v[105:106]
	v_fma_f64 v[97:98], v[93:94], v[109:110], -v[97:98]
	v_mul_f64 v[93:94], v[93:94], v[105:106]
	v_fma_f64 v[93:94], v[95:96], v[109:110], v[93:94]
	s_waitcnt vmcnt(2)
	v_add_f64 v[65:66], v[65:66], -v[97:98]
	s_waitcnt vmcnt(0)
	v_add_f64 v[67:68], v[67:68], -v[93:94]
	buffer_store_dword v65, off, s[24:27], 0 ; 4-byte Folded Spill
	s_nop 0
	buffer_store_dword v66, off, s[24:27], 0 offset:4 ; 4-byte Folded Spill
	buffer_store_dword v67, off, s[24:27], 0 offset:8 ; 4-byte Folded Spill
	;; [unrolled: 1-line block ×3, first 2 shown]
	ds_read2_b64 v[93:96], v90 offset0:64 offset1:65
	s_waitcnt lgkmcnt(0)
	v_mul_f64 v[97:98], v[95:96], v[105:106]
	v_fma_f64 v[97:98], v[93:94], v[109:110], -v[97:98]
	v_mul_f64 v[93:94], v[93:94], v[105:106]
	v_add_f64 v[61:62], v[61:62], -v[97:98]
	v_fma_f64 v[93:94], v[95:96], v[109:110], v[93:94]
	v_add_f64 v[63:64], v[63:64], -v[93:94]
	ds_read2_b64 v[93:96], v90 offset0:66 offset1:67
	s_waitcnt lgkmcnt(0)
	v_mul_f64 v[97:98], v[95:96], v[105:106]
	v_fma_f64 v[97:98], v[93:94], v[109:110], -v[97:98]
	v_mul_f64 v[93:94], v[93:94], v[105:106]
	v_add_f64 v[57:58], v[57:58], -v[97:98]
	v_fma_f64 v[93:94], v[95:96], v[109:110], v[93:94]
	v_add_f64 v[59:60], v[59:60], -v[93:94]
	;; [unrolled: 8-line block ×16, first 2 shown]
	ds_read2_b64 v[93:96], v90 offset0:96 offset1:97
	s_waitcnt lgkmcnt(0)
	v_mul_f64 v[97:98], v[95:96], v[105:106]
	v_fma_f64 v[97:98], v[93:94], v[109:110], -v[97:98]
	v_mul_f64 v[93:94], v[93:94], v[105:106]
	buffer_store_dword v103, off, s[24:27], 0 offset:96 ; 4-byte Folded Spill
	s_nop 0
	buffer_store_dword v104, off, s[24:27], 0 offset:100 ; 4-byte Folded Spill
	buffer_store_dword v105, off, s[24:27], 0 offset:104 ; 4-byte Folded Spill
	;; [unrolled: 1-line block ×3, first 2 shown]
	v_add_f64 v[121:122], v[121:122], -v[97:98]
	v_fma_f64 v[93:94], v[95:96], v[109:110], v[93:94]
	v_mov_b32_e32 v110, v88
	v_mov_b32_e32 v109, v87
	;; [unrolled: 1-line block ×7, first 2 shown]
	v_add_f64 v[123:124], v[123:124], -v[93:94]
	v_mov_b32_e32 v88, v102
.LBB96_398:
	s_or_b64 exec, exec, s[0:1]
	s_waitcnt vmcnt(0)
	s_barrier
	buffer_load_dword v65, off, s[24:27], 0 offset:80 ; 4-byte Folded Reload
	buffer_load_dword v66, off, s[24:27], 0 offset:84 ; 4-byte Folded Reload
	;; [unrolled: 1-line block ×4, first 2 shown]
	v_lshl_add_u32 v93, v92, 4, v90
	s_cmp_lt_i32 s3, 21
	s_waitcnt vmcnt(0)
	ds_write2_b64 v93, v[65:66], v[67:68] offset1:1
	s_waitcnt lgkmcnt(0)
	s_barrier
	ds_read2_b64 v[117:120], v90 offset0:38 offset1:39
	v_mov_b32_e32 v93, 19
	s_cbranch_scc1 .LBB96_401
; %bb.399:
	v_add_u32_e32 v94, 0x140, v90
	s_mov_b32 s0, 20
	v_mov_b32_e32 v93, 19
.LBB96_400:                             ; =>This Inner Loop Header: Depth=1
	s_waitcnt lgkmcnt(0)
	v_cmp_gt_f64_e32 vcc, 0, v[117:118]
	v_xor_b32_e32 v99, 0x80000000, v118
	ds_read2_b64 v[95:98], v94 offset1:1
	v_xor_b32_e32 v101, 0x80000000, v120
	v_add_u32_e32 v94, 16, v94
	s_waitcnt lgkmcnt(0)
	v_xor_b32_e32 v103, 0x80000000, v98
	v_cndmask_b32_e32 v100, v118, v99, vcc
	v_cmp_gt_f64_e32 vcc, 0, v[119:120]
	v_mov_b32_e32 v99, v117
	v_cndmask_b32_e32 v102, v120, v101, vcc
	v_cmp_gt_f64_e32 vcc, 0, v[95:96]
	v_mov_b32_e32 v101, v119
	v_add_f64 v[99:100], v[99:100], v[101:102]
	v_xor_b32_e32 v101, 0x80000000, v96
	v_cndmask_b32_e32 v102, v96, v101, vcc
	v_cmp_gt_f64_e32 vcc, 0, v[97:98]
	v_mov_b32_e32 v101, v95
	v_cndmask_b32_e32 v104, v98, v103, vcc
	v_mov_b32_e32 v103, v97
	v_add_f64 v[101:102], v[101:102], v[103:104]
	v_cmp_lt_f64_e32 vcc, v[99:100], v[101:102]
	v_cndmask_b32_e32 v117, v117, v95, vcc
	v_mov_b32_e32 v95, s0
	s_add_i32 s0, s0, 1
	v_cndmask_b32_e32 v118, v118, v96, vcc
	v_cndmask_b32_e32 v120, v120, v98, vcc
	;; [unrolled: 1-line block ×4, first 2 shown]
	s_cmp_lg_u32 s3, s0
	s_cbranch_scc1 .LBB96_400
.LBB96_401:
	s_waitcnt lgkmcnt(0)
	v_cmp_eq_f64_e32 vcc, 0, v[117:118]
	v_cmp_eq_f64_e64 s[0:1], 0, v[119:120]
	s_and_b64 s[0:1], vcc, s[0:1]
	s_and_saveexec_b64 s[18:19], s[0:1]
	s_xor_b64 s[0:1], exec, s[18:19]
; %bb.402:
	v_cmp_ne_u32_e32 vcc, 0, v91
	v_cndmask_b32_e32 v91, 20, v91, vcc
; %bb.403:
	s_andn2_saveexec_b64 s[0:1], s[0:1]
	s_cbranch_execz .LBB96_409
; %bb.404:
	v_cmp_ngt_f64_e64 s[18:19], |v[117:118]|, |v[119:120]|
	s_and_saveexec_b64 s[20:21], s[18:19]
	s_xor_b64 s[18:19], exec, s[20:21]
	s_cbranch_execz .LBB96_406
; %bb.405:
	v_div_scale_f64 v[94:95], s[20:21], v[119:120], v[119:120], v[117:118]
	v_rcp_f64_e32 v[96:97], v[94:95]
	v_fma_f64 v[98:99], -v[94:95], v[96:97], 1.0
	v_fma_f64 v[96:97], v[96:97], v[98:99], v[96:97]
	v_div_scale_f64 v[98:99], vcc, v[117:118], v[119:120], v[117:118]
	v_fma_f64 v[100:101], -v[94:95], v[96:97], 1.0
	v_fma_f64 v[96:97], v[96:97], v[100:101], v[96:97]
	v_mul_f64 v[100:101], v[98:99], v[96:97]
	v_fma_f64 v[94:95], -v[94:95], v[100:101], v[98:99]
	v_div_fmas_f64 v[94:95], v[94:95], v[96:97], v[100:101]
	v_div_fixup_f64 v[94:95], v[94:95], v[119:120], v[117:118]
	v_fma_f64 v[96:97], v[117:118], v[94:95], v[119:120]
	v_div_scale_f64 v[98:99], s[20:21], v[96:97], v[96:97], 1.0
	v_div_scale_f64 v[104:105], vcc, 1.0, v[96:97], 1.0
	v_rcp_f64_e32 v[100:101], v[98:99]
	v_fma_f64 v[102:103], -v[98:99], v[100:101], 1.0
	v_fma_f64 v[100:101], v[100:101], v[102:103], v[100:101]
	v_fma_f64 v[102:103], -v[98:99], v[100:101], 1.0
	v_fma_f64 v[100:101], v[100:101], v[102:103], v[100:101]
	v_mul_f64 v[102:103], v[104:105], v[100:101]
	v_fma_f64 v[98:99], -v[98:99], v[102:103], v[104:105]
	v_div_fmas_f64 v[98:99], v[98:99], v[100:101], v[102:103]
	v_div_fixup_f64 v[119:120], v[98:99], v[96:97], 1.0
	v_mul_f64 v[117:118], v[94:95], v[119:120]
	v_xor_b32_e32 v120, 0x80000000, v120
.LBB96_406:
	s_andn2_saveexec_b64 s[18:19], s[18:19]
	s_cbranch_execz .LBB96_408
; %bb.407:
	v_div_scale_f64 v[94:95], s[20:21], v[117:118], v[117:118], v[119:120]
	v_rcp_f64_e32 v[96:97], v[94:95]
	v_fma_f64 v[98:99], -v[94:95], v[96:97], 1.0
	v_fma_f64 v[96:97], v[96:97], v[98:99], v[96:97]
	v_div_scale_f64 v[98:99], vcc, v[119:120], v[117:118], v[119:120]
	v_fma_f64 v[100:101], -v[94:95], v[96:97], 1.0
	v_fma_f64 v[96:97], v[96:97], v[100:101], v[96:97]
	v_mul_f64 v[100:101], v[98:99], v[96:97]
	v_fma_f64 v[94:95], -v[94:95], v[100:101], v[98:99]
	v_div_fmas_f64 v[94:95], v[94:95], v[96:97], v[100:101]
	v_div_fixup_f64 v[94:95], v[94:95], v[117:118], v[119:120]
	v_fma_f64 v[96:97], v[119:120], v[94:95], v[117:118]
	v_div_scale_f64 v[98:99], s[20:21], v[96:97], v[96:97], 1.0
	v_div_scale_f64 v[104:105], vcc, 1.0, v[96:97], 1.0
	v_rcp_f64_e32 v[100:101], v[98:99]
	v_fma_f64 v[102:103], -v[98:99], v[100:101], 1.0
	v_fma_f64 v[100:101], v[100:101], v[102:103], v[100:101]
	v_fma_f64 v[102:103], -v[98:99], v[100:101], 1.0
	v_fma_f64 v[100:101], v[100:101], v[102:103], v[100:101]
	v_mul_f64 v[102:103], v[104:105], v[100:101]
	v_fma_f64 v[98:99], -v[98:99], v[102:103], v[104:105]
	v_div_fmas_f64 v[98:99], v[98:99], v[100:101], v[102:103]
	v_div_fixup_f64 v[117:118], v[98:99], v[96:97], 1.0
	v_mul_f64 v[119:120], v[94:95], -v[117:118]
.LBB96_408:
	s_or_b64 exec, exec, s[18:19]
.LBB96_409:
	s_or_b64 exec, exec, s[0:1]
	v_cmp_ne_u32_e32 vcc, v92, v93
	s_and_saveexec_b64 s[0:1], vcc
	s_xor_b64 s[0:1], exec, s[0:1]
	s_cbranch_execz .LBB96_415
; %bb.410:
	v_cmp_eq_u32_e32 vcc, 19, v92
	s_and_saveexec_b64 s[18:19], vcc
	s_cbranch_execz .LBB96_414
; %bb.411:
	v_cmp_ne_u32_e32 vcc, 19, v93
	s_xor_b64 s[20:21], s[6:7], -1
	s_and_b64 s[22:23], s[20:21], vcc
	s_and_saveexec_b64 s[20:21], s[22:23]
	s_cbranch_execz .LBB96_413
; %bb.412:
	v_mov_b32_e32 v65, v85
	v_mov_b32_e32 v66, v86
	;; [unrolled: 1-line block ×4, first 2 shown]
	buffer_load_dword v85, off, s[24:27], 0 offset:352 ; 4-byte Folded Reload
	buffer_load_dword v86, off, s[24:27], 0 offset:356 ; 4-byte Folded Reload
	v_ashrrev_i32_e32 v94, 31, v93
	v_lshlrev_b64 v[94:95], 2, v[93:94]
	s_waitcnt vmcnt(1)
	v_add_co_u32_e32 v94, vcc, v85, v94
	s_waitcnt vmcnt(0)
	v_addc_co_u32_e32 v95, vcc, v86, v95, vcc
	global_load_dword v0, v[94:95], off
	global_load_dword v92, v[85:86], off offset:76
	s_waitcnt vmcnt(1)
	global_store_dword v[85:86], v0, off offset:76
	v_mov_b32_e32 v88, v68
	v_mov_b32_e32 v87, v67
	v_mov_b32_e32 v86, v66
	v_mov_b32_e32 v85, v65
	s_waitcnt vmcnt(1)
	global_store_dword v[94:95], v92, off
.LBB96_413:
	s_or_b64 exec, exec, s[20:21]
	v_mov_b32_e32 v92, v93
	v_mov_b32_e32 v0, v93
.LBB96_414:
	s_or_b64 exec, exec, s[18:19]
.LBB96_415:
	s_andn2_saveexec_b64 s[0:1], s[0:1]
	s_cbranch_execz .LBB96_417
; %bb.416:
	buffer_load_dword v65, off, s[24:27], 0 offset:64 ; 4-byte Folded Reload
	buffer_load_dword v66, off, s[24:27], 0 offset:68 ; 4-byte Folded Reload
	;; [unrolled: 1-line block ×4, first 2 shown]
	v_mov_b32_e32 v92, 19
	s_waitcnt vmcnt(0)
	ds_write2_b64 v90, v[65:66], v[67:68] offset0:40 offset1:41
	buffer_load_dword v65, off, s[24:27], 0 offset:48 ; 4-byte Folded Reload
	buffer_load_dword v66, off, s[24:27], 0 offset:52 ; 4-byte Folded Reload
	buffer_load_dword v67, off, s[24:27], 0 offset:56 ; 4-byte Folded Reload
	buffer_load_dword v68, off, s[24:27], 0 offset:60 ; 4-byte Folded Reload
	s_waitcnt vmcnt(0)
	ds_write2_b64 v90, v[65:66], v[67:68] offset0:42 offset1:43
	buffer_load_dword v65, off, s[24:27], 0 offset:32 ; 4-byte Folded Reload
	buffer_load_dword v66, off, s[24:27], 0 offset:36 ; 4-byte Folded Reload
	buffer_load_dword v67, off, s[24:27], 0 offset:40 ; 4-byte Folded Reload
	buffer_load_dword v68, off, s[24:27], 0 offset:44 ; 4-byte Folded Reload
	;; [unrolled: 6-line block ×3, first 2 shown]
	s_waitcnt vmcnt(0)
	ds_write2_b64 v90, v[65:66], v[67:68] offset0:46 offset1:47
	ds_write2_b64 v90, v[85:86], v[87:88] offset0:48 offset1:49
	;; [unrolled: 1-line block ×8, first 2 shown]
	buffer_load_dword v65, off, s[24:27], 0 ; 4-byte Folded Reload
	buffer_load_dword v66, off, s[24:27], 0 offset:4 ; 4-byte Folded Reload
	buffer_load_dword v67, off, s[24:27], 0 offset:8 ; 4-byte Folded Reload
	;; [unrolled: 1-line block ×3, first 2 shown]
	s_waitcnt vmcnt(0)
	ds_write2_b64 v90, v[65:66], v[67:68] offset0:62 offset1:63
	ds_write2_b64 v90, v[61:62], v[63:64] offset0:64 offset1:65
	;; [unrolled: 1-line block ×18, first 2 shown]
.LBB96_417:
	s_or_b64 exec, exec, s[0:1]
	v_cmp_lt_i32_e32 vcc, 19, v92
	s_waitcnt vmcnt(0) lgkmcnt(0)
	s_barrier
	s_and_saveexec_b64 s[0:1], vcc
	s_cbranch_execz .LBB96_419
; %bb.418:
	buffer_load_dword v99, off, s[24:27], 0 offset:80 ; 4-byte Folded Reload
	buffer_load_dword v100, off, s[24:27], 0 offset:84 ; 4-byte Folded Reload
	;; [unrolled: 1-line block ×4, first 2 shown]
	s_waitcnt vmcnt(0)
	v_mul_f64 v[95:96], v[117:118], v[101:102]
	v_mul_f64 v[93:94], v[119:120], v[101:102]
	v_fma_f64 v[101:102], v[119:120], v[99:100], v[95:96]
	ds_read2_b64 v[95:98], v90 offset0:40 offset1:41
	buffer_load_dword v65, off, s[24:27], 0 offset:64 ; 4-byte Folded Reload
	buffer_load_dword v66, off, s[24:27], 0 offset:68 ; 4-byte Folded Reload
	;; [unrolled: 1-line block ×4, first 2 shown]
	v_fma_f64 v[93:94], v[117:118], v[99:100], -v[93:94]
	s_waitcnt lgkmcnt(0)
	v_mul_f64 v[99:100], v[97:98], v[101:102]
	v_fma_f64 v[99:100], v[95:96], v[93:94], -v[99:100]
	v_mul_f64 v[95:96], v[95:96], v[101:102]
	v_fma_f64 v[95:96], v[97:98], v[93:94], v[95:96]
	s_waitcnt vmcnt(2)
	v_add_f64 v[65:66], v[65:66], -v[99:100]
	s_waitcnt vmcnt(0)
	v_add_f64 v[67:68], v[67:68], -v[95:96]
	buffer_store_dword v65, off, s[24:27], 0 offset:64 ; 4-byte Folded Spill
	s_nop 0
	buffer_store_dword v66, off, s[24:27], 0 offset:68 ; 4-byte Folded Spill
	buffer_store_dword v67, off, s[24:27], 0 offset:72 ; 4-byte Folded Spill
	buffer_store_dword v68, off, s[24:27], 0 offset:76 ; 4-byte Folded Spill
	ds_read2_b64 v[95:98], v90 offset0:42 offset1:43
	buffer_load_dword v65, off, s[24:27], 0 offset:48 ; 4-byte Folded Reload
	buffer_load_dword v66, off, s[24:27], 0 offset:52 ; 4-byte Folded Reload
	buffer_load_dword v67, off, s[24:27], 0 offset:56 ; 4-byte Folded Reload
	buffer_load_dword v68, off, s[24:27], 0 offset:60 ; 4-byte Folded Reload
	s_waitcnt lgkmcnt(0)
	v_mul_f64 v[99:100], v[97:98], v[101:102]
	v_fma_f64 v[99:100], v[95:96], v[93:94], -v[99:100]
	v_mul_f64 v[95:96], v[95:96], v[101:102]
	v_fma_f64 v[95:96], v[97:98], v[93:94], v[95:96]
	s_waitcnt vmcnt(2)
	v_add_f64 v[65:66], v[65:66], -v[99:100]
	s_waitcnt vmcnt(0)
	v_add_f64 v[67:68], v[67:68], -v[95:96]
	buffer_store_dword v65, off, s[24:27], 0 offset:48 ; 4-byte Folded Spill
	s_nop 0
	buffer_store_dword v66, off, s[24:27], 0 offset:52 ; 4-byte Folded Spill
	buffer_store_dword v67, off, s[24:27], 0 offset:56 ; 4-byte Folded Spill
	buffer_store_dword v68, off, s[24:27], 0 offset:60 ; 4-byte Folded Spill
	ds_read2_b64 v[95:98], v90 offset0:44 offset1:45
	buffer_load_dword v65, off, s[24:27], 0 offset:32 ; 4-byte Folded Reload
	buffer_load_dword v66, off, s[24:27], 0 offset:36 ; 4-byte Folded Reload
	buffer_load_dword v67, off, s[24:27], 0 offset:40 ; 4-byte Folded Reload
	buffer_load_dword v68, off, s[24:27], 0 offset:44 ; 4-byte Folded Reload
	;; [unrolled: 19-line block ×3, first 2 shown]
	s_waitcnt lgkmcnt(0)
	v_mul_f64 v[99:100], v[97:98], v[101:102]
	v_fma_f64 v[99:100], v[95:96], v[93:94], -v[99:100]
	v_mul_f64 v[95:96], v[95:96], v[101:102]
	v_fma_f64 v[95:96], v[97:98], v[93:94], v[95:96]
	s_waitcnt vmcnt(2)
	v_add_f64 v[65:66], v[65:66], -v[99:100]
	s_waitcnt vmcnt(0)
	v_add_f64 v[67:68], v[67:68], -v[95:96]
	buffer_store_dword v65, off, s[24:27], 0 offset:16 ; 4-byte Folded Spill
	s_nop 0
	buffer_store_dword v66, off, s[24:27], 0 offset:20 ; 4-byte Folded Spill
	buffer_store_dword v67, off, s[24:27], 0 offset:24 ; 4-byte Folded Spill
	;; [unrolled: 1-line block ×3, first 2 shown]
	ds_read2_b64 v[95:98], v90 offset0:48 offset1:49
	s_waitcnt lgkmcnt(0)
	v_mul_f64 v[99:100], v[97:98], v[101:102]
	v_fma_f64 v[99:100], v[95:96], v[93:94], -v[99:100]
	v_mul_f64 v[95:96], v[95:96], v[101:102]
	v_add_f64 v[85:86], v[85:86], -v[99:100]
	v_fma_f64 v[95:96], v[97:98], v[93:94], v[95:96]
	v_add_f64 v[87:88], v[87:88], -v[95:96]
	ds_read2_b64 v[95:98], v90 offset0:50 offset1:51
	s_waitcnt lgkmcnt(0)
	v_mul_f64 v[99:100], v[97:98], v[101:102]
	v_fma_f64 v[99:100], v[95:96], v[93:94], -v[99:100]
	v_mul_f64 v[95:96], v[95:96], v[101:102]
	v_add_f64 v[107:108], v[107:108], -v[99:100]
	v_fma_f64 v[95:96], v[97:98], v[93:94], v[95:96]
	v_add_f64 v[109:110], v[109:110], -v[95:96]
	;; [unrolled: 8-line block ×7, first 2 shown]
	ds_read2_b64 v[95:98], v90 offset0:62 offset1:63
	buffer_load_dword v65, off, s[24:27], 0 ; 4-byte Folded Reload
	buffer_load_dword v66, off, s[24:27], 0 offset:4 ; 4-byte Folded Reload
	buffer_load_dword v67, off, s[24:27], 0 offset:8 ; 4-byte Folded Reload
	;; [unrolled: 1-line block ×3, first 2 shown]
	s_waitcnt lgkmcnt(0)
	v_mul_f64 v[99:100], v[97:98], v[101:102]
	v_fma_f64 v[99:100], v[95:96], v[93:94], -v[99:100]
	v_mul_f64 v[95:96], v[95:96], v[101:102]
	v_fma_f64 v[95:96], v[97:98], v[93:94], v[95:96]
	s_waitcnt vmcnt(2)
	v_add_f64 v[65:66], v[65:66], -v[99:100]
	s_waitcnt vmcnt(0)
	v_add_f64 v[67:68], v[67:68], -v[95:96]
	buffer_store_dword v65, off, s[24:27], 0 ; 4-byte Folded Spill
	s_nop 0
	buffer_store_dword v66, off, s[24:27], 0 offset:4 ; 4-byte Folded Spill
	buffer_store_dword v67, off, s[24:27], 0 offset:8 ; 4-byte Folded Spill
	;; [unrolled: 1-line block ×3, first 2 shown]
	ds_read2_b64 v[95:98], v90 offset0:64 offset1:65
	s_waitcnt lgkmcnt(0)
	v_mul_f64 v[99:100], v[97:98], v[101:102]
	v_fma_f64 v[99:100], v[95:96], v[93:94], -v[99:100]
	v_mul_f64 v[95:96], v[95:96], v[101:102]
	v_add_f64 v[61:62], v[61:62], -v[99:100]
	v_fma_f64 v[95:96], v[97:98], v[93:94], v[95:96]
	v_add_f64 v[63:64], v[63:64], -v[95:96]
	ds_read2_b64 v[95:98], v90 offset0:66 offset1:67
	s_waitcnt lgkmcnt(0)
	v_mul_f64 v[99:100], v[97:98], v[101:102]
	v_fma_f64 v[99:100], v[95:96], v[93:94], -v[99:100]
	v_mul_f64 v[95:96], v[95:96], v[101:102]
	v_add_f64 v[57:58], v[57:58], -v[99:100]
	v_fma_f64 v[95:96], v[97:98], v[93:94], v[95:96]
	v_add_f64 v[59:60], v[59:60], -v[95:96]
	ds_read2_b64 v[95:98], v90 offset0:68 offset1:69
	s_waitcnt lgkmcnt(0)
	v_mul_f64 v[99:100], v[97:98], v[101:102]
	v_fma_f64 v[99:100], v[95:96], v[93:94], -v[99:100]
	v_mul_f64 v[95:96], v[95:96], v[101:102]
	v_add_f64 v[53:54], v[53:54], -v[99:100]
	v_fma_f64 v[95:96], v[97:98], v[93:94], v[95:96]
	v_add_f64 v[55:56], v[55:56], -v[95:96]
	ds_read2_b64 v[95:98], v90 offset0:70 offset1:71
	s_waitcnt lgkmcnt(0)
	v_mul_f64 v[99:100], v[97:98], v[101:102]
	v_fma_f64 v[99:100], v[95:96], v[93:94], -v[99:100]
	v_mul_f64 v[95:96], v[95:96], v[101:102]
	v_add_f64 v[49:50], v[49:50], -v[99:100]
	v_fma_f64 v[95:96], v[97:98], v[93:94], v[95:96]
	v_add_f64 v[51:52], v[51:52], -v[95:96]
	ds_read2_b64 v[95:98], v90 offset0:72 offset1:73
	s_waitcnt lgkmcnt(0)
	v_mul_f64 v[99:100], v[97:98], v[101:102]
	v_fma_f64 v[99:100], v[95:96], v[93:94], -v[99:100]
	v_mul_f64 v[95:96], v[95:96], v[101:102]
	v_add_f64 v[45:46], v[45:46], -v[99:100]
	v_fma_f64 v[95:96], v[97:98], v[93:94], v[95:96]
	v_add_f64 v[47:48], v[47:48], -v[95:96]
	ds_read2_b64 v[95:98], v90 offset0:74 offset1:75
	s_waitcnt lgkmcnt(0)
	v_mul_f64 v[99:100], v[97:98], v[101:102]
	v_fma_f64 v[99:100], v[95:96], v[93:94], -v[99:100]
	v_mul_f64 v[95:96], v[95:96], v[101:102]
	v_add_f64 v[41:42], v[41:42], -v[99:100]
	v_fma_f64 v[95:96], v[97:98], v[93:94], v[95:96]
	v_add_f64 v[43:44], v[43:44], -v[95:96]
	ds_read2_b64 v[95:98], v90 offset0:76 offset1:77
	s_waitcnt lgkmcnt(0)
	v_mul_f64 v[99:100], v[97:98], v[101:102]
	v_fma_f64 v[99:100], v[95:96], v[93:94], -v[99:100]
	v_mul_f64 v[95:96], v[95:96], v[101:102]
	v_add_f64 v[37:38], v[37:38], -v[99:100]
	v_fma_f64 v[95:96], v[97:98], v[93:94], v[95:96]
	v_add_f64 v[39:40], v[39:40], -v[95:96]
	ds_read2_b64 v[95:98], v90 offset0:78 offset1:79
	s_waitcnt lgkmcnt(0)
	v_mul_f64 v[99:100], v[97:98], v[101:102]
	v_fma_f64 v[99:100], v[95:96], v[93:94], -v[99:100]
	v_mul_f64 v[95:96], v[95:96], v[101:102]
	v_add_f64 v[33:34], v[33:34], -v[99:100]
	v_fma_f64 v[95:96], v[97:98], v[93:94], v[95:96]
	v_add_f64 v[35:36], v[35:36], -v[95:96]
	ds_read2_b64 v[95:98], v90 offset0:80 offset1:81
	s_waitcnt lgkmcnt(0)
	v_mul_f64 v[99:100], v[97:98], v[101:102]
	v_fma_f64 v[99:100], v[95:96], v[93:94], -v[99:100]
	v_mul_f64 v[95:96], v[95:96], v[101:102]
	v_add_f64 v[29:30], v[29:30], -v[99:100]
	v_fma_f64 v[95:96], v[97:98], v[93:94], v[95:96]
	v_add_f64 v[31:32], v[31:32], -v[95:96]
	ds_read2_b64 v[95:98], v90 offset0:82 offset1:83
	s_waitcnt lgkmcnt(0)
	v_mul_f64 v[99:100], v[97:98], v[101:102]
	v_fma_f64 v[99:100], v[95:96], v[93:94], -v[99:100]
	v_mul_f64 v[95:96], v[95:96], v[101:102]
	v_add_f64 v[25:26], v[25:26], -v[99:100]
	v_fma_f64 v[95:96], v[97:98], v[93:94], v[95:96]
	v_add_f64 v[27:28], v[27:28], -v[95:96]
	ds_read2_b64 v[95:98], v90 offset0:84 offset1:85
	s_waitcnt lgkmcnt(0)
	v_mul_f64 v[99:100], v[97:98], v[101:102]
	v_fma_f64 v[99:100], v[95:96], v[93:94], -v[99:100]
	v_mul_f64 v[95:96], v[95:96], v[101:102]
	v_add_f64 v[21:22], v[21:22], -v[99:100]
	v_fma_f64 v[95:96], v[97:98], v[93:94], v[95:96]
	v_add_f64 v[23:24], v[23:24], -v[95:96]
	ds_read2_b64 v[95:98], v90 offset0:86 offset1:87
	s_waitcnt lgkmcnt(0)
	v_mul_f64 v[99:100], v[97:98], v[101:102]
	v_fma_f64 v[99:100], v[95:96], v[93:94], -v[99:100]
	v_mul_f64 v[95:96], v[95:96], v[101:102]
	v_add_f64 v[17:18], v[17:18], -v[99:100]
	v_fma_f64 v[95:96], v[97:98], v[93:94], v[95:96]
	v_add_f64 v[19:20], v[19:20], -v[95:96]
	ds_read2_b64 v[95:98], v90 offset0:88 offset1:89
	s_waitcnt lgkmcnt(0)
	v_mul_f64 v[99:100], v[97:98], v[101:102]
	v_fma_f64 v[99:100], v[95:96], v[93:94], -v[99:100]
	v_mul_f64 v[95:96], v[95:96], v[101:102]
	v_add_f64 v[13:14], v[13:14], -v[99:100]
	v_fma_f64 v[95:96], v[97:98], v[93:94], v[95:96]
	v_add_f64 v[15:16], v[15:16], -v[95:96]
	ds_read2_b64 v[95:98], v90 offset0:90 offset1:91
	s_waitcnt lgkmcnt(0)
	v_mul_f64 v[99:100], v[97:98], v[101:102]
	v_fma_f64 v[99:100], v[95:96], v[93:94], -v[99:100]
	v_mul_f64 v[95:96], v[95:96], v[101:102]
	v_add_f64 v[9:10], v[9:10], -v[99:100]
	v_fma_f64 v[95:96], v[97:98], v[93:94], v[95:96]
	v_add_f64 v[11:12], v[11:12], -v[95:96]
	ds_read2_b64 v[95:98], v90 offset0:92 offset1:93
	s_waitcnt lgkmcnt(0)
	v_mul_f64 v[99:100], v[97:98], v[101:102]
	v_fma_f64 v[99:100], v[95:96], v[93:94], -v[99:100]
	v_mul_f64 v[95:96], v[95:96], v[101:102]
	v_add_f64 v[5:6], v[5:6], -v[99:100]
	v_fma_f64 v[95:96], v[97:98], v[93:94], v[95:96]
	v_add_f64 v[7:8], v[7:8], -v[95:96]
	ds_read2_b64 v[95:98], v90 offset0:94 offset1:95
	s_waitcnt lgkmcnt(0)
	v_mul_f64 v[99:100], v[97:98], v[101:102]
	v_fma_f64 v[99:100], v[95:96], v[93:94], -v[99:100]
	v_mul_f64 v[95:96], v[95:96], v[101:102]
	v_add_f64 v[1:2], v[1:2], -v[99:100]
	v_fma_f64 v[95:96], v[97:98], v[93:94], v[95:96]
	v_add_f64 v[3:4], v[3:4], -v[95:96]
	ds_read2_b64 v[95:98], v90 offset0:96 offset1:97
	s_waitcnt lgkmcnt(0)
	v_mul_f64 v[99:100], v[97:98], v[101:102]
	v_fma_f64 v[99:100], v[95:96], v[93:94], -v[99:100]
	v_mul_f64 v[95:96], v[95:96], v[101:102]
	v_add_f64 v[121:122], v[121:122], -v[99:100]
	v_fma_f64 v[95:96], v[97:98], v[93:94], v[95:96]
	v_mov_b32_e32 v100, v94
	v_mov_b32_e32 v99, v93
	buffer_store_dword v99, off, s[24:27], 0 offset:80 ; 4-byte Folded Spill
	s_nop 0
	buffer_store_dword v100, off, s[24:27], 0 offset:84 ; 4-byte Folded Spill
	buffer_store_dword v101, off, s[24:27], 0 offset:88 ; 4-byte Folded Spill
	buffer_store_dword v102, off, s[24:27], 0 offset:92 ; 4-byte Folded Spill
	v_add_f64 v[123:124], v[123:124], -v[95:96]
.LBB96_419:
	s_or_b64 exec, exec, s[0:1]
	s_waitcnt vmcnt(0)
	s_barrier
	buffer_load_dword v65, off, s[24:27], 0 offset:64 ; 4-byte Folded Reload
	buffer_load_dword v66, off, s[24:27], 0 offset:68 ; 4-byte Folded Reload
	;; [unrolled: 1-line block ×4, first 2 shown]
	v_lshl_add_u32 v93, v92, 4, v90
	s_cmp_lt_i32 s3, 22
	s_waitcnt vmcnt(0)
	ds_write2_b64 v93, v[65:66], v[67:68] offset1:1
	s_waitcnt lgkmcnt(0)
	s_barrier
	ds_read2_b64 v[117:120], v90 offset0:40 offset1:41
	v_mov_b32_e32 v93, 20
	s_cbranch_scc1 .LBB96_422
; %bb.420:
	v_add_u32_e32 v94, 0x150, v90
	s_mov_b32 s0, 21
	v_mov_b32_e32 v93, 20
.LBB96_421:                             ; =>This Inner Loop Header: Depth=1
	s_waitcnt lgkmcnt(0)
	v_cmp_gt_f64_e32 vcc, 0, v[117:118]
	v_xor_b32_e32 v99, 0x80000000, v118
	ds_read2_b64 v[95:98], v94 offset1:1
	v_xor_b32_e32 v101, 0x80000000, v120
	v_add_u32_e32 v94, 16, v94
	s_waitcnt lgkmcnt(0)
	v_xor_b32_e32 v103, 0x80000000, v98
	v_cndmask_b32_e32 v100, v118, v99, vcc
	v_cmp_gt_f64_e32 vcc, 0, v[119:120]
	v_mov_b32_e32 v99, v117
	v_cndmask_b32_e32 v102, v120, v101, vcc
	v_cmp_gt_f64_e32 vcc, 0, v[95:96]
	v_mov_b32_e32 v101, v119
	v_add_f64 v[99:100], v[99:100], v[101:102]
	v_xor_b32_e32 v101, 0x80000000, v96
	v_cndmask_b32_e32 v102, v96, v101, vcc
	v_cmp_gt_f64_e32 vcc, 0, v[97:98]
	v_mov_b32_e32 v101, v95
	v_cndmask_b32_e32 v104, v98, v103, vcc
	v_mov_b32_e32 v103, v97
	v_add_f64 v[101:102], v[101:102], v[103:104]
	v_cmp_lt_f64_e32 vcc, v[99:100], v[101:102]
	v_cndmask_b32_e32 v117, v117, v95, vcc
	v_mov_b32_e32 v95, s0
	s_add_i32 s0, s0, 1
	v_cndmask_b32_e32 v118, v118, v96, vcc
	v_cndmask_b32_e32 v120, v120, v98, vcc
	;; [unrolled: 1-line block ×4, first 2 shown]
	s_cmp_lg_u32 s3, s0
	s_cbranch_scc1 .LBB96_421
.LBB96_422:
	s_waitcnt lgkmcnt(0)
	v_cmp_eq_f64_e32 vcc, 0, v[117:118]
	v_cmp_eq_f64_e64 s[0:1], 0, v[119:120]
	s_and_b64 s[0:1], vcc, s[0:1]
	s_and_saveexec_b64 s[18:19], s[0:1]
	s_xor_b64 s[0:1], exec, s[18:19]
; %bb.423:
	v_cmp_ne_u32_e32 vcc, 0, v91
	v_cndmask_b32_e32 v91, 21, v91, vcc
; %bb.424:
	s_andn2_saveexec_b64 s[0:1], s[0:1]
	s_cbranch_execz .LBB96_430
; %bb.425:
	v_cmp_ngt_f64_e64 s[18:19], |v[117:118]|, |v[119:120]|
	s_and_saveexec_b64 s[20:21], s[18:19]
	s_xor_b64 s[18:19], exec, s[20:21]
	s_cbranch_execz .LBB96_427
; %bb.426:
	v_div_scale_f64 v[94:95], s[20:21], v[119:120], v[119:120], v[117:118]
	v_rcp_f64_e32 v[96:97], v[94:95]
	v_fma_f64 v[98:99], -v[94:95], v[96:97], 1.0
	v_fma_f64 v[96:97], v[96:97], v[98:99], v[96:97]
	v_div_scale_f64 v[98:99], vcc, v[117:118], v[119:120], v[117:118]
	v_fma_f64 v[100:101], -v[94:95], v[96:97], 1.0
	v_fma_f64 v[96:97], v[96:97], v[100:101], v[96:97]
	v_mul_f64 v[100:101], v[98:99], v[96:97]
	v_fma_f64 v[94:95], -v[94:95], v[100:101], v[98:99]
	v_div_fmas_f64 v[94:95], v[94:95], v[96:97], v[100:101]
	v_div_fixup_f64 v[94:95], v[94:95], v[119:120], v[117:118]
	v_fma_f64 v[96:97], v[117:118], v[94:95], v[119:120]
	v_div_scale_f64 v[98:99], s[20:21], v[96:97], v[96:97], 1.0
	v_div_scale_f64 v[104:105], vcc, 1.0, v[96:97], 1.0
	v_rcp_f64_e32 v[100:101], v[98:99]
	v_fma_f64 v[102:103], -v[98:99], v[100:101], 1.0
	v_fma_f64 v[100:101], v[100:101], v[102:103], v[100:101]
	v_fma_f64 v[102:103], -v[98:99], v[100:101], 1.0
	v_fma_f64 v[100:101], v[100:101], v[102:103], v[100:101]
	v_mul_f64 v[102:103], v[104:105], v[100:101]
	v_fma_f64 v[98:99], -v[98:99], v[102:103], v[104:105]
	v_div_fmas_f64 v[98:99], v[98:99], v[100:101], v[102:103]
	v_div_fixup_f64 v[119:120], v[98:99], v[96:97], 1.0
	v_mul_f64 v[117:118], v[94:95], v[119:120]
	v_xor_b32_e32 v120, 0x80000000, v120
.LBB96_427:
	s_andn2_saveexec_b64 s[18:19], s[18:19]
	s_cbranch_execz .LBB96_429
; %bb.428:
	v_div_scale_f64 v[94:95], s[20:21], v[117:118], v[117:118], v[119:120]
	v_rcp_f64_e32 v[96:97], v[94:95]
	v_fma_f64 v[98:99], -v[94:95], v[96:97], 1.0
	v_fma_f64 v[96:97], v[96:97], v[98:99], v[96:97]
	v_div_scale_f64 v[98:99], vcc, v[119:120], v[117:118], v[119:120]
	v_fma_f64 v[100:101], -v[94:95], v[96:97], 1.0
	v_fma_f64 v[96:97], v[96:97], v[100:101], v[96:97]
	v_mul_f64 v[100:101], v[98:99], v[96:97]
	v_fma_f64 v[94:95], -v[94:95], v[100:101], v[98:99]
	v_div_fmas_f64 v[94:95], v[94:95], v[96:97], v[100:101]
	v_div_fixup_f64 v[94:95], v[94:95], v[117:118], v[119:120]
	v_fma_f64 v[96:97], v[119:120], v[94:95], v[117:118]
	v_div_scale_f64 v[98:99], s[20:21], v[96:97], v[96:97], 1.0
	v_div_scale_f64 v[104:105], vcc, 1.0, v[96:97], 1.0
	v_rcp_f64_e32 v[100:101], v[98:99]
	v_fma_f64 v[102:103], -v[98:99], v[100:101], 1.0
	v_fma_f64 v[100:101], v[100:101], v[102:103], v[100:101]
	v_fma_f64 v[102:103], -v[98:99], v[100:101], 1.0
	v_fma_f64 v[100:101], v[100:101], v[102:103], v[100:101]
	v_mul_f64 v[102:103], v[104:105], v[100:101]
	v_fma_f64 v[98:99], -v[98:99], v[102:103], v[104:105]
	v_div_fmas_f64 v[98:99], v[98:99], v[100:101], v[102:103]
	v_div_fixup_f64 v[117:118], v[98:99], v[96:97], 1.0
	v_mul_f64 v[119:120], v[94:95], -v[117:118]
.LBB96_429:
	s_or_b64 exec, exec, s[18:19]
.LBB96_430:
	s_or_b64 exec, exec, s[0:1]
	v_cmp_ne_u32_e32 vcc, v92, v93
	s_and_saveexec_b64 s[0:1], vcc
	s_xor_b64 s[0:1], exec, s[0:1]
	s_cbranch_execz .LBB96_436
; %bb.431:
	v_cmp_eq_u32_e32 vcc, 20, v92
	s_and_saveexec_b64 s[18:19], vcc
	s_cbranch_execz .LBB96_435
; %bb.432:
	v_cmp_ne_u32_e32 vcc, 20, v93
	s_xor_b64 s[20:21], s[6:7], -1
	s_and_b64 s[22:23], s[20:21], vcc
	s_and_saveexec_b64 s[20:21], s[22:23]
	s_cbranch_execz .LBB96_434
; %bb.433:
	v_mov_b32_e32 v65, v85
	v_mov_b32_e32 v66, v86
	;; [unrolled: 1-line block ×4, first 2 shown]
	buffer_load_dword v85, off, s[24:27], 0 offset:352 ; 4-byte Folded Reload
	buffer_load_dword v86, off, s[24:27], 0 offset:356 ; 4-byte Folded Reload
	v_ashrrev_i32_e32 v94, 31, v93
	v_lshlrev_b64 v[94:95], 2, v[93:94]
	s_waitcnt vmcnt(1)
	v_add_co_u32_e32 v94, vcc, v85, v94
	s_waitcnt vmcnt(0)
	v_addc_co_u32_e32 v95, vcc, v86, v95, vcc
	global_load_dword v0, v[94:95], off
	global_load_dword v92, v[85:86], off offset:80
	s_waitcnt vmcnt(1)
	global_store_dword v[85:86], v0, off offset:80
	v_mov_b32_e32 v88, v68
	v_mov_b32_e32 v87, v67
	;; [unrolled: 1-line block ×4, first 2 shown]
	s_waitcnt vmcnt(1)
	global_store_dword v[94:95], v92, off
.LBB96_434:
	s_or_b64 exec, exec, s[20:21]
	v_mov_b32_e32 v92, v93
	v_mov_b32_e32 v0, v93
.LBB96_435:
	s_or_b64 exec, exec, s[18:19]
.LBB96_436:
	s_andn2_saveexec_b64 s[0:1], s[0:1]
	s_cbranch_execz .LBB96_438
; %bb.437:
	buffer_load_dword v65, off, s[24:27], 0 offset:48 ; 4-byte Folded Reload
	buffer_load_dword v66, off, s[24:27], 0 offset:52 ; 4-byte Folded Reload
	;; [unrolled: 1-line block ×4, first 2 shown]
	v_mov_b32_e32 v92, 20
	s_waitcnt vmcnt(0)
	ds_write2_b64 v90, v[65:66], v[67:68] offset0:42 offset1:43
	buffer_load_dword v65, off, s[24:27], 0 offset:32 ; 4-byte Folded Reload
	buffer_load_dword v66, off, s[24:27], 0 offset:36 ; 4-byte Folded Reload
	;; [unrolled: 1-line block ×4, first 2 shown]
	s_waitcnt vmcnt(0)
	ds_write2_b64 v90, v[65:66], v[67:68] offset0:44 offset1:45
	buffer_load_dword v65, off, s[24:27], 0 offset:16 ; 4-byte Folded Reload
	buffer_load_dword v66, off, s[24:27], 0 offset:20 ; 4-byte Folded Reload
	;; [unrolled: 1-line block ×4, first 2 shown]
	s_waitcnt vmcnt(0)
	ds_write2_b64 v90, v[65:66], v[67:68] offset0:46 offset1:47
	ds_write2_b64 v90, v[85:86], v[87:88] offset0:48 offset1:49
	;; [unrolled: 1-line block ×8, first 2 shown]
	buffer_load_dword v65, off, s[24:27], 0 ; 4-byte Folded Reload
	buffer_load_dword v66, off, s[24:27], 0 offset:4 ; 4-byte Folded Reload
	buffer_load_dword v67, off, s[24:27], 0 offset:8 ; 4-byte Folded Reload
	buffer_load_dword v68, off, s[24:27], 0 offset:12 ; 4-byte Folded Reload
	s_waitcnt vmcnt(0)
	ds_write2_b64 v90, v[65:66], v[67:68] offset0:62 offset1:63
	ds_write2_b64 v90, v[61:62], v[63:64] offset0:64 offset1:65
	;; [unrolled: 1-line block ×18, first 2 shown]
.LBB96_438:
	s_or_b64 exec, exec, s[0:1]
	v_cmp_lt_i32_e32 vcc, 20, v92
	s_waitcnt vmcnt(0) lgkmcnt(0)
	s_barrier
	s_and_saveexec_b64 s[0:1], vcc
	s_cbranch_execz .LBB96_440
; %bb.439:
	buffer_load_dword v99, off, s[24:27], 0 offset:64 ; 4-byte Folded Reload
	buffer_load_dword v100, off, s[24:27], 0 offset:68 ; 4-byte Folded Reload
	;; [unrolled: 1-line block ×4, first 2 shown]
	s_waitcnt vmcnt(0)
	v_mul_f64 v[95:96], v[117:118], v[101:102]
	v_mul_f64 v[93:94], v[119:120], v[101:102]
	v_fma_f64 v[101:102], v[119:120], v[99:100], v[95:96]
	ds_read2_b64 v[95:98], v90 offset0:42 offset1:43
	buffer_load_dword v65, off, s[24:27], 0 offset:48 ; 4-byte Folded Reload
	buffer_load_dword v66, off, s[24:27], 0 offset:52 ; 4-byte Folded Reload
	;; [unrolled: 1-line block ×4, first 2 shown]
	v_fma_f64 v[93:94], v[117:118], v[99:100], -v[93:94]
	s_waitcnt lgkmcnt(0)
	v_mul_f64 v[99:100], v[97:98], v[101:102]
	v_fma_f64 v[99:100], v[95:96], v[93:94], -v[99:100]
	v_mul_f64 v[95:96], v[95:96], v[101:102]
	v_fma_f64 v[95:96], v[97:98], v[93:94], v[95:96]
	s_waitcnt vmcnt(2)
	v_add_f64 v[65:66], v[65:66], -v[99:100]
	s_waitcnt vmcnt(0)
	v_add_f64 v[67:68], v[67:68], -v[95:96]
	buffer_store_dword v65, off, s[24:27], 0 offset:48 ; 4-byte Folded Spill
	s_nop 0
	buffer_store_dword v66, off, s[24:27], 0 offset:52 ; 4-byte Folded Spill
	buffer_store_dword v67, off, s[24:27], 0 offset:56 ; 4-byte Folded Spill
	buffer_store_dword v68, off, s[24:27], 0 offset:60 ; 4-byte Folded Spill
	ds_read2_b64 v[95:98], v90 offset0:44 offset1:45
	buffer_load_dword v65, off, s[24:27], 0 offset:32 ; 4-byte Folded Reload
	buffer_load_dword v66, off, s[24:27], 0 offset:36 ; 4-byte Folded Reload
	;; [unrolled: 1-line block ×4, first 2 shown]
	s_waitcnt lgkmcnt(0)
	v_mul_f64 v[99:100], v[97:98], v[101:102]
	v_fma_f64 v[99:100], v[95:96], v[93:94], -v[99:100]
	v_mul_f64 v[95:96], v[95:96], v[101:102]
	v_fma_f64 v[95:96], v[97:98], v[93:94], v[95:96]
	s_waitcnt vmcnt(2)
	v_add_f64 v[65:66], v[65:66], -v[99:100]
	s_waitcnt vmcnt(0)
	v_add_f64 v[67:68], v[67:68], -v[95:96]
	buffer_store_dword v65, off, s[24:27], 0 offset:32 ; 4-byte Folded Spill
	s_nop 0
	buffer_store_dword v66, off, s[24:27], 0 offset:36 ; 4-byte Folded Spill
	buffer_store_dword v67, off, s[24:27], 0 offset:40 ; 4-byte Folded Spill
	;; [unrolled: 1-line block ×3, first 2 shown]
	ds_read2_b64 v[95:98], v90 offset0:46 offset1:47
	buffer_load_dword v65, off, s[24:27], 0 offset:16 ; 4-byte Folded Reload
	buffer_load_dword v66, off, s[24:27], 0 offset:20 ; 4-byte Folded Reload
	;; [unrolled: 1-line block ×4, first 2 shown]
	s_waitcnt lgkmcnt(0)
	v_mul_f64 v[99:100], v[97:98], v[101:102]
	v_fma_f64 v[99:100], v[95:96], v[93:94], -v[99:100]
	v_mul_f64 v[95:96], v[95:96], v[101:102]
	v_fma_f64 v[95:96], v[97:98], v[93:94], v[95:96]
	s_waitcnt vmcnt(2)
	v_add_f64 v[65:66], v[65:66], -v[99:100]
	s_waitcnt vmcnt(0)
	v_add_f64 v[67:68], v[67:68], -v[95:96]
	buffer_store_dword v65, off, s[24:27], 0 offset:16 ; 4-byte Folded Spill
	s_nop 0
	buffer_store_dword v66, off, s[24:27], 0 offset:20 ; 4-byte Folded Spill
	buffer_store_dword v67, off, s[24:27], 0 offset:24 ; 4-byte Folded Spill
	;; [unrolled: 1-line block ×3, first 2 shown]
	ds_read2_b64 v[95:98], v90 offset0:48 offset1:49
	s_waitcnt lgkmcnt(0)
	v_mul_f64 v[99:100], v[97:98], v[101:102]
	v_fma_f64 v[99:100], v[95:96], v[93:94], -v[99:100]
	v_mul_f64 v[95:96], v[95:96], v[101:102]
	v_add_f64 v[85:86], v[85:86], -v[99:100]
	v_fma_f64 v[95:96], v[97:98], v[93:94], v[95:96]
	v_add_f64 v[87:88], v[87:88], -v[95:96]
	ds_read2_b64 v[95:98], v90 offset0:50 offset1:51
	s_waitcnt lgkmcnt(0)
	v_mul_f64 v[99:100], v[97:98], v[101:102]
	v_fma_f64 v[99:100], v[95:96], v[93:94], -v[99:100]
	v_mul_f64 v[95:96], v[95:96], v[101:102]
	v_add_f64 v[107:108], v[107:108], -v[99:100]
	v_fma_f64 v[95:96], v[97:98], v[93:94], v[95:96]
	v_add_f64 v[109:110], v[109:110], -v[95:96]
	;; [unrolled: 8-line block ×7, first 2 shown]
	ds_read2_b64 v[95:98], v90 offset0:62 offset1:63
	buffer_load_dword v65, off, s[24:27], 0 ; 4-byte Folded Reload
	buffer_load_dword v66, off, s[24:27], 0 offset:4 ; 4-byte Folded Reload
	buffer_load_dword v67, off, s[24:27], 0 offset:8 ; 4-byte Folded Reload
	;; [unrolled: 1-line block ×3, first 2 shown]
	s_waitcnt lgkmcnt(0)
	v_mul_f64 v[99:100], v[97:98], v[101:102]
	v_fma_f64 v[99:100], v[95:96], v[93:94], -v[99:100]
	v_mul_f64 v[95:96], v[95:96], v[101:102]
	v_fma_f64 v[95:96], v[97:98], v[93:94], v[95:96]
	s_waitcnt vmcnt(2)
	v_add_f64 v[65:66], v[65:66], -v[99:100]
	s_waitcnt vmcnt(0)
	v_add_f64 v[67:68], v[67:68], -v[95:96]
	buffer_store_dword v65, off, s[24:27], 0 ; 4-byte Folded Spill
	s_nop 0
	buffer_store_dword v66, off, s[24:27], 0 offset:4 ; 4-byte Folded Spill
	buffer_store_dword v67, off, s[24:27], 0 offset:8 ; 4-byte Folded Spill
	;; [unrolled: 1-line block ×3, first 2 shown]
	ds_read2_b64 v[95:98], v90 offset0:64 offset1:65
	s_waitcnt lgkmcnt(0)
	v_mul_f64 v[99:100], v[97:98], v[101:102]
	v_fma_f64 v[99:100], v[95:96], v[93:94], -v[99:100]
	v_mul_f64 v[95:96], v[95:96], v[101:102]
	v_add_f64 v[61:62], v[61:62], -v[99:100]
	v_fma_f64 v[95:96], v[97:98], v[93:94], v[95:96]
	v_add_f64 v[63:64], v[63:64], -v[95:96]
	ds_read2_b64 v[95:98], v90 offset0:66 offset1:67
	s_waitcnt lgkmcnt(0)
	v_mul_f64 v[99:100], v[97:98], v[101:102]
	v_fma_f64 v[99:100], v[95:96], v[93:94], -v[99:100]
	v_mul_f64 v[95:96], v[95:96], v[101:102]
	v_add_f64 v[57:58], v[57:58], -v[99:100]
	v_fma_f64 v[95:96], v[97:98], v[93:94], v[95:96]
	v_add_f64 v[59:60], v[59:60], -v[95:96]
	;; [unrolled: 8-line block ×16, first 2 shown]
	ds_read2_b64 v[95:98], v90 offset0:96 offset1:97
	s_waitcnt lgkmcnt(0)
	v_mul_f64 v[99:100], v[97:98], v[101:102]
	v_fma_f64 v[99:100], v[95:96], v[93:94], -v[99:100]
	v_mul_f64 v[95:96], v[95:96], v[101:102]
	v_add_f64 v[121:122], v[121:122], -v[99:100]
	v_fma_f64 v[95:96], v[97:98], v[93:94], v[95:96]
	v_mov_b32_e32 v100, v94
	v_mov_b32_e32 v99, v93
	buffer_store_dword v99, off, s[24:27], 0 offset:64 ; 4-byte Folded Spill
	s_nop 0
	buffer_store_dword v100, off, s[24:27], 0 offset:68 ; 4-byte Folded Spill
	buffer_store_dword v101, off, s[24:27], 0 offset:72 ; 4-byte Folded Spill
	;; [unrolled: 1-line block ×3, first 2 shown]
	v_add_f64 v[123:124], v[123:124], -v[95:96]
.LBB96_440:
	s_or_b64 exec, exec, s[0:1]
	s_waitcnt vmcnt(0)
	s_barrier
	buffer_load_dword v65, off, s[24:27], 0 offset:48 ; 4-byte Folded Reload
	buffer_load_dword v66, off, s[24:27], 0 offset:52 ; 4-byte Folded Reload
	;; [unrolled: 1-line block ×4, first 2 shown]
	v_lshl_add_u32 v93, v92, 4, v90
	s_cmp_lt_i32 s3, 23
	s_waitcnt vmcnt(0)
	ds_write2_b64 v93, v[65:66], v[67:68] offset1:1
	s_waitcnt lgkmcnt(0)
	s_barrier
	ds_read2_b64 v[117:120], v90 offset0:42 offset1:43
	v_mov_b32_e32 v93, 21
	s_cbranch_scc1 .LBB96_443
; %bb.441:
	v_add_u32_e32 v94, 0x160, v90
	s_mov_b32 s0, 22
	v_mov_b32_e32 v93, 21
.LBB96_442:                             ; =>This Inner Loop Header: Depth=1
	s_waitcnt lgkmcnt(0)
	v_cmp_gt_f64_e32 vcc, 0, v[117:118]
	v_xor_b32_e32 v99, 0x80000000, v118
	ds_read2_b64 v[95:98], v94 offset1:1
	v_xor_b32_e32 v101, 0x80000000, v120
	v_add_u32_e32 v94, 16, v94
	s_waitcnt lgkmcnt(0)
	v_xor_b32_e32 v103, 0x80000000, v98
	v_cndmask_b32_e32 v100, v118, v99, vcc
	v_cmp_gt_f64_e32 vcc, 0, v[119:120]
	v_mov_b32_e32 v99, v117
	v_cndmask_b32_e32 v102, v120, v101, vcc
	v_cmp_gt_f64_e32 vcc, 0, v[95:96]
	v_mov_b32_e32 v101, v119
	v_add_f64 v[99:100], v[99:100], v[101:102]
	v_xor_b32_e32 v101, 0x80000000, v96
	v_cndmask_b32_e32 v102, v96, v101, vcc
	v_cmp_gt_f64_e32 vcc, 0, v[97:98]
	v_mov_b32_e32 v101, v95
	v_cndmask_b32_e32 v104, v98, v103, vcc
	v_mov_b32_e32 v103, v97
	v_add_f64 v[101:102], v[101:102], v[103:104]
	v_cmp_lt_f64_e32 vcc, v[99:100], v[101:102]
	v_cndmask_b32_e32 v117, v117, v95, vcc
	v_mov_b32_e32 v95, s0
	s_add_i32 s0, s0, 1
	v_cndmask_b32_e32 v118, v118, v96, vcc
	v_cndmask_b32_e32 v120, v120, v98, vcc
	;; [unrolled: 1-line block ×4, first 2 shown]
	s_cmp_lg_u32 s3, s0
	s_cbranch_scc1 .LBB96_442
.LBB96_443:
	s_waitcnt lgkmcnt(0)
	v_cmp_eq_f64_e32 vcc, 0, v[117:118]
	v_cmp_eq_f64_e64 s[0:1], 0, v[119:120]
	s_and_b64 s[0:1], vcc, s[0:1]
	s_and_saveexec_b64 s[18:19], s[0:1]
	s_xor_b64 s[0:1], exec, s[18:19]
; %bb.444:
	v_cmp_ne_u32_e32 vcc, 0, v91
	v_cndmask_b32_e32 v91, 22, v91, vcc
; %bb.445:
	s_andn2_saveexec_b64 s[0:1], s[0:1]
	s_cbranch_execz .LBB96_451
; %bb.446:
	v_cmp_ngt_f64_e64 s[18:19], |v[117:118]|, |v[119:120]|
	s_and_saveexec_b64 s[20:21], s[18:19]
	s_xor_b64 s[18:19], exec, s[20:21]
	s_cbranch_execz .LBB96_448
; %bb.447:
	v_div_scale_f64 v[94:95], s[20:21], v[119:120], v[119:120], v[117:118]
	v_rcp_f64_e32 v[96:97], v[94:95]
	v_fma_f64 v[98:99], -v[94:95], v[96:97], 1.0
	v_fma_f64 v[96:97], v[96:97], v[98:99], v[96:97]
	v_div_scale_f64 v[98:99], vcc, v[117:118], v[119:120], v[117:118]
	v_fma_f64 v[100:101], -v[94:95], v[96:97], 1.0
	v_fma_f64 v[96:97], v[96:97], v[100:101], v[96:97]
	v_mul_f64 v[100:101], v[98:99], v[96:97]
	v_fma_f64 v[94:95], -v[94:95], v[100:101], v[98:99]
	v_div_fmas_f64 v[94:95], v[94:95], v[96:97], v[100:101]
	v_div_fixup_f64 v[94:95], v[94:95], v[119:120], v[117:118]
	v_fma_f64 v[96:97], v[117:118], v[94:95], v[119:120]
	v_div_scale_f64 v[98:99], s[20:21], v[96:97], v[96:97], 1.0
	v_div_scale_f64 v[104:105], vcc, 1.0, v[96:97], 1.0
	v_rcp_f64_e32 v[100:101], v[98:99]
	v_fma_f64 v[102:103], -v[98:99], v[100:101], 1.0
	v_fma_f64 v[100:101], v[100:101], v[102:103], v[100:101]
	v_fma_f64 v[102:103], -v[98:99], v[100:101], 1.0
	v_fma_f64 v[100:101], v[100:101], v[102:103], v[100:101]
	v_mul_f64 v[102:103], v[104:105], v[100:101]
	v_fma_f64 v[98:99], -v[98:99], v[102:103], v[104:105]
	v_div_fmas_f64 v[98:99], v[98:99], v[100:101], v[102:103]
	v_div_fixup_f64 v[119:120], v[98:99], v[96:97], 1.0
	v_mul_f64 v[117:118], v[94:95], v[119:120]
	v_xor_b32_e32 v120, 0x80000000, v120
.LBB96_448:
	s_andn2_saveexec_b64 s[18:19], s[18:19]
	s_cbranch_execz .LBB96_450
; %bb.449:
	v_div_scale_f64 v[94:95], s[20:21], v[117:118], v[117:118], v[119:120]
	v_rcp_f64_e32 v[96:97], v[94:95]
	v_fma_f64 v[98:99], -v[94:95], v[96:97], 1.0
	v_fma_f64 v[96:97], v[96:97], v[98:99], v[96:97]
	v_div_scale_f64 v[98:99], vcc, v[119:120], v[117:118], v[119:120]
	v_fma_f64 v[100:101], -v[94:95], v[96:97], 1.0
	v_fma_f64 v[96:97], v[96:97], v[100:101], v[96:97]
	v_mul_f64 v[100:101], v[98:99], v[96:97]
	v_fma_f64 v[94:95], -v[94:95], v[100:101], v[98:99]
	v_div_fmas_f64 v[94:95], v[94:95], v[96:97], v[100:101]
	v_div_fixup_f64 v[94:95], v[94:95], v[117:118], v[119:120]
	v_fma_f64 v[96:97], v[119:120], v[94:95], v[117:118]
	v_div_scale_f64 v[98:99], s[20:21], v[96:97], v[96:97], 1.0
	v_div_scale_f64 v[104:105], vcc, 1.0, v[96:97], 1.0
	v_rcp_f64_e32 v[100:101], v[98:99]
	v_fma_f64 v[102:103], -v[98:99], v[100:101], 1.0
	v_fma_f64 v[100:101], v[100:101], v[102:103], v[100:101]
	v_fma_f64 v[102:103], -v[98:99], v[100:101], 1.0
	v_fma_f64 v[100:101], v[100:101], v[102:103], v[100:101]
	v_mul_f64 v[102:103], v[104:105], v[100:101]
	v_fma_f64 v[98:99], -v[98:99], v[102:103], v[104:105]
	v_div_fmas_f64 v[98:99], v[98:99], v[100:101], v[102:103]
	v_div_fixup_f64 v[117:118], v[98:99], v[96:97], 1.0
	v_mul_f64 v[119:120], v[94:95], -v[117:118]
.LBB96_450:
	s_or_b64 exec, exec, s[18:19]
.LBB96_451:
	s_or_b64 exec, exec, s[0:1]
	v_cmp_ne_u32_e32 vcc, v92, v93
	s_and_saveexec_b64 s[0:1], vcc
	s_xor_b64 s[0:1], exec, s[0:1]
	s_cbranch_execz .LBB96_457
; %bb.452:
	v_cmp_eq_u32_e32 vcc, 21, v92
	s_and_saveexec_b64 s[18:19], vcc
	s_cbranch_execz .LBB96_456
; %bb.453:
	v_cmp_ne_u32_e32 vcc, 21, v93
	s_xor_b64 s[20:21], s[6:7], -1
	s_and_b64 s[22:23], s[20:21], vcc
	s_and_saveexec_b64 s[20:21], s[22:23]
	s_cbranch_execz .LBB96_455
; %bb.454:
	v_mov_b32_e32 v65, v85
	v_mov_b32_e32 v66, v86
	;; [unrolled: 1-line block ×4, first 2 shown]
	buffer_load_dword v85, off, s[24:27], 0 offset:352 ; 4-byte Folded Reload
	buffer_load_dword v86, off, s[24:27], 0 offset:356 ; 4-byte Folded Reload
	v_ashrrev_i32_e32 v94, 31, v93
	v_lshlrev_b64 v[94:95], 2, v[93:94]
	s_waitcnt vmcnt(1)
	v_add_co_u32_e32 v94, vcc, v85, v94
	s_waitcnt vmcnt(0)
	v_addc_co_u32_e32 v95, vcc, v86, v95, vcc
	global_load_dword v0, v[94:95], off
	global_load_dword v92, v[85:86], off offset:84
	s_waitcnt vmcnt(1)
	global_store_dword v[85:86], v0, off offset:84
	v_mov_b32_e32 v88, v68
	v_mov_b32_e32 v87, v67
	;; [unrolled: 1-line block ×4, first 2 shown]
	s_waitcnt vmcnt(1)
	global_store_dword v[94:95], v92, off
.LBB96_455:
	s_or_b64 exec, exec, s[20:21]
	v_mov_b32_e32 v92, v93
	v_mov_b32_e32 v0, v93
.LBB96_456:
	s_or_b64 exec, exec, s[18:19]
.LBB96_457:
	s_andn2_saveexec_b64 s[0:1], s[0:1]
	s_cbranch_execz .LBB96_459
; %bb.458:
	buffer_load_dword v65, off, s[24:27], 0 offset:32 ; 4-byte Folded Reload
	buffer_load_dword v66, off, s[24:27], 0 offset:36 ; 4-byte Folded Reload
	buffer_load_dword v67, off, s[24:27], 0 offset:40 ; 4-byte Folded Reload
	buffer_load_dword v68, off, s[24:27], 0 offset:44 ; 4-byte Folded Reload
	v_mov_b32_e32 v92, 21
	s_waitcnt vmcnt(0)
	ds_write2_b64 v90, v[65:66], v[67:68] offset0:44 offset1:45
	buffer_load_dword v65, off, s[24:27], 0 offset:16 ; 4-byte Folded Reload
	buffer_load_dword v66, off, s[24:27], 0 offset:20 ; 4-byte Folded Reload
	;; [unrolled: 1-line block ×4, first 2 shown]
	s_waitcnt vmcnt(0)
	ds_write2_b64 v90, v[65:66], v[67:68] offset0:46 offset1:47
	ds_write2_b64 v90, v[85:86], v[87:88] offset0:48 offset1:49
	;; [unrolled: 1-line block ×8, first 2 shown]
	buffer_load_dword v65, off, s[24:27], 0 ; 4-byte Folded Reload
	buffer_load_dword v66, off, s[24:27], 0 offset:4 ; 4-byte Folded Reload
	buffer_load_dword v67, off, s[24:27], 0 offset:8 ; 4-byte Folded Reload
	;; [unrolled: 1-line block ×3, first 2 shown]
	s_waitcnt vmcnt(0)
	ds_write2_b64 v90, v[65:66], v[67:68] offset0:62 offset1:63
	ds_write2_b64 v90, v[61:62], v[63:64] offset0:64 offset1:65
	;; [unrolled: 1-line block ×18, first 2 shown]
.LBB96_459:
	s_or_b64 exec, exec, s[0:1]
	v_cmp_lt_i32_e32 vcc, 21, v92
	s_waitcnt vmcnt(0) lgkmcnt(0)
	s_barrier
	s_and_saveexec_b64 s[0:1], vcc
	s_cbranch_execz .LBB96_461
; %bb.460:
	buffer_load_dword v99, off, s[24:27], 0 offset:48 ; 4-byte Folded Reload
	buffer_load_dword v100, off, s[24:27], 0 offset:52 ; 4-byte Folded Reload
	;; [unrolled: 1-line block ×4, first 2 shown]
	s_waitcnt vmcnt(0)
	v_mul_f64 v[95:96], v[117:118], v[101:102]
	v_mul_f64 v[93:94], v[119:120], v[101:102]
	v_fma_f64 v[101:102], v[119:120], v[99:100], v[95:96]
	ds_read2_b64 v[95:98], v90 offset0:44 offset1:45
	buffer_load_dword v65, off, s[24:27], 0 offset:32 ; 4-byte Folded Reload
	buffer_load_dword v66, off, s[24:27], 0 offset:36 ; 4-byte Folded Reload
	;; [unrolled: 1-line block ×4, first 2 shown]
	v_fma_f64 v[93:94], v[117:118], v[99:100], -v[93:94]
	s_waitcnt lgkmcnt(0)
	v_mul_f64 v[99:100], v[97:98], v[101:102]
	v_fma_f64 v[99:100], v[95:96], v[93:94], -v[99:100]
	v_mul_f64 v[95:96], v[95:96], v[101:102]
	v_fma_f64 v[95:96], v[97:98], v[93:94], v[95:96]
	s_waitcnt vmcnt(2)
	v_add_f64 v[65:66], v[65:66], -v[99:100]
	s_waitcnt vmcnt(0)
	v_add_f64 v[67:68], v[67:68], -v[95:96]
	buffer_store_dword v65, off, s[24:27], 0 offset:32 ; 4-byte Folded Spill
	s_nop 0
	buffer_store_dword v66, off, s[24:27], 0 offset:36 ; 4-byte Folded Spill
	buffer_store_dword v67, off, s[24:27], 0 offset:40 ; 4-byte Folded Spill
	;; [unrolled: 1-line block ×3, first 2 shown]
	ds_read2_b64 v[95:98], v90 offset0:46 offset1:47
	buffer_load_dword v65, off, s[24:27], 0 offset:16 ; 4-byte Folded Reload
	buffer_load_dword v66, off, s[24:27], 0 offset:20 ; 4-byte Folded Reload
	;; [unrolled: 1-line block ×4, first 2 shown]
	s_waitcnt lgkmcnt(0)
	v_mul_f64 v[99:100], v[97:98], v[101:102]
	v_fma_f64 v[99:100], v[95:96], v[93:94], -v[99:100]
	v_mul_f64 v[95:96], v[95:96], v[101:102]
	v_fma_f64 v[95:96], v[97:98], v[93:94], v[95:96]
	s_waitcnt vmcnt(2)
	v_add_f64 v[65:66], v[65:66], -v[99:100]
	s_waitcnt vmcnt(0)
	v_add_f64 v[67:68], v[67:68], -v[95:96]
	buffer_store_dword v65, off, s[24:27], 0 offset:16 ; 4-byte Folded Spill
	s_nop 0
	buffer_store_dword v66, off, s[24:27], 0 offset:20 ; 4-byte Folded Spill
	buffer_store_dword v67, off, s[24:27], 0 offset:24 ; 4-byte Folded Spill
	;; [unrolled: 1-line block ×3, first 2 shown]
	ds_read2_b64 v[95:98], v90 offset0:48 offset1:49
	s_waitcnt lgkmcnt(0)
	v_mul_f64 v[99:100], v[97:98], v[101:102]
	v_fma_f64 v[99:100], v[95:96], v[93:94], -v[99:100]
	v_mul_f64 v[95:96], v[95:96], v[101:102]
	v_add_f64 v[85:86], v[85:86], -v[99:100]
	v_fma_f64 v[95:96], v[97:98], v[93:94], v[95:96]
	v_add_f64 v[87:88], v[87:88], -v[95:96]
	ds_read2_b64 v[95:98], v90 offset0:50 offset1:51
	s_waitcnt lgkmcnt(0)
	v_mul_f64 v[99:100], v[97:98], v[101:102]
	v_fma_f64 v[99:100], v[95:96], v[93:94], -v[99:100]
	v_mul_f64 v[95:96], v[95:96], v[101:102]
	v_add_f64 v[107:108], v[107:108], -v[99:100]
	v_fma_f64 v[95:96], v[97:98], v[93:94], v[95:96]
	v_add_f64 v[109:110], v[109:110], -v[95:96]
	;; [unrolled: 8-line block ×7, first 2 shown]
	ds_read2_b64 v[95:98], v90 offset0:62 offset1:63
	buffer_load_dword v65, off, s[24:27], 0 ; 4-byte Folded Reload
	buffer_load_dword v66, off, s[24:27], 0 offset:4 ; 4-byte Folded Reload
	buffer_load_dword v67, off, s[24:27], 0 offset:8 ; 4-byte Folded Reload
	;; [unrolled: 1-line block ×3, first 2 shown]
	s_waitcnt lgkmcnt(0)
	v_mul_f64 v[99:100], v[97:98], v[101:102]
	v_fma_f64 v[99:100], v[95:96], v[93:94], -v[99:100]
	v_mul_f64 v[95:96], v[95:96], v[101:102]
	v_fma_f64 v[95:96], v[97:98], v[93:94], v[95:96]
	s_waitcnt vmcnt(2)
	v_add_f64 v[65:66], v[65:66], -v[99:100]
	s_waitcnt vmcnt(0)
	v_add_f64 v[67:68], v[67:68], -v[95:96]
	buffer_store_dword v65, off, s[24:27], 0 ; 4-byte Folded Spill
	s_nop 0
	buffer_store_dword v66, off, s[24:27], 0 offset:4 ; 4-byte Folded Spill
	buffer_store_dword v67, off, s[24:27], 0 offset:8 ; 4-byte Folded Spill
	;; [unrolled: 1-line block ×3, first 2 shown]
	ds_read2_b64 v[95:98], v90 offset0:64 offset1:65
	s_waitcnt lgkmcnt(0)
	v_mul_f64 v[99:100], v[97:98], v[101:102]
	v_fma_f64 v[99:100], v[95:96], v[93:94], -v[99:100]
	v_mul_f64 v[95:96], v[95:96], v[101:102]
	v_add_f64 v[61:62], v[61:62], -v[99:100]
	v_fma_f64 v[95:96], v[97:98], v[93:94], v[95:96]
	v_add_f64 v[63:64], v[63:64], -v[95:96]
	ds_read2_b64 v[95:98], v90 offset0:66 offset1:67
	s_waitcnt lgkmcnt(0)
	v_mul_f64 v[99:100], v[97:98], v[101:102]
	v_fma_f64 v[99:100], v[95:96], v[93:94], -v[99:100]
	v_mul_f64 v[95:96], v[95:96], v[101:102]
	v_add_f64 v[57:58], v[57:58], -v[99:100]
	v_fma_f64 v[95:96], v[97:98], v[93:94], v[95:96]
	v_add_f64 v[59:60], v[59:60], -v[95:96]
	;; [unrolled: 8-line block ×16, first 2 shown]
	ds_read2_b64 v[95:98], v90 offset0:96 offset1:97
	s_waitcnt lgkmcnt(0)
	v_mul_f64 v[99:100], v[97:98], v[101:102]
	v_fma_f64 v[99:100], v[95:96], v[93:94], -v[99:100]
	v_mul_f64 v[95:96], v[95:96], v[101:102]
	v_add_f64 v[121:122], v[121:122], -v[99:100]
	v_fma_f64 v[95:96], v[97:98], v[93:94], v[95:96]
	v_mov_b32_e32 v100, v94
	v_mov_b32_e32 v99, v93
	buffer_store_dword v99, off, s[24:27], 0 offset:48 ; 4-byte Folded Spill
	s_nop 0
	buffer_store_dword v100, off, s[24:27], 0 offset:52 ; 4-byte Folded Spill
	buffer_store_dword v101, off, s[24:27], 0 offset:56 ; 4-byte Folded Spill
	;; [unrolled: 1-line block ×3, first 2 shown]
	v_add_f64 v[123:124], v[123:124], -v[95:96]
.LBB96_461:
	s_or_b64 exec, exec, s[0:1]
	s_waitcnt vmcnt(0)
	s_barrier
	buffer_load_dword v65, off, s[24:27], 0 offset:32 ; 4-byte Folded Reload
	buffer_load_dword v66, off, s[24:27], 0 offset:36 ; 4-byte Folded Reload
	;; [unrolled: 1-line block ×4, first 2 shown]
	v_lshl_add_u32 v93, v92, 4, v90
	s_cmp_lt_i32 s3, 24
	s_waitcnt vmcnt(0)
	ds_write2_b64 v93, v[65:66], v[67:68] offset1:1
	s_waitcnt lgkmcnt(0)
	s_barrier
	ds_read2_b64 v[117:120], v90 offset0:44 offset1:45
	v_mov_b32_e32 v93, 22
	s_cbranch_scc1 .LBB96_464
; %bb.462:
	v_add_u32_e32 v94, 0x170, v90
	s_mov_b32 s0, 23
	v_mov_b32_e32 v93, 22
.LBB96_463:                             ; =>This Inner Loop Header: Depth=1
	s_waitcnt lgkmcnt(0)
	v_cmp_gt_f64_e32 vcc, 0, v[117:118]
	v_xor_b32_e32 v99, 0x80000000, v118
	ds_read2_b64 v[95:98], v94 offset1:1
	v_xor_b32_e32 v101, 0x80000000, v120
	v_add_u32_e32 v94, 16, v94
	s_waitcnt lgkmcnt(0)
	v_xor_b32_e32 v103, 0x80000000, v98
	v_cndmask_b32_e32 v100, v118, v99, vcc
	v_cmp_gt_f64_e32 vcc, 0, v[119:120]
	v_mov_b32_e32 v99, v117
	v_cndmask_b32_e32 v102, v120, v101, vcc
	v_cmp_gt_f64_e32 vcc, 0, v[95:96]
	v_mov_b32_e32 v101, v119
	v_add_f64 v[99:100], v[99:100], v[101:102]
	v_xor_b32_e32 v101, 0x80000000, v96
	v_cndmask_b32_e32 v102, v96, v101, vcc
	v_cmp_gt_f64_e32 vcc, 0, v[97:98]
	v_mov_b32_e32 v101, v95
	v_cndmask_b32_e32 v104, v98, v103, vcc
	v_mov_b32_e32 v103, v97
	v_add_f64 v[101:102], v[101:102], v[103:104]
	v_cmp_lt_f64_e32 vcc, v[99:100], v[101:102]
	v_cndmask_b32_e32 v117, v117, v95, vcc
	v_mov_b32_e32 v95, s0
	s_add_i32 s0, s0, 1
	v_cndmask_b32_e32 v118, v118, v96, vcc
	v_cndmask_b32_e32 v120, v120, v98, vcc
	;; [unrolled: 1-line block ×4, first 2 shown]
	s_cmp_lg_u32 s3, s0
	s_cbranch_scc1 .LBB96_463
.LBB96_464:
	s_waitcnt lgkmcnt(0)
	v_cmp_eq_f64_e32 vcc, 0, v[117:118]
	v_cmp_eq_f64_e64 s[0:1], 0, v[119:120]
	s_and_b64 s[0:1], vcc, s[0:1]
	s_and_saveexec_b64 s[18:19], s[0:1]
	s_xor_b64 s[0:1], exec, s[18:19]
; %bb.465:
	v_cmp_ne_u32_e32 vcc, 0, v91
	v_cndmask_b32_e32 v91, 23, v91, vcc
; %bb.466:
	s_andn2_saveexec_b64 s[0:1], s[0:1]
	s_cbranch_execz .LBB96_472
; %bb.467:
	v_cmp_ngt_f64_e64 s[18:19], |v[117:118]|, |v[119:120]|
	s_and_saveexec_b64 s[20:21], s[18:19]
	s_xor_b64 s[18:19], exec, s[20:21]
	s_cbranch_execz .LBB96_469
; %bb.468:
	v_div_scale_f64 v[94:95], s[20:21], v[119:120], v[119:120], v[117:118]
	v_rcp_f64_e32 v[96:97], v[94:95]
	v_fma_f64 v[98:99], -v[94:95], v[96:97], 1.0
	v_fma_f64 v[96:97], v[96:97], v[98:99], v[96:97]
	v_div_scale_f64 v[98:99], vcc, v[117:118], v[119:120], v[117:118]
	v_fma_f64 v[100:101], -v[94:95], v[96:97], 1.0
	v_fma_f64 v[96:97], v[96:97], v[100:101], v[96:97]
	v_mul_f64 v[100:101], v[98:99], v[96:97]
	v_fma_f64 v[94:95], -v[94:95], v[100:101], v[98:99]
	v_div_fmas_f64 v[94:95], v[94:95], v[96:97], v[100:101]
	v_div_fixup_f64 v[94:95], v[94:95], v[119:120], v[117:118]
	v_fma_f64 v[96:97], v[117:118], v[94:95], v[119:120]
	v_div_scale_f64 v[98:99], s[20:21], v[96:97], v[96:97], 1.0
	v_div_scale_f64 v[104:105], vcc, 1.0, v[96:97], 1.0
	v_rcp_f64_e32 v[100:101], v[98:99]
	v_fma_f64 v[102:103], -v[98:99], v[100:101], 1.0
	v_fma_f64 v[100:101], v[100:101], v[102:103], v[100:101]
	v_fma_f64 v[102:103], -v[98:99], v[100:101], 1.0
	v_fma_f64 v[100:101], v[100:101], v[102:103], v[100:101]
	v_mul_f64 v[102:103], v[104:105], v[100:101]
	v_fma_f64 v[98:99], -v[98:99], v[102:103], v[104:105]
	v_div_fmas_f64 v[98:99], v[98:99], v[100:101], v[102:103]
	v_div_fixup_f64 v[119:120], v[98:99], v[96:97], 1.0
	v_mul_f64 v[117:118], v[94:95], v[119:120]
	v_xor_b32_e32 v120, 0x80000000, v120
.LBB96_469:
	s_andn2_saveexec_b64 s[18:19], s[18:19]
	s_cbranch_execz .LBB96_471
; %bb.470:
	v_div_scale_f64 v[94:95], s[20:21], v[117:118], v[117:118], v[119:120]
	v_rcp_f64_e32 v[96:97], v[94:95]
	v_fma_f64 v[98:99], -v[94:95], v[96:97], 1.0
	v_fma_f64 v[96:97], v[96:97], v[98:99], v[96:97]
	v_div_scale_f64 v[98:99], vcc, v[119:120], v[117:118], v[119:120]
	v_fma_f64 v[100:101], -v[94:95], v[96:97], 1.0
	v_fma_f64 v[96:97], v[96:97], v[100:101], v[96:97]
	v_mul_f64 v[100:101], v[98:99], v[96:97]
	v_fma_f64 v[94:95], -v[94:95], v[100:101], v[98:99]
	v_div_fmas_f64 v[94:95], v[94:95], v[96:97], v[100:101]
	v_div_fixup_f64 v[94:95], v[94:95], v[117:118], v[119:120]
	v_fma_f64 v[96:97], v[119:120], v[94:95], v[117:118]
	v_div_scale_f64 v[98:99], s[20:21], v[96:97], v[96:97], 1.0
	v_div_scale_f64 v[104:105], vcc, 1.0, v[96:97], 1.0
	v_rcp_f64_e32 v[100:101], v[98:99]
	v_fma_f64 v[102:103], -v[98:99], v[100:101], 1.0
	v_fma_f64 v[100:101], v[100:101], v[102:103], v[100:101]
	v_fma_f64 v[102:103], -v[98:99], v[100:101], 1.0
	v_fma_f64 v[100:101], v[100:101], v[102:103], v[100:101]
	v_mul_f64 v[102:103], v[104:105], v[100:101]
	v_fma_f64 v[98:99], -v[98:99], v[102:103], v[104:105]
	v_div_fmas_f64 v[98:99], v[98:99], v[100:101], v[102:103]
	v_div_fixup_f64 v[117:118], v[98:99], v[96:97], 1.0
	v_mul_f64 v[119:120], v[94:95], -v[117:118]
.LBB96_471:
	s_or_b64 exec, exec, s[18:19]
.LBB96_472:
	s_or_b64 exec, exec, s[0:1]
	v_cmp_ne_u32_e32 vcc, v92, v93
	s_and_saveexec_b64 s[0:1], vcc
	s_xor_b64 s[0:1], exec, s[0:1]
	s_cbranch_execz .LBB96_478
; %bb.473:
	v_cmp_eq_u32_e32 vcc, 22, v92
	s_and_saveexec_b64 s[18:19], vcc
	s_cbranch_execz .LBB96_477
; %bb.474:
	v_cmp_ne_u32_e32 vcc, 22, v93
	s_xor_b64 s[20:21], s[6:7], -1
	s_and_b64 s[22:23], s[20:21], vcc
	s_and_saveexec_b64 s[20:21], s[22:23]
	s_cbranch_execz .LBB96_476
; %bb.475:
	v_mov_b32_e32 v65, v85
	v_mov_b32_e32 v66, v86
	;; [unrolled: 1-line block ×4, first 2 shown]
	buffer_load_dword v85, off, s[24:27], 0 offset:352 ; 4-byte Folded Reload
	buffer_load_dword v86, off, s[24:27], 0 offset:356 ; 4-byte Folded Reload
	v_ashrrev_i32_e32 v94, 31, v93
	v_lshlrev_b64 v[94:95], 2, v[93:94]
	s_waitcnt vmcnt(1)
	v_add_co_u32_e32 v94, vcc, v85, v94
	s_waitcnt vmcnt(0)
	v_addc_co_u32_e32 v95, vcc, v86, v95, vcc
	global_load_dword v0, v[94:95], off
	global_load_dword v92, v[85:86], off offset:88
	s_waitcnt vmcnt(1)
	global_store_dword v[85:86], v0, off offset:88
	v_mov_b32_e32 v88, v68
	v_mov_b32_e32 v87, v67
	v_mov_b32_e32 v86, v66
	v_mov_b32_e32 v85, v65
	s_waitcnt vmcnt(1)
	global_store_dword v[94:95], v92, off
.LBB96_476:
	s_or_b64 exec, exec, s[20:21]
	v_mov_b32_e32 v92, v93
	v_mov_b32_e32 v0, v93
.LBB96_477:
	s_or_b64 exec, exec, s[18:19]
.LBB96_478:
	s_andn2_saveexec_b64 s[0:1], s[0:1]
	s_cbranch_execz .LBB96_480
; %bb.479:
	buffer_load_dword v65, off, s[24:27], 0 offset:16 ; 4-byte Folded Reload
	buffer_load_dword v66, off, s[24:27], 0 offset:20 ; 4-byte Folded Reload
	;; [unrolled: 1-line block ×4, first 2 shown]
	v_mov_b32_e32 v92, 22
	s_waitcnt vmcnt(0)
	ds_write2_b64 v90, v[65:66], v[67:68] offset0:46 offset1:47
	ds_write2_b64 v90, v[85:86], v[87:88] offset0:48 offset1:49
	;; [unrolled: 1-line block ×8, first 2 shown]
	buffer_load_dword v65, off, s[24:27], 0 ; 4-byte Folded Reload
	buffer_load_dword v66, off, s[24:27], 0 offset:4 ; 4-byte Folded Reload
	buffer_load_dword v67, off, s[24:27], 0 offset:8 ; 4-byte Folded Reload
	buffer_load_dword v68, off, s[24:27], 0 offset:12 ; 4-byte Folded Reload
	s_waitcnt vmcnt(0)
	ds_write2_b64 v90, v[65:66], v[67:68] offset0:62 offset1:63
	ds_write2_b64 v90, v[61:62], v[63:64] offset0:64 offset1:65
	;; [unrolled: 1-line block ×18, first 2 shown]
.LBB96_480:
	s_or_b64 exec, exec, s[0:1]
	v_cmp_lt_i32_e32 vcc, 22, v92
	s_waitcnt vmcnt(0) lgkmcnt(0)
	s_barrier
	s_and_saveexec_b64 s[0:1], vcc
	s_cbranch_execz .LBB96_482
; %bb.481:
	buffer_load_dword v99, off, s[24:27], 0 offset:32 ; 4-byte Folded Reload
	buffer_load_dword v100, off, s[24:27], 0 offset:36 ; 4-byte Folded Reload
	buffer_load_dword v101, off, s[24:27], 0 offset:40 ; 4-byte Folded Reload
	buffer_load_dword v102, off, s[24:27], 0 offset:44 ; 4-byte Folded Reload
	s_waitcnt vmcnt(0)
	v_mul_f64 v[95:96], v[117:118], v[101:102]
	v_mul_f64 v[93:94], v[119:120], v[101:102]
	v_fma_f64 v[101:102], v[119:120], v[99:100], v[95:96]
	ds_read2_b64 v[95:98], v90 offset0:46 offset1:47
	buffer_load_dword v65, off, s[24:27], 0 offset:16 ; 4-byte Folded Reload
	buffer_load_dword v66, off, s[24:27], 0 offset:20 ; 4-byte Folded Reload
	;; [unrolled: 1-line block ×4, first 2 shown]
	v_fma_f64 v[93:94], v[117:118], v[99:100], -v[93:94]
	s_waitcnt lgkmcnt(0)
	v_mul_f64 v[99:100], v[97:98], v[101:102]
	v_fma_f64 v[99:100], v[95:96], v[93:94], -v[99:100]
	v_mul_f64 v[95:96], v[95:96], v[101:102]
	v_fma_f64 v[95:96], v[97:98], v[93:94], v[95:96]
	s_waitcnt vmcnt(2)
	v_add_f64 v[65:66], v[65:66], -v[99:100]
	s_waitcnt vmcnt(0)
	v_add_f64 v[67:68], v[67:68], -v[95:96]
	buffer_store_dword v65, off, s[24:27], 0 offset:16 ; 4-byte Folded Spill
	s_nop 0
	buffer_store_dword v66, off, s[24:27], 0 offset:20 ; 4-byte Folded Spill
	buffer_store_dword v67, off, s[24:27], 0 offset:24 ; 4-byte Folded Spill
	buffer_store_dword v68, off, s[24:27], 0 offset:28 ; 4-byte Folded Spill
	ds_read2_b64 v[95:98], v90 offset0:48 offset1:49
	s_waitcnt lgkmcnt(0)
	v_mul_f64 v[99:100], v[97:98], v[101:102]
	v_fma_f64 v[99:100], v[95:96], v[93:94], -v[99:100]
	v_mul_f64 v[95:96], v[95:96], v[101:102]
	v_add_f64 v[85:86], v[85:86], -v[99:100]
	v_fma_f64 v[95:96], v[97:98], v[93:94], v[95:96]
	v_add_f64 v[87:88], v[87:88], -v[95:96]
	ds_read2_b64 v[95:98], v90 offset0:50 offset1:51
	s_waitcnt lgkmcnt(0)
	v_mul_f64 v[99:100], v[97:98], v[101:102]
	v_fma_f64 v[99:100], v[95:96], v[93:94], -v[99:100]
	v_mul_f64 v[95:96], v[95:96], v[101:102]
	v_add_f64 v[107:108], v[107:108], -v[99:100]
	v_fma_f64 v[95:96], v[97:98], v[93:94], v[95:96]
	v_add_f64 v[109:110], v[109:110], -v[95:96]
	;; [unrolled: 8-line block ×7, first 2 shown]
	ds_read2_b64 v[95:98], v90 offset0:62 offset1:63
	buffer_load_dword v65, off, s[24:27], 0 ; 4-byte Folded Reload
	buffer_load_dword v66, off, s[24:27], 0 offset:4 ; 4-byte Folded Reload
	buffer_load_dword v67, off, s[24:27], 0 offset:8 ; 4-byte Folded Reload
	;; [unrolled: 1-line block ×3, first 2 shown]
	s_waitcnt lgkmcnt(0)
	v_mul_f64 v[99:100], v[97:98], v[101:102]
	v_fma_f64 v[99:100], v[95:96], v[93:94], -v[99:100]
	v_mul_f64 v[95:96], v[95:96], v[101:102]
	v_fma_f64 v[95:96], v[97:98], v[93:94], v[95:96]
	s_waitcnt vmcnt(2)
	v_add_f64 v[65:66], v[65:66], -v[99:100]
	s_waitcnt vmcnt(0)
	v_add_f64 v[67:68], v[67:68], -v[95:96]
	buffer_store_dword v65, off, s[24:27], 0 ; 4-byte Folded Spill
	s_nop 0
	buffer_store_dword v66, off, s[24:27], 0 offset:4 ; 4-byte Folded Spill
	buffer_store_dword v67, off, s[24:27], 0 offset:8 ; 4-byte Folded Spill
	;; [unrolled: 1-line block ×3, first 2 shown]
	ds_read2_b64 v[95:98], v90 offset0:64 offset1:65
	s_waitcnt lgkmcnt(0)
	v_mul_f64 v[99:100], v[97:98], v[101:102]
	v_fma_f64 v[99:100], v[95:96], v[93:94], -v[99:100]
	v_mul_f64 v[95:96], v[95:96], v[101:102]
	v_add_f64 v[61:62], v[61:62], -v[99:100]
	v_fma_f64 v[95:96], v[97:98], v[93:94], v[95:96]
	v_add_f64 v[63:64], v[63:64], -v[95:96]
	ds_read2_b64 v[95:98], v90 offset0:66 offset1:67
	s_waitcnt lgkmcnt(0)
	v_mul_f64 v[99:100], v[97:98], v[101:102]
	v_fma_f64 v[99:100], v[95:96], v[93:94], -v[99:100]
	v_mul_f64 v[95:96], v[95:96], v[101:102]
	v_add_f64 v[57:58], v[57:58], -v[99:100]
	v_fma_f64 v[95:96], v[97:98], v[93:94], v[95:96]
	v_add_f64 v[59:60], v[59:60], -v[95:96]
	ds_read2_b64 v[95:98], v90 offset0:68 offset1:69
	s_waitcnt lgkmcnt(0)
	v_mul_f64 v[99:100], v[97:98], v[101:102]
	v_fma_f64 v[99:100], v[95:96], v[93:94], -v[99:100]
	v_mul_f64 v[95:96], v[95:96], v[101:102]
	v_add_f64 v[53:54], v[53:54], -v[99:100]
	v_fma_f64 v[95:96], v[97:98], v[93:94], v[95:96]
	v_add_f64 v[55:56], v[55:56], -v[95:96]
	ds_read2_b64 v[95:98], v90 offset0:70 offset1:71
	s_waitcnt lgkmcnt(0)
	v_mul_f64 v[99:100], v[97:98], v[101:102]
	v_fma_f64 v[99:100], v[95:96], v[93:94], -v[99:100]
	v_mul_f64 v[95:96], v[95:96], v[101:102]
	v_add_f64 v[49:50], v[49:50], -v[99:100]
	v_fma_f64 v[95:96], v[97:98], v[93:94], v[95:96]
	v_add_f64 v[51:52], v[51:52], -v[95:96]
	ds_read2_b64 v[95:98], v90 offset0:72 offset1:73
	s_waitcnt lgkmcnt(0)
	v_mul_f64 v[99:100], v[97:98], v[101:102]
	v_fma_f64 v[99:100], v[95:96], v[93:94], -v[99:100]
	v_mul_f64 v[95:96], v[95:96], v[101:102]
	v_add_f64 v[45:46], v[45:46], -v[99:100]
	v_fma_f64 v[95:96], v[97:98], v[93:94], v[95:96]
	v_add_f64 v[47:48], v[47:48], -v[95:96]
	ds_read2_b64 v[95:98], v90 offset0:74 offset1:75
	s_waitcnt lgkmcnt(0)
	v_mul_f64 v[99:100], v[97:98], v[101:102]
	v_fma_f64 v[99:100], v[95:96], v[93:94], -v[99:100]
	v_mul_f64 v[95:96], v[95:96], v[101:102]
	v_add_f64 v[41:42], v[41:42], -v[99:100]
	v_fma_f64 v[95:96], v[97:98], v[93:94], v[95:96]
	v_add_f64 v[43:44], v[43:44], -v[95:96]
	ds_read2_b64 v[95:98], v90 offset0:76 offset1:77
	s_waitcnt lgkmcnt(0)
	v_mul_f64 v[99:100], v[97:98], v[101:102]
	v_fma_f64 v[99:100], v[95:96], v[93:94], -v[99:100]
	v_mul_f64 v[95:96], v[95:96], v[101:102]
	v_add_f64 v[37:38], v[37:38], -v[99:100]
	v_fma_f64 v[95:96], v[97:98], v[93:94], v[95:96]
	v_add_f64 v[39:40], v[39:40], -v[95:96]
	ds_read2_b64 v[95:98], v90 offset0:78 offset1:79
	s_waitcnt lgkmcnt(0)
	v_mul_f64 v[99:100], v[97:98], v[101:102]
	v_fma_f64 v[99:100], v[95:96], v[93:94], -v[99:100]
	v_mul_f64 v[95:96], v[95:96], v[101:102]
	v_add_f64 v[33:34], v[33:34], -v[99:100]
	v_fma_f64 v[95:96], v[97:98], v[93:94], v[95:96]
	v_add_f64 v[35:36], v[35:36], -v[95:96]
	ds_read2_b64 v[95:98], v90 offset0:80 offset1:81
	s_waitcnt lgkmcnt(0)
	v_mul_f64 v[99:100], v[97:98], v[101:102]
	v_fma_f64 v[99:100], v[95:96], v[93:94], -v[99:100]
	v_mul_f64 v[95:96], v[95:96], v[101:102]
	v_add_f64 v[29:30], v[29:30], -v[99:100]
	v_fma_f64 v[95:96], v[97:98], v[93:94], v[95:96]
	v_add_f64 v[31:32], v[31:32], -v[95:96]
	ds_read2_b64 v[95:98], v90 offset0:82 offset1:83
	s_waitcnt lgkmcnt(0)
	v_mul_f64 v[99:100], v[97:98], v[101:102]
	v_fma_f64 v[99:100], v[95:96], v[93:94], -v[99:100]
	v_mul_f64 v[95:96], v[95:96], v[101:102]
	v_add_f64 v[25:26], v[25:26], -v[99:100]
	v_fma_f64 v[95:96], v[97:98], v[93:94], v[95:96]
	v_add_f64 v[27:28], v[27:28], -v[95:96]
	ds_read2_b64 v[95:98], v90 offset0:84 offset1:85
	s_waitcnt lgkmcnt(0)
	v_mul_f64 v[99:100], v[97:98], v[101:102]
	v_fma_f64 v[99:100], v[95:96], v[93:94], -v[99:100]
	v_mul_f64 v[95:96], v[95:96], v[101:102]
	v_add_f64 v[21:22], v[21:22], -v[99:100]
	v_fma_f64 v[95:96], v[97:98], v[93:94], v[95:96]
	v_add_f64 v[23:24], v[23:24], -v[95:96]
	ds_read2_b64 v[95:98], v90 offset0:86 offset1:87
	s_waitcnt lgkmcnt(0)
	v_mul_f64 v[99:100], v[97:98], v[101:102]
	v_fma_f64 v[99:100], v[95:96], v[93:94], -v[99:100]
	v_mul_f64 v[95:96], v[95:96], v[101:102]
	v_add_f64 v[17:18], v[17:18], -v[99:100]
	v_fma_f64 v[95:96], v[97:98], v[93:94], v[95:96]
	v_add_f64 v[19:20], v[19:20], -v[95:96]
	ds_read2_b64 v[95:98], v90 offset0:88 offset1:89
	s_waitcnt lgkmcnt(0)
	v_mul_f64 v[99:100], v[97:98], v[101:102]
	v_fma_f64 v[99:100], v[95:96], v[93:94], -v[99:100]
	v_mul_f64 v[95:96], v[95:96], v[101:102]
	v_add_f64 v[13:14], v[13:14], -v[99:100]
	v_fma_f64 v[95:96], v[97:98], v[93:94], v[95:96]
	v_add_f64 v[15:16], v[15:16], -v[95:96]
	ds_read2_b64 v[95:98], v90 offset0:90 offset1:91
	s_waitcnt lgkmcnt(0)
	v_mul_f64 v[99:100], v[97:98], v[101:102]
	v_fma_f64 v[99:100], v[95:96], v[93:94], -v[99:100]
	v_mul_f64 v[95:96], v[95:96], v[101:102]
	v_add_f64 v[9:10], v[9:10], -v[99:100]
	v_fma_f64 v[95:96], v[97:98], v[93:94], v[95:96]
	v_add_f64 v[11:12], v[11:12], -v[95:96]
	ds_read2_b64 v[95:98], v90 offset0:92 offset1:93
	s_waitcnt lgkmcnt(0)
	v_mul_f64 v[99:100], v[97:98], v[101:102]
	v_fma_f64 v[99:100], v[95:96], v[93:94], -v[99:100]
	v_mul_f64 v[95:96], v[95:96], v[101:102]
	v_add_f64 v[5:6], v[5:6], -v[99:100]
	v_fma_f64 v[95:96], v[97:98], v[93:94], v[95:96]
	v_add_f64 v[7:8], v[7:8], -v[95:96]
	ds_read2_b64 v[95:98], v90 offset0:94 offset1:95
	s_waitcnt lgkmcnt(0)
	v_mul_f64 v[99:100], v[97:98], v[101:102]
	v_fma_f64 v[99:100], v[95:96], v[93:94], -v[99:100]
	v_mul_f64 v[95:96], v[95:96], v[101:102]
	v_add_f64 v[1:2], v[1:2], -v[99:100]
	v_fma_f64 v[95:96], v[97:98], v[93:94], v[95:96]
	v_add_f64 v[3:4], v[3:4], -v[95:96]
	ds_read2_b64 v[95:98], v90 offset0:96 offset1:97
	s_waitcnt lgkmcnt(0)
	v_mul_f64 v[99:100], v[97:98], v[101:102]
	v_fma_f64 v[99:100], v[95:96], v[93:94], -v[99:100]
	v_mul_f64 v[95:96], v[95:96], v[101:102]
	v_add_f64 v[121:122], v[121:122], -v[99:100]
	v_fma_f64 v[95:96], v[97:98], v[93:94], v[95:96]
	v_mov_b32_e32 v100, v94
	v_mov_b32_e32 v99, v93
	buffer_store_dword v99, off, s[24:27], 0 offset:32 ; 4-byte Folded Spill
	s_nop 0
	buffer_store_dword v100, off, s[24:27], 0 offset:36 ; 4-byte Folded Spill
	buffer_store_dword v101, off, s[24:27], 0 offset:40 ; 4-byte Folded Spill
	;; [unrolled: 1-line block ×3, first 2 shown]
	v_add_f64 v[123:124], v[123:124], -v[95:96]
.LBB96_482:
	s_or_b64 exec, exec, s[0:1]
	s_waitcnt vmcnt(0)
	s_barrier
	buffer_load_dword v65, off, s[24:27], 0 offset:16 ; 4-byte Folded Reload
	buffer_load_dword v66, off, s[24:27], 0 offset:20 ; 4-byte Folded Reload
	;; [unrolled: 1-line block ×4, first 2 shown]
	v_lshl_add_u32 v93, v92, 4, v90
	s_cmp_lt_i32 s3, 25
	s_waitcnt vmcnt(0)
	ds_write2_b64 v93, v[65:66], v[67:68] offset1:1
	s_waitcnt lgkmcnt(0)
	s_barrier
	ds_read2_b64 v[117:120], v90 offset0:46 offset1:47
	v_mov_b32_e32 v93, 23
	s_cbranch_scc1 .LBB96_485
; %bb.483:
	v_add_u32_e32 v94, 0x180, v90
	s_mov_b32 s0, 24
	v_mov_b32_e32 v93, 23
.LBB96_484:                             ; =>This Inner Loop Header: Depth=1
	s_waitcnt lgkmcnt(0)
	v_cmp_gt_f64_e32 vcc, 0, v[117:118]
	v_xor_b32_e32 v99, 0x80000000, v118
	ds_read2_b64 v[95:98], v94 offset1:1
	v_xor_b32_e32 v101, 0x80000000, v120
	v_add_u32_e32 v94, 16, v94
	s_waitcnt lgkmcnt(0)
	v_xor_b32_e32 v103, 0x80000000, v98
	v_cndmask_b32_e32 v100, v118, v99, vcc
	v_cmp_gt_f64_e32 vcc, 0, v[119:120]
	v_mov_b32_e32 v99, v117
	v_cndmask_b32_e32 v102, v120, v101, vcc
	v_cmp_gt_f64_e32 vcc, 0, v[95:96]
	v_mov_b32_e32 v101, v119
	v_add_f64 v[99:100], v[99:100], v[101:102]
	v_xor_b32_e32 v101, 0x80000000, v96
	v_cndmask_b32_e32 v102, v96, v101, vcc
	v_cmp_gt_f64_e32 vcc, 0, v[97:98]
	v_mov_b32_e32 v101, v95
	v_cndmask_b32_e32 v104, v98, v103, vcc
	v_mov_b32_e32 v103, v97
	v_add_f64 v[101:102], v[101:102], v[103:104]
	v_cmp_lt_f64_e32 vcc, v[99:100], v[101:102]
	v_cndmask_b32_e32 v117, v117, v95, vcc
	v_mov_b32_e32 v95, s0
	s_add_i32 s0, s0, 1
	v_cndmask_b32_e32 v118, v118, v96, vcc
	v_cndmask_b32_e32 v120, v120, v98, vcc
	;; [unrolled: 1-line block ×4, first 2 shown]
	s_cmp_lg_u32 s3, s0
	s_cbranch_scc1 .LBB96_484
.LBB96_485:
	s_waitcnt lgkmcnt(0)
	v_cmp_eq_f64_e32 vcc, 0, v[117:118]
	v_cmp_eq_f64_e64 s[0:1], 0, v[119:120]
	s_and_b64 s[0:1], vcc, s[0:1]
	s_and_saveexec_b64 s[18:19], s[0:1]
	s_xor_b64 s[0:1], exec, s[18:19]
; %bb.486:
	v_cmp_ne_u32_e32 vcc, 0, v91
	v_cndmask_b32_e32 v91, 24, v91, vcc
; %bb.487:
	s_andn2_saveexec_b64 s[0:1], s[0:1]
	s_cbranch_execz .LBB96_493
; %bb.488:
	v_cmp_ngt_f64_e64 s[18:19], |v[117:118]|, |v[119:120]|
	s_and_saveexec_b64 s[20:21], s[18:19]
	s_xor_b64 s[18:19], exec, s[20:21]
	s_cbranch_execz .LBB96_490
; %bb.489:
	v_div_scale_f64 v[94:95], s[20:21], v[119:120], v[119:120], v[117:118]
	v_rcp_f64_e32 v[96:97], v[94:95]
	v_fma_f64 v[98:99], -v[94:95], v[96:97], 1.0
	v_fma_f64 v[96:97], v[96:97], v[98:99], v[96:97]
	v_div_scale_f64 v[98:99], vcc, v[117:118], v[119:120], v[117:118]
	v_fma_f64 v[100:101], -v[94:95], v[96:97], 1.0
	v_fma_f64 v[96:97], v[96:97], v[100:101], v[96:97]
	v_mul_f64 v[100:101], v[98:99], v[96:97]
	v_fma_f64 v[94:95], -v[94:95], v[100:101], v[98:99]
	v_div_fmas_f64 v[94:95], v[94:95], v[96:97], v[100:101]
	v_div_fixup_f64 v[94:95], v[94:95], v[119:120], v[117:118]
	v_fma_f64 v[96:97], v[117:118], v[94:95], v[119:120]
	v_div_scale_f64 v[98:99], s[20:21], v[96:97], v[96:97], 1.0
	v_div_scale_f64 v[104:105], vcc, 1.0, v[96:97], 1.0
	v_rcp_f64_e32 v[100:101], v[98:99]
	v_fma_f64 v[102:103], -v[98:99], v[100:101], 1.0
	v_fma_f64 v[100:101], v[100:101], v[102:103], v[100:101]
	v_fma_f64 v[102:103], -v[98:99], v[100:101], 1.0
	v_fma_f64 v[100:101], v[100:101], v[102:103], v[100:101]
	v_mul_f64 v[102:103], v[104:105], v[100:101]
	v_fma_f64 v[98:99], -v[98:99], v[102:103], v[104:105]
	v_div_fmas_f64 v[98:99], v[98:99], v[100:101], v[102:103]
	v_div_fixup_f64 v[119:120], v[98:99], v[96:97], 1.0
	v_mul_f64 v[117:118], v[94:95], v[119:120]
	v_xor_b32_e32 v120, 0x80000000, v120
.LBB96_490:
	s_andn2_saveexec_b64 s[18:19], s[18:19]
	s_cbranch_execz .LBB96_492
; %bb.491:
	v_div_scale_f64 v[94:95], s[20:21], v[117:118], v[117:118], v[119:120]
	v_rcp_f64_e32 v[96:97], v[94:95]
	v_fma_f64 v[98:99], -v[94:95], v[96:97], 1.0
	v_fma_f64 v[96:97], v[96:97], v[98:99], v[96:97]
	v_div_scale_f64 v[98:99], vcc, v[119:120], v[117:118], v[119:120]
	v_fma_f64 v[100:101], -v[94:95], v[96:97], 1.0
	v_fma_f64 v[96:97], v[96:97], v[100:101], v[96:97]
	v_mul_f64 v[100:101], v[98:99], v[96:97]
	v_fma_f64 v[94:95], -v[94:95], v[100:101], v[98:99]
	v_div_fmas_f64 v[94:95], v[94:95], v[96:97], v[100:101]
	v_div_fixup_f64 v[94:95], v[94:95], v[117:118], v[119:120]
	v_fma_f64 v[96:97], v[119:120], v[94:95], v[117:118]
	v_div_scale_f64 v[98:99], s[20:21], v[96:97], v[96:97], 1.0
	v_div_scale_f64 v[104:105], vcc, 1.0, v[96:97], 1.0
	v_rcp_f64_e32 v[100:101], v[98:99]
	v_fma_f64 v[102:103], -v[98:99], v[100:101], 1.0
	v_fma_f64 v[100:101], v[100:101], v[102:103], v[100:101]
	v_fma_f64 v[102:103], -v[98:99], v[100:101], 1.0
	v_fma_f64 v[100:101], v[100:101], v[102:103], v[100:101]
	v_mul_f64 v[102:103], v[104:105], v[100:101]
	v_fma_f64 v[98:99], -v[98:99], v[102:103], v[104:105]
	v_div_fmas_f64 v[98:99], v[98:99], v[100:101], v[102:103]
	v_div_fixup_f64 v[117:118], v[98:99], v[96:97], 1.0
	v_mul_f64 v[119:120], v[94:95], -v[117:118]
.LBB96_492:
	s_or_b64 exec, exec, s[18:19]
.LBB96_493:
	s_or_b64 exec, exec, s[0:1]
	v_cmp_ne_u32_e32 vcc, v92, v93
	s_and_saveexec_b64 s[0:1], vcc
	s_xor_b64 s[0:1], exec, s[0:1]
	s_cbranch_execz .LBB96_499
; %bb.494:
	v_cmp_eq_u32_e32 vcc, 23, v92
	s_and_saveexec_b64 s[18:19], vcc
	s_cbranch_execz .LBB96_498
; %bb.495:
	v_cmp_ne_u32_e32 vcc, 23, v93
	s_xor_b64 s[20:21], s[6:7], -1
	s_and_b64 s[22:23], s[20:21], vcc
	s_and_saveexec_b64 s[20:21], s[22:23]
	s_cbranch_execz .LBB96_497
; %bb.496:
	v_mov_b32_e32 v65, v85
	v_mov_b32_e32 v66, v86
	;; [unrolled: 1-line block ×4, first 2 shown]
	buffer_load_dword v85, off, s[24:27], 0 offset:352 ; 4-byte Folded Reload
	buffer_load_dword v86, off, s[24:27], 0 offset:356 ; 4-byte Folded Reload
	v_ashrrev_i32_e32 v94, 31, v93
	v_lshlrev_b64 v[94:95], 2, v[93:94]
	s_waitcnt vmcnt(1)
	v_add_co_u32_e32 v94, vcc, v85, v94
	s_waitcnt vmcnt(0)
	v_addc_co_u32_e32 v95, vcc, v86, v95, vcc
	global_load_dword v0, v[94:95], off
	global_load_dword v92, v[85:86], off offset:92
	s_waitcnt vmcnt(1)
	global_store_dword v[85:86], v0, off offset:92
	v_mov_b32_e32 v88, v68
	v_mov_b32_e32 v87, v67
	;; [unrolled: 1-line block ×4, first 2 shown]
	s_waitcnt vmcnt(1)
	global_store_dword v[94:95], v92, off
.LBB96_497:
	s_or_b64 exec, exec, s[20:21]
	v_mov_b32_e32 v92, v93
	v_mov_b32_e32 v0, v93
.LBB96_498:
	s_or_b64 exec, exec, s[18:19]
.LBB96_499:
	s_andn2_saveexec_b64 s[0:1], s[0:1]
	s_cbranch_execz .LBB96_501
; %bb.500:
	ds_write2_b64 v90, v[85:86], v[87:88] offset0:48 offset1:49
	ds_write2_b64 v90, v[107:108], v[109:110] offset0:50 offset1:51
	ds_write2_b64 v90, v[113:114], v[115:116] offset0:52 offset1:53
	ds_write2_b64 v90, v[81:82], v[83:84] offset0:54 offset1:55
	ds_write2_b64 v90, v[77:78], v[79:80] offset0:56 offset1:57
	ds_write2_b64 v90, v[73:74], v[75:76] offset0:58 offset1:59
	ds_write2_b64 v90, v[69:70], v[71:72] offset0:60 offset1:61
	buffer_load_dword v65, off, s[24:27], 0 ; 4-byte Folded Reload
	buffer_load_dword v66, off, s[24:27], 0 offset:4 ; 4-byte Folded Reload
	buffer_load_dword v67, off, s[24:27], 0 offset:8 ; 4-byte Folded Reload
	;; [unrolled: 1-line block ×3, first 2 shown]
	v_mov_b32_e32 v92, 23
	s_waitcnt vmcnt(0)
	ds_write2_b64 v90, v[65:66], v[67:68] offset0:62 offset1:63
	ds_write2_b64 v90, v[61:62], v[63:64] offset0:64 offset1:65
	;; [unrolled: 1-line block ×18, first 2 shown]
.LBB96_501:
	s_or_b64 exec, exec, s[0:1]
	v_cmp_lt_i32_e32 vcc, 23, v92
	s_waitcnt vmcnt(0) lgkmcnt(0)
	s_barrier
	s_and_saveexec_b64 s[0:1], vcc
	s_cbranch_execz .LBB96_503
; %bb.502:
	buffer_load_dword v99, off, s[24:27], 0 offset:16 ; 4-byte Folded Reload
	buffer_load_dword v100, off, s[24:27], 0 offset:20 ; 4-byte Folded Reload
	;; [unrolled: 1-line block ×4, first 2 shown]
	s_waitcnt vmcnt(0)
	v_mul_f64 v[95:96], v[117:118], v[101:102]
	v_mul_f64 v[93:94], v[119:120], v[101:102]
	v_fma_f64 v[101:102], v[119:120], v[99:100], v[95:96]
	ds_read2_b64 v[95:98], v90 offset0:48 offset1:49
	v_fma_f64 v[93:94], v[117:118], v[99:100], -v[93:94]
	s_waitcnt lgkmcnt(0)
	v_mul_f64 v[99:100], v[97:98], v[101:102]
	v_fma_f64 v[99:100], v[95:96], v[93:94], -v[99:100]
	v_mul_f64 v[95:96], v[95:96], v[101:102]
	v_add_f64 v[85:86], v[85:86], -v[99:100]
	v_fma_f64 v[95:96], v[97:98], v[93:94], v[95:96]
	v_add_f64 v[87:88], v[87:88], -v[95:96]
	ds_read2_b64 v[95:98], v90 offset0:50 offset1:51
	s_waitcnt lgkmcnt(0)
	v_mul_f64 v[99:100], v[97:98], v[101:102]
	v_fma_f64 v[99:100], v[95:96], v[93:94], -v[99:100]
	v_mul_f64 v[95:96], v[95:96], v[101:102]
	v_add_f64 v[107:108], v[107:108], -v[99:100]
	v_fma_f64 v[95:96], v[97:98], v[93:94], v[95:96]
	v_add_f64 v[109:110], v[109:110], -v[95:96]
	ds_read2_b64 v[95:98], v90 offset0:52 offset1:53
	;; [unrolled: 8-line block ×7, first 2 shown]
	buffer_load_dword v65, off, s[24:27], 0 ; 4-byte Folded Reload
	buffer_load_dword v66, off, s[24:27], 0 offset:4 ; 4-byte Folded Reload
	buffer_load_dword v67, off, s[24:27], 0 offset:8 ; 4-byte Folded Reload
	;; [unrolled: 1-line block ×3, first 2 shown]
	s_waitcnt lgkmcnt(0)
	v_mul_f64 v[99:100], v[97:98], v[101:102]
	v_fma_f64 v[99:100], v[95:96], v[93:94], -v[99:100]
	v_mul_f64 v[95:96], v[95:96], v[101:102]
	v_fma_f64 v[95:96], v[97:98], v[93:94], v[95:96]
	s_waitcnt vmcnt(2)
	v_add_f64 v[65:66], v[65:66], -v[99:100]
	s_waitcnt vmcnt(0)
	v_add_f64 v[67:68], v[67:68], -v[95:96]
	buffer_store_dword v65, off, s[24:27], 0 ; 4-byte Folded Spill
	s_nop 0
	buffer_store_dword v66, off, s[24:27], 0 offset:4 ; 4-byte Folded Spill
	buffer_store_dword v67, off, s[24:27], 0 offset:8 ; 4-byte Folded Spill
	;; [unrolled: 1-line block ×3, first 2 shown]
	ds_read2_b64 v[95:98], v90 offset0:64 offset1:65
	s_waitcnt lgkmcnt(0)
	v_mul_f64 v[99:100], v[97:98], v[101:102]
	v_fma_f64 v[99:100], v[95:96], v[93:94], -v[99:100]
	v_mul_f64 v[95:96], v[95:96], v[101:102]
	v_add_f64 v[61:62], v[61:62], -v[99:100]
	v_fma_f64 v[95:96], v[97:98], v[93:94], v[95:96]
	v_add_f64 v[63:64], v[63:64], -v[95:96]
	ds_read2_b64 v[95:98], v90 offset0:66 offset1:67
	s_waitcnt lgkmcnt(0)
	v_mul_f64 v[99:100], v[97:98], v[101:102]
	v_fma_f64 v[99:100], v[95:96], v[93:94], -v[99:100]
	v_mul_f64 v[95:96], v[95:96], v[101:102]
	v_add_f64 v[57:58], v[57:58], -v[99:100]
	v_fma_f64 v[95:96], v[97:98], v[93:94], v[95:96]
	v_add_f64 v[59:60], v[59:60], -v[95:96]
	;; [unrolled: 8-line block ×16, first 2 shown]
	ds_read2_b64 v[95:98], v90 offset0:96 offset1:97
	s_waitcnt lgkmcnt(0)
	v_mul_f64 v[99:100], v[97:98], v[101:102]
	v_fma_f64 v[99:100], v[95:96], v[93:94], -v[99:100]
	v_mul_f64 v[95:96], v[95:96], v[101:102]
	v_add_f64 v[121:122], v[121:122], -v[99:100]
	v_fma_f64 v[95:96], v[97:98], v[93:94], v[95:96]
	v_mov_b32_e32 v100, v94
	v_mov_b32_e32 v99, v93
	buffer_store_dword v99, off, s[24:27], 0 offset:16 ; 4-byte Folded Spill
	s_nop 0
	buffer_store_dword v100, off, s[24:27], 0 offset:20 ; 4-byte Folded Spill
	buffer_store_dword v101, off, s[24:27], 0 offset:24 ; 4-byte Folded Spill
	;; [unrolled: 1-line block ×3, first 2 shown]
	v_add_f64 v[123:124], v[123:124], -v[95:96]
.LBB96_503:
	s_or_b64 exec, exec, s[0:1]
	v_lshl_add_u32 v93, v92, 4, v90
	s_waitcnt vmcnt(0)
	s_barrier
	ds_write2_b64 v93, v[85:86], v[87:88] offset1:1
	s_waitcnt lgkmcnt(0)
	s_barrier
	ds_read2_b64 v[117:120], v90 offset0:48 offset1:49
	s_cmp_lt_i32 s3, 26
	v_mov_b32_e32 v93, 24
	s_cbranch_scc1 .LBB96_506
; %bb.504:
	v_add_u32_e32 v94, 0x190, v90
	s_mov_b32 s0, 25
	v_mov_b32_e32 v93, 24
.LBB96_505:                             ; =>This Inner Loop Header: Depth=1
	s_waitcnt lgkmcnt(0)
	v_cmp_gt_f64_e32 vcc, 0, v[117:118]
	v_xor_b32_e32 v99, 0x80000000, v118
	ds_read2_b64 v[95:98], v94 offset1:1
	v_xor_b32_e32 v101, 0x80000000, v120
	v_add_u32_e32 v94, 16, v94
	s_waitcnt lgkmcnt(0)
	v_xor_b32_e32 v103, 0x80000000, v98
	v_cndmask_b32_e32 v100, v118, v99, vcc
	v_cmp_gt_f64_e32 vcc, 0, v[119:120]
	v_mov_b32_e32 v99, v117
	v_cndmask_b32_e32 v102, v120, v101, vcc
	v_cmp_gt_f64_e32 vcc, 0, v[95:96]
	v_mov_b32_e32 v101, v119
	v_add_f64 v[99:100], v[99:100], v[101:102]
	v_xor_b32_e32 v101, 0x80000000, v96
	v_cndmask_b32_e32 v102, v96, v101, vcc
	v_cmp_gt_f64_e32 vcc, 0, v[97:98]
	v_mov_b32_e32 v101, v95
	v_cndmask_b32_e32 v104, v98, v103, vcc
	v_mov_b32_e32 v103, v97
	v_add_f64 v[101:102], v[101:102], v[103:104]
	v_cmp_lt_f64_e32 vcc, v[99:100], v[101:102]
	v_cndmask_b32_e32 v117, v117, v95, vcc
	v_mov_b32_e32 v95, s0
	s_add_i32 s0, s0, 1
	v_cndmask_b32_e32 v118, v118, v96, vcc
	v_cndmask_b32_e32 v120, v120, v98, vcc
	;; [unrolled: 1-line block ×4, first 2 shown]
	s_cmp_lg_u32 s3, s0
	s_cbranch_scc1 .LBB96_505
.LBB96_506:
	s_waitcnt lgkmcnt(0)
	v_cmp_eq_f64_e32 vcc, 0, v[117:118]
	v_cmp_eq_f64_e64 s[0:1], 0, v[119:120]
	s_and_b64 s[0:1], vcc, s[0:1]
	s_and_saveexec_b64 s[18:19], s[0:1]
	s_xor_b64 s[0:1], exec, s[18:19]
; %bb.507:
	v_cmp_ne_u32_e32 vcc, 0, v91
	v_cndmask_b32_e32 v91, 25, v91, vcc
; %bb.508:
	s_andn2_saveexec_b64 s[0:1], s[0:1]
	s_cbranch_execz .LBB96_514
; %bb.509:
	v_cmp_ngt_f64_e64 s[18:19], |v[117:118]|, |v[119:120]|
	s_and_saveexec_b64 s[20:21], s[18:19]
	s_xor_b64 s[18:19], exec, s[20:21]
	s_cbranch_execz .LBB96_511
; %bb.510:
	v_div_scale_f64 v[94:95], s[20:21], v[119:120], v[119:120], v[117:118]
	v_rcp_f64_e32 v[96:97], v[94:95]
	v_fma_f64 v[98:99], -v[94:95], v[96:97], 1.0
	v_fma_f64 v[96:97], v[96:97], v[98:99], v[96:97]
	v_div_scale_f64 v[98:99], vcc, v[117:118], v[119:120], v[117:118]
	v_fma_f64 v[100:101], -v[94:95], v[96:97], 1.0
	v_fma_f64 v[96:97], v[96:97], v[100:101], v[96:97]
	v_mul_f64 v[100:101], v[98:99], v[96:97]
	v_fma_f64 v[94:95], -v[94:95], v[100:101], v[98:99]
	v_div_fmas_f64 v[94:95], v[94:95], v[96:97], v[100:101]
	v_div_fixup_f64 v[94:95], v[94:95], v[119:120], v[117:118]
	v_fma_f64 v[96:97], v[117:118], v[94:95], v[119:120]
	v_div_scale_f64 v[98:99], s[20:21], v[96:97], v[96:97], 1.0
	v_div_scale_f64 v[104:105], vcc, 1.0, v[96:97], 1.0
	v_rcp_f64_e32 v[100:101], v[98:99]
	v_fma_f64 v[102:103], -v[98:99], v[100:101], 1.0
	v_fma_f64 v[100:101], v[100:101], v[102:103], v[100:101]
	v_fma_f64 v[102:103], -v[98:99], v[100:101], 1.0
	v_fma_f64 v[100:101], v[100:101], v[102:103], v[100:101]
	v_mul_f64 v[102:103], v[104:105], v[100:101]
	v_fma_f64 v[98:99], -v[98:99], v[102:103], v[104:105]
	v_div_fmas_f64 v[98:99], v[98:99], v[100:101], v[102:103]
	v_div_fixup_f64 v[119:120], v[98:99], v[96:97], 1.0
	v_mul_f64 v[117:118], v[94:95], v[119:120]
	v_xor_b32_e32 v120, 0x80000000, v120
.LBB96_511:
	s_andn2_saveexec_b64 s[18:19], s[18:19]
	s_cbranch_execz .LBB96_513
; %bb.512:
	v_div_scale_f64 v[94:95], s[20:21], v[117:118], v[117:118], v[119:120]
	v_rcp_f64_e32 v[96:97], v[94:95]
	v_fma_f64 v[98:99], -v[94:95], v[96:97], 1.0
	v_fma_f64 v[96:97], v[96:97], v[98:99], v[96:97]
	v_div_scale_f64 v[98:99], vcc, v[119:120], v[117:118], v[119:120]
	v_fma_f64 v[100:101], -v[94:95], v[96:97], 1.0
	v_fma_f64 v[96:97], v[96:97], v[100:101], v[96:97]
	v_mul_f64 v[100:101], v[98:99], v[96:97]
	v_fma_f64 v[94:95], -v[94:95], v[100:101], v[98:99]
	v_div_fmas_f64 v[94:95], v[94:95], v[96:97], v[100:101]
	v_div_fixup_f64 v[94:95], v[94:95], v[117:118], v[119:120]
	v_fma_f64 v[96:97], v[119:120], v[94:95], v[117:118]
	v_div_scale_f64 v[98:99], s[20:21], v[96:97], v[96:97], 1.0
	v_div_scale_f64 v[104:105], vcc, 1.0, v[96:97], 1.0
	v_rcp_f64_e32 v[100:101], v[98:99]
	v_fma_f64 v[102:103], -v[98:99], v[100:101], 1.0
	v_fma_f64 v[100:101], v[100:101], v[102:103], v[100:101]
	v_fma_f64 v[102:103], -v[98:99], v[100:101], 1.0
	v_fma_f64 v[100:101], v[100:101], v[102:103], v[100:101]
	v_mul_f64 v[102:103], v[104:105], v[100:101]
	v_fma_f64 v[98:99], -v[98:99], v[102:103], v[104:105]
	v_div_fmas_f64 v[98:99], v[98:99], v[100:101], v[102:103]
	v_div_fixup_f64 v[117:118], v[98:99], v[96:97], 1.0
	v_mul_f64 v[119:120], v[94:95], -v[117:118]
.LBB96_513:
	s_or_b64 exec, exec, s[18:19]
.LBB96_514:
	s_or_b64 exec, exec, s[0:1]
	v_cmp_ne_u32_e32 vcc, v92, v93
	s_and_saveexec_b64 s[0:1], vcc
	s_xor_b64 s[0:1], exec, s[0:1]
	s_cbranch_execz .LBB96_520
; %bb.515:
	v_cmp_eq_u32_e32 vcc, 24, v92
	s_and_saveexec_b64 s[18:19], vcc
	s_cbranch_execz .LBB96_519
; %bb.516:
	v_cmp_ne_u32_e32 vcc, 24, v93
	s_xor_b64 s[20:21], s[6:7], -1
	s_and_b64 s[22:23], s[20:21], vcc
	s_and_saveexec_b64 s[20:21], s[22:23]
	s_cbranch_execz .LBB96_518
; %bb.517:
	v_mov_b32_e32 v65, v85
	v_mov_b32_e32 v66, v86
	;; [unrolled: 1-line block ×4, first 2 shown]
	buffer_load_dword v85, off, s[24:27], 0 offset:352 ; 4-byte Folded Reload
	buffer_load_dword v86, off, s[24:27], 0 offset:356 ; 4-byte Folded Reload
	v_ashrrev_i32_e32 v94, 31, v93
	v_lshlrev_b64 v[94:95], 2, v[93:94]
	s_waitcnt vmcnt(1)
	v_add_co_u32_e32 v94, vcc, v85, v94
	s_waitcnt vmcnt(0)
	v_addc_co_u32_e32 v95, vcc, v86, v95, vcc
	global_load_dword v0, v[94:95], off
	global_load_dword v92, v[85:86], off offset:96
	s_waitcnt vmcnt(1)
	global_store_dword v[85:86], v0, off offset:96
	v_mov_b32_e32 v88, v68
	v_mov_b32_e32 v87, v67
	;; [unrolled: 1-line block ×4, first 2 shown]
	s_waitcnt vmcnt(1)
	global_store_dword v[94:95], v92, off
.LBB96_518:
	s_or_b64 exec, exec, s[20:21]
	v_mov_b32_e32 v92, v93
	v_mov_b32_e32 v0, v93
.LBB96_519:
	s_or_b64 exec, exec, s[18:19]
.LBB96_520:
	s_andn2_saveexec_b64 s[0:1], s[0:1]
	s_cbranch_execz .LBB96_522
; %bb.521:
	ds_write2_b64 v90, v[107:108], v[109:110] offset0:50 offset1:51
	ds_write2_b64 v90, v[113:114], v[115:116] offset0:52 offset1:53
	;; [unrolled: 1-line block ×6, first 2 shown]
	buffer_load_dword v65, off, s[24:27], 0 ; 4-byte Folded Reload
	buffer_load_dword v66, off, s[24:27], 0 offset:4 ; 4-byte Folded Reload
	buffer_load_dword v67, off, s[24:27], 0 offset:8 ; 4-byte Folded Reload
	;; [unrolled: 1-line block ×3, first 2 shown]
	v_mov_b32_e32 v92, 24
	s_waitcnt vmcnt(0)
	ds_write2_b64 v90, v[65:66], v[67:68] offset0:62 offset1:63
	ds_write2_b64 v90, v[61:62], v[63:64] offset0:64 offset1:65
	;; [unrolled: 1-line block ×18, first 2 shown]
.LBB96_522:
	s_or_b64 exec, exec, s[0:1]
	v_cmp_lt_i32_e32 vcc, 24, v92
	s_waitcnt vmcnt(0) lgkmcnt(0)
	s_barrier
	s_and_saveexec_b64 s[0:1], vcc
	s_cbranch_execz .LBB96_524
; %bb.523:
	v_mul_f64 v[95:96], v[117:118], v[87:88]
	v_mul_f64 v[93:94], v[119:120], v[87:88]
	v_fma_f64 v[87:88], v[119:120], v[85:86], v[95:96]
	ds_read2_b64 v[95:98], v90 offset0:50 offset1:51
	v_fma_f64 v[93:94], v[117:118], v[85:86], -v[93:94]
	s_waitcnt lgkmcnt(0)
	v_mul_f64 v[99:100], v[97:98], v[87:88]
	v_mov_b32_e32 v85, v93
	v_mov_b32_e32 v86, v94
	v_fma_f64 v[99:100], v[95:96], v[93:94], -v[99:100]
	v_mul_f64 v[95:96], v[95:96], v[87:88]
	v_add_f64 v[107:108], v[107:108], -v[99:100]
	v_fma_f64 v[95:96], v[97:98], v[93:94], v[95:96]
	v_add_f64 v[109:110], v[109:110], -v[95:96]
	ds_read2_b64 v[95:98], v90 offset0:52 offset1:53
	s_waitcnt lgkmcnt(0)
	v_mul_f64 v[99:100], v[97:98], v[87:88]
	v_fma_f64 v[99:100], v[95:96], v[93:94], -v[99:100]
	v_mul_f64 v[95:96], v[95:96], v[87:88]
	v_add_f64 v[113:114], v[113:114], -v[99:100]
	v_fma_f64 v[95:96], v[97:98], v[93:94], v[95:96]
	v_add_f64 v[115:116], v[115:116], -v[95:96]
	ds_read2_b64 v[95:98], v90 offset0:54 offset1:55
	s_waitcnt lgkmcnt(0)
	v_mul_f64 v[99:100], v[97:98], v[87:88]
	;; [unrolled: 8-line block ×5, first 2 shown]
	v_fma_f64 v[99:100], v[95:96], v[93:94], -v[99:100]
	v_mul_f64 v[95:96], v[95:96], v[87:88]
	v_add_f64 v[69:70], v[69:70], -v[99:100]
	v_fma_f64 v[95:96], v[97:98], v[93:94], v[95:96]
	v_add_f64 v[71:72], v[71:72], -v[95:96]
	ds_read2_b64 v[95:98], v90 offset0:62 offset1:63
	buffer_load_dword v65, off, s[24:27], 0 ; 4-byte Folded Reload
	buffer_load_dword v66, off, s[24:27], 0 offset:4 ; 4-byte Folded Reload
	buffer_load_dword v67, off, s[24:27], 0 offset:8 ; 4-byte Folded Reload
	;; [unrolled: 1-line block ×3, first 2 shown]
	s_waitcnt lgkmcnt(0)
	v_mul_f64 v[99:100], v[97:98], v[87:88]
	v_fma_f64 v[99:100], v[95:96], v[93:94], -v[99:100]
	v_mul_f64 v[95:96], v[95:96], v[87:88]
	v_fma_f64 v[95:96], v[97:98], v[93:94], v[95:96]
	s_waitcnt vmcnt(2)
	v_add_f64 v[65:66], v[65:66], -v[99:100]
	s_waitcnt vmcnt(0)
	v_add_f64 v[67:68], v[67:68], -v[95:96]
	buffer_store_dword v65, off, s[24:27], 0 ; 4-byte Folded Spill
	s_nop 0
	buffer_store_dword v66, off, s[24:27], 0 offset:4 ; 4-byte Folded Spill
	buffer_store_dword v67, off, s[24:27], 0 offset:8 ; 4-byte Folded Spill
	;; [unrolled: 1-line block ×3, first 2 shown]
	ds_read2_b64 v[95:98], v90 offset0:64 offset1:65
	s_waitcnt lgkmcnt(0)
	v_mul_f64 v[99:100], v[97:98], v[87:88]
	v_fma_f64 v[99:100], v[95:96], v[93:94], -v[99:100]
	v_mul_f64 v[95:96], v[95:96], v[87:88]
	v_add_f64 v[61:62], v[61:62], -v[99:100]
	v_fma_f64 v[95:96], v[97:98], v[93:94], v[95:96]
	v_add_f64 v[63:64], v[63:64], -v[95:96]
	ds_read2_b64 v[95:98], v90 offset0:66 offset1:67
	s_waitcnt lgkmcnt(0)
	v_mul_f64 v[99:100], v[97:98], v[87:88]
	v_fma_f64 v[99:100], v[95:96], v[93:94], -v[99:100]
	v_mul_f64 v[95:96], v[95:96], v[87:88]
	v_add_f64 v[57:58], v[57:58], -v[99:100]
	v_fma_f64 v[95:96], v[97:98], v[93:94], v[95:96]
	v_add_f64 v[59:60], v[59:60], -v[95:96]
	;; [unrolled: 8-line block ×17, first 2 shown]
.LBB96_524:
	s_or_b64 exec, exec, s[0:1]
	v_lshl_add_u32 v93, v92, 4, v90
	s_waitcnt vmcnt(0)
	s_barrier
	ds_write2_b64 v93, v[107:108], v[109:110] offset1:1
	s_waitcnt lgkmcnt(0)
	s_barrier
	ds_read2_b64 v[117:120], v90 offset0:50 offset1:51
	s_cmp_lt_i32 s3, 27
	v_mov_b32_e32 v93, 25
	s_cbranch_scc1 .LBB96_527
; %bb.525:
	v_add_u32_e32 v94, 0x1a0, v90
	s_mov_b32 s0, 26
	v_mov_b32_e32 v93, 25
.LBB96_526:                             ; =>This Inner Loop Header: Depth=1
	s_waitcnt lgkmcnt(0)
	v_cmp_gt_f64_e32 vcc, 0, v[117:118]
	v_xor_b32_e32 v99, 0x80000000, v118
	ds_read2_b64 v[95:98], v94 offset1:1
	v_xor_b32_e32 v101, 0x80000000, v120
	v_add_u32_e32 v94, 16, v94
	s_waitcnt lgkmcnt(0)
	v_xor_b32_e32 v103, 0x80000000, v98
	v_cndmask_b32_e32 v100, v118, v99, vcc
	v_cmp_gt_f64_e32 vcc, 0, v[119:120]
	v_mov_b32_e32 v99, v117
	v_cndmask_b32_e32 v102, v120, v101, vcc
	v_cmp_gt_f64_e32 vcc, 0, v[95:96]
	v_mov_b32_e32 v101, v119
	v_add_f64 v[99:100], v[99:100], v[101:102]
	v_xor_b32_e32 v101, 0x80000000, v96
	v_cndmask_b32_e32 v102, v96, v101, vcc
	v_cmp_gt_f64_e32 vcc, 0, v[97:98]
	v_mov_b32_e32 v101, v95
	v_cndmask_b32_e32 v104, v98, v103, vcc
	v_mov_b32_e32 v103, v97
	v_add_f64 v[101:102], v[101:102], v[103:104]
	v_cmp_lt_f64_e32 vcc, v[99:100], v[101:102]
	v_cndmask_b32_e32 v117, v117, v95, vcc
	v_mov_b32_e32 v95, s0
	s_add_i32 s0, s0, 1
	v_cndmask_b32_e32 v118, v118, v96, vcc
	v_cndmask_b32_e32 v120, v120, v98, vcc
	;; [unrolled: 1-line block ×4, first 2 shown]
	s_cmp_lg_u32 s3, s0
	s_cbranch_scc1 .LBB96_526
.LBB96_527:
	s_waitcnt lgkmcnt(0)
	v_cmp_eq_f64_e32 vcc, 0, v[117:118]
	v_cmp_eq_f64_e64 s[0:1], 0, v[119:120]
	s_and_b64 s[0:1], vcc, s[0:1]
	s_and_saveexec_b64 s[18:19], s[0:1]
	s_xor_b64 s[0:1], exec, s[18:19]
; %bb.528:
	v_cmp_ne_u32_e32 vcc, 0, v91
	v_cndmask_b32_e32 v91, 26, v91, vcc
; %bb.529:
	s_andn2_saveexec_b64 s[0:1], s[0:1]
	s_cbranch_execz .LBB96_535
; %bb.530:
	v_cmp_ngt_f64_e64 s[18:19], |v[117:118]|, |v[119:120]|
	s_and_saveexec_b64 s[20:21], s[18:19]
	s_xor_b64 s[18:19], exec, s[20:21]
	s_cbranch_execz .LBB96_532
; %bb.531:
	v_div_scale_f64 v[94:95], s[20:21], v[119:120], v[119:120], v[117:118]
	v_rcp_f64_e32 v[96:97], v[94:95]
	v_fma_f64 v[98:99], -v[94:95], v[96:97], 1.0
	v_fma_f64 v[96:97], v[96:97], v[98:99], v[96:97]
	v_div_scale_f64 v[98:99], vcc, v[117:118], v[119:120], v[117:118]
	v_fma_f64 v[100:101], -v[94:95], v[96:97], 1.0
	v_fma_f64 v[96:97], v[96:97], v[100:101], v[96:97]
	v_mul_f64 v[100:101], v[98:99], v[96:97]
	v_fma_f64 v[94:95], -v[94:95], v[100:101], v[98:99]
	v_div_fmas_f64 v[94:95], v[94:95], v[96:97], v[100:101]
	v_div_fixup_f64 v[94:95], v[94:95], v[119:120], v[117:118]
	v_fma_f64 v[96:97], v[117:118], v[94:95], v[119:120]
	v_div_scale_f64 v[98:99], s[20:21], v[96:97], v[96:97], 1.0
	v_div_scale_f64 v[104:105], vcc, 1.0, v[96:97], 1.0
	v_rcp_f64_e32 v[100:101], v[98:99]
	v_fma_f64 v[102:103], -v[98:99], v[100:101], 1.0
	v_fma_f64 v[100:101], v[100:101], v[102:103], v[100:101]
	v_fma_f64 v[102:103], -v[98:99], v[100:101], 1.0
	v_fma_f64 v[100:101], v[100:101], v[102:103], v[100:101]
	v_mul_f64 v[102:103], v[104:105], v[100:101]
	v_fma_f64 v[98:99], -v[98:99], v[102:103], v[104:105]
	v_div_fmas_f64 v[98:99], v[98:99], v[100:101], v[102:103]
	v_div_fixup_f64 v[119:120], v[98:99], v[96:97], 1.0
	v_mul_f64 v[117:118], v[94:95], v[119:120]
	v_xor_b32_e32 v120, 0x80000000, v120
.LBB96_532:
	s_andn2_saveexec_b64 s[18:19], s[18:19]
	s_cbranch_execz .LBB96_534
; %bb.533:
	v_div_scale_f64 v[94:95], s[20:21], v[117:118], v[117:118], v[119:120]
	v_rcp_f64_e32 v[96:97], v[94:95]
	v_fma_f64 v[98:99], -v[94:95], v[96:97], 1.0
	v_fma_f64 v[96:97], v[96:97], v[98:99], v[96:97]
	v_div_scale_f64 v[98:99], vcc, v[119:120], v[117:118], v[119:120]
	v_fma_f64 v[100:101], -v[94:95], v[96:97], 1.0
	v_fma_f64 v[96:97], v[96:97], v[100:101], v[96:97]
	v_mul_f64 v[100:101], v[98:99], v[96:97]
	v_fma_f64 v[94:95], -v[94:95], v[100:101], v[98:99]
	v_div_fmas_f64 v[94:95], v[94:95], v[96:97], v[100:101]
	v_div_fixup_f64 v[94:95], v[94:95], v[117:118], v[119:120]
	v_fma_f64 v[96:97], v[119:120], v[94:95], v[117:118]
	v_div_scale_f64 v[98:99], s[20:21], v[96:97], v[96:97], 1.0
	v_div_scale_f64 v[104:105], vcc, 1.0, v[96:97], 1.0
	v_rcp_f64_e32 v[100:101], v[98:99]
	v_fma_f64 v[102:103], -v[98:99], v[100:101], 1.0
	v_fma_f64 v[100:101], v[100:101], v[102:103], v[100:101]
	v_fma_f64 v[102:103], -v[98:99], v[100:101], 1.0
	v_fma_f64 v[100:101], v[100:101], v[102:103], v[100:101]
	v_mul_f64 v[102:103], v[104:105], v[100:101]
	v_fma_f64 v[98:99], -v[98:99], v[102:103], v[104:105]
	v_div_fmas_f64 v[98:99], v[98:99], v[100:101], v[102:103]
	v_div_fixup_f64 v[117:118], v[98:99], v[96:97], 1.0
	v_mul_f64 v[119:120], v[94:95], -v[117:118]
.LBB96_534:
	s_or_b64 exec, exec, s[18:19]
.LBB96_535:
	s_or_b64 exec, exec, s[0:1]
	v_cmp_ne_u32_e32 vcc, v92, v93
	s_mov_b64 s[0:1], exec
	s_and_b64 s[18:19], s[0:1], vcc
	s_xor_b64 s[0:1], s[18:19], s[0:1]
	buffer_store_dword v85, off, s[24:27], 0 offset:392 ; 4-byte Folded Spill
	s_nop 0
	buffer_store_dword v86, off, s[24:27], 0 offset:396 ; 4-byte Folded Spill
	buffer_store_dword v87, off, s[24:27], 0 offset:400 ; 4-byte Folded Spill
	;; [unrolled: 1-line block ×3, first 2 shown]
	s_mov_b64 exec, s[18:19]
	s_cbranch_execz .LBB96_541
; %bb.536:
	v_cmp_eq_u32_e32 vcc, 25, v92
	s_and_saveexec_b64 s[18:19], vcc
	s_cbranch_execz .LBB96_540
; %bb.537:
	v_cmp_ne_u32_e32 vcc, 25, v93
	s_xor_b64 s[20:21], s[6:7], -1
	s_and_b64 s[22:23], s[20:21], vcc
	s_and_saveexec_b64 s[20:21], s[22:23]
	s_cbranch_execz .LBB96_539
; %bb.538:
	buffer_load_dword v85, off, s[24:27], 0 offset:352 ; 4-byte Folded Reload
	buffer_load_dword v86, off, s[24:27], 0 offset:356 ; 4-byte Folded Reload
	v_ashrrev_i32_e32 v94, 31, v93
	v_lshlrev_b64 v[94:95], 2, v[93:94]
	s_waitcnt vmcnt(1)
	v_add_co_u32_e32 v94, vcc, v85, v94
	s_waitcnt vmcnt(0)
	v_addc_co_u32_e32 v95, vcc, v86, v95, vcc
	global_load_dword v0, v[94:95], off
	global_load_dword v92, v[85:86], off offset:100
	s_waitcnt vmcnt(1)
	global_store_dword v[85:86], v0, off offset:100
	buffer_load_dword v85, off, s[24:27], 0 offset:392 ; 4-byte Folded Reload
	s_nop 0
	buffer_load_dword v86, off, s[24:27], 0 offset:396 ; 4-byte Folded Reload
	buffer_load_dword v87, off, s[24:27], 0 offset:400 ; 4-byte Folded Reload
	;; [unrolled: 1-line block ×3, first 2 shown]
	s_waitcnt vmcnt(5)
	global_store_dword v[94:95], v92, off
.LBB96_539:
	s_or_b64 exec, exec, s[20:21]
	v_mov_b32_e32 v92, v93
	v_mov_b32_e32 v0, v93
.LBB96_540:
	s_or_b64 exec, exec, s[18:19]
.LBB96_541:
	s_andn2_saveexec_b64 s[0:1], s[0:1]
	s_cbranch_execz .LBB96_543
; %bb.542:
	ds_write2_b64 v90, v[113:114], v[115:116] offset0:52 offset1:53
	ds_write2_b64 v90, v[81:82], v[83:84] offset0:54 offset1:55
	;; [unrolled: 1-line block ×5, first 2 shown]
	buffer_load_dword v65, off, s[24:27], 0 ; 4-byte Folded Reload
	buffer_load_dword v66, off, s[24:27], 0 offset:4 ; 4-byte Folded Reload
	buffer_load_dword v67, off, s[24:27], 0 offset:8 ; 4-byte Folded Reload
	;; [unrolled: 1-line block ×3, first 2 shown]
	v_mov_b32_e32 v92, 25
	s_waitcnt vmcnt(0)
	ds_write2_b64 v90, v[65:66], v[67:68] offset0:62 offset1:63
	ds_write2_b64 v90, v[61:62], v[63:64] offset0:64 offset1:65
	;; [unrolled: 1-line block ×18, first 2 shown]
.LBB96_543:
	s_or_b64 exec, exec, s[0:1]
	v_cmp_lt_i32_e32 vcc, 25, v92
	s_waitcnt vmcnt(0) lgkmcnt(0)
	s_barrier
	s_and_saveexec_b64 s[0:1], vcc
	s_cbranch_execz .LBB96_545
; %bb.544:
	v_mul_f64 v[95:96], v[117:118], v[109:110]
	v_mul_f64 v[93:94], v[119:120], v[109:110]
	v_fma_f64 v[109:110], v[119:120], v[107:108], v[95:96]
	ds_read2_b64 v[95:98], v90 offset0:52 offset1:53
	v_fma_f64 v[93:94], v[117:118], v[107:108], -v[93:94]
	s_waitcnt lgkmcnt(0)
	v_mul_f64 v[99:100], v[97:98], v[109:110]
	v_mov_b32_e32 v108, v94
	v_mov_b32_e32 v107, v93
	v_fma_f64 v[99:100], v[95:96], v[93:94], -v[99:100]
	v_mul_f64 v[95:96], v[95:96], v[109:110]
	v_add_f64 v[113:114], v[113:114], -v[99:100]
	v_fma_f64 v[95:96], v[97:98], v[93:94], v[95:96]
	v_add_f64 v[115:116], v[115:116], -v[95:96]
	ds_read2_b64 v[95:98], v90 offset0:54 offset1:55
	s_waitcnt lgkmcnt(0)
	v_mul_f64 v[99:100], v[97:98], v[109:110]
	v_fma_f64 v[99:100], v[95:96], v[93:94], -v[99:100]
	v_mul_f64 v[95:96], v[95:96], v[109:110]
	v_add_f64 v[81:82], v[81:82], -v[99:100]
	v_fma_f64 v[95:96], v[97:98], v[93:94], v[95:96]
	v_add_f64 v[83:84], v[83:84], -v[95:96]
	ds_read2_b64 v[95:98], v90 offset0:56 offset1:57
	s_waitcnt lgkmcnt(0)
	v_mul_f64 v[99:100], v[97:98], v[109:110]
	v_fma_f64 v[99:100], v[95:96], v[93:94], -v[99:100]
	v_mul_f64 v[95:96], v[95:96], v[109:110]
	v_add_f64 v[77:78], v[77:78], -v[99:100]
	v_fma_f64 v[95:96], v[97:98], v[93:94], v[95:96]
	v_add_f64 v[79:80], v[79:80], -v[95:96]
	ds_read2_b64 v[95:98], v90 offset0:58 offset1:59
	s_waitcnt lgkmcnt(0)
	v_mul_f64 v[99:100], v[97:98], v[109:110]
	v_fma_f64 v[99:100], v[95:96], v[93:94], -v[99:100]
	v_mul_f64 v[95:96], v[95:96], v[109:110]
	v_add_f64 v[73:74], v[73:74], -v[99:100]
	v_fma_f64 v[95:96], v[97:98], v[93:94], v[95:96]
	v_add_f64 v[75:76], v[75:76], -v[95:96]
	ds_read2_b64 v[95:98], v90 offset0:60 offset1:61
	s_waitcnt lgkmcnt(0)
	v_mul_f64 v[99:100], v[97:98], v[109:110]
	v_fma_f64 v[99:100], v[95:96], v[93:94], -v[99:100]
	v_mul_f64 v[95:96], v[95:96], v[109:110]
	v_add_f64 v[69:70], v[69:70], -v[99:100]
	v_fma_f64 v[95:96], v[97:98], v[93:94], v[95:96]
	v_add_f64 v[71:72], v[71:72], -v[95:96]
	ds_read2_b64 v[95:98], v90 offset0:62 offset1:63
	buffer_load_dword v65, off, s[24:27], 0 ; 4-byte Folded Reload
	buffer_load_dword v66, off, s[24:27], 0 offset:4 ; 4-byte Folded Reload
	buffer_load_dword v67, off, s[24:27], 0 offset:8 ; 4-byte Folded Reload
	;; [unrolled: 1-line block ×3, first 2 shown]
	s_waitcnt lgkmcnt(0)
	v_mul_f64 v[99:100], v[97:98], v[109:110]
	v_fma_f64 v[99:100], v[95:96], v[93:94], -v[99:100]
	v_mul_f64 v[95:96], v[95:96], v[109:110]
	v_fma_f64 v[95:96], v[97:98], v[93:94], v[95:96]
	s_waitcnt vmcnt(2)
	v_add_f64 v[65:66], v[65:66], -v[99:100]
	s_waitcnt vmcnt(0)
	v_add_f64 v[67:68], v[67:68], -v[95:96]
	buffer_store_dword v65, off, s[24:27], 0 ; 4-byte Folded Spill
	s_nop 0
	buffer_store_dword v66, off, s[24:27], 0 offset:4 ; 4-byte Folded Spill
	buffer_store_dword v67, off, s[24:27], 0 offset:8 ; 4-byte Folded Spill
	;; [unrolled: 1-line block ×3, first 2 shown]
	ds_read2_b64 v[95:98], v90 offset0:64 offset1:65
	s_waitcnt lgkmcnt(0)
	v_mul_f64 v[99:100], v[97:98], v[109:110]
	v_fma_f64 v[99:100], v[95:96], v[93:94], -v[99:100]
	v_mul_f64 v[95:96], v[95:96], v[109:110]
	v_add_f64 v[61:62], v[61:62], -v[99:100]
	v_fma_f64 v[95:96], v[97:98], v[93:94], v[95:96]
	v_add_f64 v[63:64], v[63:64], -v[95:96]
	ds_read2_b64 v[95:98], v90 offset0:66 offset1:67
	s_waitcnt lgkmcnt(0)
	v_mul_f64 v[99:100], v[97:98], v[109:110]
	v_fma_f64 v[99:100], v[95:96], v[93:94], -v[99:100]
	v_mul_f64 v[95:96], v[95:96], v[109:110]
	v_add_f64 v[57:58], v[57:58], -v[99:100]
	v_fma_f64 v[95:96], v[97:98], v[93:94], v[95:96]
	v_add_f64 v[59:60], v[59:60], -v[95:96]
	ds_read2_b64 v[95:98], v90 offset0:68 offset1:69
	s_waitcnt lgkmcnt(0)
	v_mul_f64 v[99:100], v[97:98], v[109:110]
	v_fma_f64 v[99:100], v[95:96], v[93:94], -v[99:100]
	v_mul_f64 v[95:96], v[95:96], v[109:110]
	v_add_f64 v[53:54], v[53:54], -v[99:100]
	v_fma_f64 v[95:96], v[97:98], v[93:94], v[95:96]
	v_add_f64 v[55:56], v[55:56], -v[95:96]
	ds_read2_b64 v[95:98], v90 offset0:70 offset1:71
	s_waitcnt lgkmcnt(0)
	v_mul_f64 v[99:100], v[97:98], v[109:110]
	v_fma_f64 v[99:100], v[95:96], v[93:94], -v[99:100]
	v_mul_f64 v[95:96], v[95:96], v[109:110]
	v_add_f64 v[49:50], v[49:50], -v[99:100]
	v_fma_f64 v[95:96], v[97:98], v[93:94], v[95:96]
	v_add_f64 v[51:52], v[51:52], -v[95:96]
	ds_read2_b64 v[95:98], v90 offset0:72 offset1:73
	s_waitcnt lgkmcnt(0)
	v_mul_f64 v[99:100], v[97:98], v[109:110]
	v_fma_f64 v[99:100], v[95:96], v[93:94], -v[99:100]
	v_mul_f64 v[95:96], v[95:96], v[109:110]
	v_add_f64 v[45:46], v[45:46], -v[99:100]
	v_fma_f64 v[95:96], v[97:98], v[93:94], v[95:96]
	v_add_f64 v[47:48], v[47:48], -v[95:96]
	ds_read2_b64 v[95:98], v90 offset0:74 offset1:75
	s_waitcnt lgkmcnt(0)
	v_mul_f64 v[99:100], v[97:98], v[109:110]
	v_fma_f64 v[99:100], v[95:96], v[93:94], -v[99:100]
	v_mul_f64 v[95:96], v[95:96], v[109:110]
	v_add_f64 v[41:42], v[41:42], -v[99:100]
	v_fma_f64 v[95:96], v[97:98], v[93:94], v[95:96]
	v_add_f64 v[43:44], v[43:44], -v[95:96]
	ds_read2_b64 v[95:98], v90 offset0:76 offset1:77
	s_waitcnt lgkmcnt(0)
	v_mul_f64 v[99:100], v[97:98], v[109:110]
	v_fma_f64 v[99:100], v[95:96], v[93:94], -v[99:100]
	v_mul_f64 v[95:96], v[95:96], v[109:110]
	v_add_f64 v[37:38], v[37:38], -v[99:100]
	v_fma_f64 v[95:96], v[97:98], v[93:94], v[95:96]
	v_add_f64 v[39:40], v[39:40], -v[95:96]
	ds_read2_b64 v[95:98], v90 offset0:78 offset1:79
	s_waitcnt lgkmcnt(0)
	v_mul_f64 v[99:100], v[97:98], v[109:110]
	v_fma_f64 v[99:100], v[95:96], v[93:94], -v[99:100]
	v_mul_f64 v[95:96], v[95:96], v[109:110]
	v_add_f64 v[33:34], v[33:34], -v[99:100]
	v_fma_f64 v[95:96], v[97:98], v[93:94], v[95:96]
	v_add_f64 v[35:36], v[35:36], -v[95:96]
	ds_read2_b64 v[95:98], v90 offset0:80 offset1:81
	s_waitcnt lgkmcnt(0)
	v_mul_f64 v[99:100], v[97:98], v[109:110]
	v_fma_f64 v[99:100], v[95:96], v[93:94], -v[99:100]
	v_mul_f64 v[95:96], v[95:96], v[109:110]
	v_add_f64 v[29:30], v[29:30], -v[99:100]
	v_fma_f64 v[95:96], v[97:98], v[93:94], v[95:96]
	v_add_f64 v[31:32], v[31:32], -v[95:96]
	ds_read2_b64 v[95:98], v90 offset0:82 offset1:83
	s_waitcnt lgkmcnt(0)
	v_mul_f64 v[99:100], v[97:98], v[109:110]
	v_fma_f64 v[99:100], v[95:96], v[93:94], -v[99:100]
	v_mul_f64 v[95:96], v[95:96], v[109:110]
	v_add_f64 v[25:26], v[25:26], -v[99:100]
	v_fma_f64 v[95:96], v[97:98], v[93:94], v[95:96]
	v_add_f64 v[27:28], v[27:28], -v[95:96]
	ds_read2_b64 v[95:98], v90 offset0:84 offset1:85
	s_waitcnt lgkmcnt(0)
	v_mul_f64 v[99:100], v[97:98], v[109:110]
	v_fma_f64 v[99:100], v[95:96], v[93:94], -v[99:100]
	v_mul_f64 v[95:96], v[95:96], v[109:110]
	v_add_f64 v[21:22], v[21:22], -v[99:100]
	v_fma_f64 v[95:96], v[97:98], v[93:94], v[95:96]
	v_add_f64 v[23:24], v[23:24], -v[95:96]
	ds_read2_b64 v[95:98], v90 offset0:86 offset1:87
	s_waitcnt lgkmcnt(0)
	v_mul_f64 v[99:100], v[97:98], v[109:110]
	v_fma_f64 v[99:100], v[95:96], v[93:94], -v[99:100]
	v_mul_f64 v[95:96], v[95:96], v[109:110]
	v_add_f64 v[17:18], v[17:18], -v[99:100]
	v_fma_f64 v[95:96], v[97:98], v[93:94], v[95:96]
	v_add_f64 v[19:20], v[19:20], -v[95:96]
	ds_read2_b64 v[95:98], v90 offset0:88 offset1:89
	s_waitcnt lgkmcnt(0)
	v_mul_f64 v[99:100], v[97:98], v[109:110]
	v_fma_f64 v[99:100], v[95:96], v[93:94], -v[99:100]
	v_mul_f64 v[95:96], v[95:96], v[109:110]
	v_add_f64 v[13:14], v[13:14], -v[99:100]
	v_fma_f64 v[95:96], v[97:98], v[93:94], v[95:96]
	v_add_f64 v[15:16], v[15:16], -v[95:96]
	ds_read2_b64 v[95:98], v90 offset0:90 offset1:91
	s_waitcnt lgkmcnt(0)
	v_mul_f64 v[99:100], v[97:98], v[109:110]
	v_fma_f64 v[99:100], v[95:96], v[93:94], -v[99:100]
	v_mul_f64 v[95:96], v[95:96], v[109:110]
	v_add_f64 v[9:10], v[9:10], -v[99:100]
	v_fma_f64 v[95:96], v[97:98], v[93:94], v[95:96]
	v_add_f64 v[11:12], v[11:12], -v[95:96]
	ds_read2_b64 v[95:98], v90 offset0:92 offset1:93
	s_waitcnt lgkmcnt(0)
	v_mul_f64 v[99:100], v[97:98], v[109:110]
	v_fma_f64 v[99:100], v[95:96], v[93:94], -v[99:100]
	v_mul_f64 v[95:96], v[95:96], v[109:110]
	v_add_f64 v[5:6], v[5:6], -v[99:100]
	v_fma_f64 v[95:96], v[97:98], v[93:94], v[95:96]
	v_add_f64 v[7:8], v[7:8], -v[95:96]
	ds_read2_b64 v[95:98], v90 offset0:94 offset1:95
	s_waitcnt lgkmcnt(0)
	v_mul_f64 v[99:100], v[97:98], v[109:110]
	v_fma_f64 v[99:100], v[95:96], v[93:94], -v[99:100]
	v_mul_f64 v[95:96], v[95:96], v[109:110]
	v_add_f64 v[1:2], v[1:2], -v[99:100]
	v_fma_f64 v[95:96], v[97:98], v[93:94], v[95:96]
	v_add_f64 v[3:4], v[3:4], -v[95:96]
	ds_read2_b64 v[95:98], v90 offset0:96 offset1:97
	s_waitcnt lgkmcnt(0)
	v_mul_f64 v[99:100], v[97:98], v[109:110]
	v_fma_f64 v[99:100], v[95:96], v[93:94], -v[99:100]
	v_mul_f64 v[95:96], v[95:96], v[109:110]
	v_add_f64 v[121:122], v[121:122], -v[99:100]
	v_fma_f64 v[95:96], v[97:98], v[93:94], v[95:96]
	v_add_f64 v[123:124], v[123:124], -v[95:96]
.LBB96_545:
	s_or_b64 exec, exec, s[0:1]
	v_lshl_add_u32 v93, v92, 4, v90
	s_waitcnt vmcnt(0)
	s_barrier
	ds_write2_b64 v93, v[113:114], v[115:116] offset1:1
	s_waitcnt lgkmcnt(0)
	s_barrier
	ds_read2_b64 v[117:120], v90 offset0:52 offset1:53
	s_cmp_lt_i32 s3, 28
	v_mov_b32_e32 v93, 26
	s_cbranch_scc1 .LBB96_548
; %bb.546:
	v_add_u32_e32 v94, 0x1b0, v90
	s_mov_b32 s0, 27
	v_mov_b32_e32 v93, 26
.LBB96_547:                             ; =>This Inner Loop Header: Depth=1
	s_waitcnt lgkmcnt(0)
	v_cmp_gt_f64_e32 vcc, 0, v[117:118]
	v_xor_b32_e32 v99, 0x80000000, v118
	ds_read2_b64 v[95:98], v94 offset1:1
	v_xor_b32_e32 v101, 0x80000000, v120
	v_add_u32_e32 v94, 16, v94
	s_waitcnt lgkmcnt(0)
	v_xor_b32_e32 v103, 0x80000000, v98
	v_cndmask_b32_e32 v100, v118, v99, vcc
	v_cmp_gt_f64_e32 vcc, 0, v[119:120]
	v_mov_b32_e32 v99, v117
	v_cndmask_b32_e32 v102, v120, v101, vcc
	v_cmp_gt_f64_e32 vcc, 0, v[95:96]
	v_mov_b32_e32 v101, v119
	v_add_f64 v[99:100], v[99:100], v[101:102]
	v_xor_b32_e32 v101, 0x80000000, v96
	v_cndmask_b32_e32 v102, v96, v101, vcc
	v_cmp_gt_f64_e32 vcc, 0, v[97:98]
	v_mov_b32_e32 v101, v95
	v_cndmask_b32_e32 v104, v98, v103, vcc
	v_mov_b32_e32 v103, v97
	v_add_f64 v[101:102], v[101:102], v[103:104]
	v_cmp_lt_f64_e32 vcc, v[99:100], v[101:102]
	v_cndmask_b32_e32 v117, v117, v95, vcc
	v_mov_b32_e32 v95, s0
	s_add_i32 s0, s0, 1
	v_cndmask_b32_e32 v118, v118, v96, vcc
	v_cndmask_b32_e32 v120, v120, v98, vcc
	v_cndmask_b32_e32 v119, v119, v97, vcc
	v_cndmask_b32_e32 v93, v93, v95, vcc
	s_cmp_lg_u32 s3, s0
	s_cbranch_scc1 .LBB96_547
.LBB96_548:
	s_waitcnt lgkmcnt(0)
	v_cmp_eq_f64_e32 vcc, 0, v[117:118]
	v_cmp_eq_f64_e64 s[0:1], 0, v[119:120]
	s_and_b64 s[0:1], vcc, s[0:1]
	s_and_saveexec_b64 s[18:19], s[0:1]
	s_xor_b64 s[0:1], exec, s[18:19]
; %bb.549:
	v_cmp_ne_u32_e32 vcc, 0, v91
	v_cndmask_b32_e32 v91, 27, v91, vcc
; %bb.550:
	s_andn2_saveexec_b64 s[0:1], s[0:1]
	s_cbranch_execz .LBB96_556
; %bb.551:
	v_cmp_ngt_f64_e64 s[18:19], |v[117:118]|, |v[119:120]|
	s_and_saveexec_b64 s[20:21], s[18:19]
	s_xor_b64 s[18:19], exec, s[20:21]
	s_cbranch_execz .LBB96_553
; %bb.552:
	v_div_scale_f64 v[94:95], s[20:21], v[119:120], v[119:120], v[117:118]
	v_rcp_f64_e32 v[96:97], v[94:95]
	v_fma_f64 v[98:99], -v[94:95], v[96:97], 1.0
	v_fma_f64 v[96:97], v[96:97], v[98:99], v[96:97]
	v_div_scale_f64 v[98:99], vcc, v[117:118], v[119:120], v[117:118]
	v_fma_f64 v[100:101], -v[94:95], v[96:97], 1.0
	v_fma_f64 v[96:97], v[96:97], v[100:101], v[96:97]
	v_mul_f64 v[100:101], v[98:99], v[96:97]
	v_fma_f64 v[94:95], -v[94:95], v[100:101], v[98:99]
	v_div_fmas_f64 v[94:95], v[94:95], v[96:97], v[100:101]
	v_div_fixup_f64 v[94:95], v[94:95], v[119:120], v[117:118]
	v_fma_f64 v[96:97], v[117:118], v[94:95], v[119:120]
	v_div_scale_f64 v[98:99], s[20:21], v[96:97], v[96:97], 1.0
	v_div_scale_f64 v[104:105], vcc, 1.0, v[96:97], 1.0
	v_rcp_f64_e32 v[100:101], v[98:99]
	v_fma_f64 v[102:103], -v[98:99], v[100:101], 1.0
	v_fma_f64 v[100:101], v[100:101], v[102:103], v[100:101]
	v_fma_f64 v[102:103], -v[98:99], v[100:101], 1.0
	v_fma_f64 v[100:101], v[100:101], v[102:103], v[100:101]
	v_mul_f64 v[102:103], v[104:105], v[100:101]
	v_fma_f64 v[98:99], -v[98:99], v[102:103], v[104:105]
	v_div_fmas_f64 v[98:99], v[98:99], v[100:101], v[102:103]
	v_div_fixup_f64 v[119:120], v[98:99], v[96:97], 1.0
	v_mul_f64 v[117:118], v[94:95], v[119:120]
	v_xor_b32_e32 v120, 0x80000000, v120
.LBB96_553:
	s_andn2_saveexec_b64 s[18:19], s[18:19]
	s_cbranch_execz .LBB96_555
; %bb.554:
	v_div_scale_f64 v[94:95], s[20:21], v[117:118], v[117:118], v[119:120]
	v_rcp_f64_e32 v[96:97], v[94:95]
	v_fma_f64 v[98:99], -v[94:95], v[96:97], 1.0
	v_fma_f64 v[96:97], v[96:97], v[98:99], v[96:97]
	v_div_scale_f64 v[98:99], vcc, v[119:120], v[117:118], v[119:120]
	v_fma_f64 v[100:101], -v[94:95], v[96:97], 1.0
	v_fma_f64 v[96:97], v[96:97], v[100:101], v[96:97]
	v_mul_f64 v[100:101], v[98:99], v[96:97]
	v_fma_f64 v[94:95], -v[94:95], v[100:101], v[98:99]
	v_div_fmas_f64 v[94:95], v[94:95], v[96:97], v[100:101]
	v_div_fixup_f64 v[94:95], v[94:95], v[117:118], v[119:120]
	v_fma_f64 v[96:97], v[119:120], v[94:95], v[117:118]
	v_div_scale_f64 v[98:99], s[20:21], v[96:97], v[96:97], 1.0
	v_div_scale_f64 v[104:105], vcc, 1.0, v[96:97], 1.0
	v_rcp_f64_e32 v[100:101], v[98:99]
	v_fma_f64 v[102:103], -v[98:99], v[100:101], 1.0
	v_fma_f64 v[100:101], v[100:101], v[102:103], v[100:101]
	v_fma_f64 v[102:103], -v[98:99], v[100:101], 1.0
	v_fma_f64 v[100:101], v[100:101], v[102:103], v[100:101]
	v_mul_f64 v[102:103], v[104:105], v[100:101]
	v_fma_f64 v[98:99], -v[98:99], v[102:103], v[104:105]
	v_div_fmas_f64 v[98:99], v[98:99], v[100:101], v[102:103]
	v_div_fixup_f64 v[117:118], v[98:99], v[96:97], 1.0
	v_mul_f64 v[119:120], v[94:95], -v[117:118]
.LBB96_555:
	s_or_b64 exec, exec, s[18:19]
.LBB96_556:
	s_or_b64 exec, exec, s[0:1]
	v_cmp_ne_u32_e32 vcc, v92, v93
	s_and_saveexec_b64 s[0:1], vcc
	s_xor_b64 s[0:1], exec, s[0:1]
	s_cbranch_execz .LBB96_562
; %bb.557:
	v_cmp_eq_u32_e32 vcc, 26, v92
	s_and_saveexec_b64 s[18:19], vcc
	s_cbranch_execz .LBB96_561
; %bb.558:
	v_cmp_ne_u32_e32 vcc, 26, v93
	s_xor_b64 s[20:21], s[6:7], -1
	s_and_b64 s[22:23], s[20:21], vcc
	s_and_saveexec_b64 s[20:21], s[22:23]
	s_cbranch_execz .LBB96_560
; %bb.559:
	buffer_load_dword v85, off, s[24:27], 0 offset:352 ; 4-byte Folded Reload
	buffer_load_dword v86, off, s[24:27], 0 offset:356 ; 4-byte Folded Reload
	v_ashrrev_i32_e32 v94, 31, v93
	v_lshlrev_b64 v[94:95], 2, v[93:94]
	s_waitcnt vmcnt(1)
	v_add_co_u32_e32 v94, vcc, v85, v94
	s_waitcnt vmcnt(0)
	v_addc_co_u32_e32 v95, vcc, v86, v95, vcc
	global_load_dword v0, v[94:95], off
	global_load_dword v92, v[85:86], off offset:104
	s_waitcnt vmcnt(1)
	global_store_dword v[85:86], v0, off offset:104
	buffer_load_dword v85, off, s[24:27], 0 offset:392 ; 4-byte Folded Reload
	s_nop 0
	buffer_load_dword v86, off, s[24:27], 0 offset:396 ; 4-byte Folded Reload
	buffer_load_dword v87, off, s[24:27], 0 offset:400 ; 4-byte Folded Reload
	;; [unrolled: 1-line block ×3, first 2 shown]
	s_waitcnt vmcnt(5)
	global_store_dword v[94:95], v92, off
.LBB96_560:
	s_or_b64 exec, exec, s[20:21]
	v_mov_b32_e32 v92, v93
	v_mov_b32_e32 v0, v93
.LBB96_561:
	s_or_b64 exec, exec, s[18:19]
.LBB96_562:
	s_andn2_saveexec_b64 s[0:1], s[0:1]
	s_cbranch_execz .LBB96_564
; %bb.563:
	ds_write2_b64 v90, v[81:82], v[83:84] offset0:54 offset1:55
	ds_write2_b64 v90, v[77:78], v[79:80] offset0:56 offset1:57
	ds_write2_b64 v90, v[73:74], v[75:76] offset0:58 offset1:59
	ds_write2_b64 v90, v[69:70], v[71:72] offset0:60 offset1:61
	buffer_load_dword v65, off, s[24:27], 0 ; 4-byte Folded Reload
	buffer_load_dword v66, off, s[24:27], 0 offset:4 ; 4-byte Folded Reload
	buffer_load_dword v67, off, s[24:27], 0 offset:8 ; 4-byte Folded Reload
	;; [unrolled: 1-line block ×3, first 2 shown]
	v_mov_b32_e32 v92, 26
	s_waitcnt vmcnt(0)
	ds_write2_b64 v90, v[65:66], v[67:68] offset0:62 offset1:63
	ds_write2_b64 v90, v[61:62], v[63:64] offset0:64 offset1:65
	;; [unrolled: 1-line block ×18, first 2 shown]
.LBB96_564:
	s_or_b64 exec, exec, s[0:1]
	v_cmp_lt_i32_e32 vcc, 26, v92
	s_waitcnt vmcnt(0) lgkmcnt(0)
	s_barrier
	s_and_saveexec_b64 s[0:1], vcc
	s_cbranch_execz .LBB96_566
; %bb.565:
	v_mul_f64 v[87:88], v[117:118], v[115:116]
	v_mul_f64 v[93:94], v[119:120], v[115:116]
	v_fma_f64 v[115:116], v[119:120], v[113:114], v[87:88]
	v_fma_f64 v[105:106], v[117:118], v[113:114], -v[93:94]
	ds_read2_b64 v[93:96], v90 offset0:54 offset1:55
	s_waitcnt lgkmcnt(0)
	v_mul_f64 v[85:86], v[95:96], v[115:116]
	v_mov_b32_e32 v114, v106
	v_mov_b32_e32 v113, v105
	v_fma_f64 v[85:86], v[93:94], v[105:106], -v[85:86]
	v_mul_f64 v[93:94], v[93:94], v[115:116]
	v_add_f64 v[81:82], v[81:82], -v[85:86]
	v_fma_f64 v[93:94], v[95:96], v[105:106], v[93:94]
	v_add_f64 v[83:84], v[83:84], -v[93:94]
	ds_read2_b64 v[93:96], v90 offset0:56 offset1:57
	s_waitcnt lgkmcnt(0)
	v_mul_f64 v[85:86], v[95:96], v[115:116]
	v_fma_f64 v[85:86], v[93:94], v[105:106], -v[85:86]
	v_mul_f64 v[93:94], v[93:94], v[115:116]
	v_add_f64 v[77:78], v[77:78], -v[85:86]
	v_fma_f64 v[93:94], v[95:96], v[105:106], v[93:94]
	v_add_f64 v[79:80], v[79:80], -v[93:94]
	ds_read2_b64 v[93:96], v90 offset0:58 offset1:59
	s_waitcnt lgkmcnt(0)
	v_mul_f64 v[85:86], v[95:96], v[115:116]
	;; [unrolled: 8-line block ×3, first 2 shown]
	v_fma_f64 v[85:86], v[93:94], v[105:106], -v[85:86]
	v_mul_f64 v[93:94], v[93:94], v[115:116]
	v_add_f64 v[69:70], v[69:70], -v[85:86]
	v_fma_f64 v[93:94], v[95:96], v[105:106], v[93:94]
	v_add_f64 v[71:72], v[71:72], -v[93:94]
	ds_read2_b64 v[93:96], v90 offset0:62 offset1:63
	buffer_load_dword v65, off, s[24:27], 0 ; 4-byte Folded Reload
	buffer_load_dword v66, off, s[24:27], 0 offset:4 ; 4-byte Folded Reload
	buffer_load_dword v67, off, s[24:27], 0 offset:8 ; 4-byte Folded Reload
	;; [unrolled: 1-line block ×3, first 2 shown]
	s_waitcnt lgkmcnt(0)
	v_mul_f64 v[85:86], v[95:96], v[115:116]
	v_fma_f64 v[85:86], v[93:94], v[105:106], -v[85:86]
	v_mul_f64 v[93:94], v[93:94], v[115:116]
	v_fma_f64 v[93:94], v[95:96], v[105:106], v[93:94]
	s_waitcnt vmcnt(2)
	v_add_f64 v[65:66], v[65:66], -v[85:86]
	s_waitcnt vmcnt(0)
	v_add_f64 v[67:68], v[67:68], -v[93:94]
	buffer_store_dword v65, off, s[24:27], 0 ; 4-byte Folded Spill
	s_nop 0
	buffer_store_dword v66, off, s[24:27], 0 offset:4 ; 4-byte Folded Spill
	buffer_store_dword v67, off, s[24:27], 0 offset:8 ; 4-byte Folded Spill
	;; [unrolled: 1-line block ×3, first 2 shown]
	ds_read2_b64 v[93:96], v90 offset0:64 offset1:65
	s_waitcnt lgkmcnt(0)
	v_mul_f64 v[85:86], v[95:96], v[115:116]
	v_fma_f64 v[85:86], v[93:94], v[105:106], -v[85:86]
	v_mul_f64 v[93:94], v[93:94], v[115:116]
	v_add_f64 v[61:62], v[61:62], -v[85:86]
	v_fma_f64 v[93:94], v[95:96], v[105:106], v[93:94]
	v_add_f64 v[63:64], v[63:64], -v[93:94]
	ds_read2_b64 v[93:96], v90 offset0:66 offset1:67
	s_waitcnt lgkmcnt(0)
	v_mul_f64 v[85:86], v[95:96], v[115:116]
	v_fma_f64 v[85:86], v[93:94], v[105:106], -v[85:86]
	v_mul_f64 v[93:94], v[93:94], v[115:116]
	v_add_f64 v[57:58], v[57:58], -v[85:86]
	v_fma_f64 v[93:94], v[95:96], v[105:106], v[93:94]
	v_add_f64 v[59:60], v[59:60], -v[93:94]
	;; [unrolled: 8-line block ×16, first 2 shown]
	ds_read2_b64 v[93:96], v90 offset0:96 offset1:97
	s_waitcnt lgkmcnt(0)
	v_mul_f64 v[85:86], v[95:96], v[115:116]
	v_fma_f64 v[85:86], v[93:94], v[105:106], -v[85:86]
	v_mul_f64 v[93:94], v[93:94], v[115:116]
	v_add_f64 v[121:122], v[121:122], -v[85:86]
	buffer_load_dword v85, off, s[24:27], 0 offset:392 ; 4-byte Folded Reload
	buffer_load_dword v86, off, s[24:27], 0 offset:396 ; 4-byte Folded Reload
	;; [unrolled: 1-line block ×4, first 2 shown]
	v_fma_f64 v[93:94], v[95:96], v[105:106], v[93:94]
	v_add_f64 v[123:124], v[123:124], -v[93:94]
.LBB96_566:
	s_or_b64 exec, exec, s[0:1]
	v_lshl_add_u32 v93, v92, 4, v90
	s_waitcnt vmcnt(0)
	s_barrier
	ds_write2_b64 v93, v[81:82], v[83:84] offset1:1
	s_waitcnt lgkmcnt(0)
	s_barrier
	ds_read2_b64 v[117:120], v90 offset0:54 offset1:55
	s_cmp_lt_i32 s3, 29
	v_mov_b32_e32 v93, 27
	s_cbranch_scc1 .LBB96_569
; %bb.567:
	v_add_u32_e32 v94, 0x1c0, v90
	s_mov_b32 s0, 28
	v_mov_b32_e32 v93, 27
.LBB96_568:                             ; =>This Inner Loop Header: Depth=1
	s_waitcnt lgkmcnt(0)
	v_cmp_gt_f64_e32 vcc, 0, v[117:118]
	v_xor_b32_e32 v99, 0x80000000, v118
	ds_read2_b64 v[95:98], v94 offset1:1
	v_xor_b32_e32 v101, 0x80000000, v120
	v_add_u32_e32 v94, 16, v94
	s_waitcnt lgkmcnt(0)
	v_xor_b32_e32 v103, 0x80000000, v98
	v_cndmask_b32_e32 v100, v118, v99, vcc
	v_cmp_gt_f64_e32 vcc, 0, v[119:120]
	v_mov_b32_e32 v99, v117
	v_cndmask_b32_e32 v102, v120, v101, vcc
	v_cmp_gt_f64_e32 vcc, 0, v[95:96]
	v_mov_b32_e32 v101, v119
	v_add_f64 v[99:100], v[99:100], v[101:102]
	v_xor_b32_e32 v101, 0x80000000, v96
	v_cndmask_b32_e32 v102, v96, v101, vcc
	v_cmp_gt_f64_e32 vcc, 0, v[97:98]
	v_mov_b32_e32 v101, v95
	v_cndmask_b32_e32 v104, v98, v103, vcc
	v_mov_b32_e32 v103, v97
	v_add_f64 v[101:102], v[101:102], v[103:104]
	v_cmp_lt_f64_e32 vcc, v[99:100], v[101:102]
	v_cndmask_b32_e32 v117, v117, v95, vcc
	v_mov_b32_e32 v95, s0
	s_add_i32 s0, s0, 1
	v_cndmask_b32_e32 v118, v118, v96, vcc
	v_cndmask_b32_e32 v120, v120, v98, vcc
	;; [unrolled: 1-line block ×4, first 2 shown]
	s_cmp_lg_u32 s3, s0
	s_cbranch_scc1 .LBB96_568
.LBB96_569:
	s_waitcnt lgkmcnt(0)
	v_cmp_eq_f64_e32 vcc, 0, v[117:118]
	v_cmp_eq_f64_e64 s[0:1], 0, v[119:120]
	s_and_b64 s[0:1], vcc, s[0:1]
	s_and_saveexec_b64 s[18:19], s[0:1]
	s_xor_b64 s[0:1], exec, s[18:19]
; %bb.570:
	v_cmp_ne_u32_e32 vcc, 0, v91
	v_cndmask_b32_e32 v91, 28, v91, vcc
; %bb.571:
	s_andn2_saveexec_b64 s[0:1], s[0:1]
	s_cbranch_execz .LBB96_577
; %bb.572:
	v_cmp_ngt_f64_e64 s[18:19], |v[117:118]|, |v[119:120]|
	s_and_saveexec_b64 s[20:21], s[18:19]
	s_xor_b64 s[18:19], exec, s[20:21]
	s_cbranch_execz .LBB96_574
; %bb.573:
	v_div_scale_f64 v[94:95], s[20:21], v[119:120], v[119:120], v[117:118]
	v_rcp_f64_e32 v[96:97], v[94:95]
	v_fma_f64 v[98:99], -v[94:95], v[96:97], 1.0
	v_fma_f64 v[96:97], v[96:97], v[98:99], v[96:97]
	v_div_scale_f64 v[98:99], vcc, v[117:118], v[119:120], v[117:118]
	v_fma_f64 v[100:101], -v[94:95], v[96:97], 1.0
	v_fma_f64 v[96:97], v[96:97], v[100:101], v[96:97]
	v_mul_f64 v[100:101], v[98:99], v[96:97]
	v_fma_f64 v[94:95], -v[94:95], v[100:101], v[98:99]
	v_div_fmas_f64 v[94:95], v[94:95], v[96:97], v[100:101]
	v_div_fixup_f64 v[94:95], v[94:95], v[119:120], v[117:118]
	v_fma_f64 v[96:97], v[117:118], v[94:95], v[119:120]
	v_div_scale_f64 v[98:99], s[20:21], v[96:97], v[96:97], 1.0
	v_div_scale_f64 v[104:105], vcc, 1.0, v[96:97], 1.0
	v_rcp_f64_e32 v[100:101], v[98:99]
	v_fma_f64 v[102:103], -v[98:99], v[100:101], 1.0
	v_fma_f64 v[100:101], v[100:101], v[102:103], v[100:101]
	v_fma_f64 v[102:103], -v[98:99], v[100:101], 1.0
	v_fma_f64 v[100:101], v[100:101], v[102:103], v[100:101]
	v_mul_f64 v[102:103], v[104:105], v[100:101]
	v_fma_f64 v[98:99], -v[98:99], v[102:103], v[104:105]
	v_div_fmas_f64 v[98:99], v[98:99], v[100:101], v[102:103]
	v_div_fixup_f64 v[119:120], v[98:99], v[96:97], 1.0
	v_mul_f64 v[117:118], v[94:95], v[119:120]
	v_xor_b32_e32 v120, 0x80000000, v120
.LBB96_574:
	s_andn2_saveexec_b64 s[18:19], s[18:19]
	s_cbranch_execz .LBB96_576
; %bb.575:
	v_div_scale_f64 v[94:95], s[20:21], v[117:118], v[117:118], v[119:120]
	v_rcp_f64_e32 v[96:97], v[94:95]
	v_fma_f64 v[98:99], -v[94:95], v[96:97], 1.0
	v_fma_f64 v[96:97], v[96:97], v[98:99], v[96:97]
	v_div_scale_f64 v[98:99], vcc, v[119:120], v[117:118], v[119:120]
	v_fma_f64 v[100:101], -v[94:95], v[96:97], 1.0
	v_fma_f64 v[96:97], v[96:97], v[100:101], v[96:97]
	v_mul_f64 v[100:101], v[98:99], v[96:97]
	v_fma_f64 v[94:95], -v[94:95], v[100:101], v[98:99]
	v_div_fmas_f64 v[94:95], v[94:95], v[96:97], v[100:101]
	v_div_fixup_f64 v[94:95], v[94:95], v[117:118], v[119:120]
	v_fma_f64 v[96:97], v[119:120], v[94:95], v[117:118]
	v_div_scale_f64 v[98:99], s[20:21], v[96:97], v[96:97], 1.0
	v_div_scale_f64 v[104:105], vcc, 1.0, v[96:97], 1.0
	v_rcp_f64_e32 v[100:101], v[98:99]
	v_fma_f64 v[102:103], -v[98:99], v[100:101], 1.0
	v_fma_f64 v[100:101], v[100:101], v[102:103], v[100:101]
	v_fma_f64 v[102:103], -v[98:99], v[100:101], 1.0
	v_fma_f64 v[100:101], v[100:101], v[102:103], v[100:101]
	v_mul_f64 v[102:103], v[104:105], v[100:101]
	v_fma_f64 v[98:99], -v[98:99], v[102:103], v[104:105]
	v_div_fmas_f64 v[98:99], v[98:99], v[100:101], v[102:103]
	v_div_fixup_f64 v[117:118], v[98:99], v[96:97], 1.0
	v_mul_f64 v[119:120], v[94:95], -v[117:118]
.LBB96_576:
	s_or_b64 exec, exec, s[18:19]
.LBB96_577:
	s_or_b64 exec, exec, s[0:1]
	v_cmp_ne_u32_e32 vcc, v92, v93
	s_and_saveexec_b64 s[0:1], vcc
	s_xor_b64 s[0:1], exec, s[0:1]
	s_cbranch_execz .LBB96_583
; %bb.578:
	v_cmp_eq_u32_e32 vcc, 27, v92
	s_and_saveexec_b64 s[18:19], vcc
	s_cbranch_execz .LBB96_582
; %bb.579:
	v_cmp_ne_u32_e32 vcc, 27, v93
	s_xor_b64 s[20:21], s[6:7], -1
	s_and_b64 s[22:23], s[20:21], vcc
	s_and_saveexec_b64 s[20:21], s[22:23]
	s_cbranch_execz .LBB96_581
; %bb.580:
	buffer_load_dword v85, off, s[24:27], 0 offset:352 ; 4-byte Folded Reload
	buffer_load_dword v86, off, s[24:27], 0 offset:356 ; 4-byte Folded Reload
	v_ashrrev_i32_e32 v94, 31, v93
	v_lshlrev_b64 v[94:95], 2, v[93:94]
	s_waitcnt vmcnt(1)
	v_add_co_u32_e32 v94, vcc, v85, v94
	s_waitcnt vmcnt(0)
	v_addc_co_u32_e32 v95, vcc, v86, v95, vcc
	global_load_dword v0, v[94:95], off
	global_load_dword v92, v[85:86], off offset:108
	s_waitcnt vmcnt(1)
	global_store_dword v[85:86], v0, off offset:108
	buffer_load_dword v85, off, s[24:27], 0 offset:392 ; 4-byte Folded Reload
	s_nop 0
	buffer_load_dword v86, off, s[24:27], 0 offset:396 ; 4-byte Folded Reload
	buffer_load_dword v87, off, s[24:27], 0 offset:400 ; 4-byte Folded Reload
	buffer_load_dword v88, off, s[24:27], 0 offset:404 ; 4-byte Folded Reload
	s_waitcnt vmcnt(5)
	global_store_dword v[94:95], v92, off
.LBB96_581:
	s_or_b64 exec, exec, s[20:21]
	v_mov_b32_e32 v92, v93
	v_mov_b32_e32 v0, v93
.LBB96_582:
	s_or_b64 exec, exec, s[18:19]
.LBB96_583:
	s_andn2_saveexec_b64 s[0:1], s[0:1]
	s_cbranch_execz .LBB96_585
; %bb.584:
	ds_write2_b64 v90, v[77:78], v[79:80] offset0:56 offset1:57
	ds_write2_b64 v90, v[73:74], v[75:76] offset0:58 offset1:59
	;; [unrolled: 1-line block ×3, first 2 shown]
	buffer_load_dword v65, off, s[24:27], 0 ; 4-byte Folded Reload
	buffer_load_dword v66, off, s[24:27], 0 offset:4 ; 4-byte Folded Reload
	buffer_load_dword v67, off, s[24:27], 0 offset:8 ; 4-byte Folded Reload
	;; [unrolled: 1-line block ×3, first 2 shown]
	v_mov_b32_e32 v92, 27
	s_waitcnt vmcnt(0)
	ds_write2_b64 v90, v[65:66], v[67:68] offset0:62 offset1:63
	ds_write2_b64 v90, v[61:62], v[63:64] offset0:64 offset1:65
	;; [unrolled: 1-line block ×18, first 2 shown]
.LBB96_585:
	s_or_b64 exec, exec, s[0:1]
	v_cmp_lt_i32_e32 vcc, 27, v92
	s_waitcnt vmcnt(0) lgkmcnt(0)
	s_barrier
	s_and_saveexec_b64 s[0:1], vcc
	s_cbranch_execz .LBB96_587
; %bb.586:
	v_mul_f64 v[93:94], v[119:120], v[83:84]
	v_mul_f64 v[83:84], v[117:118], v[83:84]
	v_fma_f64 v[97:98], v[117:118], v[81:82], -v[93:94]
	v_fma_f64 v[83:84], v[119:120], v[81:82], v[83:84]
	ds_read2_b64 v[93:96], v90 offset0:56 offset1:57
	s_waitcnt lgkmcnt(0)
	v_mul_f64 v[81:82], v[95:96], v[83:84]
	v_fma_f64 v[81:82], v[93:94], v[97:98], -v[81:82]
	v_mul_f64 v[93:94], v[93:94], v[83:84]
	v_add_f64 v[77:78], v[77:78], -v[81:82]
	v_fma_f64 v[93:94], v[95:96], v[97:98], v[93:94]
	v_add_f64 v[79:80], v[79:80], -v[93:94]
	ds_read2_b64 v[93:96], v90 offset0:58 offset1:59
	s_waitcnt lgkmcnt(0)
	v_mul_f64 v[81:82], v[95:96], v[83:84]
	v_fma_f64 v[81:82], v[93:94], v[97:98], -v[81:82]
	v_mul_f64 v[93:94], v[93:94], v[83:84]
	v_add_f64 v[73:74], v[73:74], -v[81:82]
	v_fma_f64 v[93:94], v[95:96], v[97:98], v[93:94]
	v_add_f64 v[75:76], v[75:76], -v[93:94]
	;; [unrolled: 8-line block ×3, first 2 shown]
	ds_read2_b64 v[93:96], v90 offset0:62 offset1:63
	buffer_load_dword v65, off, s[24:27], 0 ; 4-byte Folded Reload
	buffer_load_dword v66, off, s[24:27], 0 offset:4 ; 4-byte Folded Reload
	buffer_load_dword v67, off, s[24:27], 0 offset:8 ; 4-byte Folded Reload
	;; [unrolled: 1-line block ×3, first 2 shown]
	s_waitcnt lgkmcnt(0)
	v_mul_f64 v[81:82], v[95:96], v[83:84]
	v_fma_f64 v[81:82], v[93:94], v[97:98], -v[81:82]
	v_mul_f64 v[93:94], v[93:94], v[83:84]
	v_fma_f64 v[93:94], v[95:96], v[97:98], v[93:94]
	s_waitcnt vmcnt(2)
	v_add_f64 v[65:66], v[65:66], -v[81:82]
	s_waitcnt vmcnt(0)
	v_add_f64 v[67:68], v[67:68], -v[93:94]
	buffer_store_dword v65, off, s[24:27], 0 ; 4-byte Folded Spill
	s_nop 0
	buffer_store_dword v66, off, s[24:27], 0 offset:4 ; 4-byte Folded Spill
	buffer_store_dword v67, off, s[24:27], 0 offset:8 ; 4-byte Folded Spill
	;; [unrolled: 1-line block ×3, first 2 shown]
	ds_read2_b64 v[93:96], v90 offset0:64 offset1:65
	s_waitcnt lgkmcnt(0)
	v_mul_f64 v[81:82], v[95:96], v[83:84]
	v_fma_f64 v[81:82], v[93:94], v[97:98], -v[81:82]
	v_mul_f64 v[93:94], v[93:94], v[83:84]
	v_add_f64 v[61:62], v[61:62], -v[81:82]
	v_fma_f64 v[93:94], v[95:96], v[97:98], v[93:94]
	v_add_f64 v[63:64], v[63:64], -v[93:94]
	ds_read2_b64 v[93:96], v90 offset0:66 offset1:67
	s_waitcnt lgkmcnt(0)
	v_mul_f64 v[81:82], v[95:96], v[83:84]
	v_fma_f64 v[81:82], v[93:94], v[97:98], -v[81:82]
	v_mul_f64 v[93:94], v[93:94], v[83:84]
	v_add_f64 v[57:58], v[57:58], -v[81:82]
	v_fma_f64 v[93:94], v[95:96], v[97:98], v[93:94]
	v_add_f64 v[59:60], v[59:60], -v[93:94]
	;; [unrolled: 8-line block ×16, first 2 shown]
	ds_read2_b64 v[93:96], v90 offset0:96 offset1:97
	s_waitcnt lgkmcnt(0)
	v_mul_f64 v[81:82], v[95:96], v[83:84]
	v_fma_f64 v[81:82], v[93:94], v[97:98], -v[81:82]
	v_mul_f64 v[93:94], v[93:94], v[83:84]
	v_add_f64 v[121:122], v[121:122], -v[81:82]
	v_fma_f64 v[93:94], v[95:96], v[97:98], v[93:94]
	v_mov_b32_e32 v81, v97
	v_mov_b32_e32 v82, v98
	v_add_f64 v[123:124], v[123:124], -v[93:94]
.LBB96_587:
	s_or_b64 exec, exec, s[0:1]
	v_lshl_add_u32 v93, v92, 4, v90
	s_waitcnt vmcnt(0)
	s_barrier
	ds_write2_b64 v93, v[77:78], v[79:80] offset1:1
	s_waitcnt lgkmcnt(0)
	s_barrier
	ds_read2_b64 v[117:120], v90 offset0:56 offset1:57
	s_cmp_lt_i32 s3, 30
	v_mov_b32_e32 v93, 28
	s_cbranch_scc1 .LBB96_590
; %bb.588:
	v_add_u32_e32 v94, 0x1d0, v90
	s_mov_b32 s0, 29
	v_mov_b32_e32 v93, 28
.LBB96_589:                             ; =>This Inner Loop Header: Depth=1
	s_waitcnt lgkmcnt(0)
	v_cmp_gt_f64_e32 vcc, 0, v[117:118]
	v_xor_b32_e32 v99, 0x80000000, v118
	ds_read2_b64 v[95:98], v94 offset1:1
	v_xor_b32_e32 v101, 0x80000000, v120
	v_add_u32_e32 v94, 16, v94
	s_waitcnt lgkmcnt(0)
	v_xor_b32_e32 v103, 0x80000000, v98
	v_cndmask_b32_e32 v100, v118, v99, vcc
	v_cmp_gt_f64_e32 vcc, 0, v[119:120]
	v_mov_b32_e32 v99, v117
	v_cndmask_b32_e32 v102, v120, v101, vcc
	v_cmp_gt_f64_e32 vcc, 0, v[95:96]
	v_mov_b32_e32 v101, v119
	v_add_f64 v[99:100], v[99:100], v[101:102]
	v_xor_b32_e32 v101, 0x80000000, v96
	v_cndmask_b32_e32 v102, v96, v101, vcc
	v_cmp_gt_f64_e32 vcc, 0, v[97:98]
	v_mov_b32_e32 v101, v95
	v_cndmask_b32_e32 v104, v98, v103, vcc
	v_mov_b32_e32 v103, v97
	v_add_f64 v[101:102], v[101:102], v[103:104]
	v_cmp_lt_f64_e32 vcc, v[99:100], v[101:102]
	v_cndmask_b32_e32 v117, v117, v95, vcc
	v_mov_b32_e32 v95, s0
	s_add_i32 s0, s0, 1
	v_cndmask_b32_e32 v118, v118, v96, vcc
	v_cndmask_b32_e32 v120, v120, v98, vcc
	;; [unrolled: 1-line block ×4, first 2 shown]
	s_cmp_lg_u32 s3, s0
	s_cbranch_scc1 .LBB96_589
.LBB96_590:
	s_waitcnt lgkmcnt(0)
	v_cmp_eq_f64_e32 vcc, 0, v[117:118]
	v_cmp_eq_f64_e64 s[0:1], 0, v[119:120]
	s_and_b64 s[0:1], vcc, s[0:1]
	s_and_saveexec_b64 s[18:19], s[0:1]
	s_xor_b64 s[0:1], exec, s[18:19]
; %bb.591:
	v_cmp_ne_u32_e32 vcc, 0, v91
	v_cndmask_b32_e32 v91, 29, v91, vcc
; %bb.592:
	s_andn2_saveexec_b64 s[0:1], s[0:1]
	s_cbranch_execz .LBB96_598
; %bb.593:
	v_cmp_ngt_f64_e64 s[18:19], |v[117:118]|, |v[119:120]|
	s_and_saveexec_b64 s[20:21], s[18:19]
	s_xor_b64 s[18:19], exec, s[20:21]
	s_cbranch_execz .LBB96_595
; %bb.594:
	v_div_scale_f64 v[94:95], s[20:21], v[119:120], v[119:120], v[117:118]
	v_rcp_f64_e32 v[96:97], v[94:95]
	v_fma_f64 v[98:99], -v[94:95], v[96:97], 1.0
	v_fma_f64 v[96:97], v[96:97], v[98:99], v[96:97]
	v_div_scale_f64 v[98:99], vcc, v[117:118], v[119:120], v[117:118]
	v_fma_f64 v[100:101], -v[94:95], v[96:97], 1.0
	v_fma_f64 v[96:97], v[96:97], v[100:101], v[96:97]
	v_mul_f64 v[100:101], v[98:99], v[96:97]
	v_fma_f64 v[94:95], -v[94:95], v[100:101], v[98:99]
	v_div_fmas_f64 v[94:95], v[94:95], v[96:97], v[100:101]
	v_div_fixup_f64 v[94:95], v[94:95], v[119:120], v[117:118]
	v_fma_f64 v[96:97], v[117:118], v[94:95], v[119:120]
	v_div_scale_f64 v[98:99], s[20:21], v[96:97], v[96:97], 1.0
	v_div_scale_f64 v[104:105], vcc, 1.0, v[96:97], 1.0
	v_rcp_f64_e32 v[100:101], v[98:99]
	v_fma_f64 v[102:103], -v[98:99], v[100:101], 1.0
	v_fma_f64 v[100:101], v[100:101], v[102:103], v[100:101]
	v_fma_f64 v[102:103], -v[98:99], v[100:101], 1.0
	v_fma_f64 v[100:101], v[100:101], v[102:103], v[100:101]
	v_mul_f64 v[102:103], v[104:105], v[100:101]
	v_fma_f64 v[98:99], -v[98:99], v[102:103], v[104:105]
	v_div_fmas_f64 v[98:99], v[98:99], v[100:101], v[102:103]
	v_div_fixup_f64 v[119:120], v[98:99], v[96:97], 1.0
	v_mul_f64 v[117:118], v[94:95], v[119:120]
	v_xor_b32_e32 v120, 0x80000000, v120
.LBB96_595:
	s_andn2_saveexec_b64 s[18:19], s[18:19]
	s_cbranch_execz .LBB96_597
; %bb.596:
	v_div_scale_f64 v[94:95], s[20:21], v[117:118], v[117:118], v[119:120]
	v_rcp_f64_e32 v[96:97], v[94:95]
	v_fma_f64 v[98:99], -v[94:95], v[96:97], 1.0
	v_fma_f64 v[96:97], v[96:97], v[98:99], v[96:97]
	v_div_scale_f64 v[98:99], vcc, v[119:120], v[117:118], v[119:120]
	v_fma_f64 v[100:101], -v[94:95], v[96:97], 1.0
	v_fma_f64 v[96:97], v[96:97], v[100:101], v[96:97]
	v_mul_f64 v[100:101], v[98:99], v[96:97]
	v_fma_f64 v[94:95], -v[94:95], v[100:101], v[98:99]
	v_div_fmas_f64 v[94:95], v[94:95], v[96:97], v[100:101]
	v_div_fixup_f64 v[94:95], v[94:95], v[117:118], v[119:120]
	v_fma_f64 v[96:97], v[119:120], v[94:95], v[117:118]
	v_div_scale_f64 v[98:99], s[20:21], v[96:97], v[96:97], 1.0
	v_div_scale_f64 v[104:105], vcc, 1.0, v[96:97], 1.0
	v_rcp_f64_e32 v[100:101], v[98:99]
	v_fma_f64 v[102:103], -v[98:99], v[100:101], 1.0
	v_fma_f64 v[100:101], v[100:101], v[102:103], v[100:101]
	v_fma_f64 v[102:103], -v[98:99], v[100:101], 1.0
	v_fma_f64 v[100:101], v[100:101], v[102:103], v[100:101]
	v_mul_f64 v[102:103], v[104:105], v[100:101]
	v_fma_f64 v[98:99], -v[98:99], v[102:103], v[104:105]
	v_div_fmas_f64 v[98:99], v[98:99], v[100:101], v[102:103]
	v_div_fixup_f64 v[117:118], v[98:99], v[96:97], 1.0
	v_mul_f64 v[119:120], v[94:95], -v[117:118]
.LBB96_597:
	s_or_b64 exec, exec, s[18:19]
.LBB96_598:
	s_or_b64 exec, exec, s[0:1]
	v_cmp_ne_u32_e32 vcc, v92, v93
	s_and_saveexec_b64 s[0:1], vcc
	s_xor_b64 s[0:1], exec, s[0:1]
	s_cbranch_execz .LBB96_604
; %bb.599:
	v_cmp_eq_u32_e32 vcc, 28, v92
	s_and_saveexec_b64 s[18:19], vcc
	s_cbranch_execz .LBB96_603
; %bb.600:
	v_cmp_ne_u32_e32 vcc, 28, v93
	s_xor_b64 s[20:21], s[6:7], -1
	s_and_b64 s[22:23], s[20:21], vcc
	s_and_saveexec_b64 s[20:21], s[22:23]
	s_cbranch_execz .LBB96_602
; %bb.601:
	buffer_load_dword v85, off, s[24:27], 0 offset:352 ; 4-byte Folded Reload
	buffer_load_dword v86, off, s[24:27], 0 offset:356 ; 4-byte Folded Reload
	v_ashrrev_i32_e32 v94, 31, v93
	v_lshlrev_b64 v[94:95], 2, v[93:94]
	s_waitcnt vmcnt(1)
	v_add_co_u32_e32 v94, vcc, v85, v94
	s_waitcnt vmcnt(0)
	v_addc_co_u32_e32 v95, vcc, v86, v95, vcc
	global_load_dword v0, v[94:95], off
	global_load_dword v92, v[85:86], off offset:112
	s_waitcnt vmcnt(1)
	global_store_dword v[85:86], v0, off offset:112
	buffer_load_dword v85, off, s[24:27], 0 offset:392 ; 4-byte Folded Reload
	s_nop 0
	buffer_load_dword v86, off, s[24:27], 0 offset:396 ; 4-byte Folded Reload
	buffer_load_dword v87, off, s[24:27], 0 offset:400 ; 4-byte Folded Reload
	;; [unrolled: 1-line block ×3, first 2 shown]
	s_waitcnt vmcnt(5)
	global_store_dword v[94:95], v92, off
.LBB96_602:
	s_or_b64 exec, exec, s[20:21]
	v_mov_b32_e32 v92, v93
	v_mov_b32_e32 v0, v93
.LBB96_603:
	s_or_b64 exec, exec, s[18:19]
.LBB96_604:
	s_andn2_saveexec_b64 s[0:1], s[0:1]
	s_cbranch_execz .LBB96_606
; %bb.605:
	ds_write2_b64 v90, v[73:74], v[75:76] offset0:58 offset1:59
	ds_write2_b64 v90, v[69:70], v[71:72] offset0:60 offset1:61
	buffer_load_dword v65, off, s[24:27], 0 ; 4-byte Folded Reload
	buffer_load_dword v66, off, s[24:27], 0 offset:4 ; 4-byte Folded Reload
	buffer_load_dword v67, off, s[24:27], 0 offset:8 ; 4-byte Folded Reload
	;; [unrolled: 1-line block ×3, first 2 shown]
	v_mov_b32_e32 v92, 28
	s_waitcnt vmcnt(0)
	ds_write2_b64 v90, v[65:66], v[67:68] offset0:62 offset1:63
	ds_write2_b64 v90, v[61:62], v[63:64] offset0:64 offset1:65
	;; [unrolled: 1-line block ×18, first 2 shown]
.LBB96_606:
	s_or_b64 exec, exec, s[0:1]
	v_cmp_lt_i32_e32 vcc, 28, v92
	s_waitcnt vmcnt(0) lgkmcnt(0)
	s_barrier
	s_and_saveexec_b64 s[0:1], vcc
	s_cbranch_execz .LBB96_608
; %bb.607:
	v_mul_f64 v[93:94], v[119:120], v[79:80]
	v_mul_f64 v[79:80], v[117:118], v[79:80]
	ds_read2_b64 v[95:98], v90 offset0:58 offset1:59
	v_fma_f64 v[93:94], v[117:118], v[77:78], -v[93:94]
	v_fma_f64 v[79:80], v[119:120], v[77:78], v[79:80]
	s_waitcnt lgkmcnt(0)
	v_mul_f64 v[77:78], v[97:98], v[79:80]
	v_fma_f64 v[77:78], v[95:96], v[93:94], -v[77:78]
	v_mul_f64 v[95:96], v[95:96], v[79:80]
	v_add_f64 v[73:74], v[73:74], -v[77:78]
	v_fma_f64 v[95:96], v[97:98], v[93:94], v[95:96]
	v_add_f64 v[75:76], v[75:76], -v[95:96]
	ds_read2_b64 v[95:98], v90 offset0:60 offset1:61
	s_waitcnt lgkmcnt(0)
	v_mul_f64 v[77:78], v[97:98], v[79:80]
	v_fma_f64 v[77:78], v[95:96], v[93:94], -v[77:78]
	v_mul_f64 v[95:96], v[95:96], v[79:80]
	v_add_f64 v[69:70], v[69:70], -v[77:78]
	v_fma_f64 v[95:96], v[97:98], v[93:94], v[95:96]
	v_add_f64 v[71:72], v[71:72], -v[95:96]
	ds_read2_b64 v[95:98], v90 offset0:62 offset1:63
	buffer_load_dword v65, off, s[24:27], 0 ; 4-byte Folded Reload
	buffer_load_dword v66, off, s[24:27], 0 offset:4 ; 4-byte Folded Reload
	buffer_load_dword v67, off, s[24:27], 0 offset:8 ; 4-byte Folded Reload
	buffer_load_dword v68, off, s[24:27], 0 offset:12 ; 4-byte Folded Reload
	s_waitcnt lgkmcnt(0)
	v_mul_f64 v[77:78], v[97:98], v[79:80]
	v_fma_f64 v[77:78], v[95:96], v[93:94], -v[77:78]
	v_mul_f64 v[95:96], v[95:96], v[79:80]
	v_fma_f64 v[95:96], v[97:98], v[93:94], v[95:96]
	s_waitcnt vmcnt(2)
	v_add_f64 v[65:66], v[65:66], -v[77:78]
	s_waitcnt vmcnt(0)
	v_add_f64 v[67:68], v[67:68], -v[95:96]
	buffer_store_dword v65, off, s[24:27], 0 ; 4-byte Folded Spill
	s_nop 0
	buffer_store_dword v66, off, s[24:27], 0 offset:4 ; 4-byte Folded Spill
	buffer_store_dword v67, off, s[24:27], 0 offset:8 ; 4-byte Folded Spill
	;; [unrolled: 1-line block ×3, first 2 shown]
	ds_read2_b64 v[95:98], v90 offset0:64 offset1:65
	s_waitcnt lgkmcnt(0)
	v_mul_f64 v[77:78], v[97:98], v[79:80]
	v_fma_f64 v[77:78], v[95:96], v[93:94], -v[77:78]
	v_mul_f64 v[95:96], v[95:96], v[79:80]
	v_add_f64 v[61:62], v[61:62], -v[77:78]
	v_fma_f64 v[95:96], v[97:98], v[93:94], v[95:96]
	v_add_f64 v[63:64], v[63:64], -v[95:96]
	ds_read2_b64 v[95:98], v90 offset0:66 offset1:67
	s_waitcnt lgkmcnt(0)
	v_mul_f64 v[77:78], v[97:98], v[79:80]
	v_fma_f64 v[77:78], v[95:96], v[93:94], -v[77:78]
	v_mul_f64 v[95:96], v[95:96], v[79:80]
	v_add_f64 v[57:58], v[57:58], -v[77:78]
	v_fma_f64 v[95:96], v[97:98], v[93:94], v[95:96]
	v_add_f64 v[59:60], v[59:60], -v[95:96]
	;; [unrolled: 8-line block ×16, first 2 shown]
	ds_read2_b64 v[95:98], v90 offset0:96 offset1:97
	s_waitcnt lgkmcnt(0)
	v_mul_f64 v[77:78], v[97:98], v[79:80]
	v_fma_f64 v[77:78], v[95:96], v[93:94], -v[77:78]
	v_mul_f64 v[95:96], v[95:96], v[79:80]
	v_add_f64 v[121:122], v[121:122], -v[77:78]
	v_fma_f64 v[95:96], v[97:98], v[93:94], v[95:96]
	v_mov_b32_e32 v77, v93
	v_mov_b32_e32 v78, v94
	v_add_f64 v[123:124], v[123:124], -v[95:96]
.LBB96_608:
	s_or_b64 exec, exec, s[0:1]
	v_lshl_add_u32 v93, v92, 4, v90
	s_waitcnt vmcnt(0)
	s_barrier
	ds_write2_b64 v93, v[73:74], v[75:76] offset1:1
	s_waitcnt lgkmcnt(0)
	s_barrier
	ds_read2_b64 v[117:120], v90 offset0:58 offset1:59
	s_cmp_lt_i32 s3, 31
	v_mov_b32_e32 v93, 29
	s_cbranch_scc1 .LBB96_611
; %bb.609:
	v_add_u32_e32 v94, 0x1e0, v90
	s_mov_b32 s0, 30
	v_mov_b32_e32 v93, 29
.LBB96_610:                             ; =>This Inner Loop Header: Depth=1
	s_waitcnt lgkmcnt(0)
	v_cmp_gt_f64_e32 vcc, 0, v[117:118]
	v_xor_b32_e32 v99, 0x80000000, v118
	ds_read2_b64 v[95:98], v94 offset1:1
	v_xor_b32_e32 v101, 0x80000000, v120
	v_add_u32_e32 v94, 16, v94
	s_waitcnt lgkmcnt(0)
	v_xor_b32_e32 v103, 0x80000000, v98
	v_cndmask_b32_e32 v100, v118, v99, vcc
	v_cmp_gt_f64_e32 vcc, 0, v[119:120]
	v_mov_b32_e32 v99, v117
	v_cndmask_b32_e32 v102, v120, v101, vcc
	v_cmp_gt_f64_e32 vcc, 0, v[95:96]
	v_mov_b32_e32 v101, v119
	v_add_f64 v[99:100], v[99:100], v[101:102]
	v_xor_b32_e32 v101, 0x80000000, v96
	v_cndmask_b32_e32 v102, v96, v101, vcc
	v_cmp_gt_f64_e32 vcc, 0, v[97:98]
	v_mov_b32_e32 v101, v95
	v_cndmask_b32_e32 v104, v98, v103, vcc
	v_mov_b32_e32 v103, v97
	v_add_f64 v[101:102], v[101:102], v[103:104]
	v_cmp_lt_f64_e32 vcc, v[99:100], v[101:102]
	v_cndmask_b32_e32 v117, v117, v95, vcc
	v_mov_b32_e32 v95, s0
	s_add_i32 s0, s0, 1
	v_cndmask_b32_e32 v118, v118, v96, vcc
	v_cndmask_b32_e32 v120, v120, v98, vcc
	v_cndmask_b32_e32 v119, v119, v97, vcc
	v_cndmask_b32_e32 v93, v93, v95, vcc
	s_cmp_lg_u32 s3, s0
	s_cbranch_scc1 .LBB96_610
.LBB96_611:
	s_waitcnt lgkmcnt(0)
	v_cmp_eq_f64_e32 vcc, 0, v[117:118]
	v_cmp_eq_f64_e64 s[0:1], 0, v[119:120]
	s_and_b64 s[0:1], vcc, s[0:1]
	s_and_saveexec_b64 s[18:19], s[0:1]
	s_xor_b64 s[0:1], exec, s[18:19]
; %bb.612:
	v_cmp_ne_u32_e32 vcc, 0, v91
	v_cndmask_b32_e32 v91, 30, v91, vcc
; %bb.613:
	s_andn2_saveexec_b64 s[0:1], s[0:1]
	s_cbranch_execz .LBB96_619
; %bb.614:
	v_cmp_ngt_f64_e64 s[18:19], |v[117:118]|, |v[119:120]|
	s_and_saveexec_b64 s[20:21], s[18:19]
	s_xor_b64 s[18:19], exec, s[20:21]
	s_cbranch_execz .LBB96_616
; %bb.615:
	v_div_scale_f64 v[94:95], s[20:21], v[119:120], v[119:120], v[117:118]
	v_rcp_f64_e32 v[96:97], v[94:95]
	v_fma_f64 v[98:99], -v[94:95], v[96:97], 1.0
	v_fma_f64 v[96:97], v[96:97], v[98:99], v[96:97]
	v_div_scale_f64 v[98:99], vcc, v[117:118], v[119:120], v[117:118]
	v_fma_f64 v[100:101], -v[94:95], v[96:97], 1.0
	v_fma_f64 v[96:97], v[96:97], v[100:101], v[96:97]
	v_mul_f64 v[100:101], v[98:99], v[96:97]
	v_fma_f64 v[94:95], -v[94:95], v[100:101], v[98:99]
	v_div_fmas_f64 v[94:95], v[94:95], v[96:97], v[100:101]
	v_div_fixup_f64 v[94:95], v[94:95], v[119:120], v[117:118]
	v_fma_f64 v[96:97], v[117:118], v[94:95], v[119:120]
	v_div_scale_f64 v[98:99], s[20:21], v[96:97], v[96:97], 1.0
	v_div_scale_f64 v[104:105], vcc, 1.0, v[96:97], 1.0
	v_rcp_f64_e32 v[100:101], v[98:99]
	v_fma_f64 v[102:103], -v[98:99], v[100:101], 1.0
	v_fma_f64 v[100:101], v[100:101], v[102:103], v[100:101]
	v_fma_f64 v[102:103], -v[98:99], v[100:101], 1.0
	v_fma_f64 v[100:101], v[100:101], v[102:103], v[100:101]
	v_mul_f64 v[102:103], v[104:105], v[100:101]
	v_fma_f64 v[98:99], -v[98:99], v[102:103], v[104:105]
	v_div_fmas_f64 v[98:99], v[98:99], v[100:101], v[102:103]
	v_div_fixup_f64 v[119:120], v[98:99], v[96:97], 1.0
	v_mul_f64 v[117:118], v[94:95], v[119:120]
	v_xor_b32_e32 v120, 0x80000000, v120
.LBB96_616:
	s_andn2_saveexec_b64 s[18:19], s[18:19]
	s_cbranch_execz .LBB96_618
; %bb.617:
	v_div_scale_f64 v[94:95], s[20:21], v[117:118], v[117:118], v[119:120]
	v_rcp_f64_e32 v[96:97], v[94:95]
	v_fma_f64 v[98:99], -v[94:95], v[96:97], 1.0
	v_fma_f64 v[96:97], v[96:97], v[98:99], v[96:97]
	v_div_scale_f64 v[98:99], vcc, v[119:120], v[117:118], v[119:120]
	v_fma_f64 v[100:101], -v[94:95], v[96:97], 1.0
	v_fma_f64 v[96:97], v[96:97], v[100:101], v[96:97]
	v_mul_f64 v[100:101], v[98:99], v[96:97]
	v_fma_f64 v[94:95], -v[94:95], v[100:101], v[98:99]
	v_div_fmas_f64 v[94:95], v[94:95], v[96:97], v[100:101]
	v_div_fixup_f64 v[94:95], v[94:95], v[117:118], v[119:120]
	v_fma_f64 v[96:97], v[119:120], v[94:95], v[117:118]
	v_div_scale_f64 v[98:99], s[20:21], v[96:97], v[96:97], 1.0
	v_div_scale_f64 v[104:105], vcc, 1.0, v[96:97], 1.0
	v_rcp_f64_e32 v[100:101], v[98:99]
	v_fma_f64 v[102:103], -v[98:99], v[100:101], 1.0
	v_fma_f64 v[100:101], v[100:101], v[102:103], v[100:101]
	v_fma_f64 v[102:103], -v[98:99], v[100:101], 1.0
	v_fma_f64 v[100:101], v[100:101], v[102:103], v[100:101]
	v_mul_f64 v[102:103], v[104:105], v[100:101]
	v_fma_f64 v[98:99], -v[98:99], v[102:103], v[104:105]
	v_div_fmas_f64 v[98:99], v[98:99], v[100:101], v[102:103]
	v_div_fixup_f64 v[117:118], v[98:99], v[96:97], 1.0
	v_mul_f64 v[119:120], v[94:95], -v[117:118]
.LBB96_618:
	s_or_b64 exec, exec, s[18:19]
.LBB96_619:
	s_or_b64 exec, exec, s[0:1]
	v_cmp_ne_u32_e32 vcc, v92, v93
	s_and_saveexec_b64 s[0:1], vcc
	s_xor_b64 s[0:1], exec, s[0:1]
	s_cbranch_execz .LBB96_625
; %bb.620:
	v_cmp_eq_u32_e32 vcc, 29, v92
	s_and_saveexec_b64 s[18:19], vcc
	s_cbranch_execz .LBB96_624
; %bb.621:
	v_cmp_ne_u32_e32 vcc, 29, v93
	s_xor_b64 s[20:21], s[6:7], -1
	s_and_b64 s[22:23], s[20:21], vcc
	s_and_saveexec_b64 s[20:21], s[22:23]
	s_cbranch_execz .LBB96_623
; %bb.622:
	buffer_load_dword v85, off, s[24:27], 0 offset:352 ; 4-byte Folded Reload
	buffer_load_dword v86, off, s[24:27], 0 offset:356 ; 4-byte Folded Reload
	v_ashrrev_i32_e32 v94, 31, v93
	v_lshlrev_b64 v[94:95], 2, v[93:94]
	s_waitcnt vmcnt(1)
	v_add_co_u32_e32 v94, vcc, v85, v94
	s_waitcnt vmcnt(0)
	v_addc_co_u32_e32 v95, vcc, v86, v95, vcc
	global_load_dword v0, v[94:95], off
	global_load_dword v92, v[85:86], off offset:116
	s_waitcnt vmcnt(1)
	global_store_dword v[85:86], v0, off offset:116
	buffer_load_dword v85, off, s[24:27], 0 offset:392 ; 4-byte Folded Reload
	s_nop 0
	buffer_load_dword v86, off, s[24:27], 0 offset:396 ; 4-byte Folded Reload
	buffer_load_dword v87, off, s[24:27], 0 offset:400 ; 4-byte Folded Reload
	;; [unrolled: 1-line block ×3, first 2 shown]
	s_waitcnt vmcnt(5)
	global_store_dword v[94:95], v92, off
.LBB96_623:
	s_or_b64 exec, exec, s[20:21]
	v_mov_b32_e32 v92, v93
	v_mov_b32_e32 v0, v93
.LBB96_624:
	s_or_b64 exec, exec, s[18:19]
.LBB96_625:
	s_andn2_saveexec_b64 s[0:1], s[0:1]
	s_cbranch_execz .LBB96_627
; %bb.626:
	ds_write2_b64 v90, v[69:70], v[71:72] offset0:60 offset1:61
	buffer_load_dword v65, off, s[24:27], 0 ; 4-byte Folded Reload
	buffer_load_dword v66, off, s[24:27], 0 offset:4 ; 4-byte Folded Reload
	buffer_load_dword v67, off, s[24:27], 0 offset:8 ; 4-byte Folded Reload
	;; [unrolled: 1-line block ×3, first 2 shown]
	v_mov_b32_e32 v92, 29
	s_waitcnt vmcnt(0)
	ds_write2_b64 v90, v[65:66], v[67:68] offset0:62 offset1:63
	ds_write2_b64 v90, v[61:62], v[63:64] offset0:64 offset1:65
	;; [unrolled: 1-line block ×18, first 2 shown]
.LBB96_627:
	s_or_b64 exec, exec, s[0:1]
	v_cmp_lt_i32_e32 vcc, 29, v92
	s_waitcnt vmcnt(0) lgkmcnt(0)
	s_barrier
	s_and_saveexec_b64 s[0:1], vcc
	s_cbranch_execz .LBB96_629
; %bb.628:
	v_mul_f64 v[93:94], v[119:120], v[75:76]
	v_mul_f64 v[75:76], v[117:118], v[75:76]
	ds_read2_b64 v[95:98], v90 offset0:60 offset1:61
	v_fma_f64 v[93:94], v[117:118], v[73:74], -v[93:94]
	v_fma_f64 v[75:76], v[119:120], v[73:74], v[75:76]
	s_waitcnt lgkmcnt(0)
	v_mul_f64 v[73:74], v[97:98], v[75:76]
	v_fma_f64 v[73:74], v[95:96], v[93:94], -v[73:74]
	v_mul_f64 v[95:96], v[95:96], v[75:76]
	v_add_f64 v[69:70], v[69:70], -v[73:74]
	v_fma_f64 v[95:96], v[97:98], v[93:94], v[95:96]
	v_add_f64 v[71:72], v[71:72], -v[95:96]
	ds_read2_b64 v[95:98], v90 offset0:62 offset1:63
	buffer_load_dword v65, off, s[24:27], 0 ; 4-byte Folded Reload
	buffer_load_dword v66, off, s[24:27], 0 offset:4 ; 4-byte Folded Reload
	buffer_load_dword v67, off, s[24:27], 0 offset:8 ; 4-byte Folded Reload
	;; [unrolled: 1-line block ×3, first 2 shown]
	s_waitcnt lgkmcnt(0)
	v_mul_f64 v[73:74], v[97:98], v[75:76]
	v_fma_f64 v[73:74], v[95:96], v[93:94], -v[73:74]
	v_mul_f64 v[95:96], v[95:96], v[75:76]
	v_fma_f64 v[95:96], v[97:98], v[93:94], v[95:96]
	s_waitcnt vmcnt(2)
	v_add_f64 v[65:66], v[65:66], -v[73:74]
	s_waitcnt vmcnt(0)
	v_add_f64 v[67:68], v[67:68], -v[95:96]
	buffer_store_dword v65, off, s[24:27], 0 ; 4-byte Folded Spill
	s_nop 0
	buffer_store_dword v66, off, s[24:27], 0 offset:4 ; 4-byte Folded Spill
	buffer_store_dword v67, off, s[24:27], 0 offset:8 ; 4-byte Folded Spill
	;; [unrolled: 1-line block ×3, first 2 shown]
	ds_read2_b64 v[95:98], v90 offset0:64 offset1:65
	s_waitcnt lgkmcnt(0)
	v_mul_f64 v[73:74], v[97:98], v[75:76]
	v_fma_f64 v[73:74], v[95:96], v[93:94], -v[73:74]
	v_mul_f64 v[95:96], v[95:96], v[75:76]
	v_add_f64 v[61:62], v[61:62], -v[73:74]
	v_fma_f64 v[95:96], v[97:98], v[93:94], v[95:96]
	v_add_f64 v[63:64], v[63:64], -v[95:96]
	ds_read2_b64 v[95:98], v90 offset0:66 offset1:67
	s_waitcnt lgkmcnt(0)
	v_mul_f64 v[73:74], v[97:98], v[75:76]
	v_fma_f64 v[73:74], v[95:96], v[93:94], -v[73:74]
	v_mul_f64 v[95:96], v[95:96], v[75:76]
	v_add_f64 v[57:58], v[57:58], -v[73:74]
	v_fma_f64 v[95:96], v[97:98], v[93:94], v[95:96]
	v_add_f64 v[59:60], v[59:60], -v[95:96]
	;; [unrolled: 8-line block ×16, first 2 shown]
	ds_read2_b64 v[95:98], v90 offset0:96 offset1:97
	s_waitcnt lgkmcnt(0)
	v_mul_f64 v[73:74], v[97:98], v[75:76]
	v_fma_f64 v[73:74], v[95:96], v[93:94], -v[73:74]
	v_mul_f64 v[95:96], v[95:96], v[75:76]
	v_add_f64 v[121:122], v[121:122], -v[73:74]
	v_fma_f64 v[95:96], v[97:98], v[93:94], v[95:96]
	v_mov_b32_e32 v73, v93
	v_mov_b32_e32 v74, v94
	v_add_f64 v[123:124], v[123:124], -v[95:96]
.LBB96_629:
	s_or_b64 exec, exec, s[0:1]
	v_lshl_add_u32 v93, v92, 4, v90
	s_waitcnt vmcnt(0)
	s_barrier
	ds_write2_b64 v93, v[69:70], v[71:72] offset1:1
	s_waitcnt lgkmcnt(0)
	s_barrier
	ds_read2_b64 v[117:120], v90 offset0:60 offset1:61
	s_cmp_lt_i32 s3, 32
	v_mov_b32_e32 v93, 30
	s_cbranch_scc1 .LBB96_632
; %bb.630:
	v_add_u32_e32 v94, 0x1f0, v90
	s_mov_b32 s0, 31
	v_mov_b32_e32 v93, 30
.LBB96_631:                             ; =>This Inner Loop Header: Depth=1
	s_waitcnt lgkmcnt(0)
	v_cmp_gt_f64_e32 vcc, 0, v[117:118]
	v_xor_b32_e32 v99, 0x80000000, v118
	ds_read2_b64 v[95:98], v94 offset1:1
	v_xor_b32_e32 v101, 0x80000000, v120
	v_add_u32_e32 v94, 16, v94
	s_waitcnt lgkmcnt(0)
	v_xor_b32_e32 v103, 0x80000000, v98
	v_cndmask_b32_e32 v100, v118, v99, vcc
	v_cmp_gt_f64_e32 vcc, 0, v[119:120]
	v_mov_b32_e32 v99, v117
	v_cndmask_b32_e32 v102, v120, v101, vcc
	v_cmp_gt_f64_e32 vcc, 0, v[95:96]
	v_mov_b32_e32 v101, v119
	v_add_f64 v[99:100], v[99:100], v[101:102]
	v_xor_b32_e32 v101, 0x80000000, v96
	v_cndmask_b32_e32 v102, v96, v101, vcc
	v_cmp_gt_f64_e32 vcc, 0, v[97:98]
	v_mov_b32_e32 v101, v95
	v_cndmask_b32_e32 v104, v98, v103, vcc
	v_mov_b32_e32 v103, v97
	v_add_f64 v[101:102], v[101:102], v[103:104]
	v_cmp_lt_f64_e32 vcc, v[99:100], v[101:102]
	v_cndmask_b32_e32 v117, v117, v95, vcc
	v_mov_b32_e32 v95, s0
	s_add_i32 s0, s0, 1
	v_cndmask_b32_e32 v118, v118, v96, vcc
	v_cndmask_b32_e32 v120, v120, v98, vcc
	;; [unrolled: 1-line block ×4, first 2 shown]
	s_cmp_lg_u32 s3, s0
	s_cbranch_scc1 .LBB96_631
.LBB96_632:
	s_waitcnt lgkmcnt(0)
	v_cmp_eq_f64_e32 vcc, 0, v[117:118]
	v_cmp_eq_f64_e64 s[0:1], 0, v[119:120]
	s_and_b64 s[0:1], vcc, s[0:1]
	s_and_saveexec_b64 s[18:19], s[0:1]
	s_xor_b64 s[0:1], exec, s[18:19]
; %bb.633:
	v_cmp_ne_u32_e32 vcc, 0, v91
	v_cndmask_b32_e32 v91, 31, v91, vcc
; %bb.634:
	s_andn2_saveexec_b64 s[0:1], s[0:1]
	s_cbranch_execz .LBB96_640
; %bb.635:
	v_cmp_ngt_f64_e64 s[18:19], |v[117:118]|, |v[119:120]|
	s_and_saveexec_b64 s[20:21], s[18:19]
	s_xor_b64 s[18:19], exec, s[20:21]
	s_cbranch_execz .LBB96_637
; %bb.636:
	v_div_scale_f64 v[94:95], s[20:21], v[119:120], v[119:120], v[117:118]
	v_rcp_f64_e32 v[96:97], v[94:95]
	v_fma_f64 v[98:99], -v[94:95], v[96:97], 1.0
	v_fma_f64 v[96:97], v[96:97], v[98:99], v[96:97]
	v_div_scale_f64 v[98:99], vcc, v[117:118], v[119:120], v[117:118]
	v_fma_f64 v[100:101], -v[94:95], v[96:97], 1.0
	v_fma_f64 v[96:97], v[96:97], v[100:101], v[96:97]
	v_mul_f64 v[100:101], v[98:99], v[96:97]
	v_fma_f64 v[94:95], -v[94:95], v[100:101], v[98:99]
	v_div_fmas_f64 v[94:95], v[94:95], v[96:97], v[100:101]
	v_div_fixup_f64 v[94:95], v[94:95], v[119:120], v[117:118]
	v_fma_f64 v[96:97], v[117:118], v[94:95], v[119:120]
	v_div_scale_f64 v[98:99], s[20:21], v[96:97], v[96:97], 1.0
	v_div_scale_f64 v[104:105], vcc, 1.0, v[96:97], 1.0
	v_rcp_f64_e32 v[100:101], v[98:99]
	v_fma_f64 v[102:103], -v[98:99], v[100:101], 1.0
	v_fma_f64 v[100:101], v[100:101], v[102:103], v[100:101]
	v_fma_f64 v[102:103], -v[98:99], v[100:101], 1.0
	v_fma_f64 v[100:101], v[100:101], v[102:103], v[100:101]
	v_mul_f64 v[102:103], v[104:105], v[100:101]
	v_fma_f64 v[98:99], -v[98:99], v[102:103], v[104:105]
	v_div_fmas_f64 v[98:99], v[98:99], v[100:101], v[102:103]
	v_div_fixup_f64 v[119:120], v[98:99], v[96:97], 1.0
	v_mul_f64 v[117:118], v[94:95], v[119:120]
	v_xor_b32_e32 v120, 0x80000000, v120
.LBB96_637:
	s_andn2_saveexec_b64 s[18:19], s[18:19]
	s_cbranch_execz .LBB96_639
; %bb.638:
	v_div_scale_f64 v[94:95], s[20:21], v[117:118], v[117:118], v[119:120]
	v_rcp_f64_e32 v[96:97], v[94:95]
	v_fma_f64 v[98:99], -v[94:95], v[96:97], 1.0
	v_fma_f64 v[96:97], v[96:97], v[98:99], v[96:97]
	v_div_scale_f64 v[98:99], vcc, v[119:120], v[117:118], v[119:120]
	v_fma_f64 v[100:101], -v[94:95], v[96:97], 1.0
	v_fma_f64 v[96:97], v[96:97], v[100:101], v[96:97]
	v_mul_f64 v[100:101], v[98:99], v[96:97]
	v_fma_f64 v[94:95], -v[94:95], v[100:101], v[98:99]
	v_div_fmas_f64 v[94:95], v[94:95], v[96:97], v[100:101]
	v_div_fixup_f64 v[94:95], v[94:95], v[117:118], v[119:120]
	v_fma_f64 v[96:97], v[119:120], v[94:95], v[117:118]
	v_div_scale_f64 v[98:99], s[20:21], v[96:97], v[96:97], 1.0
	v_div_scale_f64 v[104:105], vcc, 1.0, v[96:97], 1.0
	v_rcp_f64_e32 v[100:101], v[98:99]
	v_fma_f64 v[102:103], -v[98:99], v[100:101], 1.0
	v_fma_f64 v[100:101], v[100:101], v[102:103], v[100:101]
	v_fma_f64 v[102:103], -v[98:99], v[100:101], 1.0
	v_fma_f64 v[100:101], v[100:101], v[102:103], v[100:101]
	v_mul_f64 v[102:103], v[104:105], v[100:101]
	v_fma_f64 v[98:99], -v[98:99], v[102:103], v[104:105]
	v_div_fmas_f64 v[98:99], v[98:99], v[100:101], v[102:103]
	v_div_fixup_f64 v[117:118], v[98:99], v[96:97], 1.0
	v_mul_f64 v[119:120], v[94:95], -v[117:118]
.LBB96_639:
	s_or_b64 exec, exec, s[18:19]
.LBB96_640:
	s_or_b64 exec, exec, s[0:1]
	v_cmp_ne_u32_e32 vcc, v92, v93
	s_and_saveexec_b64 s[0:1], vcc
	s_xor_b64 s[0:1], exec, s[0:1]
	s_cbranch_execz .LBB96_646
; %bb.641:
	v_cmp_eq_u32_e32 vcc, 30, v92
	s_and_saveexec_b64 s[18:19], vcc
	s_cbranch_execz .LBB96_645
; %bb.642:
	v_cmp_ne_u32_e32 vcc, 30, v93
	s_xor_b64 s[20:21], s[6:7], -1
	s_and_b64 s[22:23], s[20:21], vcc
	s_and_saveexec_b64 s[20:21], s[22:23]
	s_cbranch_execz .LBB96_644
; %bb.643:
	buffer_load_dword v85, off, s[24:27], 0 offset:352 ; 4-byte Folded Reload
	buffer_load_dword v86, off, s[24:27], 0 offset:356 ; 4-byte Folded Reload
	v_ashrrev_i32_e32 v94, 31, v93
	v_lshlrev_b64 v[94:95], 2, v[93:94]
	s_waitcnt vmcnt(1)
	v_add_co_u32_e32 v94, vcc, v85, v94
	s_waitcnt vmcnt(0)
	v_addc_co_u32_e32 v95, vcc, v86, v95, vcc
	global_load_dword v0, v[94:95], off
	global_load_dword v92, v[85:86], off offset:120
	s_waitcnt vmcnt(1)
	global_store_dword v[85:86], v0, off offset:120
	buffer_load_dword v85, off, s[24:27], 0 offset:392 ; 4-byte Folded Reload
	s_nop 0
	buffer_load_dword v86, off, s[24:27], 0 offset:396 ; 4-byte Folded Reload
	buffer_load_dword v87, off, s[24:27], 0 offset:400 ; 4-byte Folded Reload
	;; [unrolled: 1-line block ×3, first 2 shown]
	s_waitcnt vmcnt(5)
	global_store_dword v[94:95], v92, off
.LBB96_644:
	s_or_b64 exec, exec, s[20:21]
	v_mov_b32_e32 v92, v93
	v_mov_b32_e32 v0, v93
.LBB96_645:
	s_or_b64 exec, exec, s[18:19]
.LBB96_646:
	s_andn2_saveexec_b64 s[0:1], s[0:1]
	s_cbranch_execz .LBB96_648
; %bb.647:
	buffer_load_dword v65, off, s[24:27], 0 ; 4-byte Folded Reload
	buffer_load_dword v66, off, s[24:27], 0 offset:4 ; 4-byte Folded Reload
	buffer_load_dword v67, off, s[24:27], 0 offset:8 ; 4-byte Folded Reload
	;; [unrolled: 1-line block ×3, first 2 shown]
	v_mov_b32_e32 v92, 30
	s_waitcnt vmcnt(0)
	ds_write2_b64 v90, v[65:66], v[67:68] offset0:62 offset1:63
	ds_write2_b64 v90, v[61:62], v[63:64] offset0:64 offset1:65
	;; [unrolled: 1-line block ×18, first 2 shown]
.LBB96_648:
	s_or_b64 exec, exec, s[0:1]
	v_cmp_lt_i32_e32 vcc, 30, v92
	s_waitcnt vmcnt(0) lgkmcnt(0)
	s_barrier
	s_and_saveexec_b64 s[0:1], vcc
	s_cbranch_execz .LBB96_650
; %bb.649:
	ds_read2_b64 v[95:98], v90 offset0:62 offset1:63
	buffer_load_dword v65, off, s[24:27], 0 ; 4-byte Folded Reload
	buffer_load_dword v66, off, s[24:27], 0 offset:4 ; 4-byte Folded Reload
	buffer_load_dword v67, off, s[24:27], 0 offset:8 ; 4-byte Folded Reload
	;; [unrolled: 1-line block ×3, first 2 shown]
	v_mul_f64 v[93:94], v[119:120], v[71:72]
	v_mul_f64 v[71:72], v[117:118], v[71:72]
	v_fma_f64 v[93:94], v[117:118], v[69:70], -v[93:94]
	v_fma_f64 v[71:72], v[119:120], v[69:70], v[71:72]
	s_waitcnt lgkmcnt(0)
	v_mul_f64 v[69:70], v[97:98], v[71:72]
	v_fma_f64 v[69:70], v[95:96], v[93:94], -v[69:70]
	v_mul_f64 v[95:96], v[95:96], v[71:72]
	v_fma_f64 v[95:96], v[97:98], v[93:94], v[95:96]
	s_waitcnt vmcnt(2)
	v_add_f64 v[65:66], v[65:66], -v[69:70]
	s_waitcnt vmcnt(0)
	v_add_f64 v[67:68], v[67:68], -v[95:96]
	buffer_store_dword v65, off, s[24:27], 0 ; 4-byte Folded Spill
	s_nop 0
	buffer_store_dword v66, off, s[24:27], 0 offset:4 ; 4-byte Folded Spill
	buffer_store_dword v67, off, s[24:27], 0 offset:8 ; 4-byte Folded Spill
	;; [unrolled: 1-line block ×3, first 2 shown]
	ds_read2_b64 v[95:98], v90 offset0:64 offset1:65
	s_waitcnt lgkmcnt(0)
	v_mul_f64 v[69:70], v[97:98], v[71:72]
	v_fma_f64 v[69:70], v[95:96], v[93:94], -v[69:70]
	v_mul_f64 v[95:96], v[95:96], v[71:72]
	v_add_f64 v[61:62], v[61:62], -v[69:70]
	v_fma_f64 v[95:96], v[97:98], v[93:94], v[95:96]
	v_add_f64 v[63:64], v[63:64], -v[95:96]
	ds_read2_b64 v[95:98], v90 offset0:66 offset1:67
	s_waitcnt lgkmcnt(0)
	v_mul_f64 v[69:70], v[97:98], v[71:72]
	v_fma_f64 v[69:70], v[95:96], v[93:94], -v[69:70]
	v_mul_f64 v[95:96], v[95:96], v[71:72]
	v_add_f64 v[57:58], v[57:58], -v[69:70]
	v_fma_f64 v[95:96], v[97:98], v[93:94], v[95:96]
	v_add_f64 v[59:60], v[59:60], -v[95:96]
	;; [unrolled: 8-line block ×16, first 2 shown]
	ds_read2_b64 v[95:98], v90 offset0:96 offset1:97
	s_waitcnt lgkmcnt(0)
	v_mul_f64 v[69:70], v[97:98], v[71:72]
	v_fma_f64 v[69:70], v[95:96], v[93:94], -v[69:70]
	v_mul_f64 v[95:96], v[95:96], v[71:72]
	v_add_f64 v[121:122], v[121:122], -v[69:70]
	v_fma_f64 v[95:96], v[97:98], v[93:94], v[95:96]
	v_mov_b32_e32 v69, v93
	v_mov_b32_e32 v70, v94
	v_add_f64 v[123:124], v[123:124], -v[95:96]
.LBB96_650:
	s_or_b64 exec, exec, s[0:1]
	s_waitcnt vmcnt(0)
	s_barrier
	buffer_load_dword v65, off, s[24:27], 0 ; 4-byte Folded Reload
	buffer_load_dword v66, off, s[24:27], 0 offset:4 ; 4-byte Folded Reload
	buffer_load_dword v67, off, s[24:27], 0 offset:8 ; 4-byte Folded Reload
	;; [unrolled: 1-line block ×3, first 2 shown]
	v_lshl_add_u32 v93, v92, 4, v90
	s_cmp_lt_i32 s3, 33
	s_waitcnt vmcnt(0)
	ds_write2_b64 v93, v[65:66], v[67:68] offset1:1
	s_waitcnt lgkmcnt(0)
	s_barrier
	ds_read2_b64 v[117:120], v90 offset0:62 offset1:63
	v_mov_b32_e32 v93, 31
	s_cbranch_scc1 .LBB96_653
; %bb.651:
	v_add_u32_e32 v94, 0x200, v90
	s_mov_b32 s0, 32
	v_mov_b32_e32 v93, 31
.LBB96_652:                             ; =>This Inner Loop Header: Depth=1
	s_waitcnt lgkmcnt(0)
	v_cmp_gt_f64_e32 vcc, 0, v[117:118]
	v_xor_b32_e32 v99, 0x80000000, v118
	ds_read2_b64 v[95:98], v94 offset1:1
	v_xor_b32_e32 v101, 0x80000000, v120
	v_add_u32_e32 v94, 16, v94
	s_waitcnt lgkmcnt(0)
	v_xor_b32_e32 v103, 0x80000000, v98
	v_cndmask_b32_e32 v100, v118, v99, vcc
	v_cmp_gt_f64_e32 vcc, 0, v[119:120]
	v_mov_b32_e32 v99, v117
	v_cndmask_b32_e32 v102, v120, v101, vcc
	v_cmp_gt_f64_e32 vcc, 0, v[95:96]
	v_mov_b32_e32 v101, v119
	v_add_f64 v[99:100], v[99:100], v[101:102]
	v_xor_b32_e32 v101, 0x80000000, v96
	v_cndmask_b32_e32 v102, v96, v101, vcc
	v_cmp_gt_f64_e32 vcc, 0, v[97:98]
	v_mov_b32_e32 v101, v95
	v_cndmask_b32_e32 v104, v98, v103, vcc
	v_mov_b32_e32 v103, v97
	v_add_f64 v[101:102], v[101:102], v[103:104]
	v_cmp_lt_f64_e32 vcc, v[99:100], v[101:102]
	v_cndmask_b32_e32 v117, v117, v95, vcc
	v_mov_b32_e32 v95, s0
	s_add_i32 s0, s0, 1
	v_cndmask_b32_e32 v118, v118, v96, vcc
	v_cndmask_b32_e32 v120, v120, v98, vcc
	;; [unrolled: 1-line block ×4, first 2 shown]
	s_cmp_lg_u32 s3, s0
	s_cbranch_scc1 .LBB96_652
.LBB96_653:
	s_waitcnt lgkmcnt(0)
	v_cmp_eq_f64_e32 vcc, 0, v[117:118]
	v_cmp_eq_f64_e64 s[0:1], 0, v[119:120]
	s_and_b64 s[0:1], vcc, s[0:1]
	s_and_saveexec_b64 s[18:19], s[0:1]
	s_xor_b64 s[0:1], exec, s[18:19]
; %bb.654:
	v_cmp_ne_u32_e32 vcc, 0, v91
	v_cndmask_b32_e32 v91, 32, v91, vcc
; %bb.655:
	s_andn2_saveexec_b64 s[0:1], s[0:1]
	s_cbranch_execz .LBB96_661
; %bb.656:
	v_cmp_ngt_f64_e64 s[18:19], |v[117:118]|, |v[119:120]|
	s_and_saveexec_b64 s[20:21], s[18:19]
	s_xor_b64 s[18:19], exec, s[20:21]
	s_cbranch_execz .LBB96_658
; %bb.657:
	v_div_scale_f64 v[94:95], s[20:21], v[119:120], v[119:120], v[117:118]
	v_rcp_f64_e32 v[96:97], v[94:95]
	v_fma_f64 v[98:99], -v[94:95], v[96:97], 1.0
	v_fma_f64 v[96:97], v[96:97], v[98:99], v[96:97]
	v_div_scale_f64 v[98:99], vcc, v[117:118], v[119:120], v[117:118]
	v_fma_f64 v[100:101], -v[94:95], v[96:97], 1.0
	v_fma_f64 v[96:97], v[96:97], v[100:101], v[96:97]
	v_mul_f64 v[100:101], v[98:99], v[96:97]
	v_fma_f64 v[94:95], -v[94:95], v[100:101], v[98:99]
	v_div_fmas_f64 v[94:95], v[94:95], v[96:97], v[100:101]
	v_div_fixup_f64 v[94:95], v[94:95], v[119:120], v[117:118]
	v_fma_f64 v[96:97], v[117:118], v[94:95], v[119:120]
	v_div_scale_f64 v[98:99], s[20:21], v[96:97], v[96:97], 1.0
	v_div_scale_f64 v[104:105], vcc, 1.0, v[96:97], 1.0
	v_rcp_f64_e32 v[100:101], v[98:99]
	v_fma_f64 v[102:103], -v[98:99], v[100:101], 1.0
	v_fma_f64 v[100:101], v[100:101], v[102:103], v[100:101]
	v_fma_f64 v[102:103], -v[98:99], v[100:101], 1.0
	v_fma_f64 v[100:101], v[100:101], v[102:103], v[100:101]
	v_mul_f64 v[102:103], v[104:105], v[100:101]
	v_fma_f64 v[98:99], -v[98:99], v[102:103], v[104:105]
	v_div_fmas_f64 v[98:99], v[98:99], v[100:101], v[102:103]
	v_div_fixup_f64 v[119:120], v[98:99], v[96:97], 1.0
	v_mul_f64 v[117:118], v[94:95], v[119:120]
	v_xor_b32_e32 v120, 0x80000000, v120
.LBB96_658:
	s_andn2_saveexec_b64 s[18:19], s[18:19]
	s_cbranch_execz .LBB96_660
; %bb.659:
	v_div_scale_f64 v[94:95], s[20:21], v[117:118], v[117:118], v[119:120]
	v_rcp_f64_e32 v[96:97], v[94:95]
	v_fma_f64 v[98:99], -v[94:95], v[96:97], 1.0
	v_fma_f64 v[96:97], v[96:97], v[98:99], v[96:97]
	v_div_scale_f64 v[98:99], vcc, v[119:120], v[117:118], v[119:120]
	v_fma_f64 v[100:101], -v[94:95], v[96:97], 1.0
	v_fma_f64 v[96:97], v[96:97], v[100:101], v[96:97]
	v_mul_f64 v[100:101], v[98:99], v[96:97]
	v_fma_f64 v[94:95], -v[94:95], v[100:101], v[98:99]
	v_div_fmas_f64 v[94:95], v[94:95], v[96:97], v[100:101]
	v_div_fixup_f64 v[94:95], v[94:95], v[117:118], v[119:120]
	v_fma_f64 v[96:97], v[119:120], v[94:95], v[117:118]
	v_div_scale_f64 v[98:99], s[20:21], v[96:97], v[96:97], 1.0
	v_div_scale_f64 v[104:105], vcc, 1.0, v[96:97], 1.0
	v_rcp_f64_e32 v[100:101], v[98:99]
	v_fma_f64 v[102:103], -v[98:99], v[100:101], 1.0
	v_fma_f64 v[100:101], v[100:101], v[102:103], v[100:101]
	v_fma_f64 v[102:103], -v[98:99], v[100:101], 1.0
	v_fma_f64 v[100:101], v[100:101], v[102:103], v[100:101]
	v_mul_f64 v[102:103], v[104:105], v[100:101]
	v_fma_f64 v[98:99], -v[98:99], v[102:103], v[104:105]
	v_div_fmas_f64 v[98:99], v[98:99], v[100:101], v[102:103]
	v_div_fixup_f64 v[117:118], v[98:99], v[96:97], 1.0
	v_mul_f64 v[119:120], v[94:95], -v[117:118]
.LBB96_660:
	s_or_b64 exec, exec, s[18:19]
.LBB96_661:
	s_or_b64 exec, exec, s[0:1]
	v_cmp_ne_u32_e32 vcc, v92, v93
	s_and_saveexec_b64 s[0:1], vcc
	s_xor_b64 s[0:1], exec, s[0:1]
	s_cbranch_execz .LBB96_667
; %bb.662:
	v_cmp_eq_u32_e32 vcc, 31, v92
	s_and_saveexec_b64 s[18:19], vcc
	s_cbranch_execz .LBB96_666
; %bb.663:
	v_cmp_ne_u32_e32 vcc, 31, v93
	s_xor_b64 s[20:21], s[6:7], -1
	s_and_b64 s[22:23], s[20:21], vcc
	s_and_saveexec_b64 s[20:21], s[22:23]
	s_cbranch_execz .LBB96_665
; %bb.664:
	buffer_load_dword v85, off, s[24:27], 0 offset:352 ; 4-byte Folded Reload
	buffer_load_dword v86, off, s[24:27], 0 offset:356 ; 4-byte Folded Reload
	v_ashrrev_i32_e32 v94, 31, v93
	v_lshlrev_b64 v[94:95], 2, v[93:94]
	s_waitcnt vmcnt(1)
	v_add_co_u32_e32 v94, vcc, v85, v94
	s_waitcnt vmcnt(0)
	v_addc_co_u32_e32 v95, vcc, v86, v95, vcc
	global_load_dword v0, v[94:95], off
	global_load_dword v92, v[85:86], off offset:124
	s_waitcnt vmcnt(1)
	global_store_dword v[85:86], v0, off offset:124
	buffer_load_dword v85, off, s[24:27], 0 offset:392 ; 4-byte Folded Reload
	s_nop 0
	buffer_load_dword v86, off, s[24:27], 0 offset:396 ; 4-byte Folded Reload
	buffer_load_dword v87, off, s[24:27], 0 offset:400 ; 4-byte Folded Reload
	buffer_load_dword v88, off, s[24:27], 0 offset:404 ; 4-byte Folded Reload
	s_waitcnt vmcnt(5)
	global_store_dword v[94:95], v92, off
.LBB96_665:
	s_or_b64 exec, exec, s[20:21]
	v_mov_b32_e32 v92, v93
	v_mov_b32_e32 v0, v93
.LBB96_666:
	s_or_b64 exec, exec, s[18:19]
.LBB96_667:
	s_andn2_saveexec_b64 s[0:1], s[0:1]
	s_cbranch_execz .LBB96_669
; %bb.668:
	v_mov_b32_e32 v92, 31
	ds_write2_b64 v90, v[61:62], v[63:64] offset0:64 offset1:65
	ds_write2_b64 v90, v[57:58], v[59:60] offset0:66 offset1:67
	;; [unrolled: 1-line block ×17, first 2 shown]
.LBB96_669:
	s_or_b64 exec, exec, s[0:1]
	v_cmp_lt_i32_e32 vcc, 31, v92
	s_waitcnt vmcnt(0) lgkmcnt(0)
	s_barrier
	s_and_saveexec_b64 s[0:1], vcc
	s_cbranch_execz .LBB96_671
; %bb.670:
	buffer_load_dword v65, off, s[24:27], 0 ; 4-byte Folded Reload
	buffer_load_dword v66, off, s[24:27], 0 offset:4 ; 4-byte Folded Reload
	buffer_load_dword v67, off, s[24:27], 0 offset:8 ; 4-byte Folded Reload
	;; [unrolled: 1-line block ×3, first 2 shown]
	ds_read2_b64 v[95:98], v90 offset0:64 offset1:65
	s_waitcnt vmcnt(0)
	v_mul_f64 v[93:94], v[119:120], v[67:68]
	v_mul_f64 v[67:68], v[117:118], v[67:68]
	v_fma_f64 v[93:94], v[117:118], v[65:66], -v[93:94]
	v_fma_f64 v[67:68], v[119:120], v[65:66], v[67:68]
	s_waitcnt lgkmcnt(0)
	v_mul_f64 v[65:66], v[97:98], v[67:68]
	v_fma_f64 v[65:66], v[95:96], v[93:94], -v[65:66]
	v_mul_f64 v[95:96], v[95:96], v[67:68]
	v_add_f64 v[61:62], v[61:62], -v[65:66]
	v_fma_f64 v[95:96], v[97:98], v[93:94], v[95:96]
	v_add_f64 v[63:64], v[63:64], -v[95:96]
	ds_read2_b64 v[95:98], v90 offset0:66 offset1:67
	s_waitcnt lgkmcnt(0)
	v_mul_f64 v[65:66], v[97:98], v[67:68]
	v_fma_f64 v[65:66], v[95:96], v[93:94], -v[65:66]
	v_mul_f64 v[95:96], v[95:96], v[67:68]
	v_add_f64 v[57:58], v[57:58], -v[65:66]
	v_fma_f64 v[95:96], v[97:98], v[93:94], v[95:96]
	v_add_f64 v[59:60], v[59:60], -v[95:96]
	ds_read2_b64 v[95:98], v90 offset0:68 offset1:69
	;; [unrolled: 8-line block ×16, first 2 shown]
	s_waitcnt lgkmcnt(0)
	v_mul_f64 v[65:66], v[97:98], v[67:68]
	v_fma_f64 v[65:66], v[95:96], v[93:94], -v[65:66]
	v_mul_f64 v[95:96], v[95:96], v[67:68]
	v_add_f64 v[121:122], v[121:122], -v[65:66]
	v_fma_f64 v[95:96], v[97:98], v[93:94], v[95:96]
	v_mov_b32_e32 v65, v93
	v_mov_b32_e32 v66, v94
	buffer_store_dword v65, off, s[24:27], 0 ; 4-byte Folded Spill
	s_nop 0
	buffer_store_dword v66, off, s[24:27], 0 offset:4 ; 4-byte Folded Spill
	buffer_store_dword v67, off, s[24:27], 0 offset:8 ; 4-byte Folded Spill
	buffer_store_dword v68, off, s[24:27], 0 offset:12 ; 4-byte Folded Spill
	v_add_f64 v[123:124], v[123:124], -v[95:96]
.LBB96_671:
	s_or_b64 exec, exec, s[0:1]
	v_lshl_add_u32 v93, v92, 4, v90
	s_waitcnt vmcnt(0)
	s_barrier
	ds_write2_b64 v93, v[61:62], v[63:64] offset1:1
	s_waitcnt lgkmcnt(0)
	s_barrier
	ds_read2_b64 v[117:120], v90 offset0:64 offset1:65
	s_cmp_lt_i32 s3, 34
	v_mov_b32_e32 v93, 32
	s_cbranch_scc1 .LBB96_674
; %bb.672:
	v_add_u32_e32 v94, 0x210, v90
	s_mov_b32 s0, 33
	v_mov_b32_e32 v93, 32
.LBB96_673:                             ; =>This Inner Loop Header: Depth=1
	s_waitcnt lgkmcnt(0)
	v_cmp_gt_f64_e32 vcc, 0, v[117:118]
	v_xor_b32_e32 v99, 0x80000000, v118
	ds_read2_b64 v[95:98], v94 offset1:1
	v_xor_b32_e32 v101, 0x80000000, v120
	v_add_u32_e32 v94, 16, v94
	s_waitcnt lgkmcnt(0)
	v_xor_b32_e32 v103, 0x80000000, v98
	v_cndmask_b32_e32 v100, v118, v99, vcc
	v_cmp_gt_f64_e32 vcc, 0, v[119:120]
	v_mov_b32_e32 v99, v117
	v_cndmask_b32_e32 v102, v120, v101, vcc
	v_cmp_gt_f64_e32 vcc, 0, v[95:96]
	v_mov_b32_e32 v101, v119
	v_add_f64 v[99:100], v[99:100], v[101:102]
	v_xor_b32_e32 v101, 0x80000000, v96
	v_cndmask_b32_e32 v102, v96, v101, vcc
	v_cmp_gt_f64_e32 vcc, 0, v[97:98]
	v_mov_b32_e32 v101, v95
	v_cndmask_b32_e32 v104, v98, v103, vcc
	v_mov_b32_e32 v103, v97
	v_add_f64 v[101:102], v[101:102], v[103:104]
	v_cmp_lt_f64_e32 vcc, v[99:100], v[101:102]
	v_cndmask_b32_e32 v117, v117, v95, vcc
	v_mov_b32_e32 v95, s0
	s_add_i32 s0, s0, 1
	v_cndmask_b32_e32 v118, v118, v96, vcc
	v_cndmask_b32_e32 v120, v120, v98, vcc
	;; [unrolled: 1-line block ×4, first 2 shown]
	s_cmp_lg_u32 s3, s0
	s_cbranch_scc1 .LBB96_673
.LBB96_674:
	s_waitcnt lgkmcnt(0)
	v_cmp_eq_f64_e32 vcc, 0, v[117:118]
	v_cmp_eq_f64_e64 s[0:1], 0, v[119:120]
	s_and_b64 s[0:1], vcc, s[0:1]
	s_and_saveexec_b64 s[18:19], s[0:1]
	s_xor_b64 s[0:1], exec, s[18:19]
; %bb.675:
	v_cmp_ne_u32_e32 vcc, 0, v91
	v_cndmask_b32_e32 v91, 33, v91, vcc
; %bb.676:
	s_andn2_saveexec_b64 s[0:1], s[0:1]
	s_cbranch_execz .LBB96_682
; %bb.677:
	v_cmp_ngt_f64_e64 s[18:19], |v[117:118]|, |v[119:120]|
	s_and_saveexec_b64 s[20:21], s[18:19]
	s_xor_b64 s[18:19], exec, s[20:21]
	s_cbranch_execz .LBB96_679
; %bb.678:
	v_div_scale_f64 v[94:95], s[20:21], v[119:120], v[119:120], v[117:118]
	v_rcp_f64_e32 v[96:97], v[94:95]
	v_fma_f64 v[98:99], -v[94:95], v[96:97], 1.0
	v_fma_f64 v[96:97], v[96:97], v[98:99], v[96:97]
	v_div_scale_f64 v[98:99], vcc, v[117:118], v[119:120], v[117:118]
	v_fma_f64 v[100:101], -v[94:95], v[96:97], 1.0
	v_fma_f64 v[96:97], v[96:97], v[100:101], v[96:97]
	v_mul_f64 v[100:101], v[98:99], v[96:97]
	v_fma_f64 v[94:95], -v[94:95], v[100:101], v[98:99]
	v_div_fmas_f64 v[94:95], v[94:95], v[96:97], v[100:101]
	v_div_fixup_f64 v[94:95], v[94:95], v[119:120], v[117:118]
	v_fma_f64 v[96:97], v[117:118], v[94:95], v[119:120]
	v_div_scale_f64 v[98:99], s[20:21], v[96:97], v[96:97], 1.0
	v_div_scale_f64 v[104:105], vcc, 1.0, v[96:97], 1.0
	v_rcp_f64_e32 v[100:101], v[98:99]
	v_fma_f64 v[102:103], -v[98:99], v[100:101], 1.0
	v_fma_f64 v[100:101], v[100:101], v[102:103], v[100:101]
	v_fma_f64 v[102:103], -v[98:99], v[100:101], 1.0
	v_fma_f64 v[100:101], v[100:101], v[102:103], v[100:101]
	v_mul_f64 v[102:103], v[104:105], v[100:101]
	v_fma_f64 v[98:99], -v[98:99], v[102:103], v[104:105]
	v_div_fmas_f64 v[98:99], v[98:99], v[100:101], v[102:103]
	v_div_fixup_f64 v[119:120], v[98:99], v[96:97], 1.0
	v_mul_f64 v[117:118], v[94:95], v[119:120]
	v_xor_b32_e32 v120, 0x80000000, v120
.LBB96_679:
	s_andn2_saveexec_b64 s[18:19], s[18:19]
	s_cbranch_execz .LBB96_681
; %bb.680:
	v_div_scale_f64 v[94:95], s[20:21], v[117:118], v[117:118], v[119:120]
	v_rcp_f64_e32 v[96:97], v[94:95]
	v_fma_f64 v[98:99], -v[94:95], v[96:97], 1.0
	v_fma_f64 v[96:97], v[96:97], v[98:99], v[96:97]
	v_div_scale_f64 v[98:99], vcc, v[119:120], v[117:118], v[119:120]
	v_fma_f64 v[100:101], -v[94:95], v[96:97], 1.0
	v_fma_f64 v[96:97], v[96:97], v[100:101], v[96:97]
	v_mul_f64 v[100:101], v[98:99], v[96:97]
	v_fma_f64 v[94:95], -v[94:95], v[100:101], v[98:99]
	v_div_fmas_f64 v[94:95], v[94:95], v[96:97], v[100:101]
	v_div_fixup_f64 v[94:95], v[94:95], v[117:118], v[119:120]
	v_fma_f64 v[96:97], v[119:120], v[94:95], v[117:118]
	v_div_scale_f64 v[98:99], s[20:21], v[96:97], v[96:97], 1.0
	v_div_scale_f64 v[104:105], vcc, 1.0, v[96:97], 1.0
	v_rcp_f64_e32 v[100:101], v[98:99]
	v_fma_f64 v[102:103], -v[98:99], v[100:101], 1.0
	v_fma_f64 v[100:101], v[100:101], v[102:103], v[100:101]
	v_fma_f64 v[102:103], -v[98:99], v[100:101], 1.0
	v_fma_f64 v[100:101], v[100:101], v[102:103], v[100:101]
	v_mul_f64 v[102:103], v[104:105], v[100:101]
	v_fma_f64 v[98:99], -v[98:99], v[102:103], v[104:105]
	v_div_fmas_f64 v[98:99], v[98:99], v[100:101], v[102:103]
	v_div_fixup_f64 v[117:118], v[98:99], v[96:97], 1.0
	v_mul_f64 v[119:120], v[94:95], -v[117:118]
.LBB96_681:
	s_or_b64 exec, exec, s[18:19]
.LBB96_682:
	s_or_b64 exec, exec, s[0:1]
	v_cmp_ne_u32_e32 vcc, v92, v93
	s_and_saveexec_b64 s[0:1], vcc
	s_xor_b64 s[0:1], exec, s[0:1]
	s_cbranch_execz .LBB96_688
; %bb.683:
	v_cmp_eq_u32_e32 vcc, 32, v92
	s_and_saveexec_b64 s[18:19], vcc
	s_cbranch_execz .LBB96_687
; %bb.684:
	v_cmp_ne_u32_e32 vcc, 32, v93
	s_xor_b64 s[20:21], s[6:7], -1
	s_and_b64 s[22:23], s[20:21], vcc
	s_and_saveexec_b64 s[20:21], s[22:23]
	s_cbranch_execz .LBB96_686
; %bb.685:
	buffer_load_dword v85, off, s[24:27], 0 offset:352 ; 4-byte Folded Reload
	buffer_load_dword v86, off, s[24:27], 0 offset:356 ; 4-byte Folded Reload
	v_ashrrev_i32_e32 v94, 31, v93
	v_lshlrev_b64 v[94:95], 2, v[93:94]
	s_waitcnt vmcnt(1)
	v_add_co_u32_e32 v94, vcc, v85, v94
	s_waitcnt vmcnt(0)
	v_addc_co_u32_e32 v95, vcc, v86, v95, vcc
	global_load_dword v0, v[94:95], off
	global_load_dword v92, v[85:86], off offset:128
	s_waitcnt vmcnt(1)
	global_store_dword v[85:86], v0, off offset:128
	buffer_load_dword v85, off, s[24:27], 0 offset:392 ; 4-byte Folded Reload
	s_nop 0
	buffer_load_dword v86, off, s[24:27], 0 offset:396 ; 4-byte Folded Reload
	buffer_load_dword v87, off, s[24:27], 0 offset:400 ; 4-byte Folded Reload
	buffer_load_dword v88, off, s[24:27], 0 offset:404 ; 4-byte Folded Reload
	s_waitcnt vmcnt(5)
	global_store_dword v[94:95], v92, off
.LBB96_686:
	s_or_b64 exec, exec, s[20:21]
	v_mov_b32_e32 v92, v93
	v_mov_b32_e32 v0, v93
.LBB96_687:
	s_or_b64 exec, exec, s[18:19]
.LBB96_688:
	s_andn2_saveexec_b64 s[0:1], s[0:1]
	s_cbranch_execz .LBB96_690
; %bb.689:
	v_mov_b32_e32 v92, 32
	ds_write2_b64 v90, v[57:58], v[59:60] offset0:66 offset1:67
	ds_write2_b64 v90, v[53:54], v[55:56] offset0:68 offset1:69
	;; [unrolled: 1-line block ×16, first 2 shown]
.LBB96_690:
	s_or_b64 exec, exec, s[0:1]
	v_cmp_lt_i32_e32 vcc, 32, v92
	s_waitcnt vmcnt(0) lgkmcnt(0)
	s_barrier
	s_and_saveexec_b64 s[0:1], vcc
	s_cbranch_execz .LBB96_692
; %bb.691:
	v_mul_f64 v[93:94], v[117:118], v[63:64]
	v_mul_f64 v[63:64], v[119:120], v[63:64]
	ds_read2_b64 v[95:98], v90 offset0:66 offset1:67
	v_fma_f64 v[93:94], v[119:120], v[61:62], v[93:94]
	v_fma_f64 v[61:62], v[117:118], v[61:62], -v[63:64]
	s_waitcnt lgkmcnt(0)
	v_mul_f64 v[63:64], v[97:98], v[93:94]
	v_fma_f64 v[63:64], v[95:96], v[61:62], -v[63:64]
	v_mul_f64 v[95:96], v[95:96], v[93:94]
	v_add_f64 v[57:58], v[57:58], -v[63:64]
	v_fma_f64 v[95:96], v[97:98], v[61:62], v[95:96]
	v_add_f64 v[59:60], v[59:60], -v[95:96]
	ds_read2_b64 v[95:98], v90 offset0:68 offset1:69
	s_waitcnt lgkmcnt(0)
	v_mul_f64 v[63:64], v[97:98], v[93:94]
	v_fma_f64 v[63:64], v[95:96], v[61:62], -v[63:64]
	v_mul_f64 v[95:96], v[95:96], v[93:94]
	v_add_f64 v[53:54], v[53:54], -v[63:64]
	v_fma_f64 v[95:96], v[97:98], v[61:62], v[95:96]
	v_add_f64 v[55:56], v[55:56], -v[95:96]
	ds_read2_b64 v[95:98], v90 offset0:70 offset1:71
	s_waitcnt lgkmcnt(0)
	v_mul_f64 v[63:64], v[97:98], v[93:94]
	v_fma_f64 v[63:64], v[95:96], v[61:62], -v[63:64]
	v_mul_f64 v[95:96], v[95:96], v[93:94]
	v_add_f64 v[49:50], v[49:50], -v[63:64]
	v_fma_f64 v[95:96], v[97:98], v[61:62], v[95:96]
	v_add_f64 v[51:52], v[51:52], -v[95:96]
	ds_read2_b64 v[95:98], v90 offset0:72 offset1:73
	s_waitcnt lgkmcnt(0)
	v_mul_f64 v[63:64], v[97:98], v[93:94]
	v_fma_f64 v[63:64], v[95:96], v[61:62], -v[63:64]
	v_mul_f64 v[95:96], v[95:96], v[93:94]
	v_add_f64 v[45:46], v[45:46], -v[63:64]
	v_fma_f64 v[95:96], v[97:98], v[61:62], v[95:96]
	v_add_f64 v[47:48], v[47:48], -v[95:96]
	ds_read2_b64 v[95:98], v90 offset0:74 offset1:75
	s_waitcnt lgkmcnt(0)
	v_mul_f64 v[63:64], v[97:98], v[93:94]
	v_fma_f64 v[63:64], v[95:96], v[61:62], -v[63:64]
	v_mul_f64 v[95:96], v[95:96], v[93:94]
	v_add_f64 v[41:42], v[41:42], -v[63:64]
	v_fma_f64 v[95:96], v[97:98], v[61:62], v[95:96]
	v_add_f64 v[43:44], v[43:44], -v[95:96]
	ds_read2_b64 v[95:98], v90 offset0:76 offset1:77
	s_waitcnt lgkmcnt(0)
	v_mul_f64 v[63:64], v[97:98], v[93:94]
	v_fma_f64 v[63:64], v[95:96], v[61:62], -v[63:64]
	v_mul_f64 v[95:96], v[95:96], v[93:94]
	v_add_f64 v[37:38], v[37:38], -v[63:64]
	v_fma_f64 v[95:96], v[97:98], v[61:62], v[95:96]
	v_add_f64 v[39:40], v[39:40], -v[95:96]
	ds_read2_b64 v[95:98], v90 offset0:78 offset1:79
	s_waitcnt lgkmcnt(0)
	v_mul_f64 v[63:64], v[97:98], v[93:94]
	v_fma_f64 v[63:64], v[95:96], v[61:62], -v[63:64]
	v_mul_f64 v[95:96], v[95:96], v[93:94]
	v_add_f64 v[33:34], v[33:34], -v[63:64]
	v_fma_f64 v[95:96], v[97:98], v[61:62], v[95:96]
	v_add_f64 v[35:36], v[35:36], -v[95:96]
	ds_read2_b64 v[95:98], v90 offset0:80 offset1:81
	s_waitcnt lgkmcnt(0)
	v_mul_f64 v[63:64], v[97:98], v[93:94]
	v_fma_f64 v[63:64], v[95:96], v[61:62], -v[63:64]
	v_mul_f64 v[95:96], v[95:96], v[93:94]
	v_add_f64 v[29:30], v[29:30], -v[63:64]
	v_fma_f64 v[95:96], v[97:98], v[61:62], v[95:96]
	v_add_f64 v[31:32], v[31:32], -v[95:96]
	ds_read2_b64 v[95:98], v90 offset0:82 offset1:83
	s_waitcnt lgkmcnt(0)
	v_mul_f64 v[63:64], v[97:98], v[93:94]
	v_fma_f64 v[63:64], v[95:96], v[61:62], -v[63:64]
	v_mul_f64 v[95:96], v[95:96], v[93:94]
	v_add_f64 v[25:26], v[25:26], -v[63:64]
	v_fma_f64 v[95:96], v[97:98], v[61:62], v[95:96]
	v_add_f64 v[27:28], v[27:28], -v[95:96]
	ds_read2_b64 v[95:98], v90 offset0:84 offset1:85
	s_waitcnt lgkmcnt(0)
	v_mul_f64 v[63:64], v[97:98], v[93:94]
	v_fma_f64 v[63:64], v[95:96], v[61:62], -v[63:64]
	v_mul_f64 v[95:96], v[95:96], v[93:94]
	v_add_f64 v[21:22], v[21:22], -v[63:64]
	v_fma_f64 v[95:96], v[97:98], v[61:62], v[95:96]
	v_add_f64 v[23:24], v[23:24], -v[95:96]
	ds_read2_b64 v[95:98], v90 offset0:86 offset1:87
	s_waitcnt lgkmcnt(0)
	v_mul_f64 v[63:64], v[97:98], v[93:94]
	v_fma_f64 v[63:64], v[95:96], v[61:62], -v[63:64]
	v_mul_f64 v[95:96], v[95:96], v[93:94]
	v_add_f64 v[17:18], v[17:18], -v[63:64]
	v_fma_f64 v[95:96], v[97:98], v[61:62], v[95:96]
	v_add_f64 v[19:20], v[19:20], -v[95:96]
	ds_read2_b64 v[95:98], v90 offset0:88 offset1:89
	s_waitcnt lgkmcnt(0)
	v_mul_f64 v[63:64], v[97:98], v[93:94]
	v_fma_f64 v[63:64], v[95:96], v[61:62], -v[63:64]
	v_mul_f64 v[95:96], v[95:96], v[93:94]
	v_add_f64 v[13:14], v[13:14], -v[63:64]
	v_fma_f64 v[95:96], v[97:98], v[61:62], v[95:96]
	v_add_f64 v[15:16], v[15:16], -v[95:96]
	ds_read2_b64 v[95:98], v90 offset0:90 offset1:91
	s_waitcnt lgkmcnt(0)
	v_mul_f64 v[63:64], v[97:98], v[93:94]
	v_fma_f64 v[63:64], v[95:96], v[61:62], -v[63:64]
	v_mul_f64 v[95:96], v[95:96], v[93:94]
	v_add_f64 v[9:10], v[9:10], -v[63:64]
	v_fma_f64 v[95:96], v[97:98], v[61:62], v[95:96]
	v_add_f64 v[11:12], v[11:12], -v[95:96]
	ds_read2_b64 v[95:98], v90 offset0:92 offset1:93
	s_waitcnt lgkmcnt(0)
	v_mul_f64 v[63:64], v[97:98], v[93:94]
	v_fma_f64 v[63:64], v[95:96], v[61:62], -v[63:64]
	v_mul_f64 v[95:96], v[95:96], v[93:94]
	v_add_f64 v[5:6], v[5:6], -v[63:64]
	v_fma_f64 v[95:96], v[97:98], v[61:62], v[95:96]
	v_add_f64 v[7:8], v[7:8], -v[95:96]
	ds_read2_b64 v[95:98], v90 offset0:94 offset1:95
	s_waitcnt lgkmcnt(0)
	v_mul_f64 v[63:64], v[97:98], v[93:94]
	v_fma_f64 v[63:64], v[95:96], v[61:62], -v[63:64]
	v_mul_f64 v[95:96], v[95:96], v[93:94]
	v_add_f64 v[1:2], v[1:2], -v[63:64]
	v_fma_f64 v[95:96], v[97:98], v[61:62], v[95:96]
	v_add_f64 v[3:4], v[3:4], -v[95:96]
	ds_read2_b64 v[95:98], v90 offset0:96 offset1:97
	s_waitcnt lgkmcnt(0)
	v_mul_f64 v[63:64], v[97:98], v[93:94]
	v_fma_f64 v[63:64], v[95:96], v[61:62], -v[63:64]
	v_mul_f64 v[95:96], v[95:96], v[93:94]
	v_add_f64 v[121:122], v[121:122], -v[63:64]
	v_fma_f64 v[95:96], v[97:98], v[61:62], v[95:96]
	v_mov_b32_e32 v63, v93
	v_mov_b32_e32 v64, v94
	v_add_f64 v[123:124], v[123:124], -v[95:96]
.LBB96_692:
	s_or_b64 exec, exec, s[0:1]
	v_lshl_add_u32 v93, v92, 4, v90
	s_barrier
	ds_write2_b64 v93, v[57:58], v[59:60] offset1:1
	s_waitcnt lgkmcnt(0)
	s_barrier
	ds_read2_b64 v[117:120], v90 offset0:66 offset1:67
	s_cmp_lt_i32 s3, 35
	v_mov_b32_e32 v93, 33
	s_cbranch_scc1 .LBB96_695
; %bb.693:
	v_add_u32_e32 v94, 0x220, v90
	s_mov_b32 s0, 34
	v_mov_b32_e32 v93, 33
.LBB96_694:                             ; =>This Inner Loop Header: Depth=1
	s_waitcnt lgkmcnt(0)
	v_cmp_gt_f64_e32 vcc, 0, v[117:118]
	v_xor_b32_e32 v99, 0x80000000, v118
	ds_read2_b64 v[95:98], v94 offset1:1
	v_xor_b32_e32 v101, 0x80000000, v120
	v_add_u32_e32 v94, 16, v94
	s_waitcnt lgkmcnt(0)
	v_xor_b32_e32 v103, 0x80000000, v98
	v_cndmask_b32_e32 v100, v118, v99, vcc
	v_cmp_gt_f64_e32 vcc, 0, v[119:120]
	v_mov_b32_e32 v99, v117
	v_cndmask_b32_e32 v102, v120, v101, vcc
	v_cmp_gt_f64_e32 vcc, 0, v[95:96]
	v_mov_b32_e32 v101, v119
	v_add_f64 v[99:100], v[99:100], v[101:102]
	v_xor_b32_e32 v101, 0x80000000, v96
	v_cndmask_b32_e32 v102, v96, v101, vcc
	v_cmp_gt_f64_e32 vcc, 0, v[97:98]
	v_mov_b32_e32 v101, v95
	v_cndmask_b32_e32 v104, v98, v103, vcc
	v_mov_b32_e32 v103, v97
	v_add_f64 v[101:102], v[101:102], v[103:104]
	v_cmp_lt_f64_e32 vcc, v[99:100], v[101:102]
	v_cndmask_b32_e32 v117, v117, v95, vcc
	v_mov_b32_e32 v95, s0
	s_add_i32 s0, s0, 1
	v_cndmask_b32_e32 v118, v118, v96, vcc
	v_cndmask_b32_e32 v120, v120, v98, vcc
	;; [unrolled: 1-line block ×4, first 2 shown]
	s_cmp_lg_u32 s3, s0
	s_cbranch_scc1 .LBB96_694
.LBB96_695:
	s_waitcnt lgkmcnt(0)
	v_cmp_eq_f64_e32 vcc, 0, v[117:118]
	v_cmp_eq_f64_e64 s[0:1], 0, v[119:120]
	s_and_b64 s[0:1], vcc, s[0:1]
	s_and_saveexec_b64 s[18:19], s[0:1]
	s_xor_b64 s[0:1], exec, s[18:19]
; %bb.696:
	v_cmp_ne_u32_e32 vcc, 0, v91
	v_cndmask_b32_e32 v91, 34, v91, vcc
; %bb.697:
	s_andn2_saveexec_b64 s[0:1], s[0:1]
	s_cbranch_execz .LBB96_703
; %bb.698:
	v_cmp_ngt_f64_e64 s[18:19], |v[117:118]|, |v[119:120]|
	s_and_saveexec_b64 s[20:21], s[18:19]
	s_xor_b64 s[18:19], exec, s[20:21]
	s_cbranch_execz .LBB96_700
; %bb.699:
	v_div_scale_f64 v[94:95], s[20:21], v[119:120], v[119:120], v[117:118]
	v_rcp_f64_e32 v[96:97], v[94:95]
	v_fma_f64 v[98:99], -v[94:95], v[96:97], 1.0
	v_fma_f64 v[96:97], v[96:97], v[98:99], v[96:97]
	v_div_scale_f64 v[98:99], vcc, v[117:118], v[119:120], v[117:118]
	v_fma_f64 v[100:101], -v[94:95], v[96:97], 1.0
	v_fma_f64 v[96:97], v[96:97], v[100:101], v[96:97]
	v_mul_f64 v[100:101], v[98:99], v[96:97]
	v_fma_f64 v[94:95], -v[94:95], v[100:101], v[98:99]
	v_div_fmas_f64 v[94:95], v[94:95], v[96:97], v[100:101]
	v_div_fixup_f64 v[94:95], v[94:95], v[119:120], v[117:118]
	v_fma_f64 v[96:97], v[117:118], v[94:95], v[119:120]
	v_div_scale_f64 v[98:99], s[20:21], v[96:97], v[96:97], 1.0
	v_div_scale_f64 v[104:105], vcc, 1.0, v[96:97], 1.0
	v_rcp_f64_e32 v[100:101], v[98:99]
	v_fma_f64 v[102:103], -v[98:99], v[100:101], 1.0
	v_fma_f64 v[100:101], v[100:101], v[102:103], v[100:101]
	v_fma_f64 v[102:103], -v[98:99], v[100:101], 1.0
	v_fma_f64 v[100:101], v[100:101], v[102:103], v[100:101]
	v_mul_f64 v[102:103], v[104:105], v[100:101]
	v_fma_f64 v[98:99], -v[98:99], v[102:103], v[104:105]
	v_div_fmas_f64 v[98:99], v[98:99], v[100:101], v[102:103]
	v_div_fixup_f64 v[119:120], v[98:99], v[96:97], 1.0
	v_mul_f64 v[117:118], v[94:95], v[119:120]
	v_xor_b32_e32 v120, 0x80000000, v120
.LBB96_700:
	s_andn2_saveexec_b64 s[18:19], s[18:19]
	s_cbranch_execz .LBB96_702
; %bb.701:
	v_div_scale_f64 v[94:95], s[20:21], v[117:118], v[117:118], v[119:120]
	v_rcp_f64_e32 v[96:97], v[94:95]
	v_fma_f64 v[98:99], -v[94:95], v[96:97], 1.0
	v_fma_f64 v[96:97], v[96:97], v[98:99], v[96:97]
	v_div_scale_f64 v[98:99], vcc, v[119:120], v[117:118], v[119:120]
	v_fma_f64 v[100:101], -v[94:95], v[96:97], 1.0
	v_fma_f64 v[96:97], v[96:97], v[100:101], v[96:97]
	v_mul_f64 v[100:101], v[98:99], v[96:97]
	v_fma_f64 v[94:95], -v[94:95], v[100:101], v[98:99]
	v_div_fmas_f64 v[94:95], v[94:95], v[96:97], v[100:101]
	v_div_fixup_f64 v[94:95], v[94:95], v[117:118], v[119:120]
	v_fma_f64 v[96:97], v[119:120], v[94:95], v[117:118]
	v_div_scale_f64 v[98:99], s[20:21], v[96:97], v[96:97], 1.0
	v_div_scale_f64 v[104:105], vcc, 1.0, v[96:97], 1.0
	v_rcp_f64_e32 v[100:101], v[98:99]
	v_fma_f64 v[102:103], -v[98:99], v[100:101], 1.0
	v_fma_f64 v[100:101], v[100:101], v[102:103], v[100:101]
	v_fma_f64 v[102:103], -v[98:99], v[100:101], 1.0
	v_fma_f64 v[100:101], v[100:101], v[102:103], v[100:101]
	v_mul_f64 v[102:103], v[104:105], v[100:101]
	v_fma_f64 v[98:99], -v[98:99], v[102:103], v[104:105]
	v_div_fmas_f64 v[98:99], v[98:99], v[100:101], v[102:103]
	v_div_fixup_f64 v[117:118], v[98:99], v[96:97], 1.0
	v_mul_f64 v[119:120], v[94:95], -v[117:118]
.LBB96_702:
	s_or_b64 exec, exec, s[18:19]
.LBB96_703:
	s_or_b64 exec, exec, s[0:1]
	v_cmp_ne_u32_e32 vcc, v92, v93
	s_and_saveexec_b64 s[0:1], vcc
	s_xor_b64 s[0:1], exec, s[0:1]
	s_cbranch_execz .LBB96_709
; %bb.704:
	v_cmp_eq_u32_e32 vcc, 33, v92
	s_and_saveexec_b64 s[18:19], vcc
	s_cbranch_execz .LBB96_708
; %bb.705:
	v_cmp_ne_u32_e32 vcc, 33, v93
	s_xor_b64 s[20:21], s[6:7], -1
	s_and_b64 s[22:23], s[20:21], vcc
	s_and_saveexec_b64 s[20:21], s[22:23]
	s_cbranch_execz .LBB96_707
; %bb.706:
	buffer_load_dword v85, off, s[24:27], 0 offset:352 ; 4-byte Folded Reload
	buffer_load_dword v86, off, s[24:27], 0 offset:356 ; 4-byte Folded Reload
	v_ashrrev_i32_e32 v94, 31, v93
	v_lshlrev_b64 v[94:95], 2, v[93:94]
	s_waitcnt vmcnt(1)
	v_add_co_u32_e32 v94, vcc, v85, v94
	s_waitcnt vmcnt(0)
	v_addc_co_u32_e32 v95, vcc, v86, v95, vcc
	global_load_dword v0, v[94:95], off
	global_load_dword v92, v[85:86], off offset:132
	s_waitcnt vmcnt(1)
	global_store_dword v[85:86], v0, off offset:132
	buffer_load_dword v85, off, s[24:27], 0 offset:392 ; 4-byte Folded Reload
	s_nop 0
	buffer_load_dword v86, off, s[24:27], 0 offset:396 ; 4-byte Folded Reload
	buffer_load_dword v87, off, s[24:27], 0 offset:400 ; 4-byte Folded Reload
	;; [unrolled: 1-line block ×3, first 2 shown]
	s_waitcnt vmcnt(5)
	global_store_dword v[94:95], v92, off
.LBB96_707:
	s_or_b64 exec, exec, s[20:21]
	v_mov_b32_e32 v92, v93
	v_mov_b32_e32 v0, v93
.LBB96_708:
	s_or_b64 exec, exec, s[18:19]
.LBB96_709:
	s_andn2_saveexec_b64 s[0:1], s[0:1]
	s_cbranch_execz .LBB96_711
; %bb.710:
	v_mov_b32_e32 v92, 33
	ds_write2_b64 v90, v[53:54], v[55:56] offset0:68 offset1:69
	ds_write2_b64 v90, v[49:50], v[51:52] offset0:70 offset1:71
	;; [unrolled: 1-line block ×15, first 2 shown]
.LBB96_711:
	s_or_b64 exec, exec, s[0:1]
	v_cmp_lt_i32_e32 vcc, 33, v92
	s_waitcnt vmcnt(0) lgkmcnt(0)
	s_barrier
	s_and_saveexec_b64 s[0:1], vcc
	s_cbranch_execz .LBB96_713
; %bb.712:
	v_mul_f64 v[93:94], v[117:118], v[59:60]
	v_mul_f64 v[59:60], v[119:120], v[59:60]
	ds_read2_b64 v[95:98], v90 offset0:68 offset1:69
	v_fma_f64 v[93:94], v[119:120], v[57:58], v[93:94]
	v_fma_f64 v[57:58], v[117:118], v[57:58], -v[59:60]
	s_waitcnt lgkmcnt(0)
	v_mul_f64 v[59:60], v[97:98], v[93:94]
	v_fma_f64 v[59:60], v[95:96], v[57:58], -v[59:60]
	v_mul_f64 v[95:96], v[95:96], v[93:94]
	v_add_f64 v[53:54], v[53:54], -v[59:60]
	v_fma_f64 v[95:96], v[97:98], v[57:58], v[95:96]
	v_add_f64 v[55:56], v[55:56], -v[95:96]
	ds_read2_b64 v[95:98], v90 offset0:70 offset1:71
	s_waitcnt lgkmcnt(0)
	v_mul_f64 v[59:60], v[97:98], v[93:94]
	v_fma_f64 v[59:60], v[95:96], v[57:58], -v[59:60]
	v_mul_f64 v[95:96], v[95:96], v[93:94]
	v_add_f64 v[49:50], v[49:50], -v[59:60]
	v_fma_f64 v[95:96], v[97:98], v[57:58], v[95:96]
	v_add_f64 v[51:52], v[51:52], -v[95:96]
	ds_read2_b64 v[95:98], v90 offset0:72 offset1:73
	;; [unrolled: 8-line block ×14, first 2 shown]
	s_waitcnt lgkmcnt(0)
	v_mul_f64 v[59:60], v[97:98], v[93:94]
	v_fma_f64 v[59:60], v[95:96], v[57:58], -v[59:60]
	v_mul_f64 v[95:96], v[95:96], v[93:94]
	v_add_f64 v[121:122], v[121:122], -v[59:60]
	v_fma_f64 v[95:96], v[97:98], v[57:58], v[95:96]
	v_mov_b32_e32 v59, v93
	v_mov_b32_e32 v60, v94
	v_add_f64 v[123:124], v[123:124], -v[95:96]
.LBB96_713:
	s_or_b64 exec, exec, s[0:1]
	v_lshl_add_u32 v93, v92, 4, v90
	s_barrier
	ds_write2_b64 v93, v[53:54], v[55:56] offset1:1
	s_waitcnt lgkmcnt(0)
	s_barrier
	ds_read2_b64 v[117:120], v90 offset0:68 offset1:69
	s_cmp_lt_i32 s3, 36
	v_mov_b32_e32 v93, 34
	s_cbranch_scc1 .LBB96_716
; %bb.714:
	v_add_u32_e32 v94, 0x230, v90
	s_mov_b32 s0, 35
	v_mov_b32_e32 v93, 34
.LBB96_715:                             ; =>This Inner Loop Header: Depth=1
	s_waitcnt lgkmcnt(0)
	v_cmp_gt_f64_e32 vcc, 0, v[117:118]
	v_xor_b32_e32 v99, 0x80000000, v118
	ds_read2_b64 v[95:98], v94 offset1:1
	v_xor_b32_e32 v101, 0x80000000, v120
	v_add_u32_e32 v94, 16, v94
	s_waitcnt lgkmcnt(0)
	v_xor_b32_e32 v103, 0x80000000, v98
	v_cndmask_b32_e32 v100, v118, v99, vcc
	v_cmp_gt_f64_e32 vcc, 0, v[119:120]
	v_mov_b32_e32 v99, v117
	v_cndmask_b32_e32 v102, v120, v101, vcc
	v_cmp_gt_f64_e32 vcc, 0, v[95:96]
	v_mov_b32_e32 v101, v119
	v_add_f64 v[99:100], v[99:100], v[101:102]
	v_xor_b32_e32 v101, 0x80000000, v96
	v_cndmask_b32_e32 v102, v96, v101, vcc
	v_cmp_gt_f64_e32 vcc, 0, v[97:98]
	v_mov_b32_e32 v101, v95
	v_cndmask_b32_e32 v104, v98, v103, vcc
	v_mov_b32_e32 v103, v97
	v_add_f64 v[101:102], v[101:102], v[103:104]
	v_cmp_lt_f64_e32 vcc, v[99:100], v[101:102]
	v_cndmask_b32_e32 v117, v117, v95, vcc
	v_mov_b32_e32 v95, s0
	s_add_i32 s0, s0, 1
	v_cndmask_b32_e32 v118, v118, v96, vcc
	v_cndmask_b32_e32 v120, v120, v98, vcc
	;; [unrolled: 1-line block ×4, first 2 shown]
	s_cmp_lg_u32 s3, s0
	s_cbranch_scc1 .LBB96_715
.LBB96_716:
	s_waitcnt lgkmcnt(0)
	v_cmp_eq_f64_e32 vcc, 0, v[117:118]
	v_cmp_eq_f64_e64 s[0:1], 0, v[119:120]
	s_and_b64 s[0:1], vcc, s[0:1]
	s_and_saveexec_b64 s[18:19], s[0:1]
	s_xor_b64 s[0:1], exec, s[18:19]
; %bb.717:
	v_cmp_ne_u32_e32 vcc, 0, v91
	v_cndmask_b32_e32 v91, 35, v91, vcc
; %bb.718:
	s_andn2_saveexec_b64 s[0:1], s[0:1]
	s_cbranch_execz .LBB96_724
; %bb.719:
	v_cmp_ngt_f64_e64 s[18:19], |v[117:118]|, |v[119:120]|
	s_and_saveexec_b64 s[20:21], s[18:19]
	s_xor_b64 s[18:19], exec, s[20:21]
	s_cbranch_execz .LBB96_721
; %bb.720:
	v_div_scale_f64 v[94:95], s[20:21], v[119:120], v[119:120], v[117:118]
	v_rcp_f64_e32 v[96:97], v[94:95]
	v_fma_f64 v[98:99], -v[94:95], v[96:97], 1.0
	v_fma_f64 v[96:97], v[96:97], v[98:99], v[96:97]
	v_div_scale_f64 v[98:99], vcc, v[117:118], v[119:120], v[117:118]
	v_fma_f64 v[100:101], -v[94:95], v[96:97], 1.0
	v_fma_f64 v[96:97], v[96:97], v[100:101], v[96:97]
	v_mul_f64 v[100:101], v[98:99], v[96:97]
	v_fma_f64 v[94:95], -v[94:95], v[100:101], v[98:99]
	v_div_fmas_f64 v[94:95], v[94:95], v[96:97], v[100:101]
	v_div_fixup_f64 v[94:95], v[94:95], v[119:120], v[117:118]
	v_fma_f64 v[96:97], v[117:118], v[94:95], v[119:120]
	v_div_scale_f64 v[98:99], s[20:21], v[96:97], v[96:97], 1.0
	v_div_scale_f64 v[104:105], vcc, 1.0, v[96:97], 1.0
	v_rcp_f64_e32 v[100:101], v[98:99]
	v_fma_f64 v[102:103], -v[98:99], v[100:101], 1.0
	v_fma_f64 v[100:101], v[100:101], v[102:103], v[100:101]
	v_fma_f64 v[102:103], -v[98:99], v[100:101], 1.0
	v_fma_f64 v[100:101], v[100:101], v[102:103], v[100:101]
	v_mul_f64 v[102:103], v[104:105], v[100:101]
	v_fma_f64 v[98:99], -v[98:99], v[102:103], v[104:105]
	v_div_fmas_f64 v[98:99], v[98:99], v[100:101], v[102:103]
	v_div_fixup_f64 v[119:120], v[98:99], v[96:97], 1.0
	v_mul_f64 v[117:118], v[94:95], v[119:120]
	v_xor_b32_e32 v120, 0x80000000, v120
.LBB96_721:
	s_andn2_saveexec_b64 s[18:19], s[18:19]
	s_cbranch_execz .LBB96_723
; %bb.722:
	v_div_scale_f64 v[94:95], s[20:21], v[117:118], v[117:118], v[119:120]
	v_rcp_f64_e32 v[96:97], v[94:95]
	v_fma_f64 v[98:99], -v[94:95], v[96:97], 1.0
	v_fma_f64 v[96:97], v[96:97], v[98:99], v[96:97]
	v_div_scale_f64 v[98:99], vcc, v[119:120], v[117:118], v[119:120]
	v_fma_f64 v[100:101], -v[94:95], v[96:97], 1.0
	v_fma_f64 v[96:97], v[96:97], v[100:101], v[96:97]
	v_mul_f64 v[100:101], v[98:99], v[96:97]
	v_fma_f64 v[94:95], -v[94:95], v[100:101], v[98:99]
	v_div_fmas_f64 v[94:95], v[94:95], v[96:97], v[100:101]
	v_div_fixup_f64 v[94:95], v[94:95], v[117:118], v[119:120]
	v_fma_f64 v[96:97], v[119:120], v[94:95], v[117:118]
	v_div_scale_f64 v[98:99], s[20:21], v[96:97], v[96:97], 1.0
	v_div_scale_f64 v[104:105], vcc, 1.0, v[96:97], 1.0
	v_rcp_f64_e32 v[100:101], v[98:99]
	v_fma_f64 v[102:103], -v[98:99], v[100:101], 1.0
	v_fma_f64 v[100:101], v[100:101], v[102:103], v[100:101]
	v_fma_f64 v[102:103], -v[98:99], v[100:101], 1.0
	v_fma_f64 v[100:101], v[100:101], v[102:103], v[100:101]
	v_mul_f64 v[102:103], v[104:105], v[100:101]
	v_fma_f64 v[98:99], -v[98:99], v[102:103], v[104:105]
	v_div_fmas_f64 v[98:99], v[98:99], v[100:101], v[102:103]
	v_div_fixup_f64 v[117:118], v[98:99], v[96:97], 1.0
	v_mul_f64 v[119:120], v[94:95], -v[117:118]
.LBB96_723:
	s_or_b64 exec, exec, s[18:19]
.LBB96_724:
	s_or_b64 exec, exec, s[0:1]
	v_cmp_ne_u32_e32 vcc, v92, v93
	s_and_saveexec_b64 s[0:1], vcc
	s_xor_b64 s[0:1], exec, s[0:1]
	s_cbranch_execz .LBB96_730
; %bb.725:
	v_cmp_eq_u32_e32 vcc, 34, v92
	s_and_saveexec_b64 s[18:19], vcc
	s_cbranch_execz .LBB96_729
; %bb.726:
	v_cmp_ne_u32_e32 vcc, 34, v93
	s_xor_b64 s[20:21], s[6:7], -1
	s_and_b64 s[22:23], s[20:21], vcc
	s_and_saveexec_b64 s[20:21], s[22:23]
	s_cbranch_execz .LBB96_728
; %bb.727:
	buffer_load_dword v85, off, s[24:27], 0 offset:352 ; 4-byte Folded Reload
	buffer_load_dword v86, off, s[24:27], 0 offset:356 ; 4-byte Folded Reload
	v_ashrrev_i32_e32 v94, 31, v93
	v_lshlrev_b64 v[94:95], 2, v[93:94]
	s_waitcnt vmcnt(1)
	v_add_co_u32_e32 v94, vcc, v85, v94
	s_waitcnt vmcnt(0)
	v_addc_co_u32_e32 v95, vcc, v86, v95, vcc
	global_load_dword v0, v[94:95], off
	global_load_dword v92, v[85:86], off offset:136
	s_waitcnt vmcnt(1)
	global_store_dword v[85:86], v0, off offset:136
	buffer_load_dword v85, off, s[24:27], 0 offset:392 ; 4-byte Folded Reload
	s_nop 0
	buffer_load_dword v86, off, s[24:27], 0 offset:396 ; 4-byte Folded Reload
	buffer_load_dword v87, off, s[24:27], 0 offset:400 ; 4-byte Folded Reload
	;; [unrolled: 1-line block ×3, first 2 shown]
	s_waitcnt vmcnt(5)
	global_store_dword v[94:95], v92, off
.LBB96_728:
	s_or_b64 exec, exec, s[20:21]
	v_mov_b32_e32 v92, v93
	v_mov_b32_e32 v0, v93
.LBB96_729:
	s_or_b64 exec, exec, s[18:19]
.LBB96_730:
	s_andn2_saveexec_b64 s[0:1], s[0:1]
	s_cbranch_execz .LBB96_732
; %bb.731:
	v_mov_b32_e32 v92, 34
	ds_write2_b64 v90, v[49:50], v[51:52] offset0:70 offset1:71
	ds_write2_b64 v90, v[45:46], v[47:48] offset0:72 offset1:73
	;; [unrolled: 1-line block ×14, first 2 shown]
.LBB96_732:
	s_or_b64 exec, exec, s[0:1]
	v_cmp_lt_i32_e32 vcc, 34, v92
	s_waitcnt vmcnt(0) lgkmcnt(0)
	s_barrier
	s_and_saveexec_b64 s[0:1], vcc
	s_cbranch_execz .LBB96_734
; %bb.733:
	v_mul_f64 v[93:94], v[117:118], v[55:56]
	v_mul_f64 v[55:56], v[119:120], v[55:56]
	ds_read2_b64 v[95:98], v90 offset0:70 offset1:71
	v_fma_f64 v[93:94], v[119:120], v[53:54], v[93:94]
	v_fma_f64 v[53:54], v[117:118], v[53:54], -v[55:56]
	s_waitcnt lgkmcnt(0)
	v_mul_f64 v[55:56], v[97:98], v[93:94]
	v_fma_f64 v[55:56], v[95:96], v[53:54], -v[55:56]
	v_mul_f64 v[95:96], v[95:96], v[93:94]
	v_add_f64 v[49:50], v[49:50], -v[55:56]
	v_fma_f64 v[95:96], v[97:98], v[53:54], v[95:96]
	v_add_f64 v[51:52], v[51:52], -v[95:96]
	ds_read2_b64 v[95:98], v90 offset0:72 offset1:73
	s_waitcnt lgkmcnt(0)
	v_mul_f64 v[55:56], v[97:98], v[93:94]
	v_fma_f64 v[55:56], v[95:96], v[53:54], -v[55:56]
	v_mul_f64 v[95:96], v[95:96], v[93:94]
	v_add_f64 v[45:46], v[45:46], -v[55:56]
	v_fma_f64 v[95:96], v[97:98], v[53:54], v[95:96]
	v_add_f64 v[47:48], v[47:48], -v[95:96]
	ds_read2_b64 v[95:98], v90 offset0:74 offset1:75
	;; [unrolled: 8-line block ×13, first 2 shown]
	s_waitcnt lgkmcnt(0)
	v_mul_f64 v[55:56], v[97:98], v[93:94]
	v_fma_f64 v[55:56], v[95:96], v[53:54], -v[55:56]
	v_mul_f64 v[95:96], v[95:96], v[93:94]
	v_add_f64 v[121:122], v[121:122], -v[55:56]
	v_fma_f64 v[95:96], v[97:98], v[53:54], v[95:96]
	v_mov_b32_e32 v55, v93
	v_mov_b32_e32 v56, v94
	v_add_f64 v[123:124], v[123:124], -v[95:96]
.LBB96_734:
	s_or_b64 exec, exec, s[0:1]
	v_lshl_add_u32 v93, v92, 4, v90
	s_barrier
	ds_write2_b64 v93, v[49:50], v[51:52] offset1:1
	s_waitcnt lgkmcnt(0)
	s_barrier
	ds_read2_b64 v[117:120], v90 offset0:70 offset1:71
	s_cmp_lt_i32 s3, 37
	v_mov_b32_e32 v93, 35
	s_cbranch_scc1 .LBB96_737
; %bb.735:
	v_add_u32_e32 v94, 0x240, v90
	s_mov_b32 s0, 36
	v_mov_b32_e32 v93, 35
.LBB96_736:                             ; =>This Inner Loop Header: Depth=1
	s_waitcnt lgkmcnt(0)
	v_cmp_gt_f64_e32 vcc, 0, v[117:118]
	v_xor_b32_e32 v99, 0x80000000, v118
	ds_read2_b64 v[95:98], v94 offset1:1
	v_xor_b32_e32 v101, 0x80000000, v120
	v_add_u32_e32 v94, 16, v94
	s_waitcnt lgkmcnt(0)
	v_xor_b32_e32 v103, 0x80000000, v98
	v_cndmask_b32_e32 v100, v118, v99, vcc
	v_cmp_gt_f64_e32 vcc, 0, v[119:120]
	v_mov_b32_e32 v99, v117
	v_cndmask_b32_e32 v102, v120, v101, vcc
	v_cmp_gt_f64_e32 vcc, 0, v[95:96]
	v_mov_b32_e32 v101, v119
	v_add_f64 v[99:100], v[99:100], v[101:102]
	v_xor_b32_e32 v101, 0x80000000, v96
	v_cndmask_b32_e32 v102, v96, v101, vcc
	v_cmp_gt_f64_e32 vcc, 0, v[97:98]
	v_mov_b32_e32 v101, v95
	v_cndmask_b32_e32 v104, v98, v103, vcc
	v_mov_b32_e32 v103, v97
	v_add_f64 v[101:102], v[101:102], v[103:104]
	v_cmp_lt_f64_e32 vcc, v[99:100], v[101:102]
	v_cndmask_b32_e32 v117, v117, v95, vcc
	v_mov_b32_e32 v95, s0
	s_add_i32 s0, s0, 1
	v_cndmask_b32_e32 v118, v118, v96, vcc
	v_cndmask_b32_e32 v120, v120, v98, vcc
	;; [unrolled: 1-line block ×4, first 2 shown]
	s_cmp_lg_u32 s3, s0
	s_cbranch_scc1 .LBB96_736
.LBB96_737:
	s_waitcnt lgkmcnt(0)
	v_cmp_eq_f64_e32 vcc, 0, v[117:118]
	v_cmp_eq_f64_e64 s[0:1], 0, v[119:120]
	s_and_b64 s[0:1], vcc, s[0:1]
	s_and_saveexec_b64 s[18:19], s[0:1]
	s_xor_b64 s[0:1], exec, s[18:19]
; %bb.738:
	v_cmp_ne_u32_e32 vcc, 0, v91
	v_cndmask_b32_e32 v91, 36, v91, vcc
; %bb.739:
	s_andn2_saveexec_b64 s[0:1], s[0:1]
	s_cbranch_execz .LBB96_745
; %bb.740:
	v_cmp_ngt_f64_e64 s[18:19], |v[117:118]|, |v[119:120]|
	s_and_saveexec_b64 s[20:21], s[18:19]
	s_xor_b64 s[18:19], exec, s[20:21]
	s_cbranch_execz .LBB96_742
; %bb.741:
	v_div_scale_f64 v[94:95], s[20:21], v[119:120], v[119:120], v[117:118]
	v_rcp_f64_e32 v[96:97], v[94:95]
	v_fma_f64 v[98:99], -v[94:95], v[96:97], 1.0
	v_fma_f64 v[96:97], v[96:97], v[98:99], v[96:97]
	v_div_scale_f64 v[98:99], vcc, v[117:118], v[119:120], v[117:118]
	v_fma_f64 v[100:101], -v[94:95], v[96:97], 1.0
	v_fma_f64 v[96:97], v[96:97], v[100:101], v[96:97]
	v_mul_f64 v[100:101], v[98:99], v[96:97]
	v_fma_f64 v[94:95], -v[94:95], v[100:101], v[98:99]
	v_div_fmas_f64 v[94:95], v[94:95], v[96:97], v[100:101]
	v_div_fixup_f64 v[94:95], v[94:95], v[119:120], v[117:118]
	v_fma_f64 v[96:97], v[117:118], v[94:95], v[119:120]
	v_div_scale_f64 v[98:99], s[20:21], v[96:97], v[96:97], 1.0
	v_div_scale_f64 v[104:105], vcc, 1.0, v[96:97], 1.0
	v_rcp_f64_e32 v[100:101], v[98:99]
	v_fma_f64 v[102:103], -v[98:99], v[100:101], 1.0
	v_fma_f64 v[100:101], v[100:101], v[102:103], v[100:101]
	v_fma_f64 v[102:103], -v[98:99], v[100:101], 1.0
	v_fma_f64 v[100:101], v[100:101], v[102:103], v[100:101]
	v_mul_f64 v[102:103], v[104:105], v[100:101]
	v_fma_f64 v[98:99], -v[98:99], v[102:103], v[104:105]
	v_div_fmas_f64 v[98:99], v[98:99], v[100:101], v[102:103]
	v_div_fixup_f64 v[119:120], v[98:99], v[96:97], 1.0
	v_mul_f64 v[117:118], v[94:95], v[119:120]
	v_xor_b32_e32 v120, 0x80000000, v120
.LBB96_742:
	s_andn2_saveexec_b64 s[18:19], s[18:19]
	s_cbranch_execz .LBB96_744
; %bb.743:
	v_div_scale_f64 v[94:95], s[20:21], v[117:118], v[117:118], v[119:120]
	v_rcp_f64_e32 v[96:97], v[94:95]
	v_fma_f64 v[98:99], -v[94:95], v[96:97], 1.0
	v_fma_f64 v[96:97], v[96:97], v[98:99], v[96:97]
	v_div_scale_f64 v[98:99], vcc, v[119:120], v[117:118], v[119:120]
	v_fma_f64 v[100:101], -v[94:95], v[96:97], 1.0
	v_fma_f64 v[96:97], v[96:97], v[100:101], v[96:97]
	v_mul_f64 v[100:101], v[98:99], v[96:97]
	v_fma_f64 v[94:95], -v[94:95], v[100:101], v[98:99]
	v_div_fmas_f64 v[94:95], v[94:95], v[96:97], v[100:101]
	v_div_fixup_f64 v[94:95], v[94:95], v[117:118], v[119:120]
	v_fma_f64 v[96:97], v[119:120], v[94:95], v[117:118]
	v_div_scale_f64 v[98:99], s[20:21], v[96:97], v[96:97], 1.0
	v_div_scale_f64 v[104:105], vcc, 1.0, v[96:97], 1.0
	v_rcp_f64_e32 v[100:101], v[98:99]
	v_fma_f64 v[102:103], -v[98:99], v[100:101], 1.0
	v_fma_f64 v[100:101], v[100:101], v[102:103], v[100:101]
	v_fma_f64 v[102:103], -v[98:99], v[100:101], 1.0
	v_fma_f64 v[100:101], v[100:101], v[102:103], v[100:101]
	v_mul_f64 v[102:103], v[104:105], v[100:101]
	v_fma_f64 v[98:99], -v[98:99], v[102:103], v[104:105]
	v_div_fmas_f64 v[98:99], v[98:99], v[100:101], v[102:103]
	v_div_fixup_f64 v[117:118], v[98:99], v[96:97], 1.0
	v_mul_f64 v[119:120], v[94:95], -v[117:118]
.LBB96_744:
	s_or_b64 exec, exec, s[18:19]
.LBB96_745:
	s_or_b64 exec, exec, s[0:1]
	v_cmp_ne_u32_e32 vcc, v92, v93
	s_and_saveexec_b64 s[0:1], vcc
	s_xor_b64 s[0:1], exec, s[0:1]
	s_cbranch_execz .LBB96_751
; %bb.746:
	v_cmp_eq_u32_e32 vcc, 35, v92
	s_and_saveexec_b64 s[18:19], vcc
	s_cbranch_execz .LBB96_750
; %bb.747:
	v_cmp_ne_u32_e32 vcc, 35, v93
	s_xor_b64 s[20:21], s[6:7], -1
	s_and_b64 s[22:23], s[20:21], vcc
	s_and_saveexec_b64 s[20:21], s[22:23]
	s_cbranch_execz .LBB96_749
; %bb.748:
	buffer_load_dword v85, off, s[24:27], 0 offset:352 ; 4-byte Folded Reload
	buffer_load_dword v86, off, s[24:27], 0 offset:356 ; 4-byte Folded Reload
	v_ashrrev_i32_e32 v94, 31, v93
	v_lshlrev_b64 v[94:95], 2, v[93:94]
	s_waitcnt vmcnt(1)
	v_add_co_u32_e32 v94, vcc, v85, v94
	s_waitcnt vmcnt(0)
	v_addc_co_u32_e32 v95, vcc, v86, v95, vcc
	global_load_dword v0, v[94:95], off
	global_load_dword v92, v[85:86], off offset:140
	s_waitcnt vmcnt(1)
	global_store_dword v[85:86], v0, off offset:140
	buffer_load_dword v85, off, s[24:27], 0 offset:392 ; 4-byte Folded Reload
	s_nop 0
	buffer_load_dword v86, off, s[24:27], 0 offset:396 ; 4-byte Folded Reload
	buffer_load_dword v87, off, s[24:27], 0 offset:400 ; 4-byte Folded Reload
	;; [unrolled: 1-line block ×3, first 2 shown]
	s_waitcnt vmcnt(5)
	global_store_dword v[94:95], v92, off
.LBB96_749:
	s_or_b64 exec, exec, s[20:21]
	v_mov_b32_e32 v92, v93
	v_mov_b32_e32 v0, v93
.LBB96_750:
	s_or_b64 exec, exec, s[18:19]
.LBB96_751:
	s_andn2_saveexec_b64 s[0:1], s[0:1]
	s_cbranch_execz .LBB96_753
; %bb.752:
	v_mov_b32_e32 v92, 35
	ds_write2_b64 v90, v[45:46], v[47:48] offset0:72 offset1:73
	ds_write2_b64 v90, v[41:42], v[43:44] offset0:74 offset1:75
	;; [unrolled: 1-line block ×13, first 2 shown]
.LBB96_753:
	s_or_b64 exec, exec, s[0:1]
	v_cmp_lt_i32_e32 vcc, 35, v92
	s_waitcnt vmcnt(0) lgkmcnt(0)
	s_barrier
	s_and_saveexec_b64 s[0:1], vcc
	s_cbranch_execz .LBB96_755
; %bb.754:
	v_mul_f64 v[93:94], v[117:118], v[51:52]
	v_mul_f64 v[51:52], v[119:120], v[51:52]
	ds_read2_b64 v[95:98], v90 offset0:72 offset1:73
	v_fma_f64 v[93:94], v[119:120], v[49:50], v[93:94]
	v_fma_f64 v[49:50], v[117:118], v[49:50], -v[51:52]
	s_waitcnt lgkmcnt(0)
	v_mul_f64 v[51:52], v[97:98], v[93:94]
	v_fma_f64 v[51:52], v[95:96], v[49:50], -v[51:52]
	v_mul_f64 v[95:96], v[95:96], v[93:94]
	v_add_f64 v[45:46], v[45:46], -v[51:52]
	v_fma_f64 v[95:96], v[97:98], v[49:50], v[95:96]
	v_add_f64 v[47:48], v[47:48], -v[95:96]
	ds_read2_b64 v[95:98], v90 offset0:74 offset1:75
	s_waitcnt lgkmcnt(0)
	v_mul_f64 v[51:52], v[97:98], v[93:94]
	v_fma_f64 v[51:52], v[95:96], v[49:50], -v[51:52]
	v_mul_f64 v[95:96], v[95:96], v[93:94]
	v_add_f64 v[41:42], v[41:42], -v[51:52]
	v_fma_f64 v[95:96], v[97:98], v[49:50], v[95:96]
	v_add_f64 v[43:44], v[43:44], -v[95:96]
	ds_read2_b64 v[95:98], v90 offset0:76 offset1:77
	;; [unrolled: 8-line block ×12, first 2 shown]
	s_waitcnt lgkmcnt(0)
	v_mul_f64 v[51:52], v[97:98], v[93:94]
	v_fma_f64 v[51:52], v[95:96], v[49:50], -v[51:52]
	v_mul_f64 v[95:96], v[95:96], v[93:94]
	v_add_f64 v[121:122], v[121:122], -v[51:52]
	v_fma_f64 v[95:96], v[97:98], v[49:50], v[95:96]
	v_mov_b32_e32 v51, v93
	v_mov_b32_e32 v52, v94
	v_add_f64 v[123:124], v[123:124], -v[95:96]
.LBB96_755:
	s_or_b64 exec, exec, s[0:1]
	v_lshl_add_u32 v93, v92, 4, v90
	s_barrier
	ds_write2_b64 v93, v[45:46], v[47:48] offset1:1
	s_waitcnt lgkmcnt(0)
	s_barrier
	ds_read2_b64 v[117:120], v90 offset0:72 offset1:73
	s_cmp_lt_i32 s3, 38
	v_mov_b32_e32 v93, 36
	s_cbranch_scc1 .LBB96_758
; %bb.756:
	v_add_u32_e32 v94, 0x250, v90
	s_mov_b32 s0, 37
	v_mov_b32_e32 v93, 36
.LBB96_757:                             ; =>This Inner Loop Header: Depth=1
	s_waitcnt lgkmcnt(0)
	v_cmp_gt_f64_e32 vcc, 0, v[117:118]
	v_xor_b32_e32 v99, 0x80000000, v118
	ds_read2_b64 v[95:98], v94 offset1:1
	v_xor_b32_e32 v101, 0x80000000, v120
	v_add_u32_e32 v94, 16, v94
	s_waitcnt lgkmcnt(0)
	v_xor_b32_e32 v103, 0x80000000, v98
	v_cndmask_b32_e32 v100, v118, v99, vcc
	v_cmp_gt_f64_e32 vcc, 0, v[119:120]
	v_mov_b32_e32 v99, v117
	v_cndmask_b32_e32 v102, v120, v101, vcc
	v_cmp_gt_f64_e32 vcc, 0, v[95:96]
	v_mov_b32_e32 v101, v119
	v_add_f64 v[99:100], v[99:100], v[101:102]
	v_xor_b32_e32 v101, 0x80000000, v96
	v_cndmask_b32_e32 v102, v96, v101, vcc
	v_cmp_gt_f64_e32 vcc, 0, v[97:98]
	v_mov_b32_e32 v101, v95
	v_cndmask_b32_e32 v104, v98, v103, vcc
	v_mov_b32_e32 v103, v97
	v_add_f64 v[101:102], v[101:102], v[103:104]
	v_cmp_lt_f64_e32 vcc, v[99:100], v[101:102]
	v_cndmask_b32_e32 v117, v117, v95, vcc
	v_mov_b32_e32 v95, s0
	s_add_i32 s0, s0, 1
	v_cndmask_b32_e32 v118, v118, v96, vcc
	v_cndmask_b32_e32 v120, v120, v98, vcc
	;; [unrolled: 1-line block ×4, first 2 shown]
	s_cmp_lg_u32 s3, s0
	s_cbranch_scc1 .LBB96_757
.LBB96_758:
	s_waitcnt lgkmcnt(0)
	v_cmp_eq_f64_e32 vcc, 0, v[117:118]
	v_cmp_eq_f64_e64 s[0:1], 0, v[119:120]
	s_and_b64 s[0:1], vcc, s[0:1]
	s_and_saveexec_b64 s[18:19], s[0:1]
	s_xor_b64 s[0:1], exec, s[18:19]
; %bb.759:
	v_cmp_ne_u32_e32 vcc, 0, v91
	v_cndmask_b32_e32 v91, 37, v91, vcc
; %bb.760:
	s_andn2_saveexec_b64 s[0:1], s[0:1]
	s_cbranch_execz .LBB96_766
; %bb.761:
	v_cmp_ngt_f64_e64 s[18:19], |v[117:118]|, |v[119:120]|
	s_and_saveexec_b64 s[20:21], s[18:19]
	s_xor_b64 s[18:19], exec, s[20:21]
	s_cbranch_execz .LBB96_763
; %bb.762:
	v_div_scale_f64 v[94:95], s[20:21], v[119:120], v[119:120], v[117:118]
	v_rcp_f64_e32 v[96:97], v[94:95]
	v_fma_f64 v[98:99], -v[94:95], v[96:97], 1.0
	v_fma_f64 v[96:97], v[96:97], v[98:99], v[96:97]
	v_div_scale_f64 v[98:99], vcc, v[117:118], v[119:120], v[117:118]
	v_fma_f64 v[100:101], -v[94:95], v[96:97], 1.0
	v_fma_f64 v[96:97], v[96:97], v[100:101], v[96:97]
	v_mul_f64 v[100:101], v[98:99], v[96:97]
	v_fma_f64 v[94:95], -v[94:95], v[100:101], v[98:99]
	v_div_fmas_f64 v[94:95], v[94:95], v[96:97], v[100:101]
	v_div_fixup_f64 v[94:95], v[94:95], v[119:120], v[117:118]
	v_fma_f64 v[96:97], v[117:118], v[94:95], v[119:120]
	v_div_scale_f64 v[98:99], s[20:21], v[96:97], v[96:97], 1.0
	v_div_scale_f64 v[104:105], vcc, 1.0, v[96:97], 1.0
	v_rcp_f64_e32 v[100:101], v[98:99]
	v_fma_f64 v[102:103], -v[98:99], v[100:101], 1.0
	v_fma_f64 v[100:101], v[100:101], v[102:103], v[100:101]
	v_fma_f64 v[102:103], -v[98:99], v[100:101], 1.0
	v_fma_f64 v[100:101], v[100:101], v[102:103], v[100:101]
	v_mul_f64 v[102:103], v[104:105], v[100:101]
	v_fma_f64 v[98:99], -v[98:99], v[102:103], v[104:105]
	v_div_fmas_f64 v[98:99], v[98:99], v[100:101], v[102:103]
	v_div_fixup_f64 v[119:120], v[98:99], v[96:97], 1.0
	v_mul_f64 v[117:118], v[94:95], v[119:120]
	v_xor_b32_e32 v120, 0x80000000, v120
.LBB96_763:
	s_andn2_saveexec_b64 s[18:19], s[18:19]
	s_cbranch_execz .LBB96_765
; %bb.764:
	v_div_scale_f64 v[94:95], s[20:21], v[117:118], v[117:118], v[119:120]
	v_rcp_f64_e32 v[96:97], v[94:95]
	v_fma_f64 v[98:99], -v[94:95], v[96:97], 1.0
	v_fma_f64 v[96:97], v[96:97], v[98:99], v[96:97]
	v_div_scale_f64 v[98:99], vcc, v[119:120], v[117:118], v[119:120]
	v_fma_f64 v[100:101], -v[94:95], v[96:97], 1.0
	v_fma_f64 v[96:97], v[96:97], v[100:101], v[96:97]
	v_mul_f64 v[100:101], v[98:99], v[96:97]
	v_fma_f64 v[94:95], -v[94:95], v[100:101], v[98:99]
	v_div_fmas_f64 v[94:95], v[94:95], v[96:97], v[100:101]
	v_div_fixup_f64 v[94:95], v[94:95], v[117:118], v[119:120]
	v_fma_f64 v[96:97], v[119:120], v[94:95], v[117:118]
	v_div_scale_f64 v[98:99], s[20:21], v[96:97], v[96:97], 1.0
	v_div_scale_f64 v[104:105], vcc, 1.0, v[96:97], 1.0
	v_rcp_f64_e32 v[100:101], v[98:99]
	v_fma_f64 v[102:103], -v[98:99], v[100:101], 1.0
	v_fma_f64 v[100:101], v[100:101], v[102:103], v[100:101]
	v_fma_f64 v[102:103], -v[98:99], v[100:101], 1.0
	v_fma_f64 v[100:101], v[100:101], v[102:103], v[100:101]
	v_mul_f64 v[102:103], v[104:105], v[100:101]
	v_fma_f64 v[98:99], -v[98:99], v[102:103], v[104:105]
	v_div_fmas_f64 v[98:99], v[98:99], v[100:101], v[102:103]
	v_div_fixup_f64 v[117:118], v[98:99], v[96:97], 1.0
	v_mul_f64 v[119:120], v[94:95], -v[117:118]
.LBB96_765:
	s_or_b64 exec, exec, s[18:19]
.LBB96_766:
	s_or_b64 exec, exec, s[0:1]
	v_cmp_ne_u32_e32 vcc, v92, v93
	s_and_saveexec_b64 s[0:1], vcc
	s_xor_b64 s[0:1], exec, s[0:1]
	s_cbranch_execz .LBB96_772
; %bb.767:
	v_cmp_eq_u32_e32 vcc, 36, v92
	s_and_saveexec_b64 s[18:19], vcc
	s_cbranch_execz .LBB96_771
; %bb.768:
	v_cmp_ne_u32_e32 vcc, 36, v93
	s_xor_b64 s[20:21], s[6:7], -1
	s_and_b64 s[22:23], s[20:21], vcc
	s_and_saveexec_b64 s[20:21], s[22:23]
	s_cbranch_execz .LBB96_770
; %bb.769:
	buffer_load_dword v85, off, s[24:27], 0 offset:352 ; 4-byte Folded Reload
	buffer_load_dword v86, off, s[24:27], 0 offset:356 ; 4-byte Folded Reload
	v_ashrrev_i32_e32 v94, 31, v93
	v_lshlrev_b64 v[94:95], 2, v[93:94]
	s_waitcnt vmcnt(1)
	v_add_co_u32_e32 v94, vcc, v85, v94
	s_waitcnt vmcnt(0)
	v_addc_co_u32_e32 v95, vcc, v86, v95, vcc
	global_load_dword v0, v[94:95], off
	global_load_dword v92, v[85:86], off offset:144
	s_waitcnt vmcnt(1)
	global_store_dword v[85:86], v0, off offset:144
	buffer_load_dword v85, off, s[24:27], 0 offset:392 ; 4-byte Folded Reload
	s_nop 0
	buffer_load_dword v86, off, s[24:27], 0 offset:396 ; 4-byte Folded Reload
	buffer_load_dword v87, off, s[24:27], 0 offset:400 ; 4-byte Folded Reload
	;; [unrolled: 1-line block ×3, first 2 shown]
	s_waitcnt vmcnt(5)
	global_store_dword v[94:95], v92, off
.LBB96_770:
	s_or_b64 exec, exec, s[20:21]
	v_mov_b32_e32 v92, v93
	v_mov_b32_e32 v0, v93
.LBB96_771:
	s_or_b64 exec, exec, s[18:19]
.LBB96_772:
	s_andn2_saveexec_b64 s[0:1], s[0:1]
	s_cbranch_execz .LBB96_774
; %bb.773:
	v_mov_b32_e32 v92, 36
	ds_write2_b64 v90, v[41:42], v[43:44] offset0:74 offset1:75
	ds_write2_b64 v90, v[37:38], v[39:40] offset0:76 offset1:77
	;; [unrolled: 1-line block ×12, first 2 shown]
.LBB96_774:
	s_or_b64 exec, exec, s[0:1]
	v_cmp_lt_i32_e32 vcc, 36, v92
	s_waitcnt vmcnt(0) lgkmcnt(0)
	s_barrier
	s_and_saveexec_b64 s[0:1], vcc
	s_cbranch_execz .LBB96_776
; %bb.775:
	v_mul_f64 v[93:94], v[117:118], v[47:48]
	v_mul_f64 v[47:48], v[119:120], v[47:48]
	ds_read2_b64 v[95:98], v90 offset0:74 offset1:75
	v_fma_f64 v[93:94], v[119:120], v[45:46], v[93:94]
	v_fma_f64 v[45:46], v[117:118], v[45:46], -v[47:48]
	s_waitcnt lgkmcnt(0)
	v_mul_f64 v[47:48], v[97:98], v[93:94]
	v_fma_f64 v[47:48], v[95:96], v[45:46], -v[47:48]
	v_mul_f64 v[95:96], v[95:96], v[93:94]
	v_add_f64 v[41:42], v[41:42], -v[47:48]
	v_fma_f64 v[95:96], v[97:98], v[45:46], v[95:96]
	v_add_f64 v[43:44], v[43:44], -v[95:96]
	ds_read2_b64 v[95:98], v90 offset0:76 offset1:77
	s_waitcnt lgkmcnt(0)
	v_mul_f64 v[47:48], v[97:98], v[93:94]
	v_fma_f64 v[47:48], v[95:96], v[45:46], -v[47:48]
	v_mul_f64 v[95:96], v[95:96], v[93:94]
	v_add_f64 v[37:38], v[37:38], -v[47:48]
	v_fma_f64 v[95:96], v[97:98], v[45:46], v[95:96]
	v_add_f64 v[39:40], v[39:40], -v[95:96]
	ds_read2_b64 v[95:98], v90 offset0:78 offset1:79
	;; [unrolled: 8-line block ×11, first 2 shown]
	s_waitcnt lgkmcnt(0)
	v_mul_f64 v[47:48], v[97:98], v[93:94]
	v_fma_f64 v[47:48], v[95:96], v[45:46], -v[47:48]
	v_mul_f64 v[95:96], v[95:96], v[93:94]
	v_add_f64 v[121:122], v[121:122], -v[47:48]
	v_fma_f64 v[95:96], v[97:98], v[45:46], v[95:96]
	v_mov_b32_e32 v47, v93
	v_mov_b32_e32 v48, v94
	v_add_f64 v[123:124], v[123:124], -v[95:96]
.LBB96_776:
	s_or_b64 exec, exec, s[0:1]
	v_lshl_add_u32 v93, v92, 4, v90
	s_barrier
	ds_write2_b64 v93, v[41:42], v[43:44] offset1:1
	s_waitcnt lgkmcnt(0)
	s_barrier
	ds_read2_b64 v[117:120], v90 offset0:74 offset1:75
	s_cmp_lt_i32 s3, 39
	v_mov_b32_e32 v93, 37
	s_cbranch_scc1 .LBB96_779
; %bb.777:
	v_add_u32_e32 v94, 0x260, v90
	s_mov_b32 s0, 38
	v_mov_b32_e32 v93, 37
.LBB96_778:                             ; =>This Inner Loop Header: Depth=1
	s_waitcnt lgkmcnt(0)
	v_cmp_gt_f64_e32 vcc, 0, v[117:118]
	v_xor_b32_e32 v99, 0x80000000, v118
	ds_read2_b64 v[95:98], v94 offset1:1
	v_xor_b32_e32 v101, 0x80000000, v120
	v_add_u32_e32 v94, 16, v94
	s_waitcnt lgkmcnt(0)
	v_xor_b32_e32 v103, 0x80000000, v98
	v_cndmask_b32_e32 v100, v118, v99, vcc
	v_cmp_gt_f64_e32 vcc, 0, v[119:120]
	v_mov_b32_e32 v99, v117
	v_cndmask_b32_e32 v102, v120, v101, vcc
	v_cmp_gt_f64_e32 vcc, 0, v[95:96]
	v_mov_b32_e32 v101, v119
	v_add_f64 v[99:100], v[99:100], v[101:102]
	v_xor_b32_e32 v101, 0x80000000, v96
	v_cndmask_b32_e32 v102, v96, v101, vcc
	v_cmp_gt_f64_e32 vcc, 0, v[97:98]
	v_mov_b32_e32 v101, v95
	v_cndmask_b32_e32 v104, v98, v103, vcc
	v_mov_b32_e32 v103, v97
	v_add_f64 v[101:102], v[101:102], v[103:104]
	v_cmp_lt_f64_e32 vcc, v[99:100], v[101:102]
	v_cndmask_b32_e32 v117, v117, v95, vcc
	v_mov_b32_e32 v95, s0
	s_add_i32 s0, s0, 1
	v_cndmask_b32_e32 v118, v118, v96, vcc
	v_cndmask_b32_e32 v120, v120, v98, vcc
	;; [unrolled: 1-line block ×4, first 2 shown]
	s_cmp_lg_u32 s3, s0
	s_cbranch_scc1 .LBB96_778
.LBB96_779:
	s_waitcnt lgkmcnt(0)
	v_cmp_eq_f64_e32 vcc, 0, v[117:118]
	v_cmp_eq_f64_e64 s[0:1], 0, v[119:120]
	s_and_b64 s[0:1], vcc, s[0:1]
	s_and_saveexec_b64 s[18:19], s[0:1]
	s_xor_b64 s[0:1], exec, s[18:19]
; %bb.780:
	v_cmp_ne_u32_e32 vcc, 0, v91
	v_cndmask_b32_e32 v91, 38, v91, vcc
; %bb.781:
	s_andn2_saveexec_b64 s[0:1], s[0:1]
	s_cbranch_execz .LBB96_787
; %bb.782:
	v_cmp_ngt_f64_e64 s[18:19], |v[117:118]|, |v[119:120]|
	s_and_saveexec_b64 s[20:21], s[18:19]
	s_xor_b64 s[18:19], exec, s[20:21]
	s_cbranch_execz .LBB96_784
; %bb.783:
	v_div_scale_f64 v[94:95], s[20:21], v[119:120], v[119:120], v[117:118]
	v_rcp_f64_e32 v[96:97], v[94:95]
	v_fma_f64 v[98:99], -v[94:95], v[96:97], 1.0
	v_fma_f64 v[96:97], v[96:97], v[98:99], v[96:97]
	v_div_scale_f64 v[98:99], vcc, v[117:118], v[119:120], v[117:118]
	v_fma_f64 v[100:101], -v[94:95], v[96:97], 1.0
	v_fma_f64 v[96:97], v[96:97], v[100:101], v[96:97]
	v_mul_f64 v[100:101], v[98:99], v[96:97]
	v_fma_f64 v[94:95], -v[94:95], v[100:101], v[98:99]
	v_div_fmas_f64 v[94:95], v[94:95], v[96:97], v[100:101]
	v_div_fixup_f64 v[94:95], v[94:95], v[119:120], v[117:118]
	v_fma_f64 v[96:97], v[117:118], v[94:95], v[119:120]
	v_div_scale_f64 v[98:99], s[20:21], v[96:97], v[96:97], 1.0
	v_div_scale_f64 v[104:105], vcc, 1.0, v[96:97], 1.0
	v_rcp_f64_e32 v[100:101], v[98:99]
	v_fma_f64 v[102:103], -v[98:99], v[100:101], 1.0
	v_fma_f64 v[100:101], v[100:101], v[102:103], v[100:101]
	v_fma_f64 v[102:103], -v[98:99], v[100:101], 1.0
	v_fma_f64 v[100:101], v[100:101], v[102:103], v[100:101]
	v_mul_f64 v[102:103], v[104:105], v[100:101]
	v_fma_f64 v[98:99], -v[98:99], v[102:103], v[104:105]
	v_div_fmas_f64 v[98:99], v[98:99], v[100:101], v[102:103]
	v_div_fixup_f64 v[119:120], v[98:99], v[96:97], 1.0
	v_mul_f64 v[117:118], v[94:95], v[119:120]
	v_xor_b32_e32 v120, 0x80000000, v120
.LBB96_784:
	s_andn2_saveexec_b64 s[18:19], s[18:19]
	s_cbranch_execz .LBB96_786
; %bb.785:
	v_div_scale_f64 v[94:95], s[20:21], v[117:118], v[117:118], v[119:120]
	v_rcp_f64_e32 v[96:97], v[94:95]
	v_fma_f64 v[98:99], -v[94:95], v[96:97], 1.0
	v_fma_f64 v[96:97], v[96:97], v[98:99], v[96:97]
	v_div_scale_f64 v[98:99], vcc, v[119:120], v[117:118], v[119:120]
	v_fma_f64 v[100:101], -v[94:95], v[96:97], 1.0
	v_fma_f64 v[96:97], v[96:97], v[100:101], v[96:97]
	v_mul_f64 v[100:101], v[98:99], v[96:97]
	v_fma_f64 v[94:95], -v[94:95], v[100:101], v[98:99]
	v_div_fmas_f64 v[94:95], v[94:95], v[96:97], v[100:101]
	v_div_fixup_f64 v[94:95], v[94:95], v[117:118], v[119:120]
	v_fma_f64 v[96:97], v[119:120], v[94:95], v[117:118]
	v_div_scale_f64 v[98:99], s[20:21], v[96:97], v[96:97], 1.0
	v_div_scale_f64 v[104:105], vcc, 1.0, v[96:97], 1.0
	v_rcp_f64_e32 v[100:101], v[98:99]
	v_fma_f64 v[102:103], -v[98:99], v[100:101], 1.0
	v_fma_f64 v[100:101], v[100:101], v[102:103], v[100:101]
	v_fma_f64 v[102:103], -v[98:99], v[100:101], 1.0
	v_fma_f64 v[100:101], v[100:101], v[102:103], v[100:101]
	v_mul_f64 v[102:103], v[104:105], v[100:101]
	v_fma_f64 v[98:99], -v[98:99], v[102:103], v[104:105]
	v_div_fmas_f64 v[98:99], v[98:99], v[100:101], v[102:103]
	v_div_fixup_f64 v[117:118], v[98:99], v[96:97], 1.0
	v_mul_f64 v[119:120], v[94:95], -v[117:118]
.LBB96_786:
	s_or_b64 exec, exec, s[18:19]
.LBB96_787:
	s_or_b64 exec, exec, s[0:1]
	v_cmp_ne_u32_e32 vcc, v92, v93
	s_and_saveexec_b64 s[0:1], vcc
	s_xor_b64 s[0:1], exec, s[0:1]
	s_cbranch_execz .LBB96_793
; %bb.788:
	v_cmp_eq_u32_e32 vcc, 37, v92
	s_and_saveexec_b64 s[18:19], vcc
	s_cbranch_execz .LBB96_792
; %bb.789:
	v_cmp_ne_u32_e32 vcc, 37, v93
	s_xor_b64 s[20:21], s[6:7], -1
	s_and_b64 s[22:23], s[20:21], vcc
	s_and_saveexec_b64 s[20:21], s[22:23]
	s_cbranch_execz .LBB96_791
; %bb.790:
	buffer_load_dword v85, off, s[24:27], 0 offset:352 ; 4-byte Folded Reload
	buffer_load_dword v86, off, s[24:27], 0 offset:356 ; 4-byte Folded Reload
	v_ashrrev_i32_e32 v94, 31, v93
	v_lshlrev_b64 v[94:95], 2, v[93:94]
	s_waitcnt vmcnt(1)
	v_add_co_u32_e32 v94, vcc, v85, v94
	s_waitcnt vmcnt(0)
	v_addc_co_u32_e32 v95, vcc, v86, v95, vcc
	global_load_dword v0, v[94:95], off
	global_load_dword v92, v[85:86], off offset:148
	s_waitcnt vmcnt(1)
	global_store_dword v[85:86], v0, off offset:148
	buffer_load_dword v85, off, s[24:27], 0 offset:392 ; 4-byte Folded Reload
	s_nop 0
	buffer_load_dword v86, off, s[24:27], 0 offset:396 ; 4-byte Folded Reload
	buffer_load_dword v87, off, s[24:27], 0 offset:400 ; 4-byte Folded Reload
	;; [unrolled: 1-line block ×3, first 2 shown]
	s_waitcnt vmcnt(5)
	global_store_dword v[94:95], v92, off
.LBB96_791:
	s_or_b64 exec, exec, s[20:21]
	v_mov_b32_e32 v92, v93
	v_mov_b32_e32 v0, v93
.LBB96_792:
	s_or_b64 exec, exec, s[18:19]
.LBB96_793:
	s_andn2_saveexec_b64 s[0:1], s[0:1]
	s_cbranch_execz .LBB96_795
; %bb.794:
	v_mov_b32_e32 v92, 37
	ds_write2_b64 v90, v[37:38], v[39:40] offset0:76 offset1:77
	ds_write2_b64 v90, v[33:34], v[35:36] offset0:78 offset1:79
	ds_write2_b64 v90, v[29:30], v[31:32] offset0:80 offset1:81
	ds_write2_b64 v90, v[25:26], v[27:28] offset0:82 offset1:83
	ds_write2_b64 v90, v[21:22], v[23:24] offset0:84 offset1:85
	ds_write2_b64 v90, v[17:18], v[19:20] offset0:86 offset1:87
	ds_write2_b64 v90, v[13:14], v[15:16] offset0:88 offset1:89
	ds_write2_b64 v90, v[9:10], v[11:12] offset0:90 offset1:91
	ds_write2_b64 v90, v[5:6], v[7:8] offset0:92 offset1:93
	ds_write2_b64 v90, v[1:2], v[3:4] offset0:94 offset1:95
	ds_write2_b64 v90, v[121:122], v[123:124] offset0:96 offset1:97
.LBB96_795:
	s_or_b64 exec, exec, s[0:1]
	v_cmp_lt_i32_e32 vcc, 37, v92
	s_waitcnt vmcnt(0) lgkmcnt(0)
	s_barrier
	s_and_saveexec_b64 s[0:1], vcc
	s_cbranch_execz .LBB96_797
; %bb.796:
	v_mul_f64 v[93:94], v[117:118], v[43:44]
	v_mul_f64 v[43:44], v[119:120], v[43:44]
	ds_read2_b64 v[95:98], v90 offset0:76 offset1:77
	v_fma_f64 v[93:94], v[119:120], v[41:42], v[93:94]
	v_fma_f64 v[41:42], v[117:118], v[41:42], -v[43:44]
	s_waitcnt lgkmcnt(0)
	v_mul_f64 v[43:44], v[97:98], v[93:94]
	v_fma_f64 v[43:44], v[95:96], v[41:42], -v[43:44]
	v_mul_f64 v[95:96], v[95:96], v[93:94]
	v_add_f64 v[37:38], v[37:38], -v[43:44]
	v_fma_f64 v[95:96], v[97:98], v[41:42], v[95:96]
	v_add_f64 v[39:40], v[39:40], -v[95:96]
	ds_read2_b64 v[95:98], v90 offset0:78 offset1:79
	s_waitcnt lgkmcnt(0)
	v_mul_f64 v[43:44], v[97:98], v[93:94]
	v_fma_f64 v[43:44], v[95:96], v[41:42], -v[43:44]
	v_mul_f64 v[95:96], v[95:96], v[93:94]
	v_add_f64 v[33:34], v[33:34], -v[43:44]
	v_fma_f64 v[95:96], v[97:98], v[41:42], v[95:96]
	v_add_f64 v[35:36], v[35:36], -v[95:96]
	ds_read2_b64 v[95:98], v90 offset0:80 offset1:81
	;; [unrolled: 8-line block ×10, first 2 shown]
	s_waitcnt lgkmcnt(0)
	v_mul_f64 v[43:44], v[97:98], v[93:94]
	v_fma_f64 v[43:44], v[95:96], v[41:42], -v[43:44]
	v_mul_f64 v[95:96], v[95:96], v[93:94]
	v_add_f64 v[121:122], v[121:122], -v[43:44]
	v_fma_f64 v[95:96], v[97:98], v[41:42], v[95:96]
	v_mov_b32_e32 v43, v93
	v_mov_b32_e32 v44, v94
	v_add_f64 v[123:124], v[123:124], -v[95:96]
.LBB96_797:
	s_or_b64 exec, exec, s[0:1]
	v_lshl_add_u32 v93, v92, 4, v90
	s_barrier
	ds_write2_b64 v93, v[37:38], v[39:40] offset1:1
	s_waitcnt lgkmcnt(0)
	s_barrier
	ds_read2_b64 v[117:120], v90 offset0:76 offset1:77
	s_cmp_lt_i32 s3, 40
	v_mov_b32_e32 v93, 38
	s_cbranch_scc1 .LBB96_800
; %bb.798:
	v_add_u32_e32 v94, 0x270, v90
	s_mov_b32 s0, 39
	v_mov_b32_e32 v93, 38
.LBB96_799:                             ; =>This Inner Loop Header: Depth=1
	s_waitcnt lgkmcnt(0)
	v_cmp_gt_f64_e32 vcc, 0, v[117:118]
	v_xor_b32_e32 v99, 0x80000000, v118
	ds_read2_b64 v[95:98], v94 offset1:1
	v_xor_b32_e32 v101, 0x80000000, v120
	v_add_u32_e32 v94, 16, v94
	s_waitcnt lgkmcnt(0)
	v_xor_b32_e32 v103, 0x80000000, v98
	v_cndmask_b32_e32 v100, v118, v99, vcc
	v_cmp_gt_f64_e32 vcc, 0, v[119:120]
	v_mov_b32_e32 v99, v117
	v_cndmask_b32_e32 v102, v120, v101, vcc
	v_cmp_gt_f64_e32 vcc, 0, v[95:96]
	v_mov_b32_e32 v101, v119
	v_add_f64 v[99:100], v[99:100], v[101:102]
	v_xor_b32_e32 v101, 0x80000000, v96
	v_cndmask_b32_e32 v102, v96, v101, vcc
	v_cmp_gt_f64_e32 vcc, 0, v[97:98]
	v_mov_b32_e32 v101, v95
	v_cndmask_b32_e32 v104, v98, v103, vcc
	v_mov_b32_e32 v103, v97
	v_add_f64 v[101:102], v[101:102], v[103:104]
	v_cmp_lt_f64_e32 vcc, v[99:100], v[101:102]
	v_cndmask_b32_e32 v117, v117, v95, vcc
	v_mov_b32_e32 v95, s0
	s_add_i32 s0, s0, 1
	v_cndmask_b32_e32 v118, v118, v96, vcc
	v_cndmask_b32_e32 v120, v120, v98, vcc
	;; [unrolled: 1-line block ×4, first 2 shown]
	s_cmp_lg_u32 s3, s0
	s_cbranch_scc1 .LBB96_799
.LBB96_800:
	s_waitcnt lgkmcnt(0)
	v_cmp_eq_f64_e32 vcc, 0, v[117:118]
	v_cmp_eq_f64_e64 s[0:1], 0, v[119:120]
	s_and_b64 s[0:1], vcc, s[0:1]
	s_and_saveexec_b64 s[18:19], s[0:1]
	s_xor_b64 s[0:1], exec, s[18:19]
; %bb.801:
	v_cmp_ne_u32_e32 vcc, 0, v91
	v_cndmask_b32_e32 v91, 39, v91, vcc
; %bb.802:
	s_andn2_saveexec_b64 s[0:1], s[0:1]
	s_cbranch_execz .LBB96_808
; %bb.803:
	v_cmp_ngt_f64_e64 s[18:19], |v[117:118]|, |v[119:120]|
	s_and_saveexec_b64 s[20:21], s[18:19]
	s_xor_b64 s[18:19], exec, s[20:21]
	s_cbranch_execz .LBB96_805
; %bb.804:
	v_div_scale_f64 v[94:95], s[20:21], v[119:120], v[119:120], v[117:118]
	v_rcp_f64_e32 v[96:97], v[94:95]
	v_fma_f64 v[98:99], -v[94:95], v[96:97], 1.0
	v_fma_f64 v[96:97], v[96:97], v[98:99], v[96:97]
	v_div_scale_f64 v[98:99], vcc, v[117:118], v[119:120], v[117:118]
	v_fma_f64 v[100:101], -v[94:95], v[96:97], 1.0
	v_fma_f64 v[96:97], v[96:97], v[100:101], v[96:97]
	v_mul_f64 v[100:101], v[98:99], v[96:97]
	v_fma_f64 v[94:95], -v[94:95], v[100:101], v[98:99]
	v_div_fmas_f64 v[94:95], v[94:95], v[96:97], v[100:101]
	v_div_fixup_f64 v[94:95], v[94:95], v[119:120], v[117:118]
	v_fma_f64 v[96:97], v[117:118], v[94:95], v[119:120]
	v_div_scale_f64 v[98:99], s[20:21], v[96:97], v[96:97], 1.0
	v_div_scale_f64 v[104:105], vcc, 1.0, v[96:97], 1.0
	v_rcp_f64_e32 v[100:101], v[98:99]
	v_fma_f64 v[102:103], -v[98:99], v[100:101], 1.0
	v_fma_f64 v[100:101], v[100:101], v[102:103], v[100:101]
	v_fma_f64 v[102:103], -v[98:99], v[100:101], 1.0
	v_fma_f64 v[100:101], v[100:101], v[102:103], v[100:101]
	v_mul_f64 v[102:103], v[104:105], v[100:101]
	v_fma_f64 v[98:99], -v[98:99], v[102:103], v[104:105]
	v_div_fmas_f64 v[98:99], v[98:99], v[100:101], v[102:103]
	v_div_fixup_f64 v[119:120], v[98:99], v[96:97], 1.0
	v_mul_f64 v[117:118], v[94:95], v[119:120]
	v_xor_b32_e32 v120, 0x80000000, v120
.LBB96_805:
	s_andn2_saveexec_b64 s[18:19], s[18:19]
	s_cbranch_execz .LBB96_807
; %bb.806:
	v_div_scale_f64 v[94:95], s[20:21], v[117:118], v[117:118], v[119:120]
	v_rcp_f64_e32 v[96:97], v[94:95]
	v_fma_f64 v[98:99], -v[94:95], v[96:97], 1.0
	v_fma_f64 v[96:97], v[96:97], v[98:99], v[96:97]
	v_div_scale_f64 v[98:99], vcc, v[119:120], v[117:118], v[119:120]
	v_fma_f64 v[100:101], -v[94:95], v[96:97], 1.0
	v_fma_f64 v[96:97], v[96:97], v[100:101], v[96:97]
	v_mul_f64 v[100:101], v[98:99], v[96:97]
	v_fma_f64 v[94:95], -v[94:95], v[100:101], v[98:99]
	v_div_fmas_f64 v[94:95], v[94:95], v[96:97], v[100:101]
	v_div_fixup_f64 v[94:95], v[94:95], v[117:118], v[119:120]
	v_fma_f64 v[96:97], v[119:120], v[94:95], v[117:118]
	v_div_scale_f64 v[98:99], s[20:21], v[96:97], v[96:97], 1.0
	v_div_scale_f64 v[104:105], vcc, 1.0, v[96:97], 1.0
	v_rcp_f64_e32 v[100:101], v[98:99]
	v_fma_f64 v[102:103], -v[98:99], v[100:101], 1.0
	v_fma_f64 v[100:101], v[100:101], v[102:103], v[100:101]
	v_fma_f64 v[102:103], -v[98:99], v[100:101], 1.0
	v_fma_f64 v[100:101], v[100:101], v[102:103], v[100:101]
	v_mul_f64 v[102:103], v[104:105], v[100:101]
	v_fma_f64 v[98:99], -v[98:99], v[102:103], v[104:105]
	v_div_fmas_f64 v[98:99], v[98:99], v[100:101], v[102:103]
	v_div_fixup_f64 v[117:118], v[98:99], v[96:97], 1.0
	v_mul_f64 v[119:120], v[94:95], -v[117:118]
.LBB96_807:
	s_or_b64 exec, exec, s[18:19]
.LBB96_808:
	s_or_b64 exec, exec, s[0:1]
	v_cmp_ne_u32_e32 vcc, v92, v93
	s_and_saveexec_b64 s[0:1], vcc
	s_xor_b64 s[0:1], exec, s[0:1]
	s_cbranch_execz .LBB96_814
; %bb.809:
	v_cmp_eq_u32_e32 vcc, 38, v92
	s_and_saveexec_b64 s[18:19], vcc
	s_cbranch_execz .LBB96_813
; %bb.810:
	v_cmp_ne_u32_e32 vcc, 38, v93
	s_xor_b64 s[20:21], s[6:7], -1
	s_and_b64 s[22:23], s[20:21], vcc
	s_and_saveexec_b64 s[20:21], s[22:23]
	s_cbranch_execz .LBB96_812
; %bb.811:
	buffer_load_dword v85, off, s[24:27], 0 offset:352 ; 4-byte Folded Reload
	buffer_load_dword v86, off, s[24:27], 0 offset:356 ; 4-byte Folded Reload
	v_ashrrev_i32_e32 v94, 31, v93
	v_lshlrev_b64 v[94:95], 2, v[93:94]
	s_waitcnt vmcnt(1)
	v_add_co_u32_e32 v94, vcc, v85, v94
	s_waitcnt vmcnt(0)
	v_addc_co_u32_e32 v95, vcc, v86, v95, vcc
	global_load_dword v0, v[94:95], off
	global_load_dword v92, v[85:86], off offset:152
	s_waitcnt vmcnt(1)
	global_store_dword v[85:86], v0, off offset:152
	buffer_load_dword v85, off, s[24:27], 0 offset:392 ; 4-byte Folded Reload
	s_nop 0
	buffer_load_dword v86, off, s[24:27], 0 offset:396 ; 4-byte Folded Reload
	buffer_load_dword v87, off, s[24:27], 0 offset:400 ; 4-byte Folded Reload
	;; [unrolled: 1-line block ×3, first 2 shown]
	s_waitcnt vmcnt(5)
	global_store_dword v[94:95], v92, off
.LBB96_812:
	s_or_b64 exec, exec, s[20:21]
	v_mov_b32_e32 v92, v93
	v_mov_b32_e32 v0, v93
.LBB96_813:
	s_or_b64 exec, exec, s[18:19]
.LBB96_814:
	s_andn2_saveexec_b64 s[0:1], s[0:1]
	s_cbranch_execz .LBB96_816
; %bb.815:
	v_mov_b32_e32 v92, 38
	ds_write2_b64 v90, v[33:34], v[35:36] offset0:78 offset1:79
	ds_write2_b64 v90, v[29:30], v[31:32] offset0:80 offset1:81
	ds_write2_b64 v90, v[25:26], v[27:28] offset0:82 offset1:83
	ds_write2_b64 v90, v[21:22], v[23:24] offset0:84 offset1:85
	ds_write2_b64 v90, v[17:18], v[19:20] offset0:86 offset1:87
	ds_write2_b64 v90, v[13:14], v[15:16] offset0:88 offset1:89
	ds_write2_b64 v90, v[9:10], v[11:12] offset0:90 offset1:91
	ds_write2_b64 v90, v[5:6], v[7:8] offset0:92 offset1:93
	ds_write2_b64 v90, v[1:2], v[3:4] offset0:94 offset1:95
	ds_write2_b64 v90, v[121:122], v[123:124] offset0:96 offset1:97
.LBB96_816:
	s_or_b64 exec, exec, s[0:1]
	v_cmp_lt_i32_e32 vcc, 38, v92
	s_waitcnt vmcnt(0) lgkmcnt(0)
	s_barrier
	s_and_saveexec_b64 s[0:1], vcc
	s_cbranch_execz .LBB96_818
; %bb.817:
	v_mul_f64 v[93:94], v[117:118], v[39:40]
	v_mul_f64 v[39:40], v[119:120], v[39:40]
	ds_read2_b64 v[95:98], v90 offset0:78 offset1:79
	v_fma_f64 v[93:94], v[119:120], v[37:38], v[93:94]
	v_fma_f64 v[37:38], v[117:118], v[37:38], -v[39:40]
	s_waitcnt lgkmcnt(0)
	v_mul_f64 v[39:40], v[97:98], v[93:94]
	v_fma_f64 v[39:40], v[95:96], v[37:38], -v[39:40]
	v_mul_f64 v[95:96], v[95:96], v[93:94]
	v_add_f64 v[33:34], v[33:34], -v[39:40]
	v_fma_f64 v[95:96], v[97:98], v[37:38], v[95:96]
	v_add_f64 v[35:36], v[35:36], -v[95:96]
	ds_read2_b64 v[95:98], v90 offset0:80 offset1:81
	s_waitcnt lgkmcnt(0)
	v_mul_f64 v[39:40], v[97:98], v[93:94]
	v_fma_f64 v[39:40], v[95:96], v[37:38], -v[39:40]
	v_mul_f64 v[95:96], v[95:96], v[93:94]
	v_add_f64 v[29:30], v[29:30], -v[39:40]
	v_fma_f64 v[95:96], v[97:98], v[37:38], v[95:96]
	v_add_f64 v[31:32], v[31:32], -v[95:96]
	ds_read2_b64 v[95:98], v90 offset0:82 offset1:83
	;; [unrolled: 8-line block ×9, first 2 shown]
	s_waitcnt lgkmcnt(0)
	v_mul_f64 v[39:40], v[97:98], v[93:94]
	v_fma_f64 v[39:40], v[95:96], v[37:38], -v[39:40]
	v_mul_f64 v[95:96], v[95:96], v[93:94]
	v_add_f64 v[121:122], v[121:122], -v[39:40]
	v_fma_f64 v[95:96], v[97:98], v[37:38], v[95:96]
	v_mov_b32_e32 v39, v93
	v_mov_b32_e32 v40, v94
	v_add_f64 v[123:124], v[123:124], -v[95:96]
.LBB96_818:
	s_or_b64 exec, exec, s[0:1]
	v_lshl_add_u32 v93, v92, 4, v90
	s_barrier
	ds_write2_b64 v93, v[33:34], v[35:36] offset1:1
	s_waitcnt lgkmcnt(0)
	s_barrier
	ds_read2_b64 v[117:120], v90 offset0:78 offset1:79
	s_cmp_lt_i32 s3, 41
	v_mov_b32_e32 v93, 39
	s_cbranch_scc1 .LBB96_821
; %bb.819:
	v_add_u32_e32 v94, 0x280, v90
	s_mov_b32 s0, 40
	v_mov_b32_e32 v93, 39
.LBB96_820:                             ; =>This Inner Loop Header: Depth=1
	s_waitcnt lgkmcnt(0)
	v_cmp_gt_f64_e32 vcc, 0, v[117:118]
	v_xor_b32_e32 v99, 0x80000000, v118
	ds_read2_b64 v[95:98], v94 offset1:1
	v_xor_b32_e32 v101, 0x80000000, v120
	v_add_u32_e32 v94, 16, v94
	s_waitcnt lgkmcnt(0)
	v_xor_b32_e32 v103, 0x80000000, v98
	v_cndmask_b32_e32 v100, v118, v99, vcc
	v_cmp_gt_f64_e32 vcc, 0, v[119:120]
	v_mov_b32_e32 v99, v117
	v_cndmask_b32_e32 v102, v120, v101, vcc
	v_cmp_gt_f64_e32 vcc, 0, v[95:96]
	v_mov_b32_e32 v101, v119
	v_add_f64 v[99:100], v[99:100], v[101:102]
	v_xor_b32_e32 v101, 0x80000000, v96
	v_cndmask_b32_e32 v102, v96, v101, vcc
	v_cmp_gt_f64_e32 vcc, 0, v[97:98]
	v_mov_b32_e32 v101, v95
	v_cndmask_b32_e32 v104, v98, v103, vcc
	v_mov_b32_e32 v103, v97
	v_add_f64 v[101:102], v[101:102], v[103:104]
	v_cmp_lt_f64_e32 vcc, v[99:100], v[101:102]
	v_cndmask_b32_e32 v117, v117, v95, vcc
	v_mov_b32_e32 v95, s0
	s_add_i32 s0, s0, 1
	v_cndmask_b32_e32 v118, v118, v96, vcc
	v_cndmask_b32_e32 v120, v120, v98, vcc
	;; [unrolled: 1-line block ×4, first 2 shown]
	s_cmp_lg_u32 s3, s0
	s_cbranch_scc1 .LBB96_820
.LBB96_821:
	s_waitcnt lgkmcnt(0)
	v_cmp_eq_f64_e32 vcc, 0, v[117:118]
	v_cmp_eq_f64_e64 s[0:1], 0, v[119:120]
	s_and_b64 s[0:1], vcc, s[0:1]
	s_and_saveexec_b64 s[18:19], s[0:1]
	s_xor_b64 s[0:1], exec, s[18:19]
; %bb.822:
	v_cmp_ne_u32_e32 vcc, 0, v91
	v_cndmask_b32_e32 v91, 40, v91, vcc
; %bb.823:
	s_andn2_saveexec_b64 s[0:1], s[0:1]
	s_cbranch_execz .LBB96_829
; %bb.824:
	v_cmp_ngt_f64_e64 s[18:19], |v[117:118]|, |v[119:120]|
	s_and_saveexec_b64 s[20:21], s[18:19]
	s_xor_b64 s[18:19], exec, s[20:21]
	s_cbranch_execz .LBB96_826
; %bb.825:
	v_div_scale_f64 v[94:95], s[20:21], v[119:120], v[119:120], v[117:118]
	v_rcp_f64_e32 v[96:97], v[94:95]
	v_fma_f64 v[98:99], -v[94:95], v[96:97], 1.0
	v_fma_f64 v[96:97], v[96:97], v[98:99], v[96:97]
	v_div_scale_f64 v[98:99], vcc, v[117:118], v[119:120], v[117:118]
	v_fma_f64 v[100:101], -v[94:95], v[96:97], 1.0
	v_fma_f64 v[96:97], v[96:97], v[100:101], v[96:97]
	v_mul_f64 v[100:101], v[98:99], v[96:97]
	v_fma_f64 v[94:95], -v[94:95], v[100:101], v[98:99]
	v_div_fmas_f64 v[94:95], v[94:95], v[96:97], v[100:101]
	v_div_fixup_f64 v[94:95], v[94:95], v[119:120], v[117:118]
	v_fma_f64 v[96:97], v[117:118], v[94:95], v[119:120]
	v_div_scale_f64 v[98:99], s[20:21], v[96:97], v[96:97], 1.0
	v_div_scale_f64 v[104:105], vcc, 1.0, v[96:97], 1.0
	v_rcp_f64_e32 v[100:101], v[98:99]
	v_fma_f64 v[102:103], -v[98:99], v[100:101], 1.0
	v_fma_f64 v[100:101], v[100:101], v[102:103], v[100:101]
	v_fma_f64 v[102:103], -v[98:99], v[100:101], 1.0
	v_fma_f64 v[100:101], v[100:101], v[102:103], v[100:101]
	v_mul_f64 v[102:103], v[104:105], v[100:101]
	v_fma_f64 v[98:99], -v[98:99], v[102:103], v[104:105]
	v_div_fmas_f64 v[98:99], v[98:99], v[100:101], v[102:103]
	v_div_fixup_f64 v[119:120], v[98:99], v[96:97], 1.0
	v_mul_f64 v[117:118], v[94:95], v[119:120]
	v_xor_b32_e32 v120, 0x80000000, v120
.LBB96_826:
	s_andn2_saveexec_b64 s[18:19], s[18:19]
	s_cbranch_execz .LBB96_828
; %bb.827:
	v_div_scale_f64 v[94:95], s[20:21], v[117:118], v[117:118], v[119:120]
	v_rcp_f64_e32 v[96:97], v[94:95]
	v_fma_f64 v[98:99], -v[94:95], v[96:97], 1.0
	v_fma_f64 v[96:97], v[96:97], v[98:99], v[96:97]
	v_div_scale_f64 v[98:99], vcc, v[119:120], v[117:118], v[119:120]
	v_fma_f64 v[100:101], -v[94:95], v[96:97], 1.0
	v_fma_f64 v[96:97], v[96:97], v[100:101], v[96:97]
	v_mul_f64 v[100:101], v[98:99], v[96:97]
	v_fma_f64 v[94:95], -v[94:95], v[100:101], v[98:99]
	v_div_fmas_f64 v[94:95], v[94:95], v[96:97], v[100:101]
	v_div_fixup_f64 v[94:95], v[94:95], v[117:118], v[119:120]
	v_fma_f64 v[96:97], v[119:120], v[94:95], v[117:118]
	v_div_scale_f64 v[98:99], s[20:21], v[96:97], v[96:97], 1.0
	v_div_scale_f64 v[104:105], vcc, 1.0, v[96:97], 1.0
	v_rcp_f64_e32 v[100:101], v[98:99]
	v_fma_f64 v[102:103], -v[98:99], v[100:101], 1.0
	v_fma_f64 v[100:101], v[100:101], v[102:103], v[100:101]
	v_fma_f64 v[102:103], -v[98:99], v[100:101], 1.0
	v_fma_f64 v[100:101], v[100:101], v[102:103], v[100:101]
	v_mul_f64 v[102:103], v[104:105], v[100:101]
	v_fma_f64 v[98:99], -v[98:99], v[102:103], v[104:105]
	v_div_fmas_f64 v[98:99], v[98:99], v[100:101], v[102:103]
	v_div_fixup_f64 v[117:118], v[98:99], v[96:97], 1.0
	v_mul_f64 v[119:120], v[94:95], -v[117:118]
.LBB96_828:
	s_or_b64 exec, exec, s[18:19]
.LBB96_829:
	s_or_b64 exec, exec, s[0:1]
	v_cmp_ne_u32_e32 vcc, v92, v93
	s_and_saveexec_b64 s[0:1], vcc
	s_xor_b64 s[0:1], exec, s[0:1]
	s_cbranch_execz .LBB96_835
; %bb.830:
	v_cmp_eq_u32_e32 vcc, 39, v92
	s_and_saveexec_b64 s[18:19], vcc
	s_cbranch_execz .LBB96_834
; %bb.831:
	v_cmp_ne_u32_e32 vcc, 39, v93
	s_xor_b64 s[20:21], s[6:7], -1
	s_and_b64 s[22:23], s[20:21], vcc
	s_and_saveexec_b64 s[20:21], s[22:23]
	s_cbranch_execz .LBB96_833
; %bb.832:
	buffer_load_dword v85, off, s[24:27], 0 offset:352 ; 4-byte Folded Reload
	buffer_load_dword v86, off, s[24:27], 0 offset:356 ; 4-byte Folded Reload
	v_ashrrev_i32_e32 v94, 31, v93
	v_lshlrev_b64 v[94:95], 2, v[93:94]
	s_waitcnt vmcnt(1)
	v_add_co_u32_e32 v94, vcc, v85, v94
	s_waitcnt vmcnt(0)
	v_addc_co_u32_e32 v95, vcc, v86, v95, vcc
	global_load_dword v0, v[94:95], off
	global_load_dword v92, v[85:86], off offset:156
	s_waitcnt vmcnt(1)
	global_store_dword v[85:86], v0, off offset:156
	buffer_load_dword v85, off, s[24:27], 0 offset:392 ; 4-byte Folded Reload
	s_nop 0
	buffer_load_dword v86, off, s[24:27], 0 offset:396 ; 4-byte Folded Reload
	buffer_load_dword v87, off, s[24:27], 0 offset:400 ; 4-byte Folded Reload
	;; [unrolled: 1-line block ×3, first 2 shown]
	s_waitcnt vmcnt(5)
	global_store_dword v[94:95], v92, off
.LBB96_833:
	s_or_b64 exec, exec, s[20:21]
	v_mov_b32_e32 v92, v93
	v_mov_b32_e32 v0, v93
.LBB96_834:
	s_or_b64 exec, exec, s[18:19]
.LBB96_835:
	s_andn2_saveexec_b64 s[0:1], s[0:1]
	s_cbranch_execz .LBB96_837
; %bb.836:
	v_mov_b32_e32 v92, 39
	ds_write2_b64 v90, v[29:30], v[31:32] offset0:80 offset1:81
	ds_write2_b64 v90, v[25:26], v[27:28] offset0:82 offset1:83
	;; [unrolled: 1-line block ×9, first 2 shown]
.LBB96_837:
	s_or_b64 exec, exec, s[0:1]
	v_cmp_lt_i32_e32 vcc, 39, v92
	s_waitcnt vmcnt(0) lgkmcnt(0)
	s_barrier
	s_and_saveexec_b64 s[0:1], vcc
	s_cbranch_execz .LBB96_839
; %bb.838:
	v_mul_f64 v[93:94], v[117:118], v[35:36]
	v_mul_f64 v[35:36], v[119:120], v[35:36]
	ds_read2_b64 v[95:98], v90 offset0:80 offset1:81
	v_fma_f64 v[93:94], v[119:120], v[33:34], v[93:94]
	v_fma_f64 v[33:34], v[117:118], v[33:34], -v[35:36]
	s_waitcnt lgkmcnt(0)
	v_mul_f64 v[35:36], v[97:98], v[93:94]
	v_fma_f64 v[35:36], v[95:96], v[33:34], -v[35:36]
	v_mul_f64 v[95:96], v[95:96], v[93:94]
	v_add_f64 v[29:30], v[29:30], -v[35:36]
	v_fma_f64 v[95:96], v[97:98], v[33:34], v[95:96]
	v_add_f64 v[31:32], v[31:32], -v[95:96]
	ds_read2_b64 v[95:98], v90 offset0:82 offset1:83
	s_waitcnt lgkmcnt(0)
	v_mul_f64 v[35:36], v[97:98], v[93:94]
	v_fma_f64 v[35:36], v[95:96], v[33:34], -v[35:36]
	v_mul_f64 v[95:96], v[95:96], v[93:94]
	v_add_f64 v[25:26], v[25:26], -v[35:36]
	v_fma_f64 v[95:96], v[97:98], v[33:34], v[95:96]
	v_add_f64 v[27:28], v[27:28], -v[95:96]
	ds_read2_b64 v[95:98], v90 offset0:84 offset1:85
	;; [unrolled: 8-line block ×8, first 2 shown]
	s_waitcnt lgkmcnt(0)
	v_mul_f64 v[35:36], v[97:98], v[93:94]
	v_fma_f64 v[35:36], v[95:96], v[33:34], -v[35:36]
	v_mul_f64 v[95:96], v[95:96], v[93:94]
	v_add_f64 v[121:122], v[121:122], -v[35:36]
	v_fma_f64 v[95:96], v[97:98], v[33:34], v[95:96]
	v_mov_b32_e32 v35, v93
	v_mov_b32_e32 v36, v94
	v_add_f64 v[123:124], v[123:124], -v[95:96]
.LBB96_839:
	s_or_b64 exec, exec, s[0:1]
	v_lshl_add_u32 v93, v92, 4, v90
	s_barrier
	ds_write2_b64 v93, v[29:30], v[31:32] offset1:1
	s_waitcnt lgkmcnt(0)
	s_barrier
	ds_read2_b64 v[117:120], v90 offset0:80 offset1:81
	s_cmp_lt_i32 s3, 42
	v_mov_b32_e32 v93, 40
	s_cbranch_scc1 .LBB96_842
; %bb.840:
	v_add_u32_e32 v94, 0x290, v90
	s_mov_b32 s0, 41
	v_mov_b32_e32 v93, 40
.LBB96_841:                             ; =>This Inner Loop Header: Depth=1
	s_waitcnt lgkmcnt(0)
	v_cmp_gt_f64_e32 vcc, 0, v[117:118]
	v_xor_b32_e32 v99, 0x80000000, v118
	ds_read2_b64 v[95:98], v94 offset1:1
	v_xor_b32_e32 v101, 0x80000000, v120
	v_add_u32_e32 v94, 16, v94
	s_waitcnt lgkmcnt(0)
	v_xor_b32_e32 v103, 0x80000000, v98
	v_cndmask_b32_e32 v100, v118, v99, vcc
	v_cmp_gt_f64_e32 vcc, 0, v[119:120]
	v_mov_b32_e32 v99, v117
	v_cndmask_b32_e32 v102, v120, v101, vcc
	v_cmp_gt_f64_e32 vcc, 0, v[95:96]
	v_mov_b32_e32 v101, v119
	v_add_f64 v[99:100], v[99:100], v[101:102]
	v_xor_b32_e32 v101, 0x80000000, v96
	v_cndmask_b32_e32 v102, v96, v101, vcc
	v_cmp_gt_f64_e32 vcc, 0, v[97:98]
	v_mov_b32_e32 v101, v95
	v_cndmask_b32_e32 v104, v98, v103, vcc
	v_mov_b32_e32 v103, v97
	v_add_f64 v[101:102], v[101:102], v[103:104]
	v_cmp_lt_f64_e32 vcc, v[99:100], v[101:102]
	v_cndmask_b32_e32 v117, v117, v95, vcc
	v_mov_b32_e32 v95, s0
	s_add_i32 s0, s0, 1
	v_cndmask_b32_e32 v118, v118, v96, vcc
	v_cndmask_b32_e32 v120, v120, v98, vcc
	;; [unrolled: 1-line block ×4, first 2 shown]
	s_cmp_lg_u32 s3, s0
	s_cbranch_scc1 .LBB96_841
.LBB96_842:
	s_waitcnt lgkmcnt(0)
	v_cmp_eq_f64_e32 vcc, 0, v[117:118]
	v_cmp_eq_f64_e64 s[0:1], 0, v[119:120]
	s_and_b64 s[0:1], vcc, s[0:1]
	s_and_saveexec_b64 s[18:19], s[0:1]
	s_xor_b64 s[0:1], exec, s[18:19]
; %bb.843:
	v_cmp_ne_u32_e32 vcc, 0, v91
	v_cndmask_b32_e32 v91, 41, v91, vcc
; %bb.844:
	s_andn2_saveexec_b64 s[0:1], s[0:1]
	s_cbranch_execz .LBB96_850
; %bb.845:
	v_cmp_ngt_f64_e64 s[18:19], |v[117:118]|, |v[119:120]|
	s_and_saveexec_b64 s[20:21], s[18:19]
	s_xor_b64 s[18:19], exec, s[20:21]
	s_cbranch_execz .LBB96_847
; %bb.846:
	v_div_scale_f64 v[94:95], s[20:21], v[119:120], v[119:120], v[117:118]
	v_rcp_f64_e32 v[96:97], v[94:95]
	v_fma_f64 v[98:99], -v[94:95], v[96:97], 1.0
	v_fma_f64 v[96:97], v[96:97], v[98:99], v[96:97]
	v_div_scale_f64 v[98:99], vcc, v[117:118], v[119:120], v[117:118]
	v_fma_f64 v[100:101], -v[94:95], v[96:97], 1.0
	v_fma_f64 v[96:97], v[96:97], v[100:101], v[96:97]
	v_mul_f64 v[100:101], v[98:99], v[96:97]
	v_fma_f64 v[94:95], -v[94:95], v[100:101], v[98:99]
	v_div_fmas_f64 v[94:95], v[94:95], v[96:97], v[100:101]
	v_div_fixup_f64 v[94:95], v[94:95], v[119:120], v[117:118]
	v_fma_f64 v[96:97], v[117:118], v[94:95], v[119:120]
	v_div_scale_f64 v[98:99], s[20:21], v[96:97], v[96:97], 1.0
	v_div_scale_f64 v[104:105], vcc, 1.0, v[96:97], 1.0
	v_rcp_f64_e32 v[100:101], v[98:99]
	v_fma_f64 v[102:103], -v[98:99], v[100:101], 1.0
	v_fma_f64 v[100:101], v[100:101], v[102:103], v[100:101]
	v_fma_f64 v[102:103], -v[98:99], v[100:101], 1.0
	v_fma_f64 v[100:101], v[100:101], v[102:103], v[100:101]
	v_mul_f64 v[102:103], v[104:105], v[100:101]
	v_fma_f64 v[98:99], -v[98:99], v[102:103], v[104:105]
	v_div_fmas_f64 v[98:99], v[98:99], v[100:101], v[102:103]
	v_div_fixup_f64 v[119:120], v[98:99], v[96:97], 1.0
	v_mul_f64 v[117:118], v[94:95], v[119:120]
	v_xor_b32_e32 v120, 0x80000000, v120
.LBB96_847:
	s_andn2_saveexec_b64 s[18:19], s[18:19]
	s_cbranch_execz .LBB96_849
; %bb.848:
	v_div_scale_f64 v[94:95], s[20:21], v[117:118], v[117:118], v[119:120]
	v_rcp_f64_e32 v[96:97], v[94:95]
	v_fma_f64 v[98:99], -v[94:95], v[96:97], 1.0
	v_fma_f64 v[96:97], v[96:97], v[98:99], v[96:97]
	v_div_scale_f64 v[98:99], vcc, v[119:120], v[117:118], v[119:120]
	v_fma_f64 v[100:101], -v[94:95], v[96:97], 1.0
	v_fma_f64 v[96:97], v[96:97], v[100:101], v[96:97]
	v_mul_f64 v[100:101], v[98:99], v[96:97]
	v_fma_f64 v[94:95], -v[94:95], v[100:101], v[98:99]
	v_div_fmas_f64 v[94:95], v[94:95], v[96:97], v[100:101]
	v_div_fixup_f64 v[94:95], v[94:95], v[117:118], v[119:120]
	v_fma_f64 v[96:97], v[119:120], v[94:95], v[117:118]
	v_div_scale_f64 v[98:99], s[20:21], v[96:97], v[96:97], 1.0
	v_div_scale_f64 v[104:105], vcc, 1.0, v[96:97], 1.0
	v_rcp_f64_e32 v[100:101], v[98:99]
	v_fma_f64 v[102:103], -v[98:99], v[100:101], 1.0
	v_fma_f64 v[100:101], v[100:101], v[102:103], v[100:101]
	v_fma_f64 v[102:103], -v[98:99], v[100:101], 1.0
	v_fma_f64 v[100:101], v[100:101], v[102:103], v[100:101]
	v_mul_f64 v[102:103], v[104:105], v[100:101]
	v_fma_f64 v[98:99], -v[98:99], v[102:103], v[104:105]
	v_div_fmas_f64 v[98:99], v[98:99], v[100:101], v[102:103]
	v_div_fixup_f64 v[117:118], v[98:99], v[96:97], 1.0
	v_mul_f64 v[119:120], v[94:95], -v[117:118]
.LBB96_849:
	s_or_b64 exec, exec, s[18:19]
.LBB96_850:
	s_or_b64 exec, exec, s[0:1]
	v_cmp_ne_u32_e32 vcc, v92, v93
	s_and_saveexec_b64 s[0:1], vcc
	s_xor_b64 s[0:1], exec, s[0:1]
	s_cbranch_execz .LBB96_856
; %bb.851:
	v_cmp_eq_u32_e32 vcc, 40, v92
	s_and_saveexec_b64 s[18:19], vcc
	s_cbranch_execz .LBB96_855
; %bb.852:
	v_cmp_ne_u32_e32 vcc, 40, v93
	s_xor_b64 s[20:21], s[6:7], -1
	s_and_b64 s[22:23], s[20:21], vcc
	s_and_saveexec_b64 s[20:21], s[22:23]
	s_cbranch_execz .LBB96_854
; %bb.853:
	buffer_load_dword v85, off, s[24:27], 0 offset:352 ; 4-byte Folded Reload
	buffer_load_dword v86, off, s[24:27], 0 offset:356 ; 4-byte Folded Reload
	v_ashrrev_i32_e32 v94, 31, v93
	v_lshlrev_b64 v[94:95], 2, v[93:94]
	s_waitcnt vmcnt(1)
	v_add_co_u32_e32 v94, vcc, v85, v94
	s_waitcnt vmcnt(0)
	v_addc_co_u32_e32 v95, vcc, v86, v95, vcc
	global_load_dword v0, v[94:95], off
	global_load_dword v92, v[85:86], off offset:160
	s_waitcnt vmcnt(1)
	global_store_dword v[85:86], v0, off offset:160
	buffer_load_dword v85, off, s[24:27], 0 offset:392 ; 4-byte Folded Reload
	s_nop 0
	buffer_load_dword v86, off, s[24:27], 0 offset:396 ; 4-byte Folded Reload
	buffer_load_dword v87, off, s[24:27], 0 offset:400 ; 4-byte Folded Reload
	;; [unrolled: 1-line block ×3, first 2 shown]
	s_waitcnt vmcnt(5)
	global_store_dword v[94:95], v92, off
.LBB96_854:
	s_or_b64 exec, exec, s[20:21]
	v_mov_b32_e32 v92, v93
	v_mov_b32_e32 v0, v93
.LBB96_855:
	s_or_b64 exec, exec, s[18:19]
.LBB96_856:
	s_andn2_saveexec_b64 s[0:1], s[0:1]
	s_cbranch_execz .LBB96_858
; %bb.857:
	v_mov_b32_e32 v92, 40
	ds_write2_b64 v90, v[25:26], v[27:28] offset0:82 offset1:83
	ds_write2_b64 v90, v[21:22], v[23:24] offset0:84 offset1:85
	;; [unrolled: 1-line block ×8, first 2 shown]
.LBB96_858:
	s_or_b64 exec, exec, s[0:1]
	v_cmp_lt_i32_e32 vcc, 40, v92
	s_waitcnt vmcnt(0) lgkmcnt(0)
	s_barrier
	s_and_saveexec_b64 s[0:1], vcc
	s_cbranch_execz .LBB96_860
; %bb.859:
	v_mul_f64 v[93:94], v[117:118], v[31:32]
	v_mul_f64 v[31:32], v[119:120], v[31:32]
	ds_read2_b64 v[95:98], v90 offset0:82 offset1:83
	v_fma_f64 v[93:94], v[119:120], v[29:30], v[93:94]
	v_fma_f64 v[29:30], v[117:118], v[29:30], -v[31:32]
	s_waitcnt lgkmcnt(0)
	v_mul_f64 v[31:32], v[97:98], v[93:94]
	v_fma_f64 v[31:32], v[95:96], v[29:30], -v[31:32]
	v_mul_f64 v[95:96], v[95:96], v[93:94]
	v_add_f64 v[25:26], v[25:26], -v[31:32]
	v_fma_f64 v[95:96], v[97:98], v[29:30], v[95:96]
	v_add_f64 v[27:28], v[27:28], -v[95:96]
	ds_read2_b64 v[95:98], v90 offset0:84 offset1:85
	s_waitcnt lgkmcnt(0)
	v_mul_f64 v[31:32], v[97:98], v[93:94]
	v_fma_f64 v[31:32], v[95:96], v[29:30], -v[31:32]
	v_mul_f64 v[95:96], v[95:96], v[93:94]
	v_add_f64 v[21:22], v[21:22], -v[31:32]
	v_fma_f64 v[95:96], v[97:98], v[29:30], v[95:96]
	v_add_f64 v[23:24], v[23:24], -v[95:96]
	ds_read2_b64 v[95:98], v90 offset0:86 offset1:87
	;; [unrolled: 8-line block ×7, first 2 shown]
	s_waitcnt lgkmcnt(0)
	v_mul_f64 v[31:32], v[97:98], v[93:94]
	v_fma_f64 v[31:32], v[95:96], v[29:30], -v[31:32]
	v_mul_f64 v[95:96], v[95:96], v[93:94]
	v_add_f64 v[121:122], v[121:122], -v[31:32]
	v_fma_f64 v[95:96], v[97:98], v[29:30], v[95:96]
	v_mov_b32_e32 v31, v93
	v_mov_b32_e32 v32, v94
	v_add_f64 v[123:124], v[123:124], -v[95:96]
.LBB96_860:
	s_or_b64 exec, exec, s[0:1]
	v_lshl_add_u32 v93, v92, 4, v90
	s_barrier
	ds_write2_b64 v93, v[25:26], v[27:28] offset1:1
	s_waitcnt lgkmcnt(0)
	s_barrier
	ds_read2_b64 v[117:120], v90 offset0:82 offset1:83
	s_cmp_lt_i32 s3, 43
	v_mov_b32_e32 v93, 41
	s_cbranch_scc1 .LBB96_863
; %bb.861:
	v_add_u32_e32 v94, 0x2a0, v90
	s_mov_b32 s0, 42
	v_mov_b32_e32 v93, 41
.LBB96_862:                             ; =>This Inner Loop Header: Depth=1
	s_waitcnt lgkmcnt(0)
	v_cmp_gt_f64_e32 vcc, 0, v[117:118]
	v_xor_b32_e32 v99, 0x80000000, v118
	ds_read2_b64 v[95:98], v94 offset1:1
	v_xor_b32_e32 v101, 0x80000000, v120
	v_add_u32_e32 v94, 16, v94
	s_waitcnt lgkmcnt(0)
	v_xor_b32_e32 v103, 0x80000000, v98
	v_cndmask_b32_e32 v100, v118, v99, vcc
	v_cmp_gt_f64_e32 vcc, 0, v[119:120]
	v_mov_b32_e32 v99, v117
	v_cndmask_b32_e32 v102, v120, v101, vcc
	v_cmp_gt_f64_e32 vcc, 0, v[95:96]
	v_mov_b32_e32 v101, v119
	v_add_f64 v[99:100], v[99:100], v[101:102]
	v_xor_b32_e32 v101, 0x80000000, v96
	v_cndmask_b32_e32 v102, v96, v101, vcc
	v_cmp_gt_f64_e32 vcc, 0, v[97:98]
	v_mov_b32_e32 v101, v95
	v_cndmask_b32_e32 v104, v98, v103, vcc
	v_mov_b32_e32 v103, v97
	v_add_f64 v[101:102], v[101:102], v[103:104]
	v_cmp_lt_f64_e32 vcc, v[99:100], v[101:102]
	v_cndmask_b32_e32 v117, v117, v95, vcc
	v_mov_b32_e32 v95, s0
	s_add_i32 s0, s0, 1
	v_cndmask_b32_e32 v118, v118, v96, vcc
	v_cndmask_b32_e32 v120, v120, v98, vcc
	;; [unrolled: 1-line block ×4, first 2 shown]
	s_cmp_lg_u32 s3, s0
	s_cbranch_scc1 .LBB96_862
.LBB96_863:
	s_waitcnt lgkmcnt(0)
	v_cmp_eq_f64_e32 vcc, 0, v[117:118]
	v_cmp_eq_f64_e64 s[0:1], 0, v[119:120]
	s_and_b64 s[0:1], vcc, s[0:1]
	s_and_saveexec_b64 s[18:19], s[0:1]
	s_xor_b64 s[0:1], exec, s[18:19]
; %bb.864:
	v_cmp_ne_u32_e32 vcc, 0, v91
	v_cndmask_b32_e32 v91, 42, v91, vcc
; %bb.865:
	s_andn2_saveexec_b64 s[0:1], s[0:1]
	s_cbranch_execz .LBB96_871
; %bb.866:
	v_cmp_ngt_f64_e64 s[18:19], |v[117:118]|, |v[119:120]|
	s_and_saveexec_b64 s[20:21], s[18:19]
	s_xor_b64 s[18:19], exec, s[20:21]
	s_cbranch_execz .LBB96_868
; %bb.867:
	v_div_scale_f64 v[94:95], s[20:21], v[119:120], v[119:120], v[117:118]
	v_rcp_f64_e32 v[96:97], v[94:95]
	v_fma_f64 v[98:99], -v[94:95], v[96:97], 1.0
	v_fma_f64 v[96:97], v[96:97], v[98:99], v[96:97]
	v_div_scale_f64 v[98:99], vcc, v[117:118], v[119:120], v[117:118]
	v_fma_f64 v[100:101], -v[94:95], v[96:97], 1.0
	v_fma_f64 v[96:97], v[96:97], v[100:101], v[96:97]
	v_mul_f64 v[100:101], v[98:99], v[96:97]
	v_fma_f64 v[94:95], -v[94:95], v[100:101], v[98:99]
	v_div_fmas_f64 v[94:95], v[94:95], v[96:97], v[100:101]
	v_div_fixup_f64 v[94:95], v[94:95], v[119:120], v[117:118]
	v_fma_f64 v[96:97], v[117:118], v[94:95], v[119:120]
	v_div_scale_f64 v[98:99], s[20:21], v[96:97], v[96:97], 1.0
	v_div_scale_f64 v[104:105], vcc, 1.0, v[96:97], 1.0
	v_rcp_f64_e32 v[100:101], v[98:99]
	v_fma_f64 v[102:103], -v[98:99], v[100:101], 1.0
	v_fma_f64 v[100:101], v[100:101], v[102:103], v[100:101]
	v_fma_f64 v[102:103], -v[98:99], v[100:101], 1.0
	v_fma_f64 v[100:101], v[100:101], v[102:103], v[100:101]
	v_mul_f64 v[102:103], v[104:105], v[100:101]
	v_fma_f64 v[98:99], -v[98:99], v[102:103], v[104:105]
	v_div_fmas_f64 v[98:99], v[98:99], v[100:101], v[102:103]
	v_div_fixup_f64 v[119:120], v[98:99], v[96:97], 1.0
	v_mul_f64 v[117:118], v[94:95], v[119:120]
	v_xor_b32_e32 v120, 0x80000000, v120
.LBB96_868:
	s_andn2_saveexec_b64 s[18:19], s[18:19]
	s_cbranch_execz .LBB96_870
; %bb.869:
	v_div_scale_f64 v[94:95], s[20:21], v[117:118], v[117:118], v[119:120]
	v_rcp_f64_e32 v[96:97], v[94:95]
	v_fma_f64 v[98:99], -v[94:95], v[96:97], 1.0
	v_fma_f64 v[96:97], v[96:97], v[98:99], v[96:97]
	v_div_scale_f64 v[98:99], vcc, v[119:120], v[117:118], v[119:120]
	v_fma_f64 v[100:101], -v[94:95], v[96:97], 1.0
	v_fma_f64 v[96:97], v[96:97], v[100:101], v[96:97]
	v_mul_f64 v[100:101], v[98:99], v[96:97]
	v_fma_f64 v[94:95], -v[94:95], v[100:101], v[98:99]
	v_div_fmas_f64 v[94:95], v[94:95], v[96:97], v[100:101]
	v_div_fixup_f64 v[94:95], v[94:95], v[117:118], v[119:120]
	v_fma_f64 v[96:97], v[119:120], v[94:95], v[117:118]
	v_div_scale_f64 v[98:99], s[20:21], v[96:97], v[96:97], 1.0
	v_div_scale_f64 v[104:105], vcc, 1.0, v[96:97], 1.0
	v_rcp_f64_e32 v[100:101], v[98:99]
	v_fma_f64 v[102:103], -v[98:99], v[100:101], 1.0
	v_fma_f64 v[100:101], v[100:101], v[102:103], v[100:101]
	v_fma_f64 v[102:103], -v[98:99], v[100:101], 1.0
	v_fma_f64 v[100:101], v[100:101], v[102:103], v[100:101]
	v_mul_f64 v[102:103], v[104:105], v[100:101]
	v_fma_f64 v[98:99], -v[98:99], v[102:103], v[104:105]
	v_div_fmas_f64 v[98:99], v[98:99], v[100:101], v[102:103]
	v_div_fixup_f64 v[117:118], v[98:99], v[96:97], 1.0
	v_mul_f64 v[119:120], v[94:95], -v[117:118]
.LBB96_870:
	s_or_b64 exec, exec, s[18:19]
.LBB96_871:
	s_or_b64 exec, exec, s[0:1]
	v_cmp_ne_u32_e32 vcc, v92, v93
	s_and_saveexec_b64 s[0:1], vcc
	s_xor_b64 s[0:1], exec, s[0:1]
	s_cbranch_execz .LBB96_877
; %bb.872:
	v_cmp_eq_u32_e32 vcc, 41, v92
	s_and_saveexec_b64 s[18:19], vcc
	s_cbranch_execz .LBB96_876
; %bb.873:
	v_cmp_ne_u32_e32 vcc, 41, v93
	s_xor_b64 s[20:21], s[6:7], -1
	s_and_b64 s[22:23], s[20:21], vcc
	s_and_saveexec_b64 s[20:21], s[22:23]
	s_cbranch_execz .LBB96_875
; %bb.874:
	buffer_load_dword v85, off, s[24:27], 0 offset:352 ; 4-byte Folded Reload
	buffer_load_dword v86, off, s[24:27], 0 offset:356 ; 4-byte Folded Reload
	v_ashrrev_i32_e32 v94, 31, v93
	v_lshlrev_b64 v[94:95], 2, v[93:94]
	s_waitcnt vmcnt(1)
	v_add_co_u32_e32 v94, vcc, v85, v94
	s_waitcnt vmcnt(0)
	v_addc_co_u32_e32 v95, vcc, v86, v95, vcc
	global_load_dword v0, v[94:95], off
	global_load_dword v92, v[85:86], off offset:164
	s_waitcnt vmcnt(1)
	global_store_dword v[85:86], v0, off offset:164
	buffer_load_dword v85, off, s[24:27], 0 offset:392 ; 4-byte Folded Reload
	s_nop 0
	buffer_load_dword v86, off, s[24:27], 0 offset:396 ; 4-byte Folded Reload
	buffer_load_dword v87, off, s[24:27], 0 offset:400 ; 4-byte Folded Reload
	;; [unrolled: 1-line block ×3, first 2 shown]
	s_waitcnt vmcnt(5)
	global_store_dword v[94:95], v92, off
.LBB96_875:
	s_or_b64 exec, exec, s[20:21]
	v_mov_b32_e32 v92, v93
	v_mov_b32_e32 v0, v93
.LBB96_876:
	s_or_b64 exec, exec, s[18:19]
.LBB96_877:
	s_andn2_saveexec_b64 s[0:1], s[0:1]
	s_cbranch_execz .LBB96_879
; %bb.878:
	v_mov_b32_e32 v92, 41
	ds_write2_b64 v90, v[21:22], v[23:24] offset0:84 offset1:85
	ds_write2_b64 v90, v[17:18], v[19:20] offset0:86 offset1:87
	;; [unrolled: 1-line block ×7, first 2 shown]
.LBB96_879:
	s_or_b64 exec, exec, s[0:1]
	v_cmp_lt_i32_e32 vcc, 41, v92
	s_waitcnt vmcnt(0) lgkmcnt(0)
	s_barrier
	s_and_saveexec_b64 s[0:1], vcc
	s_cbranch_execz .LBB96_881
; %bb.880:
	v_mul_f64 v[93:94], v[117:118], v[27:28]
	v_mul_f64 v[27:28], v[119:120], v[27:28]
	ds_read2_b64 v[95:98], v90 offset0:84 offset1:85
	v_fma_f64 v[93:94], v[119:120], v[25:26], v[93:94]
	v_fma_f64 v[25:26], v[117:118], v[25:26], -v[27:28]
	s_waitcnt lgkmcnt(0)
	v_mul_f64 v[27:28], v[97:98], v[93:94]
	v_fma_f64 v[27:28], v[95:96], v[25:26], -v[27:28]
	v_mul_f64 v[95:96], v[95:96], v[93:94]
	v_add_f64 v[21:22], v[21:22], -v[27:28]
	v_fma_f64 v[95:96], v[97:98], v[25:26], v[95:96]
	v_add_f64 v[23:24], v[23:24], -v[95:96]
	ds_read2_b64 v[95:98], v90 offset0:86 offset1:87
	s_waitcnt lgkmcnt(0)
	v_mul_f64 v[27:28], v[97:98], v[93:94]
	v_fma_f64 v[27:28], v[95:96], v[25:26], -v[27:28]
	v_mul_f64 v[95:96], v[95:96], v[93:94]
	v_add_f64 v[17:18], v[17:18], -v[27:28]
	v_fma_f64 v[95:96], v[97:98], v[25:26], v[95:96]
	v_add_f64 v[19:20], v[19:20], -v[95:96]
	ds_read2_b64 v[95:98], v90 offset0:88 offset1:89
	;; [unrolled: 8-line block ×6, first 2 shown]
	s_waitcnt lgkmcnt(0)
	v_mul_f64 v[27:28], v[97:98], v[93:94]
	v_fma_f64 v[27:28], v[95:96], v[25:26], -v[27:28]
	v_mul_f64 v[95:96], v[95:96], v[93:94]
	v_add_f64 v[121:122], v[121:122], -v[27:28]
	v_fma_f64 v[95:96], v[97:98], v[25:26], v[95:96]
	v_mov_b32_e32 v27, v93
	v_mov_b32_e32 v28, v94
	v_add_f64 v[123:124], v[123:124], -v[95:96]
.LBB96_881:
	s_or_b64 exec, exec, s[0:1]
	v_lshl_add_u32 v93, v92, 4, v90
	s_barrier
	ds_write2_b64 v93, v[21:22], v[23:24] offset1:1
	s_waitcnt lgkmcnt(0)
	s_barrier
	ds_read2_b64 v[117:120], v90 offset0:84 offset1:85
	s_cmp_lt_i32 s3, 44
	v_mov_b32_e32 v93, 42
	s_cbranch_scc1 .LBB96_884
; %bb.882:
	v_add_u32_e32 v94, 0x2b0, v90
	s_mov_b32 s0, 43
	v_mov_b32_e32 v93, 42
.LBB96_883:                             ; =>This Inner Loop Header: Depth=1
	s_waitcnt lgkmcnt(0)
	v_cmp_gt_f64_e32 vcc, 0, v[117:118]
	v_xor_b32_e32 v99, 0x80000000, v118
	ds_read2_b64 v[95:98], v94 offset1:1
	v_xor_b32_e32 v101, 0x80000000, v120
	v_add_u32_e32 v94, 16, v94
	s_waitcnt lgkmcnt(0)
	v_xor_b32_e32 v103, 0x80000000, v98
	v_cndmask_b32_e32 v100, v118, v99, vcc
	v_cmp_gt_f64_e32 vcc, 0, v[119:120]
	v_mov_b32_e32 v99, v117
	v_cndmask_b32_e32 v102, v120, v101, vcc
	v_cmp_gt_f64_e32 vcc, 0, v[95:96]
	v_mov_b32_e32 v101, v119
	v_add_f64 v[99:100], v[99:100], v[101:102]
	v_xor_b32_e32 v101, 0x80000000, v96
	v_cndmask_b32_e32 v102, v96, v101, vcc
	v_cmp_gt_f64_e32 vcc, 0, v[97:98]
	v_mov_b32_e32 v101, v95
	v_cndmask_b32_e32 v104, v98, v103, vcc
	v_mov_b32_e32 v103, v97
	v_add_f64 v[101:102], v[101:102], v[103:104]
	v_cmp_lt_f64_e32 vcc, v[99:100], v[101:102]
	v_cndmask_b32_e32 v117, v117, v95, vcc
	v_mov_b32_e32 v95, s0
	s_add_i32 s0, s0, 1
	v_cndmask_b32_e32 v118, v118, v96, vcc
	v_cndmask_b32_e32 v120, v120, v98, vcc
	;; [unrolled: 1-line block ×4, first 2 shown]
	s_cmp_lg_u32 s3, s0
	s_cbranch_scc1 .LBB96_883
.LBB96_884:
	s_waitcnt lgkmcnt(0)
	v_cmp_eq_f64_e32 vcc, 0, v[117:118]
	v_cmp_eq_f64_e64 s[0:1], 0, v[119:120]
	s_and_b64 s[0:1], vcc, s[0:1]
	s_and_saveexec_b64 s[18:19], s[0:1]
	s_xor_b64 s[0:1], exec, s[18:19]
; %bb.885:
	v_cmp_ne_u32_e32 vcc, 0, v91
	v_cndmask_b32_e32 v91, 43, v91, vcc
; %bb.886:
	s_andn2_saveexec_b64 s[0:1], s[0:1]
	s_cbranch_execz .LBB96_892
; %bb.887:
	v_cmp_ngt_f64_e64 s[18:19], |v[117:118]|, |v[119:120]|
	s_and_saveexec_b64 s[20:21], s[18:19]
	s_xor_b64 s[18:19], exec, s[20:21]
	s_cbranch_execz .LBB96_889
; %bb.888:
	v_div_scale_f64 v[94:95], s[20:21], v[119:120], v[119:120], v[117:118]
	v_rcp_f64_e32 v[96:97], v[94:95]
	v_fma_f64 v[98:99], -v[94:95], v[96:97], 1.0
	v_fma_f64 v[96:97], v[96:97], v[98:99], v[96:97]
	v_div_scale_f64 v[98:99], vcc, v[117:118], v[119:120], v[117:118]
	v_fma_f64 v[100:101], -v[94:95], v[96:97], 1.0
	v_fma_f64 v[96:97], v[96:97], v[100:101], v[96:97]
	v_mul_f64 v[100:101], v[98:99], v[96:97]
	v_fma_f64 v[94:95], -v[94:95], v[100:101], v[98:99]
	v_div_fmas_f64 v[94:95], v[94:95], v[96:97], v[100:101]
	v_div_fixup_f64 v[94:95], v[94:95], v[119:120], v[117:118]
	v_fma_f64 v[96:97], v[117:118], v[94:95], v[119:120]
	v_div_scale_f64 v[98:99], s[20:21], v[96:97], v[96:97], 1.0
	v_div_scale_f64 v[104:105], vcc, 1.0, v[96:97], 1.0
	v_rcp_f64_e32 v[100:101], v[98:99]
	v_fma_f64 v[102:103], -v[98:99], v[100:101], 1.0
	v_fma_f64 v[100:101], v[100:101], v[102:103], v[100:101]
	v_fma_f64 v[102:103], -v[98:99], v[100:101], 1.0
	v_fma_f64 v[100:101], v[100:101], v[102:103], v[100:101]
	v_mul_f64 v[102:103], v[104:105], v[100:101]
	v_fma_f64 v[98:99], -v[98:99], v[102:103], v[104:105]
	v_div_fmas_f64 v[98:99], v[98:99], v[100:101], v[102:103]
	v_div_fixup_f64 v[119:120], v[98:99], v[96:97], 1.0
	v_mul_f64 v[117:118], v[94:95], v[119:120]
	v_xor_b32_e32 v120, 0x80000000, v120
.LBB96_889:
	s_andn2_saveexec_b64 s[18:19], s[18:19]
	s_cbranch_execz .LBB96_891
; %bb.890:
	v_div_scale_f64 v[94:95], s[20:21], v[117:118], v[117:118], v[119:120]
	v_rcp_f64_e32 v[96:97], v[94:95]
	v_fma_f64 v[98:99], -v[94:95], v[96:97], 1.0
	v_fma_f64 v[96:97], v[96:97], v[98:99], v[96:97]
	v_div_scale_f64 v[98:99], vcc, v[119:120], v[117:118], v[119:120]
	v_fma_f64 v[100:101], -v[94:95], v[96:97], 1.0
	v_fma_f64 v[96:97], v[96:97], v[100:101], v[96:97]
	v_mul_f64 v[100:101], v[98:99], v[96:97]
	v_fma_f64 v[94:95], -v[94:95], v[100:101], v[98:99]
	v_div_fmas_f64 v[94:95], v[94:95], v[96:97], v[100:101]
	v_div_fixup_f64 v[94:95], v[94:95], v[117:118], v[119:120]
	v_fma_f64 v[96:97], v[119:120], v[94:95], v[117:118]
	v_div_scale_f64 v[98:99], s[20:21], v[96:97], v[96:97], 1.0
	v_div_scale_f64 v[104:105], vcc, 1.0, v[96:97], 1.0
	v_rcp_f64_e32 v[100:101], v[98:99]
	v_fma_f64 v[102:103], -v[98:99], v[100:101], 1.0
	v_fma_f64 v[100:101], v[100:101], v[102:103], v[100:101]
	v_fma_f64 v[102:103], -v[98:99], v[100:101], 1.0
	v_fma_f64 v[100:101], v[100:101], v[102:103], v[100:101]
	v_mul_f64 v[102:103], v[104:105], v[100:101]
	v_fma_f64 v[98:99], -v[98:99], v[102:103], v[104:105]
	v_div_fmas_f64 v[98:99], v[98:99], v[100:101], v[102:103]
	v_div_fixup_f64 v[117:118], v[98:99], v[96:97], 1.0
	v_mul_f64 v[119:120], v[94:95], -v[117:118]
.LBB96_891:
	s_or_b64 exec, exec, s[18:19]
.LBB96_892:
	s_or_b64 exec, exec, s[0:1]
	v_cmp_ne_u32_e32 vcc, v92, v93
	s_and_saveexec_b64 s[0:1], vcc
	s_xor_b64 s[0:1], exec, s[0:1]
	s_cbranch_execz .LBB96_898
; %bb.893:
	v_cmp_eq_u32_e32 vcc, 42, v92
	s_and_saveexec_b64 s[18:19], vcc
	s_cbranch_execz .LBB96_897
; %bb.894:
	v_cmp_ne_u32_e32 vcc, 42, v93
	s_xor_b64 s[20:21], s[6:7], -1
	s_and_b64 s[22:23], s[20:21], vcc
	s_and_saveexec_b64 s[20:21], s[22:23]
	s_cbranch_execz .LBB96_896
; %bb.895:
	buffer_load_dword v85, off, s[24:27], 0 offset:352 ; 4-byte Folded Reload
	buffer_load_dword v86, off, s[24:27], 0 offset:356 ; 4-byte Folded Reload
	v_ashrrev_i32_e32 v94, 31, v93
	v_lshlrev_b64 v[94:95], 2, v[93:94]
	s_waitcnt vmcnt(1)
	v_add_co_u32_e32 v94, vcc, v85, v94
	s_waitcnt vmcnt(0)
	v_addc_co_u32_e32 v95, vcc, v86, v95, vcc
	global_load_dword v0, v[94:95], off
	global_load_dword v92, v[85:86], off offset:168
	s_waitcnt vmcnt(1)
	global_store_dword v[85:86], v0, off offset:168
	buffer_load_dword v85, off, s[24:27], 0 offset:392 ; 4-byte Folded Reload
	s_nop 0
	buffer_load_dword v86, off, s[24:27], 0 offset:396 ; 4-byte Folded Reload
	buffer_load_dword v87, off, s[24:27], 0 offset:400 ; 4-byte Folded Reload
	buffer_load_dword v88, off, s[24:27], 0 offset:404 ; 4-byte Folded Reload
	s_waitcnt vmcnt(5)
	global_store_dword v[94:95], v92, off
.LBB96_896:
	s_or_b64 exec, exec, s[20:21]
	v_mov_b32_e32 v92, v93
	v_mov_b32_e32 v0, v93
.LBB96_897:
	s_or_b64 exec, exec, s[18:19]
.LBB96_898:
	s_andn2_saveexec_b64 s[0:1], s[0:1]
	s_cbranch_execz .LBB96_900
; %bb.899:
	v_mov_b32_e32 v92, 42
	ds_write2_b64 v90, v[17:18], v[19:20] offset0:86 offset1:87
	ds_write2_b64 v90, v[13:14], v[15:16] offset0:88 offset1:89
	;; [unrolled: 1-line block ×6, first 2 shown]
.LBB96_900:
	s_or_b64 exec, exec, s[0:1]
	v_cmp_lt_i32_e32 vcc, 42, v92
	s_waitcnt vmcnt(0) lgkmcnt(0)
	s_barrier
	s_and_saveexec_b64 s[0:1], vcc
	s_cbranch_execz .LBB96_902
; %bb.901:
	v_mul_f64 v[93:94], v[117:118], v[23:24]
	v_mul_f64 v[23:24], v[119:120], v[23:24]
	ds_read2_b64 v[95:98], v90 offset0:86 offset1:87
	v_fma_f64 v[93:94], v[119:120], v[21:22], v[93:94]
	v_fma_f64 v[21:22], v[117:118], v[21:22], -v[23:24]
	s_waitcnt lgkmcnt(0)
	v_mul_f64 v[23:24], v[97:98], v[93:94]
	v_fma_f64 v[23:24], v[95:96], v[21:22], -v[23:24]
	v_mul_f64 v[95:96], v[95:96], v[93:94]
	v_add_f64 v[17:18], v[17:18], -v[23:24]
	v_fma_f64 v[95:96], v[97:98], v[21:22], v[95:96]
	v_add_f64 v[19:20], v[19:20], -v[95:96]
	ds_read2_b64 v[95:98], v90 offset0:88 offset1:89
	s_waitcnt lgkmcnt(0)
	v_mul_f64 v[23:24], v[97:98], v[93:94]
	v_fma_f64 v[23:24], v[95:96], v[21:22], -v[23:24]
	v_mul_f64 v[95:96], v[95:96], v[93:94]
	v_add_f64 v[13:14], v[13:14], -v[23:24]
	v_fma_f64 v[95:96], v[97:98], v[21:22], v[95:96]
	v_add_f64 v[15:16], v[15:16], -v[95:96]
	ds_read2_b64 v[95:98], v90 offset0:90 offset1:91
	;; [unrolled: 8-line block ×5, first 2 shown]
	s_waitcnt lgkmcnt(0)
	v_mul_f64 v[23:24], v[97:98], v[93:94]
	v_fma_f64 v[23:24], v[95:96], v[21:22], -v[23:24]
	v_mul_f64 v[95:96], v[95:96], v[93:94]
	v_add_f64 v[121:122], v[121:122], -v[23:24]
	v_fma_f64 v[95:96], v[97:98], v[21:22], v[95:96]
	v_mov_b32_e32 v23, v93
	v_mov_b32_e32 v24, v94
	v_add_f64 v[123:124], v[123:124], -v[95:96]
.LBB96_902:
	s_or_b64 exec, exec, s[0:1]
	v_lshl_add_u32 v93, v92, 4, v90
	s_barrier
	ds_write2_b64 v93, v[17:18], v[19:20] offset1:1
	s_waitcnt lgkmcnt(0)
	s_barrier
	ds_read2_b64 v[117:120], v90 offset0:86 offset1:87
	s_cmp_lt_i32 s3, 45
	v_mov_b32_e32 v93, 43
	s_cbranch_scc1 .LBB96_905
; %bb.903:
	v_add_u32_e32 v94, 0x2c0, v90
	s_mov_b32 s0, 44
	v_mov_b32_e32 v93, 43
.LBB96_904:                             ; =>This Inner Loop Header: Depth=1
	s_waitcnt lgkmcnt(0)
	v_cmp_gt_f64_e32 vcc, 0, v[117:118]
	v_xor_b32_e32 v99, 0x80000000, v118
	ds_read2_b64 v[95:98], v94 offset1:1
	v_xor_b32_e32 v101, 0x80000000, v120
	v_add_u32_e32 v94, 16, v94
	s_waitcnt lgkmcnt(0)
	v_xor_b32_e32 v103, 0x80000000, v98
	v_cndmask_b32_e32 v100, v118, v99, vcc
	v_cmp_gt_f64_e32 vcc, 0, v[119:120]
	v_mov_b32_e32 v99, v117
	v_cndmask_b32_e32 v102, v120, v101, vcc
	v_cmp_gt_f64_e32 vcc, 0, v[95:96]
	v_mov_b32_e32 v101, v119
	v_add_f64 v[99:100], v[99:100], v[101:102]
	v_xor_b32_e32 v101, 0x80000000, v96
	v_cndmask_b32_e32 v102, v96, v101, vcc
	v_cmp_gt_f64_e32 vcc, 0, v[97:98]
	v_mov_b32_e32 v101, v95
	v_cndmask_b32_e32 v104, v98, v103, vcc
	v_mov_b32_e32 v103, v97
	v_add_f64 v[101:102], v[101:102], v[103:104]
	v_cmp_lt_f64_e32 vcc, v[99:100], v[101:102]
	v_cndmask_b32_e32 v117, v117, v95, vcc
	v_mov_b32_e32 v95, s0
	s_add_i32 s0, s0, 1
	v_cndmask_b32_e32 v118, v118, v96, vcc
	v_cndmask_b32_e32 v120, v120, v98, vcc
	;; [unrolled: 1-line block ×4, first 2 shown]
	s_cmp_lg_u32 s3, s0
	s_cbranch_scc1 .LBB96_904
.LBB96_905:
	s_waitcnt lgkmcnt(0)
	v_cmp_eq_f64_e32 vcc, 0, v[117:118]
	v_cmp_eq_f64_e64 s[0:1], 0, v[119:120]
	s_and_b64 s[0:1], vcc, s[0:1]
	s_and_saveexec_b64 s[18:19], s[0:1]
	s_xor_b64 s[0:1], exec, s[18:19]
; %bb.906:
	v_cmp_ne_u32_e32 vcc, 0, v91
	v_cndmask_b32_e32 v91, 44, v91, vcc
; %bb.907:
	s_andn2_saveexec_b64 s[0:1], s[0:1]
	s_cbranch_execz .LBB96_913
; %bb.908:
	v_cmp_ngt_f64_e64 s[18:19], |v[117:118]|, |v[119:120]|
	s_and_saveexec_b64 s[20:21], s[18:19]
	s_xor_b64 s[18:19], exec, s[20:21]
	s_cbranch_execz .LBB96_910
; %bb.909:
	v_div_scale_f64 v[94:95], s[20:21], v[119:120], v[119:120], v[117:118]
	v_rcp_f64_e32 v[96:97], v[94:95]
	v_fma_f64 v[98:99], -v[94:95], v[96:97], 1.0
	v_fma_f64 v[96:97], v[96:97], v[98:99], v[96:97]
	v_div_scale_f64 v[98:99], vcc, v[117:118], v[119:120], v[117:118]
	v_fma_f64 v[100:101], -v[94:95], v[96:97], 1.0
	v_fma_f64 v[96:97], v[96:97], v[100:101], v[96:97]
	v_mul_f64 v[100:101], v[98:99], v[96:97]
	v_fma_f64 v[94:95], -v[94:95], v[100:101], v[98:99]
	v_div_fmas_f64 v[94:95], v[94:95], v[96:97], v[100:101]
	v_div_fixup_f64 v[94:95], v[94:95], v[119:120], v[117:118]
	v_fma_f64 v[96:97], v[117:118], v[94:95], v[119:120]
	v_div_scale_f64 v[98:99], s[20:21], v[96:97], v[96:97], 1.0
	v_div_scale_f64 v[104:105], vcc, 1.0, v[96:97], 1.0
	v_rcp_f64_e32 v[100:101], v[98:99]
	v_fma_f64 v[102:103], -v[98:99], v[100:101], 1.0
	v_fma_f64 v[100:101], v[100:101], v[102:103], v[100:101]
	v_fma_f64 v[102:103], -v[98:99], v[100:101], 1.0
	v_fma_f64 v[100:101], v[100:101], v[102:103], v[100:101]
	v_mul_f64 v[102:103], v[104:105], v[100:101]
	v_fma_f64 v[98:99], -v[98:99], v[102:103], v[104:105]
	v_div_fmas_f64 v[98:99], v[98:99], v[100:101], v[102:103]
	v_div_fixup_f64 v[119:120], v[98:99], v[96:97], 1.0
	v_mul_f64 v[117:118], v[94:95], v[119:120]
	v_xor_b32_e32 v120, 0x80000000, v120
.LBB96_910:
	s_andn2_saveexec_b64 s[18:19], s[18:19]
	s_cbranch_execz .LBB96_912
; %bb.911:
	v_div_scale_f64 v[94:95], s[20:21], v[117:118], v[117:118], v[119:120]
	v_rcp_f64_e32 v[96:97], v[94:95]
	v_fma_f64 v[98:99], -v[94:95], v[96:97], 1.0
	v_fma_f64 v[96:97], v[96:97], v[98:99], v[96:97]
	v_div_scale_f64 v[98:99], vcc, v[119:120], v[117:118], v[119:120]
	v_fma_f64 v[100:101], -v[94:95], v[96:97], 1.0
	v_fma_f64 v[96:97], v[96:97], v[100:101], v[96:97]
	v_mul_f64 v[100:101], v[98:99], v[96:97]
	v_fma_f64 v[94:95], -v[94:95], v[100:101], v[98:99]
	v_div_fmas_f64 v[94:95], v[94:95], v[96:97], v[100:101]
	v_div_fixup_f64 v[94:95], v[94:95], v[117:118], v[119:120]
	v_fma_f64 v[96:97], v[119:120], v[94:95], v[117:118]
	v_div_scale_f64 v[98:99], s[20:21], v[96:97], v[96:97], 1.0
	v_div_scale_f64 v[104:105], vcc, 1.0, v[96:97], 1.0
	v_rcp_f64_e32 v[100:101], v[98:99]
	v_fma_f64 v[102:103], -v[98:99], v[100:101], 1.0
	v_fma_f64 v[100:101], v[100:101], v[102:103], v[100:101]
	v_fma_f64 v[102:103], -v[98:99], v[100:101], 1.0
	v_fma_f64 v[100:101], v[100:101], v[102:103], v[100:101]
	v_mul_f64 v[102:103], v[104:105], v[100:101]
	v_fma_f64 v[98:99], -v[98:99], v[102:103], v[104:105]
	v_div_fmas_f64 v[98:99], v[98:99], v[100:101], v[102:103]
	v_div_fixup_f64 v[117:118], v[98:99], v[96:97], 1.0
	v_mul_f64 v[119:120], v[94:95], -v[117:118]
.LBB96_912:
	s_or_b64 exec, exec, s[18:19]
.LBB96_913:
	s_or_b64 exec, exec, s[0:1]
	v_cmp_ne_u32_e32 vcc, v92, v93
	s_and_saveexec_b64 s[0:1], vcc
	s_xor_b64 s[0:1], exec, s[0:1]
	s_cbranch_execz .LBB96_919
; %bb.914:
	v_cmp_eq_u32_e32 vcc, 43, v92
	s_and_saveexec_b64 s[18:19], vcc
	s_cbranch_execz .LBB96_918
; %bb.915:
	v_cmp_ne_u32_e32 vcc, 43, v93
	s_xor_b64 s[20:21], s[6:7], -1
	s_and_b64 s[22:23], s[20:21], vcc
	s_and_saveexec_b64 s[20:21], s[22:23]
	s_cbranch_execz .LBB96_917
; %bb.916:
	buffer_load_dword v85, off, s[24:27], 0 offset:352 ; 4-byte Folded Reload
	buffer_load_dword v86, off, s[24:27], 0 offset:356 ; 4-byte Folded Reload
	v_ashrrev_i32_e32 v94, 31, v93
	v_lshlrev_b64 v[94:95], 2, v[93:94]
	s_waitcnt vmcnt(1)
	v_add_co_u32_e32 v94, vcc, v85, v94
	s_waitcnt vmcnt(0)
	v_addc_co_u32_e32 v95, vcc, v86, v95, vcc
	global_load_dword v0, v[94:95], off
	global_load_dword v92, v[85:86], off offset:172
	s_waitcnt vmcnt(1)
	global_store_dword v[85:86], v0, off offset:172
	buffer_load_dword v85, off, s[24:27], 0 offset:392 ; 4-byte Folded Reload
	s_nop 0
	buffer_load_dword v86, off, s[24:27], 0 offset:396 ; 4-byte Folded Reload
	buffer_load_dword v87, off, s[24:27], 0 offset:400 ; 4-byte Folded Reload
	buffer_load_dword v88, off, s[24:27], 0 offset:404 ; 4-byte Folded Reload
	s_waitcnt vmcnt(5)
	global_store_dword v[94:95], v92, off
.LBB96_917:
	s_or_b64 exec, exec, s[20:21]
	v_mov_b32_e32 v92, v93
	v_mov_b32_e32 v0, v93
.LBB96_918:
	s_or_b64 exec, exec, s[18:19]
.LBB96_919:
	s_andn2_saveexec_b64 s[0:1], s[0:1]
	s_cbranch_execz .LBB96_921
; %bb.920:
	v_mov_b32_e32 v92, 43
	ds_write2_b64 v90, v[13:14], v[15:16] offset0:88 offset1:89
	ds_write2_b64 v90, v[9:10], v[11:12] offset0:90 offset1:91
	ds_write2_b64 v90, v[5:6], v[7:8] offset0:92 offset1:93
	ds_write2_b64 v90, v[1:2], v[3:4] offset0:94 offset1:95
	ds_write2_b64 v90, v[121:122], v[123:124] offset0:96 offset1:97
.LBB96_921:
	s_or_b64 exec, exec, s[0:1]
	v_cmp_lt_i32_e32 vcc, 43, v92
	s_waitcnt vmcnt(0) lgkmcnt(0)
	s_barrier
	s_and_saveexec_b64 s[0:1], vcc
	s_cbranch_execz .LBB96_923
; %bb.922:
	v_mul_f64 v[93:94], v[117:118], v[19:20]
	v_mul_f64 v[19:20], v[119:120], v[19:20]
	v_fma_f64 v[97:98], v[119:120], v[17:18], v[93:94]
	ds_read2_b64 v[93:96], v90 offset0:88 offset1:89
	v_fma_f64 v[17:18], v[117:118], v[17:18], -v[19:20]
	s_waitcnt lgkmcnt(0)
	v_mul_f64 v[19:20], v[95:96], v[97:98]
	v_fma_f64 v[19:20], v[93:94], v[17:18], -v[19:20]
	v_mul_f64 v[93:94], v[93:94], v[97:98]
	v_add_f64 v[13:14], v[13:14], -v[19:20]
	v_fma_f64 v[93:94], v[95:96], v[17:18], v[93:94]
	v_add_f64 v[15:16], v[15:16], -v[93:94]
	ds_read2_b64 v[93:96], v90 offset0:90 offset1:91
	s_waitcnt lgkmcnt(0)
	v_mul_f64 v[19:20], v[95:96], v[97:98]
	v_fma_f64 v[19:20], v[93:94], v[17:18], -v[19:20]
	v_mul_f64 v[93:94], v[93:94], v[97:98]
	v_add_f64 v[9:10], v[9:10], -v[19:20]
	v_fma_f64 v[93:94], v[95:96], v[17:18], v[93:94]
	v_add_f64 v[11:12], v[11:12], -v[93:94]
	ds_read2_b64 v[93:96], v90 offset0:92 offset1:93
	;; [unrolled: 8-line block ×4, first 2 shown]
	s_waitcnt lgkmcnt(0)
	v_mul_f64 v[19:20], v[95:96], v[97:98]
	v_fma_f64 v[19:20], v[93:94], v[17:18], -v[19:20]
	v_mul_f64 v[93:94], v[93:94], v[97:98]
	v_add_f64 v[121:122], v[121:122], -v[19:20]
	v_fma_f64 v[93:94], v[95:96], v[17:18], v[93:94]
	v_mov_b32_e32 v19, v97
	v_mov_b32_e32 v20, v98
	v_add_f64 v[123:124], v[123:124], -v[93:94]
.LBB96_923:
	s_or_b64 exec, exec, s[0:1]
	v_lshl_add_u32 v93, v92, 4, v90
	s_barrier
	ds_write2_b64 v93, v[13:14], v[15:16] offset1:1
	s_waitcnt lgkmcnt(0)
	s_barrier
	ds_read2_b64 v[117:120], v90 offset0:88 offset1:89
	s_cmp_lt_i32 s3, 46
	v_mov_b32_e32 v93, 44
	s_cbranch_scc1 .LBB96_926
; %bb.924:
	v_add_u32_e32 v94, 0x2d0, v90
	s_mov_b32 s0, 45
	v_mov_b32_e32 v93, 44
.LBB96_925:                             ; =>This Inner Loop Header: Depth=1
	s_waitcnt lgkmcnt(0)
	v_cmp_gt_f64_e32 vcc, 0, v[117:118]
	v_xor_b32_e32 v99, 0x80000000, v118
	ds_read2_b64 v[95:98], v94 offset1:1
	v_xor_b32_e32 v101, 0x80000000, v120
	v_add_u32_e32 v94, 16, v94
	s_waitcnt lgkmcnt(0)
	v_xor_b32_e32 v103, 0x80000000, v98
	v_cndmask_b32_e32 v100, v118, v99, vcc
	v_cmp_gt_f64_e32 vcc, 0, v[119:120]
	v_mov_b32_e32 v99, v117
	v_cndmask_b32_e32 v102, v120, v101, vcc
	v_cmp_gt_f64_e32 vcc, 0, v[95:96]
	v_mov_b32_e32 v101, v119
	v_add_f64 v[99:100], v[99:100], v[101:102]
	v_xor_b32_e32 v101, 0x80000000, v96
	v_cndmask_b32_e32 v102, v96, v101, vcc
	v_cmp_gt_f64_e32 vcc, 0, v[97:98]
	v_mov_b32_e32 v101, v95
	v_cndmask_b32_e32 v104, v98, v103, vcc
	v_mov_b32_e32 v103, v97
	v_add_f64 v[101:102], v[101:102], v[103:104]
	v_cmp_lt_f64_e32 vcc, v[99:100], v[101:102]
	v_cndmask_b32_e32 v117, v117, v95, vcc
	v_mov_b32_e32 v95, s0
	s_add_i32 s0, s0, 1
	v_cndmask_b32_e32 v118, v118, v96, vcc
	v_cndmask_b32_e32 v120, v120, v98, vcc
	v_cndmask_b32_e32 v119, v119, v97, vcc
	v_cndmask_b32_e32 v93, v93, v95, vcc
	s_cmp_lg_u32 s3, s0
	s_cbranch_scc1 .LBB96_925
.LBB96_926:
	s_waitcnt lgkmcnt(0)
	v_cmp_eq_f64_e32 vcc, 0, v[117:118]
	v_cmp_eq_f64_e64 s[0:1], 0, v[119:120]
	s_and_b64 s[0:1], vcc, s[0:1]
	s_and_saveexec_b64 s[18:19], s[0:1]
	s_xor_b64 s[0:1], exec, s[18:19]
; %bb.927:
	v_cmp_ne_u32_e32 vcc, 0, v91
	v_cndmask_b32_e32 v91, 45, v91, vcc
; %bb.928:
	s_andn2_saveexec_b64 s[0:1], s[0:1]
	s_cbranch_execz .LBB96_934
; %bb.929:
	v_cmp_ngt_f64_e64 s[18:19], |v[117:118]|, |v[119:120]|
	s_and_saveexec_b64 s[20:21], s[18:19]
	s_xor_b64 s[18:19], exec, s[20:21]
	s_cbranch_execz .LBB96_931
; %bb.930:
	v_div_scale_f64 v[94:95], s[20:21], v[119:120], v[119:120], v[117:118]
	v_rcp_f64_e32 v[96:97], v[94:95]
	v_fma_f64 v[98:99], -v[94:95], v[96:97], 1.0
	v_fma_f64 v[96:97], v[96:97], v[98:99], v[96:97]
	v_div_scale_f64 v[98:99], vcc, v[117:118], v[119:120], v[117:118]
	v_fma_f64 v[100:101], -v[94:95], v[96:97], 1.0
	v_fma_f64 v[96:97], v[96:97], v[100:101], v[96:97]
	v_mul_f64 v[100:101], v[98:99], v[96:97]
	v_fma_f64 v[94:95], -v[94:95], v[100:101], v[98:99]
	v_div_fmas_f64 v[94:95], v[94:95], v[96:97], v[100:101]
	v_div_fixup_f64 v[94:95], v[94:95], v[119:120], v[117:118]
	v_fma_f64 v[96:97], v[117:118], v[94:95], v[119:120]
	v_div_scale_f64 v[98:99], s[20:21], v[96:97], v[96:97], 1.0
	v_div_scale_f64 v[104:105], vcc, 1.0, v[96:97], 1.0
	v_rcp_f64_e32 v[100:101], v[98:99]
	v_fma_f64 v[102:103], -v[98:99], v[100:101], 1.0
	v_fma_f64 v[100:101], v[100:101], v[102:103], v[100:101]
	v_fma_f64 v[102:103], -v[98:99], v[100:101], 1.0
	v_fma_f64 v[100:101], v[100:101], v[102:103], v[100:101]
	v_mul_f64 v[102:103], v[104:105], v[100:101]
	v_fma_f64 v[98:99], -v[98:99], v[102:103], v[104:105]
	v_div_fmas_f64 v[98:99], v[98:99], v[100:101], v[102:103]
	v_div_fixup_f64 v[119:120], v[98:99], v[96:97], 1.0
	v_mul_f64 v[117:118], v[94:95], v[119:120]
	v_xor_b32_e32 v120, 0x80000000, v120
.LBB96_931:
	s_andn2_saveexec_b64 s[18:19], s[18:19]
	s_cbranch_execz .LBB96_933
; %bb.932:
	v_div_scale_f64 v[94:95], s[20:21], v[117:118], v[117:118], v[119:120]
	v_rcp_f64_e32 v[96:97], v[94:95]
	v_fma_f64 v[98:99], -v[94:95], v[96:97], 1.0
	v_fma_f64 v[96:97], v[96:97], v[98:99], v[96:97]
	v_div_scale_f64 v[98:99], vcc, v[119:120], v[117:118], v[119:120]
	v_fma_f64 v[100:101], -v[94:95], v[96:97], 1.0
	v_fma_f64 v[96:97], v[96:97], v[100:101], v[96:97]
	v_mul_f64 v[100:101], v[98:99], v[96:97]
	v_fma_f64 v[94:95], -v[94:95], v[100:101], v[98:99]
	v_div_fmas_f64 v[94:95], v[94:95], v[96:97], v[100:101]
	v_div_fixup_f64 v[94:95], v[94:95], v[117:118], v[119:120]
	v_fma_f64 v[96:97], v[119:120], v[94:95], v[117:118]
	v_div_scale_f64 v[98:99], s[20:21], v[96:97], v[96:97], 1.0
	v_div_scale_f64 v[104:105], vcc, 1.0, v[96:97], 1.0
	v_rcp_f64_e32 v[100:101], v[98:99]
	v_fma_f64 v[102:103], -v[98:99], v[100:101], 1.0
	v_fma_f64 v[100:101], v[100:101], v[102:103], v[100:101]
	v_fma_f64 v[102:103], -v[98:99], v[100:101], 1.0
	v_fma_f64 v[100:101], v[100:101], v[102:103], v[100:101]
	v_mul_f64 v[102:103], v[104:105], v[100:101]
	v_fma_f64 v[98:99], -v[98:99], v[102:103], v[104:105]
	v_div_fmas_f64 v[98:99], v[98:99], v[100:101], v[102:103]
	v_div_fixup_f64 v[117:118], v[98:99], v[96:97], 1.0
	v_mul_f64 v[119:120], v[94:95], -v[117:118]
.LBB96_933:
	s_or_b64 exec, exec, s[18:19]
.LBB96_934:
	s_or_b64 exec, exec, s[0:1]
	v_cmp_ne_u32_e32 vcc, v92, v93
	s_and_saveexec_b64 s[0:1], vcc
	s_xor_b64 s[0:1], exec, s[0:1]
	s_cbranch_execz .LBB96_940
; %bb.935:
	v_cmp_eq_u32_e32 vcc, 44, v92
	s_and_saveexec_b64 s[18:19], vcc
	s_cbranch_execz .LBB96_939
; %bb.936:
	v_cmp_ne_u32_e32 vcc, 44, v93
	s_xor_b64 s[20:21], s[6:7], -1
	s_and_b64 s[22:23], s[20:21], vcc
	s_and_saveexec_b64 s[20:21], s[22:23]
	s_cbranch_execz .LBB96_938
; %bb.937:
	buffer_load_dword v85, off, s[24:27], 0 offset:352 ; 4-byte Folded Reload
	buffer_load_dword v86, off, s[24:27], 0 offset:356 ; 4-byte Folded Reload
	v_ashrrev_i32_e32 v94, 31, v93
	v_lshlrev_b64 v[94:95], 2, v[93:94]
	s_waitcnt vmcnt(1)
	v_add_co_u32_e32 v94, vcc, v85, v94
	s_waitcnt vmcnt(0)
	v_addc_co_u32_e32 v95, vcc, v86, v95, vcc
	global_load_dword v0, v[94:95], off
	global_load_dword v92, v[85:86], off offset:176
	s_waitcnt vmcnt(1)
	global_store_dword v[85:86], v0, off offset:176
	buffer_load_dword v85, off, s[24:27], 0 offset:392 ; 4-byte Folded Reload
	s_nop 0
	buffer_load_dword v86, off, s[24:27], 0 offset:396 ; 4-byte Folded Reload
	buffer_load_dword v87, off, s[24:27], 0 offset:400 ; 4-byte Folded Reload
	;; [unrolled: 1-line block ×3, first 2 shown]
	s_waitcnt vmcnt(5)
	global_store_dword v[94:95], v92, off
.LBB96_938:
	s_or_b64 exec, exec, s[20:21]
	v_mov_b32_e32 v92, v93
	v_mov_b32_e32 v0, v93
.LBB96_939:
	s_or_b64 exec, exec, s[18:19]
.LBB96_940:
	s_andn2_saveexec_b64 s[0:1], s[0:1]
	s_cbranch_execz .LBB96_942
; %bb.941:
	v_mov_b32_e32 v92, 44
	ds_write2_b64 v90, v[9:10], v[11:12] offset0:90 offset1:91
	ds_write2_b64 v90, v[5:6], v[7:8] offset0:92 offset1:93
	;; [unrolled: 1-line block ×4, first 2 shown]
.LBB96_942:
	s_or_b64 exec, exec, s[0:1]
	v_cmp_lt_i32_e32 vcc, 44, v92
	s_waitcnt vmcnt(0) lgkmcnt(0)
	s_barrier
	s_and_saveexec_b64 s[0:1], vcc
	s_cbranch_execz .LBB96_944
; %bb.943:
	v_mul_f64 v[93:94], v[117:118], v[15:16]
	v_mul_f64 v[15:16], v[119:120], v[15:16]
	v_fma_f64 v[97:98], v[119:120], v[13:14], v[93:94]
	ds_read2_b64 v[93:96], v90 offset0:90 offset1:91
	v_fma_f64 v[13:14], v[117:118], v[13:14], -v[15:16]
	s_waitcnt lgkmcnt(0)
	v_mul_f64 v[15:16], v[95:96], v[97:98]
	v_fma_f64 v[15:16], v[93:94], v[13:14], -v[15:16]
	v_mul_f64 v[93:94], v[93:94], v[97:98]
	v_add_f64 v[9:10], v[9:10], -v[15:16]
	v_fma_f64 v[93:94], v[95:96], v[13:14], v[93:94]
	v_add_f64 v[11:12], v[11:12], -v[93:94]
	ds_read2_b64 v[93:96], v90 offset0:92 offset1:93
	s_waitcnt lgkmcnt(0)
	v_mul_f64 v[15:16], v[95:96], v[97:98]
	v_fma_f64 v[15:16], v[93:94], v[13:14], -v[15:16]
	v_mul_f64 v[93:94], v[93:94], v[97:98]
	v_add_f64 v[5:6], v[5:6], -v[15:16]
	v_fma_f64 v[93:94], v[95:96], v[13:14], v[93:94]
	v_add_f64 v[7:8], v[7:8], -v[93:94]
	ds_read2_b64 v[93:96], v90 offset0:94 offset1:95
	s_waitcnt lgkmcnt(0)
	v_mul_f64 v[15:16], v[95:96], v[97:98]
	v_fma_f64 v[15:16], v[93:94], v[13:14], -v[15:16]
	v_mul_f64 v[93:94], v[93:94], v[97:98]
	v_add_f64 v[1:2], v[1:2], -v[15:16]
	v_fma_f64 v[93:94], v[95:96], v[13:14], v[93:94]
	v_add_f64 v[3:4], v[3:4], -v[93:94]
	ds_read2_b64 v[93:96], v90 offset0:96 offset1:97
	s_waitcnt lgkmcnt(0)
	v_mul_f64 v[15:16], v[95:96], v[97:98]
	v_fma_f64 v[15:16], v[93:94], v[13:14], -v[15:16]
	v_mul_f64 v[93:94], v[93:94], v[97:98]
	v_add_f64 v[121:122], v[121:122], -v[15:16]
	v_fma_f64 v[93:94], v[95:96], v[13:14], v[93:94]
	v_mov_b32_e32 v15, v97
	v_mov_b32_e32 v16, v98
	v_add_f64 v[123:124], v[123:124], -v[93:94]
.LBB96_944:
	s_or_b64 exec, exec, s[0:1]
	v_lshl_add_u32 v93, v92, 4, v90
	s_barrier
	ds_write2_b64 v93, v[9:10], v[11:12] offset1:1
	s_waitcnt lgkmcnt(0)
	s_barrier
	ds_read2_b64 v[117:120], v90 offset0:90 offset1:91
	s_cmp_lt_i32 s3, 47
	v_mov_b32_e32 v93, 45
	s_cbranch_scc1 .LBB96_947
; %bb.945:
	v_add_u32_e32 v94, 0x2e0, v90
	s_mov_b32 s0, 46
	v_mov_b32_e32 v93, 45
.LBB96_946:                             ; =>This Inner Loop Header: Depth=1
	s_waitcnt lgkmcnt(0)
	v_cmp_gt_f64_e32 vcc, 0, v[117:118]
	v_xor_b32_e32 v99, 0x80000000, v118
	ds_read2_b64 v[95:98], v94 offset1:1
	v_xor_b32_e32 v101, 0x80000000, v120
	v_add_u32_e32 v94, 16, v94
	s_waitcnt lgkmcnt(0)
	v_xor_b32_e32 v103, 0x80000000, v98
	v_cndmask_b32_e32 v100, v118, v99, vcc
	v_cmp_gt_f64_e32 vcc, 0, v[119:120]
	v_mov_b32_e32 v99, v117
	v_cndmask_b32_e32 v102, v120, v101, vcc
	v_cmp_gt_f64_e32 vcc, 0, v[95:96]
	v_mov_b32_e32 v101, v119
	v_add_f64 v[99:100], v[99:100], v[101:102]
	v_xor_b32_e32 v101, 0x80000000, v96
	v_cndmask_b32_e32 v102, v96, v101, vcc
	v_cmp_gt_f64_e32 vcc, 0, v[97:98]
	v_mov_b32_e32 v101, v95
	v_cndmask_b32_e32 v104, v98, v103, vcc
	v_mov_b32_e32 v103, v97
	v_add_f64 v[101:102], v[101:102], v[103:104]
	v_cmp_lt_f64_e32 vcc, v[99:100], v[101:102]
	v_cndmask_b32_e32 v117, v117, v95, vcc
	v_mov_b32_e32 v95, s0
	s_add_i32 s0, s0, 1
	v_cndmask_b32_e32 v118, v118, v96, vcc
	v_cndmask_b32_e32 v120, v120, v98, vcc
	v_cndmask_b32_e32 v119, v119, v97, vcc
	v_cndmask_b32_e32 v93, v93, v95, vcc
	s_cmp_lg_u32 s3, s0
	s_cbranch_scc1 .LBB96_946
.LBB96_947:
	s_waitcnt lgkmcnt(0)
	v_cmp_eq_f64_e32 vcc, 0, v[117:118]
	v_cmp_eq_f64_e64 s[0:1], 0, v[119:120]
	s_and_b64 s[0:1], vcc, s[0:1]
	s_and_saveexec_b64 s[18:19], s[0:1]
	s_xor_b64 s[0:1], exec, s[18:19]
; %bb.948:
	v_cmp_ne_u32_e32 vcc, 0, v91
	v_cndmask_b32_e32 v91, 46, v91, vcc
; %bb.949:
	s_andn2_saveexec_b64 s[0:1], s[0:1]
	s_cbranch_execz .LBB96_955
; %bb.950:
	v_cmp_ngt_f64_e64 s[18:19], |v[117:118]|, |v[119:120]|
	s_and_saveexec_b64 s[20:21], s[18:19]
	s_xor_b64 s[18:19], exec, s[20:21]
	s_cbranch_execz .LBB96_952
; %bb.951:
	v_div_scale_f64 v[94:95], s[20:21], v[119:120], v[119:120], v[117:118]
	v_rcp_f64_e32 v[96:97], v[94:95]
	v_fma_f64 v[98:99], -v[94:95], v[96:97], 1.0
	v_fma_f64 v[96:97], v[96:97], v[98:99], v[96:97]
	v_div_scale_f64 v[98:99], vcc, v[117:118], v[119:120], v[117:118]
	v_fma_f64 v[100:101], -v[94:95], v[96:97], 1.0
	v_fma_f64 v[96:97], v[96:97], v[100:101], v[96:97]
	v_mul_f64 v[100:101], v[98:99], v[96:97]
	v_fma_f64 v[94:95], -v[94:95], v[100:101], v[98:99]
	v_div_fmas_f64 v[94:95], v[94:95], v[96:97], v[100:101]
	v_div_fixup_f64 v[94:95], v[94:95], v[119:120], v[117:118]
	v_fma_f64 v[96:97], v[117:118], v[94:95], v[119:120]
	v_div_scale_f64 v[98:99], s[20:21], v[96:97], v[96:97], 1.0
	v_div_scale_f64 v[104:105], vcc, 1.0, v[96:97], 1.0
	v_rcp_f64_e32 v[100:101], v[98:99]
	v_fma_f64 v[102:103], -v[98:99], v[100:101], 1.0
	v_fma_f64 v[100:101], v[100:101], v[102:103], v[100:101]
	v_fma_f64 v[102:103], -v[98:99], v[100:101], 1.0
	v_fma_f64 v[100:101], v[100:101], v[102:103], v[100:101]
	v_mul_f64 v[102:103], v[104:105], v[100:101]
	v_fma_f64 v[98:99], -v[98:99], v[102:103], v[104:105]
	v_div_fmas_f64 v[98:99], v[98:99], v[100:101], v[102:103]
	v_div_fixup_f64 v[119:120], v[98:99], v[96:97], 1.0
	v_mul_f64 v[117:118], v[94:95], v[119:120]
	v_xor_b32_e32 v120, 0x80000000, v120
.LBB96_952:
	s_andn2_saveexec_b64 s[18:19], s[18:19]
	s_cbranch_execz .LBB96_954
; %bb.953:
	v_div_scale_f64 v[94:95], s[20:21], v[117:118], v[117:118], v[119:120]
	v_rcp_f64_e32 v[96:97], v[94:95]
	v_fma_f64 v[98:99], -v[94:95], v[96:97], 1.0
	v_fma_f64 v[96:97], v[96:97], v[98:99], v[96:97]
	v_div_scale_f64 v[98:99], vcc, v[119:120], v[117:118], v[119:120]
	v_fma_f64 v[100:101], -v[94:95], v[96:97], 1.0
	v_fma_f64 v[96:97], v[96:97], v[100:101], v[96:97]
	v_mul_f64 v[100:101], v[98:99], v[96:97]
	v_fma_f64 v[94:95], -v[94:95], v[100:101], v[98:99]
	v_div_fmas_f64 v[94:95], v[94:95], v[96:97], v[100:101]
	v_div_fixup_f64 v[94:95], v[94:95], v[117:118], v[119:120]
	v_fma_f64 v[96:97], v[119:120], v[94:95], v[117:118]
	v_div_scale_f64 v[98:99], s[20:21], v[96:97], v[96:97], 1.0
	v_div_scale_f64 v[104:105], vcc, 1.0, v[96:97], 1.0
	v_rcp_f64_e32 v[100:101], v[98:99]
	v_fma_f64 v[102:103], -v[98:99], v[100:101], 1.0
	v_fma_f64 v[100:101], v[100:101], v[102:103], v[100:101]
	v_fma_f64 v[102:103], -v[98:99], v[100:101], 1.0
	v_fma_f64 v[100:101], v[100:101], v[102:103], v[100:101]
	v_mul_f64 v[102:103], v[104:105], v[100:101]
	v_fma_f64 v[98:99], -v[98:99], v[102:103], v[104:105]
	v_div_fmas_f64 v[98:99], v[98:99], v[100:101], v[102:103]
	v_div_fixup_f64 v[117:118], v[98:99], v[96:97], 1.0
	v_mul_f64 v[119:120], v[94:95], -v[117:118]
.LBB96_954:
	s_or_b64 exec, exec, s[18:19]
.LBB96_955:
	s_or_b64 exec, exec, s[0:1]
	v_cmp_ne_u32_e32 vcc, v92, v93
	s_and_saveexec_b64 s[0:1], vcc
	s_xor_b64 s[0:1], exec, s[0:1]
	s_cbranch_execz .LBB96_961
; %bb.956:
	v_cmp_eq_u32_e32 vcc, 45, v92
	s_and_saveexec_b64 s[18:19], vcc
	s_cbranch_execz .LBB96_960
; %bb.957:
	v_cmp_ne_u32_e32 vcc, 45, v93
	s_xor_b64 s[20:21], s[6:7], -1
	s_and_b64 s[22:23], s[20:21], vcc
	s_and_saveexec_b64 s[20:21], s[22:23]
	s_cbranch_execz .LBB96_959
; %bb.958:
	buffer_load_dword v85, off, s[24:27], 0 offset:352 ; 4-byte Folded Reload
	buffer_load_dword v86, off, s[24:27], 0 offset:356 ; 4-byte Folded Reload
	v_ashrrev_i32_e32 v94, 31, v93
	v_lshlrev_b64 v[94:95], 2, v[93:94]
	s_waitcnt vmcnt(1)
	v_add_co_u32_e32 v94, vcc, v85, v94
	s_waitcnt vmcnt(0)
	v_addc_co_u32_e32 v95, vcc, v86, v95, vcc
	global_load_dword v0, v[94:95], off
	global_load_dword v92, v[85:86], off offset:180
	s_waitcnt vmcnt(1)
	global_store_dword v[85:86], v0, off offset:180
	buffer_load_dword v85, off, s[24:27], 0 offset:392 ; 4-byte Folded Reload
	s_nop 0
	buffer_load_dword v86, off, s[24:27], 0 offset:396 ; 4-byte Folded Reload
	buffer_load_dword v87, off, s[24:27], 0 offset:400 ; 4-byte Folded Reload
	;; [unrolled: 1-line block ×3, first 2 shown]
	s_waitcnt vmcnt(5)
	global_store_dword v[94:95], v92, off
.LBB96_959:
	s_or_b64 exec, exec, s[20:21]
	v_mov_b32_e32 v92, v93
	v_mov_b32_e32 v0, v93
.LBB96_960:
	s_or_b64 exec, exec, s[18:19]
.LBB96_961:
	s_andn2_saveexec_b64 s[0:1], s[0:1]
	s_cbranch_execz .LBB96_963
; %bb.962:
	v_mov_b32_e32 v92, 45
	ds_write2_b64 v90, v[5:6], v[7:8] offset0:92 offset1:93
	ds_write2_b64 v90, v[1:2], v[3:4] offset0:94 offset1:95
	ds_write2_b64 v90, v[121:122], v[123:124] offset0:96 offset1:97
.LBB96_963:
	s_or_b64 exec, exec, s[0:1]
	v_cmp_lt_i32_e32 vcc, 45, v92
	s_waitcnt vmcnt(0) lgkmcnt(0)
	s_barrier
	s_and_saveexec_b64 s[0:1], vcc
	s_cbranch_execz .LBB96_965
; %bb.964:
	v_mul_f64 v[93:94], v[117:118], v[11:12]
	v_mul_f64 v[11:12], v[119:120], v[11:12]
	v_fma_f64 v[97:98], v[119:120], v[9:10], v[93:94]
	ds_read2_b64 v[93:96], v90 offset0:92 offset1:93
	v_fma_f64 v[9:10], v[117:118], v[9:10], -v[11:12]
	s_waitcnt lgkmcnt(0)
	v_mul_f64 v[11:12], v[95:96], v[97:98]
	v_fma_f64 v[11:12], v[93:94], v[9:10], -v[11:12]
	v_mul_f64 v[93:94], v[93:94], v[97:98]
	v_add_f64 v[5:6], v[5:6], -v[11:12]
	v_fma_f64 v[93:94], v[95:96], v[9:10], v[93:94]
	v_add_f64 v[7:8], v[7:8], -v[93:94]
	ds_read2_b64 v[93:96], v90 offset0:94 offset1:95
	s_waitcnt lgkmcnt(0)
	v_mul_f64 v[11:12], v[95:96], v[97:98]
	v_fma_f64 v[11:12], v[93:94], v[9:10], -v[11:12]
	v_mul_f64 v[93:94], v[93:94], v[97:98]
	v_add_f64 v[1:2], v[1:2], -v[11:12]
	v_fma_f64 v[93:94], v[95:96], v[9:10], v[93:94]
	v_add_f64 v[3:4], v[3:4], -v[93:94]
	ds_read2_b64 v[93:96], v90 offset0:96 offset1:97
	s_waitcnt lgkmcnt(0)
	v_mul_f64 v[11:12], v[95:96], v[97:98]
	v_fma_f64 v[11:12], v[93:94], v[9:10], -v[11:12]
	v_mul_f64 v[93:94], v[93:94], v[97:98]
	v_add_f64 v[121:122], v[121:122], -v[11:12]
	v_fma_f64 v[93:94], v[95:96], v[9:10], v[93:94]
	v_mov_b32_e32 v11, v97
	v_mov_b32_e32 v12, v98
	v_add_f64 v[123:124], v[123:124], -v[93:94]
.LBB96_965:
	s_or_b64 exec, exec, s[0:1]
	v_lshl_add_u32 v93, v92, 4, v90
	s_barrier
	ds_write2_b64 v93, v[5:6], v[7:8] offset1:1
	s_waitcnt lgkmcnt(0)
	s_barrier
	ds_read2_b64 v[117:120], v90 offset0:92 offset1:93
	s_cmp_lt_i32 s3, 48
	v_mov_b32_e32 v93, 46
	s_cbranch_scc1 .LBB96_968
; %bb.966:
	v_add_u32_e32 v94, 0x2f0, v90
	s_mov_b32 s0, 47
	v_mov_b32_e32 v93, 46
.LBB96_967:                             ; =>This Inner Loop Header: Depth=1
	s_waitcnt lgkmcnt(0)
	v_cmp_gt_f64_e32 vcc, 0, v[117:118]
	v_xor_b32_e32 v99, 0x80000000, v118
	ds_read2_b64 v[95:98], v94 offset1:1
	v_xor_b32_e32 v101, 0x80000000, v120
	v_add_u32_e32 v94, 16, v94
	s_waitcnt lgkmcnt(0)
	v_xor_b32_e32 v103, 0x80000000, v98
	v_cndmask_b32_e32 v100, v118, v99, vcc
	v_cmp_gt_f64_e32 vcc, 0, v[119:120]
	v_mov_b32_e32 v99, v117
	v_cndmask_b32_e32 v102, v120, v101, vcc
	v_cmp_gt_f64_e32 vcc, 0, v[95:96]
	v_mov_b32_e32 v101, v119
	v_add_f64 v[99:100], v[99:100], v[101:102]
	v_xor_b32_e32 v101, 0x80000000, v96
	v_cndmask_b32_e32 v102, v96, v101, vcc
	v_cmp_gt_f64_e32 vcc, 0, v[97:98]
	v_mov_b32_e32 v101, v95
	v_cndmask_b32_e32 v104, v98, v103, vcc
	v_mov_b32_e32 v103, v97
	v_add_f64 v[101:102], v[101:102], v[103:104]
	v_cmp_lt_f64_e32 vcc, v[99:100], v[101:102]
	v_cndmask_b32_e32 v117, v117, v95, vcc
	v_mov_b32_e32 v95, s0
	s_add_i32 s0, s0, 1
	v_cndmask_b32_e32 v118, v118, v96, vcc
	v_cndmask_b32_e32 v120, v120, v98, vcc
	;; [unrolled: 1-line block ×4, first 2 shown]
	s_cmp_lg_u32 s3, s0
	s_cbranch_scc1 .LBB96_967
.LBB96_968:
	s_waitcnt lgkmcnt(0)
	v_cmp_eq_f64_e32 vcc, 0, v[117:118]
	v_cmp_eq_f64_e64 s[0:1], 0, v[119:120]
	s_and_b64 s[0:1], vcc, s[0:1]
	s_and_saveexec_b64 s[18:19], s[0:1]
	s_xor_b64 s[0:1], exec, s[18:19]
; %bb.969:
	v_cmp_ne_u32_e32 vcc, 0, v91
	v_cndmask_b32_e32 v91, 47, v91, vcc
; %bb.970:
	s_andn2_saveexec_b64 s[0:1], s[0:1]
	s_cbranch_execz .LBB96_976
; %bb.971:
	v_cmp_ngt_f64_e64 s[18:19], |v[117:118]|, |v[119:120]|
	s_and_saveexec_b64 s[20:21], s[18:19]
	s_xor_b64 s[18:19], exec, s[20:21]
	s_cbranch_execz .LBB96_973
; %bb.972:
	v_div_scale_f64 v[94:95], s[20:21], v[119:120], v[119:120], v[117:118]
	v_rcp_f64_e32 v[96:97], v[94:95]
	v_fma_f64 v[98:99], -v[94:95], v[96:97], 1.0
	v_fma_f64 v[96:97], v[96:97], v[98:99], v[96:97]
	v_div_scale_f64 v[98:99], vcc, v[117:118], v[119:120], v[117:118]
	v_fma_f64 v[100:101], -v[94:95], v[96:97], 1.0
	v_fma_f64 v[96:97], v[96:97], v[100:101], v[96:97]
	v_mul_f64 v[100:101], v[98:99], v[96:97]
	v_fma_f64 v[94:95], -v[94:95], v[100:101], v[98:99]
	v_div_fmas_f64 v[94:95], v[94:95], v[96:97], v[100:101]
	v_div_fixup_f64 v[94:95], v[94:95], v[119:120], v[117:118]
	v_fma_f64 v[96:97], v[117:118], v[94:95], v[119:120]
	v_div_scale_f64 v[98:99], s[20:21], v[96:97], v[96:97], 1.0
	v_div_scale_f64 v[104:105], vcc, 1.0, v[96:97], 1.0
	v_rcp_f64_e32 v[100:101], v[98:99]
	v_fma_f64 v[102:103], -v[98:99], v[100:101], 1.0
	v_fma_f64 v[100:101], v[100:101], v[102:103], v[100:101]
	v_fma_f64 v[102:103], -v[98:99], v[100:101], 1.0
	v_fma_f64 v[100:101], v[100:101], v[102:103], v[100:101]
	v_mul_f64 v[102:103], v[104:105], v[100:101]
	v_fma_f64 v[98:99], -v[98:99], v[102:103], v[104:105]
	v_div_fmas_f64 v[98:99], v[98:99], v[100:101], v[102:103]
	v_div_fixup_f64 v[119:120], v[98:99], v[96:97], 1.0
	v_mul_f64 v[117:118], v[94:95], v[119:120]
	v_xor_b32_e32 v120, 0x80000000, v120
.LBB96_973:
	s_andn2_saveexec_b64 s[18:19], s[18:19]
	s_cbranch_execz .LBB96_975
; %bb.974:
	v_div_scale_f64 v[94:95], s[20:21], v[117:118], v[117:118], v[119:120]
	v_rcp_f64_e32 v[96:97], v[94:95]
	v_fma_f64 v[98:99], -v[94:95], v[96:97], 1.0
	v_fma_f64 v[96:97], v[96:97], v[98:99], v[96:97]
	v_div_scale_f64 v[98:99], vcc, v[119:120], v[117:118], v[119:120]
	v_fma_f64 v[100:101], -v[94:95], v[96:97], 1.0
	v_fma_f64 v[96:97], v[96:97], v[100:101], v[96:97]
	v_mul_f64 v[100:101], v[98:99], v[96:97]
	v_fma_f64 v[94:95], -v[94:95], v[100:101], v[98:99]
	v_div_fmas_f64 v[94:95], v[94:95], v[96:97], v[100:101]
	v_div_fixup_f64 v[94:95], v[94:95], v[117:118], v[119:120]
	v_fma_f64 v[96:97], v[119:120], v[94:95], v[117:118]
	v_div_scale_f64 v[98:99], s[20:21], v[96:97], v[96:97], 1.0
	v_div_scale_f64 v[104:105], vcc, 1.0, v[96:97], 1.0
	v_rcp_f64_e32 v[100:101], v[98:99]
	v_fma_f64 v[102:103], -v[98:99], v[100:101], 1.0
	v_fma_f64 v[100:101], v[100:101], v[102:103], v[100:101]
	v_fma_f64 v[102:103], -v[98:99], v[100:101], 1.0
	v_fma_f64 v[100:101], v[100:101], v[102:103], v[100:101]
	v_mul_f64 v[102:103], v[104:105], v[100:101]
	v_fma_f64 v[98:99], -v[98:99], v[102:103], v[104:105]
	v_div_fmas_f64 v[98:99], v[98:99], v[100:101], v[102:103]
	v_div_fixup_f64 v[117:118], v[98:99], v[96:97], 1.0
	v_mul_f64 v[119:120], v[94:95], -v[117:118]
.LBB96_975:
	s_or_b64 exec, exec, s[18:19]
.LBB96_976:
	s_or_b64 exec, exec, s[0:1]
	v_cmp_ne_u32_e32 vcc, v92, v93
	s_and_saveexec_b64 s[0:1], vcc
	s_xor_b64 s[0:1], exec, s[0:1]
	s_cbranch_execz .LBB96_982
; %bb.977:
	v_cmp_eq_u32_e32 vcc, 46, v92
	s_and_saveexec_b64 s[18:19], vcc
	s_cbranch_execz .LBB96_981
; %bb.978:
	v_cmp_ne_u32_e32 vcc, 46, v93
	s_xor_b64 s[20:21], s[6:7], -1
	s_and_b64 s[22:23], s[20:21], vcc
	s_and_saveexec_b64 s[20:21], s[22:23]
	s_cbranch_execz .LBB96_980
; %bb.979:
	buffer_load_dword v85, off, s[24:27], 0 offset:352 ; 4-byte Folded Reload
	buffer_load_dword v86, off, s[24:27], 0 offset:356 ; 4-byte Folded Reload
	v_ashrrev_i32_e32 v94, 31, v93
	v_lshlrev_b64 v[94:95], 2, v[93:94]
	s_waitcnt vmcnt(1)
	v_add_co_u32_e32 v94, vcc, v85, v94
	s_waitcnt vmcnt(0)
	v_addc_co_u32_e32 v95, vcc, v86, v95, vcc
	global_load_dword v0, v[94:95], off
	global_load_dword v92, v[85:86], off offset:184
	s_waitcnt vmcnt(1)
	global_store_dword v[85:86], v0, off offset:184
	buffer_load_dword v85, off, s[24:27], 0 offset:392 ; 4-byte Folded Reload
	s_nop 0
	buffer_load_dword v86, off, s[24:27], 0 offset:396 ; 4-byte Folded Reload
	buffer_load_dword v87, off, s[24:27], 0 offset:400 ; 4-byte Folded Reload
	;; [unrolled: 1-line block ×3, first 2 shown]
	s_waitcnt vmcnt(5)
	global_store_dword v[94:95], v92, off
.LBB96_980:
	s_or_b64 exec, exec, s[20:21]
	v_mov_b32_e32 v92, v93
	v_mov_b32_e32 v0, v93
.LBB96_981:
	s_or_b64 exec, exec, s[18:19]
.LBB96_982:
	s_andn2_saveexec_b64 s[0:1], s[0:1]
	s_cbranch_execz .LBB96_984
; %bb.983:
	v_mov_b32_e32 v92, 46
	ds_write2_b64 v90, v[1:2], v[3:4] offset0:94 offset1:95
	ds_write2_b64 v90, v[121:122], v[123:124] offset0:96 offset1:97
.LBB96_984:
	s_or_b64 exec, exec, s[0:1]
	v_cmp_lt_i32_e32 vcc, 46, v92
	s_waitcnt vmcnt(0) lgkmcnt(0)
	s_barrier
	s_and_saveexec_b64 s[0:1], vcc
	s_cbranch_execz .LBB96_986
; %bb.985:
	v_mul_f64 v[93:94], v[117:118], v[7:8]
	v_mul_f64 v[7:8], v[119:120], v[7:8]
	v_fma_f64 v[97:98], v[119:120], v[5:6], v[93:94]
	ds_read2_b64 v[93:96], v90 offset0:94 offset1:95
	v_fma_f64 v[5:6], v[117:118], v[5:6], -v[7:8]
	s_waitcnt lgkmcnt(0)
	v_mul_f64 v[7:8], v[95:96], v[97:98]
	v_fma_f64 v[7:8], v[93:94], v[5:6], -v[7:8]
	v_mul_f64 v[93:94], v[93:94], v[97:98]
	v_add_f64 v[1:2], v[1:2], -v[7:8]
	v_fma_f64 v[93:94], v[95:96], v[5:6], v[93:94]
	v_add_f64 v[3:4], v[3:4], -v[93:94]
	ds_read2_b64 v[93:96], v90 offset0:96 offset1:97
	s_waitcnt lgkmcnt(0)
	v_mul_f64 v[7:8], v[95:96], v[97:98]
	v_fma_f64 v[7:8], v[93:94], v[5:6], -v[7:8]
	v_mul_f64 v[93:94], v[93:94], v[97:98]
	v_add_f64 v[121:122], v[121:122], -v[7:8]
	v_fma_f64 v[93:94], v[95:96], v[5:6], v[93:94]
	v_mov_b32_e32 v7, v97
	v_mov_b32_e32 v8, v98
	v_add_f64 v[123:124], v[123:124], -v[93:94]
.LBB96_986:
	s_or_b64 exec, exec, s[0:1]
	v_lshl_add_u32 v93, v92, 4, v90
	s_barrier
	ds_write2_b64 v93, v[1:2], v[3:4] offset1:1
	s_waitcnt lgkmcnt(0)
	s_barrier
	ds_read2_b64 v[117:120], v90 offset0:94 offset1:95
	s_cmp_lt_i32 s3, 49
	v_mov_b32_e32 v93, 47
	s_cbranch_scc1 .LBB96_989
; %bb.987:
	v_add_u32_e32 v94, 0x300, v90
	s_mov_b32 s0, 48
	v_mov_b32_e32 v93, 47
.LBB96_988:                             ; =>This Inner Loop Header: Depth=1
	s_waitcnt lgkmcnt(0)
	v_cmp_gt_f64_e32 vcc, 0, v[117:118]
	v_xor_b32_e32 v99, 0x80000000, v118
	ds_read2_b64 v[95:98], v94 offset1:1
	v_xor_b32_e32 v101, 0x80000000, v120
	v_add_u32_e32 v94, 16, v94
	s_waitcnt lgkmcnt(0)
	v_xor_b32_e32 v103, 0x80000000, v98
	v_cndmask_b32_e32 v100, v118, v99, vcc
	v_cmp_gt_f64_e32 vcc, 0, v[119:120]
	v_mov_b32_e32 v99, v117
	v_cndmask_b32_e32 v102, v120, v101, vcc
	v_cmp_gt_f64_e32 vcc, 0, v[95:96]
	v_mov_b32_e32 v101, v119
	v_add_f64 v[99:100], v[99:100], v[101:102]
	v_xor_b32_e32 v101, 0x80000000, v96
	v_cndmask_b32_e32 v102, v96, v101, vcc
	v_cmp_gt_f64_e32 vcc, 0, v[97:98]
	v_mov_b32_e32 v101, v95
	v_cndmask_b32_e32 v104, v98, v103, vcc
	v_mov_b32_e32 v103, v97
	v_add_f64 v[101:102], v[101:102], v[103:104]
	v_cmp_lt_f64_e32 vcc, v[99:100], v[101:102]
	v_cndmask_b32_e32 v117, v117, v95, vcc
	v_mov_b32_e32 v95, s0
	s_add_i32 s0, s0, 1
	v_cndmask_b32_e32 v118, v118, v96, vcc
	v_cndmask_b32_e32 v120, v120, v98, vcc
	v_cndmask_b32_e32 v119, v119, v97, vcc
	v_cndmask_b32_e32 v93, v93, v95, vcc
	s_cmp_lg_u32 s3, s0
	s_cbranch_scc1 .LBB96_988
.LBB96_989:
	s_waitcnt lgkmcnt(0)
	v_cmp_eq_f64_e32 vcc, 0, v[117:118]
	v_cmp_eq_f64_e64 s[0:1], 0, v[119:120]
	s_and_b64 s[0:1], vcc, s[0:1]
	s_and_saveexec_b64 s[18:19], s[0:1]
	s_xor_b64 s[0:1], exec, s[18:19]
; %bb.990:
	v_cmp_ne_u32_e32 vcc, 0, v91
	v_cndmask_b32_e32 v91, 48, v91, vcc
; %bb.991:
	s_andn2_saveexec_b64 s[0:1], s[0:1]
	s_cbranch_execz .LBB96_997
; %bb.992:
	v_cmp_ngt_f64_e64 s[18:19], |v[117:118]|, |v[119:120]|
	s_and_saveexec_b64 s[20:21], s[18:19]
	s_xor_b64 s[18:19], exec, s[20:21]
	s_cbranch_execz .LBB96_994
; %bb.993:
	v_div_scale_f64 v[94:95], s[20:21], v[119:120], v[119:120], v[117:118]
	v_rcp_f64_e32 v[96:97], v[94:95]
	v_fma_f64 v[98:99], -v[94:95], v[96:97], 1.0
	v_fma_f64 v[96:97], v[96:97], v[98:99], v[96:97]
	v_div_scale_f64 v[98:99], vcc, v[117:118], v[119:120], v[117:118]
	v_fma_f64 v[100:101], -v[94:95], v[96:97], 1.0
	v_fma_f64 v[96:97], v[96:97], v[100:101], v[96:97]
	v_mul_f64 v[100:101], v[98:99], v[96:97]
	v_fma_f64 v[94:95], -v[94:95], v[100:101], v[98:99]
	v_div_fmas_f64 v[94:95], v[94:95], v[96:97], v[100:101]
	v_div_fixup_f64 v[94:95], v[94:95], v[119:120], v[117:118]
	v_fma_f64 v[96:97], v[117:118], v[94:95], v[119:120]
	v_div_scale_f64 v[98:99], s[20:21], v[96:97], v[96:97], 1.0
	v_div_scale_f64 v[104:105], vcc, 1.0, v[96:97], 1.0
	v_rcp_f64_e32 v[100:101], v[98:99]
	v_fma_f64 v[102:103], -v[98:99], v[100:101], 1.0
	v_fma_f64 v[100:101], v[100:101], v[102:103], v[100:101]
	v_fma_f64 v[102:103], -v[98:99], v[100:101], 1.0
	v_fma_f64 v[100:101], v[100:101], v[102:103], v[100:101]
	v_mul_f64 v[102:103], v[104:105], v[100:101]
	v_fma_f64 v[98:99], -v[98:99], v[102:103], v[104:105]
	v_div_fmas_f64 v[98:99], v[98:99], v[100:101], v[102:103]
	v_div_fixup_f64 v[119:120], v[98:99], v[96:97], 1.0
	v_mul_f64 v[117:118], v[94:95], v[119:120]
	v_xor_b32_e32 v120, 0x80000000, v120
.LBB96_994:
	s_andn2_saveexec_b64 s[18:19], s[18:19]
	s_cbranch_execz .LBB96_996
; %bb.995:
	v_div_scale_f64 v[94:95], s[20:21], v[117:118], v[117:118], v[119:120]
	v_rcp_f64_e32 v[96:97], v[94:95]
	v_fma_f64 v[98:99], -v[94:95], v[96:97], 1.0
	v_fma_f64 v[96:97], v[96:97], v[98:99], v[96:97]
	v_div_scale_f64 v[98:99], vcc, v[119:120], v[117:118], v[119:120]
	v_fma_f64 v[100:101], -v[94:95], v[96:97], 1.0
	v_fma_f64 v[96:97], v[96:97], v[100:101], v[96:97]
	v_mul_f64 v[100:101], v[98:99], v[96:97]
	v_fma_f64 v[94:95], -v[94:95], v[100:101], v[98:99]
	v_div_fmas_f64 v[94:95], v[94:95], v[96:97], v[100:101]
	v_div_fixup_f64 v[94:95], v[94:95], v[117:118], v[119:120]
	v_fma_f64 v[96:97], v[119:120], v[94:95], v[117:118]
	v_div_scale_f64 v[98:99], s[20:21], v[96:97], v[96:97], 1.0
	v_div_scale_f64 v[104:105], vcc, 1.0, v[96:97], 1.0
	v_rcp_f64_e32 v[100:101], v[98:99]
	v_fma_f64 v[102:103], -v[98:99], v[100:101], 1.0
	v_fma_f64 v[100:101], v[100:101], v[102:103], v[100:101]
	v_fma_f64 v[102:103], -v[98:99], v[100:101], 1.0
	v_fma_f64 v[100:101], v[100:101], v[102:103], v[100:101]
	v_mul_f64 v[102:103], v[104:105], v[100:101]
	v_fma_f64 v[98:99], -v[98:99], v[102:103], v[104:105]
	v_div_fmas_f64 v[98:99], v[98:99], v[100:101], v[102:103]
	v_div_fixup_f64 v[117:118], v[98:99], v[96:97], 1.0
	v_mul_f64 v[119:120], v[94:95], -v[117:118]
.LBB96_996:
	s_or_b64 exec, exec, s[18:19]
.LBB96_997:
	s_or_b64 exec, exec, s[0:1]
	v_cmp_ne_u32_e32 vcc, v92, v93
	s_and_saveexec_b64 s[0:1], vcc
	s_xor_b64 s[0:1], exec, s[0:1]
	s_cbranch_execz .LBB96_1003
; %bb.998:
	v_cmp_eq_u32_e32 vcc, 47, v92
	s_and_saveexec_b64 s[18:19], vcc
	s_cbranch_execz .LBB96_1002
; %bb.999:
	v_cmp_ne_u32_e32 vcc, 47, v93
	s_xor_b64 s[20:21], s[6:7], -1
	s_and_b64 s[22:23], s[20:21], vcc
	s_and_saveexec_b64 s[20:21], s[22:23]
	s_cbranch_execz .LBB96_1001
; %bb.1000:
	buffer_load_dword v85, off, s[24:27], 0 offset:352 ; 4-byte Folded Reload
	buffer_load_dword v86, off, s[24:27], 0 offset:356 ; 4-byte Folded Reload
	v_ashrrev_i32_e32 v94, 31, v93
	v_lshlrev_b64 v[94:95], 2, v[93:94]
	s_waitcnt vmcnt(1)
	v_add_co_u32_e32 v94, vcc, v85, v94
	s_waitcnt vmcnt(0)
	v_addc_co_u32_e32 v95, vcc, v86, v95, vcc
	global_load_dword v0, v[94:95], off
	global_load_dword v92, v[85:86], off offset:188
	s_waitcnt vmcnt(1)
	global_store_dword v[85:86], v0, off offset:188
	buffer_load_dword v85, off, s[24:27], 0 offset:392 ; 4-byte Folded Reload
	s_nop 0
	buffer_load_dword v86, off, s[24:27], 0 offset:396 ; 4-byte Folded Reload
	buffer_load_dword v87, off, s[24:27], 0 offset:400 ; 4-byte Folded Reload
	;; [unrolled: 1-line block ×3, first 2 shown]
	s_waitcnt vmcnt(5)
	global_store_dword v[94:95], v92, off
.LBB96_1001:
	s_or_b64 exec, exec, s[20:21]
	v_mov_b32_e32 v92, v93
	v_mov_b32_e32 v0, v93
.LBB96_1002:
	s_or_b64 exec, exec, s[18:19]
.LBB96_1003:
	s_andn2_saveexec_b64 s[0:1], s[0:1]
; %bb.1004:
	v_mov_b32_e32 v92, 47
	ds_write2_b64 v90, v[121:122], v[123:124] offset0:96 offset1:97
; %bb.1005:
	s_or_b64 exec, exec, s[0:1]
	v_cmp_lt_i32_e32 vcc, 47, v92
	s_waitcnt vmcnt(0) lgkmcnt(0)
	s_barrier
	s_and_saveexec_b64 s[0:1], vcc
	s_cbranch_execz .LBB96_1007
; %bb.1006:
	v_mul_f64 v[93:94], v[117:118], v[3:4]
	v_mul_f64 v[3:4], v[119:120], v[3:4]
	v_fma_f64 v[97:98], v[119:120], v[1:2], v[93:94]
	ds_read2_b64 v[93:96], v90 offset0:96 offset1:97
	v_fma_f64 v[1:2], v[117:118], v[1:2], -v[3:4]
	s_waitcnt lgkmcnt(0)
	v_mul_f64 v[3:4], v[95:96], v[97:98]
	v_fma_f64 v[3:4], v[93:94], v[1:2], -v[3:4]
	v_mul_f64 v[93:94], v[93:94], v[97:98]
	v_add_f64 v[121:122], v[121:122], -v[3:4]
	v_fma_f64 v[93:94], v[95:96], v[1:2], v[93:94]
	v_mov_b32_e32 v3, v97
	v_mov_b32_e32 v4, v98
	v_add_f64 v[123:124], v[123:124], -v[93:94]
.LBB96_1007:
	s_or_b64 exec, exec, s[0:1]
	v_lshl_add_u32 v93, v92, 4, v90
	s_barrier
	ds_write2_b64 v93, v[121:122], v[123:124] offset1:1
	s_waitcnt lgkmcnt(0)
	s_barrier
	ds_read2_b64 v[117:120], v90 offset0:96 offset1:97
	s_cmp_lt_i32 s3, 50
	v_mov_b32_e32 v93, 48
	s_cbranch_scc1 .LBB96_1010
; %bb.1008:
	v_add_u32_e32 v90, 0x310, v90
	s_mov_b32 s0, 49
	v_mov_b32_e32 v93, 48
.LBB96_1009:                            ; =>This Inner Loop Header: Depth=1
	s_waitcnt lgkmcnt(0)
	v_cmp_gt_f64_e32 vcc, 0, v[117:118]
	v_xor_b32_e32 v98, 0x80000000, v118
	ds_read2_b64 v[94:97], v90 offset1:1
	v_xor_b32_e32 v100, 0x80000000, v120
	v_add_u32_e32 v90, 16, v90
	s_waitcnt lgkmcnt(0)
	v_xor_b32_e32 v102, 0x80000000, v97
	v_cndmask_b32_e32 v99, v118, v98, vcc
	v_cmp_gt_f64_e32 vcc, 0, v[119:120]
	v_mov_b32_e32 v98, v117
	v_cndmask_b32_e32 v101, v120, v100, vcc
	v_cmp_gt_f64_e32 vcc, 0, v[94:95]
	v_mov_b32_e32 v100, v119
	v_add_f64 v[98:99], v[98:99], v[100:101]
	v_xor_b32_e32 v100, 0x80000000, v95
	v_cndmask_b32_e32 v101, v95, v100, vcc
	v_cmp_gt_f64_e32 vcc, 0, v[96:97]
	v_mov_b32_e32 v100, v94
	v_cndmask_b32_e32 v103, v97, v102, vcc
	v_mov_b32_e32 v102, v96
	v_add_f64 v[100:101], v[100:101], v[102:103]
	v_cmp_lt_f64_e32 vcc, v[98:99], v[100:101]
	v_cndmask_b32_e32 v117, v117, v94, vcc
	v_mov_b32_e32 v94, s0
	s_add_i32 s0, s0, 1
	v_cndmask_b32_e32 v118, v118, v95, vcc
	v_cndmask_b32_e32 v120, v120, v97, vcc
	v_cndmask_b32_e32 v119, v119, v96, vcc
	v_cndmask_b32_e32 v93, v93, v94, vcc
	s_cmp_lg_u32 s3, s0
	s_cbranch_scc1 .LBB96_1009
.LBB96_1010:
	s_waitcnt lgkmcnt(0)
	v_cmp_eq_f64_e32 vcc, 0, v[117:118]
	v_cmp_eq_f64_e64 s[0:1], 0, v[119:120]
	s_and_b64 s[0:1], vcc, s[0:1]
	s_and_saveexec_b64 s[18:19], s[0:1]
	s_xor_b64 s[0:1], exec, s[18:19]
; %bb.1011:
	v_cmp_ne_u32_e32 vcc, 0, v91
	v_cndmask_b32_e32 v91, 49, v91, vcc
; %bb.1012:
	s_andn2_saveexec_b64 s[0:1], s[0:1]
	s_cbranch_execz .LBB96_1018
; %bb.1013:
	v_cmp_ngt_f64_e64 s[18:19], |v[117:118]|, |v[119:120]|
	s_and_saveexec_b64 s[20:21], s[18:19]
	s_xor_b64 s[18:19], exec, s[20:21]
	s_cbranch_execz .LBB96_1015
; %bb.1014:
	v_div_scale_f64 v[94:95], s[20:21], v[119:120], v[119:120], v[117:118]
	v_rcp_f64_e32 v[96:97], v[94:95]
	v_fma_f64 v[98:99], -v[94:95], v[96:97], 1.0
	v_fma_f64 v[96:97], v[96:97], v[98:99], v[96:97]
	v_div_scale_f64 v[98:99], vcc, v[117:118], v[119:120], v[117:118]
	v_fma_f64 v[100:101], -v[94:95], v[96:97], 1.0
	v_fma_f64 v[96:97], v[96:97], v[100:101], v[96:97]
	v_mul_f64 v[100:101], v[98:99], v[96:97]
	v_fma_f64 v[94:95], -v[94:95], v[100:101], v[98:99]
	v_div_fmas_f64 v[94:95], v[94:95], v[96:97], v[100:101]
	v_div_fixup_f64 v[94:95], v[94:95], v[119:120], v[117:118]
	v_fma_f64 v[96:97], v[117:118], v[94:95], v[119:120]
	v_div_scale_f64 v[98:99], s[20:21], v[96:97], v[96:97], 1.0
	v_div_scale_f64 v[104:105], vcc, 1.0, v[96:97], 1.0
	v_rcp_f64_e32 v[100:101], v[98:99]
	v_fma_f64 v[102:103], -v[98:99], v[100:101], 1.0
	v_fma_f64 v[100:101], v[100:101], v[102:103], v[100:101]
	v_fma_f64 v[102:103], -v[98:99], v[100:101], 1.0
	v_fma_f64 v[100:101], v[100:101], v[102:103], v[100:101]
	v_mul_f64 v[102:103], v[104:105], v[100:101]
	v_fma_f64 v[98:99], -v[98:99], v[102:103], v[104:105]
	v_div_fmas_f64 v[98:99], v[98:99], v[100:101], v[102:103]
	v_div_fixup_f64 v[119:120], v[98:99], v[96:97], 1.0
	v_mul_f64 v[117:118], v[94:95], v[119:120]
	v_xor_b32_e32 v120, 0x80000000, v120
.LBB96_1015:
	s_andn2_saveexec_b64 s[18:19], s[18:19]
	s_cbranch_execz .LBB96_1017
; %bb.1016:
	v_div_scale_f64 v[94:95], s[20:21], v[117:118], v[117:118], v[119:120]
	v_rcp_f64_e32 v[96:97], v[94:95]
	v_fma_f64 v[98:99], -v[94:95], v[96:97], 1.0
	v_fma_f64 v[96:97], v[96:97], v[98:99], v[96:97]
	v_div_scale_f64 v[98:99], vcc, v[119:120], v[117:118], v[119:120]
	v_fma_f64 v[100:101], -v[94:95], v[96:97], 1.0
	v_fma_f64 v[96:97], v[96:97], v[100:101], v[96:97]
	v_mul_f64 v[100:101], v[98:99], v[96:97]
	v_fma_f64 v[94:95], -v[94:95], v[100:101], v[98:99]
	v_div_fmas_f64 v[94:95], v[94:95], v[96:97], v[100:101]
	v_div_fixup_f64 v[94:95], v[94:95], v[117:118], v[119:120]
	v_fma_f64 v[96:97], v[119:120], v[94:95], v[117:118]
	v_div_scale_f64 v[98:99], s[20:21], v[96:97], v[96:97], 1.0
	v_div_scale_f64 v[104:105], vcc, 1.0, v[96:97], 1.0
	v_rcp_f64_e32 v[100:101], v[98:99]
	v_fma_f64 v[102:103], -v[98:99], v[100:101], 1.0
	v_fma_f64 v[100:101], v[100:101], v[102:103], v[100:101]
	v_fma_f64 v[102:103], -v[98:99], v[100:101], 1.0
	v_fma_f64 v[100:101], v[100:101], v[102:103], v[100:101]
	v_mul_f64 v[102:103], v[104:105], v[100:101]
	v_fma_f64 v[98:99], -v[98:99], v[102:103], v[104:105]
	v_div_fmas_f64 v[98:99], v[98:99], v[100:101], v[102:103]
	v_div_fixup_f64 v[117:118], v[98:99], v[96:97], 1.0
	v_mul_f64 v[119:120], v[94:95], -v[117:118]
.LBB96_1017:
	s_or_b64 exec, exec, s[18:19]
.LBB96_1018:
	s_or_b64 exec, exec, s[0:1]
	v_cmp_ne_u32_e32 vcc, v92, v93
	v_mov_b32_e32 v94, 48
	s_and_saveexec_b64 s[0:1], vcc
	s_cbranch_execz .LBB96_1024
; %bb.1019:
	v_cmp_eq_u32_e32 vcc, 48, v92
	s_and_saveexec_b64 s[18:19], vcc
	s_cbranch_execz .LBB96_1023
; %bb.1020:
	v_cmp_ne_u32_e32 vcc, 48, v93
	s_xor_b64 s[6:7], s[6:7], -1
	s_and_b64 s[20:21], s[6:7], vcc
	s_and_saveexec_b64 s[6:7], s[20:21]
	s_cbranch_execz .LBB96_1022
; %bb.1021:
	buffer_load_dword v85, off, s[24:27], 0 offset:352 ; 4-byte Folded Reload
	buffer_load_dword v86, off, s[24:27], 0 offset:356 ; 4-byte Folded Reload
	v_ashrrev_i32_e32 v94, 31, v93
	v_lshlrev_b64 v[94:95], 2, v[93:94]
	s_waitcnt vmcnt(1)
	v_add_co_u32_e32 v94, vcc, v85, v94
	s_waitcnt vmcnt(0)
	v_addc_co_u32_e32 v95, vcc, v86, v95, vcc
	global_load_dword v0, v[94:95], off
	global_load_dword v90, v[85:86], off offset:192
	s_waitcnt vmcnt(1)
	global_store_dword v[85:86], v0, off offset:192
	buffer_load_dword v85, off, s[24:27], 0 offset:392 ; 4-byte Folded Reload
	s_nop 0
	buffer_load_dword v86, off, s[24:27], 0 offset:396 ; 4-byte Folded Reload
	buffer_load_dword v87, off, s[24:27], 0 offset:400 ; 4-byte Folded Reload
	;; [unrolled: 1-line block ×3, first 2 shown]
	s_waitcnt vmcnt(5)
	global_store_dword v[94:95], v90, off
.LBB96_1022:
	s_or_b64 exec, exec, s[6:7]
	v_mov_b32_e32 v92, v93
	v_mov_b32_e32 v0, v93
.LBB96_1023:
	s_or_b64 exec, exec, s[18:19]
	v_mov_b32_e32 v94, v92
.LBB96_1024:
	s_or_b64 exec, exec, s[0:1]
	v_cmp_gt_i32_e32 vcc, 49, v94
	v_ashrrev_i32_e32 v95, 31, v94
	s_waitcnt vmcnt(0)
	s_barrier
	s_barrier
	s_and_saveexec_b64 s[0:1], vcc
	s_cbranch_execz .LBB96_1026
; %bb.1025:
	v_mul_lo_u32 v90, s15, v111
	v_mul_lo_u32 v96, s14, v112
	v_mad_u64_u32 v[92:93], s[6:7], s14, v111, 0
	s_lshl_b64 s[6:7], s[12:13], 2
	v_add3_u32 v0, v0, s17, 1
	v_add3_u32 v93, v93, v96, v90
	v_lshlrev_b64 v[92:93], 2, v[92:93]
	v_mov_b32_e32 v90, s11
	v_add_co_u32_e32 v92, vcc, s10, v92
	v_addc_co_u32_e32 v90, vcc, v90, v93, vcc
	v_mov_b32_e32 v93, s7
	v_add_co_u32_e32 v96, vcc, s6, v92
	v_addc_co_u32_e32 v90, vcc, v90, v93, vcc
	v_lshlrev_b64 v[92:93], 2, v[94:95]
	v_add_co_u32_e32 v92, vcc, v96, v92
	v_addc_co_u32_e32 v93, vcc, v90, v93, vcc
	global_store_dword v[92:93], v0, off
.LBB96_1026:
	s_or_b64 exec, exec, s[0:1]
	v_cmp_eq_u32_e32 vcc, 0, v94
	s_and_saveexec_b64 s[6:7], vcc
	s_cbranch_execz .LBB96_1029
; %bb.1027:
	v_lshlrev_b64 v[92:93], 2, v[111:112]
	v_mov_b32_e32 v0, s5
	v_add_co_u32_e32 v96, vcc, s4, v92
	v_addc_co_u32_e32 v97, vcc, v0, v93, vcc
	global_load_dword v0, v[96:97], off
	v_cmp_ne_u32_e64 s[0:1], 0, v91
	s_waitcnt vmcnt(0)
	v_cmp_eq_u32_e32 vcc, 0, v0
	s_and_b64 s[0:1], vcc, s[0:1]
	s_and_b64 exec, exec, s[0:1]
	s_cbranch_execz .LBB96_1029
; %bb.1028:
	v_add_u32_e32 v0, s17, v91
	global_store_dword v[96:97], v0, off
.LBB96_1029:
	s_or_b64 exec, exec, s[6:7]
	buffer_load_dword v65, off, s[24:27], 0 offset:408 ; 4-byte Folded Reload
	buffer_load_dword v66, off, s[24:27], 0 offset:412 ; 4-byte Folded Reload
	;; [unrolled: 1-line block ×4, first 2 shown]
	v_mul_f64 v[90:91], v[117:118], v[123:124]
	v_mul_f64 v[92:93], v[119:120], v[123:124]
	v_cmp_lt_i32_e32 vcc, 48, v94
	v_mov_b32_e32 v0, s9
	v_fma_f64 v[90:91], v[119:120], v[121:122], v[90:91]
	v_fma_f64 v[92:93], v[117:118], v[121:122], -v[92:93]
	v_cndmask_b32_e32 v120, v124, v91, vcc
	v_cndmask_b32_e32 v119, v123, v90, vcc
	v_lshlrev_b64 v[90:91], 4, v[94:95]
	v_cndmask_b32_e32 v118, v122, v93, vcc
	v_cndmask_b32_e32 v117, v121, v92, vcc
	v_add_co_u32_e32 v90, vcc, v127, v90
	v_addc_co_u32_e32 v91, vcc, v89, v91, vcc
	s_waitcnt vmcnt(0)
	global_store_dwordx4 v[90:91], v[65:68], off
	buffer_load_dword v65, off, s[24:27], 0 offset:376 ; 4-byte Folded Reload
	s_nop 0
	buffer_load_dword v66, off, s[24:27], 0 offset:380 ; 4-byte Folded Reload
	buffer_load_dword v67, off, s[24:27], 0 offset:384 ; 4-byte Folded Reload
	;; [unrolled: 1-line block ×3, first 2 shown]
	v_add_co_u32_e32 v90, vcc, s8, v90
	v_addc_co_u32_e32 v91, vcc, v91, v0, vcc
	s_waitcnt vmcnt(0)
	global_store_dwordx4 v[90:91], v[65:68], off
	buffer_load_dword v65, off, s[24:27], 0 offset:360 ; 4-byte Folded Reload
	s_nop 0
	buffer_load_dword v66, off, s[24:27], 0 offset:364 ; 4-byte Folded Reload
	buffer_load_dword v67, off, s[24:27], 0 offset:368 ; 4-byte Folded Reload
	;; [unrolled: 1-line block ×3, first 2 shown]
	v_add_u32_e32 v90, s16, v94
	v_ashrrev_i32_e32 v91, 31, v90
	v_lshlrev_b64 v[91:92], 4, v[90:91]
	v_add_u32_e32 v90, s2, v90
	v_add_co_u32_e32 v91, vcc, v127, v91
	v_addc_co_u32_e32 v92, vcc, v89, v92, vcc
	s_waitcnt vmcnt(0)
	global_store_dwordx4 v[91:92], v[65:68], off
	buffer_load_dword v65, off, s[24:27], 0 offset:336 ; 4-byte Folded Reload
	s_nop 0
	buffer_load_dword v66, off, s[24:27], 0 offset:340 ; 4-byte Folded Reload
	buffer_load_dword v67, off, s[24:27], 0 offset:344 ; 4-byte Folded Reload
	buffer_load_dword v68, off, s[24:27], 0 offset:348 ; 4-byte Folded Reload
	v_ashrrev_i32_e32 v91, 31, v90
	v_lshlrev_b64 v[91:92], 4, v[90:91]
	v_add_u32_e32 v90, s2, v90
	v_add_co_u32_e32 v91, vcc, v127, v91
	v_addc_co_u32_e32 v92, vcc, v89, v92, vcc
	s_waitcnt vmcnt(0)
	global_store_dwordx4 v[91:92], v[65:68], off
	buffer_load_dword v65, off, s[24:27], 0 offset:320 ; 4-byte Folded Reload
	s_nop 0
	buffer_load_dword v66, off, s[24:27], 0 offset:324 ; 4-byte Folded Reload
	buffer_load_dword v67, off, s[24:27], 0 offset:328 ; 4-byte Folded Reload
	buffer_load_dword v68, off, s[24:27], 0 offset:332 ; 4-byte Folded Reload
	v_ashrrev_i32_e32 v91, 31, v90
	v_lshlrev_b64 v[91:92], 4, v[90:91]
	v_add_u32_e32 v90, s2, v90
	v_add_co_u32_e32 v91, vcc, v127, v91
	v_addc_co_u32_e32 v92, vcc, v89, v92, vcc
	s_waitcnt vmcnt(0)
	global_store_dwordx4 v[91:92], v[65:68], off
	buffer_load_dword v65, off, s[24:27], 0 offset:304 ; 4-byte Folded Reload
	s_nop 0
	buffer_load_dword v66, off, s[24:27], 0 offset:308 ; 4-byte Folded Reload
	buffer_load_dword v67, off, s[24:27], 0 offset:312 ; 4-byte Folded Reload
	buffer_load_dword v68, off, s[24:27], 0 offset:316 ; 4-byte Folded Reload
	v_ashrrev_i32_e32 v91, 31, v90
	v_lshlrev_b64 v[91:92], 4, v[90:91]
	v_add_u32_e32 v90, s2, v90
	v_add_co_u32_e32 v91, vcc, v127, v91
	v_addc_co_u32_e32 v92, vcc, v89, v92, vcc
	s_waitcnt vmcnt(0)
	global_store_dwordx4 v[91:92], v[65:68], off
	buffer_load_dword v65, off, s[24:27], 0 offset:288 ; 4-byte Folded Reload
	s_nop 0
	buffer_load_dword v66, off, s[24:27], 0 offset:292 ; 4-byte Folded Reload
	buffer_load_dword v67, off, s[24:27], 0 offset:296 ; 4-byte Folded Reload
	buffer_load_dword v68, off, s[24:27], 0 offset:300 ; 4-byte Folded Reload
	v_ashrrev_i32_e32 v91, 31, v90
	v_lshlrev_b64 v[91:92], 4, v[90:91]
	v_add_u32_e32 v90, s2, v90
	v_add_co_u32_e32 v91, vcc, v127, v91
	v_addc_co_u32_e32 v92, vcc, v89, v92, vcc
	s_waitcnt vmcnt(0)
	global_store_dwordx4 v[91:92], v[65:68], off
	buffer_load_dword v65, off, s[24:27], 0 offset:272 ; 4-byte Folded Reload
	s_nop 0
	buffer_load_dword v66, off, s[24:27], 0 offset:276 ; 4-byte Folded Reload
	buffer_load_dword v67, off, s[24:27], 0 offset:280 ; 4-byte Folded Reload
	buffer_load_dword v68, off, s[24:27], 0 offset:284 ; 4-byte Folded Reload
	v_ashrrev_i32_e32 v91, 31, v90
	v_lshlrev_b64 v[91:92], 4, v[90:91]
	v_add_u32_e32 v90, s2, v90
	v_add_co_u32_e32 v91, vcc, v127, v91
	v_addc_co_u32_e32 v92, vcc, v89, v92, vcc
	s_waitcnt vmcnt(0)
	global_store_dwordx4 v[91:92], v[65:68], off
	buffer_load_dword v65, off, s[24:27], 0 offset:256 ; 4-byte Folded Reload
	s_nop 0
	buffer_load_dword v66, off, s[24:27], 0 offset:260 ; 4-byte Folded Reload
	buffer_load_dword v67, off, s[24:27], 0 offset:264 ; 4-byte Folded Reload
	buffer_load_dword v68, off, s[24:27], 0 offset:268 ; 4-byte Folded Reload
	v_ashrrev_i32_e32 v91, 31, v90
	v_lshlrev_b64 v[91:92], 4, v[90:91]
	v_add_u32_e32 v90, s2, v90
	v_add_co_u32_e32 v91, vcc, v127, v91
	v_addc_co_u32_e32 v92, vcc, v89, v92, vcc
	s_waitcnt vmcnt(0)
	global_store_dwordx4 v[91:92], v[65:68], off
	buffer_load_dword v65, off, s[24:27], 0 offset:240 ; 4-byte Folded Reload
	s_nop 0
	buffer_load_dword v66, off, s[24:27], 0 offset:244 ; 4-byte Folded Reload
	buffer_load_dword v67, off, s[24:27], 0 offset:248 ; 4-byte Folded Reload
	buffer_load_dword v68, off, s[24:27], 0 offset:252 ; 4-byte Folded Reload
	v_ashrrev_i32_e32 v91, 31, v90
	v_lshlrev_b64 v[91:92], 4, v[90:91]
	v_add_u32_e32 v90, s2, v90
	v_add_co_u32_e32 v91, vcc, v127, v91
	v_addc_co_u32_e32 v92, vcc, v89, v92, vcc
	s_waitcnt vmcnt(0)
	global_store_dwordx4 v[91:92], v[65:68], off
	buffer_load_dword v65, off, s[24:27], 0 offset:224 ; 4-byte Folded Reload
	s_nop 0
	buffer_load_dword v66, off, s[24:27], 0 offset:228 ; 4-byte Folded Reload
	buffer_load_dword v67, off, s[24:27], 0 offset:232 ; 4-byte Folded Reload
	buffer_load_dword v68, off, s[24:27], 0 offset:236 ; 4-byte Folded Reload
	v_ashrrev_i32_e32 v91, 31, v90
	v_lshlrev_b64 v[91:92], 4, v[90:91]
	v_add_u32_e32 v90, s2, v90
	v_add_co_u32_e32 v91, vcc, v127, v91
	v_addc_co_u32_e32 v92, vcc, v89, v92, vcc
	s_waitcnt vmcnt(0)
	global_store_dwordx4 v[91:92], v[65:68], off
	buffer_load_dword v65, off, s[24:27], 0 offset:208 ; 4-byte Folded Reload
	s_nop 0
	buffer_load_dword v66, off, s[24:27], 0 offset:212 ; 4-byte Folded Reload
	buffer_load_dword v67, off, s[24:27], 0 offset:216 ; 4-byte Folded Reload
	buffer_load_dword v68, off, s[24:27], 0 offset:220 ; 4-byte Folded Reload
	v_ashrrev_i32_e32 v91, 31, v90
	v_lshlrev_b64 v[91:92], 4, v[90:91]
	v_add_u32_e32 v90, s2, v90
	v_add_co_u32_e32 v91, vcc, v127, v91
	v_addc_co_u32_e32 v92, vcc, v89, v92, vcc
	s_waitcnt vmcnt(0)
	global_store_dwordx4 v[91:92], v[65:68], off
	buffer_load_dword v65, off, s[24:27], 0 offset:192 ; 4-byte Folded Reload
	s_nop 0
	buffer_load_dword v66, off, s[24:27], 0 offset:196 ; 4-byte Folded Reload
	buffer_load_dword v67, off, s[24:27], 0 offset:200 ; 4-byte Folded Reload
	buffer_load_dword v68, off, s[24:27], 0 offset:204 ; 4-byte Folded Reload
	v_ashrrev_i32_e32 v91, 31, v90
	v_lshlrev_b64 v[91:92], 4, v[90:91]
	v_add_u32_e32 v90, s2, v90
	v_add_co_u32_e32 v91, vcc, v127, v91
	v_addc_co_u32_e32 v92, vcc, v89, v92, vcc
	s_waitcnt vmcnt(0)
	global_store_dwordx4 v[91:92], v[65:68], off
	buffer_load_dword v65, off, s[24:27], 0 offset:176 ; 4-byte Folded Reload
	s_nop 0
	buffer_load_dword v66, off, s[24:27], 0 offset:180 ; 4-byte Folded Reload
	buffer_load_dword v67, off, s[24:27], 0 offset:184 ; 4-byte Folded Reload
	buffer_load_dword v68, off, s[24:27], 0 offset:188 ; 4-byte Folded Reload
	v_ashrrev_i32_e32 v91, 31, v90
	v_lshlrev_b64 v[91:92], 4, v[90:91]
	v_add_u32_e32 v90, s2, v90
	v_add_co_u32_e32 v91, vcc, v127, v91
	v_addc_co_u32_e32 v92, vcc, v89, v92, vcc
	s_waitcnt vmcnt(0)
	global_store_dwordx4 v[91:92], v[65:68], off
	buffer_load_dword v65, off, s[24:27], 0 offset:160 ; 4-byte Folded Reload
	s_nop 0
	buffer_load_dword v66, off, s[24:27], 0 offset:164 ; 4-byte Folded Reload
	buffer_load_dword v67, off, s[24:27], 0 offset:168 ; 4-byte Folded Reload
	buffer_load_dword v68, off, s[24:27], 0 offset:172 ; 4-byte Folded Reload
	v_ashrrev_i32_e32 v91, 31, v90
	v_lshlrev_b64 v[91:92], 4, v[90:91]
	v_add_u32_e32 v90, s2, v90
	v_add_co_u32_e32 v91, vcc, v127, v91
	v_addc_co_u32_e32 v92, vcc, v89, v92, vcc
	s_waitcnt vmcnt(0)
	global_store_dwordx4 v[91:92], v[65:68], off
	buffer_load_dword v65, off, s[24:27], 0 offset:144 ; 4-byte Folded Reload
	s_nop 0
	buffer_load_dword v66, off, s[24:27], 0 offset:148 ; 4-byte Folded Reload
	buffer_load_dword v67, off, s[24:27], 0 offset:152 ; 4-byte Folded Reload
	buffer_load_dword v68, off, s[24:27], 0 offset:156 ; 4-byte Folded Reload
	v_ashrrev_i32_e32 v91, 31, v90
	v_lshlrev_b64 v[91:92], 4, v[90:91]
	v_add_u32_e32 v90, s2, v90
	v_add_co_u32_e32 v91, vcc, v127, v91
	v_addc_co_u32_e32 v92, vcc, v89, v92, vcc
	s_waitcnt vmcnt(0)
	global_store_dwordx4 v[91:92], v[65:68], off
	buffer_load_dword v65, off, s[24:27], 0 offset:128 ; 4-byte Folded Reload
	s_nop 0
	buffer_load_dword v66, off, s[24:27], 0 offset:132 ; 4-byte Folded Reload
	buffer_load_dword v67, off, s[24:27], 0 offset:136 ; 4-byte Folded Reload
	buffer_load_dword v68, off, s[24:27], 0 offset:140 ; 4-byte Folded Reload
	v_ashrrev_i32_e32 v91, 31, v90
	v_lshlrev_b64 v[91:92], 4, v[90:91]
	v_add_u32_e32 v90, s2, v90
	v_add_co_u32_e32 v91, vcc, v127, v91
	v_addc_co_u32_e32 v92, vcc, v89, v92, vcc
	s_waitcnt vmcnt(0)
	global_store_dwordx4 v[91:92], v[65:68], off
	buffer_load_dword v65, off, s[24:27], 0 offset:112 ; 4-byte Folded Reload
	s_nop 0
	buffer_load_dword v66, off, s[24:27], 0 offset:116 ; 4-byte Folded Reload
	buffer_load_dword v67, off, s[24:27], 0 offset:120 ; 4-byte Folded Reload
	buffer_load_dword v68, off, s[24:27], 0 offset:124 ; 4-byte Folded Reload
	v_ashrrev_i32_e32 v91, 31, v90
	v_lshlrev_b64 v[91:92], 4, v[90:91]
	v_add_u32_e32 v90, s2, v90
	v_add_co_u32_e32 v91, vcc, v127, v91
	v_addc_co_u32_e32 v92, vcc, v89, v92, vcc
	s_waitcnt vmcnt(0)
	global_store_dwordx4 v[91:92], v[65:68], off
	buffer_load_dword v65, off, s[24:27], 0 offset:96 ; 4-byte Folded Reload
	s_nop 0
	buffer_load_dword v66, off, s[24:27], 0 offset:100 ; 4-byte Folded Reload
	buffer_load_dword v67, off, s[24:27], 0 offset:104 ; 4-byte Folded Reload
	buffer_load_dword v68, off, s[24:27], 0 offset:108 ; 4-byte Folded Reload
	v_ashrrev_i32_e32 v91, 31, v90
	v_lshlrev_b64 v[91:92], 4, v[90:91]
	v_add_u32_e32 v90, s2, v90
	v_add_co_u32_e32 v91, vcc, v127, v91
	v_addc_co_u32_e32 v92, vcc, v89, v92, vcc
	s_waitcnt vmcnt(0)
	global_store_dwordx4 v[91:92], v[65:68], off
	buffer_load_dword v65, off, s[24:27], 0 offset:80 ; 4-byte Folded Reload
	s_nop 0
	buffer_load_dword v66, off, s[24:27], 0 offset:84 ; 4-byte Folded Reload
	buffer_load_dword v67, off, s[24:27], 0 offset:88 ; 4-byte Folded Reload
	buffer_load_dword v68, off, s[24:27], 0 offset:92 ; 4-byte Folded Reload
	v_ashrrev_i32_e32 v91, 31, v90
	v_lshlrev_b64 v[91:92], 4, v[90:91]
	v_add_u32_e32 v90, s2, v90
	v_add_co_u32_e32 v91, vcc, v127, v91
	v_addc_co_u32_e32 v92, vcc, v89, v92, vcc
	s_waitcnt vmcnt(0)
	global_store_dwordx4 v[91:92], v[65:68], off
	buffer_load_dword v65, off, s[24:27], 0 offset:64 ; 4-byte Folded Reload
	s_nop 0
	buffer_load_dword v66, off, s[24:27], 0 offset:68 ; 4-byte Folded Reload
	buffer_load_dword v67, off, s[24:27], 0 offset:72 ; 4-byte Folded Reload
	buffer_load_dword v68, off, s[24:27], 0 offset:76 ; 4-byte Folded Reload
	v_ashrrev_i32_e32 v91, 31, v90
	v_lshlrev_b64 v[91:92], 4, v[90:91]
	v_add_u32_e32 v90, s2, v90
	v_add_co_u32_e32 v91, vcc, v127, v91
	v_addc_co_u32_e32 v92, vcc, v89, v92, vcc
	s_waitcnt vmcnt(0)
	global_store_dwordx4 v[91:92], v[65:68], off
	buffer_load_dword v65, off, s[24:27], 0 offset:48 ; 4-byte Folded Reload
	s_nop 0
	buffer_load_dword v66, off, s[24:27], 0 offset:52 ; 4-byte Folded Reload
	buffer_load_dword v67, off, s[24:27], 0 offset:56 ; 4-byte Folded Reload
	buffer_load_dword v68, off, s[24:27], 0 offset:60 ; 4-byte Folded Reload
	v_ashrrev_i32_e32 v91, 31, v90
	v_lshlrev_b64 v[91:92], 4, v[90:91]
	v_add_u32_e32 v90, s2, v90
	v_add_co_u32_e32 v91, vcc, v127, v91
	v_addc_co_u32_e32 v92, vcc, v89, v92, vcc
	s_waitcnt vmcnt(0)
	global_store_dwordx4 v[91:92], v[65:68], off
	buffer_load_dword v65, off, s[24:27], 0 offset:32 ; 4-byte Folded Reload
	s_nop 0
	buffer_load_dword v66, off, s[24:27], 0 offset:36 ; 4-byte Folded Reload
	buffer_load_dword v67, off, s[24:27], 0 offset:40 ; 4-byte Folded Reload
	buffer_load_dword v68, off, s[24:27], 0 offset:44 ; 4-byte Folded Reload
	v_ashrrev_i32_e32 v91, 31, v90
	v_lshlrev_b64 v[91:92], 4, v[90:91]
	v_add_u32_e32 v90, s2, v90
	v_add_co_u32_e32 v91, vcc, v127, v91
	v_addc_co_u32_e32 v92, vcc, v89, v92, vcc
	s_waitcnt vmcnt(0)
	global_store_dwordx4 v[91:92], v[65:68], off
	buffer_load_dword v65, off, s[24:27], 0 offset:16 ; 4-byte Folded Reload
	s_nop 0
	buffer_load_dword v66, off, s[24:27], 0 offset:20 ; 4-byte Folded Reload
	buffer_load_dword v67, off, s[24:27], 0 offset:24 ; 4-byte Folded Reload
	buffer_load_dword v68, off, s[24:27], 0 offset:28 ; 4-byte Folded Reload
	v_ashrrev_i32_e32 v91, 31, v90
	v_lshlrev_b64 v[91:92], 4, v[90:91]
	v_add_u32_e32 v90, s2, v90
	v_add_co_u32_e32 v91, vcc, v127, v91
	v_addc_co_u32_e32 v92, vcc, v89, v92, vcc
	s_waitcnt vmcnt(0)
	global_store_dwordx4 v[91:92], v[65:68], off
	v_ashrrev_i32_e32 v91, 31, v90
	v_lshlrev_b64 v[91:92], 4, v[90:91]
	v_add_u32_e32 v90, s2, v90
	v_add_co_u32_e32 v91, vcc, v127, v91
	v_addc_co_u32_e32 v92, vcc, v89, v92, vcc
	global_store_dwordx4 v[91:92], v[85:88], off
	v_ashrrev_i32_e32 v91, 31, v90
	v_lshlrev_b64 v[91:92], 4, v[90:91]
	v_add_u32_e32 v90, s2, v90
	v_add_co_u32_e32 v91, vcc, v127, v91
	v_addc_co_u32_e32 v92, vcc, v89, v92, vcc
	global_store_dwordx4 v[91:92], v[107:110], off
	v_ashrrev_i32_e32 v91, 31, v90
	v_lshlrev_b64 v[91:92], 4, v[90:91]
	v_add_u32_e32 v85, s2, v90
	v_ashrrev_i32_e32 v86, 31, v85
	v_add_co_u32_e32 v91, vcc, v127, v91
	v_lshlrev_b64 v[86:87], 4, v[85:86]
	v_addc_co_u32_e32 v92, vcc, v89, v92, vcc
	v_add_co_u32_e32 v86, vcc, v127, v86
	v_addc_co_u32_e32 v87, vcc, v89, v87, vcc
	global_store_dwordx4 v[91:92], v[113:116], off
	global_store_dwordx4 v[86:87], v[81:84], off
	s_nop 0
	v_add_u32_e32 v81, s2, v85
	v_ashrrev_i32_e32 v82, 31, v81
	v_lshlrev_b64 v[82:83], 4, v[81:82]
	v_add_co_u32_e32 v82, vcc, v127, v82
	v_addc_co_u32_e32 v83, vcc, v89, v83, vcc
	global_store_dwordx4 v[82:83], v[77:80], off
	s_nop 0
	v_add_u32_e32 v77, s2, v81
	v_ashrrev_i32_e32 v78, 31, v77
	v_lshlrev_b64 v[78:79], 4, v[77:78]
	v_add_co_u32_e32 v78, vcc, v127, v78
	v_addc_co_u32_e32 v79, vcc, v89, v79, vcc
	;; [unrolled: 7-line block ×3, first 2 shown]
	global_store_dwordx4 v[74:75], v[69:72], off
	buffer_load_dword v65, off, s[24:27], 0 ; 4-byte Folded Reload
	buffer_load_dword v66, off, s[24:27], 0 offset:4 ; 4-byte Folded Reload
	buffer_load_dword v67, off, s[24:27], 0 offset:8 ; 4-byte Folded Reload
	;; [unrolled: 1-line block ×3, first 2 shown]
	v_add_u32_e32 v69, s2, v73
	v_ashrrev_i32_e32 v70, 31, v69
	v_lshlrev_b64 v[70:71], 4, v[69:70]
	v_add_co_u32_e32 v70, vcc, v127, v70
	v_addc_co_u32_e32 v71, vcc, v89, v71, vcc
	s_waitcnt vmcnt(0)
	global_store_dwordx4 v[70:71], v[65:68], off
	s_nop 0
	v_add_u32_e32 v65, s2, v69
	v_ashrrev_i32_e32 v66, 31, v65
	v_lshlrev_b64 v[66:67], 4, v[65:66]
	v_add_co_u32_e32 v66, vcc, v127, v66
	v_addc_co_u32_e32 v67, vcc, v89, v67, vcc
	global_store_dwordx4 v[66:67], v[61:64], off
	s_nop 0
	v_add_u32_e32 v61, s2, v65
	v_ashrrev_i32_e32 v62, 31, v61
	v_lshlrev_b64 v[62:63], 4, v[61:62]
	v_add_co_u32_e32 v62, vcc, v127, v62
	v_addc_co_u32_e32 v63, vcc, v89, v63, vcc
	;; [unrolled: 7-line block ×15, first 2 shown]
	global_store_dwordx4 v[10:11], v[5:8], off
	s_nop 0
	v_add_u32_e32 v5, s2, v9
	v_ashrrev_i32_e32 v6, 31, v5
	v_lshlrev_b64 v[6:7], 4, v[5:6]
	v_add_u32_e32 v0, s2, v5
	v_add_co_u32_e32 v6, vcc, v127, v6
	v_addc_co_u32_e32 v7, vcc, v89, v7, vcc
	global_store_dwordx4 v[6:7], v[1:4], off
	s_nop 0
	v_ashrrev_i32_e32 v1, 31, v0
	v_lshlrev_b64 v[0:1], 4, v[0:1]
	v_add_co_u32_e32 v0, vcc, v127, v0
	v_addc_co_u32_e32 v1, vcc, v89, v1, vcc
	global_store_dwordx4 v[0:1], v[117:120], off
.LBB96_1030:
	s_endpgm
	.section	.rodata,"a",@progbits
	.p2align	6, 0x0
	.amdhsa_kernel _ZN9rocsolver6v33100L18getf2_small_kernelILi49E19rocblas_complex_numIdEiiPS3_EEvT1_T3_lS5_lPS5_llPT2_S5_S5_S7_l
		.amdhsa_group_segment_fixed_size 0
		.amdhsa_private_segment_fixed_size 428
		.amdhsa_kernarg_size 352
		.amdhsa_user_sgpr_count 6
		.amdhsa_user_sgpr_private_segment_buffer 1
		.amdhsa_user_sgpr_dispatch_ptr 0
		.amdhsa_user_sgpr_queue_ptr 0
		.amdhsa_user_sgpr_kernarg_segment_ptr 1
		.amdhsa_user_sgpr_dispatch_id 0
		.amdhsa_user_sgpr_flat_scratch_init 0
		.amdhsa_user_sgpr_private_segment_size 0
		.amdhsa_uses_dynamic_stack 0
		.amdhsa_system_sgpr_private_segment_wavefront_offset 1
		.amdhsa_system_sgpr_workgroup_id_x 1
		.amdhsa_system_sgpr_workgroup_id_y 1
		.amdhsa_system_sgpr_workgroup_id_z 0
		.amdhsa_system_sgpr_workgroup_info 0
		.amdhsa_system_vgpr_workitem_id 1
		.amdhsa_next_free_vgpr 128
		.amdhsa_next_free_sgpr 30
		.amdhsa_reserve_vcc 1
		.amdhsa_reserve_flat_scratch 0
		.amdhsa_float_round_mode_32 0
		.amdhsa_float_round_mode_16_64 0
		.amdhsa_float_denorm_mode_32 3
		.amdhsa_float_denorm_mode_16_64 3
		.amdhsa_dx10_clamp 1
		.amdhsa_ieee_mode 1
		.amdhsa_fp16_overflow 0
		.amdhsa_exception_fp_ieee_invalid_op 0
		.amdhsa_exception_fp_denorm_src 0
		.amdhsa_exception_fp_ieee_div_zero 0
		.amdhsa_exception_fp_ieee_overflow 0
		.amdhsa_exception_fp_ieee_underflow 0
		.amdhsa_exception_fp_ieee_inexact 0
		.amdhsa_exception_int_div_zero 0
	.end_amdhsa_kernel
	.section	.text._ZN9rocsolver6v33100L18getf2_small_kernelILi49E19rocblas_complex_numIdEiiPS3_EEvT1_T3_lS5_lPS5_llPT2_S5_S5_S7_l,"axG",@progbits,_ZN9rocsolver6v33100L18getf2_small_kernelILi49E19rocblas_complex_numIdEiiPS3_EEvT1_T3_lS5_lPS5_llPT2_S5_S5_S7_l,comdat
.Lfunc_end96:
	.size	_ZN9rocsolver6v33100L18getf2_small_kernelILi49E19rocblas_complex_numIdEiiPS3_EEvT1_T3_lS5_lPS5_llPT2_S5_S5_S7_l, .Lfunc_end96-_ZN9rocsolver6v33100L18getf2_small_kernelILi49E19rocblas_complex_numIdEiiPS3_EEvT1_T3_lS5_lPS5_llPT2_S5_S5_S7_l
                                        ; -- End function
	.set _ZN9rocsolver6v33100L18getf2_small_kernelILi49E19rocblas_complex_numIdEiiPS3_EEvT1_T3_lS5_lPS5_llPT2_S5_S5_S7_l.num_vgpr, 128
	.set _ZN9rocsolver6v33100L18getf2_small_kernelILi49E19rocblas_complex_numIdEiiPS3_EEvT1_T3_lS5_lPS5_llPT2_S5_S5_S7_l.num_agpr, 0
	.set _ZN9rocsolver6v33100L18getf2_small_kernelILi49E19rocblas_complex_numIdEiiPS3_EEvT1_T3_lS5_lPS5_llPT2_S5_S5_S7_l.numbered_sgpr, 30
	.set _ZN9rocsolver6v33100L18getf2_small_kernelILi49E19rocblas_complex_numIdEiiPS3_EEvT1_T3_lS5_lPS5_llPT2_S5_S5_S7_l.num_named_barrier, 0
	.set _ZN9rocsolver6v33100L18getf2_small_kernelILi49E19rocblas_complex_numIdEiiPS3_EEvT1_T3_lS5_lPS5_llPT2_S5_S5_S7_l.private_seg_size, 428
	.set _ZN9rocsolver6v33100L18getf2_small_kernelILi49E19rocblas_complex_numIdEiiPS3_EEvT1_T3_lS5_lPS5_llPT2_S5_S5_S7_l.uses_vcc, 1
	.set _ZN9rocsolver6v33100L18getf2_small_kernelILi49E19rocblas_complex_numIdEiiPS3_EEvT1_T3_lS5_lPS5_llPT2_S5_S5_S7_l.uses_flat_scratch, 0
	.set _ZN9rocsolver6v33100L18getf2_small_kernelILi49E19rocblas_complex_numIdEiiPS3_EEvT1_T3_lS5_lPS5_llPT2_S5_S5_S7_l.has_dyn_sized_stack, 0
	.set _ZN9rocsolver6v33100L18getf2_small_kernelILi49E19rocblas_complex_numIdEiiPS3_EEvT1_T3_lS5_lPS5_llPT2_S5_S5_S7_l.has_recursion, 0
	.set _ZN9rocsolver6v33100L18getf2_small_kernelILi49E19rocblas_complex_numIdEiiPS3_EEvT1_T3_lS5_lPS5_llPT2_S5_S5_S7_l.has_indirect_call, 0
	.section	.AMDGPU.csdata,"",@progbits
; Kernel info:
; codeLenInByte = 169256
; TotalNumSgprs: 34
; NumVgprs: 128
; ScratchSize: 428
; MemoryBound: 0
; FloatMode: 240
; IeeeMode: 1
; LDSByteSize: 0 bytes/workgroup (compile time only)
; SGPRBlocks: 4
; VGPRBlocks: 31
; NumSGPRsForWavesPerEU: 34
; NumVGPRsForWavesPerEU: 128
; Occupancy: 2
; WaveLimiterHint : 0
; COMPUTE_PGM_RSRC2:SCRATCH_EN: 1
; COMPUTE_PGM_RSRC2:USER_SGPR: 6
; COMPUTE_PGM_RSRC2:TRAP_HANDLER: 0
; COMPUTE_PGM_RSRC2:TGID_X_EN: 1
; COMPUTE_PGM_RSRC2:TGID_Y_EN: 1
; COMPUTE_PGM_RSRC2:TGID_Z_EN: 0
; COMPUTE_PGM_RSRC2:TIDIG_COMP_CNT: 1
	.section	.text._ZN9rocsolver6v33100L23getf2_npvt_small_kernelILi49E19rocblas_complex_numIdEiiPS3_EEvT1_T3_lS5_lPT2_S5_S5_,"axG",@progbits,_ZN9rocsolver6v33100L23getf2_npvt_small_kernelILi49E19rocblas_complex_numIdEiiPS3_EEvT1_T3_lS5_lPT2_S5_S5_,comdat
	.globl	_ZN9rocsolver6v33100L23getf2_npvt_small_kernelILi49E19rocblas_complex_numIdEiiPS3_EEvT1_T3_lS5_lPT2_S5_S5_ ; -- Begin function _ZN9rocsolver6v33100L23getf2_npvt_small_kernelILi49E19rocblas_complex_numIdEiiPS3_EEvT1_T3_lS5_lPT2_S5_S5_
	.p2align	8
	.type	_ZN9rocsolver6v33100L23getf2_npvt_small_kernelILi49E19rocblas_complex_numIdEiiPS3_EEvT1_T3_lS5_lPT2_S5_S5_,@function
_ZN9rocsolver6v33100L23getf2_npvt_small_kernelILi49E19rocblas_complex_numIdEiiPS3_EEvT1_T3_lS5_lPT2_S5_S5_: ; @_ZN9rocsolver6v33100L23getf2_npvt_small_kernelILi49E19rocblas_complex_numIdEiiPS3_EEvT1_T3_lS5_lPT2_S5_S5_
; %bb.0:
	s_mov_b64 s[22:23], s[2:3]
	s_mov_b64 s[20:21], s[0:1]
	s_load_dword s0, s[4:5], 0x44
	s_load_dwordx2 s[12:13], s[4:5], 0x30
	s_add_u32 s20, s20, s8
	s_addc_u32 s21, s21, 0
	s_waitcnt lgkmcnt(0)
	s_lshr_b32 s2, s0, 16
	s_mul_i32 s7, s7, s2
	v_add_u32_e32 v87, s7, v1
	v_cmp_gt_i32_e32 vcc, s12, v87
	s_and_saveexec_b64 s[0:1], vcc
	s_cbranch_execnz .LBB97_1
; %bb.445:
	s_getpc_b64 s[0:1]
.Lpost_getpc11:
	s_add_u32 s0, s0, (.LBB97_444-.Lpost_getpc11)&4294967295
	s_addc_u32 s1, s1, (.LBB97_444-.Lpost_getpc11)>>32
	s_setpc_b64 s[0:1]
.LBB97_1:
	s_load_dwordx4 s[8:11], s[4:5], 0x20
	s_load_dwordx4 s[16:19], s[4:5], 0x8
	v_ashrrev_i32_e32 v88, 31, v87
	s_mulk_i32 s2, 0x310
	s_waitcnt lgkmcnt(0)
	v_mul_lo_u32 v4, s9, v87
	v_mul_lo_u32 v5, s8, v88
	v_mad_u64_u32 v[2:3], s[0:1], s8, v87, 0
	s_load_dword s0, s[4:5], 0x18
	v_mov_b32_e32 v6, s17
	v_add3_u32 v3, v3, v5, v4
	v_lshlrev_b64 v[2:3], 4, v[2:3]
	s_lshl_b64 s[4:5], s[18:19], 4
	v_add_co_u32_e32 v2, vcc, s16, v2
	v_addc_co_u32_e32 v3, vcc, v6, v3, vcc
	v_mov_b32_e32 v4, s5
	v_add_co_u32_e32 v2, vcc, s4, v2
	s_waitcnt lgkmcnt(0)
	s_add_i32 s1, s0, s0
	v_addc_co_u32_e32 v3, vcc, v3, v4, vcc
	v_add_u32_e32 v4, s1, v0
	v_ashrrev_i32_e32 v5, 31, v4
	v_lshlrev_b64 v[5:6], 4, v[4:5]
	v_add_u32_e32 v4, s0, v4
	v_add_co_u32_e32 v91, vcc, v2, v5
	v_ashrrev_i32_e32 v5, 31, v4
	v_addc_co_u32_e32 v92, vcc, v3, v6, vcc
	v_lshlrev_b64 v[5:6], 4, v[4:5]
	v_add_u32_e32 v4, s0, v4
	v_add_co_u32_e32 v61, vcc, v2, v5
	v_ashrrev_i32_e32 v5, 31, v4
	v_addc_co_u32_e32 v62, vcc, v3, v6, vcc
	;; [unrolled: 5-line block ×45, first 2 shown]
	v_lshlrev_b64 v[5:6], 4, v[4:5]
	v_add_u32_e32 v4, s0, v4
	v_add_co_u32_e32 v115, vcc, v2, v5
	v_ashrrev_i32_e32 v5, 31, v4
	v_lshlrev_b64 v[4:5], 4, v[4:5]
	v_addc_co_u32_e32 v116, vcc, v3, v6, vcc
	v_add_co_u32_e32 v121, vcc, v2, v4
	v_addc_co_u32_e32 v122, vcc, v3, v5, vcc
	v_lshlrev_b32_e32 v4, 4, v0
	v_add_co_u32_e32 v4, vcc, v2, v4
	s_ashr_i32 s1, s0, 31
	v_addc_co_u32_e32 v5, vcc, 0, v3, vcc
	s_lshl_b64 s[0:1], s[0:1], 4
	v_mov_b32_e32 v2, s1
	v_add_co_u32_e32 v65, vcc, s0, v4
	v_addc_co_u32_e32 v66, vcc, v5, v2, vcc
	buffer_store_dword v4, off, s[20:23], 0 offset:784 ; 4-byte Folded Spill
	s_nop 0
	buffer_store_dword v5, off, s[20:23], 0 offset:788 ; 4-byte Folded Spill
	s_movk_i32 s0, 0x310
	s_add_i32 s1, s2, 0
	v_mad_u32_u24 v125, v1, s0, 0
	v_lshl_add_u32 v127, v1, 4, s1
	v_cmp_ne_u32_e64 s[2:3], 0, v0
	v_cmp_eq_u32_e64 s[0:1], 0, v0
	global_load_dwordx4 v[1:4], v[4:5], off
	s_waitcnt vmcnt(0)
	buffer_store_dword v1, off, s[20:23], 0 offset:400 ; 4-byte Folded Spill
	s_nop 0
	buffer_store_dword v2, off, s[20:23], 0 offset:404 ; 4-byte Folded Spill
	buffer_store_dword v3, off, s[20:23], 0 offset:408 ; 4-byte Folded Spill
	;; [unrolled: 1-line block ×4, first 2 shown]
	s_nop 0
	buffer_store_dword v66, off, s[20:23], 0 offset:796 ; 4-byte Folded Spill
	global_load_dwordx4 v[1:4], v[65:66], off
	s_waitcnt vmcnt(0)
	buffer_store_dword v1, off, s[20:23], 0 offset:384 ; 4-byte Folded Spill
	s_nop 0
	buffer_store_dword v2, off, s[20:23], 0 offset:388 ; 4-byte Folded Spill
	buffer_store_dword v3, off, s[20:23], 0 offset:392 ; 4-byte Folded Spill
	;; [unrolled: 1-line block ×3, first 2 shown]
	global_load_dwordx4 v[1:4], v[91:92], off
	s_waitcnt vmcnt(0)
	buffer_store_dword v1, off, s[20:23], 0 offset:368 ; 4-byte Folded Spill
	s_nop 0
	buffer_store_dword v2, off, s[20:23], 0 offset:372 ; 4-byte Folded Spill
	buffer_store_dword v3, off, s[20:23], 0 offset:376 ; 4-byte Folded Spill
	buffer_store_dword v4, off, s[20:23], 0 offset:380 ; 4-byte Folded Spill
	buffer_store_dword v61, off, s[20:23], 0 offset:776 ; 4-byte Folded Spill
	s_nop 0
	buffer_store_dword v62, off, s[20:23], 0 offset:780 ; 4-byte Folded Spill
	global_load_dwordx4 v[1:4], v[61:62], off
	s_waitcnt vmcnt(0)
	buffer_store_dword v1, off, s[20:23], 0 offset:352 ; 4-byte Folded Spill
	s_nop 0
	buffer_store_dword v2, off, s[20:23], 0 offset:356 ; 4-byte Folded Spill
	buffer_store_dword v3, off, s[20:23], 0 offset:360 ; 4-byte Folded Spill
	buffer_store_dword v4, off, s[20:23], 0 offset:364 ; 4-byte Folded Spill
	buffer_store_dword v63, off, s[20:23], 0 offset:768 ; 4-byte Folded Spill
	s_nop 0
	buffer_store_dword v64, off, s[20:23], 0 offset:772 ; 4-byte Folded Spill
	;; [unrolled: 10-line block ×3, first 2 shown]
	global_load_dwordx4 v[1:4], v[7:8], off
	s_waitcnt vmcnt(0)
	buffer_store_dword v1, off, s[20:23], 0 offset:320 ; 4-byte Folded Spill
	s_nop 0
	buffer_store_dword v2, off, s[20:23], 0 offset:324 ; 4-byte Folded Spill
	buffer_store_dword v3, off, s[20:23], 0 offset:328 ; 4-byte Folded Spill
	;; [unrolled: 1-line block ×3, first 2 shown]
	global_load_dwordx4 v[1:4], v[85:86], off
	s_waitcnt vmcnt(0)
	buffer_store_dword v1, off, s[20:23], 0 offset:304 ; 4-byte Folded Spill
	s_nop 0
	buffer_store_dword v2, off, s[20:23], 0 offset:308 ; 4-byte Folded Spill
	buffer_store_dword v3, off, s[20:23], 0 offset:312 ; 4-byte Folded Spill
	buffer_store_dword v4, off, s[20:23], 0 offset:316 ; 4-byte Folded Spill
	buffer_store_dword v9, off, s[20:23], 0 offset:440 ; 4-byte Folded Spill
	s_nop 0
	buffer_store_dword v10, off, s[20:23], 0 offset:444 ; 4-byte Folded Spill
	global_load_dwordx4 v[1:4], v[9:10], off
	s_waitcnt vmcnt(0)
	buffer_store_dword v1, off, s[20:23], 0 offset:288 ; 4-byte Folded Spill
	s_nop 0
	buffer_store_dword v2, off, s[20:23], 0 offset:292 ; 4-byte Folded Spill
	buffer_store_dword v3, off, s[20:23], 0 offset:296 ; 4-byte Folded Spill
	buffer_store_dword v4, off, s[20:23], 0 offset:300 ; 4-byte Folded Spill
	buffer_store_dword v11, off, s[20:23], 0 offset:448 ; 4-byte Folded Spill
	s_nop 0
	buffer_store_dword v12, off, s[20:23], 0 offset:452 ; 4-byte Folded Spill
	;; [unrolled: 10-line block ×17, first 2 shown]
	global_load_dwordx4 v[69:72], v[41:42], off
	global_load_dwordx4 v[117:120], v[81:82], off
	s_nop 0
	buffer_store_dword v43, off, s[20:23], 0 offset:576 ; 4-byte Folded Spill
	s_nop 0
	buffer_store_dword v44, off, s[20:23], 0 offset:580 ; 4-byte Folded Spill
	global_load_dwordx4 v[77:80], v[43:44], off
	s_nop 0
	buffer_store_dword v45, off, s[20:23], 0 offset:584 ; 4-byte Folded Spill
	s_nop 0
	buffer_store_dword v46, off, s[20:23], 0 offset:588 ; 4-byte Folded Spill
	;; [unrolled: 5-line block ×4, first 2 shown]
	global_load_dwordx4 v[5:8], v[49:50], off
	s_waitcnt vmcnt(0)
	buffer_store_dword v5, off, s[20:23], 0 offset:32 ; 4-byte Folded Spill
	s_nop 0
	buffer_store_dword v6, off, s[20:23], 0 offset:36 ; 4-byte Folded Spill
	buffer_store_dword v7, off, s[20:23], 0 offset:40 ; 4-byte Folded Spill
	;; [unrolled: 1-line block ×4, first 2 shown]
	s_nop 0
	buffer_store_dword v52, off, s[20:23], 0 offset:612 ; 4-byte Folded Spill
	global_load_dwordx4 v[5:8], v[51:52], off
	s_waitcnt vmcnt(0)
	buffer_store_dword v5, off, s[20:23], 0 offset:16 ; 4-byte Folded Spill
	s_nop 0
	buffer_store_dword v6, off, s[20:23], 0 offset:20 ; 4-byte Folded Spill
	buffer_store_dword v7, off, s[20:23], 0 offset:24 ; 4-byte Folded Spill
	;; [unrolled: 1-line block ×4, first 2 shown]
	s_nop 0
	buffer_store_dword v54, off, s[20:23], 0 offset:620 ; 4-byte Folded Spill
	global_load_dwordx4 v[5:8], v[53:54], off
	s_waitcnt vmcnt(0)
	buffer_store_dword v5, off, s[20:23], 0 ; 4-byte Folded Spill
	s_nop 0
	buffer_store_dword v6, off, s[20:23], 0 offset:4 ; 4-byte Folded Spill
	buffer_store_dword v7, off, s[20:23], 0 offset:8 ; 4-byte Folded Spill
	;; [unrolled: 1-line block ×4, first 2 shown]
	s_nop 0
	buffer_store_dword v56, off, s[20:23], 0 offset:628 ; 4-byte Folded Spill
	global_load_dwordx4 v[65:68], v[55:56], off
	s_nop 0
	buffer_store_dword v57, off, s[20:23], 0 offset:632 ; 4-byte Folded Spill
	s_nop 0
	buffer_store_dword v58, off, s[20:23], 0 offset:636 ; 4-byte Folded Spill
	global_load_dwordx4 v[61:64], v[57:58], off
	s_nop 0
	buffer_store_dword v59, off, s[20:23], 0 offset:640 ; 4-byte Folded Spill
	;; [unrolled: 5-line block ×7, first 2 shown]
	s_nop 0
	buffer_store_dword v98, off, s[20:23], 0 offset:684 ; 4-byte Folded Spill
	v_mov_b32_e32 v96, v4
	v_mov_b32_e32 v95, v3
	;; [unrolled: 1-line block ×4, first 2 shown]
	global_load_dwordx4 v[33:36], v[97:98], off
	s_nop 0
	buffer_store_dword v99, off, s[20:23], 0 offset:688 ; 4-byte Folded Spill
	s_nop 0
	buffer_store_dword v100, off, s[20:23], 0 offset:692 ; 4-byte Folded Spill
	global_load_dwordx4 v[29:32], v[99:100], off
	s_nop 0
	buffer_store_dword v101, off, s[20:23], 0 offset:696 ; 4-byte Folded Spill
	s_nop 0
	buffer_store_dword v102, off, s[20:23], 0 offset:700 ; 4-byte Folded Spill
	global_load_dwordx4 v[25:28], v[101:102], off
	s_nop 0
	buffer_store_dword v103, off, s[20:23], 0 offset:704 ; 4-byte Folded Spill
	s_nop 0
	buffer_store_dword v104, off, s[20:23], 0 offset:708 ; 4-byte Folded Spill
	global_load_dwordx4 v[21:24], v[103:104], off
	s_nop 0
	buffer_store_dword v105, off, s[20:23], 0 offset:712 ; 4-byte Folded Spill
	s_nop 0
	buffer_store_dword v106, off, s[20:23], 0 offset:716 ; 4-byte Folded Spill
	global_load_dwordx4 v[17:20], v[105:106], off
	s_nop 0
	buffer_store_dword v107, off, s[20:23], 0 offset:720 ; 4-byte Folded Spill
	s_nop 0
	buffer_store_dword v108, off, s[20:23], 0 offset:724 ; 4-byte Folded Spill
	global_load_dwordx4 v[13:16], v[107:108], off
	s_nop 0
	buffer_store_dword v109, off, s[20:23], 0 offset:728 ; 4-byte Folded Spill
	s_nop 0
	buffer_store_dword v110, off, s[20:23], 0 offset:732 ; 4-byte Folded Spill
	global_load_dwordx4 v[9:12], v[109:110], off
	s_nop 0
	buffer_store_dword v111, off, s[20:23], 0 offset:736 ; 4-byte Folded Spill
	s_nop 0
	buffer_store_dword v112, off, s[20:23], 0 offset:740 ; 4-byte Folded Spill
	global_load_dwordx4 v[5:8], v[111:112], off
	s_nop 0
	buffer_store_dword v113, off, s[20:23], 0 offset:744 ; 4-byte Folded Spill
	s_nop 0
	buffer_store_dword v114, off, s[20:23], 0 offset:748 ; 4-byte Folded Spill
	v_mov_b32_e32 v112, v80
	v_mov_b32_e32 v111, v79
	;; [unrolled: 1-line block ×4, first 2 shown]
	global_load_dwordx4 v[1:4], v[113:114], off
	s_nop 0
	buffer_store_dword v115, off, s[20:23], 0 offset:752 ; 4-byte Folded Spill
	s_nop 0
	buffer_store_dword v116, off, s[20:23], 0 offset:756 ; 4-byte Folded Spill
	global_load_dwordx4 v[77:80], v[115:116], off
	s_nop 0
	buffer_store_dword v121, off, s[20:23], 0 offset:760 ; 4-byte Folded Spill
	s_nop 0
	buffer_store_dword v122, off, s[20:23], 0 offset:764 ; 4-byte Folded Spill
	v_mov_b32_e32 v116, v40
	v_mov_b32_e32 v115, v39
	v_mov_b32_e32 v114, v38
	v_mov_b32_e32 v113, v37
	s_waitcnt vmcnt(29)
	v_mov_b32_e32 v40, v36
	v_mov_b32_e32 v39, v35
	v_mov_b32_e32 v38, v34
	v_mov_b32_e32 v37, v33
	s_waitcnt vmcnt(26)
	;; [unrolled: 5-line block ×9, first 2 shown]
	v_mov_b32_e32 v8, v4
	v_mov_b32_e32 v7, v3
	;; [unrolled: 1-line block ×4, first 2 shown]
	global_load_dwordx4 v[73:76], v[121:122], off
	s_waitcnt vmcnt(3)
	v_mov_b32_e32 v1, v77
	v_mov_b32_e32 v124, v72
	;; [unrolled: 1-line block ×8, first 2 shown]
	s_and_saveexec_b64 s[6:7], s[0:1]
	s_cbranch_execz .LBB97_8
; %bb.2:
	buffer_load_dword v69, off, s[20:23], 0 offset:400 ; 4-byte Folded Reload
	buffer_load_dword v70, off, s[20:23], 0 offset:404 ; 4-byte Folded Reload
	;; [unrolled: 1-line block ×4, first 2 shown]
	s_waitcnt vmcnt(0)
	ds_write2_b64 v127, v[69:70], v[71:72] offset1:1
	buffer_load_dword v69, off, s[20:23], 0 offset:384 ; 4-byte Folded Reload
	buffer_load_dword v70, off, s[20:23], 0 offset:388 ; 4-byte Folded Reload
	buffer_load_dword v71, off, s[20:23], 0 offset:392 ; 4-byte Folded Reload
	buffer_load_dword v72, off, s[20:23], 0 offset:396 ; 4-byte Folded Reload
	s_waitcnt vmcnt(0)
	ds_write2_b64 v125, v[69:70], v[71:72] offset0:2 offset1:3
	buffer_load_dword v69, off, s[20:23], 0 offset:368 ; 4-byte Folded Reload
	buffer_load_dword v70, off, s[20:23], 0 offset:372 ; 4-byte Folded Reload
	buffer_load_dword v71, off, s[20:23], 0 offset:376 ; 4-byte Folded Reload
	buffer_load_dword v72, off, s[20:23], 0 offset:380 ; 4-byte Folded Reload
	s_waitcnt vmcnt(0)
	ds_write2_b64 v125, v[69:70], v[71:72] offset0:4 offset1:5
	;; [unrolled: 6-line block ×22, first 2 shown]
	ds_write2_b64 v125, v[121:122], v[123:124] offset0:46 offset1:47
	ds_write2_b64 v125, v[117:118], v[119:120] offset0:48 offset1:49
	;; [unrolled: 1-line block ×5, first 2 shown]
	buffer_load_dword v77, off, s[20:23], 0 offset:32 ; 4-byte Folded Reload
	buffer_load_dword v78, off, s[20:23], 0 offset:36 ; 4-byte Folded Reload
	;; [unrolled: 1-line block ×4, first 2 shown]
	v_mov_b32_e32 v69, v73
	v_mov_b32_e32 v70, v74
	;; [unrolled: 1-line block ×4, first 2 shown]
	s_waitcnt vmcnt(0)
	ds_write2_b64 v125, v[77:78], v[79:80] offset0:56 offset1:57
	buffer_load_dword v73, off, s[20:23], 0 offset:16 ; 4-byte Folded Reload
	buffer_load_dword v74, off, s[20:23], 0 offset:20 ; 4-byte Folded Reload
	;; [unrolled: 1-line block ×4, first 2 shown]
	s_waitcnt vmcnt(0)
	ds_write2_b64 v125, v[73:74], v[75:76] offset0:58 offset1:59
	v_mov_b32_e32 v76, v72
	v_mov_b32_e32 v75, v71
	;; [unrolled: 1-line block ×4, first 2 shown]
	buffer_load_dword v69, off, s[20:23], 0 ; 4-byte Folded Reload
	buffer_load_dword v70, off, s[20:23], 0 offset:4 ; 4-byte Folded Reload
	buffer_load_dword v71, off, s[20:23], 0 offset:8 ; 4-byte Folded Reload
	;; [unrolled: 1-line block ×3, first 2 shown]
	s_waitcnt vmcnt(0)
	ds_write2_b64 v125, v[69:70], v[71:72] offset0:60 offset1:61
	ds_write2_b64 v125, v[65:66], v[67:68] offset0:62 offset1:63
	ds_write2_b64 v125, v[61:62], v[63:64] offset0:64 offset1:65
	ds_write2_b64 v125, v[57:58], v[59:60] offset0:66 offset1:67
	ds_write2_b64 v125, v[53:54], v[55:56] offset0:68 offset1:69
	ds_write2_b64 v125, v[49:50], v[51:52] offset0:70 offset1:71
	ds_write2_b64 v125, v[45:46], v[47:48] offset0:72 offset1:73
	ds_write2_b64 v125, v[41:42], v[43:44] offset0:74 offset1:75
	ds_write2_b64 v125, v[37:38], v[39:40] offset0:76 offset1:77
	ds_write2_b64 v125, v[33:34], v[35:36] offset0:78 offset1:79
	ds_write2_b64 v125, v[29:30], v[31:32] offset0:80 offset1:81
	ds_write2_b64 v125, v[25:26], v[27:28] offset0:82 offset1:83
	ds_write2_b64 v125, v[21:22], v[23:24] offset0:84 offset1:85
	ds_write2_b64 v125, v[17:18], v[19:20] offset0:86 offset1:87
	ds_write2_b64 v125, v[13:14], v[15:16] offset0:88 offset1:89
	ds_write2_b64 v125, v[9:10], v[11:12] offset0:90 offset1:91
	ds_write2_b64 v125, v[5:6], v[7:8] offset0:92 offset1:93
	ds_write2_b64 v125, v[1:2], v[3:4] offset0:94 offset1:95
	ds_write2_b64 v125, v[73:74], v[75:76] offset0:96 offset1:97
	ds_read2_b64 v[97:100], v127 offset1:1
	s_waitcnt lgkmcnt(0)
	v_cmp_neq_f64_e32 vcc, 0, v[97:98]
	v_cmp_neq_f64_e64 s[4:5], 0, v[99:100]
	s_or_b64 s[4:5], vcc, s[4:5]
	s_and_b64 exec, exec, s[4:5]
	s_cbranch_execz .LBB97_8
; %bb.3:
	v_cmp_ngt_f64_e64 s[4:5], |v[97:98]|, |v[99:100]|
                                        ; implicit-def: $vgpr101_vgpr102
	s_and_saveexec_b64 s[8:9], s[4:5]
	s_xor_b64 s[4:5], exec, s[8:9]
                                        ; implicit-def: $vgpr103_vgpr104
	s_cbranch_execz .LBB97_5
; %bb.4:
	v_div_scale_f64 v[101:102], s[8:9], v[99:100], v[99:100], v[97:98]
	v_rcp_f64_e32 v[103:104], v[101:102]
	v_fma_f64 v[105:106], -v[101:102], v[103:104], 1.0
	v_fma_f64 v[103:104], v[103:104], v[105:106], v[103:104]
	v_div_scale_f64 v[105:106], vcc, v[97:98], v[99:100], v[97:98]
	v_fma_f64 v[107:108], -v[101:102], v[103:104], 1.0
	v_fma_f64 v[103:104], v[103:104], v[107:108], v[103:104]
	v_mul_f64 v[107:108], v[105:106], v[103:104]
	v_fma_f64 v[101:102], -v[101:102], v[107:108], v[105:106]
	v_div_fmas_f64 v[101:102], v[101:102], v[103:104], v[107:108]
	v_div_fixup_f64 v[101:102], v[101:102], v[99:100], v[97:98]
	v_fma_f64 v[97:98], v[97:98], v[101:102], v[99:100]
	v_div_scale_f64 v[99:100], s[8:9], v[97:98], v[97:98], 1.0
	v_div_scale_f64 v[107:108], vcc, 1.0, v[97:98], 1.0
	v_rcp_f64_e32 v[103:104], v[99:100]
	v_fma_f64 v[105:106], -v[99:100], v[103:104], 1.0
	v_fma_f64 v[103:104], v[103:104], v[105:106], v[103:104]
	v_fma_f64 v[105:106], -v[99:100], v[103:104], 1.0
	v_fma_f64 v[103:104], v[103:104], v[105:106], v[103:104]
	v_mul_f64 v[105:106], v[107:108], v[103:104]
	v_fma_f64 v[99:100], -v[99:100], v[105:106], v[107:108]
	v_div_fmas_f64 v[99:100], v[99:100], v[103:104], v[105:106]
	v_div_fixup_f64 v[103:104], v[99:100], v[97:98], 1.0
                                        ; implicit-def: $vgpr97_vgpr98
	v_mul_f64 v[101:102], v[101:102], v[103:104]
	v_xor_b32_e32 v104, 0x80000000, v104
.LBB97_5:
	s_andn2_saveexec_b64 s[4:5], s[4:5]
	s_cbranch_execz .LBB97_7
; %bb.6:
	v_div_scale_f64 v[101:102], s[8:9], v[97:98], v[97:98], v[99:100]
	v_rcp_f64_e32 v[103:104], v[101:102]
	v_fma_f64 v[105:106], -v[101:102], v[103:104], 1.0
	v_fma_f64 v[103:104], v[103:104], v[105:106], v[103:104]
	v_div_scale_f64 v[105:106], vcc, v[99:100], v[97:98], v[99:100]
	v_fma_f64 v[107:108], -v[101:102], v[103:104], 1.0
	v_fma_f64 v[103:104], v[103:104], v[107:108], v[103:104]
	v_mul_f64 v[107:108], v[105:106], v[103:104]
	v_fma_f64 v[101:102], -v[101:102], v[107:108], v[105:106]
	v_div_fmas_f64 v[101:102], v[101:102], v[103:104], v[107:108]
	v_div_fixup_f64 v[103:104], v[101:102], v[97:98], v[99:100]
	v_fma_f64 v[97:98], v[99:100], v[103:104], v[97:98]
	v_div_scale_f64 v[99:100], s[8:9], v[97:98], v[97:98], 1.0
	v_div_scale_f64 v[107:108], vcc, 1.0, v[97:98], 1.0
	v_rcp_f64_e32 v[101:102], v[99:100]
	v_fma_f64 v[105:106], -v[99:100], v[101:102], 1.0
	v_fma_f64 v[101:102], v[101:102], v[105:106], v[101:102]
	v_fma_f64 v[105:106], -v[99:100], v[101:102], 1.0
	v_fma_f64 v[101:102], v[101:102], v[105:106], v[101:102]
	v_mul_f64 v[105:106], v[107:108], v[101:102]
	v_fma_f64 v[99:100], -v[99:100], v[105:106], v[107:108]
	v_div_fmas_f64 v[99:100], v[99:100], v[101:102], v[105:106]
	v_div_fixup_f64 v[101:102], v[99:100], v[97:98], 1.0
	v_mul_f64 v[103:104], v[103:104], -v[101:102]
.LBB97_7:
	s_or_b64 exec, exec, s[4:5]
	ds_write2_b64 v127, v[101:102], v[103:104] offset1:1
.LBB97_8:
	s_or_b64 exec, exec, s[6:7]
	s_waitcnt vmcnt(0) lgkmcnt(0)
	s_barrier
	ds_read2_b64 v[69:72], v127 offset1:1
	s_waitcnt lgkmcnt(0)
	buffer_store_dword v69, off, s[20:23], 0 offset:800 ; 4-byte Folded Spill
	s_nop 0
	buffer_store_dword v70, off, s[20:23], 0 offset:804 ; 4-byte Folded Spill
	buffer_store_dword v71, off, s[20:23], 0 offset:808 ; 4-byte Folded Spill
	;; [unrolled: 1-line block ×3, first 2 shown]
	s_and_saveexec_b64 s[4:5], s[2:3]
	s_cbranch_execz .LBB97_10
; %bb.9:
	buffer_load_dword v103, off, s[20:23], 0 offset:400 ; 4-byte Folded Reload
	buffer_load_dword v104, off, s[20:23], 0 offset:404 ; 4-byte Folded Reload
	;; [unrolled: 1-line block ×8, first 2 shown]
	s_waitcnt vmcnt(2)
	v_mul_f64 v[99:100], v[69:70], v[105:106]
	s_waitcnt vmcnt(0)
	v_mul_f64 v[97:98], v[71:72], v[105:106]
	v_fma_f64 v[105:106], v[71:72], v[103:104], v[99:100]
	ds_read2_b64 v[99:102], v125 offset0:2 offset1:3
	v_fma_f64 v[97:98], v[69:70], v[103:104], -v[97:98]
	buffer_load_dword v69, off, s[20:23], 0 offset:384 ; 4-byte Folded Reload
	buffer_load_dword v70, off, s[20:23], 0 offset:388 ; 4-byte Folded Reload
	buffer_load_dword v71, off, s[20:23], 0 offset:392 ; 4-byte Folded Reload
	buffer_load_dword v72, off, s[20:23], 0 offset:396 ; 4-byte Folded Reload
	s_waitcnt lgkmcnt(0)
	v_mul_f64 v[103:104], v[101:102], v[105:106]
	v_fma_f64 v[103:104], v[99:100], v[97:98], -v[103:104]
	v_mul_f64 v[99:100], v[99:100], v[105:106]
	v_fma_f64 v[99:100], v[101:102], v[97:98], v[99:100]
	s_waitcnt vmcnt(2)
	v_add_f64 v[69:70], v[69:70], -v[103:104]
	s_waitcnt vmcnt(0)
	v_add_f64 v[71:72], v[71:72], -v[99:100]
	buffer_store_dword v69, off, s[20:23], 0 offset:384 ; 4-byte Folded Spill
	s_nop 0
	buffer_store_dword v70, off, s[20:23], 0 offset:388 ; 4-byte Folded Spill
	buffer_store_dword v71, off, s[20:23], 0 offset:392 ; 4-byte Folded Spill
	buffer_store_dword v72, off, s[20:23], 0 offset:396 ; 4-byte Folded Spill
	ds_read2_b64 v[99:102], v125 offset0:4 offset1:5
	buffer_load_dword v69, off, s[20:23], 0 offset:368 ; 4-byte Folded Reload
	buffer_load_dword v70, off, s[20:23], 0 offset:372 ; 4-byte Folded Reload
	buffer_load_dword v71, off, s[20:23], 0 offset:376 ; 4-byte Folded Reload
	buffer_load_dword v72, off, s[20:23], 0 offset:380 ; 4-byte Folded Reload
	s_waitcnt lgkmcnt(0)
	v_mul_f64 v[103:104], v[101:102], v[105:106]
	v_fma_f64 v[103:104], v[99:100], v[97:98], -v[103:104]
	v_mul_f64 v[99:100], v[99:100], v[105:106]
	v_fma_f64 v[99:100], v[101:102], v[97:98], v[99:100]
	s_waitcnt vmcnt(2)
	v_add_f64 v[69:70], v[69:70], -v[103:104]
	s_waitcnt vmcnt(0)
	v_add_f64 v[71:72], v[71:72], -v[99:100]
	buffer_store_dword v69, off, s[20:23], 0 offset:368 ; 4-byte Folded Spill
	s_nop 0
	buffer_store_dword v70, off, s[20:23], 0 offset:372 ; 4-byte Folded Spill
	buffer_store_dword v71, off, s[20:23], 0 offset:376 ; 4-byte Folded Spill
	buffer_store_dword v72, off, s[20:23], 0 offset:380 ; 4-byte Folded Spill
	ds_read2_b64 v[99:102], v125 offset0:6 offset1:7
	;; [unrolled: 19-line block ×22, first 2 shown]
	v_mov_b32_e32 v69, v73
	v_mov_b32_e32 v70, v74
	;; [unrolled: 1-line block ×4, first 2 shown]
	s_waitcnt lgkmcnt(0)
	v_mul_f64 v[103:104], v[101:102], v[105:106]
	v_fma_f64 v[103:104], v[99:100], v[97:98], -v[103:104]
	v_mul_f64 v[99:100], v[99:100], v[105:106]
	v_add_f64 v[121:122], v[121:122], -v[103:104]
	v_fma_f64 v[99:100], v[101:102], v[97:98], v[99:100]
	v_add_f64 v[123:124], v[123:124], -v[99:100]
	ds_read2_b64 v[99:102], v125 offset0:48 offset1:49
	s_waitcnt lgkmcnt(0)
	v_mul_f64 v[103:104], v[101:102], v[105:106]
	v_fma_f64 v[103:104], v[99:100], v[97:98], -v[103:104]
	v_mul_f64 v[99:100], v[99:100], v[105:106]
	v_add_f64 v[117:118], v[117:118], -v[103:104]
	v_fma_f64 v[99:100], v[101:102], v[97:98], v[99:100]
	v_add_f64 v[119:120], v[119:120], -v[99:100]
	ds_read2_b64 v[99:102], v125 offset0:50 offset1:51
	;; [unrolled: 8-line block ×5, first 2 shown]
	buffer_load_dword v77, off, s[20:23], 0 offset:32 ; 4-byte Folded Reload
	buffer_load_dword v78, off, s[20:23], 0 offset:36 ; 4-byte Folded Reload
	;; [unrolled: 1-line block ×4, first 2 shown]
	s_waitcnt lgkmcnt(0)
	v_mul_f64 v[103:104], v[101:102], v[105:106]
	v_fma_f64 v[103:104], v[99:100], v[97:98], -v[103:104]
	v_mul_f64 v[99:100], v[99:100], v[105:106]
	v_fma_f64 v[99:100], v[101:102], v[97:98], v[99:100]
	s_waitcnt vmcnt(2)
	v_add_f64 v[77:78], v[77:78], -v[103:104]
	s_waitcnt vmcnt(0)
	v_add_f64 v[79:80], v[79:80], -v[99:100]
	buffer_store_dword v77, off, s[20:23], 0 offset:32 ; 4-byte Folded Spill
	s_nop 0
	buffer_store_dword v78, off, s[20:23], 0 offset:36 ; 4-byte Folded Spill
	buffer_store_dword v79, off, s[20:23], 0 offset:40 ; 4-byte Folded Spill
	;; [unrolled: 1-line block ×3, first 2 shown]
	ds_read2_b64 v[99:102], v125 offset0:58 offset1:59
	buffer_load_dword v73, off, s[20:23], 0 offset:16 ; 4-byte Folded Reload
	buffer_load_dword v74, off, s[20:23], 0 offset:20 ; 4-byte Folded Reload
	;; [unrolled: 1-line block ×4, first 2 shown]
	s_waitcnt lgkmcnt(0)
	v_mul_f64 v[103:104], v[101:102], v[105:106]
	v_fma_f64 v[103:104], v[99:100], v[97:98], -v[103:104]
	v_mul_f64 v[99:100], v[99:100], v[105:106]
	v_fma_f64 v[99:100], v[101:102], v[97:98], v[99:100]
	s_waitcnt vmcnt(2)
	v_add_f64 v[73:74], v[73:74], -v[103:104]
	s_waitcnt vmcnt(0)
	v_add_f64 v[75:76], v[75:76], -v[99:100]
	buffer_store_dword v73, off, s[20:23], 0 offset:16 ; 4-byte Folded Spill
	s_nop 0
	buffer_store_dword v74, off, s[20:23], 0 offset:20 ; 4-byte Folded Spill
	buffer_store_dword v75, off, s[20:23], 0 offset:24 ; 4-byte Folded Spill
	buffer_store_dword v76, off, s[20:23], 0 offset:28 ; 4-byte Folded Spill
	v_mov_b32_e32 v76, v72
	v_mov_b32_e32 v75, v71
	;; [unrolled: 1-line block ×4, first 2 shown]
	ds_read2_b64 v[99:102], v125 offset0:60 offset1:61
	buffer_load_dword v69, off, s[20:23], 0 ; 4-byte Folded Reload
	buffer_load_dword v70, off, s[20:23], 0 offset:4 ; 4-byte Folded Reload
	buffer_load_dword v71, off, s[20:23], 0 offset:8 ; 4-byte Folded Reload
	;; [unrolled: 1-line block ×3, first 2 shown]
	s_waitcnt lgkmcnt(0)
	v_mul_f64 v[103:104], v[101:102], v[105:106]
	v_fma_f64 v[103:104], v[99:100], v[97:98], -v[103:104]
	v_mul_f64 v[99:100], v[99:100], v[105:106]
	v_fma_f64 v[99:100], v[101:102], v[97:98], v[99:100]
	s_waitcnt vmcnt(2)
	v_add_f64 v[69:70], v[69:70], -v[103:104]
	s_waitcnt vmcnt(0)
	v_add_f64 v[71:72], v[71:72], -v[99:100]
	buffer_store_dword v69, off, s[20:23], 0 ; 4-byte Folded Spill
	s_nop 0
	buffer_store_dword v70, off, s[20:23], 0 offset:4 ; 4-byte Folded Spill
	buffer_store_dword v71, off, s[20:23], 0 offset:8 ; 4-byte Folded Spill
	;; [unrolled: 1-line block ×3, first 2 shown]
	ds_read2_b64 v[99:102], v125 offset0:62 offset1:63
	s_waitcnt lgkmcnt(0)
	v_mul_f64 v[103:104], v[101:102], v[105:106]
	v_fma_f64 v[103:104], v[99:100], v[97:98], -v[103:104]
	v_mul_f64 v[99:100], v[99:100], v[105:106]
	v_add_f64 v[65:66], v[65:66], -v[103:104]
	v_fma_f64 v[99:100], v[101:102], v[97:98], v[99:100]
	v_add_f64 v[67:68], v[67:68], -v[99:100]
	ds_read2_b64 v[99:102], v125 offset0:64 offset1:65
	s_waitcnt lgkmcnt(0)
	v_mul_f64 v[103:104], v[101:102], v[105:106]
	v_fma_f64 v[103:104], v[99:100], v[97:98], -v[103:104]
	v_mul_f64 v[99:100], v[99:100], v[105:106]
	v_add_f64 v[61:62], v[61:62], -v[103:104]
	v_fma_f64 v[99:100], v[101:102], v[97:98], v[99:100]
	v_add_f64 v[63:64], v[63:64], -v[99:100]
	;; [unrolled: 8-line block ×16, first 2 shown]
	ds_read2_b64 v[99:102], v125 offset0:94 offset1:95
	s_waitcnt lgkmcnt(0)
	v_mul_f64 v[103:104], v[101:102], v[105:106]
	v_fma_f64 v[103:104], v[99:100], v[97:98], -v[103:104]
	v_mul_f64 v[99:100], v[99:100], v[105:106]
	v_add_f64 v[1:2], v[1:2], -v[103:104]
	v_fma_f64 v[99:100], v[101:102], v[97:98], v[99:100]
	ds_read2_b64 v[101:104], v125 offset0:96 offset1:97
	v_add_f64 v[3:4], v[3:4], -v[99:100]
	s_waitcnt lgkmcnt(0)
	v_mul_f64 v[99:100], v[103:104], v[105:106]
	v_fma_f64 v[99:100], v[101:102], v[97:98], -v[99:100]
	v_mul_f64 v[101:102], v[101:102], v[105:106]
	v_add_f64 v[73:74], v[73:74], -v[99:100]
	v_fma_f64 v[101:102], v[103:104], v[97:98], v[101:102]
	v_mov_b32_e32 v104, v98
	v_mov_b32_e32 v103, v97
	buffer_store_dword v103, off, s[20:23], 0 offset:400 ; 4-byte Folded Spill
	s_nop 0
	buffer_store_dword v104, off, s[20:23], 0 offset:404 ; 4-byte Folded Spill
	buffer_store_dword v105, off, s[20:23], 0 offset:408 ; 4-byte Folded Spill
	;; [unrolled: 1-line block ×3, first 2 shown]
	v_add_f64 v[75:76], v[75:76], -v[101:102]
.LBB97_10:
	s_or_b64 exec, exec, s[4:5]
	v_cmp_eq_u32_e32 vcc, 1, v0
	s_waitcnt vmcnt(0)
	s_barrier
	s_and_saveexec_b64 s[4:5], vcc
	s_cbranch_execz .LBB97_17
; %bb.11:
	buffer_load_dword v69, off, s[20:23], 0 offset:384 ; 4-byte Folded Reload
	buffer_load_dword v70, off, s[20:23], 0 offset:388 ; 4-byte Folded Reload
	;; [unrolled: 1-line block ×4, first 2 shown]
	s_waitcnt vmcnt(0)
	ds_write2_b64 v127, v[69:70], v[71:72] offset1:1
	buffer_load_dword v69, off, s[20:23], 0 offset:368 ; 4-byte Folded Reload
	buffer_load_dword v70, off, s[20:23], 0 offset:372 ; 4-byte Folded Reload
	buffer_load_dword v71, off, s[20:23], 0 offset:376 ; 4-byte Folded Reload
	buffer_load_dword v72, off, s[20:23], 0 offset:380 ; 4-byte Folded Reload
	s_waitcnt vmcnt(0)
	ds_write2_b64 v125, v[69:70], v[71:72] offset0:4 offset1:5
	buffer_load_dword v69, off, s[20:23], 0 offset:352 ; 4-byte Folded Reload
	buffer_load_dword v70, off, s[20:23], 0 offset:356 ; 4-byte Folded Reload
	buffer_load_dword v71, off, s[20:23], 0 offset:360 ; 4-byte Folded Reload
	buffer_load_dword v72, off, s[20:23], 0 offset:364 ; 4-byte Folded Reload
	s_waitcnt vmcnt(0)
	ds_write2_b64 v125, v[69:70], v[71:72] offset0:6 offset1:7
	;; [unrolled: 6-line block ×21, first 2 shown]
	ds_write2_b64 v125, v[121:122], v[123:124] offset0:46 offset1:47
	ds_write2_b64 v125, v[117:118], v[119:120] offset0:48 offset1:49
	;; [unrolled: 1-line block ×5, first 2 shown]
	buffer_load_dword v77, off, s[20:23], 0 offset:32 ; 4-byte Folded Reload
	buffer_load_dword v78, off, s[20:23], 0 offset:36 ; 4-byte Folded Reload
	;; [unrolled: 1-line block ×4, first 2 shown]
	v_mov_b32_e32 v69, v73
	v_mov_b32_e32 v70, v74
	;; [unrolled: 1-line block ×4, first 2 shown]
	s_waitcnt vmcnt(0)
	ds_write2_b64 v125, v[77:78], v[79:80] offset0:56 offset1:57
	buffer_load_dword v73, off, s[20:23], 0 offset:16 ; 4-byte Folded Reload
	buffer_load_dword v74, off, s[20:23], 0 offset:20 ; 4-byte Folded Reload
	buffer_load_dword v75, off, s[20:23], 0 offset:24 ; 4-byte Folded Reload
	buffer_load_dword v76, off, s[20:23], 0 offset:28 ; 4-byte Folded Reload
	s_waitcnt vmcnt(0)
	ds_write2_b64 v125, v[73:74], v[75:76] offset0:58 offset1:59
	v_mov_b32_e32 v76, v72
	v_mov_b32_e32 v75, v71
	;; [unrolled: 1-line block ×4, first 2 shown]
	buffer_load_dword v69, off, s[20:23], 0 ; 4-byte Folded Reload
	buffer_load_dword v70, off, s[20:23], 0 offset:4 ; 4-byte Folded Reload
	buffer_load_dword v71, off, s[20:23], 0 offset:8 ; 4-byte Folded Reload
	;; [unrolled: 1-line block ×3, first 2 shown]
	s_waitcnt vmcnt(0)
	ds_write2_b64 v125, v[69:70], v[71:72] offset0:60 offset1:61
	ds_write2_b64 v125, v[65:66], v[67:68] offset0:62 offset1:63
	;; [unrolled: 1-line block ×19, first 2 shown]
	ds_read2_b64 v[97:100], v127 offset1:1
	s_waitcnt lgkmcnt(0)
	v_cmp_neq_f64_e32 vcc, 0, v[97:98]
	v_cmp_neq_f64_e64 s[2:3], 0, v[99:100]
	s_or_b64 s[2:3], vcc, s[2:3]
	s_and_b64 exec, exec, s[2:3]
	s_cbranch_execz .LBB97_17
; %bb.12:
	v_cmp_ngt_f64_e64 s[2:3], |v[97:98]|, |v[99:100]|
                                        ; implicit-def: $vgpr101_vgpr102
	s_and_saveexec_b64 s[6:7], s[2:3]
	s_xor_b64 s[2:3], exec, s[6:7]
                                        ; implicit-def: $vgpr103_vgpr104
	s_cbranch_execz .LBB97_14
; %bb.13:
	v_div_scale_f64 v[101:102], s[6:7], v[99:100], v[99:100], v[97:98]
	v_rcp_f64_e32 v[103:104], v[101:102]
	v_fma_f64 v[105:106], -v[101:102], v[103:104], 1.0
	v_fma_f64 v[103:104], v[103:104], v[105:106], v[103:104]
	v_div_scale_f64 v[105:106], vcc, v[97:98], v[99:100], v[97:98]
	v_fma_f64 v[107:108], -v[101:102], v[103:104], 1.0
	v_fma_f64 v[103:104], v[103:104], v[107:108], v[103:104]
	v_mul_f64 v[107:108], v[105:106], v[103:104]
	v_fma_f64 v[101:102], -v[101:102], v[107:108], v[105:106]
	v_div_fmas_f64 v[101:102], v[101:102], v[103:104], v[107:108]
	v_div_fixup_f64 v[101:102], v[101:102], v[99:100], v[97:98]
	v_fma_f64 v[97:98], v[97:98], v[101:102], v[99:100]
	v_div_scale_f64 v[99:100], s[6:7], v[97:98], v[97:98], 1.0
	v_div_scale_f64 v[107:108], vcc, 1.0, v[97:98], 1.0
	v_rcp_f64_e32 v[103:104], v[99:100]
	v_fma_f64 v[105:106], -v[99:100], v[103:104], 1.0
	v_fma_f64 v[103:104], v[103:104], v[105:106], v[103:104]
	v_fma_f64 v[105:106], -v[99:100], v[103:104], 1.0
	v_fma_f64 v[103:104], v[103:104], v[105:106], v[103:104]
	v_mul_f64 v[105:106], v[107:108], v[103:104]
	v_fma_f64 v[99:100], -v[99:100], v[105:106], v[107:108]
	v_div_fmas_f64 v[99:100], v[99:100], v[103:104], v[105:106]
	v_div_fixup_f64 v[103:104], v[99:100], v[97:98], 1.0
                                        ; implicit-def: $vgpr97_vgpr98
	v_mul_f64 v[101:102], v[101:102], v[103:104]
	v_xor_b32_e32 v104, 0x80000000, v104
.LBB97_14:
	s_andn2_saveexec_b64 s[2:3], s[2:3]
	s_cbranch_execz .LBB97_16
; %bb.15:
	v_div_scale_f64 v[101:102], s[6:7], v[97:98], v[97:98], v[99:100]
	v_rcp_f64_e32 v[103:104], v[101:102]
	v_fma_f64 v[105:106], -v[101:102], v[103:104], 1.0
	v_fma_f64 v[103:104], v[103:104], v[105:106], v[103:104]
	v_div_scale_f64 v[105:106], vcc, v[99:100], v[97:98], v[99:100]
	v_fma_f64 v[107:108], -v[101:102], v[103:104], 1.0
	v_fma_f64 v[103:104], v[103:104], v[107:108], v[103:104]
	v_mul_f64 v[107:108], v[105:106], v[103:104]
	v_fma_f64 v[101:102], -v[101:102], v[107:108], v[105:106]
	v_div_fmas_f64 v[101:102], v[101:102], v[103:104], v[107:108]
	v_div_fixup_f64 v[103:104], v[101:102], v[97:98], v[99:100]
	v_fma_f64 v[97:98], v[99:100], v[103:104], v[97:98]
	v_div_scale_f64 v[99:100], s[6:7], v[97:98], v[97:98], 1.0
	v_div_scale_f64 v[107:108], vcc, 1.0, v[97:98], 1.0
	v_rcp_f64_e32 v[101:102], v[99:100]
	v_fma_f64 v[105:106], -v[99:100], v[101:102], 1.0
	v_fma_f64 v[101:102], v[101:102], v[105:106], v[101:102]
	v_fma_f64 v[105:106], -v[99:100], v[101:102], 1.0
	v_fma_f64 v[101:102], v[101:102], v[105:106], v[101:102]
	v_mul_f64 v[105:106], v[107:108], v[101:102]
	v_fma_f64 v[99:100], -v[99:100], v[105:106], v[107:108]
	v_div_fmas_f64 v[99:100], v[99:100], v[101:102], v[105:106]
	v_div_fixup_f64 v[101:102], v[99:100], v[97:98], 1.0
	v_mul_f64 v[103:104], v[103:104], -v[101:102]
.LBB97_16:
	s_or_b64 exec, exec, s[2:3]
	ds_write2_b64 v127, v[101:102], v[103:104] offset1:1
.LBB97_17:
	s_or_b64 exec, exec, s[4:5]
	s_waitcnt lgkmcnt(0)
	s_barrier
	ds_read2_b64 v[69:72], v127 offset1:1
	v_cmp_lt_u32_e32 vcc, 1, v0
	s_waitcnt lgkmcnt(0)
	buffer_store_dword v69, off, s[20:23], 0 offset:816 ; 4-byte Folded Spill
	s_nop 0
	buffer_store_dword v70, off, s[20:23], 0 offset:820 ; 4-byte Folded Spill
	buffer_store_dword v71, off, s[20:23], 0 offset:824 ; 4-byte Folded Spill
	;; [unrolled: 1-line block ×3, first 2 shown]
	s_and_saveexec_b64 s[2:3], vcc
	s_cbranch_execz .LBB97_19
; %bb.18:
	buffer_load_dword v103, off, s[20:23], 0 offset:384 ; 4-byte Folded Reload
	buffer_load_dword v104, off, s[20:23], 0 offset:388 ; 4-byte Folded Reload
	;; [unrolled: 1-line block ×8, first 2 shown]
	s_waitcnt vmcnt(2)
	v_mul_f64 v[99:100], v[69:70], v[105:106]
	s_waitcnt vmcnt(0)
	v_mul_f64 v[97:98], v[71:72], v[105:106]
	v_fma_f64 v[105:106], v[71:72], v[103:104], v[99:100]
	ds_read2_b64 v[99:102], v125 offset0:4 offset1:5
	v_fma_f64 v[97:98], v[69:70], v[103:104], -v[97:98]
	buffer_load_dword v69, off, s[20:23], 0 offset:368 ; 4-byte Folded Reload
	buffer_load_dword v70, off, s[20:23], 0 offset:372 ; 4-byte Folded Reload
	buffer_load_dword v71, off, s[20:23], 0 offset:376 ; 4-byte Folded Reload
	buffer_load_dword v72, off, s[20:23], 0 offset:380 ; 4-byte Folded Reload
	s_waitcnt lgkmcnt(0)
	v_mul_f64 v[103:104], v[101:102], v[105:106]
	v_fma_f64 v[103:104], v[99:100], v[97:98], -v[103:104]
	v_mul_f64 v[99:100], v[99:100], v[105:106]
	v_fma_f64 v[99:100], v[101:102], v[97:98], v[99:100]
	s_waitcnt vmcnt(2)
	v_add_f64 v[69:70], v[69:70], -v[103:104]
	s_waitcnt vmcnt(0)
	v_add_f64 v[71:72], v[71:72], -v[99:100]
	buffer_store_dword v69, off, s[20:23], 0 offset:368 ; 4-byte Folded Spill
	s_nop 0
	buffer_store_dword v70, off, s[20:23], 0 offset:372 ; 4-byte Folded Spill
	buffer_store_dword v71, off, s[20:23], 0 offset:376 ; 4-byte Folded Spill
	buffer_store_dword v72, off, s[20:23], 0 offset:380 ; 4-byte Folded Spill
	ds_read2_b64 v[99:102], v125 offset0:6 offset1:7
	buffer_load_dword v69, off, s[20:23], 0 offset:352 ; 4-byte Folded Reload
	buffer_load_dword v70, off, s[20:23], 0 offset:356 ; 4-byte Folded Reload
	buffer_load_dword v71, off, s[20:23], 0 offset:360 ; 4-byte Folded Reload
	buffer_load_dword v72, off, s[20:23], 0 offset:364 ; 4-byte Folded Reload
	s_waitcnt lgkmcnt(0)
	v_mul_f64 v[103:104], v[101:102], v[105:106]
	v_fma_f64 v[103:104], v[99:100], v[97:98], -v[103:104]
	v_mul_f64 v[99:100], v[99:100], v[105:106]
	v_fma_f64 v[99:100], v[101:102], v[97:98], v[99:100]
	s_waitcnt vmcnt(2)
	v_add_f64 v[69:70], v[69:70], -v[103:104]
	s_waitcnt vmcnt(0)
	v_add_f64 v[71:72], v[71:72], -v[99:100]
	buffer_store_dword v69, off, s[20:23], 0 offset:352 ; 4-byte Folded Spill
	s_nop 0
	buffer_store_dword v70, off, s[20:23], 0 offset:356 ; 4-byte Folded Spill
	buffer_store_dword v71, off, s[20:23], 0 offset:360 ; 4-byte Folded Spill
	buffer_store_dword v72, off, s[20:23], 0 offset:364 ; 4-byte Folded Spill
	ds_read2_b64 v[99:102], v125 offset0:8 offset1:9
	;; [unrolled: 19-line block ×21, first 2 shown]
	v_mov_b32_e32 v69, v73
	v_mov_b32_e32 v70, v74
	;; [unrolled: 1-line block ×4, first 2 shown]
	s_waitcnt lgkmcnt(0)
	v_mul_f64 v[103:104], v[101:102], v[105:106]
	v_fma_f64 v[103:104], v[99:100], v[97:98], -v[103:104]
	v_mul_f64 v[99:100], v[99:100], v[105:106]
	v_add_f64 v[121:122], v[121:122], -v[103:104]
	v_fma_f64 v[99:100], v[101:102], v[97:98], v[99:100]
	v_add_f64 v[123:124], v[123:124], -v[99:100]
	ds_read2_b64 v[99:102], v125 offset0:48 offset1:49
	s_waitcnt lgkmcnt(0)
	v_mul_f64 v[103:104], v[101:102], v[105:106]
	v_fma_f64 v[103:104], v[99:100], v[97:98], -v[103:104]
	v_mul_f64 v[99:100], v[99:100], v[105:106]
	v_add_f64 v[117:118], v[117:118], -v[103:104]
	v_fma_f64 v[99:100], v[101:102], v[97:98], v[99:100]
	v_add_f64 v[119:120], v[119:120], -v[99:100]
	ds_read2_b64 v[99:102], v125 offset0:50 offset1:51
	;; [unrolled: 8-line block ×5, first 2 shown]
	buffer_load_dword v77, off, s[20:23], 0 offset:32 ; 4-byte Folded Reload
	buffer_load_dword v78, off, s[20:23], 0 offset:36 ; 4-byte Folded Reload
	;; [unrolled: 1-line block ×4, first 2 shown]
	s_waitcnt lgkmcnt(0)
	v_mul_f64 v[103:104], v[101:102], v[105:106]
	v_fma_f64 v[103:104], v[99:100], v[97:98], -v[103:104]
	v_mul_f64 v[99:100], v[99:100], v[105:106]
	v_fma_f64 v[99:100], v[101:102], v[97:98], v[99:100]
	s_waitcnt vmcnt(2)
	v_add_f64 v[77:78], v[77:78], -v[103:104]
	s_waitcnt vmcnt(0)
	v_add_f64 v[79:80], v[79:80], -v[99:100]
	buffer_store_dword v77, off, s[20:23], 0 offset:32 ; 4-byte Folded Spill
	s_nop 0
	buffer_store_dword v78, off, s[20:23], 0 offset:36 ; 4-byte Folded Spill
	buffer_store_dword v79, off, s[20:23], 0 offset:40 ; 4-byte Folded Spill
	;; [unrolled: 1-line block ×3, first 2 shown]
	ds_read2_b64 v[99:102], v125 offset0:58 offset1:59
	buffer_load_dword v73, off, s[20:23], 0 offset:16 ; 4-byte Folded Reload
	buffer_load_dword v74, off, s[20:23], 0 offset:20 ; 4-byte Folded Reload
	;; [unrolled: 1-line block ×4, first 2 shown]
	s_waitcnt lgkmcnt(0)
	v_mul_f64 v[103:104], v[101:102], v[105:106]
	v_fma_f64 v[103:104], v[99:100], v[97:98], -v[103:104]
	v_mul_f64 v[99:100], v[99:100], v[105:106]
	v_fma_f64 v[99:100], v[101:102], v[97:98], v[99:100]
	s_waitcnt vmcnt(2)
	v_add_f64 v[73:74], v[73:74], -v[103:104]
	s_waitcnt vmcnt(0)
	v_add_f64 v[75:76], v[75:76], -v[99:100]
	buffer_store_dword v73, off, s[20:23], 0 offset:16 ; 4-byte Folded Spill
	s_nop 0
	buffer_store_dword v74, off, s[20:23], 0 offset:20 ; 4-byte Folded Spill
	buffer_store_dword v75, off, s[20:23], 0 offset:24 ; 4-byte Folded Spill
	;; [unrolled: 1-line block ×3, first 2 shown]
	v_mov_b32_e32 v76, v72
	v_mov_b32_e32 v75, v71
	;; [unrolled: 1-line block ×4, first 2 shown]
	ds_read2_b64 v[99:102], v125 offset0:60 offset1:61
	buffer_load_dword v69, off, s[20:23], 0 ; 4-byte Folded Reload
	buffer_load_dword v70, off, s[20:23], 0 offset:4 ; 4-byte Folded Reload
	buffer_load_dword v71, off, s[20:23], 0 offset:8 ; 4-byte Folded Reload
	;; [unrolled: 1-line block ×3, first 2 shown]
	s_waitcnt lgkmcnt(0)
	v_mul_f64 v[103:104], v[101:102], v[105:106]
	v_fma_f64 v[103:104], v[99:100], v[97:98], -v[103:104]
	v_mul_f64 v[99:100], v[99:100], v[105:106]
	v_fma_f64 v[99:100], v[101:102], v[97:98], v[99:100]
	s_waitcnt vmcnt(2)
	v_add_f64 v[69:70], v[69:70], -v[103:104]
	s_waitcnt vmcnt(0)
	v_add_f64 v[71:72], v[71:72], -v[99:100]
	buffer_store_dword v69, off, s[20:23], 0 ; 4-byte Folded Spill
	s_nop 0
	buffer_store_dword v70, off, s[20:23], 0 offset:4 ; 4-byte Folded Spill
	buffer_store_dword v71, off, s[20:23], 0 offset:8 ; 4-byte Folded Spill
	;; [unrolled: 1-line block ×3, first 2 shown]
	ds_read2_b64 v[99:102], v125 offset0:62 offset1:63
	s_waitcnt lgkmcnt(0)
	v_mul_f64 v[103:104], v[101:102], v[105:106]
	v_fma_f64 v[103:104], v[99:100], v[97:98], -v[103:104]
	v_mul_f64 v[99:100], v[99:100], v[105:106]
	v_add_f64 v[65:66], v[65:66], -v[103:104]
	v_fma_f64 v[99:100], v[101:102], v[97:98], v[99:100]
	v_add_f64 v[67:68], v[67:68], -v[99:100]
	ds_read2_b64 v[99:102], v125 offset0:64 offset1:65
	s_waitcnt lgkmcnt(0)
	v_mul_f64 v[103:104], v[101:102], v[105:106]
	v_fma_f64 v[103:104], v[99:100], v[97:98], -v[103:104]
	v_mul_f64 v[99:100], v[99:100], v[105:106]
	v_add_f64 v[61:62], v[61:62], -v[103:104]
	v_fma_f64 v[99:100], v[101:102], v[97:98], v[99:100]
	v_add_f64 v[63:64], v[63:64], -v[99:100]
	ds_read2_b64 v[99:102], v125 offset0:66 offset1:67
	s_waitcnt lgkmcnt(0)
	v_mul_f64 v[103:104], v[101:102], v[105:106]
	v_fma_f64 v[103:104], v[99:100], v[97:98], -v[103:104]
	v_mul_f64 v[99:100], v[99:100], v[105:106]
	v_add_f64 v[57:58], v[57:58], -v[103:104]
	v_fma_f64 v[99:100], v[101:102], v[97:98], v[99:100]
	v_add_f64 v[59:60], v[59:60], -v[99:100]
	ds_read2_b64 v[99:102], v125 offset0:68 offset1:69
	s_waitcnt lgkmcnt(0)
	v_mul_f64 v[103:104], v[101:102], v[105:106]
	v_fma_f64 v[103:104], v[99:100], v[97:98], -v[103:104]
	v_mul_f64 v[99:100], v[99:100], v[105:106]
	v_add_f64 v[53:54], v[53:54], -v[103:104]
	v_fma_f64 v[99:100], v[101:102], v[97:98], v[99:100]
	v_add_f64 v[55:56], v[55:56], -v[99:100]
	ds_read2_b64 v[99:102], v125 offset0:70 offset1:71
	s_waitcnt lgkmcnt(0)
	v_mul_f64 v[103:104], v[101:102], v[105:106]
	v_fma_f64 v[103:104], v[99:100], v[97:98], -v[103:104]
	v_mul_f64 v[99:100], v[99:100], v[105:106]
	v_add_f64 v[49:50], v[49:50], -v[103:104]
	v_fma_f64 v[99:100], v[101:102], v[97:98], v[99:100]
	v_add_f64 v[51:52], v[51:52], -v[99:100]
	ds_read2_b64 v[99:102], v125 offset0:72 offset1:73
	s_waitcnt lgkmcnt(0)
	v_mul_f64 v[103:104], v[101:102], v[105:106]
	v_fma_f64 v[103:104], v[99:100], v[97:98], -v[103:104]
	v_mul_f64 v[99:100], v[99:100], v[105:106]
	v_add_f64 v[45:46], v[45:46], -v[103:104]
	v_fma_f64 v[99:100], v[101:102], v[97:98], v[99:100]
	v_add_f64 v[47:48], v[47:48], -v[99:100]
	ds_read2_b64 v[99:102], v125 offset0:74 offset1:75
	s_waitcnt lgkmcnt(0)
	v_mul_f64 v[103:104], v[101:102], v[105:106]
	v_fma_f64 v[103:104], v[99:100], v[97:98], -v[103:104]
	v_mul_f64 v[99:100], v[99:100], v[105:106]
	v_add_f64 v[41:42], v[41:42], -v[103:104]
	v_fma_f64 v[99:100], v[101:102], v[97:98], v[99:100]
	v_add_f64 v[43:44], v[43:44], -v[99:100]
	ds_read2_b64 v[99:102], v125 offset0:76 offset1:77
	s_waitcnt lgkmcnt(0)
	v_mul_f64 v[103:104], v[101:102], v[105:106]
	v_fma_f64 v[103:104], v[99:100], v[97:98], -v[103:104]
	v_mul_f64 v[99:100], v[99:100], v[105:106]
	v_add_f64 v[37:38], v[37:38], -v[103:104]
	v_fma_f64 v[99:100], v[101:102], v[97:98], v[99:100]
	v_add_f64 v[39:40], v[39:40], -v[99:100]
	ds_read2_b64 v[99:102], v125 offset0:78 offset1:79
	s_waitcnt lgkmcnt(0)
	v_mul_f64 v[103:104], v[101:102], v[105:106]
	v_fma_f64 v[103:104], v[99:100], v[97:98], -v[103:104]
	v_mul_f64 v[99:100], v[99:100], v[105:106]
	v_add_f64 v[33:34], v[33:34], -v[103:104]
	v_fma_f64 v[99:100], v[101:102], v[97:98], v[99:100]
	v_add_f64 v[35:36], v[35:36], -v[99:100]
	ds_read2_b64 v[99:102], v125 offset0:80 offset1:81
	s_waitcnt lgkmcnt(0)
	v_mul_f64 v[103:104], v[101:102], v[105:106]
	v_fma_f64 v[103:104], v[99:100], v[97:98], -v[103:104]
	v_mul_f64 v[99:100], v[99:100], v[105:106]
	v_add_f64 v[29:30], v[29:30], -v[103:104]
	v_fma_f64 v[99:100], v[101:102], v[97:98], v[99:100]
	v_add_f64 v[31:32], v[31:32], -v[99:100]
	ds_read2_b64 v[99:102], v125 offset0:82 offset1:83
	s_waitcnt lgkmcnt(0)
	v_mul_f64 v[103:104], v[101:102], v[105:106]
	v_fma_f64 v[103:104], v[99:100], v[97:98], -v[103:104]
	v_mul_f64 v[99:100], v[99:100], v[105:106]
	v_add_f64 v[25:26], v[25:26], -v[103:104]
	v_fma_f64 v[99:100], v[101:102], v[97:98], v[99:100]
	v_add_f64 v[27:28], v[27:28], -v[99:100]
	ds_read2_b64 v[99:102], v125 offset0:84 offset1:85
	s_waitcnt lgkmcnt(0)
	v_mul_f64 v[103:104], v[101:102], v[105:106]
	v_fma_f64 v[103:104], v[99:100], v[97:98], -v[103:104]
	v_mul_f64 v[99:100], v[99:100], v[105:106]
	v_add_f64 v[21:22], v[21:22], -v[103:104]
	v_fma_f64 v[99:100], v[101:102], v[97:98], v[99:100]
	v_add_f64 v[23:24], v[23:24], -v[99:100]
	ds_read2_b64 v[99:102], v125 offset0:86 offset1:87
	s_waitcnt lgkmcnt(0)
	v_mul_f64 v[103:104], v[101:102], v[105:106]
	v_fma_f64 v[103:104], v[99:100], v[97:98], -v[103:104]
	v_mul_f64 v[99:100], v[99:100], v[105:106]
	v_add_f64 v[17:18], v[17:18], -v[103:104]
	v_fma_f64 v[99:100], v[101:102], v[97:98], v[99:100]
	v_add_f64 v[19:20], v[19:20], -v[99:100]
	ds_read2_b64 v[99:102], v125 offset0:88 offset1:89
	s_waitcnt lgkmcnt(0)
	v_mul_f64 v[103:104], v[101:102], v[105:106]
	v_fma_f64 v[103:104], v[99:100], v[97:98], -v[103:104]
	v_mul_f64 v[99:100], v[99:100], v[105:106]
	v_add_f64 v[13:14], v[13:14], -v[103:104]
	v_fma_f64 v[99:100], v[101:102], v[97:98], v[99:100]
	v_add_f64 v[15:16], v[15:16], -v[99:100]
	ds_read2_b64 v[99:102], v125 offset0:90 offset1:91
	s_waitcnt lgkmcnt(0)
	v_mul_f64 v[103:104], v[101:102], v[105:106]
	v_fma_f64 v[103:104], v[99:100], v[97:98], -v[103:104]
	v_mul_f64 v[99:100], v[99:100], v[105:106]
	v_add_f64 v[9:10], v[9:10], -v[103:104]
	v_fma_f64 v[99:100], v[101:102], v[97:98], v[99:100]
	v_add_f64 v[11:12], v[11:12], -v[99:100]
	ds_read2_b64 v[99:102], v125 offset0:92 offset1:93
	s_waitcnt lgkmcnt(0)
	v_mul_f64 v[103:104], v[101:102], v[105:106]
	v_fma_f64 v[103:104], v[99:100], v[97:98], -v[103:104]
	v_mul_f64 v[99:100], v[99:100], v[105:106]
	v_add_f64 v[5:6], v[5:6], -v[103:104]
	v_fma_f64 v[99:100], v[101:102], v[97:98], v[99:100]
	v_add_f64 v[7:8], v[7:8], -v[99:100]
	ds_read2_b64 v[99:102], v125 offset0:94 offset1:95
	s_waitcnt lgkmcnt(0)
	v_mul_f64 v[103:104], v[101:102], v[105:106]
	v_fma_f64 v[103:104], v[99:100], v[97:98], -v[103:104]
	v_mul_f64 v[99:100], v[99:100], v[105:106]
	v_add_f64 v[1:2], v[1:2], -v[103:104]
	v_fma_f64 v[99:100], v[101:102], v[97:98], v[99:100]
	ds_read2_b64 v[101:104], v125 offset0:96 offset1:97
	v_add_f64 v[3:4], v[3:4], -v[99:100]
	s_waitcnt lgkmcnt(0)
	v_mul_f64 v[99:100], v[103:104], v[105:106]
	v_fma_f64 v[99:100], v[101:102], v[97:98], -v[99:100]
	v_mul_f64 v[101:102], v[101:102], v[105:106]
	v_add_f64 v[73:74], v[73:74], -v[99:100]
	v_fma_f64 v[101:102], v[103:104], v[97:98], v[101:102]
	v_mov_b32_e32 v104, v98
	v_mov_b32_e32 v103, v97
	buffer_store_dword v103, off, s[20:23], 0 offset:384 ; 4-byte Folded Spill
	s_nop 0
	buffer_store_dword v104, off, s[20:23], 0 offset:388 ; 4-byte Folded Spill
	buffer_store_dword v105, off, s[20:23], 0 offset:392 ; 4-byte Folded Spill
	;; [unrolled: 1-line block ×3, first 2 shown]
	v_add_f64 v[75:76], v[75:76], -v[101:102]
.LBB97_19:
	s_or_b64 exec, exec, s[2:3]
	v_cmp_eq_u32_e32 vcc, 2, v0
	s_waitcnt vmcnt(0)
	s_barrier
	s_and_saveexec_b64 s[4:5], vcc
	s_cbranch_execz .LBB97_26
; %bb.20:
	buffer_load_dword v69, off, s[20:23], 0 offset:368 ; 4-byte Folded Reload
	buffer_load_dword v70, off, s[20:23], 0 offset:372 ; 4-byte Folded Reload
	;; [unrolled: 1-line block ×4, first 2 shown]
	s_waitcnt vmcnt(0)
	ds_write2_b64 v127, v[69:70], v[71:72] offset1:1
	buffer_load_dword v69, off, s[20:23], 0 offset:352 ; 4-byte Folded Reload
	buffer_load_dword v70, off, s[20:23], 0 offset:356 ; 4-byte Folded Reload
	buffer_load_dword v71, off, s[20:23], 0 offset:360 ; 4-byte Folded Reload
	buffer_load_dword v72, off, s[20:23], 0 offset:364 ; 4-byte Folded Reload
	s_waitcnt vmcnt(0)
	ds_write2_b64 v125, v[69:70], v[71:72] offset0:6 offset1:7
	buffer_load_dword v69, off, s[20:23], 0 offset:336 ; 4-byte Folded Reload
	buffer_load_dword v70, off, s[20:23], 0 offset:340 ; 4-byte Folded Reload
	buffer_load_dword v71, off, s[20:23], 0 offset:344 ; 4-byte Folded Reload
	buffer_load_dword v72, off, s[20:23], 0 offset:348 ; 4-byte Folded Reload
	s_waitcnt vmcnt(0)
	ds_write2_b64 v125, v[69:70], v[71:72] offset0:8 offset1:9
	;; [unrolled: 6-line block ×20, first 2 shown]
	ds_write2_b64 v125, v[121:122], v[123:124] offset0:46 offset1:47
	ds_write2_b64 v125, v[117:118], v[119:120] offset0:48 offset1:49
	;; [unrolled: 1-line block ×5, first 2 shown]
	buffer_load_dword v77, off, s[20:23], 0 offset:32 ; 4-byte Folded Reload
	buffer_load_dword v78, off, s[20:23], 0 offset:36 ; 4-byte Folded Reload
	;; [unrolled: 1-line block ×4, first 2 shown]
	v_mov_b32_e32 v69, v73
	v_mov_b32_e32 v70, v74
	v_mov_b32_e32 v71, v75
	v_mov_b32_e32 v72, v76
	s_waitcnt vmcnt(0)
	ds_write2_b64 v125, v[77:78], v[79:80] offset0:56 offset1:57
	buffer_load_dword v73, off, s[20:23], 0 offset:16 ; 4-byte Folded Reload
	buffer_load_dword v74, off, s[20:23], 0 offset:20 ; 4-byte Folded Reload
	;; [unrolled: 1-line block ×4, first 2 shown]
	s_waitcnt vmcnt(0)
	ds_write2_b64 v125, v[73:74], v[75:76] offset0:58 offset1:59
	v_mov_b32_e32 v76, v72
	v_mov_b32_e32 v75, v71
	;; [unrolled: 1-line block ×4, first 2 shown]
	buffer_load_dword v69, off, s[20:23], 0 ; 4-byte Folded Reload
	buffer_load_dword v70, off, s[20:23], 0 offset:4 ; 4-byte Folded Reload
	buffer_load_dword v71, off, s[20:23], 0 offset:8 ; 4-byte Folded Reload
	;; [unrolled: 1-line block ×3, first 2 shown]
	s_waitcnt vmcnt(0)
	ds_write2_b64 v125, v[69:70], v[71:72] offset0:60 offset1:61
	ds_write2_b64 v125, v[65:66], v[67:68] offset0:62 offset1:63
	;; [unrolled: 1-line block ×19, first 2 shown]
	ds_read2_b64 v[97:100], v127 offset1:1
	s_waitcnt lgkmcnt(0)
	v_cmp_neq_f64_e32 vcc, 0, v[97:98]
	v_cmp_neq_f64_e64 s[2:3], 0, v[99:100]
	s_or_b64 s[2:3], vcc, s[2:3]
	s_and_b64 exec, exec, s[2:3]
	s_cbranch_execz .LBB97_26
; %bb.21:
	v_cmp_ngt_f64_e64 s[2:3], |v[97:98]|, |v[99:100]|
                                        ; implicit-def: $vgpr101_vgpr102
	s_and_saveexec_b64 s[6:7], s[2:3]
	s_xor_b64 s[2:3], exec, s[6:7]
                                        ; implicit-def: $vgpr103_vgpr104
	s_cbranch_execz .LBB97_23
; %bb.22:
	v_div_scale_f64 v[101:102], s[6:7], v[99:100], v[99:100], v[97:98]
	v_rcp_f64_e32 v[103:104], v[101:102]
	v_fma_f64 v[105:106], -v[101:102], v[103:104], 1.0
	v_fma_f64 v[103:104], v[103:104], v[105:106], v[103:104]
	v_div_scale_f64 v[105:106], vcc, v[97:98], v[99:100], v[97:98]
	v_fma_f64 v[107:108], -v[101:102], v[103:104], 1.0
	v_fma_f64 v[103:104], v[103:104], v[107:108], v[103:104]
	v_mul_f64 v[107:108], v[105:106], v[103:104]
	v_fma_f64 v[101:102], -v[101:102], v[107:108], v[105:106]
	v_div_fmas_f64 v[101:102], v[101:102], v[103:104], v[107:108]
	v_div_fixup_f64 v[101:102], v[101:102], v[99:100], v[97:98]
	v_fma_f64 v[97:98], v[97:98], v[101:102], v[99:100]
	v_div_scale_f64 v[99:100], s[6:7], v[97:98], v[97:98], 1.0
	v_div_scale_f64 v[107:108], vcc, 1.0, v[97:98], 1.0
	v_rcp_f64_e32 v[103:104], v[99:100]
	v_fma_f64 v[105:106], -v[99:100], v[103:104], 1.0
	v_fma_f64 v[103:104], v[103:104], v[105:106], v[103:104]
	v_fma_f64 v[105:106], -v[99:100], v[103:104], 1.0
	v_fma_f64 v[103:104], v[103:104], v[105:106], v[103:104]
	v_mul_f64 v[105:106], v[107:108], v[103:104]
	v_fma_f64 v[99:100], -v[99:100], v[105:106], v[107:108]
	v_div_fmas_f64 v[99:100], v[99:100], v[103:104], v[105:106]
	v_div_fixup_f64 v[103:104], v[99:100], v[97:98], 1.0
                                        ; implicit-def: $vgpr97_vgpr98
	v_mul_f64 v[101:102], v[101:102], v[103:104]
	v_xor_b32_e32 v104, 0x80000000, v104
.LBB97_23:
	s_andn2_saveexec_b64 s[2:3], s[2:3]
	s_cbranch_execz .LBB97_25
; %bb.24:
	v_div_scale_f64 v[101:102], s[6:7], v[97:98], v[97:98], v[99:100]
	v_rcp_f64_e32 v[103:104], v[101:102]
	v_fma_f64 v[105:106], -v[101:102], v[103:104], 1.0
	v_fma_f64 v[103:104], v[103:104], v[105:106], v[103:104]
	v_div_scale_f64 v[105:106], vcc, v[99:100], v[97:98], v[99:100]
	v_fma_f64 v[107:108], -v[101:102], v[103:104], 1.0
	v_fma_f64 v[103:104], v[103:104], v[107:108], v[103:104]
	v_mul_f64 v[107:108], v[105:106], v[103:104]
	v_fma_f64 v[101:102], -v[101:102], v[107:108], v[105:106]
	v_div_fmas_f64 v[101:102], v[101:102], v[103:104], v[107:108]
	v_div_fixup_f64 v[103:104], v[101:102], v[97:98], v[99:100]
	v_fma_f64 v[97:98], v[99:100], v[103:104], v[97:98]
	v_div_scale_f64 v[99:100], s[6:7], v[97:98], v[97:98], 1.0
	v_div_scale_f64 v[107:108], vcc, 1.0, v[97:98], 1.0
	v_rcp_f64_e32 v[101:102], v[99:100]
	v_fma_f64 v[105:106], -v[99:100], v[101:102], 1.0
	v_fma_f64 v[101:102], v[101:102], v[105:106], v[101:102]
	v_fma_f64 v[105:106], -v[99:100], v[101:102], 1.0
	v_fma_f64 v[101:102], v[101:102], v[105:106], v[101:102]
	v_mul_f64 v[105:106], v[107:108], v[101:102]
	v_fma_f64 v[99:100], -v[99:100], v[105:106], v[107:108]
	v_div_fmas_f64 v[99:100], v[99:100], v[101:102], v[105:106]
	v_div_fixup_f64 v[101:102], v[99:100], v[97:98], 1.0
	v_mul_f64 v[103:104], v[103:104], -v[101:102]
.LBB97_25:
	s_or_b64 exec, exec, s[2:3]
	ds_write2_b64 v127, v[101:102], v[103:104] offset1:1
.LBB97_26:
	s_or_b64 exec, exec, s[4:5]
	s_waitcnt lgkmcnt(0)
	s_barrier
	ds_read2_b64 v[69:72], v127 offset1:1
	v_cmp_lt_u32_e32 vcc, 2, v0
	s_waitcnt lgkmcnt(0)
	buffer_store_dword v69, off, s[20:23], 0 offset:832 ; 4-byte Folded Spill
	s_nop 0
	buffer_store_dword v70, off, s[20:23], 0 offset:836 ; 4-byte Folded Spill
	buffer_store_dword v71, off, s[20:23], 0 offset:840 ; 4-byte Folded Spill
	;; [unrolled: 1-line block ×3, first 2 shown]
	s_and_saveexec_b64 s[2:3], vcc
	s_cbranch_execz .LBB97_28
; %bb.27:
	buffer_load_dword v103, off, s[20:23], 0 offset:368 ; 4-byte Folded Reload
	buffer_load_dword v104, off, s[20:23], 0 offset:372 ; 4-byte Folded Reload
	;; [unrolled: 1-line block ×8, first 2 shown]
	s_waitcnt vmcnt(2)
	v_mul_f64 v[99:100], v[69:70], v[105:106]
	s_waitcnt vmcnt(0)
	v_mul_f64 v[97:98], v[71:72], v[105:106]
	v_fma_f64 v[105:106], v[71:72], v[103:104], v[99:100]
	ds_read2_b64 v[99:102], v125 offset0:6 offset1:7
	v_fma_f64 v[97:98], v[69:70], v[103:104], -v[97:98]
	buffer_load_dword v69, off, s[20:23], 0 offset:352 ; 4-byte Folded Reload
	buffer_load_dword v70, off, s[20:23], 0 offset:356 ; 4-byte Folded Reload
	buffer_load_dword v71, off, s[20:23], 0 offset:360 ; 4-byte Folded Reload
	buffer_load_dword v72, off, s[20:23], 0 offset:364 ; 4-byte Folded Reload
	s_waitcnt lgkmcnt(0)
	v_mul_f64 v[103:104], v[101:102], v[105:106]
	v_fma_f64 v[103:104], v[99:100], v[97:98], -v[103:104]
	v_mul_f64 v[99:100], v[99:100], v[105:106]
	v_fma_f64 v[99:100], v[101:102], v[97:98], v[99:100]
	s_waitcnt vmcnt(2)
	v_add_f64 v[69:70], v[69:70], -v[103:104]
	s_waitcnt vmcnt(0)
	v_add_f64 v[71:72], v[71:72], -v[99:100]
	buffer_store_dword v69, off, s[20:23], 0 offset:352 ; 4-byte Folded Spill
	s_nop 0
	buffer_store_dword v70, off, s[20:23], 0 offset:356 ; 4-byte Folded Spill
	buffer_store_dword v71, off, s[20:23], 0 offset:360 ; 4-byte Folded Spill
	buffer_store_dword v72, off, s[20:23], 0 offset:364 ; 4-byte Folded Spill
	ds_read2_b64 v[99:102], v125 offset0:8 offset1:9
	buffer_load_dword v69, off, s[20:23], 0 offset:336 ; 4-byte Folded Reload
	buffer_load_dword v70, off, s[20:23], 0 offset:340 ; 4-byte Folded Reload
	buffer_load_dword v71, off, s[20:23], 0 offset:344 ; 4-byte Folded Reload
	buffer_load_dword v72, off, s[20:23], 0 offset:348 ; 4-byte Folded Reload
	s_waitcnt lgkmcnt(0)
	v_mul_f64 v[103:104], v[101:102], v[105:106]
	v_fma_f64 v[103:104], v[99:100], v[97:98], -v[103:104]
	v_mul_f64 v[99:100], v[99:100], v[105:106]
	v_fma_f64 v[99:100], v[101:102], v[97:98], v[99:100]
	s_waitcnt vmcnt(2)
	v_add_f64 v[69:70], v[69:70], -v[103:104]
	s_waitcnt vmcnt(0)
	v_add_f64 v[71:72], v[71:72], -v[99:100]
	buffer_store_dword v69, off, s[20:23], 0 offset:336 ; 4-byte Folded Spill
	s_nop 0
	buffer_store_dword v70, off, s[20:23], 0 offset:340 ; 4-byte Folded Spill
	buffer_store_dword v71, off, s[20:23], 0 offset:344 ; 4-byte Folded Spill
	buffer_store_dword v72, off, s[20:23], 0 offset:348 ; 4-byte Folded Spill
	ds_read2_b64 v[99:102], v125 offset0:10 offset1:11
	;; [unrolled: 19-line block ×20, first 2 shown]
	v_mov_b32_e32 v69, v73
	v_mov_b32_e32 v70, v74
	;; [unrolled: 1-line block ×4, first 2 shown]
	s_waitcnt lgkmcnt(0)
	v_mul_f64 v[103:104], v[101:102], v[105:106]
	v_fma_f64 v[103:104], v[99:100], v[97:98], -v[103:104]
	v_mul_f64 v[99:100], v[99:100], v[105:106]
	v_add_f64 v[121:122], v[121:122], -v[103:104]
	v_fma_f64 v[99:100], v[101:102], v[97:98], v[99:100]
	v_add_f64 v[123:124], v[123:124], -v[99:100]
	ds_read2_b64 v[99:102], v125 offset0:48 offset1:49
	s_waitcnt lgkmcnt(0)
	v_mul_f64 v[103:104], v[101:102], v[105:106]
	v_fma_f64 v[103:104], v[99:100], v[97:98], -v[103:104]
	v_mul_f64 v[99:100], v[99:100], v[105:106]
	v_add_f64 v[117:118], v[117:118], -v[103:104]
	v_fma_f64 v[99:100], v[101:102], v[97:98], v[99:100]
	v_add_f64 v[119:120], v[119:120], -v[99:100]
	ds_read2_b64 v[99:102], v125 offset0:50 offset1:51
	;; [unrolled: 8-line block ×5, first 2 shown]
	buffer_load_dword v77, off, s[20:23], 0 offset:32 ; 4-byte Folded Reload
	buffer_load_dword v78, off, s[20:23], 0 offset:36 ; 4-byte Folded Reload
	;; [unrolled: 1-line block ×4, first 2 shown]
	s_waitcnt lgkmcnt(0)
	v_mul_f64 v[103:104], v[101:102], v[105:106]
	v_fma_f64 v[103:104], v[99:100], v[97:98], -v[103:104]
	v_mul_f64 v[99:100], v[99:100], v[105:106]
	v_fma_f64 v[99:100], v[101:102], v[97:98], v[99:100]
	s_waitcnt vmcnt(2)
	v_add_f64 v[77:78], v[77:78], -v[103:104]
	s_waitcnt vmcnt(0)
	v_add_f64 v[79:80], v[79:80], -v[99:100]
	buffer_store_dword v77, off, s[20:23], 0 offset:32 ; 4-byte Folded Spill
	s_nop 0
	buffer_store_dword v78, off, s[20:23], 0 offset:36 ; 4-byte Folded Spill
	buffer_store_dword v79, off, s[20:23], 0 offset:40 ; 4-byte Folded Spill
	;; [unrolled: 1-line block ×3, first 2 shown]
	ds_read2_b64 v[99:102], v125 offset0:58 offset1:59
	buffer_load_dword v73, off, s[20:23], 0 offset:16 ; 4-byte Folded Reload
	buffer_load_dword v74, off, s[20:23], 0 offset:20 ; 4-byte Folded Reload
	;; [unrolled: 1-line block ×4, first 2 shown]
	s_waitcnt lgkmcnt(0)
	v_mul_f64 v[103:104], v[101:102], v[105:106]
	v_fma_f64 v[103:104], v[99:100], v[97:98], -v[103:104]
	v_mul_f64 v[99:100], v[99:100], v[105:106]
	v_fma_f64 v[99:100], v[101:102], v[97:98], v[99:100]
	s_waitcnt vmcnt(2)
	v_add_f64 v[73:74], v[73:74], -v[103:104]
	s_waitcnt vmcnt(0)
	v_add_f64 v[75:76], v[75:76], -v[99:100]
	buffer_store_dword v73, off, s[20:23], 0 offset:16 ; 4-byte Folded Spill
	s_nop 0
	buffer_store_dword v74, off, s[20:23], 0 offset:20 ; 4-byte Folded Spill
	buffer_store_dword v75, off, s[20:23], 0 offset:24 ; 4-byte Folded Spill
	;; [unrolled: 1-line block ×3, first 2 shown]
	v_mov_b32_e32 v76, v72
	v_mov_b32_e32 v75, v71
	v_mov_b32_e32 v74, v70
	v_mov_b32_e32 v73, v69
	ds_read2_b64 v[99:102], v125 offset0:60 offset1:61
	buffer_load_dword v69, off, s[20:23], 0 ; 4-byte Folded Reload
	buffer_load_dword v70, off, s[20:23], 0 offset:4 ; 4-byte Folded Reload
	buffer_load_dword v71, off, s[20:23], 0 offset:8 ; 4-byte Folded Reload
	buffer_load_dword v72, off, s[20:23], 0 offset:12 ; 4-byte Folded Reload
	s_waitcnt lgkmcnt(0)
	v_mul_f64 v[103:104], v[101:102], v[105:106]
	v_fma_f64 v[103:104], v[99:100], v[97:98], -v[103:104]
	v_mul_f64 v[99:100], v[99:100], v[105:106]
	v_fma_f64 v[99:100], v[101:102], v[97:98], v[99:100]
	s_waitcnt vmcnt(2)
	v_add_f64 v[69:70], v[69:70], -v[103:104]
	s_waitcnt vmcnt(0)
	v_add_f64 v[71:72], v[71:72], -v[99:100]
	buffer_store_dword v69, off, s[20:23], 0 ; 4-byte Folded Spill
	s_nop 0
	buffer_store_dword v70, off, s[20:23], 0 offset:4 ; 4-byte Folded Spill
	buffer_store_dword v71, off, s[20:23], 0 offset:8 ; 4-byte Folded Spill
	;; [unrolled: 1-line block ×3, first 2 shown]
	ds_read2_b64 v[99:102], v125 offset0:62 offset1:63
	s_waitcnt lgkmcnt(0)
	v_mul_f64 v[103:104], v[101:102], v[105:106]
	v_fma_f64 v[103:104], v[99:100], v[97:98], -v[103:104]
	v_mul_f64 v[99:100], v[99:100], v[105:106]
	v_add_f64 v[65:66], v[65:66], -v[103:104]
	v_fma_f64 v[99:100], v[101:102], v[97:98], v[99:100]
	v_add_f64 v[67:68], v[67:68], -v[99:100]
	ds_read2_b64 v[99:102], v125 offset0:64 offset1:65
	s_waitcnt lgkmcnt(0)
	v_mul_f64 v[103:104], v[101:102], v[105:106]
	v_fma_f64 v[103:104], v[99:100], v[97:98], -v[103:104]
	v_mul_f64 v[99:100], v[99:100], v[105:106]
	v_add_f64 v[61:62], v[61:62], -v[103:104]
	v_fma_f64 v[99:100], v[101:102], v[97:98], v[99:100]
	v_add_f64 v[63:64], v[63:64], -v[99:100]
	;; [unrolled: 8-line block ×16, first 2 shown]
	ds_read2_b64 v[99:102], v125 offset0:94 offset1:95
	s_waitcnt lgkmcnt(0)
	v_mul_f64 v[103:104], v[101:102], v[105:106]
	v_fma_f64 v[103:104], v[99:100], v[97:98], -v[103:104]
	v_mul_f64 v[99:100], v[99:100], v[105:106]
	v_add_f64 v[1:2], v[1:2], -v[103:104]
	v_fma_f64 v[99:100], v[101:102], v[97:98], v[99:100]
	ds_read2_b64 v[101:104], v125 offset0:96 offset1:97
	v_add_f64 v[3:4], v[3:4], -v[99:100]
	s_waitcnt lgkmcnt(0)
	v_mul_f64 v[99:100], v[103:104], v[105:106]
	v_fma_f64 v[99:100], v[101:102], v[97:98], -v[99:100]
	v_mul_f64 v[101:102], v[101:102], v[105:106]
	v_add_f64 v[73:74], v[73:74], -v[99:100]
	v_fma_f64 v[101:102], v[103:104], v[97:98], v[101:102]
	v_mov_b32_e32 v104, v98
	v_mov_b32_e32 v103, v97
	buffer_store_dword v103, off, s[20:23], 0 offset:368 ; 4-byte Folded Spill
	s_nop 0
	buffer_store_dword v104, off, s[20:23], 0 offset:372 ; 4-byte Folded Spill
	buffer_store_dword v105, off, s[20:23], 0 offset:376 ; 4-byte Folded Spill
	;; [unrolled: 1-line block ×3, first 2 shown]
	v_add_f64 v[75:76], v[75:76], -v[101:102]
.LBB97_28:
	s_or_b64 exec, exec, s[2:3]
	v_cmp_eq_u32_e32 vcc, 3, v0
	s_waitcnt vmcnt(0)
	s_barrier
	s_and_saveexec_b64 s[4:5], vcc
	s_cbranch_execz .LBB97_35
; %bb.29:
	buffer_load_dword v69, off, s[20:23], 0 offset:352 ; 4-byte Folded Reload
	buffer_load_dword v70, off, s[20:23], 0 offset:356 ; 4-byte Folded Reload
	;; [unrolled: 1-line block ×4, first 2 shown]
	s_waitcnt vmcnt(0)
	ds_write2_b64 v127, v[69:70], v[71:72] offset1:1
	buffer_load_dword v69, off, s[20:23], 0 offset:336 ; 4-byte Folded Reload
	buffer_load_dword v70, off, s[20:23], 0 offset:340 ; 4-byte Folded Reload
	buffer_load_dword v71, off, s[20:23], 0 offset:344 ; 4-byte Folded Reload
	buffer_load_dword v72, off, s[20:23], 0 offset:348 ; 4-byte Folded Reload
	s_waitcnt vmcnt(0)
	ds_write2_b64 v125, v[69:70], v[71:72] offset0:8 offset1:9
	buffer_load_dword v69, off, s[20:23], 0 offset:320 ; 4-byte Folded Reload
	buffer_load_dword v70, off, s[20:23], 0 offset:324 ; 4-byte Folded Reload
	buffer_load_dword v71, off, s[20:23], 0 offset:328 ; 4-byte Folded Reload
	buffer_load_dword v72, off, s[20:23], 0 offset:332 ; 4-byte Folded Reload
	s_waitcnt vmcnt(0)
	ds_write2_b64 v125, v[69:70], v[71:72] offset0:10 offset1:11
	;; [unrolled: 6-line block ×19, first 2 shown]
	ds_write2_b64 v125, v[121:122], v[123:124] offset0:46 offset1:47
	ds_write2_b64 v125, v[117:118], v[119:120] offset0:48 offset1:49
	;; [unrolled: 1-line block ×5, first 2 shown]
	buffer_load_dword v77, off, s[20:23], 0 offset:32 ; 4-byte Folded Reload
	buffer_load_dword v78, off, s[20:23], 0 offset:36 ; 4-byte Folded Reload
	;; [unrolled: 1-line block ×4, first 2 shown]
	v_mov_b32_e32 v69, v73
	v_mov_b32_e32 v70, v74
	;; [unrolled: 1-line block ×4, first 2 shown]
	s_waitcnt vmcnt(0)
	ds_write2_b64 v125, v[77:78], v[79:80] offset0:56 offset1:57
	buffer_load_dword v73, off, s[20:23], 0 offset:16 ; 4-byte Folded Reload
	buffer_load_dword v74, off, s[20:23], 0 offset:20 ; 4-byte Folded Reload
	;; [unrolled: 1-line block ×4, first 2 shown]
	s_waitcnt vmcnt(0)
	ds_write2_b64 v125, v[73:74], v[75:76] offset0:58 offset1:59
	v_mov_b32_e32 v76, v72
	v_mov_b32_e32 v75, v71
	;; [unrolled: 1-line block ×4, first 2 shown]
	buffer_load_dword v69, off, s[20:23], 0 ; 4-byte Folded Reload
	buffer_load_dword v70, off, s[20:23], 0 offset:4 ; 4-byte Folded Reload
	buffer_load_dword v71, off, s[20:23], 0 offset:8 ; 4-byte Folded Reload
	;; [unrolled: 1-line block ×3, first 2 shown]
	s_waitcnt vmcnt(0)
	ds_write2_b64 v125, v[69:70], v[71:72] offset0:60 offset1:61
	ds_write2_b64 v125, v[65:66], v[67:68] offset0:62 offset1:63
	;; [unrolled: 1-line block ×19, first 2 shown]
	ds_read2_b64 v[97:100], v127 offset1:1
	s_waitcnt lgkmcnt(0)
	v_cmp_neq_f64_e32 vcc, 0, v[97:98]
	v_cmp_neq_f64_e64 s[2:3], 0, v[99:100]
	s_or_b64 s[2:3], vcc, s[2:3]
	s_and_b64 exec, exec, s[2:3]
	s_cbranch_execz .LBB97_35
; %bb.30:
	v_cmp_ngt_f64_e64 s[2:3], |v[97:98]|, |v[99:100]|
                                        ; implicit-def: $vgpr101_vgpr102
	s_and_saveexec_b64 s[6:7], s[2:3]
	s_xor_b64 s[2:3], exec, s[6:7]
                                        ; implicit-def: $vgpr103_vgpr104
	s_cbranch_execz .LBB97_32
; %bb.31:
	v_div_scale_f64 v[101:102], s[6:7], v[99:100], v[99:100], v[97:98]
	v_rcp_f64_e32 v[103:104], v[101:102]
	v_fma_f64 v[105:106], -v[101:102], v[103:104], 1.0
	v_fma_f64 v[103:104], v[103:104], v[105:106], v[103:104]
	v_div_scale_f64 v[105:106], vcc, v[97:98], v[99:100], v[97:98]
	v_fma_f64 v[107:108], -v[101:102], v[103:104], 1.0
	v_fma_f64 v[103:104], v[103:104], v[107:108], v[103:104]
	v_mul_f64 v[107:108], v[105:106], v[103:104]
	v_fma_f64 v[101:102], -v[101:102], v[107:108], v[105:106]
	v_div_fmas_f64 v[101:102], v[101:102], v[103:104], v[107:108]
	v_div_fixup_f64 v[101:102], v[101:102], v[99:100], v[97:98]
	v_fma_f64 v[97:98], v[97:98], v[101:102], v[99:100]
	v_div_scale_f64 v[99:100], s[6:7], v[97:98], v[97:98], 1.0
	v_div_scale_f64 v[107:108], vcc, 1.0, v[97:98], 1.0
	v_rcp_f64_e32 v[103:104], v[99:100]
	v_fma_f64 v[105:106], -v[99:100], v[103:104], 1.0
	v_fma_f64 v[103:104], v[103:104], v[105:106], v[103:104]
	v_fma_f64 v[105:106], -v[99:100], v[103:104], 1.0
	v_fma_f64 v[103:104], v[103:104], v[105:106], v[103:104]
	v_mul_f64 v[105:106], v[107:108], v[103:104]
	v_fma_f64 v[99:100], -v[99:100], v[105:106], v[107:108]
	v_div_fmas_f64 v[99:100], v[99:100], v[103:104], v[105:106]
	v_div_fixup_f64 v[103:104], v[99:100], v[97:98], 1.0
                                        ; implicit-def: $vgpr97_vgpr98
	v_mul_f64 v[101:102], v[101:102], v[103:104]
	v_xor_b32_e32 v104, 0x80000000, v104
.LBB97_32:
	s_andn2_saveexec_b64 s[2:3], s[2:3]
	s_cbranch_execz .LBB97_34
; %bb.33:
	v_div_scale_f64 v[101:102], s[6:7], v[97:98], v[97:98], v[99:100]
	v_rcp_f64_e32 v[103:104], v[101:102]
	v_fma_f64 v[105:106], -v[101:102], v[103:104], 1.0
	v_fma_f64 v[103:104], v[103:104], v[105:106], v[103:104]
	v_div_scale_f64 v[105:106], vcc, v[99:100], v[97:98], v[99:100]
	v_fma_f64 v[107:108], -v[101:102], v[103:104], 1.0
	v_fma_f64 v[103:104], v[103:104], v[107:108], v[103:104]
	v_mul_f64 v[107:108], v[105:106], v[103:104]
	v_fma_f64 v[101:102], -v[101:102], v[107:108], v[105:106]
	v_div_fmas_f64 v[101:102], v[101:102], v[103:104], v[107:108]
	v_div_fixup_f64 v[103:104], v[101:102], v[97:98], v[99:100]
	v_fma_f64 v[97:98], v[99:100], v[103:104], v[97:98]
	v_div_scale_f64 v[99:100], s[6:7], v[97:98], v[97:98], 1.0
	v_div_scale_f64 v[107:108], vcc, 1.0, v[97:98], 1.0
	v_rcp_f64_e32 v[101:102], v[99:100]
	v_fma_f64 v[105:106], -v[99:100], v[101:102], 1.0
	v_fma_f64 v[101:102], v[101:102], v[105:106], v[101:102]
	v_fma_f64 v[105:106], -v[99:100], v[101:102], 1.0
	v_fma_f64 v[101:102], v[101:102], v[105:106], v[101:102]
	v_mul_f64 v[105:106], v[107:108], v[101:102]
	v_fma_f64 v[99:100], -v[99:100], v[105:106], v[107:108]
	v_div_fmas_f64 v[99:100], v[99:100], v[101:102], v[105:106]
	v_div_fixup_f64 v[101:102], v[99:100], v[97:98], 1.0
	v_mul_f64 v[103:104], v[103:104], -v[101:102]
.LBB97_34:
	s_or_b64 exec, exec, s[2:3]
	ds_write2_b64 v127, v[101:102], v[103:104] offset1:1
.LBB97_35:
	s_or_b64 exec, exec, s[4:5]
	s_waitcnt lgkmcnt(0)
	s_barrier
	ds_read2_b64 v[69:72], v127 offset1:1
	v_cmp_lt_u32_e32 vcc, 3, v0
	s_waitcnt lgkmcnt(0)
	buffer_store_dword v69, off, s[20:23], 0 offset:848 ; 4-byte Folded Spill
	s_nop 0
	buffer_store_dword v70, off, s[20:23], 0 offset:852 ; 4-byte Folded Spill
	buffer_store_dword v71, off, s[20:23], 0 offset:856 ; 4-byte Folded Spill
	;; [unrolled: 1-line block ×3, first 2 shown]
	s_and_saveexec_b64 s[2:3], vcc
	s_cbranch_execz .LBB97_37
; %bb.36:
	buffer_load_dword v103, off, s[20:23], 0 offset:352 ; 4-byte Folded Reload
	buffer_load_dword v104, off, s[20:23], 0 offset:356 ; 4-byte Folded Reload
	;; [unrolled: 1-line block ×8, first 2 shown]
	s_waitcnt vmcnt(2)
	v_mul_f64 v[99:100], v[69:70], v[105:106]
	s_waitcnt vmcnt(0)
	v_mul_f64 v[97:98], v[71:72], v[105:106]
	v_fma_f64 v[105:106], v[71:72], v[103:104], v[99:100]
	ds_read2_b64 v[99:102], v125 offset0:8 offset1:9
	v_fma_f64 v[97:98], v[69:70], v[103:104], -v[97:98]
	buffer_load_dword v69, off, s[20:23], 0 offset:336 ; 4-byte Folded Reload
	buffer_load_dword v70, off, s[20:23], 0 offset:340 ; 4-byte Folded Reload
	buffer_load_dword v71, off, s[20:23], 0 offset:344 ; 4-byte Folded Reload
	buffer_load_dword v72, off, s[20:23], 0 offset:348 ; 4-byte Folded Reload
	s_waitcnt lgkmcnt(0)
	v_mul_f64 v[103:104], v[101:102], v[105:106]
	v_fma_f64 v[103:104], v[99:100], v[97:98], -v[103:104]
	v_mul_f64 v[99:100], v[99:100], v[105:106]
	v_fma_f64 v[99:100], v[101:102], v[97:98], v[99:100]
	s_waitcnt vmcnt(2)
	v_add_f64 v[69:70], v[69:70], -v[103:104]
	s_waitcnt vmcnt(0)
	v_add_f64 v[71:72], v[71:72], -v[99:100]
	buffer_store_dword v69, off, s[20:23], 0 offset:336 ; 4-byte Folded Spill
	s_nop 0
	buffer_store_dword v70, off, s[20:23], 0 offset:340 ; 4-byte Folded Spill
	buffer_store_dword v71, off, s[20:23], 0 offset:344 ; 4-byte Folded Spill
	buffer_store_dword v72, off, s[20:23], 0 offset:348 ; 4-byte Folded Spill
	ds_read2_b64 v[99:102], v125 offset0:10 offset1:11
	buffer_load_dword v69, off, s[20:23], 0 offset:320 ; 4-byte Folded Reload
	buffer_load_dword v70, off, s[20:23], 0 offset:324 ; 4-byte Folded Reload
	buffer_load_dword v71, off, s[20:23], 0 offset:328 ; 4-byte Folded Reload
	buffer_load_dword v72, off, s[20:23], 0 offset:332 ; 4-byte Folded Reload
	s_waitcnt lgkmcnt(0)
	v_mul_f64 v[103:104], v[101:102], v[105:106]
	v_fma_f64 v[103:104], v[99:100], v[97:98], -v[103:104]
	v_mul_f64 v[99:100], v[99:100], v[105:106]
	v_fma_f64 v[99:100], v[101:102], v[97:98], v[99:100]
	s_waitcnt vmcnt(2)
	v_add_f64 v[69:70], v[69:70], -v[103:104]
	s_waitcnt vmcnt(0)
	v_add_f64 v[71:72], v[71:72], -v[99:100]
	buffer_store_dword v69, off, s[20:23], 0 offset:320 ; 4-byte Folded Spill
	s_nop 0
	buffer_store_dword v70, off, s[20:23], 0 offset:324 ; 4-byte Folded Spill
	buffer_store_dword v71, off, s[20:23], 0 offset:328 ; 4-byte Folded Spill
	buffer_store_dword v72, off, s[20:23], 0 offset:332 ; 4-byte Folded Spill
	ds_read2_b64 v[99:102], v125 offset0:12 offset1:13
	;; [unrolled: 19-line block ×19, first 2 shown]
	v_mov_b32_e32 v69, v73
	v_mov_b32_e32 v70, v74
	;; [unrolled: 1-line block ×4, first 2 shown]
	s_waitcnt lgkmcnt(0)
	v_mul_f64 v[103:104], v[101:102], v[105:106]
	v_fma_f64 v[103:104], v[99:100], v[97:98], -v[103:104]
	v_mul_f64 v[99:100], v[99:100], v[105:106]
	v_add_f64 v[121:122], v[121:122], -v[103:104]
	v_fma_f64 v[99:100], v[101:102], v[97:98], v[99:100]
	v_add_f64 v[123:124], v[123:124], -v[99:100]
	ds_read2_b64 v[99:102], v125 offset0:48 offset1:49
	s_waitcnt lgkmcnt(0)
	v_mul_f64 v[103:104], v[101:102], v[105:106]
	v_fma_f64 v[103:104], v[99:100], v[97:98], -v[103:104]
	v_mul_f64 v[99:100], v[99:100], v[105:106]
	v_add_f64 v[117:118], v[117:118], -v[103:104]
	v_fma_f64 v[99:100], v[101:102], v[97:98], v[99:100]
	v_add_f64 v[119:120], v[119:120], -v[99:100]
	ds_read2_b64 v[99:102], v125 offset0:50 offset1:51
	;; [unrolled: 8-line block ×5, first 2 shown]
	buffer_load_dword v77, off, s[20:23], 0 offset:32 ; 4-byte Folded Reload
	buffer_load_dword v78, off, s[20:23], 0 offset:36 ; 4-byte Folded Reload
	;; [unrolled: 1-line block ×4, first 2 shown]
	s_waitcnt lgkmcnt(0)
	v_mul_f64 v[103:104], v[101:102], v[105:106]
	v_fma_f64 v[103:104], v[99:100], v[97:98], -v[103:104]
	v_mul_f64 v[99:100], v[99:100], v[105:106]
	v_fma_f64 v[99:100], v[101:102], v[97:98], v[99:100]
	s_waitcnt vmcnt(2)
	v_add_f64 v[77:78], v[77:78], -v[103:104]
	s_waitcnt vmcnt(0)
	v_add_f64 v[79:80], v[79:80], -v[99:100]
	buffer_store_dword v77, off, s[20:23], 0 offset:32 ; 4-byte Folded Spill
	s_nop 0
	buffer_store_dword v78, off, s[20:23], 0 offset:36 ; 4-byte Folded Spill
	buffer_store_dword v79, off, s[20:23], 0 offset:40 ; 4-byte Folded Spill
	;; [unrolled: 1-line block ×3, first 2 shown]
	ds_read2_b64 v[99:102], v125 offset0:58 offset1:59
	buffer_load_dword v73, off, s[20:23], 0 offset:16 ; 4-byte Folded Reload
	buffer_load_dword v74, off, s[20:23], 0 offset:20 ; 4-byte Folded Reload
	;; [unrolled: 1-line block ×4, first 2 shown]
	s_waitcnt lgkmcnt(0)
	v_mul_f64 v[103:104], v[101:102], v[105:106]
	v_fma_f64 v[103:104], v[99:100], v[97:98], -v[103:104]
	v_mul_f64 v[99:100], v[99:100], v[105:106]
	v_fma_f64 v[99:100], v[101:102], v[97:98], v[99:100]
	s_waitcnt vmcnt(2)
	v_add_f64 v[73:74], v[73:74], -v[103:104]
	s_waitcnt vmcnt(0)
	v_add_f64 v[75:76], v[75:76], -v[99:100]
	buffer_store_dword v73, off, s[20:23], 0 offset:16 ; 4-byte Folded Spill
	s_nop 0
	buffer_store_dword v74, off, s[20:23], 0 offset:20 ; 4-byte Folded Spill
	buffer_store_dword v75, off, s[20:23], 0 offset:24 ; 4-byte Folded Spill
	;; [unrolled: 1-line block ×3, first 2 shown]
	v_mov_b32_e32 v76, v72
	v_mov_b32_e32 v75, v71
	;; [unrolled: 1-line block ×4, first 2 shown]
	ds_read2_b64 v[99:102], v125 offset0:60 offset1:61
	buffer_load_dword v69, off, s[20:23], 0 ; 4-byte Folded Reload
	buffer_load_dword v70, off, s[20:23], 0 offset:4 ; 4-byte Folded Reload
	buffer_load_dword v71, off, s[20:23], 0 offset:8 ; 4-byte Folded Reload
	;; [unrolled: 1-line block ×3, first 2 shown]
	s_waitcnt lgkmcnt(0)
	v_mul_f64 v[103:104], v[101:102], v[105:106]
	v_fma_f64 v[103:104], v[99:100], v[97:98], -v[103:104]
	v_mul_f64 v[99:100], v[99:100], v[105:106]
	v_fma_f64 v[99:100], v[101:102], v[97:98], v[99:100]
	s_waitcnt vmcnt(2)
	v_add_f64 v[69:70], v[69:70], -v[103:104]
	s_waitcnt vmcnt(0)
	v_add_f64 v[71:72], v[71:72], -v[99:100]
	buffer_store_dword v69, off, s[20:23], 0 ; 4-byte Folded Spill
	s_nop 0
	buffer_store_dword v70, off, s[20:23], 0 offset:4 ; 4-byte Folded Spill
	buffer_store_dword v71, off, s[20:23], 0 offset:8 ; 4-byte Folded Spill
	;; [unrolled: 1-line block ×3, first 2 shown]
	ds_read2_b64 v[99:102], v125 offset0:62 offset1:63
	s_waitcnt lgkmcnt(0)
	v_mul_f64 v[103:104], v[101:102], v[105:106]
	v_fma_f64 v[103:104], v[99:100], v[97:98], -v[103:104]
	v_mul_f64 v[99:100], v[99:100], v[105:106]
	v_add_f64 v[65:66], v[65:66], -v[103:104]
	v_fma_f64 v[99:100], v[101:102], v[97:98], v[99:100]
	v_add_f64 v[67:68], v[67:68], -v[99:100]
	ds_read2_b64 v[99:102], v125 offset0:64 offset1:65
	s_waitcnt lgkmcnt(0)
	v_mul_f64 v[103:104], v[101:102], v[105:106]
	v_fma_f64 v[103:104], v[99:100], v[97:98], -v[103:104]
	v_mul_f64 v[99:100], v[99:100], v[105:106]
	v_add_f64 v[61:62], v[61:62], -v[103:104]
	v_fma_f64 v[99:100], v[101:102], v[97:98], v[99:100]
	v_add_f64 v[63:64], v[63:64], -v[99:100]
	;; [unrolled: 8-line block ×16, first 2 shown]
	ds_read2_b64 v[99:102], v125 offset0:94 offset1:95
	s_waitcnt lgkmcnt(0)
	v_mul_f64 v[103:104], v[101:102], v[105:106]
	v_fma_f64 v[103:104], v[99:100], v[97:98], -v[103:104]
	v_mul_f64 v[99:100], v[99:100], v[105:106]
	v_add_f64 v[1:2], v[1:2], -v[103:104]
	v_fma_f64 v[99:100], v[101:102], v[97:98], v[99:100]
	ds_read2_b64 v[101:104], v125 offset0:96 offset1:97
	v_add_f64 v[3:4], v[3:4], -v[99:100]
	s_waitcnt lgkmcnt(0)
	v_mul_f64 v[99:100], v[103:104], v[105:106]
	v_fma_f64 v[99:100], v[101:102], v[97:98], -v[99:100]
	v_mul_f64 v[101:102], v[101:102], v[105:106]
	v_add_f64 v[73:74], v[73:74], -v[99:100]
	v_fma_f64 v[101:102], v[103:104], v[97:98], v[101:102]
	v_mov_b32_e32 v104, v98
	v_mov_b32_e32 v103, v97
	buffer_store_dword v103, off, s[20:23], 0 offset:352 ; 4-byte Folded Spill
	s_nop 0
	buffer_store_dword v104, off, s[20:23], 0 offset:356 ; 4-byte Folded Spill
	buffer_store_dword v105, off, s[20:23], 0 offset:360 ; 4-byte Folded Spill
	;; [unrolled: 1-line block ×3, first 2 shown]
	v_add_f64 v[75:76], v[75:76], -v[101:102]
.LBB97_37:
	s_or_b64 exec, exec, s[2:3]
	v_cmp_eq_u32_e32 vcc, 4, v0
	s_waitcnt vmcnt(0)
	s_barrier
	s_and_saveexec_b64 s[4:5], vcc
	s_cbranch_execz .LBB97_44
; %bb.38:
	buffer_load_dword v69, off, s[20:23], 0 offset:336 ; 4-byte Folded Reload
	buffer_load_dword v70, off, s[20:23], 0 offset:340 ; 4-byte Folded Reload
	;; [unrolled: 1-line block ×4, first 2 shown]
	s_waitcnt vmcnt(0)
	ds_write2_b64 v127, v[69:70], v[71:72] offset1:1
	buffer_load_dword v69, off, s[20:23], 0 offset:320 ; 4-byte Folded Reload
	buffer_load_dword v70, off, s[20:23], 0 offset:324 ; 4-byte Folded Reload
	buffer_load_dword v71, off, s[20:23], 0 offset:328 ; 4-byte Folded Reload
	buffer_load_dword v72, off, s[20:23], 0 offset:332 ; 4-byte Folded Reload
	s_waitcnt vmcnt(0)
	ds_write2_b64 v125, v[69:70], v[71:72] offset0:10 offset1:11
	buffer_load_dword v69, off, s[20:23], 0 offset:304 ; 4-byte Folded Reload
	buffer_load_dword v70, off, s[20:23], 0 offset:308 ; 4-byte Folded Reload
	buffer_load_dword v71, off, s[20:23], 0 offset:312 ; 4-byte Folded Reload
	buffer_load_dword v72, off, s[20:23], 0 offset:316 ; 4-byte Folded Reload
	s_waitcnt vmcnt(0)
	ds_write2_b64 v125, v[69:70], v[71:72] offset0:12 offset1:13
	;; [unrolled: 6-line block ×18, first 2 shown]
	ds_write2_b64 v125, v[121:122], v[123:124] offset0:46 offset1:47
	ds_write2_b64 v125, v[117:118], v[119:120] offset0:48 offset1:49
	;; [unrolled: 1-line block ×5, first 2 shown]
	buffer_load_dword v77, off, s[20:23], 0 offset:32 ; 4-byte Folded Reload
	buffer_load_dword v78, off, s[20:23], 0 offset:36 ; 4-byte Folded Reload
	buffer_load_dword v79, off, s[20:23], 0 offset:40 ; 4-byte Folded Reload
	buffer_load_dword v80, off, s[20:23], 0 offset:44 ; 4-byte Folded Reload
	v_mov_b32_e32 v69, v73
	v_mov_b32_e32 v70, v74
	;; [unrolled: 1-line block ×4, first 2 shown]
	s_waitcnt vmcnt(0)
	ds_write2_b64 v125, v[77:78], v[79:80] offset0:56 offset1:57
	buffer_load_dword v73, off, s[20:23], 0 offset:16 ; 4-byte Folded Reload
	buffer_load_dword v74, off, s[20:23], 0 offset:20 ; 4-byte Folded Reload
	;; [unrolled: 1-line block ×4, first 2 shown]
	s_waitcnt vmcnt(0)
	ds_write2_b64 v125, v[73:74], v[75:76] offset0:58 offset1:59
	v_mov_b32_e32 v76, v72
	v_mov_b32_e32 v75, v71
	;; [unrolled: 1-line block ×4, first 2 shown]
	buffer_load_dword v69, off, s[20:23], 0 ; 4-byte Folded Reload
	buffer_load_dword v70, off, s[20:23], 0 offset:4 ; 4-byte Folded Reload
	buffer_load_dword v71, off, s[20:23], 0 offset:8 ; 4-byte Folded Reload
	;; [unrolled: 1-line block ×3, first 2 shown]
	s_waitcnt vmcnt(0)
	ds_write2_b64 v125, v[69:70], v[71:72] offset0:60 offset1:61
	ds_write2_b64 v125, v[65:66], v[67:68] offset0:62 offset1:63
	;; [unrolled: 1-line block ×19, first 2 shown]
	ds_read2_b64 v[97:100], v127 offset1:1
	s_waitcnt lgkmcnt(0)
	v_cmp_neq_f64_e32 vcc, 0, v[97:98]
	v_cmp_neq_f64_e64 s[2:3], 0, v[99:100]
	s_or_b64 s[2:3], vcc, s[2:3]
	s_and_b64 exec, exec, s[2:3]
	s_cbranch_execz .LBB97_44
; %bb.39:
	v_cmp_ngt_f64_e64 s[2:3], |v[97:98]|, |v[99:100]|
                                        ; implicit-def: $vgpr101_vgpr102
	s_and_saveexec_b64 s[6:7], s[2:3]
	s_xor_b64 s[2:3], exec, s[6:7]
                                        ; implicit-def: $vgpr103_vgpr104
	s_cbranch_execz .LBB97_41
; %bb.40:
	v_div_scale_f64 v[101:102], s[6:7], v[99:100], v[99:100], v[97:98]
	v_rcp_f64_e32 v[103:104], v[101:102]
	v_fma_f64 v[105:106], -v[101:102], v[103:104], 1.0
	v_fma_f64 v[103:104], v[103:104], v[105:106], v[103:104]
	v_div_scale_f64 v[105:106], vcc, v[97:98], v[99:100], v[97:98]
	v_fma_f64 v[107:108], -v[101:102], v[103:104], 1.0
	v_fma_f64 v[103:104], v[103:104], v[107:108], v[103:104]
	v_mul_f64 v[107:108], v[105:106], v[103:104]
	v_fma_f64 v[101:102], -v[101:102], v[107:108], v[105:106]
	v_div_fmas_f64 v[101:102], v[101:102], v[103:104], v[107:108]
	v_div_fixup_f64 v[101:102], v[101:102], v[99:100], v[97:98]
	v_fma_f64 v[97:98], v[97:98], v[101:102], v[99:100]
	v_div_scale_f64 v[99:100], s[6:7], v[97:98], v[97:98], 1.0
	v_div_scale_f64 v[107:108], vcc, 1.0, v[97:98], 1.0
	v_rcp_f64_e32 v[103:104], v[99:100]
	v_fma_f64 v[105:106], -v[99:100], v[103:104], 1.0
	v_fma_f64 v[103:104], v[103:104], v[105:106], v[103:104]
	v_fma_f64 v[105:106], -v[99:100], v[103:104], 1.0
	v_fma_f64 v[103:104], v[103:104], v[105:106], v[103:104]
	v_mul_f64 v[105:106], v[107:108], v[103:104]
	v_fma_f64 v[99:100], -v[99:100], v[105:106], v[107:108]
	v_div_fmas_f64 v[99:100], v[99:100], v[103:104], v[105:106]
	v_div_fixup_f64 v[103:104], v[99:100], v[97:98], 1.0
                                        ; implicit-def: $vgpr97_vgpr98
	v_mul_f64 v[101:102], v[101:102], v[103:104]
	v_xor_b32_e32 v104, 0x80000000, v104
.LBB97_41:
	s_andn2_saveexec_b64 s[2:3], s[2:3]
	s_cbranch_execz .LBB97_43
; %bb.42:
	v_div_scale_f64 v[101:102], s[6:7], v[97:98], v[97:98], v[99:100]
	v_rcp_f64_e32 v[103:104], v[101:102]
	v_fma_f64 v[105:106], -v[101:102], v[103:104], 1.0
	v_fma_f64 v[103:104], v[103:104], v[105:106], v[103:104]
	v_div_scale_f64 v[105:106], vcc, v[99:100], v[97:98], v[99:100]
	v_fma_f64 v[107:108], -v[101:102], v[103:104], 1.0
	v_fma_f64 v[103:104], v[103:104], v[107:108], v[103:104]
	v_mul_f64 v[107:108], v[105:106], v[103:104]
	v_fma_f64 v[101:102], -v[101:102], v[107:108], v[105:106]
	v_div_fmas_f64 v[101:102], v[101:102], v[103:104], v[107:108]
	v_div_fixup_f64 v[103:104], v[101:102], v[97:98], v[99:100]
	v_fma_f64 v[97:98], v[99:100], v[103:104], v[97:98]
	v_div_scale_f64 v[99:100], s[6:7], v[97:98], v[97:98], 1.0
	v_div_scale_f64 v[107:108], vcc, 1.0, v[97:98], 1.0
	v_rcp_f64_e32 v[101:102], v[99:100]
	v_fma_f64 v[105:106], -v[99:100], v[101:102], 1.0
	v_fma_f64 v[101:102], v[101:102], v[105:106], v[101:102]
	v_fma_f64 v[105:106], -v[99:100], v[101:102], 1.0
	v_fma_f64 v[101:102], v[101:102], v[105:106], v[101:102]
	v_mul_f64 v[105:106], v[107:108], v[101:102]
	v_fma_f64 v[99:100], -v[99:100], v[105:106], v[107:108]
	v_div_fmas_f64 v[99:100], v[99:100], v[101:102], v[105:106]
	v_div_fixup_f64 v[101:102], v[99:100], v[97:98], 1.0
	v_mul_f64 v[103:104], v[103:104], -v[101:102]
.LBB97_43:
	s_or_b64 exec, exec, s[2:3]
	ds_write2_b64 v127, v[101:102], v[103:104] offset1:1
.LBB97_44:
	s_or_b64 exec, exec, s[4:5]
	s_waitcnt lgkmcnt(0)
	s_barrier
	ds_read2_b64 v[69:72], v127 offset1:1
	v_cmp_lt_u32_e32 vcc, 4, v0
	s_waitcnt lgkmcnt(0)
	buffer_store_dword v69, off, s[20:23], 0 offset:864 ; 4-byte Folded Spill
	s_nop 0
	buffer_store_dword v70, off, s[20:23], 0 offset:868 ; 4-byte Folded Spill
	buffer_store_dword v71, off, s[20:23], 0 offset:872 ; 4-byte Folded Spill
	;; [unrolled: 1-line block ×3, first 2 shown]
	s_and_saveexec_b64 s[2:3], vcc
	s_cbranch_execz .LBB97_46
; %bb.45:
	buffer_load_dword v103, off, s[20:23], 0 offset:336 ; 4-byte Folded Reload
	buffer_load_dword v104, off, s[20:23], 0 offset:340 ; 4-byte Folded Reload
	;; [unrolled: 1-line block ×8, first 2 shown]
	s_waitcnt vmcnt(2)
	v_mul_f64 v[99:100], v[69:70], v[105:106]
	s_waitcnt vmcnt(0)
	v_mul_f64 v[97:98], v[71:72], v[105:106]
	v_fma_f64 v[105:106], v[71:72], v[103:104], v[99:100]
	ds_read2_b64 v[99:102], v125 offset0:10 offset1:11
	v_fma_f64 v[97:98], v[69:70], v[103:104], -v[97:98]
	buffer_load_dword v69, off, s[20:23], 0 offset:320 ; 4-byte Folded Reload
	buffer_load_dword v70, off, s[20:23], 0 offset:324 ; 4-byte Folded Reload
	buffer_load_dword v71, off, s[20:23], 0 offset:328 ; 4-byte Folded Reload
	buffer_load_dword v72, off, s[20:23], 0 offset:332 ; 4-byte Folded Reload
	s_waitcnt lgkmcnt(0)
	v_mul_f64 v[103:104], v[101:102], v[105:106]
	v_fma_f64 v[103:104], v[99:100], v[97:98], -v[103:104]
	v_mul_f64 v[99:100], v[99:100], v[105:106]
	v_fma_f64 v[99:100], v[101:102], v[97:98], v[99:100]
	s_waitcnt vmcnt(2)
	v_add_f64 v[69:70], v[69:70], -v[103:104]
	s_waitcnt vmcnt(0)
	v_add_f64 v[71:72], v[71:72], -v[99:100]
	buffer_store_dword v69, off, s[20:23], 0 offset:320 ; 4-byte Folded Spill
	s_nop 0
	buffer_store_dword v70, off, s[20:23], 0 offset:324 ; 4-byte Folded Spill
	buffer_store_dword v71, off, s[20:23], 0 offset:328 ; 4-byte Folded Spill
	buffer_store_dword v72, off, s[20:23], 0 offset:332 ; 4-byte Folded Spill
	ds_read2_b64 v[99:102], v125 offset0:12 offset1:13
	buffer_load_dword v69, off, s[20:23], 0 offset:304 ; 4-byte Folded Reload
	buffer_load_dword v70, off, s[20:23], 0 offset:308 ; 4-byte Folded Reload
	buffer_load_dword v71, off, s[20:23], 0 offset:312 ; 4-byte Folded Reload
	buffer_load_dword v72, off, s[20:23], 0 offset:316 ; 4-byte Folded Reload
	s_waitcnt lgkmcnt(0)
	v_mul_f64 v[103:104], v[101:102], v[105:106]
	v_fma_f64 v[103:104], v[99:100], v[97:98], -v[103:104]
	v_mul_f64 v[99:100], v[99:100], v[105:106]
	v_fma_f64 v[99:100], v[101:102], v[97:98], v[99:100]
	s_waitcnt vmcnt(2)
	v_add_f64 v[69:70], v[69:70], -v[103:104]
	s_waitcnt vmcnt(0)
	v_add_f64 v[71:72], v[71:72], -v[99:100]
	buffer_store_dword v69, off, s[20:23], 0 offset:304 ; 4-byte Folded Spill
	s_nop 0
	buffer_store_dword v70, off, s[20:23], 0 offset:308 ; 4-byte Folded Spill
	buffer_store_dword v71, off, s[20:23], 0 offset:312 ; 4-byte Folded Spill
	buffer_store_dword v72, off, s[20:23], 0 offset:316 ; 4-byte Folded Spill
	ds_read2_b64 v[99:102], v125 offset0:14 offset1:15
	;; [unrolled: 19-line block ×18, first 2 shown]
	v_mov_b32_e32 v69, v73
	v_mov_b32_e32 v70, v74
	;; [unrolled: 1-line block ×4, first 2 shown]
	s_waitcnt lgkmcnt(0)
	v_mul_f64 v[103:104], v[101:102], v[105:106]
	v_fma_f64 v[103:104], v[99:100], v[97:98], -v[103:104]
	v_mul_f64 v[99:100], v[99:100], v[105:106]
	v_add_f64 v[121:122], v[121:122], -v[103:104]
	v_fma_f64 v[99:100], v[101:102], v[97:98], v[99:100]
	v_add_f64 v[123:124], v[123:124], -v[99:100]
	ds_read2_b64 v[99:102], v125 offset0:48 offset1:49
	s_waitcnt lgkmcnt(0)
	v_mul_f64 v[103:104], v[101:102], v[105:106]
	v_fma_f64 v[103:104], v[99:100], v[97:98], -v[103:104]
	v_mul_f64 v[99:100], v[99:100], v[105:106]
	v_add_f64 v[117:118], v[117:118], -v[103:104]
	v_fma_f64 v[99:100], v[101:102], v[97:98], v[99:100]
	v_add_f64 v[119:120], v[119:120], -v[99:100]
	ds_read2_b64 v[99:102], v125 offset0:50 offset1:51
	;; [unrolled: 8-line block ×5, first 2 shown]
	buffer_load_dword v77, off, s[20:23], 0 offset:32 ; 4-byte Folded Reload
	buffer_load_dword v78, off, s[20:23], 0 offset:36 ; 4-byte Folded Reload
	buffer_load_dword v79, off, s[20:23], 0 offset:40 ; 4-byte Folded Reload
	buffer_load_dword v80, off, s[20:23], 0 offset:44 ; 4-byte Folded Reload
	s_waitcnt lgkmcnt(0)
	v_mul_f64 v[103:104], v[101:102], v[105:106]
	v_fma_f64 v[103:104], v[99:100], v[97:98], -v[103:104]
	v_mul_f64 v[99:100], v[99:100], v[105:106]
	v_fma_f64 v[99:100], v[101:102], v[97:98], v[99:100]
	s_waitcnt vmcnt(2)
	v_add_f64 v[77:78], v[77:78], -v[103:104]
	s_waitcnt vmcnt(0)
	v_add_f64 v[79:80], v[79:80], -v[99:100]
	buffer_store_dword v77, off, s[20:23], 0 offset:32 ; 4-byte Folded Spill
	s_nop 0
	buffer_store_dword v78, off, s[20:23], 0 offset:36 ; 4-byte Folded Spill
	buffer_store_dword v79, off, s[20:23], 0 offset:40 ; 4-byte Folded Spill
	;; [unrolled: 1-line block ×3, first 2 shown]
	ds_read2_b64 v[99:102], v125 offset0:58 offset1:59
	buffer_load_dword v73, off, s[20:23], 0 offset:16 ; 4-byte Folded Reload
	buffer_load_dword v74, off, s[20:23], 0 offset:20 ; 4-byte Folded Reload
	;; [unrolled: 1-line block ×4, first 2 shown]
	s_waitcnt lgkmcnt(0)
	v_mul_f64 v[103:104], v[101:102], v[105:106]
	v_fma_f64 v[103:104], v[99:100], v[97:98], -v[103:104]
	v_mul_f64 v[99:100], v[99:100], v[105:106]
	v_fma_f64 v[99:100], v[101:102], v[97:98], v[99:100]
	s_waitcnt vmcnt(2)
	v_add_f64 v[73:74], v[73:74], -v[103:104]
	s_waitcnt vmcnt(0)
	v_add_f64 v[75:76], v[75:76], -v[99:100]
	buffer_store_dword v73, off, s[20:23], 0 offset:16 ; 4-byte Folded Spill
	s_nop 0
	buffer_store_dword v74, off, s[20:23], 0 offset:20 ; 4-byte Folded Spill
	buffer_store_dword v75, off, s[20:23], 0 offset:24 ; 4-byte Folded Spill
	;; [unrolled: 1-line block ×3, first 2 shown]
	v_mov_b32_e32 v76, v72
	v_mov_b32_e32 v75, v71
	;; [unrolled: 1-line block ×4, first 2 shown]
	ds_read2_b64 v[99:102], v125 offset0:60 offset1:61
	buffer_load_dword v69, off, s[20:23], 0 ; 4-byte Folded Reload
	buffer_load_dword v70, off, s[20:23], 0 offset:4 ; 4-byte Folded Reload
	buffer_load_dword v71, off, s[20:23], 0 offset:8 ; 4-byte Folded Reload
	;; [unrolled: 1-line block ×3, first 2 shown]
	s_waitcnt lgkmcnt(0)
	v_mul_f64 v[103:104], v[101:102], v[105:106]
	v_fma_f64 v[103:104], v[99:100], v[97:98], -v[103:104]
	v_mul_f64 v[99:100], v[99:100], v[105:106]
	v_fma_f64 v[99:100], v[101:102], v[97:98], v[99:100]
	s_waitcnt vmcnt(2)
	v_add_f64 v[69:70], v[69:70], -v[103:104]
	s_waitcnt vmcnt(0)
	v_add_f64 v[71:72], v[71:72], -v[99:100]
	buffer_store_dword v69, off, s[20:23], 0 ; 4-byte Folded Spill
	s_nop 0
	buffer_store_dword v70, off, s[20:23], 0 offset:4 ; 4-byte Folded Spill
	buffer_store_dword v71, off, s[20:23], 0 offset:8 ; 4-byte Folded Spill
	;; [unrolled: 1-line block ×3, first 2 shown]
	ds_read2_b64 v[99:102], v125 offset0:62 offset1:63
	s_waitcnt lgkmcnt(0)
	v_mul_f64 v[103:104], v[101:102], v[105:106]
	v_fma_f64 v[103:104], v[99:100], v[97:98], -v[103:104]
	v_mul_f64 v[99:100], v[99:100], v[105:106]
	v_add_f64 v[65:66], v[65:66], -v[103:104]
	v_fma_f64 v[99:100], v[101:102], v[97:98], v[99:100]
	v_add_f64 v[67:68], v[67:68], -v[99:100]
	ds_read2_b64 v[99:102], v125 offset0:64 offset1:65
	s_waitcnt lgkmcnt(0)
	v_mul_f64 v[103:104], v[101:102], v[105:106]
	v_fma_f64 v[103:104], v[99:100], v[97:98], -v[103:104]
	v_mul_f64 v[99:100], v[99:100], v[105:106]
	v_add_f64 v[61:62], v[61:62], -v[103:104]
	v_fma_f64 v[99:100], v[101:102], v[97:98], v[99:100]
	v_add_f64 v[63:64], v[63:64], -v[99:100]
	;; [unrolled: 8-line block ×16, first 2 shown]
	ds_read2_b64 v[99:102], v125 offset0:94 offset1:95
	s_waitcnt lgkmcnt(0)
	v_mul_f64 v[103:104], v[101:102], v[105:106]
	v_fma_f64 v[103:104], v[99:100], v[97:98], -v[103:104]
	v_mul_f64 v[99:100], v[99:100], v[105:106]
	v_add_f64 v[1:2], v[1:2], -v[103:104]
	v_fma_f64 v[99:100], v[101:102], v[97:98], v[99:100]
	ds_read2_b64 v[101:104], v125 offset0:96 offset1:97
	v_add_f64 v[3:4], v[3:4], -v[99:100]
	s_waitcnt lgkmcnt(0)
	v_mul_f64 v[99:100], v[103:104], v[105:106]
	v_fma_f64 v[99:100], v[101:102], v[97:98], -v[99:100]
	v_mul_f64 v[101:102], v[101:102], v[105:106]
	v_add_f64 v[73:74], v[73:74], -v[99:100]
	v_fma_f64 v[101:102], v[103:104], v[97:98], v[101:102]
	v_mov_b32_e32 v104, v98
	v_mov_b32_e32 v103, v97
	buffer_store_dword v103, off, s[20:23], 0 offset:336 ; 4-byte Folded Spill
	s_nop 0
	buffer_store_dword v104, off, s[20:23], 0 offset:340 ; 4-byte Folded Spill
	buffer_store_dword v105, off, s[20:23], 0 offset:344 ; 4-byte Folded Spill
	;; [unrolled: 1-line block ×3, first 2 shown]
	v_add_f64 v[75:76], v[75:76], -v[101:102]
.LBB97_46:
	s_or_b64 exec, exec, s[2:3]
	v_cmp_eq_u32_e32 vcc, 5, v0
	s_waitcnt vmcnt(0)
	s_barrier
	s_and_saveexec_b64 s[4:5], vcc
	s_cbranch_execz .LBB97_53
; %bb.47:
	buffer_load_dword v69, off, s[20:23], 0 offset:320 ; 4-byte Folded Reload
	buffer_load_dword v70, off, s[20:23], 0 offset:324 ; 4-byte Folded Reload
	;; [unrolled: 1-line block ×4, first 2 shown]
	s_waitcnt vmcnt(0)
	ds_write2_b64 v127, v[69:70], v[71:72] offset1:1
	buffer_load_dword v69, off, s[20:23], 0 offset:304 ; 4-byte Folded Reload
	buffer_load_dword v70, off, s[20:23], 0 offset:308 ; 4-byte Folded Reload
	buffer_load_dword v71, off, s[20:23], 0 offset:312 ; 4-byte Folded Reload
	buffer_load_dword v72, off, s[20:23], 0 offset:316 ; 4-byte Folded Reload
	s_waitcnt vmcnt(0)
	ds_write2_b64 v125, v[69:70], v[71:72] offset0:12 offset1:13
	buffer_load_dword v69, off, s[20:23], 0 offset:288 ; 4-byte Folded Reload
	buffer_load_dword v70, off, s[20:23], 0 offset:292 ; 4-byte Folded Reload
	buffer_load_dword v71, off, s[20:23], 0 offset:296 ; 4-byte Folded Reload
	buffer_load_dword v72, off, s[20:23], 0 offset:300 ; 4-byte Folded Reload
	s_waitcnt vmcnt(0)
	ds_write2_b64 v125, v[69:70], v[71:72] offset0:14 offset1:15
	;; [unrolled: 6-line block ×17, first 2 shown]
	ds_write2_b64 v125, v[121:122], v[123:124] offset0:46 offset1:47
	ds_write2_b64 v125, v[117:118], v[119:120] offset0:48 offset1:49
	ds_write2_b64 v125, v[109:110], v[111:112] offset0:50 offset1:51
	ds_write2_b64 v125, v[113:114], v[115:116] offset0:52 offset1:53
	ds_write2_b64 v125, v[93:94], v[95:96] offset0:54 offset1:55
	buffer_load_dword v77, off, s[20:23], 0 offset:32 ; 4-byte Folded Reload
	buffer_load_dword v78, off, s[20:23], 0 offset:36 ; 4-byte Folded Reload
	;; [unrolled: 1-line block ×4, first 2 shown]
	v_mov_b32_e32 v69, v73
	v_mov_b32_e32 v70, v74
	;; [unrolled: 1-line block ×4, first 2 shown]
	s_waitcnt vmcnt(0)
	ds_write2_b64 v125, v[77:78], v[79:80] offset0:56 offset1:57
	buffer_load_dword v73, off, s[20:23], 0 offset:16 ; 4-byte Folded Reload
	buffer_load_dword v74, off, s[20:23], 0 offset:20 ; 4-byte Folded Reload
	;; [unrolled: 1-line block ×4, first 2 shown]
	s_waitcnt vmcnt(0)
	ds_write2_b64 v125, v[73:74], v[75:76] offset0:58 offset1:59
	v_mov_b32_e32 v76, v72
	v_mov_b32_e32 v75, v71
	;; [unrolled: 1-line block ×4, first 2 shown]
	buffer_load_dword v69, off, s[20:23], 0 ; 4-byte Folded Reload
	buffer_load_dword v70, off, s[20:23], 0 offset:4 ; 4-byte Folded Reload
	buffer_load_dword v71, off, s[20:23], 0 offset:8 ; 4-byte Folded Reload
	;; [unrolled: 1-line block ×3, first 2 shown]
	s_waitcnt vmcnt(0)
	ds_write2_b64 v125, v[69:70], v[71:72] offset0:60 offset1:61
	ds_write2_b64 v125, v[65:66], v[67:68] offset0:62 offset1:63
	;; [unrolled: 1-line block ×19, first 2 shown]
	ds_read2_b64 v[97:100], v127 offset1:1
	s_waitcnt lgkmcnt(0)
	v_cmp_neq_f64_e32 vcc, 0, v[97:98]
	v_cmp_neq_f64_e64 s[2:3], 0, v[99:100]
	s_or_b64 s[2:3], vcc, s[2:3]
	s_and_b64 exec, exec, s[2:3]
	s_cbranch_execz .LBB97_53
; %bb.48:
	v_cmp_ngt_f64_e64 s[2:3], |v[97:98]|, |v[99:100]|
                                        ; implicit-def: $vgpr101_vgpr102
	s_and_saveexec_b64 s[6:7], s[2:3]
	s_xor_b64 s[2:3], exec, s[6:7]
                                        ; implicit-def: $vgpr103_vgpr104
	s_cbranch_execz .LBB97_50
; %bb.49:
	v_div_scale_f64 v[101:102], s[6:7], v[99:100], v[99:100], v[97:98]
	v_rcp_f64_e32 v[103:104], v[101:102]
	v_fma_f64 v[105:106], -v[101:102], v[103:104], 1.0
	v_fma_f64 v[103:104], v[103:104], v[105:106], v[103:104]
	v_div_scale_f64 v[105:106], vcc, v[97:98], v[99:100], v[97:98]
	v_fma_f64 v[107:108], -v[101:102], v[103:104], 1.0
	v_fma_f64 v[103:104], v[103:104], v[107:108], v[103:104]
	v_mul_f64 v[107:108], v[105:106], v[103:104]
	v_fma_f64 v[101:102], -v[101:102], v[107:108], v[105:106]
	v_div_fmas_f64 v[101:102], v[101:102], v[103:104], v[107:108]
	v_div_fixup_f64 v[101:102], v[101:102], v[99:100], v[97:98]
	v_fma_f64 v[97:98], v[97:98], v[101:102], v[99:100]
	v_div_scale_f64 v[99:100], s[6:7], v[97:98], v[97:98], 1.0
	v_div_scale_f64 v[107:108], vcc, 1.0, v[97:98], 1.0
	v_rcp_f64_e32 v[103:104], v[99:100]
	v_fma_f64 v[105:106], -v[99:100], v[103:104], 1.0
	v_fma_f64 v[103:104], v[103:104], v[105:106], v[103:104]
	v_fma_f64 v[105:106], -v[99:100], v[103:104], 1.0
	v_fma_f64 v[103:104], v[103:104], v[105:106], v[103:104]
	v_mul_f64 v[105:106], v[107:108], v[103:104]
	v_fma_f64 v[99:100], -v[99:100], v[105:106], v[107:108]
	v_div_fmas_f64 v[99:100], v[99:100], v[103:104], v[105:106]
	v_div_fixup_f64 v[103:104], v[99:100], v[97:98], 1.0
                                        ; implicit-def: $vgpr97_vgpr98
	v_mul_f64 v[101:102], v[101:102], v[103:104]
	v_xor_b32_e32 v104, 0x80000000, v104
.LBB97_50:
	s_andn2_saveexec_b64 s[2:3], s[2:3]
	s_cbranch_execz .LBB97_52
; %bb.51:
	v_div_scale_f64 v[101:102], s[6:7], v[97:98], v[97:98], v[99:100]
	v_rcp_f64_e32 v[103:104], v[101:102]
	v_fma_f64 v[105:106], -v[101:102], v[103:104], 1.0
	v_fma_f64 v[103:104], v[103:104], v[105:106], v[103:104]
	v_div_scale_f64 v[105:106], vcc, v[99:100], v[97:98], v[99:100]
	v_fma_f64 v[107:108], -v[101:102], v[103:104], 1.0
	v_fma_f64 v[103:104], v[103:104], v[107:108], v[103:104]
	v_mul_f64 v[107:108], v[105:106], v[103:104]
	v_fma_f64 v[101:102], -v[101:102], v[107:108], v[105:106]
	v_div_fmas_f64 v[101:102], v[101:102], v[103:104], v[107:108]
	v_div_fixup_f64 v[103:104], v[101:102], v[97:98], v[99:100]
	v_fma_f64 v[97:98], v[99:100], v[103:104], v[97:98]
	v_div_scale_f64 v[99:100], s[6:7], v[97:98], v[97:98], 1.0
	v_div_scale_f64 v[107:108], vcc, 1.0, v[97:98], 1.0
	v_rcp_f64_e32 v[101:102], v[99:100]
	v_fma_f64 v[105:106], -v[99:100], v[101:102], 1.0
	v_fma_f64 v[101:102], v[101:102], v[105:106], v[101:102]
	v_fma_f64 v[105:106], -v[99:100], v[101:102], 1.0
	v_fma_f64 v[101:102], v[101:102], v[105:106], v[101:102]
	v_mul_f64 v[105:106], v[107:108], v[101:102]
	v_fma_f64 v[99:100], -v[99:100], v[105:106], v[107:108]
	v_div_fmas_f64 v[99:100], v[99:100], v[101:102], v[105:106]
	v_div_fixup_f64 v[101:102], v[99:100], v[97:98], 1.0
	v_mul_f64 v[103:104], v[103:104], -v[101:102]
.LBB97_52:
	s_or_b64 exec, exec, s[2:3]
	ds_write2_b64 v127, v[101:102], v[103:104] offset1:1
.LBB97_53:
	s_or_b64 exec, exec, s[4:5]
	s_waitcnt lgkmcnt(0)
	s_barrier
	ds_read2_b64 v[69:72], v127 offset1:1
	v_cmp_lt_u32_e32 vcc, 5, v0
	s_waitcnt lgkmcnt(0)
	buffer_store_dword v69, off, s[20:23], 0 offset:880 ; 4-byte Folded Spill
	s_nop 0
	buffer_store_dword v70, off, s[20:23], 0 offset:884 ; 4-byte Folded Spill
	buffer_store_dword v71, off, s[20:23], 0 offset:888 ; 4-byte Folded Spill
	;; [unrolled: 1-line block ×3, first 2 shown]
	s_and_saveexec_b64 s[2:3], vcc
	s_cbranch_execz .LBB97_55
; %bb.54:
	buffer_load_dword v103, off, s[20:23], 0 offset:320 ; 4-byte Folded Reload
	buffer_load_dword v104, off, s[20:23], 0 offset:324 ; 4-byte Folded Reload
	;; [unrolled: 1-line block ×8, first 2 shown]
	s_waitcnt vmcnt(2)
	v_mul_f64 v[99:100], v[69:70], v[105:106]
	s_waitcnt vmcnt(0)
	v_mul_f64 v[97:98], v[71:72], v[105:106]
	v_fma_f64 v[105:106], v[71:72], v[103:104], v[99:100]
	ds_read2_b64 v[99:102], v125 offset0:12 offset1:13
	v_fma_f64 v[97:98], v[69:70], v[103:104], -v[97:98]
	buffer_load_dword v69, off, s[20:23], 0 offset:304 ; 4-byte Folded Reload
	buffer_load_dword v70, off, s[20:23], 0 offset:308 ; 4-byte Folded Reload
	buffer_load_dword v71, off, s[20:23], 0 offset:312 ; 4-byte Folded Reload
	buffer_load_dword v72, off, s[20:23], 0 offset:316 ; 4-byte Folded Reload
	s_waitcnt lgkmcnt(0)
	v_mul_f64 v[103:104], v[101:102], v[105:106]
	v_fma_f64 v[103:104], v[99:100], v[97:98], -v[103:104]
	v_mul_f64 v[99:100], v[99:100], v[105:106]
	v_fma_f64 v[99:100], v[101:102], v[97:98], v[99:100]
	s_waitcnt vmcnt(2)
	v_add_f64 v[69:70], v[69:70], -v[103:104]
	s_waitcnt vmcnt(0)
	v_add_f64 v[71:72], v[71:72], -v[99:100]
	buffer_store_dword v69, off, s[20:23], 0 offset:304 ; 4-byte Folded Spill
	s_nop 0
	buffer_store_dword v70, off, s[20:23], 0 offset:308 ; 4-byte Folded Spill
	buffer_store_dword v71, off, s[20:23], 0 offset:312 ; 4-byte Folded Spill
	buffer_store_dword v72, off, s[20:23], 0 offset:316 ; 4-byte Folded Spill
	ds_read2_b64 v[99:102], v125 offset0:14 offset1:15
	buffer_load_dword v69, off, s[20:23], 0 offset:288 ; 4-byte Folded Reload
	buffer_load_dword v70, off, s[20:23], 0 offset:292 ; 4-byte Folded Reload
	buffer_load_dword v71, off, s[20:23], 0 offset:296 ; 4-byte Folded Reload
	buffer_load_dword v72, off, s[20:23], 0 offset:300 ; 4-byte Folded Reload
	s_waitcnt lgkmcnt(0)
	v_mul_f64 v[103:104], v[101:102], v[105:106]
	v_fma_f64 v[103:104], v[99:100], v[97:98], -v[103:104]
	v_mul_f64 v[99:100], v[99:100], v[105:106]
	v_fma_f64 v[99:100], v[101:102], v[97:98], v[99:100]
	s_waitcnt vmcnt(2)
	v_add_f64 v[69:70], v[69:70], -v[103:104]
	s_waitcnt vmcnt(0)
	v_add_f64 v[71:72], v[71:72], -v[99:100]
	buffer_store_dword v69, off, s[20:23], 0 offset:288 ; 4-byte Folded Spill
	s_nop 0
	buffer_store_dword v70, off, s[20:23], 0 offset:292 ; 4-byte Folded Spill
	buffer_store_dword v71, off, s[20:23], 0 offset:296 ; 4-byte Folded Spill
	buffer_store_dword v72, off, s[20:23], 0 offset:300 ; 4-byte Folded Spill
	ds_read2_b64 v[99:102], v125 offset0:16 offset1:17
	;; [unrolled: 19-line block ×17, first 2 shown]
	v_mov_b32_e32 v69, v73
	v_mov_b32_e32 v70, v74
	;; [unrolled: 1-line block ×4, first 2 shown]
	s_waitcnt lgkmcnt(0)
	v_mul_f64 v[103:104], v[101:102], v[105:106]
	v_fma_f64 v[103:104], v[99:100], v[97:98], -v[103:104]
	v_mul_f64 v[99:100], v[99:100], v[105:106]
	v_add_f64 v[121:122], v[121:122], -v[103:104]
	v_fma_f64 v[99:100], v[101:102], v[97:98], v[99:100]
	v_add_f64 v[123:124], v[123:124], -v[99:100]
	ds_read2_b64 v[99:102], v125 offset0:48 offset1:49
	s_waitcnt lgkmcnt(0)
	v_mul_f64 v[103:104], v[101:102], v[105:106]
	v_fma_f64 v[103:104], v[99:100], v[97:98], -v[103:104]
	v_mul_f64 v[99:100], v[99:100], v[105:106]
	v_add_f64 v[117:118], v[117:118], -v[103:104]
	v_fma_f64 v[99:100], v[101:102], v[97:98], v[99:100]
	v_add_f64 v[119:120], v[119:120], -v[99:100]
	ds_read2_b64 v[99:102], v125 offset0:50 offset1:51
	;; [unrolled: 8-line block ×5, first 2 shown]
	buffer_load_dword v77, off, s[20:23], 0 offset:32 ; 4-byte Folded Reload
	buffer_load_dword v78, off, s[20:23], 0 offset:36 ; 4-byte Folded Reload
	;; [unrolled: 1-line block ×4, first 2 shown]
	s_waitcnt lgkmcnt(0)
	v_mul_f64 v[103:104], v[101:102], v[105:106]
	v_fma_f64 v[103:104], v[99:100], v[97:98], -v[103:104]
	v_mul_f64 v[99:100], v[99:100], v[105:106]
	v_fma_f64 v[99:100], v[101:102], v[97:98], v[99:100]
	s_waitcnt vmcnt(2)
	v_add_f64 v[77:78], v[77:78], -v[103:104]
	s_waitcnt vmcnt(0)
	v_add_f64 v[79:80], v[79:80], -v[99:100]
	buffer_store_dword v77, off, s[20:23], 0 offset:32 ; 4-byte Folded Spill
	s_nop 0
	buffer_store_dword v78, off, s[20:23], 0 offset:36 ; 4-byte Folded Spill
	buffer_store_dword v79, off, s[20:23], 0 offset:40 ; 4-byte Folded Spill
	;; [unrolled: 1-line block ×3, first 2 shown]
	ds_read2_b64 v[99:102], v125 offset0:58 offset1:59
	buffer_load_dword v73, off, s[20:23], 0 offset:16 ; 4-byte Folded Reload
	buffer_load_dword v74, off, s[20:23], 0 offset:20 ; 4-byte Folded Reload
	;; [unrolled: 1-line block ×4, first 2 shown]
	s_waitcnt lgkmcnt(0)
	v_mul_f64 v[103:104], v[101:102], v[105:106]
	v_fma_f64 v[103:104], v[99:100], v[97:98], -v[103:104]
	v_mul_f64 v[99:100], v[99:100], v[105:106]
	v_fma_f64 v[99:100], v[101:102], v[97:98], v[99:100]
	s_waitcnt vmcnt(2)
	v_add_f64 v[73:74], v[73:74], -v[103:104]
	s_waitcnt vmcnt(0)
	v_add_f64 v[75:76], v[75:76], -v[99:100]
	buffer_store_dword v73, off, s[20:23], 0 offset:16 ; 4-byte Folded Spill
	s_nop 0
	buffer_store_dword v74, off, s[20:23], 0 offset:20 ; 4-byte Folded Spill
	buffer_store_dword v75, off, s[20:23], 0 offset:24 ; 4-byte Folded Spill
	;; [unrolled: 1-line block ×3, first 2 shown]
	v_mov_b32_e32 v76, v72
	v_mov_b32_e32 v75, v71
	;; [unrolled: 1-line block ×4, first 2 shown]
	ds_read2_b64 v[99:102], v125 offset0:60 offset1:61
	buffer_load_dword v69, off, s[20:23], 0 ; 4-byte Folded Reload
	buffer_load_dword v70, off, s[20:23], 0 offset:4 ; 4-byte Folded Reload
	buffer_load_dword v71, off, s[20:23], 0 offset:8 ; 4-byte Folded Reload
	;; [unrolled: 1-line block ×3, first 2 shown]
	s_waitcnt lgkmcnt(0)
	v_mul_f64 v[103:104], v[101:102], v[105:106]
	v_fma_f64 v[103:104], v[99:100], v[97:98], -v[103:104]
	v_mul_f64 v[99:100], v[99:100], v[105:106]
	v_fma_f64 v[99:100], v[101:102], v[97:98], v[99:100]
	s_waitcnt vmcnt(2)
	v_add_f64 v[69:70], v[69:70], -v[103:104]
	s_waitcnt vmcnt(0)
	v_add_f64 v[71:72], v[71:72], -v[99:100]
	buffer_store_dword v69, off, s[20:23], 0 ; 4-byte Folded Spill
	s_nop 0
	buffer_store_dword v70, off, s[20:23], 0 offset:4 ; 4-byte Folded Spill
	buffer_store_dword v71, off, s[20:23], 0 offset:8 ; 4-byte Folded Spill
	;; [unrolled: 1-line block ×3, first 2 shown]
	ds_read2_b64 v[99:102], v125 offset0:62 offset1:63
	s_waitcnt lgkmcnt(0)
	v_mul_f64 v[103:104], v[101:102], v[105:106]
	v_fma_f64 v[103:104], v[99:100], v[97:98], -v[103:104]
	v_mul_f64 v[99:100], v[99:100], v[105:106]
	v_add_f64 v[65:66], v[65:66], -v[103:104]
	v_fma_f64 v[99:100], v[101:102], v[97:98], v[99:100]
	v_add_f64 v[67:68], v[67:68], -v[99:100]
	ds_read2_b64 v[99:102], v125 offset0:64 offset1:65
	s_waitcnt lgkmcnt(0)
	v_mul_f64 v[103:104], v[101:102], v[105:106]
	v_fma_f64 v[103:104], v[99:100], v[97:98], -v[103:104]
	v_mul_f64 v[99:100], v[99:100], v[105:106]
	v_add_f64 v[61:62], v[61:62], -v[103:104]
	v_fma_f64 v[99:100], v[101:102], v[97:98], v[99:100]
	v_add_f64 v[63:64], v[63:64], -v[99:100]
	;; [unrolled: 8-line block ×16, first 2 shown]
	ds_read2_b64 v[99:102], v125 offset0:94 offset1:95
	s_waitcnt lgkmcnt(0)
	v_mul_f64 v[103:104], v[101:102], v[105:106]
	v_fma_f64 v[103:104], v[99:100], v[97:98], -v[103:104]
	v_mul_f64 v[99:100], v[99:100], v[105:106]
	v_add_f64 v[1:2], v[1:2], -v[103:104]
	v_fma_f64 v[99:100], v[101:102], v[97:98], v[99:100]
	ds_read2_b64 v[101:104], v125 offset0:96 offset1:97
	v_add_f64 v[3:4], v[3:4], -v[99:100]
	s_waitcnt lgkmcnt(0)
	v_mul_f64 v[99:100], v[103:104], v[105:106]
	v_fma_f64 v[99:100], v[101:102], v[97:98], -v[99:100]
	v_mul_f64 v[101:102], v[101:102], v[105:106]
	v_add_f64 v[73:74], v[73:74], -v[99:100]
	v_fma_f64 v[101:102], v[103:104], v[97:98], v[101:102]
	v_mov_b32_e32 v104, v98
	v_mov_b32_e32 v103, v97
	buffer_store_dword v103, off, s[20:23], 0 offset:320 ; 4-byte Folded Spill
	s_nop 0
	buffer_store_dword v104, off, s[20:23], 0 offset:324 ; 4-byte Folded Spill
	buffer_store_dword v105, off, s[20:23], 0 offset:328 ; 4-byte Folded Spill
	;; [unrolled: 1-line block ×3, first 2 shown]
	v_add_f64 v[75:76], v[75:76], -v[101:102]
.LBB97_55:
	s_or_b64 exec, exec, s[2:3]
	v_cmp_eq_u32_e32 vcc, 6, v0
	s_waitcnt vmcnt(0)
	s_barrier
	s_and_saveexec_b64 s[4:5], vcc
	s_cbranch_execz .LBB97_62
; %bb.56:
	buffer_load_dword v69, off, s[20:23], 0 offset:304 ; 4-byte Folded Reload
	buffer_load_dword v70, off, s[20:23], 0 offset:308 ; 4-byte Folded Reload
	;; [unrolled: 1-line block ×4, first 2 shown]
	s_waitcnt vmcnt(0)
	ds_write2_b64 v127, v[69:70], v[71:72] offset1:1
	buffer_load_dword v69, off, s[20:23], 0 offset:288 ; 4-byte Folded Reload
	buffer_load_dword v70, off, s[20:23], 0 offset:292 ; 4-byte Folded Reload
	buffer_load_dword v71, off, s[20:23], 0 offset:296 ; 4-byte Folded Reload
	buffer_load_dword v72, off, s[20:23], 0 offset:300 ; 4-byte Folded Reload
	s_waitcnt vmcnt(0)
	ds_write2_b64 v125, v[69:70], v[71:72] offset0:14 offset1:15
	buffer_load_dword v69, off, s[20:23], 0 offset:272 ; 4-byte Folded Reload
	buffer_load_dword v70, off, s[20:23], 0 offset:276 ; 4-byte Folded Reload
	buffer_load_dword v71, off, s[20:23], 0 offset:280 ; 4-byte Folded Reload
	buffer_load_dword v72, off, s[20:23], 0 offset:284 ; 4-byte Folded Reload
	s_waitcnt vmcnt(0)
	ds_write2_b64 v125, v[69:70], v[71:72] offset0:16 offset1:17
	buffer_load_dword v69, off, s[20:23], 0 offset:256 ; 4-byte Folded Reload
	buffer_load_dword v70, off, s[20:23], 0 offset:260 ; 4-byte Folded Reload
	buffer_load_dword v71, off, s[20:23], 0 offset:264 ; 4-byte Folded Reload
	buffer_load_dword v72, off, s[20:23], 0 offset:268 ; 4-byte Folded Reload
	s_waitcnt vmcnt(0)
	ds_write2_b64 v125, v[69:70], v[71:72] offset0:18 offset1:19
	buffer_load_dword v69, off, s[20:23], 0 offset:240 ; 4-byte Folded Reload
	buffer_load_dword v70, off, s[20:23], 0 offset:244 ; 4-byte Folded Reload
	buffer_load_dword v71, off, s[20:23], 0 offset:248 ; 4-byte Folded Reload
	buffer_load_dword v72, off, s[20:23], 0 offset:252 ; 4-byte Folded Reload
	s_waitcnt vmcnt(0)
	ds_write2_b64 v125, v[69:70], v[71:72] offset0:20 offset1:21
	buffer_load_dword v69, off, s[20:23], 0 offset:224 ; 4-byte Folded Reload
	buffer_load_dword v70, off, s[20:23], 0 offset:228 ; 4-byte Folded Reload
	buffer_load_dword v71, off, s[20:23], 0 offset:232 ; 4-byte Folded Reload
	buffer_load_dword v72, off, s[20:23], 0 offset:236 ; 4-byte Folded Reload
	s_waitcnt vmcnt(0)
	ds_write2_b64 v125, v[69:70], v[71:72] offset0:22 offset1:23
	buffer_load_dword v69, off, s[20:23], 0 offset:208 ; 4-byte Folded Reload
	buffer_load_dword v70, off, s[20:23], 0 offset:212 ; 4-byte Folded Reload
	buffer_load_dword v71, off, s[20:23], 0 offset:216 ; 4-byte Folded Reload
	buffer_load_dword v72, off, s[20:23], 0 offset:220 ; 4-byte Folded Reload
	s_waitcnt vmcnt(0)
	ds_write2_b64 v125, v[69:70], v[71:72] offset0:24 offset1:25
	buffer_load_dword v69, off, s[20:23], 0 offset:192 ; 4-byte Folded Reload
	buffer_load_dword v70, off, s[20:23], 0 offset:196 ; 4-byte Folded Reload
	buffer_load_dword v71, off, s[20:23], 0 offset:200 ; 4-byte Folded Reload
	buffer_load_dword v72, off, s[20:23], 0 offset:204 ; 4-byte Folded Reload
	s_waitcnt vmcnt(0)
	ds_write2_b64 v125, v[69:70], v[71:72] offset0:26 offset1:27
	buffer_load_dword v69, off, s[20:23], 0 offset:176 ; 4-byte Folded Reload
	buffer_load_dword v70, off, s[20:23], 0 offset:180 ; 4-byte Folded Reload
	buffer_load_dword v71, off, s[20:23], 0 offset:184 ; 4-byte Folded Reload
	buffer_load_dword v72, off, s[20:23], 0 offset:188 ; 4-byte Folded Reload
	s_waitcnt vmcnt(0)
	ds_write2_b64 v125, v[69:70], v[71:72] offset0:28 offset1:29
	buffer_load_dword v69, off, s[20:23], 0 offset:160 ; 4-byte Folded Reload
	buffer_load_dword v70, off, s[20:23], 0 offset:164 ; 4-byte Folded Reload
	buffer_load_dword v71, off, s[20:23], 0 offset:168 ; 4-byte Folded Reload
	buffer_load_dword v72, off, s[20:23], 0 offset:172 ; 4-byte Folded Reload
	s_waitcnt vmcnt(0)
	ds_write2_b64 v125, v[69:70], v[71:72] offset0:30 offset1:31
	buffer_load_dword v69, off, s[20:23], 0 offset:144 ; 4-byte Folded Reload
	buffer_load_dword v70, off, s[20:23], 0 offset:148 ; 4-byte Folded Reload
	buffer_load_dword v71, off, s[20:23], 0 offset:152 ; 4-byte Folded Reload
	buffer_load_dword v72, off, s[20:23], 0 offset:156 ; 4-byte Folded Reload
	s_waitcnt vmcnt(0)
	ds_write2_b64 v125, v[69:70], v[71:72] offset0:32 offset1:33
	buffer_load_dword v69, off, s[20:23], 0 offset:128 ; 4-byte Folded Reload
	buffer_load_dword v70, off, s[20:23], 0 offset:132 ; 4-byte Folded Reload
	buffer_load_dword v71, off, s[20:23], 0 offset:136 ; 4-byte Folded Reload
	buffer_load_dword v72, off, s[20:23], 0 offset:140 ; 4-byte Folded Reload
	s_waitcnt vmcnt(0)
	ds_write2_b64 v125, v[69:70], v[71:72] offset0:34 offset1:35
	buffer_load_dword v69, off, s[20:23], 0 offset:112 ; 4-byte Folded Reload
	buffer_load_dword v70, off, s[20:23], 0 offset:116 ; 4-byte Folded Reload
	buffer_load_dword v71, off, s[20:23], 0 offset:120 ; 4-byte Folded Reload
	buffer_load_dword v72, off, s[20:23], 0 offset:124 ; 4-byte Folded Reload
	s_waitcnt vmcnt(0)
	ds_write2_b64 v125, v[69:70], v[71:72] offset0:36 offset1:37
	buffer_load_dword v69, off, s[20:23], 0 offset:96 ; 4-byte Folded Reload
	buffer_load_dword v70, off, s[20:23], 0 offset:100 ; 4-byte Folded Reload
	buffer_load_dword v71, off, s[20:23], 0 offset:104 ; 4-byte Folded Reload
	buffer_load_dword v72, off, s[20:23], 0 offset:108 ; 4-byte Folded Reload
	s_waitcnt vmcnt(0)
	ds_write2_b64 v125, v[69:70], v[71:72] offset0:38 offset1:39
	buffer_load_dword v69, off, s[20:23], 0 offset:80 ; 4-byte Folded Reload
	buffer_load_dword v70, off, s[20:23], 0 offset:84 ; 4-byte Folded Reload
	buffer_load_dword v71, off, s[20:23], 0 offset:88 ; 4-byte Folded Reload
	buffer_load_dword v72, off, s[20:23], 0 offset:92 ; 4-byte Folded Reload
	s_waitcnt vmcnt(0)
	ds_write2_b64 v125, v[69:70], v[71:72] offset0:40 offset1:41
	buffer_load_dword v69, off, s[20:23], 0 offset:64 ; 4-byte Folded Reload
	buffer_load_dword v70, off, s[20:23], 0 offset:68 ; 4-byte Folded Reload
	buffer_load_dword v71, off, s[20:23], 0 offset:72 ; 4-byte Folded Reload
	buffer_load_dword v72, off, s[20:23], 0 offset:76 ; 4-byte Folded Reload
	s_waitcnt vmcnt(0)
	ds_write2_b64 v125, v[69:70], v[71:72] offset0:42 offset1:43
	buffer_load_dword v69, off, s[20:23], 0 offset:48 ; 4-byte Folded Reload
	buffer_load_dword v70, off, s[20:23], 0 offset:52 ; 4-byte Folded Reload
	buffer_load_dword v71, off, s[20:23], 0 offset:56 ; 4-byte Folded Reload
	buffer_load_dword v72, off, s[20:23], 0 offset:60 ; 4-byte Folded Reload
	s_waitcnt vmcnt(0)
	ds_write2_b64 v125, v[69:70], v[71:72] offset0:44 offset1:45
	ds_write2_b64 v125, v[121:122], v[123:124] offset0:46 offset1:47
	ds_write2_b64 v125, v[117:118], v[119:120] offset0:48 offset1:49
	;; [unrolled: 1-line block ×5, first 2 shown]
	buffer_load_dword v77, off, s[20:23], 0 offset:32 ; 4-byte Folded Reload
	buffer_load_dword v78, off, s[20:23], 0 offset:36 ; 4-byte Folded Reload
	;; [unrolled: 1-line block ×4, first 2 shown]
	v_mov_b32_e32 v69, v73
	v_mov_b32_e32 v70, v74
	;; [unrolled: 1-line block ×4, first 2 shown]
	s_waitcnt vmcnt(0)
	ds_write2_b64 v125, v[77:78], v[79:80] offset0:56 offset1:57
	buffer_load_dword v73, off, s[20:23], 0 offset:16 ; 4-byte Folded Reload
	buffer_load_dword v74, off, s[20:23], 0 offset:20 ; 4-byte Folded Reload
	;; [unrolled: 1-line block ×4, first 2 shown]
	s_waitcnt vmcnt(0)
	ds_write2_b64 v125, v[73:74], v[75:76] offset0:58 offset1:59
	v_mov_b32_e32 v76, v72
	v_mov_b32_e32 v75, v71
	v_mov_b32_e32 v74, v70
	v_mov_b32_e32 v73, v69
	buffer_load_dword v69, off, s[20:23], 0 ; 4-byte Folded Reload
	buffer_load_dword v70, off, s[20:23], 0 offset:4 ; 4-byte Folded Reload
	buffer_load_dword v71, off, s[20:23], 0 offset:8 ; 4-byte Folded Reload
	;; [unrolled: 1-line block ×3, first 2 shown]
	s_waitcnt vmcnt(0)
	ds_write2_b64 v125, v[69:70], v[71:72] offset0:60 offset1:61
	ds_write2_b64 v125, v[65:66], v[67:68] offset0:62 offset1:63
	;; [unrolled: 1-line block ×19, first 2 shown]
	ds_read2_b64 v[97:100], v127 offset1:1
	s_waitcnt lgkmcnt(0)
	v_cmp_neq_f64_e32 vcc, 0, v[97:98]
	v_cmp_neq_f64_e64 s[2:3], 0, v[99:100]
	s_or_b64 s[2:3], vcc, s[2:3]
	s_and_b64 exec, exec, s[2:3]
	s_cbranch_execz .LBB97_62
; %bb.57:
	v_cmp_ngt_f64_e64 s[2:3], |v[97:98]|, |v[99:100]|
                                        ; implicit-def: $vgpr101_vgpr102
	s_and_saveexec_b64 s[6:7], s[2:3]
	s_xor_b64 s[2:3], exec, s[6:7]
                                        ; implicit-def: $vgpr103_vgpr104
	s_cbranch_execz .LBB97_59
; %bb.58:
	v_div_scale_f64 v[101:102], s[6:7], v[99:100], v[99:100], v[97:98]
	v_rcp_f64_e32 v[103:104], v[101:102]
	v_fma_f64 v[105:106], -v[101:102], v[103:104], 1.0
	v_fma_f64 v[103:104], v[103:104], v[105:106], v[103:104]
	v_div_scale_f64 v[105:106], vcc, v[97:98], v[99:100], v[97:98]
	v_fma_f64 v[107:108], -v[101:102], v[103:104], 1.0
	v_fma_f64 v[103:104], v[103:104], v[107:108], v[103:104]
	v_mul_f64 v[107:108], v[105:106], v[103:104]
	v_fma_f64 v[101:102], -v[101:102], v[107:108], v[105:106]
	v_div_fmas_f64 v[101:102], v[101:102], v[103:104], v[107:108]
	v_div_fixup_f64 v[101:102], v[101:102], v[99:100], v[97:98]
	v_fma_f64 v[97:98], v[97:98], v[101:102], v[99:100]
	v_div_scale_f64 v[99:100], s[6:7], v[97:98], v[97:98], 1.0
	v_div_scale_f64 v[107:108], vcc, 1.0, v[97:98], 1.0
	v_rcp_f64_e32 v[103:104], v[99:100]
	v_fma_f64 v[105:106], -v[99:100], v[103:104], 1.0
	v_fma_f64 v[103:104], v[103:104], v[105:106], v[103:104]
	v_fma_f64 v[105:106], -v[99:100], v[103:104], 1.0
	v_fma_f64 v[103:104], v[103:104], v[105:106], v[103:104]
	v_mul_f64 v[105:106], v[107:108], v[103:104]
	v_fma_f64 v[99:100], -v[99:100], v[105:106], v[107:108]
	v_div_fmas_f64 v[99:100], v[99:100], v[103:104], v[105:106]
	v_div_fixup_f64 v[103:104], v[99:100], v[97:98], 1.0
                                        ; implicit-def: $vgpr97_vgpr98
	v_mul_f64 v[101:102], v[101:102], v[103:104]
	v_xor_b32_e32 v104, 0x80000000, v104
.LBB97_59:
	s_andn2_saveexec_b64 s[2:3], s[2:3]
	s_cbranch_execz .LBB97_61
; %bb.60:
	v_div_scale_f64 v[101:102], s[6:7], v[97:98], v[97:98], v[99:100]
	v_rcp_f64_e32 v[103:104], v[101:102]
	v_fma_f64 v[105:106], -v[101:102], v[103:104], 1.0
	v_fma_f64 v[103:104], v[103:104], v[105:106], v[103:104]
	v_div_scale_f64 v[105:106], vcc, v[99:100], v[97:98], v[99:100]
	v_fma_f64 v[107:108], -v[101:102], v[103:104], 1.0
	v_fma_f64 v[103:104], v[103:104], v[107:108], v[103:104]
	v_mul_f64 v[107:108], v[105:106], v[103:104]
	v_fma_f64 v[101:102], -v[101:102], v[107:108], v[105:106]
	v_div_fmas_f64 v[101:102], v[101:102], v[103:104], v[107:108]
	v_div_fixup_f64 v[103:104], v[101:102], v[97:98], v[99:100]
	v_fma_f64 v[97:98], v[99:100], v[103:104], v[97:98]
	v_div_scale_f64 v[99:100], s[6:7], v[97:98], v[97:98], 1.0
	v_div_scale_f64 v[107:108], vcc, 1.0, v[97:98], 1.0
	v_rcp_f64_e32 v[101:102], v[99:100]
	v_fma_f64 v[105:106], -v[99:100], v[101:102], 1.0
	v_fma_f64 v[101:102], v[101:102], v[105:106], v[101:102]
	v_fma_f64 v[105:106], -v[99:100], v[101:102], 1.0
	v_fma_f64 v[101:102], v[101:102], v[105:106], v[101:102]
	v_mul_f64 v[105:106], v[107:108], v[101:102]
	v_fma_f64 v[99:100], -v[99:100], v[105:106], v[107:108]
	v_div_fmas_f64 v[99:100], v[99:100], v[101:102], v[105:106]
	v_div_fixup_f64 v[101:102], v[99:100], v[97:98], 1.0
	v_mul_f64 v[103:104], v[103:104], -v[101:102]
.LBB97_61:
	s_or_b64 exec, exec, s[2:3]
	ds_write2_b64 v127, v[101:102], v[103:104] offset1:1
.LBB97_62:
	s_or_b64 exec, exec, s[4:5]
	s_waitcnt lgkmcnt(0)
	s_barrier
	ds_read2_b64 v[69:72], v127 offset1:1
	v_cmp_lt_u32_e32 vcc, 6, v0
	s_waitcnt lgkmcnt(0)
	buffer_store_dword v69, off, s[20:23], 0 offset:896 ; 4-byte Folded Spill
	s_nop 0
	buffer_store_dword v70, off, s[20:23], 0 offset:900 ; 4-byte Folded Spill
	buffer_store_dword v71, off, s[20:23], 0 offset:904 ; 4-byte Folded Spill
	;; [unrolled: 1-line block ×3, first 2 shown]
	s_and_saveexec_b64 s[2:3], vcc
	s_cbranch_execz .LBB97_64
; %bb.63:
	buffer_load_dword v103, off, s[20:23], 0 offset:304 ; 4-byte Folded Reload
	buffer_load_dword v104, off, s[20:23], 0 offset:308 ; 4-byte Folded Reload
	buffer_load_dword v105, off, s[20:23], 0 offset:312 ; 4-byte Folded Reload
	buffer_load_dword v106, off, s[20:23], 0 offset:316 ; 4-byte Folded Reload
	buffer_load_dword v69, off, s[20:23], 0 offset:896 ; 4-byte Folded Reload
	buffer_load_dword v70, off, s[20:23], 0 offset:900 ; 4-byte Folded Reload
	buffer_load_dword v71, off, s[20:23], 0 offset:904 ; 4-byte Folded Reload
	buffer_load_dword v72, off, s[20:23], 0 offset:908 ; 4-byte Folded Reload
	s_waitcnt vmcnt(2)
	v_mul_f64 v[99:100], v[69:70], v[105:106]
	s_waitcnt vmcnt(0)
	v_mul_f64 v[97:98], v[71:72], v[105:106]
	v_fma_f64 v[105:106], v[71:72], v[103:104], v[99:100]
	ds_read2_b64 v[99:102], v125 offset0:14 offset1:15
	v_fma_f64 v[97:98], v[69:70], v[103:104], -v[97:98]
	buffer_load_dword v69, off, s[20:23], 0 offset:288 ; 4-byte Folded Reload
	buffer_load_dword v70, off, s[20:23], 0 offset:292 ; 4-byte Folded Reload
	buffer_load_dword v71, off, s[20:23], 0 offset:296 ; 4-byte Folded Reload
	buffer_load_dword v72, off, s[20:23], 0 offset:300 ; 4-byte Folded Reload
	s_waitcnt lgkmcnt(0)
	v_mul_f64 v[103:104], v[101:102], v[105:106]
	v_fma_f64 v[103:104], v[99:100], v[97:98], -v[103:104]
	v_mul_f64 v[99:100], v[99:100], v[105:106]
	v_fma_f64 v[99:100], v[101:102], v[97:98], v[99:100]
	s_waitcnt vmcnt(2)
	v_add_f64 v[69:70], v[69:70], -v[103:104]
	s_waitcnt vmcnt(0)
	v_add_f64 v[71:72], v[71:72], -v[99:100]
	buffer_store_dword v69, off, s[20:23], 0 offset:288 ; 4-byte Folded Spill
	s_nop 0
	buffer_store_dword v70, off, s[20:23], 0 offset:292 ; 4-byte Folded Spill
	buffer_store_dword v71, off, s[20:23], 0 offset:296 ; 4-byte Folded Spill
	buffer_store_dword v72, off, s[20:23], 0 offset:300 ; 4-byte Folded Spill
	ds_read2_b64 v[99:102], v125 offset0:16 offset1:17
	buffer_load_dword v69, off, s[20:23], 0 offset:272 ; 4-byte Folded Reload
	buffer_load_dword v70, off, s[20:23], 0 offset:276 ; 4-byte Folded Reload
	buffer_load_dword v71, off, s[20:23], 0 offset:280 ; 4-byte Folded Reload
	buffer_load_dword v72, off, s[20:23], 0 offset:284 ; 4-byte Folded Reload
	s_waitcnt lgkmcnt(0)
	v_mul_f64 v[103:104], v[101:102], v[105:106]
	v_fma_f64 v[103:104], v[99:100], v[97:98], -v[103:104]
	v_mul_f64 v[99:100], v[99:100], v[105:106]
	v_fma_f64 v[99:100], v[101:102], v[97:98], v[99:100]
	s_waitcnt vmcnt(2)
	v_add_f64 v[69:70], v[69:70], -v[103:104]
	s_waitcnt vmcnt(0)
	v_add_f64 v[71:72], v[71:72], -v[99:100]
	buffer_store_dword v69, off, s[20:23], 0 offset:272 ; 4-byte Folded Spill
	s_nop 0
	buffer_store_dword v70, off, s[20:23], 0 offset:276 ; 4-byte Folded Spill
	buffer_store_dword v71, off, s[20:23], 0 offset:280 ; 4-byte Folded Spill
	buffer_store_dword v72, off, s[20:23], 0 offset:284 ; 4-byte Folded Spill
	ds_read2_b64 v[99:102], v125 offset0:18 offset1:19
	;; [unrolled: 19-line block ×16, first 2 shown]
	v_mov_b32_e32 v69, v73
	v_mov_b32_e32 v70, v74
	;; [unrolled: 1-line block ×4, first 2 shown]
	s_waitcnt lgkmcnt(0)
	v_mul_f64 v[103:104], v[101:102], v[105:106]
	v_fma_f64 v[103:104], v[99:100], v[97:98], -v[103:104]
	v_mul_f64 v[99:100], v[99:100], v[105:106]
	v_add_f64 v[121:122], v[121:122], -v[103:104]
	v_fma_f64 v[99:100], v[101:102], v[97:98], v[99:100]
	v_add_f64 v[123:124], v[123:124], -v[99:100]
	ds_read2_b64 v[99:102], v125 offset0:48 offset1:49
	s_waitcnt lgkmcnt(0)
	v_mul_f64 v[103:104], v[101:102], v[105:106]
	v_fma_f64 v[103:104], v[99:100], v[97:98], -v[103:104]
	v_mul_f64 v[99:100], v[99:100], v[105:106]
	v_add_f64 v[117:118], v[117:118], -v[103:104]
	v_fma_f64 v[99:100], v[101:102], v[97:98], v[99:100]
	v_add_f64 v[119:120], v[119:120], -v[99:100]
	ds_read2_b64 v[99:102], v125 offset0:50 offset1:51
	;; [unrolled: 8-line block ×5, first 2 shown]
	buffer_load_dword v77, off, s[20:23], 0 offset:32 ; 4-byte Folded Reload
	buffer_load_dword v78, off, s[20:23], 0 offset:36 ; 4-byte Folded Reload
	;; [unrolled: 1-line block ×4, first 2 shown]
	s_waitcnt lgkmcnt(0)
	v_mul_f64 v[103:104], v[101:102], v[105:106]
	v_fma_f64 v[103:104], v[99:100], v[97:98], -v[103:104]
	v_mul_f64 v[99:100], v[99:100], v[105:106]
	v_fma_f64 v[99:100], v[101:102], v[97:98], v[99:100]
	s_waitcnt vmcnt(2)
	v_add_f64 v[77:78], v[77:78], -v[103:104]
	s_waitcnt vmcnt(0)
	v_add_f64 v[79:80], v[79:80], -v[99:100]
	buffer_store_dword v77, off, s[20:23], 0 offset:32 ; 4-byte Folded Spill
	s_nop 0
	buffer_store_dword v78, off, s[20:23], 0 offset:36 ; 4-byte Folded Spill
	buffer_store_dword v79, off, s[20:23], 0 offset:40 ; 4-byte Folded Spill
	;; [unrolled: 1-line block ×3, first 2 shown]
	ds_read2_b64 v[99:102], v125 offset0:58 offset1:59
	buffer_load_dword v73, off, s[20:23], 0 offset:16 ; 4-byte Folded Reload
	buffer_load_dword v74, off, s[20:23], 0 offset:20 ; 4-byte Folded Reload
	;; [unrolled: 1-line block ×4, first 2 shown]
	s_waitcnt lgkmcnt(0)
	v_mul_f64 v[103:104], v[101:102], v[105:106]
	v_fma_f64 v[103:104], v[99:100], v[97:98], -v[103:104]
	v_mul_f64 v[99:100], v[99:100], v[105:106]
	v_fma_f64 v[99:100], v[101:102], v[97:98], v[99:100]
	s_waitcnt vmcnt(2)
	v_add_f64 v[73:74], v[73:74], -v[103:104]
	s_waitcnt vmcnt(0)
	v_add_f64 v[75:76], v[75:76], -v[99:100]
	buffer_store_dword v73, off, s[20:23], 0 offset:16 ; 4-byte Folded Spill
	s_nop 0
	buffer_store_dword v74, off, s[20:23], 0 offset:20 ; 4-byte Folded Spill
	buffer_store_dword v75, off, s[20:23], 0 offset:24 ; 4-byte Folded Spill
	;; [unrolled: 1-line block ×3, first 2 shown]
	v_mov_b32_e32 v76, v72
	v_mov_b32_e32 v75, v71
	;; [unrolled: 1-line block ×4, first 2 shown]
	ds_read2_b64 v[99:102], v125 offset0:60 offset1:61
	buffer_load_dword v69, off, s[20:23], 0 ; 4-byte Folded Reload
	buffer_load_dword v70, off, s[20:23], 0 offset:4 ; 4-byte Folded Reload
	buffer_load_dword v71, off, s[20:23], 0 offset:8 ; 4-byte Folded Reload
	;; [unrolled: 1-line block ×3, first 2 shown]
	s_waitcnt lgkmcnt(0)
	v_mul_f64 v[103:104], v[101:102], v[105:106]
	v_fma_f64 v[103:104], v[99:100], v[97:98], -v[103:104]
	v_mul_f64 v[99:100], v[99:100], v[105:106]
	v_fma_f64 v[99:100], v[101:102], v[97:98], v[99:100]
	s_waitcnt vmcnt(2)
	v_add_f64 v[69:70], v[69:70], -v[103:104]
	s_waitcnt vmcnt(0)
	v_add_f64 v[71:72], v[71:72], -v[99:100]
	buffer_store_dword v69, off, s[20:23], 0 ; 4-byte Folded Spill
	s_nop 0
	buffer_store_dword v70, off, s[20:23], 0 offset:4 ; 4-byte Folded Spill
	buffer_store_dword v71, off, s[20:23], 0 offset:8 ; 4-byte Folded Spill
	;; [unrolled: 1-line block ×3, first 2 shown]
	ds_read2_b64 v[99:102], v125 offset0:62 offset1:63
	s_waitcnt lgkmcnt(0)
	v_mul_f64 v[103:104], v[101:102], v[105:106]
	v_fma_f64 v[103:104], v[99:100], v[97:98], -v[103:104]
	v_mul_f64 v[99:100], v[99:100], v[105:106]
	v_add_f64 v[65:66], v[65:66], -v[103:104]
	v_fma_f64 v[99:100], v[101:102], v[97:98], v[99:100]
	v_add_f64 v[67:68], v[67:68], -v[99:100]
	ds_read2_b64 v[99:102], v125 offset0:64 offset1:65
	s_waitcnt lgkmcnt(0)
	v_mul_f64 v[103:104], v[101:102], v[105:106]
	v_fma_f64 v[103:104], v[99:100], v[97:98], -v[103:104]
	v_mul_f64 v[99:100], v[99:100], v[105:106]
	v_add_f64 v[61:62], v[61:62], -v[103:104]
	v_fma_f64 v[99:100], v[101:102], v[97:98], v[99:100]
	v_add_f64 v[63:64], v[63:64], -v[99:100]
	;; [unrolled: 8-line block ×17, first 2 shown]
	ds_read2_b64 v[99:102], v125 offset0:96 offset1:97
	s_waitcnt lgkmcnt(0)
	v_mul_f64 v[103:104], v[101:102], v[105:106]
	v_fma_f64 v[103:104], v[99:100], v[97:98], -v[103:104]
	v_mul_f64 v[99:100], v[99:100], v[105:106]
	v_add_f64 v[73:74], v[73:74], -v[103:104]
	v_fma_f64 v[99:100], v[101:102], v[97:98], v[99:100]
	v_mov_b32_e32 v104, v98
	v_mov_b32_e32 v103, v97
	buffer_store_dword v103, off, s[20:23], 0 offset:304 ; 4-byte Folded Spill
	s_nop 0
	buffer_store_dword v104, off, s[20:23], 0 offset:308 ; 4-byte Folded Spill
	buffer_store_dword v105, off, s[20:23], 0 offset:312 ; 4-byte Folded Spill
	;; [unrolled: 1-line block ×3, first 2 shown]
	v_add_f64 v[75:76], v[75:76], -v[99:100]
.LBB97_64:
	s_or_b64 exec, exec, s[2:3]
	v_cmp_eq_u32_e32 vcc, 7, v0
	s_waitcnt vmcnt(0)
	s_barrier
	s_and_saveexec_b64 s[4:5], vcc
	s_cbranch_execz .LBB97_71
; %bb.65:
	buffer_load_dword v69, off, s[20:23], 0 offset:288 ; 4-byte Folded Reload
	buffer_load_dword v70, off, s[20:23], 0 offset:292 ; 4-byte Folded Reload
	buffer_load_dword v71, off, s[20:23], 0 offset:296 ; 4-byte Folded Reload
	buffer_load_dword v72, off, s[20:23], 0 offset:300 ; 4-byte Folded Reload
	s_waitcnt vmcnt(0)
	ds_write2_b64 v127, v[69:70], v[71:72] offset1:1
	buffer_load_dword v69, off, s[20:23], 0 offset:272 ; 4-byte Folded Reload
	buffer_load_dword v70, off, s[20:23], 0 offset:276 ; 4-byte Folded Reload
	buffer_load_dword v71, off, s[20:23], 0 offset:280 ; 4-byte Folded Reload
	buffer_load_dword v72, off, s[20:23], 0 offset:284 ; 4-byte Folded Reload
	s_waitcnt vmcnt(0)
	ds_write2_b64 v125, v[69:70], v[71:72] offset0:16 offset1:17
	buffer_load_dword v69, off, s[20:23], 0 offset:256 ; 4-byte Folded Reload
	buffer_load_dword v70, off, s[20:23], 0 offset:260 ; 4-byte Folded Reload
	buffer_load_dword v71, off, s[20:23], 0 offset:264 ; 4-byte Folded Reload
	buffer_load_dword v72, off, s[20:23], 0 offset:268 ; 4-byte Folded Reload
	s_waitcnt vmcnt(0)
	ds_write2_b64 v125, v[69:70], v[71:72] offset0:18 offset1:19
	;; [unrolled: 6-line block ×15, first 2 shown]
	ds_write2_b64 v125, v[121:122], v[123:124] offset0:46 offset1:47
	ds_write2_b64 v125, v[117:118], v[119:120] offset0:48 offset1:49
	;; [unrolled: 1-line block ×5, first 2 shown]
	buffer_load_dword v77, off, s[20:23], 0 offset:32 ; 4-byte Folded Reload
	buffer_load_dword v78, off, s[20:23], 0 offset:36 ; 4-byte Folded Reload
	;; [unrolled: 1-line block ×4, first 2 shown]
	v_mov_b32_e32 v69, v73
	v_mov_b32_e32 v70, v74
	;; [unrolled: 1-line block ×4, first 2 shown]
	s_waitcnt vmcnt(0)
	ds_write2_b64 v125, v[77:78], v[79:80] offset0:56 offset1:57
	buffer_load_dword v73, off, s[20:23], 0 offset:16 ; 4-byte Folded Reload
	buffer_load_dword v74, off, s[20:23], 0 offset:20 ; 4-byte Folded Reload
	;; [unrolled: 1-line block ×4, first 2 shown]
	s_waitcnt vmcnt(0)
	ds_write2_b64 v125, v[73:74], v[75:76] offset0:58 offset1:59
	v_mov_b32_e32 v76, v72
	v_mov_b32_e32 v75, v71
	;; [unrolled: 1-line block ×4, first 2 shown]
	buffer_load_dword v69, off, s[20:23], 0 ; 4-byte Folded Reload
	buffer_load_dword v70, off, s[20:23], 0 offset:4 ; 4-byte Folded Reload
	buffer_load_dword v71, off, s[20:23], 0 offset:8 ; 4-byte Folded Reload
	;; [unrolled: 1-line block ×3, first 2 shown]
	s_waitcnt vmcnt(0)
	ds_write2_b64 v125, v[69:70], v[71:72] offset0:60 offset1:61
	ds_write2_b64 v125, v[65:66], v[67:68] offset0:62 offset1:63
	;; [unrolled: 1-line block ×19, first 2 shown]
	ds_read2_b64 v[97:100], v127 offset1:1
	s_waitcnt lgkmcnt(0)
	v_cmp_neq_f64_e32 vcc, 0, v[97:98]
	v_cmp_neq_f64_e64 s[2:3], 0, v[99:100]
	s_or_b64 s[2:3], vcc, s[2:3]
	s_and_b64 exec, exec, s[2:3]
	s_cbranch_execz .LBB97_71
; %bb.66:
	v_cmp_ngt_f64_e64 s[2:3], |v[97:98]|, |v[99:100]|
                                        ; implicit-def: $vgpr101_vgpr102
	s_and_saveexec_b64 s[6:7], s[2:3]
	s_xor_b64 s[2:3], exec, s[6:7]
                                        ; implicit-def: $vgpr103_vgpr104
	s_cbranch_execz .LBB97_68
; %bb.67:
	v_div_scale_f64 v[101:102], s[6:7], v[99:100], v[99:100], v[97:98]
	v_rcp_f64_e32 v[103:104], v[101:102]
	v_fma_f64 v[105:106], -v[101:102], v[103:104], 1.0
	v_fma_f64 v[103:104], v[103:104], v[105:106], v[103:104]
	v_div_scale_f64 v[105:106], vcc, v[97:98], v[99:100], v[97:98]
	v_fma_f64 v[107:108], -v[101:102], v[103:104], 1.0
	v_fma_f64 v[103:104], v[103:104], v[107:108], v[103:104]
	v_mul_f64 v[107:108], v[105:106], v[103:104]
	v_fma_f64 v[101:102], -v[101:102], v[107:108], v[105:106]
	v_div_fmas_f64 v[101:102], v[101:102], v[103:104], v[107:108]
	v_div_fixup_f64 v[101:102], v[101:102], v[99:100], v[97:98]
	v_fma_f64 v[97:98], v[97:98], v[101:102], v[99:100]
	v_div_scale_f64 v[99:100], s[6:7], v[97:98], v[97:98], 1.0
	v_div_scale_f64 v[107:108], vcc, 1.0, v[97:98], 1.0
	v_rcp_f64_e32 v[103:104], v[99:100]
	v_fma_f64 v[105:106], -v[99:100], v[103:104], 1.0
	v_fma_f64 v[103:104], v[103:104], v[105:106], v[103:104]
	v_fma_f64 v[105:106], -v[99:100], v[103:104], 1.0
	v_fma_f64 v[103:104], v[103:104], v[105:106], v[103:104]
	v_mul_f64 v[105:106], v[107:108], v[103:104]
	v_fma_f64 v[99:100], -v[99:100], v[105:106], v[107:108]
	v_div_fmas_f64 v[99:100], v[99:100], v[103:104], v[105:106]
	v_div_fixup_f64 v[103:104], v[99:100], v[97:98], 1.0
                                        ; implicit-def: $vgpr97_vgpr98
	v_mul_f64 v[101:102], v[101:102], v[103:104]
	v_xor_b32_e32 v104, 0x80000000, v104
.LBB97_68:
	s_andn2_saveexec_b64 s[2:3], s[2:3]
	s_cbranch_execz .LBB97_70
; %bb.69:
	v_div_scale_f64 v[101:102], s[6:7], v[97:98], v[97:98], v[99:100]
	v_rcp_f64_e32 v[103:104], v[101:102]
	v_fma_f64 v[105:106], -v[101:102], v[103:104], 1.0
	v_fma_f64 v[103:104], v[103:104], v[105:106], v[103:104]
	v_div_scale_f64 v[105:106], vcc, v[99:100], v[97:98], v[99:100]
	v_fma_f64 v[107:108], -v[101:102], v[103:104], 1.0
	v_fma_f64 v[103:104], v[103:104], v[107:108], v[103:104]
	v_mul_f64 v[107:108], v[105:106], v[103:104]
	v_fma_f64 v[101:102], -v[101:102], v[107:108], v[105:106]
	v_div_fmas_f64 v[101:102], v[101:102], v[103:104], v[107:108]
	v_div_fixup_f64 v[103:104], v[101:102], v[97:98], v[99:100]
	v_fma_f64 v[97:98], v[99:100], v[103:104], v[97:98]
	v_div_scale_f64 v[99:100], s[6:7], v[97:98], v[97:98], 1.0
	v_div_scale_f64 v[107:108], vcc, 1.0, v[97:98], 1.0
	v_rcp_f64_e32 v[101:102], v[99:100]
	v_fma_f64 v[105:106], -v[99:100], v[101:102], 1.0
	v_fma_f64 v[101:102], v[101:102], v[105:106], v[101:102]
	v_fma_f64 v[105:106], -v[99:100], v[101:102], 1.0
	v_fma_f64 v[101:102], v[101:102], v[105:106], v[101:102]
	v_mul_f64 v[105:106], v[107:108], v[101:102]
	v_fma_f64 v[99:100], -v[99:100], v[105:106], v[107:108]
	v_div_fmas_f64 v[99:100], v[99:100], v[101:102], v[105:106]
	v_div_fixup_f64 v[101:102], v[99:100], v[97:98], 1.0
	v_mul_f64 v[103:104], v[103:104], -v[101:102]
.LBB97_70:
	s_or_b64 exec, exec, s[2:3]
	ds_write2_b64 v127, v[101:102], v[103:104] offset1:1
.LBB97_71:
	s_or_b64 exec, exec, s[4:5]
	s_waitcnt lgkmcnt(0)
	s_barrier
	ds_read2_b64 v[69:72], v127 offset1:1
	v_cmp_lt_u32_e32 vcc, 7, v0
	s_waitcnt lgkmcnt(0)
	buffer_store_dword v69, off, s[20:23], 0 offset:912 ; 4-byte Folded Spill
	s_nop 0
	buffer_store_dword v70, off, s[20:23], 0 offset:916 ; 4-byte Folded Spill
	buffer_store_dword v71, off, s[20:23], 0 offset:920 ; 4-byte Folded Spill
	;; [unrolled: 1-line block ×3, first 2 shown]
	s_and_saveexec_b64 s[2:3], vcc
	s_cbranch_execz .LBB97_73
; %bb.72:
	buffer_load_dword v103, off, s[20:23], 0 offset:288 ; 4-byte Folded Reload
	buffer_load_dword v104, off, s[20:23], 0 offset:292 ; 4-byte Folded Reload
	buffer_load_dword v105, off, s[20:23], 0 offset:296 ; 4-byte Folded Reload
	buffer_load_dword v106, off, s[20:23], 0 offset:300 ; 4-byte Folded Reload
	buffer_load_dword v69, off, s[20:23], 0 offset:912 ; 4-byte Folded Reload
	buffer_load_dword v70, off, s[20:23], 0 offset:916 ; 4-byte Folded Reload
	buffer_load_dword v71, off, s[20:23], 0 offset:920 ; 4-byte Folded Reload
	buffer_load_dword v72, off, s[20:23], 0 offset:924 ; 4-byte Folded Reload
	s_waitcnt vmcnt(2)
	v_mul_f64 v[99:100], v[69:70], v[105:106]
	s_waitcnt vmcnt(0)
	v_mul_f64 v[97:98], v[71:72], v[105:106]
	v_fma_f64 v[105:106], v[71:72], v[103:104], v[99:100]
	ds_read2_b64 v[99:102], v125 offset0:16 offset1:17
	v_fma_f64 v[97:98], v[69:70], v[103:104], -v[97:98]
	buffer_load_dword v69, off, s[20:23], 0 offset:272 ; 4-byte Folded Reload
	buffer_load_dword v70, off, s[20:23], 0 offset:276 ; 4-byte Folded Reload
	buffer_load_dword v71, off, s[20:23], 0 offset:280 ; 4-byte Folded Reload
	buffer_load_dword v72, off, s[20:23], 0 offset:284 ; 4-byte Folded Reload
	s_waitcnt lgkmcnt(0)
	v_mul_f64 v[103:104], v[101:102], v[105:106]
	v_fma_f64 v[103:104], v[99:100], v[97:98], -v[103:104]
	v_mul_f64 v[99:100], v[99:100], v[105:106]
	v_fma_f64 v[99:100], v[101:102], v[97:98], v[99:100]
	s_waitcnt vmcnt(2)
	v_add_f64 v[69:70], v[69:70], -v[103:104]
	s_waitcnt vmcnt(0)
	v_add_f64 v[71:72], v[71:72], -v[99:100]
	buffer_store_dword v69, off, s[20:23], 0 offset:272 ; 4-byte Folded Spill
	s_nop 0
	buffer_store_dword v70, off, s[20:23], 0 offset:276 ; 4-byte Folded Spill
	buffer_store_dword v71, off, s[20:23], 0 offset:280 ; 4-byte Folded Spill
	buffer_store_dword v72, off, s[20:23], 0 offset:284 ; 4-byte Folded Spill
	ds_read2_b64 v[99:102], v125 offset0:18 offset1:19
	buffer_load_dword v69, off, s[20:23], 0 offset:256 ; 4-byte Folded Reload
	buffer_load_dword v70, off, s[20:23], 0 offset:260 ; 4-byte Folded Reload
	buffer_load_dword v71, off, s[20:23], 0 offset:264 ; 4-byte Folded Reload
	buffer_load_dword v72, off, s[20:23], 0 offset:268 ; 4-byte Folded Reload
	s_waitcnt lgkmcnt(0)
	v_mul_f64 v[103:104], v[101:102], v[105:106]
	v_fma_f64 v[103:104], v[99:100], v[97:98], -v[103:104]
	v_mul_f64 v[99:100], v[99:100], v[105:106]
	v_fma_f64 v[99:100], v[101:102], v[97:98], v[99:100]
	s_waitcnt vmcnt(2)
	v_add_f64 v[69:70], v[69:70], -v[103:104]
	s_waitcnt vmcnt(0)
	v_add_f64 v[71:72], v[71:72], -v[99:100]
	buffer_store_dword v69, off, s[20:23], 0 offset:256 ; 4-byte Folded Spill
	s_nop 0
	buffer_store_dword v70, off, s[20:23], 0 offset:260 ; 4-byte Folded Spill
	buffer_store_dword v71, off, s[20:23], 0 offset:264 ; 4-byte Folded Spill
	buffer_store_dword v72, off, s[20:23], 0 offset:268 ; 4-byte Folded Spill
	ds_read2_b64 v[99:102], v125 offset0:20 offset1:21
	;; [unrolled: 19-line block ×15, first 2 shown]
	v_mov_b32_e32 v69, v73
	v_mov_b32_e32 v70, v74
	;; [unrolled: 1-line block ×4, first 2 shown]
	s_waitcnt lgkmcnt(0)
	v_mul_f64 v[103:104], v[101:102], v[105:106]
	v_fma_f64 v[103:104], v[99:100], v[97:98], -v[103:104]
	v_mul_f64 v[99:100], v[99:100], v[105:106]
	v_add_f64 v[121:122], v[121:122], -v[103:104]
	v_fma_f64 v[99:100], v[101:102], v[97:98], v[99:100]
	v_add_f64 v[123:124], v[123:124], -v[99:100]
	ds_read2_b64 v[99:102], v125 offset0:48 offset1:49
	s_waitcnt lgkmcnt(0)
	v_mul_f64 v[103:104], v[101:102], v[105:106]
	v_fma_f64 v[103:104], v[99:100], v[97:98], -v[103:104]
	v_mul_f64 v[99:100], v[99:100], v[105:106]
	v_add_f64 v[117:118], v[117:118], -v[103:104]
	v_fma_f64 v[99:100], v[101:102], v[97:98], v[99:100]
	v_add_f64 v[119:120], v[119:120], -v[99:100]
	ds_read2_b64 v[99:102], v125 offset0:50 offset1:51
	;; [unrolled: 8-line block ×5, first 2 shown]
	buffer_load_dword v77, off, s[20:23], 0 offset:32 ; 4-byte Folded Reload
	buffer_load_dword v78, off, s[20:23], 0 offset:36 ; 4-byte Folded Reload
	;; [unrolled: 1-line block ×4, first 2 shown]
	s_waitcnt lgkmcnt(0)
	v_mul_f64 v[103:104], v[101:102], v[105:106]
	v_fma_f64 v[103:104], v[99:100], v[97:98], -v[103:104]
	v_mul_f64 v[99:100], v[99:100], v[105:106]
	v_fma_f64 v[99:100], v[101:102], v[97:98], v[99:100]
	s_waitcnt vmcnt(2)
	v_add_f64 v[77:78], v[77:78], -v[103:104]
	s_waitcnt vmcnt(0)
	v_add_f64 v[79:80], v[79:80], -v[99:100]
	buffer_store_dword v77, off, s[20:23], 0 offset:32 ; 4-byte Folded Spill
	s_nop 0
	buffer_store_dword v78, off, s[20:23], 0 offset:36 ; 4-byte Folded Spill
	buffer_store_dword v79, off, s[20:23], 0 offset:40 ; 4-byte Folded Spill
	;; [unrolled: 1-line block ×3, first 2 shown]
	ds_read2_b64 v[99:102], v125 offset0:58 offset1:59
	buffer_load_dword v73, off, s[20:23], 0 offset:16 ; 4-byte Folded Reload
	buffer_load_dword v74, off, s[20:23], 0 offset:20 ; 4-byte Folded Reload
	;; [unrolled: 1-line block ×4, first 2 shown]
	s_waitcnt lgkmcnt(0)
	v_mul_f64 v[103:104], v[101:102], v[105:106]
	v_fma_f64 v[103:104], v[99:100], v[97:98], -v[103:104]
	v_mul_f64 v[99:100], v[99:100], v[105:106]
	v_fma_f64 v[99:100], v[101:102], v[97:98], v[99:100]
	s_waitcnt vmcnt(2)
	v_add_f64 v[73:74], v[73:74], -v[103:104]
	s_waitcnt vmcnt(0)
	v_add_f64 v[75:76], v[75:76], -v[99:100]
	buffer_store_dword v73, off, s[20:23], 0 offset:16 ; 4-byte Folded Spill
	s_nop 0
	buffer_store_dword v74, off, s[20:23], 0 offset:20 ; 4-byte Folded Spill
	buffer_store_dword v75, off, s[20:23], 0 offset:24 ; 4-byte Folded Spill
	;; [unrolled: 1-line block ×3, first 2 shown]
	v_mov_b32_e32 v76, v72
	v_mov_b32_e32 v75, v71
	;; [unrolled: 1-line block ×4, first 2 shown]
	ds_read2_b64 v[99:102], v125 offset0:60 offset1:61
	buffer_load_dword v69, off, s[20:23], 0 ; 4-byte Folded Reload
	buffer_load_dword v70, off, s[20:23], 0 offset:4 ; 4-byte Folded Reload
	buffer_load_dword v71, off, s[20:23], 0 offset:8 ; 4-byte Folded Reload
	;; [unrolled: 1-line block ×3, first 2 shown]
	s_waitcnt lgkmcnt(0)
	v_mul_f64 v[103:104], v[101:102], v[105:106]
	v_fma_f64 v[103:104], v[99:100], v[97:98], -v[103:104]
	v_mul_f64 v[99:100], v[99:100], v[105:106]
	v_fma_f64 v[99:100], v[101:102], v[97:98], v[99:100]
	s_waitcnt vmcnt(2)
	v_add_f64 v[69:70], v[69:70], -v[103:104]
	s_waitcnt vmcnt(0)
	v_add_f64 v[71:72], v[71:72], -v[99:100]
	buffer_store_dword v69, off, s[20:23], 0 ; 4-byte Folded Spill
	s_nop 0
	buffer_store_dword v70, off, s[20:23], 0 offset:4 ; 4-byte Folded Spill
	buffer_store_dword v71, off, s[20:23], 0 offset:8 ; 4-byte Folded Spill
	;; [unrolled: 1-line block ×3, first 2 shown]
	ds_read2_b64 v[99:102], v125 offset0:62 offset1:63
	s_waitcnt lgkmcnt(0)
	v_mul_f64 v[103:104], v[101:102], v[105:106]
	v_fma_f64 v[103:104], v[99:100], v[97:98], -v[103:104]
	v_mul_f64 v[99:100], v[99:100], v[105:106]
	v_add_f64 v[65:66], v[65:66], -v[103:104]
	v_fma_f64 v[99:100], v[101:102], v[97:98], v[99:100]
	v_add_f64 v[67:68], v[67:68], -v[99:100]
	ds_read2_b64 v[99:102], v125 offset0:64 offset1:65
	s_waitcnt lgkmcnt(0)
	v_mul_f64 v[103:104], v[101:102], v[105:106]
	v_fma_f64 v[103:104], v[99:100], v[97:98], -v[103:104]
	v_mul_f64 v[99:100], v[99:100], v[105:106]
	v_add_f64 v[61:62], v[61:62], -v[103:104]
	v_fma_f64 v[99:100], v[101:102], v[97:98], v[99:100]
	v_add_f64 v[63:64], v[63:64], -v[99:100]
	;; [unrolled: 8-line block ×17, first 2 shown]
	ds_read2_b64 v[99:102], v125 offset0:96 offset1:97
	s_waitcnt lgkmcnt(0)
	v_mul_f64 v[103:104], v[101:102], v[105:106]
	v_fma_f64 v[103:104], v[99:100], v[97:98], -v[103:104]
	v_mul_f64 v[99:100], v[99:100], v[105:106]
	v_add_f64 v[73:74], v[73:74], -v[103:104]
	v_fma_f64 v[99:100], v[101:102], v[97:98], v[99:100]
	v_mov_b32_e32 v104, v98
	v_mov_b32_e32 v103, v97
	buffer_store_dword v103, off, s[20:23], 0 offset:288 ; 4-byte Folded Spill
	s_nop 0
	buffer_store_dword v104, off, s[20:23], 0 offset:292 ; 4-byte Folded Spill
	buffer_store_dword v105, off, s[20:23], 0 offset:296 ; 4-byte Folded Spill
	buffer_store_dword v106, off, s[20:23], 0 offset:300 ; 4-byte Folded Spill
	v_add_f64 v[75:76], v[75:76], -v[99:100]
.LBB97_73:
	s_or_b64 exec, exec, s[2:3]
	v_cmp_eq_u32_e32 vcc, 8, v0
	s_waitcnt vmcnt(0)
	s_barrier
	s_and_saveexec_b64 s[4:5], vcc
	s_cbranch_execz .LBB97_80
; %bb.74:
	buffer_load_dword v69, off, s[20:23], 0 offset:272 ; 4-byte Folded Reload
	buffer_load_dword v70, off, s[20:23], 0 offset:276 ; 4-byte Folded Reload
	;; [unrolled: 1-line block ×4, first 2 shown]
	s_waitcnt vmcnt(0)
	ds_write2_b64 v127, v[69:70], v[71:72] offset1:1
	buffer_load_dword v69, off, s[20:23], 0 offset:256 ; 4-byte Folded Reload
	buffer_load_dword v70, off, s[20:23], 0 offset:260 ; 4-byte Folded Reload
	buffer_load_dword v71, off, s[20:23], 0 offset:264 ; 4-byte Folded Reload
	buffer_load_dword v72, off, s[20:23], 0 offset:268 ; 4-byte Folded Reload
	s_waitcnt vmcnt(0)
	ds_write2_b64 v125, v[69:70], v[71:72] offset0:18 offset1:19
	buffer_load_dword v69, off, s[20:23], 0 offset:240 ; 4-byte Folded Reload
	buffer_load_dword v70, off, s[20:23], 0 offset:244 ; 4-byte Folded Reload
	buffer_load_dword v71, off, s[20:23], 0 offset:248 ; 4-byte Folded Reload
	buffer_load_dword v72, off, s[20:23], 0 offset:252 ; 4-byte Folded Reload
	s_waitcnt vmcnt(0)
	ds_write2_b64 v125, v[69:70], v[71:72] offset0:20 offset1:21
	;; [unrolled: 6-line block ×14, first 2 shown]
	ds_write2_b64 v125, v[121:122], v[123:124] offset0:46 offset1:47
	ds_write2_b64 v125, v[117:118], v[119:120] offset0:48 offset1:49
	;; [unrolled: 1-line block ×5, first 2 shown]
	buffer_load_dword v77, off, s[20:23], 0 offset:32 ; 4-byte Folded Reload
	buffer_load_dword v78, off, s[20:23], 0 offset:36 ; 4-byte Folded Reload
	;; [unrolled: 1-line block ×4, first 2 shown]
	v_mov_b32_e32 v69, v73
	v_mov_b32_e32 v70, v74
	;; [unrolled: 1-line block ×4, first 2 shown]
	s_waitcnt vmcnt(0)
	ds_write2_b64 v125, v[77:78], v[79:80] offset0:56 offset1:57
	buffer_load_dword v73, off, s[20:23], 0 offset:16 ; 4-byte Folded Reload
	buffer_load_dword v74, off, s[20:23], 0 offset:20 ; 4-byte Folded Reload
	buffer_load_dword v75, off, s[20:23], 0 offset:24 ; 4-byte Folded Reload
	buffer_load_dword v76, off, s[20:23], 0 offset:28 ; 4-byte Folded Reload
	s_waitcnt vmcnt(0)
	ds_write2_b64 v125, v[73:74], v[75:76] offset0:58 offset1:59
	v_mov_b32_e32 v76, v72
	v_mov_b32_e32 v75, v71
	;; [unrolled: 1-line block ×4, first 2 shown]
	buffer_load_dword v69, off, s[20:23], 0 ; 4-byte Folded Reload
	buffer_load_dword v70, off, s[20:23], 0 offset:4 ; 4-byte Folded Reload
	buffer_load_dword v71, off, s[20:23], 0 offset:8 ; 4-byte Folded Reload
	buffer_load_dword v72, off, s[20:23], 0 offset:12 ; 4-byte Folded Reload
	s_waitcnt vmcnt(0)
	ds_write2_b64 v125, v[69:70], v[71:72] offset0:60 offset1:61
	ds_write2_b64 v125, v[65:66], v[67:68] offset0:62 offset1:63
	;; [unrolled: 1-line block ×19, first 2 shown]
	ds_read2_b64 v[97:100], v127 offset1:1
	s_waitcnt lgkmcnt(0)
	v_cmp_neq_f64_e32 vcc, 0, v[97:98]
	v_cmp_neq_f64_e64 s[2:3], 0, v[99:100]
	s_or_b64 s[2:3], vcc, s[2:3]
	s_and_b64 exec, exec, s[2:3]
	s_cbranch_execz .LBB97_80
; %bb.75:
	v_cmp_ngt_f64_e64 s[2:3], |v[97:98]|, |v[99:100]|
                                        ; implicit-def: $vgpr101_vgpr102
	s_and_saveexec_b64 s[6:7], s[2:3]
	s_xor_b64 s[2:3], exec, s[6:7]
                                        ; implicit-def: $vgpr103_vgpr104
	s_cbranch_execz .LBB97_77
; %bb.76:
	v_div_scale_f64 v[101:102], s[6:7], v[99:100], v[99:100], v[97:98]
	v_rcp_f64_e32 v[103:104], v[101:102]
	v_fma_f64 v[105:106], -v[101:102], v[103:104], 1.0
	v_fma_f64 v[103:104], v[103:104], v[105:106], v[103:104]
	v_div_scale_f64 v[105:106], vcc, v[97:98], v[99:100], v[97:98]
	v_fma_f64 v[107:108], -v[101:102], v[103:104], 1.0
	v_fma_f64 v[103:104], v[103:104], v[107:108], v[103:104]
	v_mul_f64 v[107:108], v[105:106], v[103:104]
	v_fma_f64 v[101:102], -v[101:102], v[107:108], v[105:106]
	v_div_fmas_f64 v[101:102], v[101:102], v[103:104], v[107:108]
	v_div_fixup_f64 v[101:102], v[101:102], v[99:100], v[97:98]
	v_fma_f64 v[97:98], v[97:98], v[101:102], v[99:100]
	v_div_scale_f64 v[99:100], s[6:7], v[97:98], v[97:98], 1.0
	v_div_scale_f64 v[107:108], vcc, 1.0, v[97:98], 1.0
	v_rcp_f64_e32 v[103:104], v[99:100]
	v_fma_f64 v[105:106], -v[99:100], v[103:104], 1.0
	v_fma_f64 v[103:104], v[103:104], v[105:106], v[103:104]
	v_fma_f64 v[105:106], -v[99:100], v[103:104], 1.0
	v_fma_f64 v[103:104], v[103:104], v[105:106], v[103:104]
	v_mul_f64 v[105:106], v[107:108], v[103:104]
	v_fma_f64 v[99:100], -v[99:100], v[105:106], v[107:108]
	v_div_fmas_f64 v[99:100], v[99:100], v[103:104], v[105:106]
	v_div_fixup_f64 v[103:104], v[99:100], v[97:98], 1.0
                                        ; implicit-def: $vgpr97_vgpr98
	v_mul_f64 v[101:102], v[101:102], v[103:104]
	v_xor_b32_e32 v104, 0x80000000, v104
.LBB97_77:
	s_andn2_saveexec_b64 s[2:3], s[2:3]
	s_cbranch_execz .LBB97_79
; %bb.78:
	v_div_scale_f64 v[101:102], s[6:7], v[97:98], v[97:98], v[99:100]
	v_rcp_f64_e32 v[103:104], v[101:102]
	v_fma_f64 v[105:106], -v[101:102], v[103:104], 1.0
	v_fma_f64 v[103:104], v[103:104], v[105:106], v[103:104]
	v_div_scale_f64 v[105:106], vcc, v[99:100], v[97:98], v[99:100]
	v_fma_f64 v[107:108], -v[101:102], v[103:104], 1.0
	v_fma_f64 v[103:104], v[103:104], v[107:108], v[103:104]
	v_mul_f64 v[107:108], v[105:106], v[103:104]
	v_fma_f64 v[101:102], -v[101:102], v[107:108], v[105:106]
	v_div_fmas_f64 v[101:102], v[101:102], v[103:104], v[107:108]
	v_div_fixup_f64 v[103:104], v[101:102], v[97:98], v[99:100]
	v_fma_f64 v[97:98], v[99:100], v[103:104], v[97:98]
	v_div_scale_f64 v[99:100], s[6:7], v[97:98], v[97:98], 1.0
	v_div_scale_f64 v[107:108], vcc, 1.0, v[97:98], 1.0
	v_rcp_f64_e32 v[101:102], v[99:100]
	v_fma_f64 v[105:106], -v[99:100], v[101:102], 1.0
	v_fma_f64 v[101:102], v[101:102], v[105:106], v[101:102]
	v_fma_f64 v[105:106], -v[99:100], v[101:102], 1.0
	v_fma_f64 v[101:102], v[101:102], v[105:106], v[101:102]
	v_mul_f64 v[105:106], v[107:108], v[101:102]
	v_fma_f64 v[99:100], -v[99:100], v[105:106], v[107:108]
	v_div_fmas_f64 v[99:100], v[99:100], v[101:102], v[105:106]
	v_div_fixup_f64 v[101:102], v[99:100], v[97:98], 1.0
	v_mul_f64 v[103:104], v[103:104], -v[101:102]
.LBB97_79:
	s_or_b64 exec, exec, s[2:3]
	ds_write2_b64 v127, v[101:102], v[103:104] offset1:1
.LBB97_80:
	s_or_b64 exec, exec, s[4:5]
	s_waitcnt lgkmcnt(0)
	s_barrier
	ds_read2_b64 v[69:72], v127 offset1:1
	v_cmp_lt_u32_e32 vcc, 8, v0
	s_waitcnt lgkmcnt(0)
	buffer_store_dword v69, off, s[20:23], 0 offset:928 ; 4-byte Folded Spill
	s_nop 0
	buffer_store_dword v70, off, s[20:23], 0 offset:932 ; 4-byte Folded Spill
	buffer_store_dword v71, off, s[20:23], 0 offset:936 ; 4-byte Folded Spill
	buffer_store_dword v72, off, s[20:23], 0 offset:940 ; 4-byte Folded Spill
	s_and_saveexec_b64 s[2:3], vcc
	s_cbranch_execz .LBB97_82
; %bb.81:
	buffer_load_dword v103, off, s[20:23], 0 offset:272 ; 4-byte Folded Reload
	buffer_load_dword v104, off, s[20:23], 0 offset:276 ; 4-byte Folded Reload
	;; [unrolled: 1-line block ×8, first 2 shown]
	s_waitcnt vmcnt(2)
	v_mul_f64 v[99:100], v[69:70], v[105:106]
	s_waitcnt vmcnt(0)
	v_mul_f64 v[97:98], v[71:72], v[105:106]
	v_fma_f64 v[105:106], v[71:72], v[103:104], v[99:100]
	ds_read2_b64 v[99:102], v125 offset0:18 offset1:19
	v_fma_f64 v[97:98], v[69:70], v[103:104], -v[97:98]
	buffer_load_dword v69, off, s[20:23], 0 offset:256 ; 4-byte Folded Reload
	buffer_load_dword v70, off, s[20:23], 0 offset:260 ; 4-byte Folded Reload
	buffer_load_dword v71, off, s[20:23], 0 offset:264 ; 4-byte Folded Reload
	buffer_load_dword v72, off, s[20:23], 0 offset:268 ; 4-byte Folded Reload
	s_waitcnt lgkmcnt(0)
	v_mul_f64 v[103:104], v[101:102], v[105:106]
	v_fma_f64 v[103:104], v[99:100], v[97:98], -v[103:104]
	v_mul_f64 v[99:100], v[99:100], v[105:106]
	v_fma_f64 v[99:100], v[101:102], v[97:98], v[99:100]
	s_waitcnt vmcnt(2)
	v_add_f64 v[69:70], v[69:70], -v[103:104]
	s_waitcnt vmcnt(0)
	v_add_f64 v[71:72], v[71:72], -v[99:100]
	buffer_store_dword v69, off, s[20:23], 0 offset:256 ; 4-byte Folded Spill
	s_nop 0
	buffer_store_dword v70, off, s[20:23], 0 offset:260 ; 4-byte Folded Spill
	buffer_store_dword v71, off, s[20:23], 0 offset:264 ; 4-byte Folded Spill
	buffer_store_dword v72, off, s[20:23], 0 offset:268 ; 4-byte Folded Spill
	ds_read2_b64 v[99:102], v125 offset0:20 offset1:21
	buffer_load_dword v69, off, s[20:23], 0 offset:240 ; 4-byte Folded Reload
	buffer_load_dword v70, off, s[20:23], 0 offset:244 ; 4-byte Folded Reload
	buffer_load_dword v71, off, s[20:23], 0 offset:248 ; 4-byte Folded Reload
	buffer_load_dword v72, off, s[20:23], 0 offset:252 ; 4-byte Folded Reload
	s_waitcnt lgkmcnt(0)
	v_mul_f64 v[103:104], v[101:102], v[105:106]
	v_fma_f64 v[103:104], v[99:100], v[97:98], -v[103:104]
	v_mul_f64 v[99:100], v[99:100], v[105:106]
	v_fma_f64 v[99:100], v[101:102], v[97:98], v[99:100]
	s_waitcnt vmcnt(2)
	v_add_f64 v[69:70], v[69:70], -v[103:104]
	s_waitcnt vmcnt(0)
	v_add_f64 v[71:72], v[71:72], -v[99:100]
	buffer_store_dword v69, off, s[20:23], 0 offset:240 ; 4-byte Folded Spill
	s_nop 0
	buffer_store_dword v70, off, s[20:23], 0 offset:244 ; 4-byte Folded Spill
	buffer_store_dword v71, off, s[20:23], 0 offset:248 ; 4-byte Folded Spill
	buffer_store_dword v72, off, s[20:23], 0 offset:252 ; 4-byte Folded Spill
	ds_read2_b64 v[99:102], v125 offset0:22 offset1:23
	;; [unrolled: 19-line block ×14, first 2 shown]
	v_mov_b32_e32 v69, v73
	v_mov_b32_e32 v70, v74
	;; [unrolled: 1-line block ×4, first 2 shown]
	s_waitcnt lgkmcnt(0)
	v_mul_f64 v[103:104], v[101:102], v[105:106]
	v_fma_f64 v[103:104], v[99:100], v[97:98], -v[103:104]
	v_mul_f64 v[99:100], v[99:100], v[105:106]
	v_add_f64 v[121:122], v[121:122], -v[103:104]
	v_fma_f64 v[99:100], v[101:102], v[97:98], v[99:100]
	v_add_f64 v[123:124], v[123:124], -v[99:100]
	ds_read2_b64 v[99:102], v125 offset0:48 offset1:49
	s_waitcnt lgkmcnt(0)
	v_mul_f64 v[103:104], v[101:102], v[105:106]
	v_fma_f64 v[103:104], v[99:100], v[97:98], -v[103:104]
	v_mul_f64 v[99:100], v[99:100], v[105:106]
	v_add_f64 v[117:118], v[117:118], -v[103:104]
	v_fma_f64 v[99:100], v[101:102], v[97:98], v[99:100]
	v_add_f64 v[119:120], v[119:120], -v[99:100]
	ds_read2_b64 v[99:102], v125 offset0:50 offset1:51
	;; [unrolled: 8-line block ×5, first 2 shown]
	buffer_load_dword v77, off, s[20:23], 0 offset:32 ; 4-byte Folded Reload
	buffer_load_dword v78, off, s[20:23], 0 offset:36 ; 4-byte Folded Reload
	;; [unrolled: 1-line block ×4, first 2 shown]
	s_waitcnt lgkmcnt(0)
	v_mul_f64 v[103:104], v[101:102], v[105:106]
	v_fma_f64 v[103:104], v[99:100], v[97:98], -v[103:104]
	v_mul_f64 v[99:100], v[99:100], v[105:106]
	v_fma_f64 v[99:100], v[101:102], v[97:98], v[99:100]
	s_waitcnt vmcnt(2)
	v_add_f64 v[77:78], v[77:78], -v[103:104]
	s_waitcnt vmcnt(0)
	v_add_f64 v[79:80], v[79:80], -v[99:100]
	buffer_store_dword v77, off, s[20:23], 0 offset:32 ; 4-byte Folded Spill
	s_nop 0
	buffer_store_dword v78, off, s[20:23], 0 offset:36 ; 4-byte Folded Spill
	buffer_store_dword v79, off, s[20:23], 0 offset:40 ; 4-byte Folded Spill
	;; [unrolled: 1-line block ×3, first 2 shown]
	ds_read2_b64 v[99:102], v125 offset0:58 offset1:59
	buffer_load_dword v73, off, s[20:23], 0 offset:16 ; 4-byte Folded Reload
	buffer_load_dword v74, off, s[20:23], 0 offset:20 ; 4-byte Folded Reload
	;; [unrolled: 1-line block ×4, first 2 shown]
	s_waitcnt lgkmcnt(0)
	v_mul_f64 v[103:104], v[101:102], v[105:106]
	v_fma_f64 v[103:104], v[99:100], v[97:98], -v[103:104]
	v_mul_f64 v[99:100], v[99:100], v[105:106]
	v_fma_f64 v[99:100], v[101:102], v[97:98], v[99:100]
	s_waitcnt vmcnt(2)
	v_add_f64 v[73:74], v[73:74], -v[103:104]
	s_waitcnt vmcnt(0)
	v_add_f64 v[75:76], v[75:76], -v[99:100]
	buffer_store_dword v73, off, s[20:23], 0 offset:16 ; 4-byte Folded Spill
	s_nop 0
	buffer_store_dword v74, off, s[20:23], 0 offset:20 ; 4-byte Folded Spill
	buffer_store_dword v75, off, s[20:23], 0 offset:24 ; 4-byte Folded Spill
	;; [unrolled: 1-line block ×3, first 2 shown]
	v_mov_b32_e32 v76, v72
	v_mov_b32_e32 v75, v71
	;; [unrolled: 1-line block ×4, first 2 shown]
	ds_read2_b64 v[99:102], v125 offset0:60 offset1:61
	buffer_load_dword v69, off, s[20:23], 0 ; 4-byte Folded Reload
	buffer_load_dword v70, off, s[20:23], 0 offset:4 ; 4-byte Folded Reload
	buffer_load_dword v71, off, s[20:23], 0 offset:8 ; 4-byte Folded Reload
	;; [unrolled: 1-line block ×3, first 2 shown]
	s_waitcnt lgkmcnt(0)
	v_mul_f64 v[103:104], v[101:102], v[105:106]
	v_fma_f64 v[103:104], v[99:100], v[97:98], -v[103:104]
	v_mul_f64 v[99:100], v[99:100], v[105:106]
	v_fma_f64 v[99:100], v[101:102], v[97:98], v[99:100]
	s_waitcnt vmcnt(2)
	v_add_f64 v[69:70], v[69:70], -v[103:104]
	s_waitcnt vmcnt(0)
	v_add_f64 v[71:72], v[71:72], -v[99:100]
	buffer_store_dword v69, off, s[20:23], 0 ; 4-byte Folded Spill
	s_nop 0
	buffer_store_dword v70, off, s[20:23], 0 offset:4 ; 4-byte Folded Spill
	buffer_store_dword v71, off, s[20:23], 0 offset:8 ; 4-byte Folded Spill
	;; [unrolled: 1-line block ×3, first 2 shown]
	ds_read2_b64 v[99:102], v125 offset0:62 offset1:63
	s_waitcnt lgkmcnt(0)
	v_mul_f64 v[103:104], v[101:102], v[105:106]
	v_fma_f64 v[103:104], v[99:100], v[97:98], -v[103:104]
	v_mul_f64 v[99:100], v[99:100], v[105:106]
	v_add_f64 v[65:66], v[65:66], -v[103:104]
	v_fma_f64 v[99:100], v[101:102], v[97:98], v[99:100]
	v_add_f64 v[67:68], v[67:68], -v[99:100]
	ds_read2_b64 v[99:102], v125 offset0:64 offset1:65
	s_waitcnt lgkmcnt(0)
	v_mul_f64 v[103:104], v[101:102], v[105:106]
	v_fma_f64 v[103:104], v[99:100], v[97:98], -v[103:104]
	v_mul_f64 v[99:100], v[99:100], v[105:106]
	v_add_f64 v[61:62], v[61:62], -v[103:104]
	v_fma_f64 v[99:100], v[101:102], v[97:98], v[99:100]
	v_add_f64 v[63:64], v[63:64], -v[99:100]
	;; [unrolled: 8-line block ×17, first 2 shown]
	ds_read2_b64 v[99:102], v125 offset0:96 offset1:97
	s_waitcnt lgkmcnt(0)
	v_mul_f64 v[103:104], v[101:102], v[105:106]
	v_fma_f64 v[103:104], v[99:100], v[97:98], -v[103:104]
	v_mul_f64 v[99:100], v[99:100], v[105:106]
	v_add_f64 v[73:74], v[73:74], -v[103:104]
	v_fma_f64 v[99:100], v[101:102], v[97:98], v[99:100]
	v_mov_b32_e32 v104, v98
	v_mov_b32_e32 v103, v97
	buffer_store_dword v103, off, s[20:23], 0 offset:272 ; 4-byte Folded Spill
	s_nop 0
	buffer_store_dword v104, off, s[20:23], 0 offset:276 ; 4-byte Folded Spill
	buffer_store_dword v105, off, s[20:23], 0 offset:280 ; 4-byte Folded Spill
	;; [unrolled: 1-line block ×3, first 2 shown]
	v_add_f64 v[75:76], v[75:76], -v[99:100]
.LBB97_82:
	s_or_b64 exec, exec, s[2:3]
	v_cmp_eq_u32_e32 vcc, 9, v0
	s_waitcnt vmcnt(0)
	s_barrier
	s_and_saveexec_b64 s[4:5], vcc
	s_cbranch_execz .LBB97_89
; %bb.83:
	buffer_load_dword v69, off, s[20:23], 0 offset:256 ; 4-byte Folded Reload
	buffer_load_dword v70, off, s[20:23], 0 offset:260 ; 4-byte Folded Reload
	;; [unrolled: 1-line block ×4, first 2 shown]
	s_waitcnt vmcnt(0)
	ds_write2_b64 v127, v[69:70], v[71:72] offset1:1
	buffer_load_dword v69, off, s[20:23], 0 offset:240 ; 4-byte Folded Reload
	buffer_load_dword v70, off, s[20:23], 0 offset:244 ; 4-byte Folded Reload
	buffer_load_dword v71, off, s[20:23], 0 offset:248 ; 4-byte Folded Reload
	buffer_load_dword v72, off, s[20:23], 0 offset:252 ; 4-byte Folded Reload
	s_waitcnt vmcnt(0)
	ds_write2_b64 v125, v[69:70], v[71:72] offset0:20 offset1:21
	buffer_load_dword v69, off, s[20:23], 0 offset:224 ; 4-byte Folded Reload
	buffer_load_dword v70, off, s[20:23], 0 offset:228 ; 4-byte Folded Reload
	buffer_load_dword v71, off, s[20:23], 0 offset:232 ; 4-byte Folded Reload
	buffer_load_dword v72, off, s[20:23], 0 offset:236 ; 4-byte Folded Reload
	s_waitcnt vmcnt(0)
	ds_write2_b64 v125, v[69:70], v[71:72] offset0:22 offset1:23
	;; [unrolled: 6-line block ×13, first 2 shown]
	ds_write2_b64 v125, v[121:122], v[123:124] offset0:46 offset1:47
	ds_write2_b64 v125, v[117:118], v[119:120] offset0:48 offset1:49
	;; [unrolled: 1-line block ×5, first 2 shown]
	buffer_load_dword v77, off, s[20:23], 0 offset:32 ; 4-byte Folded Reload
	buffer_load_dword v78, off, s[20:23], 0 offset:36 ; 4-byte Folded Reload
	;; [unrolled: 1-line block ×4, first 2 shown]
	v_mov_b32_e32 v69, v73
	v_mov_b32_e32 v70, v74
	;; [unrolled: 1-line block ×4, first 2 shown]
	s_waitcnt vmcnt(0)
	ds_write2_b64 v125, v[77:78], v[79:80] offset0:56 offset1:57
	buffer_load_dword v73, off, s[20:23], 0 offset:16 ; 4-byte Folded Reload
	buffer_load_dword v74, off, s[20:23], 0 offset:20 ; 4-byte Folded Reload
	;; [unrolled: 1-line block ×4, first 2 shown]
	s_waitcnt vmcnt(0)
	ds_write2_b64 v125, v[73:74], v[75:76] offset0:58 offset1:59
	v_mov_b32_e32 v76, v72
	v_mov_b32_e32 v75, v71
	;; [unrolled: 1-line block ×4, first 2 shown]
	buffer_load_dword v69, off, s[20:23], 0 ; 4-byte Folded Reload
	buffer_load_dword v70, off, s[20:23], 0 offset:4 ; 4-byte Folded Reload
	buffer_load_dword v71, off, s[20:23], 0 offset:8 ; 4-byte Folded Reload
	;; [unrolled: 1-line block ×3, first 2 shown]
	s_waitcnt vmcnt(0)
	ds_write2_b64 v125, v[69:70], v[71:72] offset0:60 offset1:61
	ds_write2_b64 v125, v[65:66], v[67:68] offset0:62 offset1:63
	;; [unrolled: 1-line block ×19, first 2 shown]
	ds_read2_b64 v[97:100], v127 offset1:1
	s_waitcnt lgkmcnt(0)
	v_cmp_neq_f64_e32 vcc, 0, v[97:98]
	v_cmp_neq_f64_e64 s[2:3], 0, v[99:100]
	s_or_b64 s[2:3], vcc, s[2:3]
	s_and_b64 exec, exec, s[2:3]
	s_cbranch_execz .LBB97_89
; %bb.84:
	v_cmp_ngt_f64_e64 s[2:3], |v[97:98]|, |v[99:100]|
                                        ; implicit-def: $vgpr101_vgpr102
	s_and_saveexec_b64 s[6:7], s[2:3]
	s_xor_b64 s[2:3], exec, s[6:7]
                                        ; implicit-def: $vgpr103_vgpr104
	s_cbranch_execz .LBB97_86
; %bb.85:
	v_div_scale_f64 v[101:102], s[6:7], v[99:100], v[99:100], v[97:98]
	v_rcp_f64_e32 v[103:104], v[101:102]
	v_fma_f64 v[105:106], -v[101:102], v[103:104], 1.0
	v_fma_f64 v[103:104], v[103:104], v[105:106], v[103:104]
	v_div_scale_f64 v[105:106], vcc, v[97:98], v[99:100], v[97:98]
	v_fma_f64 v[107:108], -v[101:102], v[103:104], 1.0
	v_fma_f64 v[103:104], v[103:104], v[107:108], v[103:104]
	v_mul_f64 v[107:108], v[105:106], v[103:104]
	v_fma_f64 v[101:102], -v[101:102], v[107:108], v[105:106]
	v_div_fmas_f64 v[101:102], v[101:102], v[103:104], v[107:108]
	v_div_fixup_f64 v[101:102], v[101:102], v[99:100], v[97:98]
	v_fma_f64 v[97:98], v[97:98], v[101:102], v[99:100]
	v_div_scale_f64 v[99:100], s[6:7], v[97:98], v[97:98], 1.0
	v_div_scale_f64 v[107:108], vcc, 1.0, v[97:98], 1.0
	v_rcp_f64_e32 v[103:104], v[99:100]
	v_fma_f64 v[105:106], -v[99:100], v[103:104], 1.0
	v_fma_f64 v[103:104], v[103:104], v[105:106], v[103:104]
	v_fma_f64 v[105:106], -v[99:100], v[103:104], 1.0
	v_fma_f64 v[103:104], v[103:104], v[105:106], v[103:104]
	v_mul_f64 v[105:106], v[107:108], v[103:104]
	v_fma_f64 v[99:100], -v[99:100], v[105:106], v[107:108]
	v_div_fmas_f64 v[99:100], v[99:100], v[103:104], v[105:106]
	v_div_fixup_f64 v[103:104], v[99:100], v[97:98], 1.0
                                        ; implicit-def: $vgpr97_vgpr98
	v_mul_f64 v[101:102], v[101:102], v[103:104]
	v_xor_b32_e32 v104, 0x80000000, v104
.LBB97_86:
	s_andn2_saveexec_b64 s[2:3], s[2:3]
	s_cbranch_execz .LBB97_88
; %bb.87:
	v_div_scale_f64 v[101:102], s[6:7], v[97:98], v[97:98], v[99:100]
	v_rcp_f64_e32 v[103:104], v[101:102]
	v_fma_f64 v[105:106], -v[101:102], v[103:104], 1.0
	v_fma_f64 v[103:104], v[103:104], v[105:106], v[103:104]
	v_div_scale_f64 v[105:106], vcc, v[99:100], v[97:98], v[99:100]
	v_fma_f64 v[107:108], -v[101:102], v[103:104], 1.0
	v_fma_f64 v[103:104], v[103:104], v[107:108], v[103:104]
	v_mul_f64 v[107:108], v[105:106], v[103:104]
	v_fma_f64 v[101:102], -v[101:102], v[107:108], v[105:106]
	v_div_fmas_f64 v[101:102], v[101:102], v[103:104], v[107:108]
	v_div_fixup_f64 v[103:104], v[101:102], v[97:98], v[99:100]
	v_fma_f64 v[97:98], v[99:100], v[103:104], v[97:98]
	v_div_scale_f64 v[99:100], s[6:7], v[97:98], v[97:98], 1.0
	v_div_scale_f64 v[107:108], vcc, 1.0, v[97:98], 1.0
	v_rcp_f64_e32 v[101:102], v[99:100]
	v_fma_f64 v[105:106], -v[99:100], v[101:102], 1.0
	v_fma_f64 v[101:102], v[101:102], v[105:106], v[101:102]
	v_fma_f64 v[105:106], -v[99:100], v[101:102], 1.0
	v_fma_f64 v[101:102], v[101:102], v[105:106], v[101:102]
	v_mul_f64 v[105:106], v[107:108], v[101:102]
	v_fma_f64 v[99:100], -v[99:100], v[105:106], v[107:108]
	v_div_fmas_f64 v[99:100], v[99:100], v[101:102], v[105:106]
	v_div_fixup_f64 v[101:102], v[99:100], v[97:98], 1.0
	v_mul_f64 v[103:104], v[103:104], -v[101:102]
.LBB97_88:
	s_or_b64 exec, exec, s[2:3]
	ds_write2_b64 v127, v[101:102], v[103:104] offset1:1
.LBB97_89:
	s_or_b64 exec, exec, s[4:5]
	s_waitcnt lgkmcnt(0)
	s_barrier
	ds_read2_b64 v[69:72], v127 offset1:1
	v_cmp_lt_u32_e32 vcc, 9, v0
	s_waitcnt lgkmcnt(0)
	buffer_store_dword v69, off, s[20:23], 0 offset:944 ; 4-byte Folded Spill
	s_nop 0
	buffer_store_dword v70, off, s[20:23], 0 offset:948 ; 4-byte Folded Spill
	buffer_store_dword v71, off, s[20:23], 0 offset:952 ; 4-byte Folded Spill
	buffer_store_dword v72, off, s[20:23], 0 offset:956 ; 4-byte Folded Spill
	s_and_saveexec_b64 s[2:3], vcc
	s_cbranch_execz .LBB97_91
; %bb.90:
	buffer_load_dword v103, off, s[20:23], 0 offset:256 ; 4-byte Folded Reload
	buffer_load_dword v104, off, s[20:23], 0 offset:260 ; 4-byte Folded Reload
	;; [unrolled: 1-line block ×8, first 2 shown]
	s_waitcnt vmcnt(2)
	v_mul_f64 v[99:100], v[69:70], v[105:106]
	s_waitcnt vmcnt(0)
	v_mul_f64 v[97:98], v[71:72], v[105:106]
	v_fma_f64 v[105:106], v[71:72], v[103:104], v[99:100]
	ds_read2_b64 v[99:102], v125 offset0:20 offset1:21
	v_fma_f64 v[97:98], v[69:70], v[103:104], -v[97:98]
	buffer_load_dword v69, off, s[20:23], 0 offset:240 ; 4-byte Folded Reload
	buffer_load_dword v70, off, s[20:23], 0 offset:244 ; 4-byte Folded Reload
	buffer_load_dword v71, off, s[20:23], 0 offset:248 ; 4-byte Folded Reload
	buffer_load_dword v72, off, s[20:23], 0 offset:252 ; 4-byte Folded Reload
	s_waitcnt lgkmcnt(0)
	v_mul_f64 v[103:104], v[101:102], v[105:106]
	v_fma_f64 v[103:104], v[99:100], v[97:98], -v[103:104]
	v_mul_f64 v[99:100], v[99:100], v[105:106]
	v_fma_f64 v[99:100], v[101:102], v[97:98], v[99:100]
	s_waitcnt vmcnt(2)
	v_add_f64 v[69:70], v[69:70], -v[103:104]
	s_waitcnt vmcnt(0)
	v_add_f64 v[71:72], v[71:72], -v[99:100]
	buffer_store_dword v69, off, s[20:23], 0 offset:240 ; 4-byte Folded Spill
	s_nop 0
	buffer_store_dword v70, off, s[20:23], 0 offset:244 ; 4-byte Folded Spill
	buffer_store_dword v71, off, s[20:23], 0 offset:248 ; 4-byte Folded Spill
	buffer_store_dword v72, off, s[20:23], 0 offset:252 ; 4-byte Folded Spill
	ds_read2_b64 v[99:102], v125 offset0:22 offset1:23
	buffer_load_dword v69, off, s[20:23], 0 offset:224 ; 4-byte Folded Reload
	buffer_load_dword v70, off, s[20:23], 0 offset:228 ; 4-byte Folded Reload
	buffer_load_dword v71, off, s[20:23], 0 offset:232 ; 4-byte Folded Reload
	buffer_load_dword v72, off, s[20:23], 0 offset:236 ; 4-byte Folded Reload
	s_waitcnt lgkmcnt(0)
	v_mul_f64 v[103:104], v[101:102], v[105:106]
	v_fma_f64 v[103:104], v[99:100], v[97:98], -v[103:104]
	v_mul_f64 v[99:100], v[99:100], v[105:106]
	v_fma_f64 v[99:100], v[101:102], v[97:98], v[99:100]
	s_waitcnt vmcnt(2)
	v_add_f64 v[69:70], v[69:70], -v[103:104]
	s_waitcnt vmcnt(0)
	v_add_f64 v[71:72], v[71:72], -v[99:100]
	buffer_store_dword v69, off, s[20:23], 0 offset:224 ; 4-byte Folded Spill
	s_nop 0
	buffer_store_dword v70, off, s[20:23], 0 offset:228 ; 4-byte Folded Spill
	buffer_store_dword v71, off, s[20:23], 0 offset:232 ; 4-byte Folded Spill
	buffer_store_dword v72, off, s[20:23], 0 offset:236 ; 4-byte Folded Spill
	ds_read2_b64 v[99:102], v125 offset0:24 offset1:25
	;; [unrolled: 19-line block ×13, first 2 shown]
	v_mov_b32_e32 v69, v73
	v_mov_b32_e32 v70, v74
	;; [unrolled: 1-line block ×4, first 2 shown]
	s_waitcnt lgkmcnt(0)
	v_mul_f64 v[103:104], v[101:102], v[105:106]
	v_fma_f64 v[103:104], v[99:100], v[97:98], -v[103:104]
	v_mul_f64 v[99:100], v[99:100], v[105:106]
	v_add_f64 v[121:122], v[121:122], -v[103:104]
	v_fma_f64 v[99:100], v[101:102], v[97:98], v[99:100]
	v_add_f64 v[123:124], v[123:124], -v[99:100]
	ds_read2_b64 v[99:102], v125 offset0:48 offset1:49
	s_waitcnt lgkmcnt(0)
	v_mul_f64 v[103:104], v[101:102], v[105:106]
	v_fma_f64 v[103:104], v[99:100], v[97:98], -v[103:104]
	v_mul_f64 v[99:100], v[99:100], v[105:106]
	v_add_f64 v[117:118], v[117:118], -v[103:104]
	v_fma_f64 v[99:100], v[101:102], v[97:98], v[99:100]
	v_add_f64 v[119:120], v[119:120], -v[99:100]
	ds_read2_b64 v[99:102], v125 offset0:50 offset1:51
	;; [unrolled: 8-line block ×5, first 2 shown]
	buffer_load_dword v77, off, s[20:23], 0 offset:32 ; 4-byte Folded Reload
	buffer_load_dword v78, off, s[20:23], 0 offset:36 ; 4-byte Folded Reload
	;; [unrolled: 1-line block ×4, first 2 shown]
	s_waitcnt lgkmcnt(0)
	v_mul_f64 v[103:104], v[101:102], v[105:106]
	v_fma_f64 v[103:104], v[99:100], v[97:98], -v[103:104]
	v_mul_f64 v[99:100], v[99:100], v[105:106]
	v_fma_f64 v[99:100], v[101:102], v[97:98], v[99:100]
	s_waitcnt vmcnt(2)
	v_add_f64 v[77:78], v[77:78], -v[103:104]
	s_waitcnt vmcnt(0)
	v_add_f64 v[79:80], v[79:80], -v[99:100]
	buffer_store_dword v77, off, s[20:23], 0 offset:32 ; 4-byte Folded Spill
	s_nop 0
	buffer_store_dword v78, off, s[20:23], 0 offset:36 ; 4-byte Folded Spill
	buffer_store_dword v79, off, s[20:23], 0 offset:40 ; 4-byte Folded Spill
	;; [unrolled: 1-line block ×3, first 2 shown]
	ds_read2_b64 v[99:102], v125 offset0:58 offset1:59
	buffer_load_dword v73, off, s[20:23], 0 offset:16 ; 4-byte Folded Reload
	buffer_load_dword v74, off, s[20:23], 0 offset:20 ; 4-byte Folded Reload
	;; [unrolled: 1-line block ×4, first 2 shown]
	s_waitcnt lgkmcnt(0)
	v_mul_f64 v[103:104], v[101:102], v[105:106]
	v_fma_f64 v[103:104], v[99:100], v[97:98], -v[103:104]
	v_mul_f64 v[99:100], v[99:100], v[105:106]
	v_fma_f64 v[99:100], v[101:102], v[97:98], v[99:100]
	s_waitcnt vmcnt(2)
	v_add_f64 v[73:74], v[73:74], -v[103:104]
	s_waitcnt vmcnt(0)
	v_add_f64 v[75:76], v[75:76], -v[99:100]
	buffer_store_dword v73, off, s[20:23], 0 offset:16 ; 4-byte Folded Spill
	s_nop 0
	buffer_store_dword v74, off, s[20:23], 0 offset:20 ; 4-byte Folded Spill
	buffer_store_dword v75, off, s[20:23], 0 offset:24 ; 4-byte Folded Spill
	;; [unrolled: 1-line block ×3, first 2 shown]
	v_mov_b32_e32 v76, v72
	v_mov_b32_e32 v75, v71
	v_mov_b32_e32 v74, v70
	v_mov_b32_e32 v73, v69
	ds_read2_b64 v[99:102], v125 offset0:60 offset1:61
	buffer_load_dword v69, off, s[20:23], 0 ; 4-byte Folded Reload
	buffer_load_dword v70, off, s[20:23], 0 offset:4 ; 4-byte Folded Reload
	buffer_load_dword v71, off, s[20:23], 0 offset:8 ; 4-byte Folded Reload
	;; [unrolled: 1-line block ×3, first 2 shown]
	s_waitcnt lgkmcnt(0)
	v_mul_f64 v[103:104], v[101:102], v[105:106]
	v_fma_f64 v[103:104], v[99:100], v[97:98], -v[103:104]
	v_mul_f64 v[99:100], v[99:100], v[105:106]
	v_fma_f64 v[99:100], v[101:102], v[97:98], v[99:100]
	s_waitcnt vmcnt(2)
	v_add_f64 v[69:70], v[69:70], -v[103:104]
	s_waitcnt vmcnt(0)
	v_add_f64 v[71:72], v[71:72], -v[99:100]
	buffer_store_dword v69, off, s[20:23], 0 ; 4-byte Folded Spill
	s_nop 0
	buffer_store_dword v70, off, s[20:23], 0 offset:4 ; 4-byte Folded Spill
	buffer_store_dword v71, off, s[20:23], 0 offset:8 ; 4-byte Folded Spill
	;; [unrolled: 1-line block ×3, first 2 shown]
	ds_read2_b64 v[99:102], v125 offset0:62 offset1:63
	s_waitcnt lgkmcnt(0)
	v_mul_f64 v[103:104], v[101:102], v[105:106]
	v_fma_f64 v[103:104], v[99:100], v[97:98], -v[103:104]
	v_mul_f64 v[99:100], v[99:100], v[105:106]
	v_add_f64 v[65:66], v[65:66], -v[103:104]
	v_fma_f64 v[99:100], v[101:102], v[97:98], v[99:100]
	v_add_f64 v[67:68], v[67:68], -v[99:100]
	ds_read2_b64 v[99:102], v125 offset0:64 offset1:65
	s_waitcnt lgkmcnt(0)
	v_mul_f64 v[103:104], v[101:102], v[105:106]
	v_fma_f64 v[103:104], v[99:100], v[97:98], -v[103:104]
	v_mul_f64 v[99:100], v[99:100], v[105:106]
	v_add_f64 v[61:62], v[61:62], -v[103:104]
	v_fma_f64 v[99:100], v[101:102], v[97:98], v[99:100]
	v_add_f64 v[63:64], v[63:64], -v[99:100]
	;; [unrolled: 8-line block ×17, first 2 shown]
	ds_read2_b64 v[99:102], v125 offset0:96 offset1:97
	s_waitcnt lgkmcnt(0)
	v_mul_f64 v[103:104], v[101:102], v[105:106]
	v_fma_f64 v[103:104], v[99:100], v[97:98], -v[103:104]
	v_mul_f64 v[99:100], v[99:100], v[105:106]
	v_add_f64 v[73:74], v[73:74], -v[103:104]
	v_fma_f64 v[99:100], v[101:102], v[97:98], v[99:100]
	v_mov_b32_e32 v104, v98
	v_mov_b32_e32 v103, v97
	buffer_store_dword v103, off, s[20:23], 0 offset:256 ; 4-byte Folded Spill
	s_nop 0
	buffer_store_dword v104, off, s[20:23], 0 offset:260 ; 4-byte Folded Spill
	buffer_store_dword v105, off, s[20:23], 0 offset:264 ; 4-byte Folded Spill
	;; [unrolled: 1-line block ×3, first 2 shown]
	v_add_f64 v[75:76], v[75:76], -v[99:100]
.LBB97_91:
	s_or_b64 exec, exec, s[2:3]
	v_cmp_eq_u32_e32 vcc, 10, v0
	s_waitcnt vmcnt(0)
	s_barrier
	s_and_saveexec_b64 s[4:5], vcc
	s_cbranch_execz .LBB97_98
; %bb.92:
	buffer_load_dword v69, off, s[20:23], 0 offset:240 ; 4-byte Folded Reload
	buffer_load_dword v70, off, s[20:23], 0 offset:244 ; 4-byte Folded Reload
	;; [unrolled: 1-line block ×4, first 2 shown]
	s_waitcnt vmcnt(0)
	ds_write2_b64 v127, v[69:70], v[71:72] offset1:1
	buffer_load_dword v69, off, s[20:23], 0 offset:224 ; 4-byte Folded Reload
	buffer_load_dword v70, off, s[20:23], 0 offset:228 ; 4-byte Folded Reload
	buffer_load_dword v71, off, s[20:23], 0 offset:232 ; 4-byte Folded Reload
	buffer_load_dword v72, off, s[20:23], 0 offset:236 ; 4-byte Folded Reload
	s_waitcnt vmcnt(0)
	ds_write2_b64 v125, v[69:70], v[71:72] offset0:22 offset1:23
	buffer_load_dword v69, off, s[20:23], 0 offset:208 ; 4-byte Folded Reload
	buffer_load_dword v70, off, s[20:23], 0 offset:212 ; 4-byte Folded Reload
	buffer_load_dword v71, off, s[20:23], 0 offset:216 ; 4-byte Folded Reload
	buffer_load_dword v72, off, s[20:23], 0 offset:220 ; 4-byte Folded Reload
	s_waitcnt vmcnt(0)
	ds_write2_b64 v125, v[69:70], v[71:72] offset0:24 offset1:25
	;; [unrolled: 6-line block ×12, first 2 shown]
	ds_write2_b64 v125, v[121:122], v[123:124] offset0:46 offset1:47
	ds_write2_b64 v125, v[117:118], v[119:120] offset0:48 offset1:49
	;; [unrolled: 1-line block ×5, first 2 shown]
	buffer_load_dword v77, off, s[20:23], 0 offset:32 ; 4-byte Folded Reload
	buffer_load_dword v78, off, s[20:23], 0 offset:36 ; 4-byte Folded Reload
	;; [unrolled: 1-line block ×4, first 2 shown]
	v_mov_b32_e32 v69, v73
	v_mov_b32_e32 v70, v74
	;; [unrolled: 1-line block ×4, first 2 shown]
	s_waitcnt vmcnt(0)
	ds_write2_b64 v125, v[77:78], v[79:80] offset0:56 offset1:57
	buffer_load_dword v73, off, s[20:23], 0 offset:16 ; 4-byte Folded Reload
	buffer_load_dword v74, off, s[20:23], 0 offset:20 ; 4-byte Folded Reload
	;; [unrolled: 1-line block ×4, first 2 shown]
	s_waitcnt vmcnt(0)
	ds_write2_b64 v125, v[73:74], v[75:76] offset0:58 offset1:59
	v_mov_b32_e32 v76, v72
	v_mov_b32_e32 v75, v71
	;; [unrolled: 1-line block ×4, first 2 shown]
	buffer_load_dword v69, off, s[20:23], 0 ; 4-byte Folded Reload
	buffer_load_dword v70, off, s[20:23], 0 offset:4 ; 4-byte Folded Reload
	buffer_load_dword v71, off, s[20:23], 0 offset:8 ; 4-byte Folded Reload
	;; [unrolled: 1-line block ×3, first 2 shown]
	s_waitcnt vmcnt(0)
	ds_write2_b64 v125, v[69:70], v[71:72] offset0:60 offset1:61
	ds_write2_b64 v125, v[65:66], v[67:68] offset0:62 offset1:63
	;; [unrolled: 1-line block ×19, first 2 shown]
	ds_read2_b64 v[97:100], v127 offset1:1
	s_waitcnt lgkmcnt(0)
	v_cmp_neq_f64_e32 vcc, 0, v[97:98]
	v_cmp_neq_f64_e64 s[2:3], 0, v[99:100]
	s_or_b64 s[2:3], vcc, s[2:3]
	s_and_b64 exec, exec, s[2:3]
	s_cbranch_execz .LBB97_98
; %bb.93:
	v_cmp_ngt_f64_e64 s[2:3], |v[97:98]|, |v[99:100]|
                                        ; implicit-def: $vgpr101_vgpr102
	s_and_saveexec_b64 s[6:7], s[2:3]
	s_xor_b64 s[2:3], exec, s[6:7]
                                        ; implicit-def: $vgpr103_vgpr104
	s_cbranch_execz .LBB97_95
; %bb.94:
	v_div_scale_f64 v[101:102], s[6:7], v[99:100], v[99:100], v[97:98]
	v_rcp_f64_e32 v[103:104], v[101:102]
	v_fma_f64 v[105:106], -v[101:102], v[103:104], 1.0
	v_fma_f64 v[103:104], v[103:104], v[105:106], v[103:104]
	v_div_scale_f64 v[105:106], vcc, v[97:98], v[99:100], v[97:98]
	v_fma_f64 v[107:108], -v[101:102], v[103:104], 1.0
	v_fma_f64 v[103:104], v[103:104], v[107:108], v[103:104]
	v_mul_f64 v[107:108], v[105:106], v[103:104]
	v_fma_f64 v[101:102], -v[101:102], v[107:108], v[105:106]
	v_div_fmas_f64 v[101:102], v[101:102], v[103:104], v[107:108]
	v_div_fixup_f64 v[101:102], v[101:102], v[99:100], v[97:98]
	v_fma_f64 v[97:98], v[97:98], v[101:102], v[99:100]
	v_div_scale_f64 v[99:100], s[6:7], v[97:98], v[97:98], 1.0
	v_div_scale_f64 v[107:108], vcc, 1.0, v[97:98], 1.0
	v_rcp_f64_e32 v[103:104], v[99:100]
	v_fma_f64 v[105:106], -v[99:100], v[103:104], 1.0
	v_fma_f64 v[103:104], v[103:104], v[105:106], v[103:104]
	v_fma_f64 v[105:106], -v[99:100], v[103:104], 1.0
	v_fma_f64 v[103:104], v[103:104], v[105:106], v[103:104]
	v_mul_f64 v[105:106], v[107:108], v[103:104]
	v_fma_f64 v[99:100], -v[99:100], v[105:106], v[107:108]
	v_div_fmas_f64 v[99:100], v[99:100], v[103:104], v[105:106]
	v_div_fixup_f64 v[103:104], v[99:100], v[97:98], 1.0
                                        ; implicit-def: $vgpr97_vgpr98
	v_mul_f64 v[101:102], v[101:102], v[103:104]
	v_xor_b32_e32 v104, 0x80000000, v104
.LBB97_95:
	s_andn2_saveexec_b64 s[2:3], s[2:3]
	s_cbranch_execz .LBB97_97
; %bb.96:
	v_div_scale_f64 v[101:102], s[6:7], v[97:98], v[97:98], v[99:100]
	v_rcp_f64_e32 v[103:104], v[101:102]
	v_fma_f64 v[105:106], -v[101:102], v[103:104], 1.0
	v_fma_f64 v[103:104], v[103:104], v[105:106], v[103:104]
	v_div_scale_f64 v[105:106], vcc, v[99:100], v[97:98], v[99:100]
	v_fma_f64 v[107:108], -v[101:102], v[103:104], 1.0
	v_fma_f64 v[103:104], v[103:104], v[107:108], v[103:104]
	v_mul_f64 v[107:108], v[105:106], v[103:104]
	v_fma_f64 v[101:102], -v[101:102], v[107:108], v[105:106]
	v_div_fmas_f64 v[101:102], v[101:102], v[103:104], v[107:108]
	v_div_fixup_f64 v[103:104], v[101:102], v[97:98], v[99:100]
	v_fma_f64 v[97:98], v[99:100], v[103:104], v[97:98]
	v_div_scale_f64 v[99:100], s[6:7], v[97:98], v[97:98], 1.0
	v_div_scale_f64 v[107:108], vcc, 1.0, v[97:98], 1.0
	v_rcp_f64_e32 v[101:102], v[99:100]
	v_fma_f64 v[105:106], -v[99:100], v[101:102], 1.0
	v_fma_f64 v[101:102], v[101:102], v[105:106], v[101:102]
	v_fma_f64 v[105:106], -v[99:100], v[101:102], 1.0
	v_fma_f64 v[101:102], v[101:102], v[105:106], v[101:102]
	v_mul_f64 v[105:106], v[107:108], v[101:102]
	v_fma_f64 v[99:100], -v[99:100], v[105:106], v[107:108]
	v_div_fmas_f64 v[99:100], v[99:100], v[101:102], v[105:106]
	v_div_fixup_f64 v[101:102], v[99:100], v[97:98], 1.0
	v_mul_f64 v[103:104], v[103:104], -v[101:102]
.LBB97_97:
	s_or_b64 exec, exec, s[2:3]
	ds_write2_b64 v127, v[101:102], v[103:104] offset1:1
.LBB97_98:
	s_or_b64 exec, exec, s[4:5]
	s_waitcnt lgkmcnt(0)
	s_barrier
	ds_read2_b64 v[69:72], v127 offset1:1
	v_cmp_lt_u32_e32 vcc, 10, v0
	s_waitcnt lgkmcnt(0)
	buffer_store_dword v69, off, s[20:23], 0 offset:960 ; 4-byte Folded Spill
	s_nop 0
	buffer_store_dword v70, off, s[20:23], 0 offset:964 ; 4-byte Folded Spill
	buffer_store_dword v71, off, s[20:23], 0 offset:968 ; 4-byte Folded Spill
	;; [unrolled: 1-line block ×3, first 2 shown]
	s_and_saveexec_b64 s[2:3], vcc
	s_cbranch_execz .LBB97_100
; %bb.99:
	buffer_load_dword v103, off, s[20:23], 0 offset:240 ; 4-byte Folded Reload
	buffer_load_dword v104, off, s[20:23], 0 offset:244 ; 4-byte Folded Reload
	;; [unrolled: 1-line block ×8, first 2 shown]
	s_waitcnt vmcnt(2)
	v_mul_f64 v[99:100], v[69:70], v[105:106]
	s_waitcnt vmcnt(0)
	v_mul_f64 v[97:98], v[71:72], v[105:106]
	v_fma_f64 v[105:106], v[71:72], v[103:104], v[99:100]
	ds_read2_b64 v[99:102], v125 offset0:22 offset1:23
	v_fma_f64 v[97:98], v[69:70], v[103:104], -v[97:98]
	buffer_load_dword v69, off, s[20:23], 0 offset:224 ; 4-byte Folded Reload
	buffer_load_dword v70, off, s[20:23], 0 offset:228 ; 4-byte Folded Reload
	buffer_load_dword v71, off, s[20:23], 0 offset:232 ; 4-byte Folded Reload
	buffer_load_dword v72, off, s[20:23], 0 offset:236 ; 4-byte Folded Reload
	s_waitcnt lgkmcnt(0)
	v_mul_f64 v[103:104], v[101:102], v[105:106]
	v_fma_f64 v[103:104], v[99:100], v[97:98], -v[103:104]
	v_mul_f64 v[99:100], v[99:100], v[105:106]
	v_fma_f64 v[99:100], v[101:102], v[97:98], v[99:100]
	s_waitcnt vmcnt(2)
	v_add_f64 v[69:70], v[69:70], -v[103:104]
	s_waitcnt vmcnt(0)
	v_add_f64 v[71:72], v[71:72], -v[99:100]
	buffer_store_dword v69, off, s[20:23], 0 offset:224 ; 4-byte Folded Spill
	s_nop 0
	buffer_store_dword v70, off, s[20:23], 0 offset:228 ; 4-byte Folded Spill
	buffer_store_dword v71, off, s[20:23], 0 offset:232 ; 4-byte Folded Spill
	buffer_store_dword v72, off, s[20:23], 0 offset:236 ; 4-byte Folded Spill
	ds_read2_b64 v[99:102], v125 offset0:24 offset1:25
	buffer_load_dword v69, off, s[20:23], 0 offset:208 ; 4-byte Folded Reload
	buffer_load_dword v70, off, s[20:23], 0 offset:212 ; 4-byte Folded Reload
	buffer_load_dword v71, off, s[20:23], 0 offset:216 ; 4-byte Folded Reload
	buffer_load_dword v72, off, s[20:23], 0 offset:220 ; 4-byte Folded Reload
	s_waitcnt lgkmcnt(0)
	v_mul_f64 v[103:104], v[101:102], v[105:106]
	v_fma_f64 v[103:104], v[99:100], v[97:98], -v[103:104]
	v_mul_f64 v[99:100], v[99:100], v[105:106]
	v_fma_f64 v[99:100], v[101:102], v[97:98], v[99:100]
	s_waitcnt vmcnt(2)
	v_add_f64 v[69:70], v[69:70], -v[103:104]
	s_waitcnt vmcnt(0)
	v_add_f64 v[71:72], v[71:72], -v[99:100]
	buffer_store_dword v69, off, s[20:23], 0 offset:208 ; 4-byte Folded Spill
	s_nop 0
	buffer_store_dword v70, off, s[20:23], 0 offset:212 ; 4-byte Folded Spill
	buffer_store_dword v71, off, s[20:23], 0 offset:216 ; 4-byte Folded Spill
	buffer_store_dword v72, off, s[20:23], 0 offset:220 ; 4-byte Folded Spill
	ds_read2_b64 v[99:102], v125 offset0:26 offset1:27
	;; [unrolled: 19-line block ×12, first 2 shown]
	v_mov_b32_e32 v69, v73
	v_mov_b32_e32 v70, v74
	;; [unrolled: 1-line block ×4, first 2 shown]
	s_waitcnt lgkmcnt(0)
	v_mul_f64 v[103:104], v[101:102], v[105:106]
	v_fma_f64 v[103:104], v[99:100], v[97:98], -v[103:104]
	v_mul_f64 v[99:100], v[99:100], v[105:106]
	v_add_f64 v[121:122], v[121:122], -v[103:104]
	v_fma_f64 v[99:100], v[101:102], v[97:98], v[99:100]
	v_add_f64 v[123:124], v[123:124], -v[99:100]
	ds_read2_b64 v[99:102], v125 offset0:48 offset1:49
	s_waitcnt lgkmcnt(0)
	v_mul_f64 v[103:104], v[101:102], v[105:106]
	v_fma_f64 v[103:104], v[99:100], v[97:98], -v[103:104]
	v_mul_f64 v[99:100], v[99:100], v[105:106]
	v_add_f64 v[117:118], v[117:118], -v[103:104]
	v_fma_f64 v[99:100], v[101:102], v[97:98], v[99:100]
	v_add_f64 v[119:120], v[119:120], -v[99:100]
	ds_read2_b64 v[99:102], v125 offset0:50 offset1:51
	;; [unrolled: 8-line block ×5, first 2 shown]
	buffer_load_dword v77, off, s[20:23], 0 offset:32 ; 4-byte Folded Reload
	buffer_load_dword v78, off, s[20:23], 0 offset:36 ; 4-byte Folded Reload
	;; [unrolled: 1-line block ×4, first 2 shown]
	s_waitcnt lgkmcnt(0)
	v_mul_f64 v[103:104], v[101:102], v[105:106]
	v_fma_f64 v[103:104], v[99:100], v[97:98], -v[103:104]
	v_mul_f64 v[99:100], v[99:100], v[105:106]
	v_fma_f64 v[99:100], v[101:102], v[97:98], v[99:100]
	s_waitcnt vmcnt(2)
	v_add_f64 v[77:78], v[77:78], -v[103:104]
	s_waitcnt vmcnt(0)
	v_add_f64 v[79:80], v[79:80], -v[99:100]
	buffer_store_dword v77, off, s[20:23], 0 offset:32 ; 4-byte Folded Spill
	s_nop 0
	buffer_store_dword v78, off, s[20:23], 0 offset:36 ; 4-byte Folded Spill
	buffer_store_dword v79, off, s[20:23], 0 offset:40 ; 4-byte Folded Spill
	;; [unrolled: 1-line block ×3, first 2 shown]
	ds_read2_b64 v[99:102], v125 offset0:58 offset1:59
	buffer_load_dword v73, off, s[20:23], 0 offset:16 ; 4-byte Folded Reload
	buffer_load_dword v74, off, s[20:23], 0 offset:20 ; 4-byte Folded Reload
	;; [unrolled: 1-line block ×4, first 2 shown]
	s_waitcnt lgkmcnt(0)
	v_mul_f64 v[103:104], v[101:102], v[105:106]
	v_fma_f64 v[103:104], v[99:100], v[97:98], -v[103:104]
	v_mul_f64 v[99:100], v[99:100], v[105:106]
	v_fma_f64 v[99:100], v[101:102], v[97:98], v[99:100]
	s_waitcnt vmcnt(2)
	v_add_f64 v[73:74], v[73:74], -v[103:104]
	s_waitcnt vmcnt(0)
	v_add_f64 v[75:76], v[75:76], -v[99:100]
	buffer_store_dword v73, off, s[20:23], 0 offset:16 ; 4-byte Folded Spill
	s_nop 0
	buffer_store_dword v74, off, s[20:23], 0 offset:20 ; 4-byte Folded Spill
	buffer_store_dword v75, off, s[20:23], 0 offset:24 ; 4-byte Folded Spill
	;; [unrolled: 1-line block ×3, first 2 shown]
	v_mov_b32_e32 v76, v72
	v_mov_b32_e32 v75, v71
	;; [unrolled: 1-line block ×4, first 2 shown]
	ds_read2_b64 v[99:102], v125 offset0:60 offset1:61
	buffer_load_dword v69, off, s[20:23], 0 ; 4-byte Folded Reload
	buffer_load_dword v70, off, s[20:23], 0 offset:4 ; 4-byte Folded Reload
	buffer_load_dword v71, off, s[20:23], 0 offset:8 ; 4-byte Folded Reload
	;; [unrolled: 1-line block ×3, first 2 shown]
	s_waitcnt lgkmcnt(0)
	v_mul_f64 v[103:104], v[101:102], v[105:106]
	v_fma_f64 v[103:104], v[99:100], v[97:98], -v[103:104]
	v_mul_f64 v[99:100], v[99:100], v[105:106]
	v_fma_f64 v[99:100], v[101:102], v[97:98], v[99:100]
	s_waitcnt vmcnt(2)
	v_add_f64 v[69:70], v[69:70], -v[103:104]
	s_waitcnt vmcnt(0)
	v_add_f64 v[71:72], v[71:72], -v[99:100]
	buffer_store_dword v69, off, s[20:23], 0 ; 4-byte Folded Spill
	s_nop 0
	buffer_store_dword v70, off, s[20:23], 0 offset:4 ; 4-byte Folded Spill
	buffer_store_dword v71, off, s[20:23], 0 offset:8 ; 4-byte Folded Spill
	;; [unrolled: 1-line block ×3, first 2 shown]
	ds_read2_b64 v[99:102], v125 offset0:62 offset1:63
	s_waitcnt lgkmcnt(0)
	v_mul_f64 v[103:104], v[101:102], v[105:106]
	v_fma_f64 v[103:104], v[99:100], v[97:98], -v[103:104]
	v_mul_f64 v[99:100], v[99:100], v[105:106]
	v_add_f64 v[65:66], v[65:66], -v[103:104]
	v_fma_f64 v[99:100], v[101:102], v[97:98], v[99:100]
	v_add_f64 v[67:68], v[67:68], -v[99:100]
	ds_read2_b64 v[99:102], v125 offset0:64 offset1:65
	s_waitcnt lgkmcnt(0)
	v_mul_f64 v[103:104], v[101:102], v[105:106]
	v_fma_f64 v[103:104], v[99:100], v[97:98], -v[103:104]
	v_mul_f64 v[99:100], v[99:100], v[105:106]
	v_add_f64 v[61:62], v[61:62], -v[103:104]
	v_fma_f64 v[99:100], v[101:102], v[97:98], v[99:100]
	v_add_f64 v[63:64], v[63:64], -v[99:100]
	;; [unrolled: 8-line block ×17, first 2 shown]
	ds_read2_b64 v[99:102], v125 offset0:96 offset1:97
	s_waitcnt lgkmcnt(0)
	v_mul_f64 v[103:104], v[101:102], v[105:106]
	v_fma_f64 v[103:104], v[99:100], v[97:98], -v[103:104]
	v_mul_f64 v[99:100], v[99:100], v[105:106]
	v_add_f64 v[73:74], v[73:74], -v[103:104]
	v_fma_f64 v[99:100], v[101:102], v[97:98], v[99:100]
	v_mov_b32_e32 v104, v98
	v_mov_b32_e32 v103, v97
	buffer_store_dword v103, off, s[20:23], 0 offset:240 ; 4-byte Folded Spill
	s_nop 0
	buffer_store_dword v104, off, s[20:23], 0 offset:244 ; 4-byte Folded Spill
	buffer_store_dword v105, off, s[20:23], 0 offset:248 ; 4-byte Folded Spill
	;; [unrolled: 1-line block ×3, first 2 shown]
	v_add_f64 v[75:76], v[75:76], -v[99:100]
.LBB97_100:
	s_or_b64 exec, exec, s[2:3]
	v_cmp_eq_u32_e32 vcc, 11, v0
	s_waitcnt vmcnt(0)
	s_barrier
	s_and_saveexec_b64 s[4:5], vcc
	s_cbranch_execz .LBB97_107
; %bb.101:
	buffer_load_dword v69, off, s[20:23], 0 offset:224 ; 4-byte Folded Reload
	buffer_load_dword v70, off, s[20:23], 0 offset:228 ; 4-byte Folded Reload
	;; [unrolled: 1-line block ×4, first 2 shown]
	s_waitcnt vmcnt(0)
	ds_write2_b64 v127, v[69:70], v[71:72] offset1:1
	buffer_load_dword v69, off, s[20:23], 0 offset:208 ; 4-byte Folded Reload
	buffer_load_dword v70, off, s[20:23], 0 offset:212 ; 4-byte Folded Reload
	buffer_load_dword v71, off, s[20:23], 0 offset:216 ; 4-byte Folded Reload
	buffer_load_dword v72, off, s[20:23], 0 offset:220 ; 4-byte Folded Reload
	s_waitcnt vmcnt(0)
	ds_write2_b64 v125, v[69:70], v[71:72] offset0:24 offset1:25
	buffer_load_dword v69, off, s[20:23], 0 offset:192 ; 4-byte Folded Reload
	buffer_load_dword v70, off, s[20:23], 0 offset:196 ; 4-byte Folded Reload
	buffer_load_dword v71, off, s[20:23], 0 offset:200 ; 4-byte Folded Reload
	buffer_load_dword v72, off, s[20:23], 0 offset:204 ; 4-byte Folded Reload
	s_waitcnt vmcnt(0)
	ds_write2_b64 v125, v[69:70], v[71:72] offset0:26 offset1:27
	;; [unrolled: 6-line block ×11, first 2 shown]
	ds_write2_b64 v125, v[121:122], v[123:124] offset0:46 offset1:47
	ds_write2_b64 v125, v[117:118], v[119:120] offset0:48 offset1:49
	;; [unrolled: 1-line block ×5, first 2 shown]
	buffer_load_dword v77, off, s[20:23], 0 offset:32 ; 4-byte Folded Reload
	buffer_load_dword v78, off, s[20:23], 0 offset:36 ; 4-byte Folded Reload
	;; [unrolled: 1-line block ×4, first 2 shown]
	v_mov_b32_e32 v69, v73
	v_mov_b32_e32 v70, v74
	;; [unrolled: 1-line block ×4, first 2 shown]
	s_waitcnt vmcnt(0)
	ds_write2_b64 v125, v[77:78], v[79:80] offset0:56 offset1:57
	buffer_load_dword v73, off, s[20:23], 0 offset:16 ; 4-byte Folded Reload
	buffer_load_dword v74, off, s[20:23], 0 offset:20 ; 4-byte Folded Reload
	buffer_load_dword v75, off, s[20:23], 0 offset:24 ; 4-byte Folded Reload
	buffer_load_dword v76, off, s[20:23], 0 offset:28 ; 4-byte Folded Reload
	s_waitcnt vmcnt(0)
	ds_write2_b64 v125, v[73:74], v[75:76] offset0:58 offset1:59
	v_mov_b32_e32 v76, v72
	v_mov_b32_e32 v75, v71
	;; [unrolled: 1-line block ×4, first 2 shown]
	buffer_load_dword v69, off, s[20:23], 0 ; 4-byte Folded Reload
	buffer_load_dword v70, off, s[20:23], 0 offset:4 ; 4-byte Folded Reload
	buffer_load_dword v71, off, s[20:23], 0 offset:8 ; 4-byte Folded Reload
	;; [unrolled: 1-line block ×3, first 2 shown]
	s_waitcnt vmcnt(0)
	ds_write2_b64 v125, v[69:70], v[71:72] offset0:60 offset1:61
	ds_write2_b64 v125, v[65:66], v[67:68] offset0:62 offset1:63
	;; [unrolled: 1-line block ×19, first 2 shown]
	ds_read2_b64 v[97:100], v127 offset1:1
	s_waitcnt lgkmcnt(0)
	v_cmp_neq_f64_e32 vcc, 0, v[97:98]
	v_cmp_neq_f64_e64 s[2:3], 0, v[99:100]
	s_or_b64 s[2:3], vcc, s[2:3]
	s_and_b64 exec, exec, s[2:3]
	s_cbranch_execz .LBB97_107
; %bb.102:
	v_cmp_ngt_f64_e64 s[2:3], |v[97:98]|, |v[99:100]|
                                        ; implicit-def: $vgpr101_vgpr102
	s_and_saveexec_b64 s[6:7], s[2:3]
	s_xor_b64 s[2:3], exec, s[6:7]
                                        ; implicit-def: $vgpr103_vgpr104
	s_cbranch_execz .LBB97_104
; %bb.103:
	v_div_scale_f64 v[101:102], s[6:7], v[99:100], v[99:100], v[97:98]
	v_rcp_f64_e32 v[103:104], v[101:102]
	v_fma_f64 v[105:106], -v[101:102], v[103:104], 1.0
	v_fma_f64 v[103:104], v[103:104], v[105:106], v[103:104]
	v_div_scale_f64 v[105:106], vcc, v[97:98], v[99:100], v[97:98]
	v_fma_f64 v[107:108], -v[101:102], v[103:104], 1.0
	v_fma_f64 v[103:104], v[103:104], v[107:108], v[103:104]
	v_mul_f64 v[107:108], v[105:106], v[103:104]
	v_fma_f64 v[101:102], -v[101:102], v[107:108], v[105:106]
	v_div_fmas_f64 v[101:102], v[101:102], v[103:104], v[107:108]
	v_div_fixup_f64 v[101:102], v[101:102], v[99:100], v[97:98]
	v_fma_f64 v[97:98], v[97:98], v[101:102], v[99:100]
	v_div_scale_f64 v[99:100], s[6:7], v[97:98], v[97:98], 1.0
	v_div_scale_f64 v[107:108], vcc, 1.0, v[97:98], 1.0
	v_rcp_f64_e32 v[103:104], v[99:100]
	v_fma_f64 v[105:106], -v[99:100], v[103:104], 1.0
	v_fma_f64 v[103:104], v[103:104], v[105:106], v[103:104]
	v_fma_f64 v[105:106], -v[99:100], v[103:104], 1.0
	v_fma_f64 v[103:104], v[103:104], v[105:106], v[103:104]
	v_mul_f64 v[105:106], v[107:108], v[103:104]
	v_fma_f64 v[99:100], -v[99:100], v[105:106], v[107:108]
	v_div_fmas_f64 v[99:100], v[99:100], v[103:104], v[105:106]
	v_div_fixup_f64 v[103:104], v[99:100], v[97:98], 1.0
                                        ; implicit-def: $vgpr97_vgpr98
	v_mul_f64 v[101:102], v[101:102], v[103:104]
	v_xor_b32_e32 v104, 0x80000000, v104
.LBB97_104:
	s_andn2_saveexec_b64 s[2:3], s[2:3]
	s_cbranch_execz .LBB97_106
; %bb.105:
	v_div_scale_f64 v[101:102], s[6:7], v[97:98], v[97:98], v[99:100]
	v_rcp_f64_e32 v[103:104], v[101:102]
	v_fma_f64 v[105:106], -v[101:102], v[103:104], 1.0
	v_fma_f64 v[103:104], v[103:104], v[105:106], v[103:104]
	v_div_scale_f64 v[105:106], vcc, v[99:100], v[97:98], v[99:100]
	v_fma_f64 v[107:108], -v[101:102], v[103:104], 1.0
	v_fma_f64 v[103:104], v[103:104], v[107:108], v[103:104]
	v_mul_f64 v[107:108], v[105:106], v[103:104]
	v_fma_f64 v[101:102], -v[101:102], v[107:108], v[105:106]
	v_div_fmas_f64 v[101:102], v[101:102], v[103:104], v[107:108]
	v_div_fixup_f64 v[103:104], v[101:102], v[97:98], v[99:100]
	v_fma_f64 v[97:98], v[99:100], v[103:104], v[97:98]
	v_div_scale_f64 v[99:100], s[6:7], v[97:98], v[97:98], 1.0
	v_div_scale_f64 v[107:108], vcc, 1.0, v[97:98], 1.0
	v_rcp_f64_e32 v[101:102], v[99:100]
	v_fma_f64 v[105:106], -v[99:100], v[101:102], 1.0
	v_fma_f64 v[101:102], v[101:102], v[105:106], v[101:102]
	v_fma_f64 v[105:106], -v[99:100], v[101:102], 1.0
	v_fma_f64 v[101:102], v[101:102], v[105:106], v[101:102]
	v_mul_f64 v[105:106], v[107:108], v[101:102]
	v_fma_f64 v[99:100], -v[99:100], v[105:106], v[107:108]
	v_div_fmas_f64 v[99:100], v[99:100], v[101:102], v[105:106]
	v_div_fixup_f64 v[101:102], v[99:100], v[97:98], 1.0
	v_mul_f64 v[103:104], v[103:104], -v[101:102]
.LBB97_106:
	s_or_b64 exec, exec, s[2:3]
	ds_write2_b64 v127, v[101:102], v[103:104] offset1:1
.LBB97_107:
	s_or_b64 exec, exec, s[4:5]
	s_waitcnt lgkmcnt(0)
	s_barrier
	ds_read2_b64 v[69:72], v127 offset1:1
	v_cmp_lt_u32_e32 vcc, 11, v0
	s_waitcnt lgkmcnt(0)
	buffer_store_dword v69, off, s[20:23], 0 offset:976 ; 4-byte Folded Spill
	s_nop 0
	buffer_store_dword v70, off, s[20:23], 0 offset:980 ; 4-byte Folded Spill
	buffer_store_dword v71, off, s[20:23], 0 offset:984 ; 4-byte Folded Spill
	buffer_store_dword v72, off, s[20:23], 0 offset:988 ; 4-byte Folded Spill
	s_and_saveexec_b64 s[2:3], vcc
	s_cbranch_execz .LBB97_109
; %bb.108:
	buffer_load_dword v103, off, s[20:23], 0 offset:224 ; 4-byte Folded Reload
	buffer_load_dword v104, off, s[20:23], 0 offset:228 ; 4-byte Folded Reload
	;; [unrolled: 1-line block ×8, first 2 shown]
	s_waitcnt vmcnt(2)
	v_mul_f64 v[99:100], v[69:70], v[105:106]
	s_waitcnt vmcnt(0)
	v_mul_f64 v[97:98], v[71:72], v[105:106]
	v_fma_f64 v[105:106], v[71:72], v[103:104], v[99:100]
	ds_read2_b64 v[99:102], v125 offset0:24 offset1:25
	v_fma_f64 v[97:98], v[69:70], v[103:104], -v[97:98]
	buffer_load_dword v69, off, s[20:23], 0 offset:208 ; 4-byte Folded Reload
	buffer_load_dword v70, off, s[20:23], 0 offset:212 ; 4-byte Folded Reload
	buffer_load_dword v71, off, s[20:23], 0 offset:216 ; 4-byte Folded Reload
	buffer_load_dword v72, off, s[20:23], 0 offset:220 ; 4-byte Folded Reload
	s_waitcnt lgkmcnt(0)
	v_mul_f64 v[103:104], v[101:102], v[105:106]
	v_fma_f64 v[103:104], v[99:100], v[97:98], -v[103:104]
	v_mul_f64 v[99:100], v[99:100], v[105:106]
	v_fma_f64 v[99:100], v[101:102], v[97:98], v[99:100]
	s_waitcnt vmcnt(2)
	v_add_f64 v[69:70], v[69:70], -v[103:104]
	s_waitcnt vmcnt(0)
	v_add_f64 v[71:72], v[71:72], -v[99:100]
	buffer_store_dword v69, off, s[20:23], 0 offset:208 ; 4-byte Folded Spill
	s_nop 0
	buffer_store_dword v70, off, s[20:23], 0 offset:212 ; 4-byte Folded Spill
	buffer_store_dword v71, off, s[20:23], 0 offset:216 ; 4-byte Folded Spill
	buffer_store_dword v72, off, s[20:23], 0 offset:220 ; 4-byte Folded Spill
	ds_read2_b64 v[99:102], v125 offset0:26 offset1:27
	buffer_load_dword v69, off, s[20:23], 0 offset:192 ; 4-byte Folded Reload
	buffer_load_dword v70, off, s[20:23], 0 offset:196 ; 4-byte Folded Reload
	buffer_load_dword v71, off, s[20:23], 0 offset:200 ; 4-byte Folded Reload
	buffer_load_dword v72, off, s[20:23], 0 offset:204 ; 4-byte Folded Reload
	s_waitcnt lgkmcnt(0)
	v_mul_f64 v[103:104], v[101:102], v[105:106]
	v_fma_f64 v[103:104], v[99:100], v[97:98], -v[103:104]
	v_mul_f64 v[99:100], v[99:100], v[105:106]
	v_fma_f64 v[99:100], v[101:102], v[97:98], v[99:100]
	s_waitcnt vmcnt(2)
	v_add_f64 v[69:70], v[69:70], -v[103:104]
	s_waitcnt vmcnt(0)
	v_add_f64 v[71:72], v[71:72], -v[99:100]
	buffer_store_dword v69, off, s[20:23], 0 offset:192 ; 4-byte Folded Spill
	s_nop 0
	buffer_store_dword v70, off, s[20:23], 0 offset:196 ; 4-byte Folded Spill
	buffer_store_dword v71, off, s[20:23], 0 offset:200 ; 4-byte Folded Spill
	buffer_store_dword v72, off, s[20:23], 0 offset:204 ; 4-byte Folded Spill
	ds_read2_b64 v[99:102], v125 offset0:28 offset1:29
	;; [unrolled: 19-line block ×11, first 2 shown]
	v_mov_b32_e32 v69, v73
	v_mov_b32_e32 v70, v74
	;; [unrolled: 1-line block ×4, first 2 shown]
	s_waitcnt lgkmcnt(0)
	v_mul_f64 v[103:104], v[101:102], v[105:106]
	v_fma_f64 v[103:104], v[99:100], v[97:98], -v[103:104]
	v_mul_f64 v[99:100], v[99:100], v[105:106]
	v_add_f64 v[121:122], v[121:122], -v[103:104]
	v_fma_f64 v[99:100], v[101:102], v[97:98], v[99:100]
	v_add_f64 v[123:124], v[123:124], -v[99:100]
	ds_read2_b64 v[99:102], v125 offset0:48 offset1:49
	s_waitcnt lgkmcnt(0)
	v_mul_f64 v[103:104], v[101:102], v[105:106]
	v_fma_f64 v[103:104], v[99:100], v[97:98], -v[103:104]
	v_mul_f64 v[99:100], v[99:100], v[105:106]
	v_add_f64 v[117:118], v[117:118], -v[103:104]
	v_fma_f64 v[99:100], v[101:102], v[97:98], v[99:100]
	v_add_f64 v[119:120], v[119:120], -v[99:100]
	ds_read2_b64 v[99:102], v125 offset0:50 offset1:51
	;; [unrolled: 8-line block ×5, first 2 shown]
	buffer_load_dword v77, off, s[20:23], 0 offset:32 ; 4-byte Folded Reload
	buffer_load_dword v78, off, s[20:23], 0 offset:36 ; 4-byte Folded Reload
	;; [unrolled: 1-line block ×4, first 2 shown]
	s_waitcnt lgkmcnt(0)
	v_mul_f64 v[103:104], v[101:102], v[105:106]
	v_fma_f64 v[103:104], v[99:100], v[97:98], -v[103:104]
	v_mul_f64 v[99:100], v[99:100], v[105:106]
	v_fma_f64 v[99:100], v[101:102], v[97:98], v[99:100]
	s_waitcnt vmcnt(2)
	v_add_f64 v[77:78], v[77:78], -v[103:104]
	s_waitcnt vmcnt(0)
	v_add_f64 v[79:80], v[79:80], -v[99:100]
	buffer_store_dword v77, off, s[20:23], 0 offset:32 ; 4-byte Folded Spill
	s_nop 0
	buffer_store_dword v78, off, s[20:23], 0 offset:36 ; 4-byte Folded Spill
	buffer_store_dword v79, off, s[20:23], 0 offset:40 ; 4-byte Folded Spill
	;; [unrolled: 1-line block ×3, first 2 shown]
	ds_read2_b64 v[99:102], v125 offset0:58 offset1:59
	buffer_load_dword v73, off, s[20:23], 0 offset:16 ; 4-byte Folded Reload
	buffer_load_dword v74, off, s[20:23], 0 offset:20 ; 4-byte Folded Reload
	;; [unrolled: 1-line block ×4, first 2 shown]
	s_waitcnt lgkmcnt(0)
	v_mul_f64 v[103:104], v[101:102], v[105:106]
	v_fma_f64 v[103:104], v[99:100], v[97:98], -v[103:104]
	v_mul_f64 v[99:100], v[99:100], v[105:106]
	v_fma_f64 v[99:100], v[101:102], v[97:98], v[99:100]
	s_waitcnt vmcnt(2)
	v_add_f64 v[73:74], v[73:74], -v[103:104]
	s_waitcnt vmcnt(0)
	v_add_f64 v[75:76], v[75:76], -v[99:100]
	buffer_store_dword v73, off, s[20:23], 0 offset:16 ; 4-byte Folded Spill
	s_nop 0
	buffer_store_dword v74, off, s[20:23], 0 offset:20 ; 4-byte Folded Spill
	buffer_store_dword v75, off, s[20:23], 0 offset:24 ; 4-byte Folded Spill
	;; [unrolled: 1-line block ×3, first 2 shown]
	v_mov_b32_e32 v76, v72
	v_mov_b32_e32 v75, v71
	;; [unrolled: 1-line block ×4, first 2 shown]
	ds_read2_b64 v[99:102], v125 offset0:60 offset1:61
	buffer_load_dword v69, off, s[20:23], 0 ; 4-byte Folded Reload
	buffer_load_dword v70, off, s[20:23], 0 offset:4 ; 4-byte Folded Reload
	buffer_load_dword v71, off, s[20:23], 0 offset:8 ; 4-byte Folded Reload
	;; [unrolled: 1-line block ×3, first 2 shown]
	s_waitcnt lgkmcnt(0)
	v_mul_f64 v[103:104], v[101:102], v[105:106]
	v_fma_f64 v[103:104], v[99:100], v[97:98], -v[103:104]
	v_mul_f64 v[99:100], v[99:100], v[105:106]
	v_fma_f64 v[99:100], v[101:102], v[97:98], v[99:100]
	s_waitcnt vmcnt(2)
	v_add_f64 v[69:70], v[69:70], -v[103:104]
	s_waitcnt vmcnt(0)
	v_add_f64 v[71:72], v[71:72], -v[99:100]
	buffer_store_dword v69, off, s[20:23], 0 ; 4-byte Folded Spill
	s_nop 0
	buffer_store_dword v70, off, s[20:23], 0 offset:4 ; 4-byte Folded Spill
	buffer_store_dword v71, off, s[20:23], 0 offset:8 ; 4-byte Folded Spill
	;; [unrolled: 1-line block ×3, first 2 shown]
	ds_read2_b64 v[99:102], v125 offset0:62 offset1:63
	s_waitcnt lgkmcnt(0)
	v_mul_f64 v[103:104], v[101:102], v[105:106]
	v_fma_f64 v[103:104], v[99:100], v[97:98], -v[103:104]
	v_mul_f64 v[99:100], v[99:100], v[105:106]
	v_add_f64 v[65:66], v[65:66], -v[103:104]
	v_fma_f64 v[99:100], v[101:102], v[97:98], v[99:100]
	v_add_f64 v[67:68], v[67:68], -v[99:100]
	ds_read2_b64 v[99:102], v125 offset0:64 offset1:65
	s_waitcnt lgkmcnt(0)
	v_mul_f64 v[103:104], v[101:102], v[105:106]
	v_fma_f64 v[103:104], v[99:100], v[97:98], -v[103:104]
	v_mul_f64 v[99:100], v[99:100], v[105:106]
	v_add_f64 v[61:62], v[61:62], -v[103:104]
	v_fma_f64 v[99:100], v[101:102], v[97:98], v[99:100]
	v_add_f64 v[63:64], v[63:64], -v[99:100]
	;; [unrolled: 8-line block ×17, first 2 shown]
	ds_read2_b64 v[99:102], v125 offset0:96 offset1:97
	s_waitcnt lgkmcnt(0)
	v_mul_f64 v[103:104], v[101:102], v[105:106]
	v_fma_f64 v[103:104], v[99:100], v[97:98], -v[103:104]
	v_mul_f64 v[99:100], v[99:100], v[105:106]
	v_add_f64 v[73:74], v[73:74], -v[103:104]
	v_fma_f64 v[99:100], v[101:102], v[97:98], v[99:100]
	v_mov_b32_e32 v104, v98
	v_mov_b32_e32 v103, v97
	buffer_store_dword v103, off, s[20:23], 0 offset:224 ; 4-byte Folded Spill
	s_nop 0
	buffer_store_dword v104, off, s[20:23], 0 offset:228 ; 4-byte Folded Spill
	buffer_store_dword v105, off, s[20:23], 0 offset:232 ; 4-byte Folded Spill
	;; [unrolled: 1-line block ×3, first 2 shown]
	v_add_f64 v[75:76], v[75:76], -v[99:100]
.LBB97_109:
	s_or_b64 exec, exec, s[2:3]
	v_cmp_eq_u32_e32 vcc, 12, v0
	s_waitcnt vmcnt(0)
	s_barrier
	s_and_saveexec_b64 s[4:5], vcc
	s_cbranch_execz .LBB97_116
; %bb.110:
	buffer_load_dword v69, off, s[20:23], 0 offset:208 ; 4-byte Folded Reload
	buffer_load_dword v70, off, s[20:23], 0 offset:212 ; 4-byte Folded Reload
	;; [unrolled: 1-line block ×4, first 2 shown]
	s_waitcnt vmcnt(0)
	ds_write2_b64 v127, v[69:70], v[71:72] offset1:1
	buffer_load_dword v69, off, s[20:23], 0 offset:192 ; 4-byte Folded Reload
	buffer_load_dword v70, off, s[20:23], 0 offset:196 ; 4-byte Folded Reload
	buffer_load_dword v71, off, s[20:23], 0 offset:200 ; 4-byte Folded Reload
	buffer_load_dword v72, off, s[20:23], 0 offset:204 ; 4-byte Folded Reload
	s_waitcnt vmcnt(0)
	ds_write2_b64 v125, v[69:70], v[71:72] offset0:26 offset1:27
	buffer_load_dword v69, off, s[20:23], 0 offset:176 ; 4-byte Folded Reload
	buffer_load_dword v70, off, s[20:23], 0 offset:180 ; 4-byte Folded Reload
	buffer_load_dword v71, off, s[20:23], 0 offset:184 ; 4-byte Folded Reload
	buffer_load_dword v72, off, s[20:23], 0 offset:188 ; 4-byte Folded Reload
	s_waitcnt vmcnt(0)
	ds_write2_b64 v125, v[69:70], v[71:72] offset0:28 offset1:29
	;; [unrolled: 6-line block ×10, first 2 shown]
	ds_write2_b64 v125, v[121:122], v[123:124] offset0:46 offset1:47
	ds_write2_b64 v125, v[117:118], v[119:120] offset0:48 offset1:49
	;; [unrolled: 1-line block ×5, first 2 shown]
	buffer_load_dword v77, off, s[20:23], 0 offset:32 ; 4-byte Folded Reload
	buffer_load_dword v78, off, s[20:23], 0 offset:36 ; 4-byte Folded Reload
	;; [unrolled: 1-line block ×4, first 2 shown]
	v_mov_b32_e32 v69, v73
	v_mov_b32_e32 v70, v74
	;; [unrolled: 1-line block ×4, first 2 shown]
	s_waitcnt vmcnt(0)
	ds_write2_b64 v125, v[77:78], v[79:80] offset0:56 offset1:57
	buffer_load_dword v73, off, s[20:23], 0 offset:16 ; 4-byte Folded Reload
	buffer_load_dword v74, off, s[20:23], 0 offset:20 ; 4-byte Folded Reload
	;; [unrolled: 1-line block ×4, first 2 shown]
	s_waitcnt vmcnt(0)
	ds_write2_b64 v125, v[73:74], v[75:76] offset0:58 offset1:59
	v_mov_b32_e32 v76, v72
	v_mov_b32_e32 v75, v71
	;; [unrolled: 1-line block ×4, first 2 shown]
	buffer_load_dword v69, off, s[20:23], 0 ; 4-byte Folded Reload
	buffer_load_dword v70, off, s[20:23], 0 offset:4 ; 4-byte Folded Reload
	buffer_load_dword v71, off, s[20:23], 0 offset:8 ; 4-byte Folded Reload
	;; [unrolled: 1-line block ×3, first 2 shown]
	s_waitcnt vmcnt(0)
	ds_write2_b64 v125, v[69:70], v[71:72] offset0:60 offset1:61
	ds_write2_b64 v125, v[65:66], v[67:68] offset0:62 offset1:63
	;; [unrolled: 1-line block ×19, first 2 shown]
	ds_read2_b64 v[97:100], v127 offset1:1
	s_waitcnt lgkmcnt(0)
	v_cmp_neq_f64_e32 vcc, 0, v[97:98]
	v_cmp_neq_f64_e64 s[2:3], 0, v[99:100]
	s_or_b64 s[2:3], vcc, s[2:3]
	s_and_b64 exec, exec, s[2:3]
	s_cbranch_execz .LBB97_116
; %bb.111:
	v_cmp_ngt_f64_e64 s[2:3], |v[97:98]|, |v[99:100]|
                                        ; implicit-def: $vgpr101_vgpr102
	s_and_saveexec_b64 s[6:7], s[2:3]
	s_xor_b64 s[2:3], exec, s[6:7]
                                        ; implicit-def: $vgpr103_vgpr104
	s_cbranch_execz .LBB97_113
; %bb.112:
	v_div_scale_f64 v[101:102], s[6:7], v[99:100], v[99:100], v[97:98]
	v_rcp_f64_e32 v[103:104], v[101:102]
	v_fma_f64 v[105:106], -v[101:102], v[103:104], 1.0
	v_fma_f64 v[103:104], v[103:104], v[105:106], v[103:104]
	v_div_scale_f64 v[105:106], vcc, v[97:98], v[99:100], v[97:98]
	v_fma_f64 v[107:108], -v[101:102], v[103:104], 1.0
	v_fma_f64 v[103:104], v[103:104], v[107:108], v[103:104]
	v_mul_f64 v[107:108], v[105:106], v[103:104]
	v_fma_f64 v[101:102], -v[101:102], v[107:108], v[105:106]
	v_div_fmas_f64 v[101:102], v[101:102], v[103:104], v[107:108]
	v_div_fixup_f64 v[101:102], v[101:102], v[99:100], v[97:98]
	v_fma_f64 v[97:98], v[97:98], v[101:102], v[99:100]
	v_div_scale_f64 v[99:100], s[6:7], v[97:98], v[97:98], 1.0
	v_div_scale_f64 v[107:108], vcc, 1.0, v[97:98], 1.0
	v_rcp_f64_e32 v[103:104], v[99:100]
	v_fma_f64 v[105:106], -v[99:100], v[103:104], 1.0
	v_fma_f64 v[103:104], v[103:104], v[105:106], v[103:104]
	v_fma_f64 v[105:106], -v[99:100], v[103:104], 1.0
	v_fma_f64 v[103:104], v[103:104], v[105:106], v[103:104]
	v_mul_f64 v[105:106], v[107:108], v[103:104]
	v_fma_f64 v[99:100], -v[99:100], v[105:106], v[107:108]
	v_div_fmas_f64 v[99:100], v[99:100], v[103:104], v[105:106]
	v_div_fixup_f64 v[103:104], v[99:100], v[97:98], 1.0
                                        ; implicit-def: $vgpr97_vgpr98
	v_mul_f64 v[101:102], v[101:102], v[103:104]
	v_xor_b32_e32 v104, 0x80000000, v104
.LBB97_113:
	s_andn2_saveexec_b64 s[2:3], s[2:3]
	s_cbranch_execz .LBB97_115
; %bb.114:
	v_div_scale_f64 v[101:102], s[6:7], v[97:98], v[97:98], v[99:100]
	v_rcp_f64_e32 v[103:104], v[101:102]
	v_fma_f64 v[105:106], -v[101:102], v[103:104], 1.0
	v_fma_f64 v[103:104], v[103:104], v[105:106], v[103:104]
	v_div_scale_f64 v[105:106], vcc, v[99:100], v[97:98], v[99:100]
	v_fma_f64 v[107:108], -v[101:102], v[103:104], 1.0
	v_fma_f64 v[103:104], v[103:104], v[107:108], v[103:104]
	v_mul_f64 v[107:108], v[105:106], v[103:104]
	v_fma_f64 v[101:102], -v[101:102], v[107:108], v[105:106]
	v_div_fmas_f64 v[101:102], v[101:102], v[103:104], v[107:108]
	v_div_fixup_f64 v[103:104], v[101:102], v[97:98], v[99:100]
	v_fma_f64 v[97:98], v[99:100], v[103:104], v[97:98]
	v_div_scale_f64 v[99:100], s[6:7], v[97:98], v[97:98], 1.0
	v_div_scale_f64 v[107:108], vcc, 1.0, v[97:98], 1.0
	v_rcp_f64_e32 v[101:102], v[99:100]
	v_fma_f64 v[105:106], -v[99:100], v[101:102], 1.0
	v_fma_f64 v[101:102], v[101:102], v[105:106], v[101:102]
	v_fma_f64 v[105:106], -v[99:100], v[101:102], 1.0
	v_fma_f64 v[101:102], v[101:102], v[105:106], v[101:102]
	v_mul_f64 v[105:106], v[107:108], v[101:102]
	v_fma_f64 v[99:100], -v[99:100], v[105:106], v[107:108]
	v_div_fmas_f64 v[99:100], v[99:100], v[101:102], v[105:106]
	v_div_fixup_f64 v[101:102], v[99:100], v[97:98], 1.0
	v_mul_f64 v[103:104], v[103:104], -v[101:102]
.LBB97_115:
	s_or_b64 exec, exec, s[2:3]
	ds_write2_b64 v127, v[101:102], v[103:104] offset1:1
.LBB97_116:
	s_or_b64 exec, exec, s[4:5]
	s_waitcnt lgkmcnt(0)
	s_barrier
	ds_read2_b64 v[69:72], v127 offset1:1
	v_cmp_lt_u32_e32 vcc, 12, v0
	s_waitcnt lgkmcnt(0)
	buffer_store_dword v69, off, s[20:23], 0 offset:992 ; 4-byte Folded Spill
	s_nop 0
	buffer_store_dword v70, off, s[20:23], 0 offset:996 ; 4-byte Folded Spill
	buffer_store_dword v71, off, s[20:23], 0 offset:1000 ; 4-byte Folded Spill
	;; [unrolled: 1-line block ×3, first 2 shown]
	s_and_saveexec_b64 s[2:3], vcc
	s_cbranch_execz .LBB97_118
; %bb.117:
	buffer_load_dword v103, off, s[20:23], 0 offset:208 ; 4-byte Folded Reload
	buffer_load_dword v104, off, s[20:23], 0 offset:212 ; 4-byte Folded Reload
	;; [unrolled: 1-line block ×8, first 2 shown]
	s_waitcnt vmcnt(2)
	v_mul_f64 v[99:100], v[69:70], v[105:106]
	s_waitcnt vmcnt(0)
	v_mul_f64 v[97:98], v[71:72], v[105:106]
	v_fma_f64 v[105:106], v[71:72], v[103:104], v[99:100]
	ds_read2_b64 v[99:102], v125 offset0:26 offset1:27
	v_fma_f64 v[97:98], v[69:70], v[103:104], -v[97:98]
	buffer_load_dword v69, off, s[20:23], 0 offset:192 ; 4-byte Folded Reload
	buffer_load_dword v70, off, s[20:23], 0 offset:196 ; 4-byte Folded Reload
	buffer_load_dword v71, off, s[20:23], 0 offset:200 ; 4-byte Folded Reload
	buffer_load_dword v72, off, s[20:23], 0 offset:204 ; 4-byte Folded Reload
	s_waitcnt lgkmcnt(0)
	v_mul_f64 v[103:104], v[101:102], v[105:106]
	v_fma_f64 v[103:104], v[99:100], v[97:98], -v[103:104]
	v_mul_f64 v[99:100], v[99:100], v[105:106]
	v_fma_f64 v[99:100], v[101:102], v[97:98], v[99:100]
	s_waitcnt vmcnt(2)
	v_add_f64 v[69:70], v[69:70], -v[103:104]
	s_waitcnt vmcnt(0)
	v_add_f64 v[71:72], v[71:72], -v[99:100]
	buffer_store_dword v69, off, s[20:23], 0 offset:192 ; 4-byte Folded Spill
	s_nop 0
	buffer_store_dword v70, off, s[20:23], 0 offset:196 ; 4-byte Folded Spill
	buffer_store_dword v71, off, s[20:23], 0 offset:200 ; 4-byte Folded Spill
	buffer_store_dword v72, off, s[20:23], 0 offset:204 ; 4-byte Folded Spill
	ds_read2_b64 v[99:102], v125 offset0:28 offset1:29
	buffer_load_dword v69, off, s[20:23], 0 offset:176 ; 4-byte Folded Reload
	buffer_load_dword v70, off, s[20:23], 0 offset:180 ; 4-byte Folded Reload
	buffer_load_dword v71, off, s[20:23], 0 offset:184 ; 4-byte Folded Reload
	buffer_load_dword v72, off, s[20:23], 0 offset:188 ; 4-byte Folded Reload
	s_waitcnt lgkmcnt(0)
	v_mul_f64 v[103:104], v[101:102], v[105:106]
	v_fma_f64 v[103:104], v[99:100], v[97:98], -v[103:104]
	v_mul_f64 v[99:100], v[99:100], v[105:106]
	v_fma_f64 v[99:100], v[101:102], v[97:98], v[99:100]
	s_waitcnt vmcnt(2)
	v_add_f64 v[69:70], v[69:70], -v[103:104]
	s_waitcnt vmcnt(0)
	v_add_f64 v[71:72], v[71:72], -v[99:100]
	buffer_store_dword v69, off, s[20:23], 0 offset:176 ; 4-byte Folded Spill
	s_nop 0
	buffer_store_dword v70, off, s[20:23], 0 offset:180 ; 4-byte Folded Spill
	buffer_store_dword v71, off, s[20:23], 0 offset:184 ; 4-byte Folded Spill
	buffer_store_dword v72, off, s[20:23], 0 offset:188 ; 4-byte Folded Spill
	ds_read2_b64 v[99:102], v125 offset0:30 offset1:31
	;; [unrolled: 19-line block ×10, first 2 shown]
	v_mov_b32_e32 v69, v73
	v_mov_b32_e32 v70, v74
	;; [unrolled: 1-line block ×4, first 2 shown]
	s_waitcnt lgkmcnt(0)
	v_mul_f64 v[103:104], v[101:102], v[105:106]
	v_fma_f64 v[103:104], v[99:100], v[97:98], -v[103:104]
	v_mul_f64 v[99:100], v[99:100], v[105:106]
	v_add_f64 v[121:122], v[121:122], -v[103:104]
	v_fma_f64 v[99:100], v[101:102], v[97:98], v[99:100]
	v_add_f64 v[123:124], v[123:124], -v[99:100]
	ds_read2_b64 v[99:102], v125 offset0:48 offset1:49
	s_waitcnt lgkmcnt(0)
	v_mul_f64 v[103:104], v[101:102], v[105:106]
	v_fma_f64 v[103:104], v[99:100], v[97:98], -v[103:104]
	v_mul_f64 v[99:100], v[99:100], v[105:106]
	v_add_f64 v[117:118], v[117:118], -v[103:104]
	v_fma_f64 v[99:100], v[101:102], v[97:98], v[99:100]
	v_add_f64 v[119:120], v[119:120], -v[99:100]
	ds_read2_b64 v[99:102], v125 offset0:50 offset1:51
	;; [unrolled: 8-line block ×5, first 2 shown]
	buffer_load_dword v77, off, s[20:23], 0 offset:32 ; 4-byte Folded Reload
	buffer_load_dword v78, off, s[20:23], 0 offset:36 ; 4-byte Folded Reload
	;; [unrolled: 1-line block ×4, first 2 shown]
	s_waitcnt lgkmcnt(0)
	v_mul_f64 v[103:104], v[101:102], v[105:106]
	v_fma_f64 v[103:104], v[99:100], v[97:98], -v[103:104]
	v_mul_f64 v[99:100], v[99:100], v[105:106]
	v_fma_f64 v[99:100], v[101:102], v[97:98], v[99:100]
	s_waitcnt vmcnt(2)
	v_add_f64 v[77:78], v[77:78], -v[103:104]
	s_waitcnt vmcnt(0)
	v_add_f64 v[79:80], v[79:80], -v[99:100]
	buffer_store_dword v77, off, s[20:23], 0 offset:32 ; 4-byte Folded Spill
	s_nop 0
	buffer_store_dword v78, off, s[20:23], 0 offset:36 ; 4-byte Folded Spill
	buffer_store_dword v79, off, s[20:23], 0 offset:40 ; 4-byte Folded Spill
	;; [unrolled: 1-line block ×3, first 2 shown]
	ds_read2_b64 v[99:102], v125 offset0:58 offset1:59
	buffer_load_dword v73, off, s[20:23], 0 offset:16 ; 4-byte Folded Reload
	buffer_load_dword v74, off, s[20:23], 0 offset:20 ; 4-byte Folded Reload
	;; [unrolled: 1-line block ×4, first 2 shown]
	s_waitcnt lgkmcnt(0)
	v_mul_f64 v[103:104], v[101:102], v[105:106]
	v_fma_f64 v[103:104], v[99:100], v[97:98], -v[103:104]
	v_mul_f64 v[99:100], v[99:100], v[105:106]
	v_fma_f64 v[99:100], v[101:102], v[97:98], v[99:100]
	s_waitcnt vmcnt(2)
	v_add_f64 v[73:74], v[73:74], -v[103:104]
	s_waitcnt vmcnt(0)
	v_add_f64 v[75:76], v[75:76], -v[99:100]
	buffer_store_dword v73, off, s[20:23], 0 offset:16 ; 4-byte Folded Spill
	s_nop 0
	buffer_store_dword v74, off, s[20:23], 0 offset:20 ; 4-byte Folded Spill
	buffer_store_dword v75, off, s[20:23], 0 offset:24 ; 4-byte Folded Spill
	;; [unrolled: 1-line block ×3, first 2 shown]
	v_mov_b32_e32 v76, v72
	v_mov_b32_e32 v75, v71
	;; [unrolled: 1-line block ×4, first 2 shown]
	ds_read2_b64 v[99:102], v125 offset0:60 offset1:61
	buffer_load_dword v69, off, s[20:23], 0 ; 4-byte Folded Reload
	buffer_load_dword v70, off, s[20:23], 0 offset:4 ; 4-byte Folded Reload
	buffer_load_dword v71, off, s[20:23], 0 offset:8 ; 4-byte Folded Reload
	;; [unrolled: 1-line block ×3, first 2 shown]
	s_waitcnt lgkmcnt(0)
	v_mul_f64 v[103:104], v[101:102], v[105:106]
	v_fma_f64 v[103:104], v[99:100], v[97:98], -v[103:104]
	v_mul_f64 v[99:100], v[99:100], v[105:106]
	v_fma_f64 v[99:100], v[101:102], v[97:98], v[99:100]
	s_waitcnt vmcnt(2)
	v_add_f64 v[69:70], v[69:70], -v[103:104]
	s_waitcnt vmcnt(0)
	v_add_f64 v[71:72], v[71:72], -v[99:100]
	buffer_store_dword v69, off, s[20:23], 0 ; 4-byte Folded Spill
	s_nop 0
	buffer_store_dword v70, off, s[20:23], 0 offset:4 ; 4-byte Folded Spill
	buffer_store_dword v71, off, s[20:23], 0 offset:8 ; 4-byte Folded Spill
	;; [unrolled: 1-line block ×3, first 2 shown]
	ds_read2_b64 v[99:102], v125 offset0:62 offset1:63
	s_waitcnt lgkmcnt(0)
	v_mul_f64 v[103:104], v[101:102], v[105:106]
	v_fma_f64 v[103:104], v[99:100], v[97:98], -v[103:104]
	v_mul_f64 v[99:100], v[99:100], v[105:106]
	v_add_f64 v[65:66], v[65:66], -v[103:104]
	v_fma_f64 v[99:100], v[101:102], v[97:98], v[99:100]
	v_add_f64 v[67:68], v[67:68], -v[99:100]
	ds_read2_b64 v[99:102], v125 offset0:64 offset1:65
	s_waitcnt lgkmcnt(0)
	v_mul_f64 v[103:104], v[101:102], v[105:106]
	v_fma_f64 v[103:104], v[99:100], v[97:98], -v[103:104]
	v_mul_f64 v[99:100], v[99:100], v[105:106]
	v_add_f64 v[61:62], v[61:62], -v[103:104]
	v_fma_f64 v[99:100], v[101:102], v[97:98], v[99:100]
	v_add_f64 v[63:64], v[63:64], -v[99:100]
	;; [unrolled: 8-line block ×17, first 2 shown]
	ds_read2_b64 v[99:102], v125 offset0:96 offset1:97
	s_waitcnt lgkmcnt(0)
	v_mul_f64 v[103:104], v[101:102], v[105:106]
	v_fma_f64 v[103:104], v[99:100], v[97:98], -v[103:104]
	v_mul_f64 v[99:100], v[99:100], v[105:106]
	v_add_f64 v[73:74], v[73:74], -v[103:104]
	v_fma_f64 v[99:100], v[101:102], v[97:98], v[99:100]
	v_mov_b32_e32 v104, v98
	v_mov_b32_e32 v103, v97
	buffer_store_dword v103, off, s[20:23], 0 offset:208 ; 4-byte Folded Spill
	s_nop 0
	buffer_store_dword v104, off, s[20:23], 0 offset:212 ; 4-byte Folded Spill
	buffer_store_dword v105, off, s[20:23], 0 offset:216 ; 4-byte Folded Spill
	;; [unrolled: 1-line block ×3, first 2 shown]
	v_add_f64 v[75:76], v[75:76], -v[99:100]
.LBB97_118:
	s_or_b64 exec, exec, s[2:3]
	v_cmp_eq_u32_e32 vcc, 13, v0
	s_waitcnt vmcnt(0)
	s_barrier
	s_and_saveexec_b64 s[4:5], vcc
	s_cbranch_execz .LBB97_125
; %bb.119:
	buffer_load_dword v69, off, s[20:23], 0 offset:192 ; 4-byte Folded Reload
	buffer_load_dword v70, off, s[20:23], 0 offset:196 ; 4-byte Folded Reload
	;; [unrolled: 1-line block ×4, first 2 shown]
	s_waitcnt vmcnt(0)
	ds_write2_b64 v127, v[69:70], v[71:72] offset1:1
	buffer_load_dword v69, off, s[20:23], 0 offset:176 ; 4-byte Folded Reload
	buffer_load_dword v70, off, s[20:23], 0 offset:180 ; 4-byte Folded Reload
	buffer_load_dword v71, off, s[20:23], 0 offset:184 ; 4-byte Folded Reload
	buffer_load_dword v72, off, s[20:23], 0 offset:188 ; 4-byte Folded Reload
	s_waitcnt vmcnt(0)
	ds_write2_b64 v125, v[69:70], v[71:72] offset0:28 offset1:29
	buffer_load_dword v69, off, s[20:23], 0 offset:160 ; 4-byte Folded Reload
	buffer_load_dword v70, off, s[20:23], 0 offset:164 ; 4-byte Folded Reload
	buffer_load_dword v71, off, s[20:23], 0 offset:168 ; 4-byte Folded Reload
	buffer_load_dword v72, off, s[20:23], 0 offset:172 ; 4-byte Folded Reload
	s_waitcnt vmcnt(0)
	ds_write2_b64 v125, v[69:70], v[71:72] offset0:30 offset1:31
	;; [unrolled: 6-line block ×9, first 2 shown]
	ds_write2_b64 v125, v[121:122], v[123:124] offset0:46 offset1:47
	ds_write2_b64 v125, v[117:118], v[119:120] offset0:48 offset1:49
	;; [unrolled: 1-line block ×5, first 2 shown]
	buffer_load_dword v77, off, s[20:23], 0 offset:32 ; 4-byte Folded Reload
	buffer_load_dword v78, off, s[20:23], 0 offset:36 ; 4-byte Folded Reload
	;; [unrolled: 1-line block ×4, first 2 shown]
	v_mov_b32_e32 v69, v73
	v_mov_b32_e32 v70, v74
	;; [unrolled: 1-line block ×4, first 2 shown]
	s_waitcnt vmcnt(0)
	ds_write2_b64 v125, v[77:78], v[79:80] offset0:56 offset1:57
	buffer_load_dword v73, off, s[20:23], 0 offset:16 ; 4-byte Folded Reload
	buffer_load_dword v74, off, s[20:23], 0 offset:20 ; 4-byte Folded Reload
	;; [unrolled: 1-line block ×4, first 2 shown]
	s_waitcnt vmcnt(0)
	ds_write2_b64 v125, v[73:74], v[75:76] offset0:58 offset1:59
	v_mov_b32_e32 v76, v72
	v_mov_b32_e32 v75, v71
	v_mov_b32_e32 v74, v70
	v_mov_b32_e32 v73, v69
	buffer_load_dword v69, off, s[20:23], 0 ; 4-byte Folded Reload
	buffer_load_dword v70, off, s[20:23], 0 offset:4 ; 4-byte Folded Reload
	buffer_load_dword v71, off, s[20:23], 0 offset:8 ; 4-byte Folded Reload
	;; [unrolled: 1-line block ×3, first 2 shown]
	s_waitcnt vmcnt(0)
	ds_write2_b64 v125, v[69:70], v[71:72] offset0:60 offset1:61
	ds_write2_b64 v125, v[65:66], v[67:68] offset0:62 offset1:63
	;; [unrolled: 1-line block ×19, first 2 shown]
	ds_read2_b64 v[97:100], v127 offset1:1
	s_waitcnt lgkmcnt(0)
	v_cmp_neq_f64_e32 vcc, 0, v[97:98]
	v_cmp_neq_f64_e64 s[2:3], 0, v[99:100]
	s_or_b64 s[2:3], vcc, s[2:3]
	s_and_b64 exec, exec, s[2:3]
	s_cbranch_execz .LBB97_125
; %bb.120:
	v_cmp_ngt_f64_e64 s[2:3], |v[97:98]|, |v[99:100]|
                                        ; implicit-def: $vgpr101_vgpr102
	s_and_saveexec_b64 s[6:7], s[2:3]
	s_xor_b64 s[2:3], exec, s[6:7]
                                        ; implicit-def: $vgpr103_vgpr104
	s_cbranch_execz .LBB97_122
; %bb.121:
	v_div_scale_f64 v[101:102], s[6:7], v[99:100], v[99:100], v[97:98]
	v_rcp_f64_e32 v[103:104], v[101:102]
	v_fma_f64 v[105:106], -v[101:102], v[103:104], 1.0
	v_fma_f64 v[103:104], v[103:104], v[105:106], v[103:104]
	v_div_scale_f64 v[105:106], vcc, v[97:98], v[99:100], v[97:98]
	v_fma_f64 v[107:108], -v[101:102], v[103:104], 1.0
	v_fma_f64 v[103:104], v[103:104], v[107:108], v[103:104]
	v_mul_f64 v[107:108], v[105:106], v[103:104]
	v_fma_f64 v[101:102], -v[101:102], v[107:108], v[105:106]
	v_div_fmas_f64 v[101:102], v[101:102], v[103:104], v[107:108]
	v_div_fixup_f64 v[101:102], v[101:102], v[99:100], v[97:98]
	v_fma_f64 v[97:98], v[97:98], v[101:102], v[99:100]
	v_div_scale_f64 v[99:100], s[6:7], v[97:98], v[97:98], 1.0
	v_div_scale_f64 v[107:108], vcc, 1.0, v[97:98], 1.0
	v_rcp_f64_e32 v[103:104], v[99:100]
	v_fma_f64 v[105:106], -v[99:100], v[103:104], 1.0
	v_fma_f64 v[103:104], v[103:104], v[105:106], v[103:104]
	v_fma_f64 v[105:106], -v[99:100], v[103:104], 1.0
	v_fma_f64 v[103:104], v[103:104], v[105:106], v[103:104]
	v_mul_f64 v[105:106], v[107:108], v[103:104]
	v_fma_f64 v[99:100], -v[99:100], v[105:106], v[107:108]
	v_div_fmas_f64 v[99:100], v[99:100], v[103:104], v[105:106]
	v_div_fixup_f64 v[103:104], v[99:100], v[97:98], 1.0
                                        ; implicit-def: $vgpr97_vgpr98
	v_mul_f64 v[101:102], v[101:102], v[103:104]
	v_xor_b32_e32 v104, 0x80000000, v104
.LBB97_122:
	s_andn2_saveexec_b64 s[2:3], s[2:3]
	s_cbranch_execz .LBB97_124
; %bb.123:
	v_div_scale_f64 v[101:102], s[6:7], v[97:98], v[97:98], v[99:100]
	v_rcp_f64_e32 v[103:104], v[101:102]
	v_fma_f64 v[105:106], -v[101:102], v[103:104], 1.0
	v_fma_f64 v[103:104], v[103:104], v[105:106], v[103:104]
	v_div_scale_f64 v[105:106], vcc, v[99:100], v[97:98], v[99:100]
	v_fma_f64 v[107:108], -v[101:102], v[103:104], 1.0
	v_fma_f64 v[103:104], v[103:104], v[107:108], v[103:104]
	v_mul_f64 v[107:108], v[105:106], v[103:104]
	v_fma_f64 v[101:102], -v[101:102], v[107:108], v[105:106]
	v_div_fmas_f64 v[101:102], v[101:102], v[103:104], v[107:108]
	v_div_fixup_f64 v[103:104], v[101:102], v[97:98], v[99:100]
	v_fma_f64 v[97:98], v[99:100], v[103:104], v[97:98]
	v_div_scale_f64 v[99:100], s[6:7], v[97:98], v[97:98], 1.0
	v_div_scale_f64 v[107:108], vcc, 1.0, v[97:98], 1.0
	v_rcp_f64_e32 v[101:102], v[99:100]
	v_fma_f64 v[105:106], -v[99:100], v[101:102], 1.0
	v_fma_f64 v[101:102], v[101:102], v[105:106], v[101:102]
	v_fma_f64 v[105:106], -v[99:100], v[101:102], 1.0
	v_fma_f64 v[101:102], v[101:102], v[105:106], v[101:102]
	v_mul_f64 v[105:106], v[107:108], v[101:102]
	v_fma_f64 v[99:100], -v[99:100], v[105:106], v[107:108]
	v_div_fmas_f64 v[99:100], v[99:100], v[101:102], v[105:106]
	v_div_fixup_f64 v[101:102], v[99:100], v[97:98], 1.0
	v_mul_f64 v[103:104], v[103:104], -v[101:102]
.LBB97_124:
	s_or_b64 exec, exec, s[2:3]
	ds_write2_b64 v127, v[101:102], v[103:104] offset1:1
.LBB97_125:
	s_or_b64 exec, exec, s[4:5]
	s_waitcnt lgkmcnt(0)
	s_barrier
	ds_read2_b64 v[69:72], v127 offset1:1
	v_cmp_lt_u32_e32 vcc, 13, v0
	s_waitcnt lgkmcnt(0)
	buffer_store_dword v69, off, s[20:23], 0 offset:1008 ; 4-byte Folded Spill
	s_nop 0
	buffer_store_dword v70, off, s[20:23], 0 offset:1012 ; 4-byte Folded Spill
	buffer_store_dword v71, off, s[20:23], 0 offset:1016 ; 4-byte Folded Spill
	;; [unrolled: 1-line block ×3, first 2 shown]
	s_and_saveexec_b64 s[2:3], vcc
	s_cbranch_execz .LBB97_127
; %bb.126:
	buffer_load_dword v103, off, s[20:23], 0 offset:192 ; 4-byte Folded Reload
	buffer_load_dword v104, off, s[20:23], 0 offset:196 ; 4-byte Folded Reload
	;; [unrolled: 1-line block ×8, first 2 shown]
	s_waitcnt vmcnt(2)
	v_mul_f64 v[99:100], v[69:70], v[105:106]
	s_waitcnt vmcnt(0)
	v_mul_f64 v[97:98], v[71:72], v[105:106]
	v_fma_f64 v[105:106], v[71:72], v[103:104], v[99:100]
	ds_read2_b64 v[99:102], v125 offset0:28 offset1:29
	v_fma_f64 v[97:98], v[69:70], v[103:104], -v[97:98]
	buffer_load_dword v69, off, s[20:23], 0 offset:176 ; 4-byte Folded Reload
	buffer_load_dword v70, off, s[20:23], 0 offset:180 ; 4-byte Folded Reload
	buffer_load_dword v71, off, s[20:23], 0 offset:184 ; 4-byte Folded Reload
	buffer_load_dword v72, off, s[20:23], 0 offset:188 ; 4-byte Folded Reload
	s_waitcnt lgkmcnt(0)
	v_mul_f64 v[103:104], v[101:102], v[105:106]
	v_fma_f64 v[103:104], v[99:100], v[97:98], -v[103:104]
	v_mul_f64 v[99:100], v[99:100], v[105:106]
	v_fma_f64 v[99:100], v[101:102], v[97:98], v[99:100]
	s_waitcnt vmcnt(2)
	v_add_f64 v[69:70], v[69:70], -v[103:104]
	s_waitcnt vmcnt(0)
	v_add_f64 v[71:72], v[71:72], -v[99:100]
	buffer_store_dword v69, off, s[20:23], 0 offset:176 ; 4-byte Folded Spill
	s_nop 0
	buffer_store_dword v70, off, s[20:23], 0 offset:180 ; 4-byte Folded Spill
	buffer_store_dword v71, off, s[20:23], 0 offset:184 ; 4-byte Folded Spill
	buffer_store_dword v72, off, s[20:23], 0 offset:188 ; 4-byte Folded Spill
	ds_read2_b64 v[99:102], v125 offset0:30 offset1:31
	buffer_load_dword v69, off, s[20:23], 0 offset:160 ; 4-byte Folded Reload
	buffer_load_dword v70, off, s[20:23], 0 offset:164 ; 4-byte Folded Reload
	buffer_load_dword v71, off, s[20:23], 0 offset:168 ; 4-byte Folded Reload
	buffer_load_dword v72, off, s[20:23], 0 offset:172 ; 4-byte Folded Reload
	s_waitcnt lgkmcnt(0)
	v_mul_f64 v[103:104], v[101:102], v[105:106]
	v_fma_f64 v[103:104], v[99:100], v[97:98], -v[103:104]
	v_mul_f64 v[99:100], v[99:100], v[105:106]
	v_fma_f64 v[99:100], v[101:102], v[97:98], v[99:100]
	s_waitcnt vmcnt(2)
	v_add_f64 v[69:70], v[69:70], -v[103:104]
	s_waitcnt vmcnt(0)
	v_add_f64 v[71:72], v[71:72], -v[99:100]
	buffer_store_dword v69, off, s[20:23], 0 offset:160 ; 4-byte Folded Spill
	s_nop 0
	buffer_store_dword v70, off, s[20:23], 0 offset:164 ; 4-byte Folded Spill
	buffer_store_dword v71, off, s[20:23], 0 offset:168 ; 4-byte Folded Spill
	buffer_store_dword v72, off, s[20:23], 0 offset:172 ; 4-byte Folded Spill
	ds_read2_b64 v[99:102], v125 offset0:32 offset1:33
	;; [unrolled: 19-line block ×9, first 2 shown]
	v_mov_b32_e32 v69, v73
	v_mov_b32_e32 v70, v74
	;; [unrolled: 1-line block ×4, first 2 shown]
	s_waitcnt lgkmcnt(0)
	v_mul_f64 v[103:104], v[101:102], v[105:106]
	v_fma_f64 v[103:104], v[99:100], v[97:98], -v[103:104]
	v_mul_f64 v[99:100], v[99:100], v[105:106]
	v_add_f64 v[121:122], v[121:122], -v[103:104]
	v_fma_f64 v[99:100], v[101:102], v[97:98], v[99:100]
	v_add_f64 v[123:124], v[123:124], -v[99:100]
	ds_read2_b64 v[99:102], v125 offset0:48 offset1:49
	s_waitcnt lgkmcnt(0)
	v_mul_f64 v[103:104], v[101:102], v[105:106]
	v_fma_f64 v[103:104], v[99:100], v[97:98], -v[103:104]
	v_mul_f64 v[99:100], v[99:100], v[105:106]
	v_add_f64 v[117:118], v[117:118], -v[103:104]
	v_fma_f64 v[99:100], v[101:102], v[97:98], v[99:100]
	v_add_f64 v[119:120], v[119:120], -v[99:100]
	ds_read2_b64 v[99:102], v125 offset0:50 offset1:51
	;; [unrolled: 8-line block ×5, first 2 shown]
	buffer_load_dword v77, off, s[20:23], 0 offset:32 ; 4-byte Folded Reload
	buffer_load_dword v78, off, s[20:23], 0 offset:36 ; 4-byte Folded Reload
	;; [unrolled: 1-line block ×4, first 2 shown]
	s_waitcnt lgkmcnt(0)
	v_mul_f64 v[103:104], v[101:102], v[105:106]
	v_fma_f64 v[103:104], v[99:100], v[97:98], -v[103:104]
	v_mul_f64 v[99:100], v[99:100], v[105:106]
	v_fma_f64 v[99:100], v[101:102], v[97:98], v[99:100]
	s_waitcnt vmcnt(2)
	v_add_f64 v[77:78], v[77:78], -v[103:104]
	s_waitcnt vmcnt(0)
	v_add_f64 v[79:80], v[79:80], -v[99:100]
	buffer_store_dword v77, off, s[20:23], 0 offset:32 ; 4-byte Folded Spill
	s_nop 0
	buffer_store_dword v78, off, s[20:23], 0 offset:36 ; 4-byte Folded Spill
	buffer_store_dword v79, off, s[20:23], 0 offset:40 ; 4-byte Folded Spill
	;; [unrolled: 1-line block ×3, first 2 shown]
	ds_read2_b64 v[99:102], v125 offset0:58 offset1:59
	buffer_load_dword v73, off, s[20:23], 0 offset:16 ; 4-byte Folded Reload
	buffer_load_dword v74, off, s[20:23], 0 offset:20 ; 4-byte Folded Reload
	buffer_load_dword v75, off, s[20:23], 0 offset:24 ; 4-byte Folded Reload
	buffer_load_dword v76, off, s[20:23], 0 offset:28 ; 4-byte Folded Reload
	s_waitcnt lgkmcnt(0)
	v_mul_f64 v[103:104], v[101:102], v[105:106]
	v_fma_f64 v[103:104], v[99:100], v[97:98], -v[103:104]
	v_mul_f64 v[99:100], v[99:100], v[105:106]
	v_fma_f64 v[99:100], v[101:102], v[97:98], v[99:100]
	s_waitcnt vmcnt(2)
	v_add_f64 v[73:74], v[73:74], -v[103:104]
	s_waitcnt vmcnt(0)
	v_add_f64 v[75:76], v[75:76], -v[99:100]
	buffer_store_dword v73, off, s[20:23], 0 offset:16 ; 4-byte Folded Spill
	s_nop 0
	buffer_store_dword v74, off, s[20:23], 0 offset:20 ; 4-byte Folded Spill
	buffer_store_dword v75, off, s[20:23], 0 offset:24 ; 4-byte Folded Spill
	;; [unrolled: 1-line block ×3, first 2 shown]
	v_mov_b32_e32 v76, v72
	v_mov_b32_e32 v75, v71
	;; [unrolled: 1-line block ×4, first 2 shown]
	ds_read2_b64 v[99:102], v125 offset0:60 offset1:61
	buffer_load_dword v69, off, s[20:23], 0 ; 4-byte Folded Reload
	buffer_load_dword v70, off, s[20:23], 0 offset:4 ; 4-byte Folded Reload
	buffer_load_dword v71, off, s[20:23], 0 offset:8 ; 4-byte Folded Reload
	;; [unrolled: 1-line block ×3, first 2 shown]
	s_waitcnt lgkmcnt(0)
	v_mul_f64 v[103:104], v[101:102], v[105:106]
	v_fma_f64 v[103:104], v[99:100], v[97:98], -v[103:104]
	v_mul_f64 v[99:100], v[99:100], v[105:106]
	v_fma_f64 v[99:100], v[101:102], v[97:98], v[99:100]
	s_waitcnt vmcnt(2)
	v_add_f64 v[69:70], v[69:70], -v[103:104]
	s_waitcnt vmcnt(0)
	v_add_f64 v[71:72], v[71:72], -v[99:100]
	buffer_store_dword v69, off, s[20:23], 0 ; 4-byte Folded Spill
	s_nop 0
	buffer_store_dword v70, off, s[20:23], 0 offset:4 ; 4-byte Folded Spill
	buffer_store_dword v71, off, s[20:23], 0 offset:8 ; 4-byte Folded Spill
	;; [unrolled: 1-line block ×3, first 2 shown]
	ds_read2_b64 v[99:102], v125 offset0:62 offset1:63
	s_waitcnt lgkmcnt(0)
	v_mul_f64 v[103:104], v[101:102], v[105:106]
	v_fma_f64 v[103:104], v[99:100], v[97:98], -v[103:104]
	v_mul_f64 v[99:100], v[99:100], v[105:106]
	v_add_f64 v[65:66], v[65:66], -v[103:104]
	v_fma_f64 v[99:100], v[101:102], v[97:98], v[99:100]
	v_add_f64 v[67:68], v[67:68], -v[99:100]
	ds_read2_b64 v[99:102], v125 offset0:64 offset1:65
	s_waitcnt lgkmcnt(0)
	v_mul_f64 v[103:104], v[101:102], v[105:106]
	v_fma_f64 v[103:104], v[99:100], v[97:98], -v[103:104]
	v_mul_f64 v[99:100], v[99:100], v[105:106]
	v_add_f64 v[61:62], v[61:62], -v[103:104]
	v_fma_f64 v[99:100], v[101:102], v[97:98], v[99:100]
	v_add_f64 v[63:64], v[63:64], -v[99:100]
	;; [unrolled: 8-line block ×17, first 2 shown]
	ds_read2_b64 v[99:102], v125 offset0:96 offset1:97
	s_waitcnt lgkmcnt(0)
	v_mul_f64 v[103:104], v[101:102], v[105:106]
	v_fma_f64 v[103:104], v[99:100], v[97:98], -v[103:104]
	v_mul_f64 v[99:100], v[99:100], v[105:106]
	v_add_f64 v[73:74], v[73:74], -v[103:104]
	v_fma_f64 v[99:100], v[101:102], v[97:98], v[99:100]
	v_mov_b32_e32 v104, v98
	v_mov_b32_e32 v103, v97
	buffer_store_dword v103, off, s[20:23], 0 offset:192 ; 4-byte Folded Spill
	s_nop 0
	buffer_store_dword v104, off, s[20:23], 0 offset:196 ; 4-byte Folded Spill
	buffer_store_dword v105, off, s[20:23], 0 offset:200 ; 4-byte Folded Spill
	;; [unrolled: 1-line block ×3, first 2 shown]
	v_add_f64 v[75:76], v[75:76], -v[99:100]
.LBB97_127:
	s_or_b64 exec, exec, s[2:3]
	v_cmp_eq_u32_e32 vcc, 14, v0
	s_waitcnt vmcnt(0)
	s_barrier
	s_and_saveexec_b64 s[4:5], vcc
	s_cbranch_execz .LBB97_134
; %bb.128:
	buffer_load_dword v69, off, s[20:23], 0 offset:176 ; 4-byte Folded Reload
	buffer_load_dword v70, off, s[20:23], 0 offset:180 ; 4-byte Folded Reload
	;; [unrolled: 1-line block ×4, first 2 shown]
	s_waitcnt vmcnt(0)
	ds_write2_b64 v127, v[69:70], v[71:72] offset1:1
	buffer_load_dword v69, off, s[20:23], 0 offset:160 ; 4-byte Folded Reload
	buffer_load_dword v70, off, s[20:23], 0 offset:164 ; 4-byte Folded Reload
	buffer_load_dword v71, off, s[20:23], 0 offset:168 ; 4-byte Folded Reload
	buffer_load_dword v72, off, s[20:23], 0 offset:172 ; 4-byte Folded Reload
	s_waitcnt vmcnt(0)
	ds_write2_b64 v125, v[69:70], v[71:72] offset0:30 offset1:31
	buffer_load_dword v69, off, s[20:23], 0 offset:144 ; 4-byte Folded Reload
	buffer_load_dword v70, off, s[20:23], 0 offset:148 ; 4-byte Folded Reload
	buffer_load_dword v71, off, s[20:23], 0 offset:152 ; 4-byte Folded Reload
	buffer_load_dword v72, off, s[20:23], 0 offset:156 ; 4-byte Folded Reload
	s_waitcnt vmcnt(0)
	ds_write2_b64 v125, v[69:70], v[71:72] offset0:32 offset1:33
	;; [unrolled: 6-line block ×8, first 2 shown]
	ds_write2_b64 v125, v[121:122], v[123:124] offset0:46 offset1:47
	ds_write2_b64 v125, v[117:118], v[119:120] offset0:48 offset1:49
	;; [unrolled: 1-line block ×5, first 2 shown]
	buffer_load_dword v77, off, s[20:23], 0 offset:32 ; 4-byte Folded Reload
	buffer_load_dword v78, off, s[20:23], 0 offset:36 ; 4-byte Folded Reload
	;; [unrolled: 1-line block ×4, first 2 shown]
	v_mov_b32_e32 v69, v73
	v_mov_b32_e32 v70, v74
	;; [unrolled: 1-line block ×4, first 2 shown]
	s_waitcnt vmcnt(0)
	ds_write2_b64 v125, v[77:78], v[79:80] offset0:56 offset1:57
	buffer_load_dword v73, off, s[20:23], 0 offset:16 ; 4-byte Folded Reload
	buffer_load_dword v74, off, s[20:23], 0 offset:20 ; 4-byte Folded Reload
	;; [unrolled: 1-line block ×4, first 2 shown]
	s_waitcnt vmcnt(0)
	ds_write2_b64 v125, v[73:74], v[75:76] offset0:58 offset1:59
	v_mov_b32_e32 v76, v72
	v_mov_b32_e32 v75, v71
	;; [unrolled: 1-line block ×4, first 2 shown]
	buffer_load_dword v69, off, s[20:23], 0 ; 4-byte Folded Reload
	buffer_load_dword v70, off, s[20:23], 0 offset:4 ; 4-byte Folded Reload
	buffer_load_dword v71, off, s[20:23], 0 offset:8 ; 4-byte Folded Reload
	;; [unrolled: 1-line block ×3, first 2 shown]
	s_waitcnt vmcnt(0)
	ds_write2_b64 v125, v[69:70], v[71:72] offset0:60 offset1:61
	ds_write2_b64 v125, v[65:66], v[67:68] offset0:62 offset1:63
	;; [unrolled: 1-line block ×19, first 2 shown]
	ds_read2_b64 v[97:100], v127 offset1:1
	s_waitcnt lgkmcnt(0)
	v_cmp_neq_f64_e32 vcc, 0, v[97:98]
	v_cmp_neq_f64_e64 s[2:3], 0, v[99:100]
	s_or_b64 s[2:3], vcc, s[2:3]
	s_and_b64 exec, exec, s[2:3]
	s_cbranch_execz .LBB97_134
; %bb.129:
	v_cmp_ngt_f64_e64 s[2:3], |v[97:98]|, |v[99:100]|
                                        ; implicit-def: $vgpr101_vgpr102
	s_and_saveexec_b64 s[6:7], s[2:3]
	s_xor_b64 s[2:3], exec, s[6:7]
                                        ; implicit-def: $vgpr103_vgpr104
	s_cbranch_execz .LBB97_131
; %bb.130:
	v_div_scale_f64 v[101:102], s[6:7], v[99:100], v[99:100], v[97:98]
	v_rcp_f64_e32 v[103:104], v[101:102]
	v_fma_f64 v[105:106], -v[101:102], v[103:104], 1.0
	v_fma_f64 v[103:104], v[103:104], v[105:106], v[103:104]
	v_div_scale_f64 v[105:106], vcc, v[97:98], v[99:100], v[97:98]
	v_fma_f64 v[107:108], -v[101:102], v[103:104], 1.0
	v_fma_f64 v[103:104], v[103:104], v[107:108], v[103:104]
	v_mul_f64 v[107:108], v[105:106], v[103:104]
	v_fma_f64 v[101:102], -v[101:102], v[107:108], v[105:106]
	v_div_fmas_f64 v[101:102], v[101:102], v[103:104], v[107:108]
	v_div_fixup_f64 v[101:102], v[101:102], v[99:100], v[97:98]
	v_fma_f64 v[97:98], v[97:98], v[101:102], v[99:100]
	v_div_scale_f64 v[99:100], s[6:7], v[97:98], v[97:98], 1.0
	v_div_scale_f64 v[107:108], vcc, 1.0, v[97:98], 1.0
	v_rcp_f64_e32 v[103:104], v[99:100]
	v_fma_f64 v[105:106], -v[99:100], v[103:104], 1.0
	v_fma_f64 v[103:104], v[103:104], v[105:106], v[103:104]
	v_fma_f64 v[105:106], -v[99:100], v[103:104], 1.0
	v_fma_f64 v[103:104], v[103:104], v[105:106], v[103:104]
	v_mul_f64 v[105:106], v[107:108], v[103:104]
	v_fma_f64 v[99:100], -v[99:100], v[105:106], v[107:108]
	v_div_fmas_f64 v[99:100], v[99:100], v[103:104], v[105:106]
	v_div_fixup_f64 v[103:104], v[99:100], v[97:98], 1.0
                                        ; implicit-def: $vgpr97_vgpr98
	v_mul_f64 v[101:102], v[101:102], v[103:104]
	v_xor_b32_e32 v104, 0x80000000, v104
.LBB97_131:
	s_andn2_saveexec_b64 s[2:3], s[2:3]
	s_cbranch_execz .LBB97_133
; %bb.132:
	v_div_scale_f64 v[101:102], s[6:7], v[97:98], v[97:98], v[99:100]
	v_rcp_f64_e32 v[103:104], v[101:102]
	v_fma_f64 v[105:106], -v[101:102], v[103:104], 1.0
	v_fma_f64 v[103:104], v[103:104], v[105:106], v[103:104]
	v_div_scale_f64 v[105:106], vcc, v[99:100], v[97:98], v[99:100]
	v_fma_f64 v[107:108], -v[101:102], v[103:104], 1.0
	v_fma_f64 v[103:104], v[103:104], v[107:108], v[103:104]
	v_mul_f64 v[107:108], v[105:106], v[103:104]
	v_fma_f64 v[101:102], -v[101:102], v[107:108], v[105:106]
	v_div_fmas_f64 v[101:102], v[101:102], v[103:104], v[107:108]
	v_div_fixup_f64 v[103:104], v[101:102], v[97:98], v[99:100]
	v_fma_f64 v[97:98], v[99:100], v[103:104], v[97:98]
	v_div_scale_f64 v[99:100], s[6:7], v[97:98], v[97:98], 1.0
	v_div_scale_f64 v[107:108], vcc, 1.0, v[97:98], 1.0
	v_rcp_f64_e32 v[101:102], v[99:100]
	v_fma_f64 v[105:106], -v[99:100], v[101:102], 1.0
	v_fma_f64 v[101:102], v[101:102], v[105:106], v[101:102]
	v_fma_f64 v[105:106], -v[99:100], v[101:102], 1.0
	v_fma_f64 v[101:102], v[101:102], v[105:106], v[101:102]
	v_mul_f64 v[105:106], v[107:108], v[101:102]
	v_fma_f64 v[99:100], -v[99:100], v[105:106], v[107:108]
	v_div_fmas_f64 v[99:100], v[99:100], v[101:102], v[105:106]
	v_div_fixup_f64 v[101:102], v[99:100], v[97:98], 1.0
	v_mul_f64 v[103:104], v[103:104], -v[101:102]
.LBB97_133:
	s_or_b64 exec, exec, s[2:3]
	ds_write2_b64 v127, v[101:102], v[103:104] offset1:1
.LBB97_134:
	s_or_b64 exec, exec, s[4:5]
	s_waitcnt lgkmcnt(0)
	s_barrier
	ds_read2_b64 v[69:72], v127 offset1:1
	v_cmp_lt_u32_e32 vcc, 14, v0
	s_waitcnt lgkmcnt(0)
	buffer_store_dword v69, off, s[20:23], 0 offset:1024 ; 4-byte Folded Spill
	s_nop 0
	buffer_store_dword v70, off, s[20:23], 0 offset:1028 ; 4-byte Folded Spill
	buffer_store_dword v71, off, s[20:23], 0 offset:1032 ; 4-byte Folded Spill
	;; [unrolled: 1-line block ×3, first 2 shown]
	s_and_saveexec_b64 s[2:3], vcc
	s_cbranch_execz .LBB97_136
; %bb.135:
	buffer_load_dword v103, off, s[20:23], 0 offset:176 ; 4-byte Folded Reload
	buffer_load_dword v104, off, s[20:23], 0 offset:180 ; 4-byte Folded Reload
	;; [unrolled: 1-line block ×8, first 2 shown]
	s_waitcnt vmcnt(2)
	v_mul_f64 v[99:100], v[69:70], v[105:106]
	s_waitcnt vmcnt(0)
	v_mul_f64 v[97:98], v[71:72], v[105:106]
	v_fma_f64 v[105:106], v[71:72], v[103:104], v[99:100]
	ds_read2_b64 v[99:102], v125 offset0:30 offset1:31
	v_fma_f64 v[97:98], v[69:70], v[103:104], -v[97:98]
	buffer_load_dword v69, off, s[20:23], 0 offset:160 ; 4-byte Folded Reload
	buffer_load_dword v70, off, s[20:23], 0 offset:164 ; 4-byte Folded Reload
	buffer_load_dword v71, off, s[20:23], 0 offset:168 ; 4-byte Folded Reload
	buffer_load_dword v72, off, s[20:23], 0 offset:172 ; 4-byte Folded Reload
	s_waitcnt lgkmcnt(0)
	v_mul_f64 v[103:104], v[101:102], v[105:106]
	v_fma_f64 v[103:104], v[99:100], v[97:98], -v[103:104]
	v_mul_f64 v[99:100], v[99:100], v[105:106]
	v_fma_f64 v[99:100], v[101:102], v[97:98], v[99:100]
	s_waitcnt vmcnt(2)
	v_add_f64 v[69:70], v[69:70], -v[103:104]
	s_waitcnt vmcnt(0)
	v_add_f64 v[71:72], v[71:72], -v[99:100]
	buffer_store_dword v69, off, s[20:23], 0 offset:160 ; 4-byte Folded Spill
	s_nop 0
	buffer_store_dword v70, off, s[20:23], 0 offset:164 ; 4-byte Folded Spill
	buffer_store_dword v71, off, s[20:23], 0 offset:168 ; 4-byte Folded Spill
	buffer_store_dword v72, off, s[20:23], 0 offset:172 ; 4-byte Folded Spill
	ds_read2_b64 v[99:102], v125 offset0:32 offset1:33
	buffer_load_dword v69, off, s[20:23], 0 offset:144 ; 4-byte Folded Reload
	buffer_load_dword v70, off, s[20:23], 0 offset:148 ; 4-byte Folded Reload
	buffer_load_dword v71, off, s[20:23], 0 offset:152 ; 4-byte Folded Reload
	buffer_load_dword v72, off, s[20:23], 0 offset:156 ; 4-byte Folded Reload
	s_waitcnt lgkmcnt(0)
	v_mul_f64 v[103:104], v[101:102], v[105:106]
	v_fma_f64 v[103:104], v[99:100], v[97:98], -v[103:104]
	v_mul_f64 v[99:100], v[99:100], v[105:106]
	v_fma_f64 v[99:100], v[101:102], v[97:98], v[99:100]
	s_waitcnt vmcnt(2)
	v_add_f64 v[69:70], v[69:70], -v[103:104]
	s_waitcnt vmcnt(0)
	v_add_f64 v[71:72], v[71:72], -v[99:100]
	buffer_store_dword v69, off, s[20:23], 0 offset:144 ; 4-byte Folded Spill
	s_nop 0
	buffer_store_dword v70, off, s[20:23], 0 offset:148 ; 4-byte Folded Spill
	buffer_store_dword v71, off, s[20:23], 0 offset:152 ; 4-byte Folded Spill
	buffer_store_dword v72, off, s[20:23], 0 offset:156 ; 4-byte Folded Spill
	ds_read2_b64 v[99:102], v125 offset0:34 offset1:35
	;; [unrolled: 19-line block ×8, first 2 shown]
	v_mov_b32_e32 v69, v73
	v_mov_b32_e32 v70, v74
	;; [unrolled: 1-line block ×4, first 2 shown]
	s_waitcnt lgkmcnt(0)
	v_mul_f64 v[103:104], v[101:102], v[105:106]
	v_fma_f64 v[103:104], v[99:100], v[97:98], -v[103:104]
	v_mul_f64 v[99:100], v[99:100], v[105:106]
	v_add_f64 v[121:122], v[121:122], -v[103:104]
	v_fma_f64 v[99:100], v[101:102], v[97:98], v[99:100]
	v_add_f64 v[123:124], v[123:124], -v[99:100]
	ds_read2_b64 v[99:102], v125 offset0:48 offset1:49
	s_waitcnt lgkmcnt(0)
	v_mul_f64 v[103:104], v[101:102], v[105:106]
	v_fma_f64 v[103:104], v[99:100], v[97:98], -v[103:104]
	v_mul_f64 v[99:100], v[99:100], v[105:106]
	v_add_f64 v[117:118], v[117:118], -v[103:104]
	v_fma_f64 v[99:100], v[101:102], v[97:98], v[99:100]
	v_add_f64 v[119:120], v[119:120], -v[99:100]
	ds_read2_b64 v[99:102], v125 offset0:50 offset1:51
	;; [unrolled: 8-line block ×5, first 2 shown]
	buffer_load_dword v77, off, s[20:23], 0 offset:32 ; 4-byte Folded Reload
	buffer_load_dword v78, off, s[20:23], 0 offset:36 ; 4-byte Folded Reload
	;; [unrolled: 1-line block ×4, first 2 shown]
	s_waitcnt lgkmcnt(0)
	v_mul_f64 v[103:104], v[101:102], v[105:106]
	v_fma_f64 v[103:104], v[99:100], v[97:98], -v[103:104]
	v_mul_f64 v[99:100], v[99:100], v[105:106]
	v_fma_f64 v[99:100], v[101:102], v[97:98], v[99:100]
	s_waitcnt vmcnt(2)
	v_add_f64 v[77:78], v[77:78], -v[103:104]
	s_waitcnt vmcnt(0)
	v_add_f64 v[79:80], v[79:80], -v[99:100]
	buffer_store_dword v77, off, s[20:23], 0 offset:32 ; 4-byte Folded Spill
	s_nop 0
	buffer_store_dword v78, off, s[20:23], 0 offset:36 ; 4-byte Folded Spill
	buffer_store_dword v79, off, s[20:23], 0 offset:40 ; 4-byte Folded Spill
	;; [unrolled: 1-line block ×3, first 2 shown]
	ds_read2_b64 v[99:102], v125 offset0:58 offset1:59
	buffer_load_dword v73, off, s[20:23], 0 offset:16 ; 4-byte Folded Reload
	buffer_load_dword v74, off, s[20:23], 0 offset:20 ; 4-byte Folded Reload
	;; [unrolled: 1-line block ×4, first 2 shown]
	s_waitcnt lgkmcnt(0)
	v_mul_f64 v[103:104], v[101:102], v[105:106]
	v_fma_f64 v[103:104], v[99:100], v[97:98], -v[103:104]
	v_mul_f64 v[99:100], v[99:100], v[105:106]
	v_fma_f64 v[99:100], v[101:102], v[97:98], v[99:100]
	s_waitcnt vmcnt(2)
	v_add_f64 v[73:74], v[73:74], -v[103:104]
	s_waitcnt vmcnt(0)
	v_add_f64 v[75:76], v[75:76], -v[99:100]
	buffer_store_dword v73, off, s[20:23], 0 offset:16 ; 4-byte Folded Spill
	s_nop 0
	buffer_store_dword v74, off, s[20:23], 0 offset:20 ; 4-byte Folded Spill
	buffer_store_dword v75, off, s[20:23], 0 offset:24 ; 4-byte Folded Spill
	;; [unrolled: 1-line block ×3, first 2 shown]
	v_mov_b32_e32 v76, v72
	v_mov_b32_e32 v75, v71
	v_mov_b32_e32 v74, v70
	v_mov_b32_e32 v73, v69
	ds_read2_b64 v[99:102], v125 offset0:60 offset1:61
	buffer_load_dword v69, off, s[20:23], 0 ; 4-byte Folded Reload
	buffer_load_dword v70, off, s[20:23], 0 offset:4 ; 4-byte Folded Reload
	buffer_load_dword v71, off, s[20:23], 0 offset:8 ; 4-byte Folded Reload
	;; [unrolled: 1-line block ×3, first 2 shown]
	s_waitcnt lgkmcnt(0)
	v_mul_f64 v[103:104], v[101:102], v[105:106]
	v_fma_f64 v[103:104], v[99:100], v[97:98], -v[103:104]
	v_mul_f64 v[99:100], v[99:100], v[105:106]
	v_fma_f64 v[99:100], v[101:102], v[97:98], v[99:100]
	s_waitcnt vmcnt(2)
	v_add_f64 v[69:70], v[69:70], -v[103:104]
	s_waitcnt vmcnt(0)
	v_add_f64 v[71:72], v[71:72], -v[99:100]
	buffer_store_dword v69, off, s[20:23], 0 ; 4-byte Folded Spill
	s_nop 0
	buffer_store_dword v70, off, s[20:23], 0 offset:4 ; 4-byte Folded Spill
	buffer_store_dword v71, off, s[20:23], 0 offset:8 ; 4-byte Folded Spill
	;; [unrolled: 1-line block ×3, first 2 shown]
	ds_read2_b64 v[99:102], v125 offset0:62 offset1:63
	s_waitcnt lgkmcnt(0)
	v_mul_f64 v[103:104], v[101:102], v[105:106]
	v_fma_f64 v[103:104], v[99:100], v[97:98], -v[103:104]
	v_mul_f64 v[99:100], v[99:100], v[105:106]
	v_add_f64 v[65:66], v[65:66], -v[103:104]
	v_fma_f64 v[99:100], v[101:102], v[97:98], v[99:100]
	v_add_f64 v[67:68], v[67:68], -v[99:100]
	ds_read2_b64 v[99:102], v125 offset0:64 offset1:65
	s_waitcnt lgkmcnt(0)
	v_mul_f64 v[103:104], v[101:102], v[105:106]
	v_fma_f64 v[103:104], v[99:100], v[97:98], -v[103:104]
	v_mul_f64 v[99:100], v[99:100], v[105:106]
	v_add_f64 v[61:62], v[61:62], -v[103:104]
	v_fma_f64 v[99:100], v[101:102], v[97:98], v[99:100]
	v_add_f64 v[63:64], v[63:64], -v[99:100]
	;; [unrolled: 8-line block ×17, first 2 shown]
	ds_read2_b64 v[99:102], v125 offset0:96 offset1:97
	s_waitcnt lgkmcnt(0)
	v_mul_f64 v[103:104], v[101:102], v[105:106]
	v_fma_f64 v[103:104], v[99:100], v[97:98], -v[103:104]
	v_mul_f64 v[99:100], v[99:100], v[105:106]
	v_add_f64 v[73:74], v[73:74], -v[103:104]
	v_fma_f64 v[99:100], v[101:102], v[97:98], v[99:100]
	v_mov_b32_e32 v104, v98
	v_mov_b32_e32 v103, v97
	buffer_store_dword v103, off, s[20:23], 0 offset:176 ; 4-byte Folded Spill
	s_nop 0
	buffer_store_dword v104, off, s[20:23], 0 offset:180 ; 4-byte Folded Spill
	buffer_store_dword v105, off, s[20:23], 0 offset:184 ; 4-byte Folded Spill
	;; [unrolled: 1-line block ×3, first 2 shown]
	v_add_f64 v[75:76], v[75:76], -v[99:100]
.LBB97_136:
	s_or_b64 exec, exec, s[2:3]
	v_cmp_eq_u32_e32 vcc, 15, v0
	s_waitcnt vmcnt(0)
	s_barrier
	s_and_saveexec_b64 s[4:5], vcc
	s_cbranch_execz .LBB97_143
; %bb.137:
	buffer_load_dword v69, off, s[20:23], 0 offset:160 ; 4-byte Folded Reload
	buffer_load_dword v70, off, s[20:23], 0 offset:164 ; 4-byte Folded Reload
	;; [unrolled: 1-line block ×4, first 2 shown]
	s_waitcnt vmcnt(0)
	ds_write2_b64 v127, v[69:70], v[71:72] offset1:1
	buffer_load_dword v69, off, s[20:23], 0 offset:144 ; 4-byte Folded Reload
	buffer_load_dword v70, off, s[20:23], 0 offset:148 ; 4-byte Folded Reload
	buffer_load_dword v71, off, s[20:23], 0 offset:152 ; 4-byte Folded Reload
	buffer_load_dword v72, off, s[20:23], 0 offset:156 ; 4-byte Folded Reload
	s_waitcnt vmcnt(0)
	ds_write2_b64 v125, v[69:70], v[71:72] offset0:32 offset1:33
	buffer_load_dword v69, off, s[20:23], 0 offset:128 ; 4-byte Folded Reload
	buffer_load_dword v70, off, s[20:23], 0 offset:132 ; 4-byte Folded Reload
	buffer_load_dword v71, off, s[20:23], 0 offset:136 ; 4-byte Folded Reload
	buffer_load_dword v72, off, s[20:23], 0 offset:140 ; 4-byte Folded Reload
	s_waitcnt vmcnt(0)
	ds_write2_b64 v125, v[69:70], v[71:72] offset0:34 offset1:35
	;; [unrolled: 6-line block ×7, first 2 shown]
	ds_write2_b64 v125, v[121:122], v[123:124] offset0:46 offset1:47
	ds_write2_b64 v125, v[117:118], v[119:120] offset0:48 offset1:49
	;; [unrolled: 1-line block ×5, first 2 shown]
	buffer_load_dword v77, off, s[20:23], 0 offset:32 ; 4-byte Folded Reload
	buffer_load_dword v78, off, s[20:23], 0 offset:36 ; 4-byte Folded Reload
	;; [unrolled: 1-line block ×4, first 2 shown]
	v_mov_b32_e32 v69, v73
	v_mov_b32_e32 v70, v74
	;; [unrolled: 1-line block ×4, first 2 shown]
	s_waitcnt vmcnt(0)
	ds_write2_b64 v125, v[77:78], v[79:80] offset0:56 offset1:57
	buffer_load_dword v73, off, s[20:23], 0 offset:16 ; 4-byte Folded Reload
	buffer_load_dword v74, off, s[20:23], 0 offset:20 ; 4-byte Folded Reload
	;; [unrolled: 1-line block ×4, first 2 shown]
	s_waitcnt vmcnt(0)
	ds_write2_b64 v125, v[73:74], v[75:76] offset0:58 offset1:59
	v_mov_b32_e32 v76, v72
	v_mov_b32_e32 v75, v71
	;; [unrolled: 1-line block ×4, first 2 shown]
	buffer_load_dword v69, off, s[20:23], 0 ; 4-byte Folded Reload
	buffer_load_dword v70, off, s[20:23], 0 offset:4 ; 4-byte Folded Reload
	buffer_load_dword v71, off, s[20:23], 0 offset:8 ; 4-byte Folded Reload
	;; [unrolled: 1-line block ×3, first 2 shown]
	s_waitcnt vmcnt(0)
	ds_write2_b64 v125, v[69:70], v[71:72] offset0:60 offset1:61
	ds_write2_b64 v125, v[65:66], v[67:68] offset0:62 offset1:63
	;; [unrolled: 1-line block ×19, first 2 shown]
	ds_read2_b64 v[97:100], v127 offset1:1
	s_waitcnt lgkmcnt(0)
	v_cmp_neq_f64_e32 vcc, 0, v[97:98]
	v_cmp_neq_f64_e64 s[2:3], 0, v[99:100]
	s_or_b64 s[2:3], vcc, s[2:3]
	s_and_b64 exec, exec, s[2:3]
	s_cbranch_execz .LBB97_143
; %bb.138:
	v_cmp_ngt_f64_e64 s[2:3], |v[97:98]|, |v[99:100]|
                                        ; implicit-def: $vgpr101_vgpr102
	s_and_saveexec_b64 s[6:7], s[2:3]
	s_xor_b64 s[2:3], exec, s[6:7]
                                        ; implicit-def: $vgpr103_vgpr104
	s_cbranch_execz .LBB97_140
; %bb.139:
	v_div_scale_f64 v[101:102], s[6:7], v[99:100], v[99:100], v[97:98]
	v_rcp_f64_e32 v[103:104], v[101:102]
	v_fma_f64 v[105:106], -v[101:102], v[103:104], 1.0
	v_fma_f64 v[103:104], v[103:104], v[105:106], v[103:104]
	v_div_scale_f64 v[105:106], vcc, v[97:98], v[99:100], v[97:98]
	v_fma_f64 v[107:108], -v[101:102], v[103:104], 1.0
	v_fma_f64 v[103:104], v[103:104], v[107:108], v[103:104]
	v_mul_f64 v[107:108], v[105:106], v[103:104]
	v_fma_f64 v[101:102], -v[101:102], v[107:108], v[105:106]
	v_div_fmas_f64 v[101:102], v[101:102], v[103:104], v[107:108]
	v_div_fixup_f64 v[101:102], v[101:102], v[99:100], v[97:98]
	v_fma_f64 v[97:98], v[97:98], v[101:102], v[99:100]
	v_div_scale_f64 v[99:100], s[6:7], v[97:98], v[97:98], 1.0
	v_div_scale_f64 v[107:108], vcc, 1.0, v[97:98], 1.0
	v_rcp_f64_e32 v[103:104], v[99:100]
	v_fma_f64 v[105:106], -v[99:100], v[103:104], 1.0
	v_fma_f64 v[103:104], v[103:104], v[105:106], v[103:104]
	v_fma_f64 v[105:106], -v[99:100], v[103:104], 1.0
	v_fma_f64 v[103:104], v[103:104], v[105:106], v[103:104]
	v_mul_f64 v[105:106], v[107:108], v[103:104]
	v_fma_f64 v[99:100], -v[99:100], v[105:106], v[107:108]
	v_div_fmas_f64 v[99:100], v[99:100], v[103:104], v[105:106]
	v_div_fixup_f64 v[103:104], v[99:100], v[97:98], 1.0
                                        ; implicit-def: $vgpr97_vgpr98
	v_mul_f64 v[101:102], v[101:102], v[103:104]
	v_xor_b32_e32 v104, 0x80000000, v104
.LBB97_140:
	s_andn2_saveexec_b64 s[2:3], s[2:3]
	s_cbranch_execz .LBB97_142
; %bb.141:
	v_div_scale_f64 v[101:102], s[6:7], v[97:98], v[97:98], v[99:100]
	v_rcp_f64_e32 v[103:104], v[101:102]
	v_fma_f64 v[105:106], -v[101:102], v[103:104], 1.0
	v_fma_f64 v[103:104], v[103:104], v[105:106], v[103:104]
	v_div_scale_f64 v[105:106], vcc, v[99:100], v[97:98], v[99:100]
	v_fma_f64 v[107:108], -v[101:102], v[103:104], 1.0
	v_fma_f64 v[103:104], v[103:104], v[107:108], v[103:104]
	v_mul_f64 v[107:108], v[105:106], v[103:104]
	v_fma_f64 v[101:102], -v[101:102], v[107:108], v[105:106]
	v_div_fmas_f64 v[101:102], v[101:102], v[103:104], v[107:108]
	v_div_fixup_f64 v[103:104], v[101:102], v[97:98], v[99:100]
	v_fma_f64 v[97:98], v[99:100], v[103:104], v[97:98]
	v_div_scale_f64 v[99:100], s[6:7], v[97:98], v[97:98], 1.0
	v_div_scale_f64 v[107:108], vcc, 1.0, v[97:98], 1.0
	v_rcp_f64_e32 v[101:102], v[99:100]
	v_fma_f64 v[105:106], -v[99:100], v[101:102], 1.0
	v_fma_f64 v[101:102], v[101:102], v[105:106], v[101:102]
	v_fma_f64 v[105:106], -v[99:100], v[101:102], 1.0
	v_fma_f64 v[101:102], v[101:102], v[105:106], v[101:102]
	v_mul_f64 v[105:106], v[107:108], v[101:102]
	v_fma_f64 v[99:100], -v[99:100], v[105:106], v[107:108]
	v_div_fmas_f64 v[99:100], v[99:100], v[101:102], v[105:106]
	v_div_fixup_f64 v[101:102], v[99:100], v[97:98], 1.0
	v_mul_f64 v[103:104], v[103:104], -v[101:102]
.LBB97_142:
	s_or_b64 exec, exec, s[2:3]
	ds_write2_b64 v127, v[101:102], v[103:104] offset1:1
.LBB97_143:
	s_or_b64 exec, exec, s[4:5]
	s_waitcnt lgkmcnt(0)
	s_barrier
	ds_read2_b64 v[69:72], v127 offset1:1
	v_cmp_lt_u32_e32 vcc, 15, v0
	s_waitcnt lgkmcnt(0)
	buffer_store_dword v69, off, s[20:23], 0 offset:1040 ; 4-byte Folded Spill
	s_nop 0
	buffer_store_dword v70, off, s[20:23], 0 offset:1044 ; 4-byte Folded Spill
	buffer_store_dword v71, off, s[20:23], 0 offset:1048 ; 4-byte Folded Spill
	;; [unrolled: 1-line block ×3, first 2 shown]
	s_and_saveexec_b64 s[2:3], vcc
	s_cbranch_execz .LBB97_145
; %bb.144:
	buffer_load_dword v103, off, s[20:23], 0 offset:160 ; 4-byte Folded Reload
	buffer_load_dword v104, off, s[20:23], 0 offset:164 ; 4-byte Folded Reload
	;; [unrolled: 1-line block ×8, first 2 shown]
	s_waitcnt vmcnt(2)
	v_mul_f64 v[99:100], v[69:70], v[105:106]
	s_waitcnt vmcnt(0)
	v_mul_f64 v[97:98], v[71:72], v[105:106]
	v_fma_f64 v[105:106], v[71:72], v[103:104], v[99:100]
	ds_read2_b64 v[99:102], v125 offset0:32 offset1:33
	v_fma_f64 v[97:98], v[69:70], v[103:104], -v[97:98]
	buffer_load_dword v69, off, s[20:23], 0 offset:144 ; 4-byte Folded Reload
	buffer_load_dword v70, off, s[20:23], 0 offset:148 ; 4-byte Folded Reload
	buffer_load_dword v71, off, s[20:23], 0 offset:152 ; 4-byte Folded Reload
	buffer_load_dword v72, off, s[20:23], 0 offset:156 ; 4-byte Folded Reload
	s_waitcnt lgkmcnt(0)
	v_mul_f64 v[103:104], v[101:102], v[105:106]
	v_fma_f64 v[103:104], v[99:100], v[97:98], -v[103:104]
	v_mul_f64 v[99:100], v[99:100], v[105:106]
	v_fma_f64 v[99:100], v[101:102], v[97:98], v[99:100]
	s_waitcnt vmcnt(2)
	v_add_f64 v[69:70], v[69:70], -v[103:104]
	s_waitcnt vmcnt(0)
	v_add_f64 v[71:72], v[71:72], -v[99:100]
	buffer_store_dword v69, off, s[20:23], 0 offset:144 ; 4-byte Folded Spill
	s_nop 0
	buffer_store_dword v70, off, s[20:23], 0 offset:148 ; 4-byte Folded Spill
	buffer_store_dword v71, off, s[20:23], 0 offset:152 ; 4-byte Folded Spill
	buffer_store_dword v72, off, s[20:23], 0 offset:156 ; 4-byte Folded Spill
	ds_read2_b64 v[99:102], v125 offset0:34 offset1:35
	buffer_load_dword v69, off, s[20:23], 0 offset:128 ; 4-byte Folded Reload
	buffer_load_dword v70, off, s[20:23], 0 offset:132 ; 4-byte Folded Reload
	buffer_load_dword v71, off, s[20:23], 0 offset:136 ; 4-byte Folded Reload
	buffer_load_dword v72, off, s[20:23], 0 offset:140 ; 4-byte Folded Reload
	s_waitcnt lgkmcnt(0)
	v_mul_f64 v[103:104], v[101:102], v[105:106]
	v_fma_f64 v[103:104], v[99:100], v[97:98], -v[103:104]
	v_mul_f64 v[99:100], v[99:100], v[105:106]
	v_fma_f64 v[99:100], v[101:102], v[97:98], v[99:100]
	s_waitcnt vmcnt(2)
	v_add_f64 v[69:70], v[69:70], -v[103:104]
	s_waitcnt vmcnt(0)
	v_add_f64 v[71:72], v[71:72], -v[99:100]
	buffer_store_dword v69, off, s[20:23], 0 offset:128 ; 4-byte Folded Spill
	s_nop 0
	buffer_store_dword v70, off, s[20:23], 0 offset:132 ; 4-byte Folded Spill
	buffer_store_dword v71, off, s[20:23], 0 offset:136 ; 4-byte Folded Spill
	buffer_store_dword v72, off, s[20:23], 0 offset:140 ; 4-byte Folded Spill
	ds_read2_b64 v[99:102], v125 offset0:36 offset1:37
	;; [unrolled: 19-line block ×7, first 2 shown]
	v_mov_b32_e32 v69, v73
	v_mov_b32_e32 v70, v74
	;; [unrolled: 1-line block ×4, first 2 shown]
	s_waitcnt lgkmcnt(0)
	v_mul_f64 v[103:104], v[101:102], v[105:106]
	v_fma_f64 v[103:104], v[99:100], v[97:98], -v[103:104]
	v_mul_f64 v[99:100], v[99:100], v[105:106]
	v_add_f64 v[121:122], v[121:122], -v[103:104]
	v_fma_f64 v[99:100], v[101:102], v[97:98], v[99:100]
	v_add_f64 v[123:124], v[123:124], -v[99:100]
	ds_read2_b64 v[99:102], v125 offset0:48 offset1:49
	s_waitcnt lgkmcnt(0)
	v_mul_f64 v[103:104], v[101:102], v[105:106]
	v_fma_f64 v[103:104], v[99:100], v[97:98], -v[103:104]
	v_mul_f64 v[99:100], v[99:100], v[105:106]
	v_add_f64 v[117:118], v[117:118], -v[103:104]
	v_fma_f64 v[99:100], v[101:102], v[97:98], v[99:100]
	v_add_f64 v[119:120], v[119:120], -v[99:100]
	ds_read2_b64 v[99:102], v125 offset0:50 offset1:51
	;; [unrolled: 8-line block ×5, first 2 shown]
	buffer_load_dword v77, off, s[20:23], 0 offset:32 ; 4-byte Folded Reload
	buffer_load_dword v78, off, s[20:23], 0 offset:36 ; 4-byte Folded Reload
	;; [unrolled: 1-line block ×4, first 2 shown]
	s_waitcnt lgkmcnt(0)
	v_mul_f64 v[103:104], v[101:102], v[105:106]
	v_fma_f64 v[103:104], v[99:100], v[97:98], -v[103:104]
	v_mul_f64 v[99:100], v[99:100], v[105:106]
	v_fma_f64 v[99:100], v[101:102], v[97:98], v[99:100]
	s_waitcnt vmcnt(2)
	v_add_f64 v[77:78], v[77:78], -v[103:104]
	s_waitcnt vmcnt(0)
	v_add_f64 v[79:80], v[79:80], -v[99:100]
	buffer_store_dword v77, off, s[20:23], 0 offset:32 ; 4-byte Folded Spill
	s_nop 0
	buffer_store_dword v78, off, s[20:23], 0 offset:36 ; 4-byte Folded Spill
	buffer_store_dword v79, off, s[20:23], 0 offset:40 ; 4-byte Folded Spill
	;; [unrolled: 1-line block ×3, first 2 shown]
	ds_read2_b64 v[99:102], v125 offset0:58 offset1:59
	buffer_load_dword v73, off, s[20:23], 0 offset:16 ; 4-byte Folded Reload
	buffer_load_dword v74, off, s[20:23], 0 offset:20 ; 4-byte Folded Reload
	;; [unrolled: 1-line block ×4, first 2 shown]
	s_waitcnt lgkmcnt(0)
	v_mul_f64 v[103:104], v[101:102], v[105:106]
	v_fma_f64 v[103:104], v[99:100], v[97:98], -v[103:104]
	v_mul_f64 v[99:100], v[99:100], v[105:106]
	v_fma_f64 v[99:100], v[101:102], v[97:98], v[99:100]
	s_waitcnt vmcnt(2)
	v_add_f64 v[73:74], v[73:74], -v[103:104]
	s_waitcnt vmcnt(0)
	v_add_f64 v[75:76], v[75:76], -v[99:100]
	buffer_store_dword v73, off, s[20:23], 0 offset:16 ; 4-byte Folded Spill
	s_nop 0
	buffer_store_dword v74, off, s[20:23], 0 offset:20 ; 4-byte Folded Spill
	buffer_store_dword v75, off, s[20:23], 0 offset:24 ; 4-byte Folded Spill
	;; [unrolled: 1-line block ×3, first 2 shown]
	v_mov_b32_e32 v76, v72
	v_mov_b32_e32 v75, v71
	;; [unrolled: 1-line block ×4, first 2 shown]
	ds_read2_b64 v[99:102], v125 offset0:60 offset1:61
	buffer_load_dword v69, off, s[20:23], 0 ; 4-byte Folded Reload
	buffer_load_dword v70, off, s[20:23], 0 offset:4 ; 4-byte Folded Reload
	buffer_load_dword v71, off, s[20:23], 0 offset:8 ; 4-byte Folded Reload
	;; [unrolled: 1-line block ×3, first 2 shown]
	s_waitcnt lgkmcnt(0)
	v_mul_f64 v[103:104], v[101:102], v[105:106]
	v_fma_f64 v[103:104], v[99:100], v[97:98], -v[103:104]
	v_mul_f64 v[99:100], v[99:100], v[105:106]
	v_fma_f64 v[99:100], v[101:102], v[97:98], v[99:100]
	s_waitcnt vmcnt(2)
	v_add_f64 v[69:70], v[69:70], -v[103:104]
	s_waitcnt vmcnt(0)
	v_add_f64 v[71:72], v[71:72], -v[99:100]
	buffer_store_dword v69, off, s[20:23], 0 ; 4-byte Folded Spill
	s_nop 0
	buffer_store_dword v70, off, s[20:23], 0 offset:4 ; 4-byte Folded Spill
	buffer_store_dword v71, off, s[20:23], 0 offset:8 ; 4-byte Folded Spill
	;; [unrolled: 1-line block ×3, first 2 shown]
	ds_read2_b64 v[99:102], v125 offset0:62 offset1:63
	s_waitcnt lgkmcnt(0)
	v_mul_f64 v[103:104], v[101:102], v[105:106]
	v_fma_f64 v[103:104], v[99:100], v[97:98], -v[103:104]
	v_mul_f64 v[99:100], v[99:100], v[105:106]
	v_add_f64 v[65:66], v[65:66], -v[103:104]
	v_fma_f64 v[99:100], v[101:102], v[97:98], v[99:100]
	v_add_f64 v[67:68], v[67:68], -v[99:100]
	ds_read2_b64 v[99:102], v125 offset0:64 offset1:65
	s_waitcnt lgkmcnt(0)
	v_mul_f64 v[103:104], v[101:102], v[105:106]
	v_fma_f64 v[103:104], v[99:100], v[97:98], -v[103:104]
	v_mul_f64 v[99:100], v[99:100], v[105:106]
	v_add_f64 v[61:62], v[61:62], -v[103:104]
	v_fma_f64 v[99:100], v[101:102], v[97:98], v[99:100]
	v_add_f64 v[63:64], v[63:64], -v[99:100]
	ds_read2_b64 v[99:102], v125 offset0:66 offset1:67
	s_waitcnt lgkmcnt(0)
	v_mul_f64 v[103:104], v[101:102], v[105:106]
	v_fma_f64 v[103:104], v[99:100], v[97:98], -v[103:104]
	v_mul_f64 v[99:100], v[99:100], v[105:106]
	v_add_f64 v[57:58], v[57:58], -v[103:104]
	v_fma_f64 v[99:100], v[101:102], v[97:98], v[99:100]
	v_add_f64 v[59:60], v[59:60], -v[99:100]
	ds_read2_b64 v[99:102], v125 offset0:68 offset1:69
	s_waitcnt lgkmcnt(0)
	v_mul_f64 v[103:104], v[101:102], v[105:106]
	v_fma_f64 v[103:104], v[99:100], v[97:98], -v[103:104]
	v_mul_f64 v[99:100], v[99:100], v[105:106]
	v_add_f64 v[53:54], v[53:54], -v[103:104]
	v_fma_f64 v[99:100], v[101:102], v[97:98], v[99:100]
	v_add_f64 v[55:56], v[55:56], -v[99:100]
	ds_read2_b64 v[99:102], v125 offset0:70 offset1:71
	s_waitcnt lgkmcnt(0)
	v_mul_f64 v[103:104], v[101:102], v[105:106]
	v_fma_f64 v[103:104], v[99:100], v[97:98], -v[103:104]
	v_mul_f64 v[99:100], v[99:100], v[105:106]
	v_add_f64 v[49:50], v[49:50], -v[103:104]
	v_fma_f64 v[99:100], v[101:102], v[97:98], v[99:100]
	v_add_f64 v[51:52], v[51:52], -v[99:100]
	ds_read2_b64 v[99:102], v125 offset0:72 offset1:73
	s_waitcnt lgkmcnt(0)
	v_mul_f64 v[103:104], v[101:102], v[105:106]
	v_fma_f64 v[103:104], v[99:100], v[97:98], -v[103:104]
	v_mul_f64 v[99:100], v[99:100], v[105:106]
	v_add_f64 v[45:46], v[45:46], -v[103:104]
	v_fma_f64 v[99:100], v[101:102], v[97:98], v[99:100]
	v_add_f64 v[47:48], v[47:48], -v[99:100]
	ds_read2_b64 v[99:102], v125 offset0:74 offset1:75
	s_waitcnt lgkmcnt(0)
	v_mul_f64 v[103:104], v[101:102], v[105:106]
	v_fma_f64 v[103:104], v[99:100], v[97:98], -v[103:104]
	v_mul_f64 v[99:100], v[99:100], v[105:106]
	v_add_f64 v[41:42], v[41:42], -v[103:104]
	v_fma_f64 v[99:100], v[101:102], v[97:98], v[99:100]
	v_add_f64 v[43:44], v[43:44], -v[99:100]
	ds_read2_b64 v[99:102], v125 offset0:76 offset1:77
	s_waitcnt lgkmcnt(0)
	v_mul_f64 v[103:104], v[101:102], v[105:106]
	v_fma_f64 v[103:104], v[99:100], v[97:98], -v[103:104]
	v_mul_f64 v[99:100], v[99:100], v[105:106]
	v_add_f64 v[37:38], v[37:38], -v[103:104]
	v_fma_f64 v[99:100], v[101:102], v[97:98], v[99:100]
	v_add_f64 v[39:40], v[39:40], -v[99:100]
	ds_read2_b64 v[99:102], v125 offset0:78 offset1:79
	s_waitcnt lgkmcnt(0)
	v_mul_f64 v[103:104], v[101:102], v[105:106]
	v_fma_f64 v[103:104], v[99:100], v[97:98], -v[103:104]
	v_mul_f64 v[99:100], v[99:100], v[105:106]
	v_add_f64 v[33:34], v[33:34], -v[103:104]
	v_fma_f64 v[99:100], v[101:102], v[97:98], v[99:100]
	v_add_f64 v[35:36], v[35:36], -v[99:100]
	ds_read2_b64 v[99:102], v125 offset0:80 offset1:81
	s_waitcnt lgkmcnt(0)
	v_mul_f64 v[103:104], v[101:102], v[105:106]
	v_fma_f64 v[103:104], v[99:100], v[97:98], -v[103:104]
	v_mul_f64 v[99:100], v[99:100], v[105:106]
	v_add_f64 v[29:30], v[29:30], -v[103:104]
	v_fma_f64 v[99:100], v[101:102], v[97:98], v[99:100]
	v_add_f64 v[31:32], v[31:32], -v[99:100]
	ds_read2_b64 v[99:102], v125 offset0:82 offset1:83
	s_waitcnt lgkmcnt(0)
	v_mul_f64 v[103:104], v[101:102], v[105:106]
	v_fma_f64 v[103:104], v[99:100], v[97:98], -v[103:104]
	v_mul_f64 v[99:100], v[99:100], v[105:106]
	v_add_f64 v[25:26], v[25:26], -v[103:104]
	v_fma_f64 v[99:100], v[101:102], v[97:98], v[99:100]
	v_add_f64 v[27:28], v[27:28], -v[99:100]
	ds_read2_b64 v[99:102], v125 offset0:84 offset1:85
	s_waitcnt lgkmcnt(0)
	v_mul_f64 v[103:104], v[101:102], v[105:106]
	v_fma_f64 v[103:104], v[99:100], v[97:98], -v[103:104]
	v_mul_f64 v[99:100], v[99:100], v[105:106]
	v_add_f64 v[21:22], v[21:22], -v[103:104]
	v_fma_f64 v[99:100], v[101:102], v[97:98], v[99:100]
	v_add_f64 v[23:24], v[23:24], -v[99:100]
	ds_read2_b64 v[99:102], v125 offset0:86 offset1:87
	s_waitcnt lgkmcnt(0)
	v_mul_f64 v[103:104], v[101:102], v[105:106]
	v_fma_f64 v[103:104], v[99:100], v[97:98], -v[103:104]
	v_mul_f64 v[99:100], v[99:100], v[105:106]
	v_add_f64 v[17:18], v[17:18], -v[103:104]
	v_fma_f64 v[99:100], v[101:102], v[97:98], v[99:100]
	v_add_f64 v[19:20], v[19:20], -v[99:100]
	ds_read2_b64 v[99:102], v125 offset0:88 offset1:89
	s_waitcnt lgkmcnt(0)
	v_mul_f64 v[103:104], v[101:102], v[105:106]
	v_fma_f64 v[103:104], v[99:100], v[97:98], -v[103:104]
	v_mul_f64 v[99:100], v[99:100], v[105:106]
	v_add_f64 v[13:14], v[13:14], -v[103:104]
	v_fma_f64 v[99:100], v[101:102], v[97:98], v[99:100]
	v_add_f64 v[15:16], v[15:16], -v[99:100]
	ds_read2_b64 v[99:102], v125 offset0:90 offset1:91
	s_waitcnt lgkmcnt(0)
	v_mul_f64 v[103:104], v[101:102], v[105:106]
	v_fma_f64 v[103:104], v[99:100], v[97:98], -v[103:104]
	v_mul_f64 v[99:100], v[99:100], v[105:106]
	v_add_f64 v[9:10], v[9:10], -v[103:104]
	v_fma_f64 v[99:100], v[101:102], v[97:98], v[99:100]
	v_add_f64 v[11:12], v[11:12], -v[99:100]
	ds_read2_b64 v[99:102], v125 offset0:92 offset1:93
	s_waitcnt lgkmcnt(0)
	v_mul_f64 v[103:104], v[101:102], v[105:106]
	v_fma_f64 v[103:104], v[99:100], v[97:98], -v[103:104]
	v_mul_f64 v[99:100], v[99:100], v[105:106]
	v_add_f64 v[5:6], v[5:6], -v[103:104]
	v_fma_f64 v[99:100], v[101:102], v[97:98], v[99:100]
	v_add_f64 v[7:8], v[7:8], -v[99:100]
	ds_read2_b64 v[99:102], v125 offset0:94 offset1:95
	s_waitcnt lgkmcnt(0)
	v_mul_f64 v[103:104], v[101:102], v[105:106]
	v_fma_f64 v[103:104], v[99:100], v[97:98], -v[103:104]
	v_mul_f64 v[99:100], v[99:100], v[105:106]
	v_add_f64 v[1:2], v[1:2], -v[103:104]
	v_fma_f64 v[99:100], v[101:102], v[97:98], v[99:100]
	v_add_f64 v[3:4], v[3:4], -v[99:100]
	ds_read2_b64 v[99:102], v125 offset0:96 offset1:97
	s_waitcnt lgkmcnt(0)
	v_mul_f64 v[103:104], v[101:102], v[105:106]
	v_fma_f64 v[103:104], v[99:100], v[97:98], -v[103:104]
	v_mul_f64 v[99:100], v[99:100], v[105:106]
	v_add_f64 v[73:74], v[73:74], -v[103:104]
	v_fma_f64 v[99:100], v[101:102], v[97:98], v[99:100]
	v_mov_b32_e32 v104, v98
	v_mov_b32_e32 v103, v97
	buffer_store_dword v103, off, s[20:23], 0 offset:160 ; 4-byte Folded Spill
	s_nop 0
	buffer_store_dword v104, off, s[20:23], 0 offset:164 ; 4-byte Folded Spill
	buffer_store_dword v105, off, s[20:23], 0 offset:168 ; 4-byte Folded Spill
	;; [unrolled: 1-line block ×3, first 2 shown]
	v_add_f64 v[75:76], v[75:76], -v[99:100]
.LBB97_145:
	s_or_b64 exec, exec, s[2:3]
	v_cmp_eq_u32_e32 vcc, 16, v0
	s_waitcnt vmcnt(0)
	s_barrier
	s_and_saveexec_b64 s[4:5], vcc
	s_cbranch_execz .LBB97_152
; %bb.146:
	buffer_load_dword v69, off, s[20:23], 0 offset:144 ; 4-byte Folded Reload
	buffer_load_dword v70, off, s[20:23], 0 offset:148 ; 4-byte Folded Reload
	;; [unrolled: 1-line block ×4, first 2 shown]
	s_waitcnt vmcnt(0)
	ds_write2_b64 v127, v[69:70], v[71:72] offset1:1
	buffer_load_dword v69, off, s[20:23], 0 offset:128 ; 4-byte Folded Reload
	buffer_load_dword v70, off, s[20:23], 0 offset:132 ; 4-byte Folded Reload
	buffer_load_dword v71, off, s[20:23], 0 offset:136 ; 4-byte Folded Reload
	buffer_load_dword v72, off, s[20:23], 0 offset:140 ; 4-byte Folded Reload
	s_waitcnt vmcnt(0)
	ds_write2_b64 v125, v[69:70], v[71:72] offset0:34 offset1:35
	buffer_load_dword v69, off, s[20:23], 0 offset:112 ; 4-byte Folded Reload
	buffer_load_dword v70, off, s[20:23], 0 offset:116 ; 4-byte Folded Reload
	buffer_load_dword v71, off, s[20:23], 0 offset:120 ; 4-byte Folded Reload
	buffer_load_dword v72, off, s[20:23], 0 offset:124 ; 4-byte Folded Reload
	s_waitcnt vmcnt(0)
	ds_write2_b64 v125, v[69:70], v[71:72] offset0:36 offset1:37
	;; [unrolled: 6-line block ×6, first 2 shown]
	ds_write2_b64 v125, v[121:122], v[123:124] offset0:46 offset1:47
	ds_write2_b64 v125, v[117:118], v[119:120] offset0:48 offset1:49
	;; [unrolled: 1-line block ×5, first 2 shown]
	buffer_load_dword v77, off, s[20:23], 0 offset:32 ; 4-byte Folded Reload
	buffer_load_dword v78, off, s[20:23], 0 offset:36 ; 4-byte Folded Reload
	;; [unrolled: 1-line block ×4, first 2 shown]
	v_mov_b32_e32 v69, v73
	v_mov_b32_e32 v70, v74
	;; [unrolled: 1-line block ×4, first 2 shown]
	s_waitcnt vmcnt(0)
	ds_write2_b64 v125, v[77:78], v[79:80] offset0:56 offset1:57
	buffer_load_dword v73, off, s[20:23], 0 offset:16 ; 4-byte Folded Reload
	buffer_load_dword v74, off, s[20:23], 0 offset:20 ; 4-byte Folded Reload
	;; [unrolled: 1-line block ×4, first 2 shown]
	s_waitcnt vmcnt(0)
	ds_write2_b64 v125, v[73:74], v[75:76] offset0:58 offset1:59
	v_mov_b32_e32 v76, v72
	v_mov_b32_e32 v75, v71
	v_mov_b32_e32 v74, v70
	v_mov_b32_e32 v73, v69
	buffer_load_dword v69, off, s[20:23], 0 ; 4-byte Folded Reload
	buffer_load_dword v70, off, s[20:23], 0 offset:4 ; 4-byte Folded Reload
	buffer_load_dword v71, off, s[20:23], 0 offset:8 ; 4-byte Folded Reload
	;; [unrolled: 1-line block ×3, first 2 shown]
	s_waitcnt vmcnt(0)
	ds_write2_b64 v125, v[69:70], v[71:72] offset0:60 offset1:61
	ds_write2_b64 v125, v[65:66], v[67:68] offset0:62 offset1:63
	;; [unrolled: 1-line block ×19, first 2 shown]
	ds_read2_b64 v[97:100], v127 offset1:1
	s_waitcnt lgkmcnt(0)
	v_cmp_neq_f64_e32 vcc, 0, v[97:98]
	v_cmp_neq_f64_e64 s[2:3], 0, v[99:100]
	s_or_b64 s[2:3], vcc, s[2:3]
	s_and_b64 exec, exec, s[2:3]
	s_cbranch_execz .LBB97_152
; %bb.147:
	v_cmp_ngt_f64_e64 s[2:3], |v[97:98]|, |v[99:100]|
                                        ; implicit-def: $vgpr101_vgpr102
	s_and_saveexec_b64 s[6:7], s[2:3]
	s_xor_b64 s[2:3], exec, s[6:7]
                                        ; implicit-def: $vgpr103_vgpr104
	s_cbranch_execz .LBB97_149
; %bb.148:
	v_div_scale_f64 v[101:102], s[6:7], v[99:100], v[99:100], v[97:98]
	v_rcp_f64_e32 v[103:104], v[101:102]
	v_fma_f64 v[105:106], -v[101:102], v[103:104], 1.0
	v_fma_f64 v[103:104], v[103:104], v[105:106], v[103:104]
	v_div_scale_f64 v[105:106], vcc, v[97:98], v[99:100], v[97:98]
	v_fma_f64 v[107:108], -v[101:102], v[103:104], 1.0
	v_fma_f64 v[103:104], v[103:104], v[107:108], v[103:104]
	v_mul_f64 v[107:108], v[105:106], v[103:104]
	v_fma_f64 v[101:102], -v[101:102], v[107:108], v[105:106]
	v_div_fmas_f64 v[101:102], v[101:102], v[103:104], v[107:108]
	v_div_fixup_f64 v[101:102], v[101:102], v[99:100], v[97:98]
	v_fma_f64 v[97:98], v[97:98], v[101:102], v[99:100]
	v_div_scale_f64 v[99:100], s[6:7], v[97:98], v[97:98], 1.0
	v_div_scale_f64 v[107:108], vcc, 1.0, v[97:98], 1.0
	v_rcp_f64_e32 v[103:104], v[99:100]
	v_fma_f64 v[105:106], -v[99:100], v[103:104], 1.0
	v_fma_f64 v[103:104], v[103:104], v[105:106], v[103:104]
	v_fma_f64 v[105:106], -v[99:100], v[103:104], 1.0
	v_fma_f64 v[103:104], v[103:104], v[105:106], v[103:104]
	v_mul_f64 v[105:106], v[107:108], v[103:104]
	v_fma_f64 v[99:100], -v[99:100], v[105:106], v[107:108]
	v_div_fmas_f64 v[99:100], v[99:100], v[103:104], v[105:106]
	v_div_fixup_f64 v[103:104], v[99:100], v[97:98], 1.0
                                        ; implicit-def: $vgpr97_vgpr98
	v_mul_f64 v[101:102], v[101:102], v[103:104]
	v_xor_b32_e32 v104, 0x80000000, v104
.LBB97_149:
	s_andn2_saveexec_b64 s[2:3], s[2:3]
	s_cbranch_execz .LBB97_151
; %bb.150:
	v_div_scale_f64 v[101:102], s[6:7], v[97:98], v[97:98], v[99:100]
	v_rcp_f64_e32 v[103:104], v[101:102]
	v_fma_f64 v[105:106], -v[101:102], v[103:104], 1.0
	v_fma_f64 v[103:104], v[103:104], v[105:106], v[103:104]
	v_div_scale_f64 v[105:106], vcc, v[99:100], v[97:98], v[99:100]
	v_fma_f64 v[107:108], -v[101:102], v[103:104], 1.0
	v_fma_f64 v[103:104], v[103:104], v[107:108], v[103:104]
	v_mul_f64 v[107:108], v[105:106], v[103:104]
	v_fma_f64 v[101:102], -v[101:102], v[107:108], v[105:106]
	v_div_fmas_f64 v[101:102], v[101:102], v[103:104], v[107:108]
	v_div_fixup_f64 v[103:104], v[101:102], v[97:98], v[99:100]
	v_fma_f64 v[97:98], v[99:100], v[103:104], v[97:98]
	v_div_scale_f64 v[99:100], s[6:7], v[97:98], v[97:98], 1.0
	v_div_scale_f64 v[107:108], vcc, 1.0, v[97:98], 1.0
	v_rcp_f64_e32 v[101:102], v[99:100]
	v_fma_f64 v[105:106], -v[99:100], v[101:102], 1.0
	v_fma_f64 v[101:102], v[101:102], v[105:106], v[101:102]
	v_fma_f64 v[105:106], -v[99:100], v[101:102], 1.0
	v_fma_f64 v[101:102], v[101:102], v[105:106], v[101:102]
	v_mul_f64 v[105:106], v[107:108], v[101:102]
	v_fma_f64 v[99:100], -v[99:100], v[105:106], v[107:108]
	v_div_fmas_f64 v[99:100], v[99:100], v[101:102], v[105:106]
	v_div_fixup_f64 v[101:102], v[99:100], v[97:98], 1.0
	v_mul_f64 v[103:104], v[103:104], -v[101:102]
.LBB97_151:
	s_or_b64 exec, exec, s[2:3]
	ds_write2_b64 v127, v[101:102], v[103:104] offset1:1
.LBB97_152:
	s_or_b64 exec, exec, s[4:5]
	s_waitcnt lgkmcnt(0)
	s_barrier
	ds_read2_b64 v[69:72], v127 offset1:1
	v_cmp_lt_u32_e32 vcc, 16, v0
	s_waitcnt lgkmcnt(0)
	buffer_store_dword v69, off, s[20:23], 0 offset:1056 ; 4-byte Folded Spill
	s_nop 0
	buffer_store_dword v70, off, s[20:23], 0 offset:1060 ; 4-byte Folded Spill
	buffer_store_dword v71, off, s[20:23], 0 offset:1064 ; 4-byte Folded Spill
	buffer_store_dword v72, off, s[20:23], 0 offset:1068 ; 4-byte Folded Spill
	s_and_saveexec_b64 s[2:3], vcc
	s_cbranch_execz .LBB97_154
; %bb.153:
	buffer_load_dword v103, off, s[20:23], 0 offset:144 ; 4-byte Folded Reload
	buffer_load_dword v104, off, s[20:23], 0 offset:148 ; 4-byte Folded Reload
	;; [unrolled: 1-line block ×8, first 2 shown]
	s_waitcnt vmcnt(2)
	v_mul_f64 v[99:100], v[69:70], v[105:106]
	s_waitcnt vmcnt(0)
	v_mul_f64 v[97:98], v[71:72], v[105:106]
	v_fma_f64 v[105:106], v[71:72], v[103:104], v[99:100]
	ds_read2_b64 v[99:102], v125 offset0:34 offset1:35
	v_fma_f64 v[97:98], v[69:70], v[103:104], -v[97:98]
	buffer_load_dword v69, off, s[20:23], 0 offset:128 ; 4-byte Folded Reload
	buffer_load_dword v70, off, s[20:23], 0 offset:132 ; 4-byte Folded Reload
	buffer_load_dword v71, off, s[20:23], 0 offset:136 ; 4-byte Folded Reload
	buffer_load_dword v72, off, s[20:23], 0 offset:140 ; 4-byte Folded Reload
	s_waitcnt lgkmcnt(0)
	v_mul_f64 v[103:104], v[101:102], v[105:106]
	v_fma_f64 v[103:104], v[99:100], v[97:98], -v[103:104]
	v_mul_f64 v[99:100], v[99:100], v[105:106]
	v_fma_f64 v[99:100], v[101:102], v[97:98], v[99:100]
	s_waitcnt vmcnt(2)
	v_add_f64 v[69:70], v[69:70], -v[103:104]
	s_waitcnt vmcnt(0)
	v_add_f64 v[71:72], v[71:72], -v[99:100]
	buffer_store_dword v69, off, s[20:23], 0 offset:128 ; 4-byte Folded Spill
	s_nop 0
	buffer_store_dword v70, off, s[20:23], 0 offset:132 ; 4-byte Folded Spill
	buffer_store_dword v71, off, s[20:23], 0 offset:136 ; 4-byte Folded Spill
	buffer_store_dword v72, off, s[20:23], 0 offset:140 ; 4-byte Folded Spill
	ds_read2_b64 v[99:102], v125 offset0:36 offset1:37
	buffer_load_dword v69, off, s[20:23], 0 offset:112 ; 4-byte Folded Reload
	buffer_load_dword v70, off, s[20:23], 0 offset:116 ; 4-byte Folded Reload
	buffer_load_dword v71, off, s[20:23], 0 offset:120 ; 4-byte Folded Reload
	buffer_load_dword v72, off, s[20:23], 0 offset:124 ; 4-byte Folded Reload
	s_waitcnt lgkmcnt(0)
	v_mul_f64 v[103:104], v[101:102], v[105:106]
	v_fma_f64 v[103:104], v[99:100], v[97:98], -v[103:104]
	v_mul_f64 v[99:100], v[99:100], v[105:106]
	v_fma_f64 v[99:100], v[101:102], v[97:98], v[99:100]
	s_waitcnt vmcnt(2)
	v_add_f64 v[69:70], v[69:70], -v[103:104]
	s_waitcnt vmcnt(0)
	v_add_f64 v[71:72], v[71:72], -v[99:100]
	buffer_store_dword v69, off, s[20:23], 0 offset:112 ; 4-byte Folded Spill
	s_nop 0
	buffer_store_dword v70, off, s[20:23], 0 offset:116 ; 4-byte Folded Spill
	buffer_store_dword v71, off, s[20:23], 0 offset:120 ; 4-byte Folded Spill
	buffer_store_dword v72, off, s[20:23], 0 offset:124 ; 4-byte Folded Spill
	ds_read2_b64 v[99:102], v125 offset0:38 offset1:39
	;; [unrolled: 19-line block ×6, first 2 shown]
	v_mov_b32_e32 v69, v73
	v_mov_b32_e32 v70, v74
	v_mov_b32_e32 v71, v75
	v_mov_b32_e32 v72, v76
	s_waitcnt lgkmcnt(0)
	v_mul_f64 v[103:104], v[101:102], v[105:106]
	v_fma_f64 v[103:104], v[99:100], v[97:98], -v[103:104]
	v_mul_f64 v[99:100], v[99:100], v[105:106]
	v_add_f64 v[121:122], v[121:122], -v[103:104]
	v_fma_f64 v[99:100], v[101:102], v[97:98], v[99:100]
	v_add_f64 v[123:124], v[123:124], -v[99:100]
	ds_read2_b64 v[99:102], v125 offset0:48 offset1:49
	s_waitcnt lgkmcnt(0)
	v_mul_f64 v[103:104], v[101:102], v[105:106]
	v_fma_f64 v[103:104], v[99:100], v[97:98], -v[103:104]
	v_mul_f64 v[99:100], v[99:100], v[105:106]
	v_add_f64 v[117:118], v[117:118], -v[103:104]
	v_fma_f64 v[99:100], v[101:102], v[97:98], v[99:100]
	v_add_f64 v[119:120], v[119:120], -v[99:100]
	ds_read2_b64 v[99:102], v125 offset0:50 offset1:51
	;; [unrolled: 8-line block ×5, first 2 shown]
	buffer_load_dword v77, off, s[20:23], 0 offset:32 ; 4-byte Folded Reload
	buffer_load_dword v78, off, s[20:23], 0 offset:36 ; 4-byte Folded Reload
	;; [unrolled: 1-line block ×4, first 2 shown]
	s_waitcnt lgkmcnt(0)
	v_mul_f64 v[103:104], v[101:102], v[105:106]
	v_fma_f64 v[103:104], v[99:100], v[97:98], -v[103:104]
	v_mul_f64 v[99:100], v[99:100], v[105:106]
	v_fma_f64 v[99:100], v[101:102], v[97:98], v[99:100]
	s_waitcnt vmcnt(2)
	v_add_f64 v[77:78], v[77:78], -v[103:104]
	s_waitcnt vmcnt(0)
	v_add_f64 v[79:80], v[79:80], -v[99:100]
	buffer_store_dword v77, off, s[20:23], 0 offset:32 ; 4-byte Folded Spill
	s_nop 0
	buffer_store_dword v78, off, s[20:23], 0 offset:36 ; 4-byte Folded Spill
	buffer_store_dword v79, off, s[20:23], 0 offset:40 ; 4-byte Folded Spill
	;; [unrolled: 1-line block ×3, first 2 shown]
	ds_read2_b64 v[99:102], v125 offset0:58 offset1:59
	buffer_load_dword v73, off, s[20:23], 0 offset:16 ; 4-byte Folded Reload
	buffer_load_dword v74, off, s[20:23], 0 offset:20 ; 4-byte Folded Reload
	;; [unrolled: 1-line block ×4, first 2 shown]
	s_waitcnt lgkmcnt(0)
	v_mul_f64 v[103:104], v[101:102], v[105:106]
	v_fma_f64 v[103:104], v[99:100], v[97:98], -v[103:104]
	v_mul_f64 v[99:100], v[99:100], v[105:106]
	v_fma_f64 v[99:100], v[101:102], v[97:98], v[99:100]
	s_waitcnt vmcnt(2)
	v_add_f64 v[73:74], v[73:74], -v[103:104]
	s_waitcnt vmcnt(0)
	v_add_f64 v[75:76], v[75:76], -v[99:100]
	buffer_store_dword v73, off, s[20:23], 0 offset:16 ; 4-byte Folded Spill
	s_nop 0
	buffer_store_dword v74, off, s[20:23], 0 offset:20 ; 4-byte Folded Spill
	buffer_store_dword v75, off, s[20:23], 0 offset:24 ; 4-byte Folded Spill
	;; [unrolled: 1-line block ×3, first 2 shown]
	v_mov_b32_e32 v76, v72
	v_mov_b32_e32 v75, v71
	;; [unrolled: 1-line block ×4, first 2 shown]
	ds_read2_b64 v[99:102], v125 offset0:60 offset1:61
	buffer_load_dword v69, off, s[20:23], 0 ; 4-byte Folded Reload
	buffer_load_dword v70, off, s[20:23], 0 offset:4 ; 4-byte Folded Reload
	buffer_load_dword v71, off, s[20:23], 0 offset:8 ; 4-byte Folded Reload
	;; [unrolled: 1-line block ×3, first 2 shown]
	s_waitcnt lgkmcnt(0)
	v_mul_f64 v[103:104], v[101:102], v[105:106]
	v_fma_f64 v[103:104], v[99:100], v[97:98], -v[103:104]
	v_mul_f64 v[99:100], v[99:100], v[105:106]
	v_fma_f64 v[99:100], v[101:102], v[97:98], v[99:100]
	s_waitcnt vmcnt(2)
	v_add_f64 v[69:70], v[69:70], -v[103:104]
	s_waitcnt vmcnt(0)
	v_add_f64 v[71:72], v[71:72], -v[99:100]
	buffer_store_dword v69, off, s[20:23], 0 ; 4-byte Folded Spill
	s_nop 0
	buffer_store_dword v70, off, s[20:23], 0 offset:4 ; 4-byte Folded Spill
	buffer_store_dword v71, off, s[20:23], 0 offset:8 ; 4-byte Folded Spill
	;; [unrolled: 1-line block ×3, first 2 shown]
	ds_read2_b64 v[99:102], v125 offset0:62 offset1:63
	s_waitcnt lgkmcnt(0)
	v_mul_f64 v[103:104], v[101:102], v[105:106]
	v_fma_f64 v[103:104], v[99:100], v[97:98], -v[103:104]
	v_mul_f64 v[99:100], v[99:100], v[105:106]
	v_add_f64 v[65:66], v[65:66], -v[103:104]
	v_fma_f64 v[99:100], v[101:102], v[97:98], v[99:100]
	v_add_f64 v[67:68], v[67:68], -v[99:100]
	ds_read2_b64 v[99:102], v125 offset0:64 offset1:65
	s_waitcnt lgkmcnt(0)
	v_mul_f64 v[103:104], v[101:102], v[105:106]
	v_fma_f64 v[103:104], v[99:100], v[97:98], -v[103:104]
	v_mul_f64 v[99:100], v[99:100], v[105:106]
	v_add_f64 v[61:62], v[61:62], -v[103:104]
	v_fma_f64 v[99:100], v[101:102], v[97:98], v[99:100]
	v_add_f64 v[63:64], v[63:64], -v[99:100]
	;; [unrolled: 8-line block ×17, first 2 shown]
	ds_read2_b64 v[99:102], v125 offset0:96 offset1:97
	s_waitcnt lgkmcnt(0)
	v_mul_f64 v[103:104], v[101:102], v[105:106]
	v_fma_f64 v[103:104], v[99:100], v[97:98], -v[103:104]
	v_mul_f64 v[99:100], v[99:100], v[105:106]
	v_add_f64 v[73:74], v[73:74], -v[103:104]
	v_fma_f64 v[99:100], v[101:102], v[97:98], v[99:100]
	v_mov_b32_e32 v104, v98
	v_mov_b32_e32 v103, v97
	buffer_store_dword v103, off, s[20:23], 0 offset:144 ; 4-byte Folded Spill
	s_nop 0
	buffer_store_dword v104, off, s[20:23], 0 offset:148 ; 4-byte Folded Spill
	buffer_store_dword v105, off, s[20:23], 0 offset:152 ; 4-byte Folded Spill
	;; [unrolled: 1-line block ×3, first 2 shown]
	v_add_f64 v[75:76], v[75:76], -v[99:100]
.LBB97_154:
	s_or_b64 exec, exec, s[2:3]
	v_cmp_eq_u32_e32 vcc, 17, v0
	s_waitcnt vmcnt(0)
	s_barrier
	s_and_saveexec_b64 s[4:5], vcc
	s_cbranch_execz .LBB97_161
; %bb.155:
	buffer_load_dword v69, off, s[20:23], 0 offset:128 ; 4-byte Folded Reload
	buffer_load_dword v70, off, s[20:23], 0 offset:132 ; 4-byte Folded Reload
	buffer_load_dword v71, off, s[20:23], 0 offset:136 ; 4-byte Folded Reload
	buffer_load_dword v72, off, s[20:23], 0 offset:140 ; 4-byte Folded Reload
	s_waitcnt vmcnt(0)
	ds_write2_b64 v127, v[69:70], v[71:72] offset1:1
	buffer_load_dword v69, off, s[20:23], 0 offset:112 ; 4-byte Folded Reload
	buffer_load_dword v70, off, s[20:23], 0 offset:116 ; 4-byte Folded Reload
	buffer_load_dword v71, off, s[20:23], 0 offset:120 ; 4-byte Folded Reload
	buffer_load_dword v72, off, s[20:23], 0 offset:124 ; 4-byte Folded Reload
	s_waitcnt vmcnt(0)
	ds_write2_b64 v125, v[69:70], v[71:72] offset0:36 offset1:37
	buffer_load_dword v69, off, s[20:23], 0 offset:96 ; 4-byte Folded Reload
	buffer_load_dword v70, off, s[20:23], 0 offset:100 ; 4-byte Folded Reload
	buffer_load_dword v71, off, s[20:23], 0 offset:104 ; 4-byte Folded Reload
	buffer_load_dword v72, off, s[20:23], 0 offset:108 ; 4-byte Folded Reload
	s_waitcnt vmcnt(0)
	ds_write2_b64 v125, v[69:70], v[71:72] offset0:38 offset1:39
	;; [unrolled: 6-line block ×5, first 2 shown]
	ds_write2_b64 v125, v[121:122], v[123:124] offset0:46 offset1:47
	ds_write2_b64 v125, v[117:118], v[119:120] offset0:48 offset1:49
	;; [unrolled: 1-line block ×5, first 2 shown]
	buffer_load_dword v77, off, s[20:23], 0 offset:32 ; 4-byte Folded Reload
	buffer_load_dword v78, off, s[20:23], 0 offset:36 ; 4-byte Folded Reload
	;; [unrolled: 1-line block ×4, first 2 shown]
	v_mov_b32_e32 v69, v73
	v_mov_b32_e32 v70, v74
	;; [unrolled: 1-line block ×4, first 2 shown]
	s_waitcnt vmcnt(0)
	ds_write2_b64 v125, v[77:78], v[79:80] offset0:56 offset1:57
	buffer_load_dword v73, off, s[20:23], 0 offset:16 ; 4-byte Folded Reload
	buffer_load_dword v74, off, s[20:23], 0 offset:20 ; 4-byte Folded Reload
	;; [unrolled: 1-line block ×4, first 2 shown]
	s_waitcnt vmcnt(0)
	ds_write2_b64 v125, v[73:74], v[75:76] offset0:58 offset1:59
	v_mov_b32_e32 v76, v72
	v_mov_b32_e32 v75, v71
	;; [unrolled: 1-line block ×4, first 2 shown]
	buffer_load_dword v69, off, s[20:23], 0 ; 4-byte Folded Reload
	buffer_load_dword v70, off, s[20:23], 0 offset:4 ; 4-byte Folded Reload
	buffer_load_dword v71, off, s[20:23], 0 offset:8 ; 4-byte Folded Reload
	buffer_load_dword v72, off, s[20:23], 0 offset:12 ; 4-byte Folded Reload
	s_waitcnt vmcnt(0)
	ds_write2_b64 v125, v[69:70], v[71:72] offset0:60 offset1:61
	ds_write2_b64 v125, v[65:66], v[67:68] offset0:62 offset1:63
	;; [unrolled: 1-line block ×19, first 2 shown]
	ds_read2_b64 v[97:100], v127 offset1:1
	s_waitcnt lgkmcnt(0)
	v_cmp_neq_f64_e32 vcc, 0, v[97:98]
	v_cmp_neq_f64_e64 s[2:3], 0, v[99:100]
	s_or_b64 s[2:3], vcc, s[2:3]
	s_and_b64 exec, exec, s[2:3]
	s_cbranch_execz .LBB97_161
; %bb.156:
	v_cmp_ngt_f64_e64 s[2:3], |v[97:98]|, |v[99:100]|
                                        ; implicit-def: $vgpr101_vgpr102
	s_and_saveexec_b64 s[6:7], s[2:3]
	s_xor_b64 s[2:3], exec, s[6:7]
                                        ; implicit-def: $vgpr103_vgpr104
	s_cbranch_execz .LBB97_158
; %bb.157:
	v_div_scale_f64 v[101:102], s[6:7], v[99:100], v[99:100], v[97:98]
	v_rcp_f64_e32 v[103:104], v[101:102]
	v_fma_f64 v[105:106], -v[101:102], v[103:104], 1.0
	v_fma_f64 v[103:104], v[103:104], v[105:106], v[103:104]
	v_div_scale_f64 v[105:106], vcc, v[97:98], v[99:100], v[97:98]
	v_fma_f64 v[107:108], -v[101:102], v[103:104], 1.0
	v_fma_f64 v[103:104], v[103:104], v[107:108], v[103:104]
	v_mul_f64 v[107:108], v[105:106], v[103:104]
	v_fma_f64 v[101:102], -v[101:102], v[107:108], v[105:106]
	v_div_fmas_f64 v[101:102], v[101:102], v[103:104], v[107:108]
	v_div_fixup_f64 v[101:102], v[101:102], v[99:100], v[97:98]
	v_fma_f64 v[97:98], v[97:98], v[101:102], v[99:100]
	v_div_scale_f64 v[99:100], s[6:7], v[97:98], v[97:98], 1.0
	v_div_scale_f64 v[107:108], vcc, 1.0, v[97:98], 1.0
	v_rcp_f64_e32 v[103:104], v[99:100]
	v_fma_f64 v[105:106], -v[99:100], v[103:104], 1.0
	v_fma_f64 v[103:104], v[103:104], v[105:106], v[103:104]
	v_fma_f64 v[105:106], -v[99:100], v[103:104], 1.0
	v_fma_f64 v[103:104], v[103:104], v[105:106], v[103:104]
	v_mul_f64 v[105:106], v[107:108], v[103:104]
	v_fma_f64 v[99:100], -v[99:100], v[105:106], v[107:108]
	v_div_fmas_f64 v[99:100], v[99:100], v[103:104], v[105:106]
	v_div_fixup_f64 v[103:104], v[99:100], v[97:98], 1.0
                                        ; implicit-def: $vgpr97_vgpr98
	v_mul_f64 v[101:102], v[101:102], v[103:104]
	v_xor_b32_e32 v104, 0x80000000, v104
.LBB97_158:
	s_andn2_saveexec_b64 s[2:3], s[2:3]
	s_cbranch_execz .LBB97_160
; %bb.159:
	v_div_scale_f64 v[101:102], s[6:7], v[97:98], v[97:98], v[99:100]
	v_rcp_f64_e32 v[103:104], v[101:102]
	v_fma_f64 v[105:106], -v[101:102], v[103:104], 1.0
	v_fma_f64 v[103:104], v[103:104], v[105:106], v[103:104]
	v_div_scale_f64 v[105:106], vcc, v[99:100], v[97:98], v[99:100]
	v_fma_f64 v[107:108], -v[101:102], v[103:104], 1.0
	v_fma_f64 v[103:104], v[103:104], v[107:108], v[103:104]
	v_mul_f64 v[107:108], v[105:106], v[103:104]
	v_fma_f64 v[101:102], -v[101:102], v[107:108], v[105:106]
	v_div_fmas_f64 v[101:102], v[101:102], v[103:104], v[107:108]
	v_div_fixup_f64 v[103:104], v[101:102], v[97:98], v[99:100]
	v_fma_f64 v[97:98], v[99:100], v[103:104], v[97:98]
	v_div_scale_f64 v[99:100], s[6:7], v[97:98], v[97:98], 1.0
	v_div_scale_f64 v[107:108], vcc, 1.0, v[97:98], 1.0
	v_rcp_f64_e32 v[101:102], v[99:100]
	v_fma_f64 v[105:106], -v[99:100], v[101:102], 1.0
	v_fma_f64 v[101:102], v[101:102], v[105:106], v[101:102]
	v_fma_f64 v[105:106], -v[99:100], v[101:102], 1.0
	v_fma_f64 v[101:102], v[101:102], v[105:106], v[101:102]
	v_mul_f64 v[105:106], v[107:108], v[101:102]
	v_fma_f64 v[99:100], -v[99:100], v[105:106], v[107:108]
	v_div_fmas_f64 v[99:100], v[99:100], v[101:102], v[105:106]
	v_div_fixup_f64 v[101:102], v[99:100], v[97:98], 1.0
	v_mul_f64 v[103:104], v[103:104], -v[101:102]
.LBB97_160:
	s_or_b64 exec, exec, s[2:3]
	ds_write2_b64 v127, v[101:102], v[103:104] offset1:1
.LBB97_161:
	s_or_b64 exec, exec, s[4:5]
	s_waitcnt lgkmcnt(0)
	s_barrier
	ds_read2_b64 v[69:72], v127 offset1:1
	v_cmp_lt_u32_e32 vcc, 17, v0
	s_waitcnt lgkmcnt(0)
	buffer_store_dword v69, off, s[20:23], 0 offset:1072 ; 4-byte Folded Spill
	s_nop 0
	buffer_store_dword v70, off, s[20:23], 0 offset:1076 ; 4-byte Folded Spill
	buffer_store_dword v71, off, s[20:23], 0 offset:1080 ; 4-byte Folded Spill
	;; [unrolled: 1-line block ×3, first 2 shown]
	s_and_saveexec_b64 s[2:3], vcc
	s_cbranch_execz .LBB97_163
; %bb.162:
	buffer_load_dword v103, off, s[20:23], 0 offset:128 ; 4-byte Folded Reload
	buffer_load_dword v104, off, s[20:23], 0 offset:132 ; 4-byte Folded Reload
	;; [unrolled: 1-line block ×8, first 2 shown]
	s_waitcnt vmcnt(2)
	v_mul_f64 v[99:100], v[69:70], v[105:106]
	s_waitcnt vmcnt(0)
	v_mul_f64 v[97:98], v[71:72], v[105:106]
	v_fma_f64 v[105:106], v[71:72], v[103:104], v[99:100]
	ds_read2_b64 v[99:102], v125 offset0:36 offset1:37
	v_fma_f64 v[97:98], v[69:70], v[103:104], -v[97:98]
	buffer_load_dword v69, off, s[20:23], 0 offset:112 ; 4-byte Folded Reload
	buffer_load_dword v70, off, s[20:23], 0 offset:116 ; 4-byte Folded Reload
	buffer_load_dword v71, off, s[20:23], 0 offset:120 ; 4-byte Folded Reload
	buffer_load_dword v72, off, s[20:23], 0 offset:124 ; 4-byte Folded Reload
	s_waitcnt lgkmcnt(0)
	v_mul_f64 v[103:104], v[101:102], v[105:106]
	v_fma_f64 v[103:104], v[99:100], v[97:98], -v[103:104]
	v_mul_f64 v[99:100], v[99:100], v[105:106]
	v_fma_f64 v[99:100], v[101:102], v[97:98], v[99:100]
	s_waitcnt vmcnt(2)
	v_add_f64 v[69:70], v[69:70], -v[103:104]
	s_waitcnt vmcnt(0)
	v_add_f64 v[71:72], v[71:72], -v[99:100]
	buffer_store_dword v69, off, s[20:23], 0 offset:112 ; 4-byte Folded Spill
	s_nop 0
	buffer_store_dword v70, off, s[20:23], 0 offset:116 ; 4-byte Folded Spill
	buffer_store_dword v71, off, s[20:23], 0 offset:120 ; 4-byte Folded Spill
	buffer_store_dword v72, off, s[20:23], 0 offset:124 ; 4-byte Folded Spill
	ds_read2_b64 v[99:102], v125 offset0:38 offset1:39
	buffer_load_dword v69, off, s[20:23], 0 offset:96 ; 4-byte Folded Reload
	buffer_load_dword v70, off, s[20:23], 0 offset:100 ; 4-byte Folded Reload
	buffer_load_dword v71, off, s[20:23], 0 offset:104 ; 4-byte Folded Reload
	buffer_load_dword v72, off, s[20:23], 0 offset:108 ; 4-byte Folded Reload
	s_waitcnt lgkmcnt(0)
	v_mul_f64 v[103:104], v[101:102], v[105:106]
	v_fma_f64 v[103:104], v[99:100], v[97:98], -v[103:104]
	v_mul_f64 v[99:100], v[99:100], v[105:106]
	v_fma_f64 v[99:100], v[101:102], v[97:98], v[99:100]
	s_waitcnt vmcnt(2)
	v_add_f64 v[69:70], v[69:70], -v[103:104]
	s_waitcnt vmcnt(0)
	v_add_f64 v[71:72], v[71:72], -v[99:100]
	buffer_store_dword v69, off, s[20:23], 0 offset:96 ; 4-byte Folded Spill
	s_nop 0
	buffer_store_dword v70, off, s[20:23], 0 offset:100 ; 4-byte Folded Spill
	buffer_store_dword v71, off, s[20:23], 0 offset:104 ; 4-byte Folded Spill
	buffer_store_dword v72, off, s[20:23], 0 offset:108 ; 4-byte Folded Spill
	ds_read2_b64 v[99:102], v125 offset0:40 offset1:41
	;; [unrolled: 19-line block ×5, first 2 shown]
	v_mov_b32_e32 v69, v73
	v_mov_b32_e32 v70, v74
	;; [unrolled: 1-line block ×4, first 2 shown]
	s_waitcnt lgkmcnt(0)
	v_mul_f64 v[103:104], v[101:102], v[105:106]
	v_fma_f64 v[103:104], v[99:100], v[97:98], -v[103:104]
	v_mul_f64 v[99:100], v[99:100], v[105:106]
	v_add_f64 v[121:122], v[121:122], -v[103:104]
	v_fma_f64 v[99:100], v[101:102], v[97:98], v[99:100]
	v_add_f64 v[123:124], v[123:124], -v[99:100]
	ds_read2_b64 v[99:102], v125 offset0:48 offset1:49
	s_waitcnt lgkmcnt(0)
	v_mul_f64 v[103:104], v[101:102], v[105:106]
	v_fma_f64 v[103:104], v[99:100], v[97:98], -v[103:104]
	v_mul_f64 v[99:100], v[99:100], v[105:106]
	v_add_f64 v[117:118], v[117:118], -v[103:104]
	v_fma_f64 v[99:100], v[101:102], v[97:98], v[99:100]
	v_add_f64 v[119:120], v[119:120], -v[99:100]
	ds_read2_b64 v[99:102], v125 offset0:50 offset1:51
	;; [unrolled: 8-line block ×5, first 2 shown]
	buffer_load_dword v77, off, s[20:23], 0 offset:32 ; 4-byte Folded Reload
	buffer_load_dword v78, off, s[20:23], 0 offset:36 ; 4-byte Folded Reload
	;; [unrolled: 1-line block ×4, first 2 shown]
	s_waitcnt lgkmcnt(0)
	v_mul_f64 v[103:104], v[101:102], v[105:106]
	v_fma_f64 v[103:104], v[99:100], v[97:98], -v[103:104]
	v_mul_f64 v[99:100], v[99:100], v[105:106]
	v_fma_f64 v[99:100], v[101:102], v[97:98], v[99:100]
	s_waitcnt vmcnt(2)
	v_add_f64 v[77:78], v[77:78], -v[103:104]
	s_waitcnt vmcnt(0)
	v_add_f64 v[79:80], v[79:80], -v[99:100]
	buffer_store_dword v77, off, s[20:23], 0 offset:32 ; 4-byte Folded Spill
	s_nop 0
	buffer_store_dword v78, off, s[20:23], 0 offset:36 ; 4-byte Folded Spill
	buffer_store_dword v79, off, s[20:23], 0 offset:40 ; 4-byte Folded Spill
	;; [unrolled: 1-line block ×3, first 2 shown]
	ds_read2_b64 v[99:102], v125 offset0:58 offset1:59
	buffer_load_dword v73, off, s[20:23], 0 offset:16 ; 4-byte Folded Reload
	buffer_load_dword v74, off, s[20:23], 0 offset:20 ; 4-byte Folded Reload
	;; [unrolled: 1-line block ×4, first 2 shown]
	s_waitcnt lgkmcnt(0)
	v_mul_f64 v[103:104], v[101:102], v[105:106]
	v_fma_f64 v[103:104], v[99:100], v[97:98], -v[103:104]
	v_mul_f64 v[99:100], v[99:100], v[105:106]
	v_fma_f64 v[99:100], v[101:102], v[97:98], v[99:100]
	s_waitcnt vmcnt(2)
	v_add_f64 v[73:74], v[73:74], -v[103:104]
	s_waitcnt vmcnt(0)
	v_add_f64 v[75:76], v[75:76], -v[99:100]
	buffer_store_dword v73, off, s[20:23], 0 offset:16 ; 4-byte Folded Spill
	s_nop 0
	buffer_store_dword v74, off, s[20:23], 0 offset:20 ; 4-byte Folded Spill
	buffer_store_dword v75, off, s[20:23], 0 offset:24 ; 4-byte Folded Spill
	;; [unrolled: 1-line block ×3, first 2 shown]
	v_mov_b32_e32 v76, v72
	v_mov_b32_e32 v75, v71
	;; [unrolled: 1-line block ×4, first 2 shown]
	ds_read2_b64 v[99:102], v125 offset0:60 offset1:61
	buffer_load_dword v69, off, s[20:23], 0 ; 4-byte Folded Reload
	buffer_load_dword v70, off, s[20:23], 0 offset:4 ; 4-byte Folded Reload
	buffer_load_dword v71, off, s[20:23], 0 offset:8 ; 4-byte Folded Reload
	;; [unrolled: 1-line block ×3, first 2 shown]
	s_waitcnt lgkmcnt(0)
	v_mul_f64 v[103:104], v[101:102], v[105:106]
	v_fma_f64 v[103:104], v[99:100], v[97:98], -v[103:104]
	v_mul_f64 v[99:100], v[99:100], v[105:106]
	v_fma_f64 v[99:100], v[101:102], v[97:98], v[99:100]
	s_waitcnt vmcnt(2)
	v_add_f64 v[69:70], v[69:70], -v[103:104]
	s_waitcnt vmcnt(0)
	v_add_f64 v[71:72], v[71:72], -v[99:100]
	buffer_store_dword v69, off, s[20:23], 0 ; 4-byte Folded Spill
	s_nop 0
	buffer_store_dword v70, off, s[20:23], 0 offset:4 ; 4-byte Folded Spill
	buffer_store_dword v71, off, s[20:23], 0 offset:8 ; 4-byte Folded Spill
	;; [unrolled: 1-line block ×3, first 2 shown]
	ds_read2_b64 v[99:102], v125 offset0:62 offset1:63
	s_waitcnt lgkmcnt(0)
	v_mul_f64 v[103:104], v[101:102], v[105:106]
	v_fma_f64 v[103:104], v[99:100], v[97:98], -v[103:104]
	v_mul_f64 v[99:100], v[99:100], v[105:106]
	v_add_f64 v[65:66], v[65:66], -v[103:104]
	v_fma_f64 v[99:100], v[101:102], v[97:98], v[99:100]
	v_add_f64 v[67:68], v[67:68], -v[99:100]
	ds_read2_b64 v[99:102], v125 offset0:64 offset1:65
	s_waitcnt lgkmcnt(0)
	v_mul_f64 v[103:104], v[101:102], v[105:106]
	v_fma_f64 v[103:104], v[99:100], v[97:98], -v[103:104]
	v_mul_f64 v[99:100], v[99:100], v[105:106]
	v_add_f64 v[61:62], v[61:62], -v[103:104]
	v_fma_f64 v[99:100], v[101:102], v[97:98], v[99:100]
	v_add_f64 v[63:64], v[63:64], -v[99:100]
	;; [unrolled: 8-line block ×17, first 2 shown]
	ds_read2_b64 v[99:102], v125 offset0:96 offset1:97
	s_waitcnt lgkmcnt(0)
	v_mul_f64 v[103:104], v[101:102], v[105:106]
	v_fma_f64 v[103:104], v[99:100], v[97:98], -v[103:104]
	v_mul_f64 v[99:100], v[99:100], v[105:106]
	v_add_f64 v[73:74], v[73:74], -v[103:104]
	v_fma_f64 v[99:100], v[101:102], v[97:98], v[99:100]
	v_mov_b32_e32 v104, v98
	v_mov_b32_e32 v103, v97
	buffer_store_dword v103, off, s[20:23], 0 offset:128 ; 4-byte Folded Spill
	s_nop 0
	buffer_store_dword v104, off, s[20:23], 0 offset:132 ; 4-byte Folded Spill
	buffer_store_dword v105, off, s[20:23], 0 offset:136 ; 4-byte Folded Spill
	;; [unrolled: 1-line block ×3, first 2 shown]
	v_add_f64 v[75:76], v[75:76], -v[99:100]
.LBB97_163:
	s_or_b64 exec, exec, s[2:3]
	v_cmp_eq_u32_e32 vcc, 18, v0
	s_waitcnt vmcnt(0)
	s_barrier
	s_and_saveexec_b64 s[4:5], vcc
	s_cbranch_execz .LBB97_170
; %bb.164:
	buffer_load_dword v69, off, s[20:23], 0 offset:112 ; 4-byte Folded Reload
	buffer_load_dword v70, off, s[20:23], 0 offset:116 ; 4-byte Folded Reload
	buffer_load_dword v71, off, s[20:23], 0 offset:120 ; 4-byte Folded Reload
	buffer_load_dword v72, off, s[20:23], 0 offset:124 ; 4-byte Folded Reload
	s_waitcnt vmcnt(0)
	ds_write2_b64 v127, v[69:70], v[71:72] offset1:1
	buffer_load_dword v69, off, s[20:23], 0 offset:96 ; 4-byte Folded Reload
	buffer_load_dword v70, off, s[20:23], 0 offset:100 ; 4-byte Folded Reload
	buffer_load_dword v71, off, s[20:23], 0 offset:104 ; 4-byte Folded Reload
	buffer_load_dword v72, off, s[20:23], 0 offset:108 ; 4-byte Folded Reload
	s_waitcnt vmcnt(0)
	ds_write2_b64 v125, v[69:70], v[71:72] offset0:38 offset1:39
	buffer_load_dword v69, off, s[20:23], 0 offset:80 ; 4-byte Folded Reload
	buffer_load_dword v70, off, s[20:23], 0 offset:84 ; 4-byte Folded Reload
	buffer_load_dword v71, off, s[20:23], 0 offset:88 ; 4-byte Folded Reload
	buffer_load_dword v72, off, s[20:23], 0 offset:92 ; 4-byte Folded Reload
	s_waitcnt vmcnt(0)
	ds_write2_b64 v125, v[69:70], v[71:72] offset0:40 offset1:41
	;; [unrolled: 6-line block ×4, first 2 shown]
	ds_write2_b64 v125, v[121:122], v[123:124] offset0:46 offset1:47
	ds_write2_b64 v125, v[117:118], v[119:120] offset0:48 offset1:49
	;; [unrolled: 1-line block ×5, first 2 shown]
	buffer_load_dword v77, off, s[20:23], 0 offset:32 ; 4-byte Folded Reload
	buffer_load_dword v78, off, s[20:23], 0 offset:36 ; 4-byte Folded Reload
	;; [unrolled: 1-line block ×4, first 2 shown]
	v_mov_b32_e32 v69, v73
	v_mov_b32_e32 v70, v74
	v_mov_b32_e32 v71, v75
	v_mov_b32_e32 v72, v76
	s_waitcnt vmcnt(0)
	ds_write2_b64 v125, v[77:78], v[79:80] offset0:56 offset1:57
	buffer_load_dword v73, off, s[20:23], 0 offset:16 ; 4-byte Folded Reload
	buffer_load_dword v74, off, s[20:23], 0 offset:20 ; 4-byte Folded Reload
	;; [unrolled: 1-line block ×4, first 2 shown]
	s_waitcnt vmcnt(0)
	ds_write2_b64 v125, v[73:74], v[75:76] offset0:58 offset1:59
	v_mov_b32_e32 v76, v72
	v_mov_b32_e32 v75, v71
	;; [unrolled: 1-line block ×4, first 2 shown]
	buffer_load_dword v69, off, s[20:23], 0 ; 4-byte Folded Reload
	buffer_load_dword v70, off, s[20:23], 0 offset:4 ; 4-byte Folded Reload
	buffer_load_dword v71, off, s[20:23], 0 offset:8 ; 4-byte Folded Reload
	;; [unrolled: 1-line block ×3, first 2 shown]
	s_waitcnt vmcnt(0)
	ds_write2_b64 v125, v[69:70], v[71:72] offset0:60 offset1:61
	ds_write2_b64 v125, v[65:66], v[67:68] offset0:62 offset1:63
	;; [unrolled: 1-line block ×19, first 2 shown]
	ds_read2_b64 v[97:100], v127 offset1:1
	s_waitcnt lgkmcnt(0)
	v_cmp_neq_f64_e32 vcc, 0, v[97:98]
	v_cmp_neq_f64_e64 s[2:3], 0, v[99:100]
	s_or_b64 s[2:3], vcc, s[2:3]
	s_and_b64 exec, exec, s[2:3]
	s_cbranch_execz .LBB97_170
; %bb.165:
	v_cmp_ngt_f64_e64 s[2:3], |v[97:98]|, |v[99:100]|
                                        ; implicit-def: $vgpr101_vgpr102
	s_and_saveexec_b64 s[6:7], s[2:3]
	s_xor_b64 s[2:3], exec, s[6:7]
                                        ; implicit-def: $vgpr103_vgpr104
	s_cbranch_execz .LBB97_167
; %bb.166:
	v_div_scale_f64 v[101:102], s[6:7], v[99:100], v[99:100], v[97:98]
	v_rcp_f64_e32 v[103:104], v[101:102]
	v_fma_f64 v[105:106], -v[101:102], v[103:104], 1.0
	v_fma_f64 v[103:104], v[103:104], v[105:106], v[103:104]
	v_div_scale_f64 v[105:106], vcc, v[97:98], v[99:100], v[97:98]
	v_fma_f64 v[107:108], -v[101:102], v[103:104], 1.0
	v_fma_f64 v[103:104], v[103:104], v[107:108], v[103:104]
	v_mul_f64 v[107:108], v[105:106], v[103:104]
	v_fma_f64 v[101:102], -v[101:102], v[107:108], v[105:106]
	v_div_fmas_f64 v[101:102], v[101:102], v[103:104], v[107:108]
	v_div_fixup_f64 v[101:102], v[101:102], v[99:100], v[97:98]
	v_fma_f64 v[97:98], v[97:98], v[101:102], v[99:100]
	v_div_scale_f64 v[99:100], s[6:7], v[97:98], v[97:98], 1.0
	v_div_scale_f64 v[107:108], vcc, 1.0, v[97:98], 1.0
	v_rcp_f64_e32 v[103:104], v[99:100]
	v_fma_f64 v[105:106], -v[99:100], v[103:104], 1.0
	v_fma_f64 v[103:104], v[103:104], v[105:106], v[103:104]
	v_fma_f64 v[105:106], -v[99:100], v[103:104], 1.0
	v_fma_f64 v[103:104], v[103:104], v[105:106], v[103:104]
	v_mul_f64 v[105:106], v[107:108], v[103:104]
	v_fma_f64 v[99:100], -v[99:100], v[105:106], v[107:108]
	v_div_fmas_f64 v[99:100], v[99:100], v[103:104], v[105:106]
	v_div_fixup_f64 v[103:104], v[99:100], v[97:98], 1.0
                                        ; implicit-def: $vgpr97_vgpr98
	v_mul_f64 v[101:102], v[101:102], v[103:104]
	v_xor_b32_e32 v104, 0x80000000, v104
.LBB97_167:
	s_andn2_saveexec_b64 s[2:3], s[2:3]
	s_cbranch_execz .LBB97_169
; %bb.168:
	v_div_scale_f64 v[101:102], s[6:7], v[97:98], v[97:98], v[99:100]
	v_rcp_f64_e32 v[103:104], v[101:102]
	v_fma_f64 v[105:106], -v[101:102], v[103:104], 1.0
	v_fma_f64 v[103:104], v[103:104], v[105:106], v[103:104]
	v_div_scale_f64 v[105:106], vcc, v[99:100], v[97:98], v[99:100]
	v_fma_f64 v[107:108], -v[101:102], v[103:104], 1.0
	v_fma_f64 v[103:104], v[103:104], v[107:108], v[103:104]
	v_mul_f64 v[107:108], v[105:106], v[103:104]
	v_fma_f64 v[101:102], -v[101:102], v[107:108], v[105:106]
	v_div_fmas_f64 v[101:102], v[101:102], v[103:104], v[107:108]
	v_div_fixup_f64 v[103:104], v[101:102], v[97:98], v[99:100]
	v_fma_f64 v[97:98], v[99:100], v[103:104], v[97:98]
	v_div_scale_f64 v[99:100], s[6:7], v[97:98], v[97:98], 1.0
	v_div_scale_f64 v[107:108], vcc, 1.0, v[97:98], 1.0
	v_rcp_f64_e32 v[101:102], v[99:100]
	v_fma_f64 v[105:106], -v[99:100], v[101:102], 1.0
	v_fma_f64 v[101:102], v[101:102], v[105:106], v[101:102]
	v_fma_f64 v[105:106], -v[99:100], v[101:102], 1.0
	v_fma_f64 v[101:102], v[101:102], v[105:106], v[101:102]
	v_mul_f64 v[105:106], v[107:108], v[101:102]
	v_fma_f64 v[99:100], -v[99:100], v[105:106], v[107:108]
	v_div_fmas_f64 v[99:100], v[99:100], v[101:102], v[105:106]
	v_div_fixup_f64 v[101:102], v[99:100], v[97:98], 1.0
	v_mul_f64 v[103:104], v[103:104], -v[101:102]
.LBB97_169:
	s_or_b64 exec, exec, s[2:3]
	ds_write2_b64 v127, v[101:102], v[103:104] offset1:1
.LBB97_170:
	s_or_b64 exec, exec, s[4:5]
	s_waitcnt lgkmcnt(0)
	s_barrier
	ds_read2_b64 v[69:72], v127 offset1:1
	v_cmp_lt_u32_e32 vcc, 18, v0
	s_waitcnt lgkmcnt(0)
	buffer_store_dword v69, off, s[20:23], 0 offset:1088 ; 4-byte Folded Spill
	s_nop 0
	buffer_store_dword v70, off, s[20:23], 0 offset:1092 ; 4-byte Folded Spill
	buffer_store_dword v71, off, s[20:23], 0 offset:1096 ; 4-byte Folded Spill
	;; [unrolled: 1-line block ×3, first 2 shown]
	s_and_saveexec_b64 s[2:3], vcc
	s_cbranch_execz .LBB97_172
; %bb.171:
	buffer_load_dword v103, off, s[20:23], 0 offset:112 ; 4-byte Folded Reload
	buffer_load_dword v104, off, s[20:23], 0 offset:116 ; 4-byte Folded Reload
	;; [unrolled: 1-line block ×8, first 2 shown]
	s_waitcnt vmcnt(2)
	v_mul_f64 v[99:100], v[69:70], v[105:106]
	s_waitcnt vmcnt(0)
	v_mul_f64 v[97:98], v[71:72], v[105:106]
	v_fma_f64 v[105:106], v[71:72], v[103:104], v[99:100]
	ds_read2_b64 v[99:102], v125 offset0:38 offset1:39
	v_fma_f64 v[97:98], v[69:70], v[103:104], -v[97:98]
	buffer_load_dword v69, off, s[20:23], 0 offset:96 ; 4-byte Folded Reload
	buffer_load_dword v70, off, s[20:23], 0 offset:100 ; 4-byte Folded Reload
	buffer_load_dword v71, off, s[20:23], 0 offset:104 ; 4-byte Folded Reload
	buffer_load_dword v72, off, s[20:23], 0 offset:108 ; 4-byte Folded Reload
	s_waitcnt lgkmcnt(0)
	v_mul_f64 v[103:104], v[101:102], v[105:106]
	v_fma_f64 v[103:104], v[99:100], v[97:98], -v[103:104]
	v_mul_f64 v[99:100], v[99:100], v[105:106]
	v_fma_f64 v[99:100], v[101:102], v[97:98], v[99:100]
	s_waitcnt vmcnt(2)
	v_add_f64 v[69:70], v[69:70], -v[103:104]
	s_waitcnt vmcnt(0)
	v_add_f64 v[71:72], v[71:72], -v[99:100]
	buffer_store_dword v69, off, s[20:23], 0 offset:96 ; 4-byte Folded Spill
	s_nop 0
	buffer_store_dword v70, off, s[20:23], 0 offset:100 ; 4-byte Folded Spill
	buffer_store_dword v71, off, s[20:23], 0 offset:104 ; 4-byte Folded Spill
	buffer_store_dword v72, off, s[20:23], 0 offset:108 ; 4-byte Folded Spill
	ds_read2_b64 v[99:102], v125 offset0:40 offset1:41
	buffer_load_dword v69, off, s[20:23], 0 offset:80 ; 4-byte Folded Reload
	buffer_load_dword v70, off, s[20:23], 0 offset:84 ; 4-byte Folded Reload
	buffer_load_dword v71, off, s[20:23], 0 offset:88 ; 4-byte Folded Reload
	buffer_load_dword v72, off, s[20:23], 0 offset:92 ; 4-byte Folded Reload
	s_waitcnt lgkmcnt(0)
	v_mul_f64 v[103:104], v[101:102], v[105:106]
	v_fma_f64 v[103:104], v[99:100], v[97:98], -v[103:104]
	v_mul_f64 v[99:100], v[99:100], v[105:106]
	v_fma_f64 v[99:100], v[101:102], v[97:98], v[99:100]
	s_waitcnt vmcnt(2)
	v_add_f64 v[69:70], v[69:70], -v[103:104]
	s_waitcnt vmcnt(0)
	v_add_f64 v[71:72], v[71:72], -v[99:100]
	buffer_store_dword v69, off, s[20:23], 0 offset:80 ; 4-byte Folded Spill
	s_nop 0
	buffer_store_dword v70, off, s[20:23], 0 offset:84 ; 4-byte Folded Spill
	buffer_store_dword v71, off, s[20:23], 0 offset:88 ; 4-byte Folded Spill
	buffer_store_dword v72, off, s[20:23], 0 offset:92 ; 4-byte Folded Spill
	ds_read2_b64 v[99:102], v125 offset0:42 offset1:43
	;; [unrolled: 19-line block ×4, first 2 shown]
	v_mov_b32_e32 v69, v73
	v_mov_b32_e32 v70, v74
	;; [unrolled: 1-line block ×4, first 2 shown]
	s_waitcnt lgkmcnt(0)
	v_mul_f64 v[103:104], v[101:102], v[105:106]
	v_fma_f64 v[103:104], v[99:100], v[97:98], -v[103:104]
	v_mul_f64 v[99:100], v[99:100], v[105:106]
	v_add_f64 v[121:122], v[121:122], -v[103:104]
	v_fma_f64 v[99:100], v[101:102], v[97:98], v[99:100]
	v_add_f64 v[123:124], v[123:124], -v[99:100]
	ds_read2_b64 v[99:102], v125 offset0:48 offset1:49
	s_waitcnt lgkmcnt(0)
	v_mul_f64 v[103:104], v[101:102], v[105:106]
	v_fma_f64 v[103:104], v[99:100], v[97:98], -v[103:104]
	v_mul_f64 v[99:100], v[99:100], v[105:106]
	v_add_f64 v[117:118], v[117:118], -v[103:104]
	v_fma_f64 v[99:100], v[101:102], v[97:98], v[99:100]
	v_add_f64 v[119:120], v[119:120], -v[99:100]
	ds_read2_b64 v[99:102], v125 offset0:50 offset1:51
	;; [unrolled: 8-line block ×5, first 2 shown]
	buffer_load_dword v77, off, s[20:23], 0 offset:32 ; 4-byte Folded Reload
	buffer_load_dword v78, off, s[20:23], 0 offset:36 ; 4-byte Folded Reload
	;; [unrolled: 1-line block ×4, first 2 shown]
	s_waitcnt lgkmcnt(0)
	v_mul_f64 v[103:104], v[101:102], v[105:106]
	v_fma_f64 v[103:104], v[99:100], v[97:98], -v[103:104]
	v_mul_f64 v[99:100], v[99:100], v[105:106]
	v_fma_f64 v[99:100], v[101:102], v[97:98], v[99:100]
	s_waitcnt vmcnt(2)
	v_add_f64 v[77:78], v[77:78], -v[103:104]
	s_waitcnt vmcnt(0)
	v_add_f64 v[79:80], v[79:80], -v[99:100]
	buffer_store_dword v77, off, s[20:23], 0 offset:32 ; 4-byte Folded Spill
	s_nop 0
	buffer_store_dword v78, off, s[20:23], 0 offset:36 ; 4-byte Folded Spill
	buffer_store_dword v79, off, s[20:23], 0 offset:40 ; 4-byte Folded Spill
	;; [unrolled: 1-line block ×3, first 2 shown]
	ds_read2_b64 v[99:102], v125 offset0:58 offset1:59
	buffer_load_dword v73, off, s[20:23], 0 offset:16 ; 4-byte Folded Reload
	buffer_load_dword v74, off, s[20:23], 0 offset:20 ; 4-byte Folded Reload
	;; [unrolled: 1-line block ×4, first 2 shown]
	s_waitcnt lgkmcnt(0)
	v_mul_f64 v[103:104], v[101:102], v[105:106]
	v_fma_f64 v[103:104], v[99:100], v[97:98], -v[103:104]
	v_mul_f64 v[99:100], v[99:100], v[105:106]
	v_fma_f64 v[99:100], v[101:102], v[97:98], v[99:100]
	s_waitcnt vmcnt(2)
	v_add_f64 v[73:74], v[73:74], -v[103:104]
	s_waitcnt vmcnt(0)
	v_add_f64 v[75:76], v[75:76], -v[99:100]
	buffer_store_dword v73, off, s[20:23], 0 offset:16 ; 4-byte Folded Spill
	s_nop 0
	buffer_store_dword v74, off, s[20:23], 0 offset:20 ; 4-byte Folded Spill
	buffer_store_dword v75, off, s[20:23], 0 offset:24 ; 4-byte Folded Spill
	;; [unrolled: 1-line block ×3, first 2 shown]
	v_mov_b32_e32 v76, v72
	v_mov_b32_e32 v75, v71
	;; [unrolled: 1-line block ×4, first 2 shown]
	ds_read2_b64 v[99:102], v125 offset0:60 offset1:61
	buffer_load_dword v69, off, s[20:23], 0 ; 4-byte Folded Reload
	buffer_load_dword v70, off, s[20:23], 0 offset:4 ; 4-byte Folded Reload
	buffer_load_dword v71, off, s[20:23], 0 offset:8 ; 4-byte Folded Reload
	;; [unrolled: 1-line block ×3, first 2 shown]
	s_waitcnt lgkmcnt(0)
	v_mul_f64 v[103:104], v[101:102], v[105:106]
	v_fma_f64 v[103:104], v[99:100], v[97:98], -v[103:104]
	v_mul_f64 v[99:100], v[99:100], v[105:106]
	v_fma_f64 v[99:100], v[101:102], v[97:98], v[99:100]
	s_waitcnt vmcnt(2)
	v_add_f64 v[69:70], v[69:70], -v[103:104]
	s_waitcnt vmcnt(0)
	v_add_f64 v[71:72], v[71:72], -v[99:100]
	buffer_store_dword v69, off, s[20:23], 0 ; 4-byte Folded Spill
	s_nop 0
	buffer_store_dword v70, off, s[20:23], 0 offset:4 ; 4-byte Folded Spill
	buffer_store_dword v71, off, s[20:23], 0 offset:8 ; 4-byte Folded Spill
	;; [unrolled: 1-line block ×3, first 2 shown]
	ds_read2_b64 v[99:102], v125 offset0:62 offset1:63
	s_waitcnt lgkmcnt(0)
	v_mul_f64 v[103:104], v[101:102], v[105:106]
	v_fma_f64 v[103:104], v[99:100], v[97:98], -v[103:104]
	v_mul_f64 v[99:100], v[99:100], v[105:106]
	v_add_f64 v[65:66], v[65:66], -v[103:104]
	v_fma_f64 v[99:100], v[101:102], v[97:98], v[99:100]
	v_add_f64 v[67:68], v[67:68], -v[99:100]
	ds_read2_b64 v[99:102], v125 offset0:64 offset1:65
	s_waitcnt lgkmcnt(0)
	v_mul_f64 v[103:104], v[101:102], v[105:106]
	v_fma_f64 v[103:104], v[99:100], v[97:98], -v[103:104]
	v_mul_f64 v[99:100], v[99:100], v[105:106]
	v_add_f64 v[61:62], v[61:62], -v[103:104]
	v_fma_f64 v[99:100], v[101:102], v[97:98], v[99:100]
	v_add_f64 v[63:64], v[63:64], -v[99:100]
	;; [unrolled: 8-line block ×17, first 2 shown]
	ds_read2_b64 v[99:102], v125 offset0:96 offset1:97
	s_waitcnt lgkmcnt(0)
	v_mul_f64 v[103:104], v[101:102], v[105:106]
	v_fma_f64 v[103:104], v[99:100], v[97:98], -v[103:104]
	v_mul_f64 v[99:100], v[99:100], v[105:106]
	v_add_f64 v[73:74], v[73:74], -v[103:104]
	v_fma_f64 v[99:100], v[101:102], v[97:98], v[99:100]
	v_mov_b32_e32 v104, v98
	v_mov_b32_e32 v103, v97
	buffer_store_dword v103, off, s[20:23], 0 offset:112 ; 4-byte Folded Spill
	s_nop 0
	buffer_store_dword v104, off, s[20:23], 0 offset:116 ; 4-byte Folded Spill
	buffer_store_dword v105, off, s[20:23], 0 offset:120 ; 4-byte Folded Spill
	;; [unrolled: 1-line block ×3, first 2 shown]
	v_add_f64 v[75:76], v[75:76], -v[99:100]
.LBB97_172:
	s_or_b64 exec, exec, s[2:3]
	v_cmp_eq_u32_e32 vcc, 19, v0
	s_waitcnt vmcnt(0)
	s_barrier
	s_and_saveexec_b64 s[4:5], vcc
	s_cbranch_execz .LBB97_179
; %bb.173:
	buffer_load_dword v69, off, s[20:23], 0 offset:96 ; 4-byte Folded Reload
	buffer_load_dword v70, off, s[20:23], 0 offset:100 ; 4-byte Folded Reload
	buffer_load_dword v71, off, s[20:23], 0 offset:104 ; 4-byte Folded Reload
	buffer_load_dword v72, off, s[20:23], 0 offset:108 ; 4-byte Folded Reload
	s_waitcnt vmcnt(0)
	ds_write2_b64 v127, v[69:70], v[71:72] offset1:1
	buffer_load_dword v69, off, s[20:23], 0 offset:80 ; 4-byte Folded Reload
	buffer_load_dword v70, off, s[20:23], 0 offset:84 ; 4-byte Folded Reload
	buffer_load_dword v71, off, s[20:23], 0 offset:88 ; 4-byte Folded Reload
	buffer_load_dword v72, off, s[20:23], 0 offset:92 ; 4-byte Folded Reload
	s_waitcnt vmcnt(0)
	ds_write2_b64 v125, v[69:70], v[71:72] offset0:40 offset1:41
	buffer_load_dword v69, off, s[20:23], 0 offset:64 ; 4-byte Folded Reload
	buffer_load_dword v70, off, s[20:23], 0 offset:68 ; 4-byte Folded Reload
	buffer_load_dword v71, off, s[20:23], 0 offset:72 ; 4-byte Folded Reload
	buffer_load_dword v72, off, s[20:23], 0 offset:76 ; 4-byte Folded Reload
	s_waitcnt vmcnt(0)
	ds_write2_b64 v125, v[69:70], v[71:72] offset0:42 offset1:43
	buffer_load_dword v69, off, s[20:23], 0 offset:48 ; 4-byte Folded Reload
	buffer_load_dword v70, off, s[20:23], 0 offset:52 ; 4-byte Folded Reload
	buffer_load_dword v71, off, s[20:23], 0 offset:56 ; 4-byte Folded Reload
	buffer_load_dword v72, off, s[20:23], 0 offset:60 ; 4-byte Folded Reload
	s_waitcnt vmcnt(0)
	ds_write2_b64 v125, v[69:70], v[71:72] offset0:44 offset1:45
	ds_write2_b64 v125, v[121:122], v[123:124] offset0:46 offset1:47
	ds_write2_b64 v125, v[117:118], v[119:120] offset0:48 offset1:49
	;; [unrolled: 1-line block ×5, first 2 shown]
	buffer_load_dword v77, off, s[20:23], 0 offset:32 ; 4-byte Folded Reload
	buffer_load_dword v78, off, s[20:23], 0 offset:36 ; 4-byte Folded Reload
	;; [unrolled: 1-line block ×4, first 2 shown]
	v_mov_b32_e32 v69, v73
	v_mov_b32_e32 v70, v74
	;; [unrolled: 1-line block ×4, first 2 shown]
	s_waitcnt vmcnt(0)
	ds_write2_b64 v125, v[77:78], v[79:80] offset0:56 offset1:57
	buffer_load_dword v73, off, s[20:23], 0 offset:16 ; 4-byte Folded Reload
	buffer_load_dword v74, off, s[20:23], 0 offset:20 ; 4-byte Folded Reload
	;; [unrolled: 1-line block ×4, first 2 shown]
	s_waitcnt vmcnt(0)
	ds_write2_b64 v125, v[73:74], v[75:76] offset0:58 offset1:59
	v_mov_b32_e32 v76, v72
	v_mov_b32_e32 v75, v71
	;; [unrolled: 1-line block ×4, first 2 shown]
	buffer_load_dword v69, off, s[20:23], 0 ; 4-byte Folded Reload
	buffer_load_dword v70, off, s[20:23], 0 offset:4 ; 4-byte Folded Reload
	buffer_load_dword v71, off, s[20:23], 0 offset:8 ; 4-byte Folded Reload
	;; [unrolled: 1-line block ×3, first 2 shown]
	s_waitcnt vmcnt(0)
	ds_write2_b64 v125, v[69:70], v[71:72] offset0:60 offset1:61
	ds_write2_b64 v125, v[65:66], v[67:68] offset0:62 offset1:63
	;; [unrolled: 1-line block ×19, first 2 shown]
	ds_read2_b64 v[97:100], v127 offset1:1
	s_waitcnt lgkmcnt(0)
	v_cmp_neq_f64_e32 vcc, 0, v[97:98]
	v_cmp_neq_f64_e64 s[2:3], 0, v[99:100]
	s_or_b64 s[2:3], vcc, s[2:3]
	s_and_b64 exec, exec, s[2:3]
	s_cbranch_execz .LBB97_179
; %bb.174:
	v_cmp_ngt_f64_e64 s[2:3], |v[97:98]|, |v[99:100]|
                                        ; implicit-def: $vgpr101_vgpr102
	s_and_saveexec_b64 s[6:7], s[2:3]
	s_xor_b64 s[2:3], exec, s[6:7]
                                        ; implicit-def: $vgpr103_vgpr104
	s_cbranch_execz .LBB97_176
; %bb.175:
	v_div_scale_f64 v[101:102], s[6:7], v[99:100], v[99:100], v[97:98]
	v_rcp_f64_e32 v[103:104], v[101:102]
	v_fma_f64 v[105:106], -v[101:102], v[103:104], 1.0
	v_fma_f64 v[103:104], v[103:104], v[105:106], v[103:104]
	v_div_scale_f64 v[105:106], vcc, v[97:98], v[99:100], v[97:98]
	v_fma_f64 v[107:108], -v[101:102], v[103:104], 1.0
	v_fma_f64 v[103:104], v[103:104], v[107:108], v[103:104]
	v_mul_f64 v[107:108], v[105:106], v[103:104]
	v_fma_f64 v[101:102], -v[101:102], v[107:108], v[105:106]
	v_div_fmas_f64 v[101:102], v[101:102], v[103:104], v[107:108]
	v_div_fixup_f64 v[101:102], v[101:102], v[99:100], v[97:98]
	v_fma_f64 v[97:98], v[97:98], v[101:102], v[99:100]
	v_div_scale_f64 v[99:100], s[6:7], v[97:98], v[97:98], 1.0
	v_div_scale_f64 v[107:108], vcc, 1.0, v[97:98], 1.0
	v_rcp_f64_e32 v[103:104], v[99:100]
	v_fma_f64 v[105:106], -v[99:100], v[103:104], 1.0
	v_fma_f64 v[103:104], v[103:104], v[105:106], v[103:104]
	v_fma_f64 v[105:106], -v[99:100], v[103:104], 1.0
	v_fma_f64 v[103:104], v[103:104], v[105:106], v[103:104]
	v_mul_f64 v[105:106], v[107:108], v[103:104]
	v_fma_f64 v[99:100], -v[99:100], v[105:106], v[107:108]
	v_div_fmas_f64 v[99:100], v[99:100], v[103:104], v[105:106]
	v_div_fixup_f64 v[103:104], v[99:100], v[97:98], 1.0
                                        ; implicit-def: $vgpr97_vgpr98
	v_mul_f64 v[101:102], v[101:102], v[103:104]
	v_xor_b32_e32 v104, 0x80000000, v104
.LBB97_176:
	s_andn2_saveexec_b64 s[2:3], s[2:3]
	s_cbranch_execz .LBB97_178
; %bb.177:
	v_div_scale_f64 v[101:102], s[6:7], v[97:98], v[97:98], v[99:100]
	v_rcp_f64_e32 v[103:104], v[101:102]
	v_fma_f64 v[105:106], -v[101:102], v[103:104], 1.0
	v_fma_f64 v[103:104], v[103:104], v[105:106], v[103:104]
	v_div_scale_f64 v[105:106], vcc, v[99:100], v[97:98], v[99:100]
	v_fma_f64 v[107:108], -v[101:102], v[103:104], 1.0
	v_fma_f64 v[103:104], v[103:104], v[107:108], v[103:104]
	v_mul_f64 v[107:108], v[105:106], v[103:104]
	v_fma_f64 v[101:102], -v[101:102], v[107:108], v[105:106]
	v_div_fmas_f64 v[101:102], v[101:102], v[103:104], v[107:108]
	v_div_fixup_f64 v[103:104], v[101:102], v[97:98], v[99:100]
	v_fma_f64 v[97:98], v[99:100], v[103:104], v[97:98]
	v_div_scale_f64 v[99:100], s[6:7], v[97:98], v[97:98], 1.0
	v_div_scale_f64 v[107:108], vcc, 1.0, v[97:98], 1.0
	v_rcp_f64_e32 v[101:102], v[99:100]
	v_fma_f64 v[105:106], -v[99:100], v[101:102], 1.0
	v_fma_f64 v[101:102], v[101:102], v[105:106], v[101:102]
	v_fma_f64 v[105:106], -v[99:100], v[101:102], 1.0
	v_fma_f64 v[101:102], v[101:102], v[105:106], v[101:102]
	v_mul_f64 v[105:106], v[107:108], v[101:102]
	v_fma_f64 v[99:100], -v[99:100], v[105:106], v[107:108]
	v_div_fmas_f64 v[99:100], v[99:100], v[101:102], v[105:106]
	v_div_fixup_f64 v[101:102], v[99:100], v[97:98], 1.0
	v_mul_f64 v[103:104], v[103:104], -v[101:102]
.LBB97_178:
	s_or_b64 exec, exec, s[2:3]
	ds_write2_b64 v127, v[101:102], v[103:104] offset1:1
.LBB97_179:
	s_or_b64 exec, exec, s[4:5]
	s_waitcnt lgkmcnt(0)
	s_barrier
	ds_read2_b64 v[69:72], v127 offset1:1
	v_cmp_lt_u32_e32 vcc, 19, v0
	s_waitcnt lgkmcnt(0)
	buffer_store_dword v69, off, s[20:23], 0 offset:1104 ; 4-byte Folded Spill
	s_nop 0
	buffer_store_dword v70, off, s[20:23], 0 offset:1108 ; 4-byte Folded Spill
	buffer_store_dword v71, off, s[20:23], 0 offset:1112 ; 4-byte Folded Spill
	;; [unrolled: 1-line block ×3, first 2 shown]
	s_and_saveexec_b64 s[2:3], vcc
	s_cbranch_execz .LBB97_181
; %bb.180:
	buffer_load_dword v103, off, s[20:23], 0 offset:96 ; 4-byte Folded Reload
	buffer_load_dword v104, off, s[20:23], 0 offset:100 ; 4-byte Folded Reload
	;; [unrolled: 1-line block ×8, first 2 shown]
	s_waitcnt vmcnt(2)
	v_mul_f64 v[99:100], v[69:70], v[105:106]
	s_waitcnt vmcnt(0)
	v_mul_f64 v[97:98], v[71:72], v[105:106]
	v_fma_f64 v[105:106], v[71:72], v[103:104], v[99:100]
	ds_read2_b64 v[99:102], v125 offset0:40 offset1:41
	v_fma_f64 v[97:98], v[69:70], v[103:104], -v[97:98]
	buffer_load_dword v69, off, s[20:23], 0 offset:80 ; 4-byte Folded Reload
	buffer_load_dword v70, off, s[20:23], 0 offset:84 ; 4-byte Folded Reload
	buffer_load_dword v71, off, s[20:23], 0 offset:88 ; 4-byte Folded Reload
	buffer_load_dword v72, off, s[20:23], 0 offset:92 ; 4-byte Folded Reload
	s_waitcnt lgkmcnt(0)
	v_mul_f64 v[103:104], v[101:102], v[105:106]
	v_fma_f64 v[103:104], v[99:100], v[97:98], -v[103:104]
	v_mul_f64 v[99:100], v[99:100], v[105:106]
	v_fma_f64 v[99:100], v[101:102], v[97:98], v[99:100]
	s_waitcnt vmcnt(2)
	v_add_f64 v[69:70], v[69:70], -v[103:104]
	s_waitcnt vmcnt(0)
	v_add_f64 v[71:72], v[71:72], -v[99:100]
	buffer_store_dword v69, off, s[20:23], 0 offset:80 ; 4-byte Folded Spill
	s_nop 0
	buffer_store_dword v70, off, s[20:23], 0 offset:84 ; 4-byte Folded Spill
	buffer_store_dword v71, off, s[20:23], 0 offset:88 ; 4-byte Folded Spill
	buffer_store_dword v72, off, s[20:23], 0 offset:92 ; 4-byte Folded Spill
	ds_read2_b64 v[99:102], v125 offset0:42 offset1:43
	buffer_load_dword v69, off, s[20:23], 0 offset:64 ; 4-byte Folded Reload
	buffer_load_dword v70, off, s[20:23], 0 offset:68 ; 4-byte Folded Reload
	buffer_load_dword v71, off, s[20:23], 0 offset:72 ; 4-byte Folded Reload
	buffer_load_dword v72, off, s[20:23], 0 offset:76 ; 4-byte Folded Reload
	s_waitcnt lgkmcnt(0)
	v_mul_f64 v[103:104], v[101:102], v[105:106]
	v_fma_f64 v[103:104], v[99:100], v[97:98], -v[103:104]
	v_mul_f64 v[99:100], v[99:100], v[105:106]
	v_fma_f64 v[99:100], v[101:102], v[97:98], v[99:100]
	s_waitcnt vmcnt(2)
	v_add_f64 v[69:70], v[69:70], -v[103:104]
	s_waitcnt vmcnt(0)
	v_add_f64 v[71:72], v[71:72], -v[99:100]
	buffer_store_dword v69, off, s[20:23], 0 offset:64 ; 4-byte Folded Spill
	s_nop 0
	buffer_store_dword v70, off, s[20:23], 0 offset:68 ; 4-byte Folded Spill
	buffer_store_dword v71, off, s[20:23], 0 offset:72 ; 4-byte Folded Spill
	buffer_store_dword v72, off, s[20:23], 0 offset:76 ; 4-byte Folded Spill
	ds_read2_b64 v[99:102], v125 offset0:44 offset1:45
	;; [unrolled: 19-line block ×3, first 2 shown]
	v_mov_b32_e32 v69, v73
	v_mov_b32_e32 v70, v74
	;; [unrolled: 1-line block ×4, first 2 shown]
	s_waitcnt lgkmcnt(0)
	v_mul_f64 v[103:104], v[101:102], v[105:106]
	v_fma_f64 v[103:104], v[99:100], v[97:98], -v[103:104]
	v_mul_f64 v[99:100], v[99:100], v[105:106]
	v_add_f64 v[121:122], v[121:122], -v[103:104]
	v_fma_f64 v[99:100], v[101:102], v[97:98], v[99:100]
	v_add_f64 v[123:124], v[123:124], -v[99:100]
	ds_read2_b64 v[99:102], v125 offset0:48 offset1:49
	s_waitcnt lgkmcnt(0)
	v_mul_f64 v[103:104], v[101:102], v[105:106]
	v_fma_f64 v[103:104], v[99:100], v[97:98], -v[103:104]
	v_mul_f64 v[99:100], v[99:100], v[105:106]
	v_add_f64 v[117:118], v[117:118], -v[103:104]
	v_fma_f64 v[99:100], v[101:102], v[97:98], v[99:100]
	v_add_f64 v[119:120], v[119:120], -v[99:100]
	ds_read2_b64 v[99:102], v125 offset0:50 offset1:51
	;; [unrolled: 8-line block ×5, first 2 shown]
	buffer_load_dword v77, off, s[20:23], 0 offset:32 ; 4-byte Folded Reload
	buffer_load_dword v78, off, s[20:23], 0 offset:36 ; 4-byte Folded Reload
	;; [unrolled: 1-line block ×4, first 2 shown]
	s_waitcnt lgkmcnt(0)
	v_mul_f64 v[103:104], v[101:102], v[105:106]
	v_fma_f64 v[103:104], v[99:100], v[97:98], -v[103:104]
	v_mul_f64 v[99:100], v[99:100], v[105:106]
	v_fma_f64 v[99:100], v[101:102], v[97:98], v[99:100]
	s_waitcnt vmcnt(2)
	v_add_f64 v[77:78], v[77:78], -v[103:104]
	s_waitcnt vmcnt(0)
	v_add_f64 v[79:80], v[79:80], -v[99:100]
	buffer_store_dword v77, off, s[20:23], 0 offset:32 ; 4-byte Folded Spill
	s_nop 0
	buffer_store_dword v78, off, s[20:23], 0 offset:36 ; 4-byte Folded Spill
	buffer_store_dword v79, off, s[20:23], 0 offset:40 ; 4-byte Folded Spill
	;; [unrolled: 1-line block ×3, first 2 shown]
	ds_read2_b64 v[99:102], v125 offset0:58 offset1:59
	buffer_load_dword v73, off, s[20:23], 0 offset:16 ; 4-byte Folded Reload
	buffer_load_dword v74, off, s[20:23], 0 offset:20 ; 4-byte Folded Reload
	;; [unrolled: 1-line block ×4, first 2 shown]
	s_waitcnt lgkmcnt(0)
	v_mul_f64 v[103:104], v[101:102], v[105:106]
	v_fma_f64 v[103:104], v[99:100], v[97:98], -v[103:104]
	v_mul_f64 v[99:100], v[99:100], v[105:106]
	v_fma_f64 v[99:100], v[101:102], v[97:98], v[99:100]
	s_waitcnt vmcnt(2)
	v_add_f64 v[73:74], v[73:74], -v[103:104]
	s_waitcnt vmcnt(0)
	v_add_f64 v[75:76], v[75:76], -v[99:100]
	buffer_store_dword v73, off, s[20:23], 0 offset:16 ; 4-byte Folded Spill
	s_nop 0
	buffer_store_dword v74, off, s[20:23], 0 offset:20 ; 4-byte Folded Spill
	buffer_store_dword v75, off, s[20:23], 0 offset:24 ; 4-byte Folded Spill
	;; [unrolled: 1-line block ×3, first 2 shown]
	v_mov_b32_e32 v76, v72
	v_mov_b32_e32 v75, v71
	;; [unrolled: 1-line block ×4, first 2 shown]
	ds_read2_b64 v[99:102], v125 offset0:60 offset1:61
	buffer_load_dword v69, off, s[20:23], 0 ; 4-byte Folded Reload
	buffer_load_dword v70, off, s[20:23], 0 offset:4 ; 4-byte Folded Reload
	buffer_load_dword v71, off, s[20:23], 0 offset:8 ; 4-byte Folded Reload
	;; [unrolled: 1-line block ×3, first 2 shown]
	s_waitcnt lgkmcnt(0)
	v_mul_f64 v[103:104], v[101:102], v[105:106]
	v_fma_f64 v[103:104], v[99:100], v[97:98], -v[103:104]
	v_mul_f64 v[99:100], v[99:100], v[105:106]
	v_fma_f64 v[99:100], v[101:102], v[97:98], v[99:100]
	s_waitcnt vmcnt(2)
	v_add_f64 v[69:70], v[69:70], -v[103:104]
	s_waitcnt vmcnt(0)
	v_add_f64 v[71:72], v[71:72], -v[99:100]
	buffer_store_dword v69, off, s[20:23], 0 ; 4-byte Folded Spill
	s_nop 0
	buffer_store_dword v70, off, s[20:23], 0 offset:4 ; 4-byte Folded Spill
	buffer_store_dword v71, off, s[20:23], 0 offset:8 ; 4-byte Folded Spill
	;; [unrolled: 1-line block ×3, first 2 shown]
	ds_read2_b64 v[99:102], v125 offset0:62 offset1:63
	s_waitcnt lgkmcnt(0)
	v_mul_f64 v[103:104], v[101:102], v[105:106]
	v_fma_f64 v[103:104], v[99:100], v[97:98], -v[103:104]
	v_mul_f64 v[99:100], v[99:100], v[105:106]
	v_add_f64 v[65:66], v[65:66], -v[103:104]
	v_fma_f64 v[99:100], v[101:102], v[97:98], v[99:100]
	v_add_f64 v[67:68], v[67:68], -v[99:100]
	ds_read2_b64 v[99:102], v125 offset0:64 offset1:65
	s_waitcnt lgkmcnt(0)
	v_mul_f64 v[103:104], v[101:102], v[105:106]
	v_fma_f64 v[103:104], v[99:100], v[97:98], -v[103:104]
	v_mul_f64 v[99:100], v[99:100], v[105:106]
	v_add_f64 v[61:62], v[61:62], -v[103:104]
	v_fma_f64 v[99:100], v[101:102], v[97:98], v[99:100]
	v_add_f64 v[63:64], v[63:64], -v[99:100]
	;; [unrolled: 8-line block ×17, first 2 shown]
	ds_read2_b64 v[99:102], v125 offset0:96 offset1:97
	s_waitcnt lgkmcnt(0)
	v_mul_f64 v[103:104], v[101:102], v[105:106]
	v_fma_f64 v[103:104], v[99:100], v[97:98], -v[103:104]
	v_mul_f64 v[99:100], v[99:100], v[105:106]
	v_add_f64 v[73:74], v[73:74], -v[103:104]
	v_fma_f64 v[99:100], v[101:102], v[97:98], v[99:100]
	v_mov_b32_e32 v104, v98
	v_mov_b32_e32 v103, v97
	buffer_store_dword v103, off, s[20:23], 0 offset:96 ; 4-byte Folded Spill
	s_nop 0
	buffer_store_dword v104, off, s[20:23], 0 offset:100 ; 4-byte Folded Spill
	buffer_store_dword v105, off, s[20:23], 0 offset:104 ; 4-byte Folded Spill
	;; [unrolled: 1-line block ×3, first 2 shown]
	v_add_f64 v[75:76], v[75:76], -v[99:100]
.LBB97_181:
	s_or_b64 exec, exec, s[2:3]
	v_cmp_eq_u32_e32 vcc, 20, v0
	s_waitcnt vmcnt(0)
	s_barrier
	s_and_saveexec_b64 s[4:5], vcc
	s_cbranch_execz .LBB97_188
; %bb.182:
	buffer_load_dword v69, off, s[20:23], 0 offset:80 ; 4-byte Folded Reload
	buffer_load_dword v70, off, s[20:23], 0 offset:84 ; 4-byte Folded Reload
	;; [unrolled: 1-line block ×4, first 2 shown]
	s_waitcnt vmcnt(0)
	ds_write2_b64 v127, v[69:70], v[71:72] offset1:1
	buffer_load_dword v69, off, s[20:23], 0 offset:64 ; 4-byte Folded Reload
	buffer_load_dword v70, off, s[20:23], 0 offset:68 ; 4-byte Folded Reload
	;; [unrolled: 1-line block ×4, first 2 shown]
	s_waitcnt vmcnt(0)
	ds_write2_b64 v125, v[69:70], v[71:72] offset0:42 offset1:43
	buffer_load_dword v69, off, s[20:23], 0 offset:48 ; 4-byte Folded Reload
	buffer_load_dword v70, off, s[20:23], 0 offset:52 ; 4-byte Folded Reload
	;; [unrolled: 1-line block ×4, first 2 shown]
	s_waitcnt vmcnt(0)
	ds_write2_b64 v125, v[69:70], v[71:72] offset0:44 offset1:45
	ds_write2_b64 v125, v[121:122], v[123:124] offset0:46 offset1:47
	;; [unrolled: 1-line block ×6, first 2 shown]
	buffer_load_dword v77, off, s[20:23], 0 offset:32 ; 4-byte Folded Reload
	buffer_load_dword v78, off, s[20:23], 0 offset:36 ; 4-byte Folded Reload
	buffer_load_dword v79, off, s[20:23], 0 offset:40 ; 4-byte Folded Reload
	buffer_load_dword v80, off, s[20:23], 0 offset:44 ; 4-byte Folded Reload
	v_mov_b32_e32 v69, v73
	v_mov_b32_e32 v70, v74
	;; [unrolled: 1-line block ×4, first 2 shown]
	s_waitcnt vmcnt(0)
	ds_write2_b64 v125, v[77:78], v[79:80] offset0:56 offset1:57
	buffer_load_dword v73, off, s[20:23], 0 offset:16 ; 4-byte Folded Reload
	buffer_load_dword v74, off, s[20:23], 0 offset:20 ; 4-byte Folded Reload
	;; [unrolled: 1-line block ×4, first 2 shown]
	s_waitcnt vmcnt(0)
	ds_write2_b64 v125, v[73:74], v[75:76] offset0:58 offset1:59
	v_mov_b32_e32 v76, v72
	v_mov_b32_e32 v75, v71
	;; [unrolled: 1-line block ×4, first 2 shown]
	buffer_load_dword v69, off, s[20:23], 0 ; 4-byte Folded Reload
	buffer_load_dword v70, off, s[20:23], 0 offset:4 ; 4-byte Folded Reload
	buffer_load_dword v71, off, s[20:23], 0 offset:8 ; 4-byte Folded Reload
	;; [unrolled: 1-line block ×3, first 2 shown]
	s_waitcnt vmcnt(0)
	ds_write2_b64 v125, v[69:70], v[71:72] offset0:60 offset1:61
	ds_write2_b64 v125, v[65:66], v[67:68] offset0:62 offset1:63
	;; [unrolled: 1-line block ×19, first 2 shown]
	ds_read2_b64 v[97:100], v127 offset1:1
	s_waitcnt lgkmcnt(0)
	v_cmp_neq_f64_e32 vcc, 0, v[97:98]
	v_cmp_neq_f64_e64 s[2:3], 0, v[99:100]
	s_or_b64 s[2:3], vcc, s[2:3]
	s_and_b64 exec, exec, s[2:3]
	s_cbranch_execz .LBB97_188
; %bb.183:
	v_cmp_ngt_f64_e64 s[2:3], |v[97:98]|, |v[99:100]|
                                        ; implicit-def: $vgpr101_vgpr102
	s_and_saveexec_b64 s[6:7], s[2:3]
	s_xor_b64 s[2:3], exec, s[6:7]
                                        ; implicit-def: $vgpr103_vgpr104
	s_cbranch_execz .LBB97_185
; %bb.184:
	v_div_scale_f64 v[101:102], s[6:7], v[99:100], v[99:100], v[97:98]
	v_rcp_f64_e32 v[103:104], v[101:102]
	v_fma_f64 v[105:106], -v[101:102], v[103:104], 1.0
	v_fma_f64 v[103:104], v[103:104], v[105:106], v[103:104]
	v_div_scale_f64 v[105:106], vcc, v[97:98], v[99:100], v[97:98]
	v_fma_f64 v[107:108], -v[101:102], v[103:104], 1.0
	v_fma_f64 v[103:104], v[103:104], v[107:108], v[103:104]
	v_mul_f64 v[107:108], v[105:106], v[103:104]
	v_fma_f64 v[101:102], -v[101:102], v[107:108], v[105:106]
	v_div_fmas_f64 v[101:102], v[101:102], v[103:104], v[107:108]
	v_div_fixup_f64 v[101:102], v[101:102], v[99:100], v[97:98]
	v_fma_f64 v[97:98], v[97:98], v[101:102], v[99:100]
	v_div_scale_f64 v[99:100], s[6:7], v[97:98], v[97:98], 1.0
	v_div_scale_f64 v[107:108], vcc, 1.0, v[97:98], 1.0
	v_rcp_f64_e32 v[103:104], v[99:100]
	v_fma_f64 v[105:106], -v[99:100], v[103:104], 1.0
	v_fma_f64 v[103:104], v[103:104], v[105:106], v[103:104]
	v_fma_f64 v[105:106], -v[99:100], v[103:104], 1.0
	v_fma_f64 v[103:104], v[103:104], v[105:106], v[103:104]
	v_mul_f64 v[105:106], v[107:108], v[103:104]
	v_fma_f64 v[99:100], -v[99:100], v[105:106], v[107:108]
	v_div_fmas_f64 v[99:100], v[99:100], v[103:104], v[105:106]
	v_div_fixup_f64 v[103:104], v[99:100], v[97:98], 1.0
                                        ; implicit-def: $vgpr97_vgpr98
	v_mul_f64 v[101:102], v[101:102], v[103:104]
	v_xor_b32_e32 v104, 0x80000000, v104
.LBB97_185:
	s_andn2_saveexec_b64 s[2:3], s[2:3]
	s_cbranch_execz .LBB97_187
; %bb.186:
	v_div_scale_f64 v[101:102], s[6:7], v[97:98], v[97:98], v[99:100]
	v_rcp_f64_e32 v[103:104], v[101:102]
	v_fma_f64 v[105:106], -v[101:102], v[103:104], 1.0
	v_fma_f64 v[103:104], v[103:104], v[105:106], v[103:104]
	v_div_scale_f64 v[105:106], vcc, v[99:100], v[97:98], v[99:100]
	v_fma_f64 v[107:108], -v[101:102], v[103:104], 1.0
	v_fma_f64 v[103:104], v[103:104], v[107:108], v[103:104]
	v_mul_f64 v[107:108], v[105:106], v[103:104]
	v_fma_f64 v[101:102], -v[101:102], v[107:108], v[105:106]
	v_div_fmas_f64 v[101:102], v[101:102], v[103:104], v[107:108]
	v_div_fixup_f64 v[103:104], v[101:102], v[97:98], v[99:100]
	v_fma_f64 v[97:98], v[99:100], v[103:104], v[97:98]
	v_div_scale_f64 v[99:100], s[6:7], v[97:98], v[97:98], 1.0
	v_div_scale_f64 v[107:108], vcc, 1.0, v[97:98], 1.0
	v_rcp_f64_e32 v[101:102], v[99:100]
	v_fma_f64 v[105:106], -v[99:100], v[101:102], 1.0
	v_fma_f64 v[101:102], v[101:102], v[105:106], v[101:102]
	v_fma_f64 v[105:106], -v[99:100], v[101:102], 1.0
	v_fma_f64 v[101:102], v[101:102], v[105:106], v[101:102]
	v_mul_f64 v[105:106], v[107:108], v[101:102]
	v_fma_f64 v[99:100], -v[99:100], v[105:106], v[107:108]
	v_div_fmas_f64 v[99:100], v[99:100], v[101:102], v[105:106]
	v_div_fixup_f64 v[101:102], v[99:100], v[97:98], 1.0
	v_mul_f64 v[103:104], v[103:104], -v[101:102]
.LBB97_187:
	s_or_b64 exec, exec, s[2:3]
	ds_write2_b64 v127, v[101:102], v[103:104] offset1:1
.LBB97_188:
	s_or_b64 exec, exec, s[4:5]
	s_waitcnt lgkmcnt(0)
	s_barrier
	ds_read2_b64 v[69:72], v127 offset1:1
	v_cmp_lt_u32_e32 vcc, 20, v0
	s_waitcnt lgkmcnt(0)
	buffer_store_dword v69, off, s[20:23], 0 offset:1120 ; 4-byte Folded Spill
	s_nop 0
	buffer_store_dword v70, off, s[20:23], 0 offset:1124 ; 4-byte Folded Spill
	buffer_store_dword v71, off, s[20:23], 0 offset:1128 ; 4-byte Folded Spill
	;; [unrolled: 1-line block ×3, first 2 shown]
	s_and_saveexec_b64 s[2:3], vcc
	s_cbranch_execz .LBB97_190
; %bb.189:
	buffer_load_dword v103, off, s[20:23], 0 offset:80 ; 4-byte Folded Reload
	buffer_load_dword v104, off, s[20:23], 0 offset:84 ; 4-byte Folded Reload
	;; [unrolled: 1-line block ×8, first 2 shown]
	s_waitcnt vmcnt(2)
	v_mul_f64 v[99:100], v[69:70], v[105:106]
	s_waitcnt vmcnt(0)
	v_mul_f64 v[97:98], v[71:72], v[105:106]
	v_fma_f64 v[105:106], v[71:72], v[103:104], v[99:100]
	ds_read2_b64 v[99:102], v125 offset0:42 offset1:43
	v_fma_f64 v[97:98], v[69:70], v[103:104], -v[97:98]
	buffer_load_dword v69, off, s[20:23], 0 offset:64 ; 4-byte Folded Reload
	buffer_load_dword v70, off, s[20:23], 0 offset:68 ; 4-byte Folded Reload
	;; [unrolled: 1-line block ×4, first 2 shown]
	s_waitcnt lgkmcnt(0)
	v_mul_f64 v[103:104], v[101:102], v[105:106]
	v_fma_f64 v[103:104], v[99:100], v[97:98], -v[103:104]
	v_mul_f64 v[99:100], v[99:100], v[105:106]
	v_fma_f64 v[99:100], v[101:102], v[97:98], v[99:100]
	s_waitcnt vmcnt(2)
	v_add_f64 v[69:70], v[69:70], -v[103:104]
	s_waitcnt vmcnt(0)
	v_add_f64 v[71:72], v[71:72], -v[99:100]
	buffer_store_dword v69, off, s[20:23], 0 offset:64 ; 4-byte Folded Spill
	s_nop 0
	buffer_store_dword v70, off, s[20:23], 0 offset:68 ; 4-byte Folded Spill
	buffer_store_dword v71, off, s[20:23], 0 offset:72 ; 4-byte Folded Spill
	;; [unrolled: 1-line block ×3, first 2 shown]
	ds_read2_b64 v[99:102], v125 offset0:44 offset1:45
	buffer_load_dword v69, off, s[20:23], 0 offset:48 ; 4-byte Folded Reload
	buffer_load_dword v70, off, s[20:23], 0 offset:52 ; 4-byte Folded Reload
	;; [unrolled: 1-line block ×4, first 2 shown]
	s_waitcnt lgkmcnt(0)
	v_mul_f64 v[103:104], v[101:102], v[105:106]
	v_fma_f64 v[103:104], v[99:100], v[97:98], -v[103:104]
	v_mul_f64 v[99:100], v[99:100], v[105:106]
	v_fma_f64 v[99:100], v[101:102], v[97:98], v[99:100]
	s_waitcnt vmcnt(2)
	v_add_f64 v[69:70], v[69:70], -v[103:104]
	s_waitcnt vmcnt(0)
	v_add_f64 v[71:72], v[71:72], -v[99:100]
	buffer_store_dword v69, off, s[20:23], 0 offset:48 ; 4-byte Folded Spill
	s_nop 0
	buffer_store_dword v70, off, s[20:23], 0 offset:52 ; 4-byte Folded Spill
	buffer_store_dword v71, off, s[20:23], 0 offset:56 ; 4-byte Folded Spill
	buffer_store_dword v72, off, s[20:23], 0 offset:60 ; 4-byte Folded Spill
	ds_read2_b64 v[99:102], v125 offset0:46 offset1:47
	v_mov_b32_e32 v69, v73
	v_mov_b32_e32 v70, v74
	;; [unrolled: 1-line block ×4, first 2 shown]
	s_waitcnt lgkmcnt(0)
	v_mul_f64 v[103:104], v[101:102], v[105:106]
	v_fma_f64 v[103:104], v[99:100], v[97:98], -v[103:104]
	v_mul_f64 v[99:100], v[99:100], v[105:106]
	v_add_f64 v[121:122], v[121:122], -v[103:104]
	v_fma_f64 v[99:100], v[101:102], v[97:98], v[99:100]
	v_add_f64 v[123:124], v[123:124], -v[99:100]
	ds_read2_b64 v[99:102], v125 offset0:48 offset1:49
	s_waitcnt lgkmcnt(0)
	v_mul_f64 v[103:104], v[101:102], v[105:106]
	v_fma_f64 v[103:104], v[99:100], v[97:98], -v[103:104]
	v_mul_f64 v[99:100], v[99:100], v[105:106]
	v_add_f64 v[117:118], v[117:118], -v[103:104]
	v_fma_f64 v[99:100], v[101:102], v[97:98], v[99:100]
	v_add_f64 v[119:120], v[119:120], -v[99:100]
	ds_read2_b64 v[99:102], v125 offset0:50 offset1:51
	;; [unrolled: 8-line block ×5, first 2 shown]
	buffer_load_dword v77, off, s[20:23], 0 offset:32 ; 4-byte Folded Reload
	buffer_load_dword v78, off, s[20:23], 0 offset:36 ; 4-byte Folded Reload
	;; [unrolled: 1-line block ×4, first 2 shown]
	s_waitcnt lgkmcnt(0)
	v_mul_f64 v[103:104], v[101:102], v[105:106]
	v_fma_f64 v[103:104], v[99:100], v[97:98], -v[103:104]
	v_mul_f64 v[99:100], v[99:100], v[105:106]
	v_fma_f64 v[99:100], v[101:102], v[97:98], v[99:100]
	s_waitcnt vmcnt(2)
	v_add_f64 v[77:78], v[77:78], -v[103:104]
	s_waitcnt vmcnt(0)
	v_add_f64 v[79:80], v[79:80], -v[99:100]
	buffer_store_dword v77, off, s[20:23], 0 offset:32 ; 4-byte Folded Spill
	s_nop 0
	buffer_store_dword v78, off, s[20:23], 0 offset:36 ; 4-byte Folded Spill
	buffer_store_dword v79, off, s[20:23], 0 offset:40 ; 4-byte Folded Spill
	;; [unrolled: 1-line block ×3, first 2 shown]
	ds_read2_b64 v[99:102], v125 offset0:58 offset1:59
	buffer_load_dword v73, off, s[20:23], 0 offset:16 ; 4-byte Folded Reload
	buffer_load_dword v74, off, s[20:23], 0 offset:20 ; 4-byte Folded Reload
	;; [unrolled: 1-line block ×4, first 2 shown]
	s_waitcnt lgkmcnt(0)
	v_mul_f64 v[103:104], v[101:102], v[105:106]
	v_fma_f64 v[103:104], v[99:100], v[97:98], -v[103:104]
	v_mul_f64 v[99:100], v[99:100], v[105:106]
	v_fma_f64 v[99:100], v[101:102], v[97:98], v[99:100]
	s_waitcnt vmcnt(2)
	v_add_f64 v[73:74], v[73:74], -v[103:104]
	s_waitcnt vmcnt(0)
	v_add_f64 v[75:76], v[75:76], -v[99:100]
	buffer_store_dword v73, off, s[20:23], 0 offset:16 ; 4-byte Folded Spill
	s_nop 0
	buffer_store_dword v74, off, s[20:23], 0 offset:20 ; 4-byte Folded Spill
	buffer_store_dword v75, off, s[20:23], 0 offset:24 ; 4-byte Folded Spill
	;; [unrolled: 1-line block ×3, first 2 shown]
	v_mov_b32_e32 v76, v72
	v_mov_b32_e32 v75, v71
	;; [unrolled: 1-line block ×4, first 2 shown]
	ds_read2_b64 v[99:102], v125 offset0:60 offset1:61
	buffer_load_dword v69, off, s[20:23], 0 ; 4-byte Folded Reload
	buffer_load_dword v70, off, s[20:23], 0 offset:4 ; 4-byte Folded Reload
	buffer_load_dword v71, off, s[20:23], 0 offset:8 ; 4-byte Folded Reload
	;; [unrolled: 1-line block ×3, first 2 shown]
	s_waitcnt lgkmcnt(0)
	v_mul_f64 v[103:104], v[101:102], v[105:106]
	v_fma_f64 v[103:104], v[99:100], v[97:98], -v[103:104]
	v_mul_f64 v[99:100], v[99:100], v[105:106]
	v_fma_f64 v[99:100], v[101:102], v[97:98], v[99:100]
	s_waitcnt vmcnt(2)
	v_add_f64 v[69:70], v[69:70], -v[103:104]
	s_waitcnt vmcnt(0)
	v_add_f64 v[71:72], v[71:72], -v[99:100]
	buffer_store_dword v69, off, s[20:23], 0 ; 4-byte Folded Spill
	s_nop 0
	buffer_store_dword v70, off, s[20:23], 0 offset:4 ; 4-byte Folded Spill
	buffer_store_dword v71, off, s[20:23], 0 offset:8 ; 4-byte Folded Spill
	;; [unrolled: 1-line block ×3, first 2 shown]
	ds_read2_b64 v[99:102], v125 offset0:62 offset1:63
	s_waitcnt lgkmcnt(0)
	v_mul_f64 v[103:104], v[101:102], v[105:106]
	v_fma_f64 v[103:104], v[99:100], v[97:98], -v[103:104]
	v_mul_f64 v[99:100], v[99:100], v[105:106]
	v_add_f64 v[65:66], v[65:66], -v[103:104]
	v_fma_f64 v[99:100], v[101:102], v[97:98], v[99:100]
	v_add_f64 v[67:68], v[67:68], -v[99:100]
	ds_read2_b64 v[99:102], v125 offset0:64 offset1:65
	s_waitcnt lgkmcnt(0)
	v_mul_f64 v[103:104], v[101:102], v[105:106]
	v_fma_f64 v[103:104], v[99:100], v[97:98], -v[103:104]
	v_mul_f64 v[99:100], v[99:100], v[105:106]
	v_add_f64 v[61:62], v[61:62], -v[103:104]
	v_fma_f64 v[99:100], v[101:102], v[97:98], v[99:100]
	v_add_f64 v[63:64], v[63:64], -v[99:100]
	;; [unrolled: 8-line block ×17, first 2 shown]
	ds_read2_b64 v[99:102], v125 offset0:96 offset1:97
	s_waitcnt lgkmcnt(0)
	v_mul_f64 v[103:104], v[101:102], v[105:106]
	v_fma_f64 v[103:104], v[99:100], v[97:98], -v[103:104]
	v_mul_f64 v[99:100], v[99:100], v[105:106]
	v_add_f64 v[73:74], v[73:74], -v[103:104]
	v_fma_f64 v[99:100], v[101:102], v[97:98], v[99:100]
	v_mov_b32_e32 v104, v98
	v_mov_b32_e32 v103, v97
	buffer_store_dword v103, off, s[20:23], 0 offset:80 ; 4-byte Folded Spill
	s_nop 0
	buffer_store_dword v104, off, s[20:23], 0 offset:84 ; 4-byte Folded Spill
	buffer_store_dword v105, off, s[20:23], 0 offset:88 ; 4-byte Folded Spill
	;; [unrolled: 1-line block ×3, first 2 shown]
	v_add_f64 v[75:76], v[75:76], -v[99:100]
.LBB97_190:
	s_or_b64 exec, exec, s[2:3]
	v_cmp_eq_u32_e32 vcc, 21, v0
	s_waitcnt vmcnt(0)
	s_barrier
	s_and_saveexec_b64 s[4:5], vcc
	s_cbranch_execz .LBB97_197
; %bb.191:
	buffer_load_dword v69, off, s[20:23], 0 offset:64 ; 4-byte Folded Reload
	buffer_load_dword v70, off, s[20:23], 0 offset:68 ; 4-byte Folded Reload
	;; [unrolled: 1-line block ×4, first 2 shown]
	s_waitcnt vmcnt(0)
	ds_write2_b64 v127, v[69:70], v[71:72] offset1:1
	buffer_load_dword v69, off, s[20:23], 0 offset:48 ; 4-byte Folded Reload
	buffer_load_dword v70, off, s[20:23], 0 offset:52 ; 4-byte Folded Reload
	;; [unrolled: 1-line block ×4, first 2 shown]
	s_waitcnt vmcnt(0)
	ds_write2_b64 v125, v[69:70], v[71:72] offset0:44 offset1:45
	ds_write2_b64 v125, v[121:122], v[123:124] offset0:46 offset1:47
	;; [unrolled: 1-line block ×6, first 2 shown]
	buffer_load_dword v77, off, s[20:23], 0 offset:32 ; 4-byte Folded Reload
	buffer_load_dword v78, off, s[20:23], 0 offset:36 ; 4-byte Folded Reload
	;; [unrolled: 1-line block ×4, first 2 shown]
	v_mov_b32_e32 v69, v73
	v_mov_b32_e32 v70, v74
	;; [unrolled: 1-line block ×4, first 2 shown]
	s_waitcnt vmcnt(0)
	ds_write2_b64 v125, v[77:78], v[79:80] offset0:56 offset1:57
	buffer_load_dword v73, off, s[20:23], 0 offset:16 ; 4-byte Folded Reload
	buffer_load_dword v74, off, s[20:23], 0 offset:20 ; 4-byte Folded Reload
	;; [unrolled: 1-line block ×4, first 2 shown]
	s_waitcnt vmcnt(0)
	ds_write2_b64 v125, v[73:74], v[75:76] offset0:58 offset1:59
	v_mov_b32_e32 v76, v72
	v_mov_b32_e32 v75, v71
	;; [unrolled: 1-line block ×4, first 2 shown]
	buffer_load_dword v69, off, s[20:23], 0 ; 4-byte Folded Reload
	buffer_load_dword v70, off, s[20:23], 0 offset:4 ; 4-byte Folded Reload
	buffer_load_dword v71, off, s[20:23], 0 offset:8 ; 4-byte Folded Reload
	buffer_load_dword v72, off, s[20:23], 0 offset:12 ; 4-byte Folded Reload
	s_waitcnt vmcnt(0)
	ds_write2_b64 v125, v[69:70], v[71:72] offset0:60 offset1:61
	ds_write2_b64 v125, v[65:66], v[67:68] offset0:62 offset1:63
	;; [unrolled: 1-line block ×19, first 2 shown]
	ds_read2_b64 v[97:100], v127 offset1:1
	s_waitcnt lgkmcnt(0)
	v_cmp_neq_f64_e32 vcc, 0, v[97:98]
	v_cmp_neq_f64_e64 s[2:3], 0, v[99:100]
	s_or_b64 s[2:3], vcc, s[2:3]
	s_and_b64 exec, exec, s[2:3]
	s_cbranch_execz .LBB97_197
; %bb.192:
	v_cmp_ngt_f64_e64 s[2:3], |v[97:98]|, |v[99:100]|
                                        ; implicit-def: $vgpr101_vgpr102
	s_and_saveexec_b64 s[6:7], s[2:3]
	s_xor_b64 s[2:3], exec, s[6:7]
                                        ; implicit-def: $vgpr103_vgpr104
	s_cbranch_execz .LBB97_194
; %bb.193:
	v_div_scale_f64 v[101:102], s[6:7], v[99:100], v[99:100], v[97:98]
	v_rcp_f64_e32 v[103:104], v[101:102]
	v_fma_f64 v[105:106], -v[101:102], v[103:104], 1.0
	v_fma_f64 v[103:104], v[103:104], v[105:106], v[103:104]
	v_div_scale_f64 v[105:106], vcc, v[97:98], v[99:100], v[97:98]
	v_fma_f64 v[107:108], -v[101:102], v[103:104], 1.0
	v_fma_f64 v[103:104], v[103:104], v[107:108], v[103:104]
	v_mul_f64 v[107:108], v[105:106], v[103:104]
	v_fma_f64 v[101:102], -v[101:102], v[107:108], v[105:106]
	v_div_fmas_f64 v[101:102], v[101:102], v[103:104], v[107:108]
	v_div_fixup_f64 v[101:102], v[101:102], v[99:100], v[97:98]
	v_fma_f64 v[97:98], v[97:98], v[101:102], v[99:100]
	v_div_scale_f64 v[99:100], s[6:7], v[97:98], v[97:98], 1.0
	v_div_scale_f64 v[107:108], vcc, 1.0, v[97:98], 1.0
	v_rcp_f64_e32 v[103:104], v[99:100]
	v_fma_f64 v[105:106], -v[99:100], v[103:104], 1.0
	v_fma_f64 v[103:104], v[103:104], v[105:106], v[103:104]
	v_fma_f64 v[105:106], -v[99:100], v[103:104], 1.0
	v_fma_f64 v[103:104], v[103:104], v[105:106], v[103:104]
	v_mul_f64 v[105:106], v[107:108], v[103:104]
	v_fma_f64 v[99:100], -v[99:100], v[105:106], v[107:108]
	v_div_fmas_f64 v[99:100], v[99:100], v[103:104], v[105:106]
	v_div_fixup_f64 v[103:104], v[99:100], v[97:98], 1.0
                                        ; implicit-def: $vgpr97_vgpr98
	v_mul_f64 v[101:102], v[101:102], v[103:104]
	v_xor_b32_e32 v104, 0x80000000, v104
.LBB97_194:
	s_andn2_saveexec_b64 s[2:3], s[2:3]
	s_cbranch_execz .LBB97_196
; %bb.195:
	v_div_scale_f64 v[101:102], s[6:7], v[97:98], v[97:98], v[99:100]
	v_rcp_f64_e32 v[103:104], v[101:102]
	v_fma_f64 v[105:106], -v[101:102], v[103:104], 1.0
	v_fma_f64 v[103:104], v[103:104], v[105:106], v[103:104]
	v_div_scale_f64 v[105:106], vcc, v[99:100], v[97:98], v[99:100]
	v_fma_f64 v[107:108], -v[101:102], v[103:104], 1.0
	v_fma_f64 v[103:104], v[103:104], v[107:108], v[103:104]
	v_mul_f64 v[107:108], v[105:106], v[103:104]
	v_fma_f64 v[101:102], -v[101:102], v[107:108], v[105:106]
	v_div_fmas_f64 v[101:102], v[101:102], v[103:104], v[107:108]
	v_div_fixup_f64 v[103:104], v[101:102], v[97:98], v[99:100]
	v_fma_f64 v[97:98], v[99:100], v[103:104], v[97:98]
	v_div_scale_f64 v[99:100], s[6:7], v[97:98], v[97:98], 1.0
	v_div_scale_f64 v[107:108], vcc, 1.0, v[97:98], 1.0
	v_rcp_f64_e32 v[101:102], v[99:100]
	v_fma_f64 v[105:106], -v[99:100], v[101:102], 1.0
	v_fma_f64 v[101:102], v[101:102], v[105:106], v[101:102]
	v_fma_f64 v[105:106], -v[99:100], v[101:102], 1.0
	v_fma_f64 v[101:102], v[101:102], v[105:106], v[101:102]
	v_mul_f64 v[105:106], v[107:108], v[101:102]
	v_fma_f64 v[99:100], -v[99:100], v[105:106], v[107:108]
	v_div_fmas_f64 v[99:100], v[99:100], v[101:102], v[105:106]
	v_div_fixup_f64 v[101:102], v[99:100], v[97:98], 1.0
	v_mul_f64 v[103:104], v[103:104], -v[101:102]
.LBB97_196:
	s_or_b64 exec, exec, s[2:3]
	ds_write2_b64 v127, v[101:102], v[103:104] offset1:1
.LBB97_197:
	s_or_b64 exec, exec, s[4:5]
	s_waitcnt lgkmcnt(0)
	s_barrier
	ds_read2_b64 v[69:72], v127 offset1:1
	v_cmp_lt_u32_e32 vcc, 21, v0
	s_waitcnt lgkmcnt(0)
	buffer_store_dword v69, off, s[20:23], 0 offset:1136 ; 4-byte Folded Spill
	s_nop 0
	buffer_store_dword v70, off, s[20:23], 0 offset:1140 ; 4-byte Folded Spill
	buffer_store_dword v71, off, s[20:23], 0 offset:1144 ; 4-byte Folded Spill
	buffer_store_dword v72, off, s[20:23], 0 offset:1148 ; 4-byte Folded Spill
	s_and_saveexec_b64 s[2:3], vcc
	s_cbranch_execz .LBB97_199
; %bb.198:
	buffer_load_dword v103, off, s[20:23], 0 offset:64 ; 4-byte Folded Reload
	buffer_load_dword v104, off, s[20:23], 0 offset:68 ; 4-byte Folded Reload
	;; [unrolled: 1-line block ×8, first 2 shown]
	s_waitcnt vmcnt(2)
	v_mul_f64 v[99:100], v[69:70], v[105:106]
	s_waitcnt vmcnt(0)
	v_mul_f64 v[97:98], v[71:72], v[105:106]
	v_fma_f64 v[105:106], v[71:72], v[103:104], v[99:100]
	ds_read2_b64 v[99:102], v125 offset0:44 offset1:45
	v_fma_f64 v[97:98], v[69:70], v[103:104], -v[97:98]
	buffer_load_dword v69, off, s[20:23], 0 offset:48 ; 4-byte Folded Reload
	buffer_load_dword v70, off, s[20:23], 0 offset:52 ; 4-byte Folded Reload
	;; [unrolled: 1-line block ×4, first 2 shown]
	s_waitcnt lgkmcnt(0)
	v_mul_f64 v[103:104], v[101:102], v[105:106]
	v_fma_f64 v[103:104], v[99:100], v[97:98], -v[103:104]
	v_mul_f64 v[99:100], v[99:100], v[105:106]
	v_fma_f64 v[99:100], v[101:102], v[97:98], v[99:100]
	s_waitcnt vmcnt(2)
	v_add_f64 v[69:70], v[69:70], -v[103:104]
	s_waitcnt vmcnt(0)
	v_add_f64 v[71:72], v[71:72], -v[99:100]
	buffer_store_dword v69, off, s[20:23], 0 offset:48 ; 4-byte Folded Spill
	s_nop 0
	buffer_store_dword v70, off, s[20:23], 0 offset:52 ; 4-byte Folded Spill
	buffer_store_dword v71, off, s[20:23], 0 offset:56 ; 4-byte Folded Spill
	;; [unrolled: 1-line block ×3, first 2 shown]
	ds_read2_b64 v[99:102], v125 offset0:46 offset1:47
	v_mov_b32_e32 v69, v73
	v_mov_b32_e32 v70, v74
	v_mov_b32_e32 v71, v75
	v_mov_b32_e32 v72, v76
	s_waitcnt lgkmcnt(0)
	v_mul_f64 v[103:104], v[101:102], v[105:106]
	v_fma_f64 v[103:104], v[99:100], v[97:98], -v[103:104]
	v_mul_f64 v[99:100], v[99:100], v[105:106]
	v_add_f64 v[121:122], v[121:122], -v[103:104]
	v_fma_f64 v[99:100], v[101:102], v[97:98], v[99:100]
	v_add_f64 v[123:124], v[123:124], -v[99:100]
	ds_read2_b64 v[99:102], v125 offset0:48 offset1:49
	s_waitcnt lgkmcnt(0)
	v_mul_f64 v[103:104], v[101:102], v[105:106]
	v_fma_f64 v[103:104], v[99:100], v[97:98], -v[103:104]
	v_mul_f64 v[99:100], v[99:100], v[105:106]
	v_add_f64 v[117:118], v[117:118], -v[103:104]
	v_fma_f64 v[99:100], v[101:102], v[97:98], v[99:100]
	v_add_f64 v[119:120], v[119:120], -v[99:100]
	ds_read2_b64 v[99:102], v125 offset0:50 offset1:51
	;; [unrolled: 8-line block ×5, first 2 shown]
	buffer_load_dword v77, off, s[20:23], 0 offset:32 ; 4-byte Folded Reload
	buffer_load_dword v78, off, s[20:23], 0 offset:36 ; 4-byte Folded Reload
	;; [unrolled: 1-line block ×4, first 2 shown]
	s_waitcnt lgkmcnt(0)
	v_mul_f64 v[103:104], v[101:102], v[105:106]
	v_fma_f64 v[103:104], v[99:100], v[97:98], -v[103:104]
	v_mul_f64 v[99:100], v[99:100], v[105:106]
	v_fma_f64 v[99:100], v[101:102], v[97:98], v[99:100]
	s_waitcnt vmcnt(2)
	v_add_f64 v[77:78], v[77:78], -v[103:104]
	s_waitcnt vmcnt(0)
	v_add_f64 v[79:80], v[79:80], -v[99:100]
	buffer_store_dword v77, off, s[20:23], 0 offset:32 ; 4-byte Folded Spill
	s_nop 0
	buffer_store_dword v78, off, s[20:23], 0 offset:36 ; 4-byte Folded Spill
	buffer_store_dword v79, off, s[20:23], 0 offset:40 ; 4-byte Folded Spill
	;; [unrolled: 1-line block ×3, first 2 shown]
	ds_read2_b64 v[99:102], v125 offset0:58 offset1:59
	buffer_load_dword v73, off, s[20:23], 0 offset:16 ; 4-byte Folded Reload
	buffer_load_dword v74, off, s[20:23], 0 offset:20 ; 4-byte Folded Reload
	;; [unrolled: 1-line block ×4, first 2 shown]
	s_waitcnt lgkmcnt(0)
	v_mul_f64 v[103:104], v[101:102], v[105:106]
	v_fma_f64 v[103:104], v[99:100], v[97:98], -v[103:104]
	v_mul_f64 v[99:100], v[99:100], v[105:106]
	v_fma_f64 v[99:100], v[101:102], v[97:98], v[99:100]
	s_waitcnt vmcnt(2)
	v_add_f64 v[73:74], v[73:74], -v[103:104]
	s_waitcnt vmcnt(0)
	v_add_f64 v[75:76], v[75:76], -v[99:100]
	buffer_store_dword v73, off, s[20:23], 0 offset:16 ; 4-byte Folded Spill
	s_nop 0
	buffer_store_dword v74, off, s[20:23], 0 offset:20 ; 4-byte Folded Spill
	buffer_store_dword v75, off, s[20:23], 0 offset:24 ; 4-byte Folded Spill
	;; [unrolled: 1-line block ×3, first 2 shown]
	v_mov_b32_e32 v76, v72
	v_mov_b32_e32 v75, v71
	;; [unrolled: 1-line block ×4, first 2 shown]
	ds_read2_b64 v[99:102], v125 offset0:60 offset1:61
	buffer_load_dword v69, off, s[20:23], 0 ; 4-byte Folded Reload
	buffer_load_dword v70, off, s[20:23], 0 offset:4 ; 4-byte Folded Reload
	buffer_load_dword v71, off, s[20:23], 0 offset:8 ; 4-byte Folded Reload
	;; [unrolled: 1-line block ×3, first 2 shown]
	s_waitcnt lgkmcnt(0)
	v_mul_f64 v[103:104], v[101:102], v[105:106]
	v_fma_f64 v[103:104], v[99:100], v[97:98], -v[103:104]
	v_mul_f64 v[99:100], v[99:100], v[105:106]
	v_fma_f64 v[99:100], v[101:102], v[97:98], v[99:100]
	s_waitcnt vmcnt(2)
	v_add_f64 v[69:70], v[69:70], -v[103:104]
	s_waitcnt vmcnt(0)
	v_add_f64 v[71:72], v[71:72], -v[99:100]
	buffer_store_dword v69, off, s[20:23], 0 ; 4-byte Folded Spill
	s_nop 0
	buffer_store_dword v70, off, s[20:23], 0 offset:4 ; 4-byte Folded Spill
	buffer_store_dword v71, off, s[20:23], 0 offset:8 ; 4-byte Folded Spill
	;; [unrolled: 1-line block ×3, first 2 shown]
	ds_read2_b64 v[99:102], v125 offset0:62 offset1:63
	s_waitcnt lgkmcnt(0)
	v_mul_f64 v[103:104], v[101:102], v[105:106]
	v_fma_f64 v[103:104], v[99:100], v[97:98], -v[103:104]
	v_mul_f64 v[99:100], v[99:100], v[105:106]
	v_add_f64 v[65:66], v[65:66], -v[103:104]
	v_fma_f64 v[99:100], v[101:102], v[97:98], v[99:100]
	v_add_f64 v[67:68], v[67:68], -v[99:100]
	ds_read2_b64 v[99:102], v125 offset0:64 offset1:65
	s_waitcnt lgkmcnt(0)
	v_mul_f64 v[103:104], v[101:102], v[105:106]
	v_fma_f64 v[103:104], v[99:100], v[97:98], -v[103:104]
	v_mul_f64 v[99:100], v[99:100], v[105:106]
	v_add_f64 v[61:62], v[61:62], -v[103:104]
	v_fma_f64 v[99:100], v[101:102], v[97:98], v[99:100]
	v_add_f64 v[63:64], v[63:64], -v[99:100]
	;; [unrolled: 8-line block ×17, first 2 shown]
	ds_read2_b64 v[99:102], v125 offset0:96 offset1:97
	s_waitcnt lgkmcnt(0)
	v_mul_f64 v[103:104], v[101:102], v[105:106]
	v_fma_f64 v[103:104], v[99:100], v[97:98], -v[103:104]
	v_mul_f64 v[99:100], v[99:100], v[105:106]
	v_add_f64 v[73:74], v[73:74], -v[103:104]
	v_fma_f64 v[99:100], v[101:102], v[97:98], v[99:100]
	v_mov_b32_e32 v104, v98
	v_mov_b32_e32 v103, v97
	buffer_store_dword v103, off, s[20:23], 0 offset:64 ; 4-byte Folded Spill
	s_nop 0
	buffer_store_dword v104, off, s[20:23], 0 offset:68 ; 4-byte Folded Spill
	buffer_store_dword v105, off, s[20:23], 0 offset:72 ; 4-byte Folded Spill
	;; [unrolled: 1-line block ×3, first 2 shown]
	v_add_f64 v[75:76], v[75:76], -v[99:100]
.LBB97_199:
	s_or_b64 exec, exec, s[2:3]
	v_cmp_eq_u32_e32 vcc, 22, v0
	s_waitcnt vmcnt(0)
	s_barrier
	s_and_saveexec_b64 s[4:5], vcc
	s_cbranch_execz .LBB97_206
; %bb.200:
	buffer_load_dword v69, off, s[20:23], 0 offset:48 ; 4-byte Folded Reload
	buffer_load_dword v70, off, s[20:23], 0 offset:52 ; 4-byte Folded Reload
	;; [unrolled: 1-line block ×4, first 2 shown]
	s_waitcnt vmcnt(0)
	ds_write2_b64 v127, v[69:70], v[71:72] offset1:1
	ds_write2_b64 v125, v[121:122], v[123:124] offset0:46 offset1:47
	ds_write2_b64 v125, v[117:118], v[119:120] offset0:48 offset1:49
	;; [unrolled: 1-line block ×5, first 2 shown]
	buffer_load_dword v77, off, s[20:23], 0 offset:32 ; 4-byte Folded Reload
	buffer_load_dword v78, off, s[20:23], 0 offset:36 ; 4-byte Folded Reload
	;; [unrolled: 1-line block ×4, first 2 shown]
	v_mov_b32_e32 v69, v73
	v_mov_b32_e32 v70, v74
	;; [unrolled: 1-line block ×4, first 2 shown]
	s_waitcnt vmcnt(0)
	ds_write2_b64 v125, v[77:78], v[79:80] offset0:56 offset1:57
	buffer_load_dword v73, off, s[20:23], 0 offset:16 ; 4-byte Folded Reload
	buffer_load_dword v74, off, s[20:23], 0 offset:20 ; 4-byte Folded Reload
	;; [unrolled: 1-line block ×4, first 2 shown]
	s_waitcnt vmcnt(0)
	ds_write2_b64 v125, v[73:74], v[75:76] offset0:58 offset1:59
	v_mov_b32_e32 v76, v72
	v_mov_b32_e32 v75, v71
	;; [unrolled: 1-line block ×4, first 2 shown]
	buffer_load_dword v69, off, s[20:23], 0 ; 4-byte Folded Reload
	buffer_load_dword v70, off, s[20:23], 0 offset:4 ; 4-byte Folded Reload
	buffer_load_dword v71, off, s[20:23], 0 offset:8 ; 4-byte Folded Reload
	;; [unrolled: 1-line block ×3, first 2 shown]
	s_waitcnt vmcnt(0)
	ds_write2_b64 v125, v[69:70], v[71:72] offset0:60 offset1:61
	ds_write2_b64 v125, v[65:66], v[67:68] offset0:62 offset1:63
	;; [unrolled: 1-line block ×19, first 2 shown]
	ds_read2_b64 v[97:100], v127 offset1:1
	s_waitcnt lgkmcnt(0)
	v_cmp_neq_f64_e32 vcc, 0, v[97:98]
	v_cmp_neq_f64_e64 s[2:3], 0, v[99:100]
	s_or_b64 s[2:3], vcc, s[2:3]
	s_and_b64 exec, exec, s[2:3]
	s_cbranch_execz .LBB97_206
; %bb.201:
	v_cmp_ngt_f64_e64 s[2:3], |v[97:98]|, |v[99:100]|
                                        ; implicit-def: $vgpr101_vgpr102
	s_and_saveexec_b64 s[6:7], s[2:3]
	s_xor_b64 s[2:3], exec, s[6:7]
                                        ; implicit-def: $vgpr103_vgpr104
	s_cbranch_execz .LBB97_203
; %bb.202:
	v_div_scale_f64 v[101:102], s[6:7], v[99:100], v[99:100], v[97:98]
	v_rcp_f64_e32 v[103:104], v[101:102]
	v_fma_f64 v[105:106], -v[101:102], v[103:104], 1.0
	v_fma_f64 v[103:104], v[103:104], v[105:106], v[103:104]
	v_div_scale_f64 v[105:106], vcc, v[97:98], v[99:100], v[97:98]
	v_fma_f64 v[107:108], -v[101:102], v[103:104], 1.0
	v_fma_f64 v[103:104], v[103:104], v[107:108], v[103:104]
	v_mul_f64 v[107:108], v[105:106], v[103:104]
	v_fma_f64 v[101:102], -v[101:102], v[107:108], v[105:106]
	v_div_fmas_f64 v[101:102], v[101:102], v[103:104], v[107:108]
	v_div_fixup_f64 v[101:102], v[101:102], v[99:100], v[97:98]
	v_fma_f64 v[97:98], v[97:98], v[101:102], v[99:100]
	v_div_scale_f64 v[99:100], s[6:7], v[97:98], v[97:98], 1.0
	v_div_scale_f64 v[107:108], vcc, 1.0, v[97:98], 1.0
	v_rcp_f64_e32 v[103:104], v[99:100]
	v_fma_f64 v[105:106], -v[99:100], v[103:104], 1.0
	v_fma_f64 v[103:104], v[103:104], v[105:106], v[103:104]
	v_fma_f64 v[105:106], -v[99:100], v[103:104], 1.0
	v_fma_f64 v[103:104], v[103:104], v[105:106], v[103:104]
	v_mul_f64 v[105:106], v[107:108], v[103:104]
	v_fma_f64 v[99:100], -v[99:100], v[105:106], v[107:108]
	v_div_fmas_f64 v[99:100], v[99:100], v[103:104], v[105:106]
	v_div_fixup_f64 v[103:104], v[99:100], v[97:98], 1.0
                                        ; implicit-def: $vgpr97_vgpr98
	v_mul_f64 v[101:102], v[101:102], v[103:104]
	v_xor_b32_e32 v104, 0x80000000, v104
.LBB97_203:
	s_andn2_saveexec_b64 s[2:3], s[2:3]
	s_cbranch_execz .LBB97_205
; %bb.204:
	v_div_scale_f64 v[101:102], s[6:7], v[97:98], v[97:98], v[99:100]
	v_rcp_f64_e32 v[103:104], v[101:102]
	v_fma_f64 v[105:106], -v[101:102], v[103:104], 1.0
	v_fma_f64 v[103:104], v[103:104], v[105:106], v[103:104]
	v_div_scale_f64 v[105:106], vcc, v[99:100], v[97:98], v[99:100]
	v_fma_f64 v[107:108], -v[101:102], v[103:104], 1.0
	v_fma_f64 v[103:104], v[103:104], v[107:108], v[103:104]
	v_mul_f64 v[107:108], v[105:106], v[103:104]
	v_fma_f64 v[101:102], -v[101:102], v[107:108], v[105:106]
	v_div_fmas_f64 v[101:102], v[101:102], v[103:104], v[107:108]
	v_div_fixup_f64 v[103:104], v[101:102], v[97:98], v[99:100]
	v_fma_f64 v[97:98], v[99:100], v[103:104], v[97:98]
	v_div_scale_f64 v[99:100], s[6:7], v[97:98], v[97:98], 1.0
	v_div_scale_f64 v[107:108], vcc, 1.0, v[97:98], 1.0
	v_rcp_f64_e32 v[101:102], v[99:100]
	v_fma_f64 v[105:106], -v[99:100], v[101:102], 1.0
	v_fma_f64 v[101:102], v[101:102], v[105:106], v[101:102]
	v_fma_f64 v[105:106], -v[99:100], v[101:102], 1.0
	v_fma_f64 v[101:102], v[101:102], v[105:106], v[101:102]
	v_mul_f64 v[105:106], v[107:108], v[101:102]
	v_fma_f64 v[99:100], -v[99:100], v[105:106], v[107:108]
	v_div_fmas_f64 v[99:100], v[99:100], v[101:102], v[105:106]
	v_div_fixup_f64 v[101:102], v[99:100], v[97:98], 1.0
	v_mul_f64 v[103:104], v[103:104], -v[101:102]
.LBB97_205:
	s_or_b64 exec, exec, s[2:3]
	ds_write2_b64 v127, v[101:102], v[103:104] offset1:1
.LBB97_206:
	s_or_b64 exec, exec, s[4:5]
	s_waitcnt lgkmcnt(0)
	s_barrier
	ds_read2_b64 v[69:72], v127 offset1:1
	v_cmp_lt_u32_e32 vcc, 22, v0
	s_waitcnt lgkmcnt(0)
	buffer_store_dword v69, off, s[20:23], 0 offset:1152 ; 4-byte Folded Spill
	s_nop 0
	buffer_store_dword v70, off, s[20:23], 0 offset:1156 ; 4-byte Folded Spill
	buffer_store_dword v71, off, s[20:23], 0 offset:1160 ; 4-byte Folded Spill
	;; [unrolled: 1-line block ×3, first 2 shown]
	s_and_saveexec_b64 s[2:3], vcc
	s_cbranch_execz .LBB97_208
; %bb.207:
	buffer_load_dword v103, off, s[20:23], 0 offset:48 ; 4-byte Folded Reload
	buffer_load_dword v104, off, s[20:23], 0 offset:52 ; 4-byte Folded Reload
	;; [unrolled: 1-line block ×8, first 2 shown]
	s_waitcnt vmcnt(2)
	v_mul_f64 v[99:100], v[69:70], v[105:106]
	s_waitcnt vmcnt(0)
	v_mul_f64 v[97:98], v[71:72], v[105:106]
	v_fma_f64 v[105:106], v[71:72], v[103:104], v[99:100]
	ds_read2_b64 v[99:102], v125 offset0:46 offset1:47
	v_fma_f64 v[97:98], v[69:70], v[103:104], -v[97:98]
	v_mov_b32_e32 v69, v73
	v_mov_b32_e32 v70, v74
	;; [unrolled: 1-line block ×4, first 2 shown]
	s_waitcnt lgkmcnt(0)
	v_mul_f64 v[103:104], v[101:102], v[105:106]
	v_fma_f64 v[103:104], v[99:100], v[97:98], -v[103:104]
	v_mul_f64 v[99:100], v[99:100], v[105:106]
	v_add_f64 v[121:122], v[121:122], -v[103:104]
	v_fma_f64 v[99:100], v[101:102], v[97:98], v[99:100]
	v_add_f64 v[123:124], v[123:124], -v[99:100]
	ds_read2_b64 v[99:102], v125 offset0:48 offset1:49
	s_waitcnt lgkmcnt(0)
	v_mul_f64 v[103:104], v[101:102], v[105:106]
	v_fma_f64 v[103:104], v[99:100], v[97:98], -v[103:104]
	v_mul_f64 v[99:100], v[99:100], v[105:106]
	v_add_f64 v[117:118], v[117:118], -v[103:104]
	v_fma_f64 v[99:100], v[101:102], v[97:98], v[99:100]
	v_add_f64 v[119:120], v[119:120], -v[99:100]
	ds_read2_b64 v[99:102], v125 offset0:50 offset1:51
	;; [unrolled: 8-line block ×5, first 2 shown]
	buffer_load_dword v77, off, s[20:23], 0 offset:32 ; 4-byte Folded Reload
	buffer_load_dword v78, off, s[20:23], 0 offset:36 ; 4-byte Folded Reload
	;; [unrolled: 1-line block ×4, first 2 shown]
	s_waitcnt lgkmcnt(0)
	v_mul_f64 v[103:104], v[101:102], v[105:106]
	v_fma_f64 v[103:104], v[99:100], v[97:98], -v[103:104]
	v_mul_f64 v[99:100], v[99:100], v[105:106]
	v_fma_f64 v[99:100], v[101:102], v[97:98], v[99:100]
	s_waitcnt vmcnt(2)
	v_add_f64 v[77:78], v[77:78], -v[103:104]
	s_waitcnt vmcnt(0)
	v_add_f64 v[79:80], v[79:80], -v[99:100]
	buffer_store_dword v77, off, s[20:23], 0 offset:32 ; 4-byte Folded Spill
	s_nop 0
	buffer_store_dword v78, off, s[20:23], 0 offset:36 ; 4-byte Folded Spill
	buffer_store_dword v79, off, s[20:23], 0 offset:40 ; 4-byte Folded Spill
	;; [unrolled: 1-line block ×3, first 2 shown]
	ds_read2_b64 v[99:102], v125 offset0:58 offset1:59
	buffer_load_dword v73, off, s[20:23], 0 offset:16 ; 4-byte Folded Reload
	buffer_load_dword v74, off, s[20:23], 0 offset:20 ; 4-byte Folded Reload
	;; [unrolled: 1-line block ×4, first 2 shown]
	s_waitcnt lgkmcnt(0)
	v_mul_f64 v[103:104], v[101:102], v[105:106]
	v_fma_f64 v[103:104], v[99:100], v[97:98], -v[103:104]
	v_mul_f64 v[99:100], v[99:100], v[105:106]
	v_fma_f64 v[99:100], v[101:102], v[97:98], v[99:100]
	s_waitcnt vmcnt(2)
	v_add_f64 v[73:74], v[73:74], -v[103:104]
	s_waitcnt vmcnt(0)
	v_add_f64 v[75:76], v[75:76], -v[99:100]
	buffer_store_dword v73, off, s[20:23], 0 offset:16 ; 4-byte Folded Spill
	s_nop 0
	buffer_store_dword v74, off, s[20:23], 0 offset:20 ; 4-byte Folded Spill
	buffer_store_dword v75, off, s[20:23], 0 offset:24 ; 4-byte Folded Spill
	;; [unrolled: 1-line block ×3, first 2 shown]
	v_mov_b32_e32 v76, v72
	v_mov_b32_e32 v75, v71
	;; [unrolled: 1-line block ×4, first 2 shown]
	ds_read2_b64 v[99:102], v125 offset0:60 offset1:61
	buffer_load_dword v69, off, s[20:23], 0 ; 4-byte Folded Reload
	buffer_load_dword v70, off, s[20:23], 0 offset:4 ; 4-byte Folded Reload
	buffer_load_dword v71, off, s[20:23], 0 offset:8 ; 4-byte Folded Reload
	;; [unrolled: 1-line block ×3, first 2 shown]
	s_waitcnt lgkmcnt(0)
	v_mul_f64 v[103:104], v[101:102], v[105:106]
	v_fma_f64 v[103:104], v[99:100], v[97:98], -v[103:104]
	v_mul_f64 v[99:100], v[99:100], v[105:106]
	v_fma_f64 v[99:100], v[101:102], v[97:98], v[99:100]
	s_waitcnt vmcnt(2)
	v_add_f64 v[69:70], v[69:70], -v[103:104]
	s_waitcnt vmcnt(0)
	v_add_f64 v[71:72], v[71:72], -v[99:100]
	buffer_store_dword v69, off, s[20:23], 0 ; 4-byte Folded Spill
	s_nop 0
	buffer_store_dword v70, off, s[20:23], 0 offset:4 ; 4-byte Folded Spill
	buffer_store_dword v71, off, s[20:23], 0 offset:8 ; 4-byte Folded Spill
	;; [unrolled: 1-line block ×3, first 2 shown]
	ds_read2_b64 v[99:102], v125 offset0:62 offset1:63
	s_waitcnt lgkmcnt(0)
	v_mul_f64 v[103:104], v[101:102], v[105:106]
	v_fma_f64 v[103:104], v[99:100], v[97:98], -v[103:104]
	v_mul_f64 v[99:100], v[99:100], v[105:106]
	v_add_f64 v[65:66], v[65:66], -v[103:104]
	v_fma_f64 v[99:100], v[101:102], v[97:98], v[99:100]
	v_add_f64 v[67:68], v[67:68], -v[99:100]
	ds_read2_b64 v[99:102], v125 offset0:64 offset1:65
	s_waitcnt lgkmcnt(0)
	v_mul_f64 v[103:104], v[101:102], v[105:106]
	v_fma_f64 v[103:104], v[99:100], v[97:98], -v[103:104]
	v_mul_f64 v[99:100], v[99:100], v[105:106]
	v_add_f64 v[61:62], v[61:62], -v[103:104]
	v_fma_f64 v[99:100], v[101:102], v[97:98], v[99:100]
	v_add_f64 v[63:64], v[63:64], -v[99:100]
	;; [unrolled: 8-line block ×17, first 2 shown]
	ds_read2_b64 v[99:102], v125 offset0:96 offset1:97
	s_waitcnt lgkmcnt(0)
	v_mul_f64 v[103:104], v[101:102], v[105:106]
	v_fma_f64 v[103:104], v[99:100], v[97:98], -v[103:104]
	v_mul_f64 v[99:100], v[99:100], v[105:106]
	v_add_f64 v[73:74], v[73:74], -v[103:104]
	v_fma_f64 v[99:100], v[101:102], v[97:98], v[99:100]
	v_mov_b32_e32 v104, v98
	v_mov_b32_e32 v103, v97
	buffer_store_dword v103, off, s[20:23], 0 offset:48 ; 4-byte Folded Spill
	s_nop 0
	buffer_store_dword v104, off, s[20:23], 0 offset:52 ; 4-byte Folded Spill
	buffer_store_dword v105, off, s[20:23], 0 offset:56 ; 4-byte Folded Spill
	;; [unrolled: 1-line block ×3, first 2 shown]
	v_add_f64 v[75:76], v[75:76], -v[99:100]
.LBB97_208:
	s_or_b64 exec, exec, s[2:3]
	v_cmp_eq_u32_e32 vcc, 23, v0
	s_waitcnt vmcnt(0)
	s_barrier
	s_and_saveexec_b64 s[4:5], vcc
	s_cbranch_execz .LBB97_215
; %bb.209:
	ds_write2_b64 v127, v[121:122], v[123:124] offset1:1
	ds_write2_b64 v125, v[117:118], v[119:120] offset0:48 offset1:49
	ds_write2_b64 v125, v[109:110], v[111:112] offset0:50 offset1:51
	;; [unrolled: 1-line block ×4, first 2 shown]
	buffer_load_dword v77, off, s[20:23], 0 offset:32 ; 4-byte Folded Reload
	buffer_load_dword v78, off, s[20:23], 0 offset:36 ; 4-byte Folded Reload
	;; [unrolled: 1-line block ×4, first 2 shown]
	v_mov_b32_e32 v69, v73
	v_mov_b32_e32 v70, v74
	;; [unrolled: 1-line block ×4, first 2 shown]
	s_waitcnt vmcnt(0)
	ds_write2_b64 v125, v[77:78], v[79:80] offset0:56 offset1:57
	buffer_load_dword v73, off, s[20:23], 0 offset:16 ; 4-byte Folded Reload
	buffer_load_dword v74, off, s[20:23], 0 offset:20 ; 4-byte Folded Reload
	;; [unrolled: 1-line block ×4, first 2 shown]
	s_waitcnt vmcnt(0)
	ds_write2_b64 v125, v[73:74], v[75:76] offset0:58 offset1:59
	v_mov_b32_e32 v76, v72
	v_mov_b32_e32 v75, v71
	;; [unrolled: 1-line block ×4, first 2 shown]
	buffer_load_dword v69, off, s[20:23], 0 ; 4-byte Folded Reload
	buffer_load_dword v70, off, s[20:23], 0 offset:4 ; 4-byte Folded Reload
	buffer_load_dword v71, off, s[20:23], 0 offset:8 ; 4-byte Folded Reload
	;; [unrolled: 1-line block ×3, first 2 shown]
	s_waitcnt vmcnt(0)
	ds_write2_b64 v125, v[69:70], v[71:72] offset0:60 offset1:61
	ds_write2_b64 v125, v[65:66], v[67:68] offset0:62 offset1:63
	ds_write2_b64 v125, v[61:62], v[63:64] offset0:64 offset1:65
	ds_write2_b64 v125, v[57:58], v[59:60] offset0:66 offset1:67
	ds_write2_b64 v125, v[53:54], v[55:56] offset0:68 offset1:69
	ds_write2_b64 v125, v[49:50], v[51:52] offset0:70 offset1:71
	ds_write2_b64 v125, v[45:46], v[47:48] offset0:72 offset1:73
	ds_write2_b64 v125, v[41:42], v[43:44] offset0:74 offset1:75
	ds_write2_b64 v125, v[37:38], v[39:40] offset0:76 offset1:77
	ds_write2_b64 v125, v[33:34], v[35:36] offset0:78 offset1:79
	ds_write2_b64 v125, v[29:30], v[31:32] offset0:80 offset1:81
	ds_write2_b64 v125, v[25:26], v[27:28] offset0:82 offset1:83
	ds_write2_b64 v125, v[21:22], v[23:24] offset0:84 offset1:85
	ds_write2_b64 v125, v[17:18], v[19:20] offset0:86 offset1:87
	ds_write2_b64 v125, v[13:14], v[15:16] offset0:88 offset1:89
	ds_write2_b64 v125, v[9:10], v[11:12] offset0:90 offset1:91
	ds_write2_b64 v125, v[5:6], v[7:8] offset0:92 offset1:93
	ds_write2_b64 v125, v[1:2], v[3:4] offset0:94 offset1:95
	ds_write2_b64 v125, v[73:74], v[75:76] offset0:96 offset1:97
	ds_read2_b64 v[97:100], v127 offset1:1
	s_waitcnt lgkmcnt(0)
	v_cmp_neq_f64_e32 vcc, 0, v[97:98]
	v_cmp_neq_f64_e64 s[2:3], 0, v[99:100]
	s_or_b64 s[2:3], vcc, s[2:3]
	s_and_b64 exec, exec, s[2:3]
	s_cbranch_execz .LBB97_215
; %bb.210:
	v_cmp_ngt_f64_e64 s[2:3], |v[97:98]|, |v[99:100]|
                                        ; implicit-def: $vgpr101_vgpr102
	s_and_saveexec_b64 s[6:7], s[2:3]
	s_xor_b64 s[2:3], exec, s[6:7]
                                        ; implicit-def: $vgpr103_vgpr104
	s_cbranch_execz .LBB97_212
; %bb.211:
	v_div_scale_f64 v[101:102], s[6:7], v[99:100], v[99:100], v[97:98]
	v_rcp_f64_e32 v[103:104], v[101:102]
	v_fma_f64 v[105:106], -v[101:102], v[103:104], 1.0
	v_fma_f64 v[103:104], v[103:104], v[105:106], v[103:104]
	v_div_scale_f64 v[105:106], vcc, v[97:98], v[99:100], v[97:98]
	v_fma_f64 v[107:108], -v[101:102], v[103:104], 1.0
	v_fma_f64 v[103:104], v[103:104], v[107:108], v[103:104]
	v_mul_f64 v[107:108], v[105:106], v[103:104]
	v_fma_f64 v[101:102], -v[101:102], v[107:108], v[105:106]
	v_div_fmas_f64 v[101:102], v[101:102], v[103:104], v[107:108]
	v_div_fixup_f64 v[101:102], v[101:102], v[99:100], v[97:98]
	v_fma_f64 v[97:98], v[97:98], v[101:102], v[99:100]
	v_div_scale_f64 v[99:100], s[6:7], v[97:98], v[97:98], 1.0
	v_div_scale_f64 v[107:108], vcc, 1.0, v[97:98], 1.0
	v_rcp_f64_e32 v[103:104], v[99:100]
	v_fma_f64 v[105:106], -v[99:100], v[103:104], 1.0
	v_fma_f64 v[103:104], v[103:104], v[105:106], v[103:104]
	v_fma_f64 v[105:106], -v[99:100], v[103:104], 1.0
	v_fma_f64 v[103:104], v[103:104], v[105:106], v[103:104]
	v_mul_f64 v[105:106], v[107:108], v[103:104]
	v_fma_f64 v[99:100], -v[99:100], v[105:106], v[107:108]
	v_div_fmas_f64 v[99:100], v[99:100], v[103:104], v[105:106]
	v_div_fixup_f64 v[103:104], v[99:100], v[97:98], 1.0
                                        ; implicit-def: $vgpr97_vgpr98
	v_mul_f64 v[101:102], v[101:102], v[103:104]
	v_xor_b32_e32 v104, 0x80000000, v104
.LBB97_212:
	s_andn2_saveexec_b64 s[2:3], s[2:3]
	s_cbranch_execz .LBB97_214
; %bb.213:
	v_div_scale_f64 v[101:102], s[6:7], v[97:98], v[97:98], v[99:100]
	v_rcp_f64_e32 v[103:104], v[101:102]
	v_fma_f64 v[105:106], -v[101:102], v[103:104], 1.0
	v_fma_f64 v[103:104], v[103:104], v[105:106], v[103:104]
	v_div_scale_f64 v[105:106], vcc, v[99:100], v[97:98], v[99:100]
	v_fma_f64 v[107:108], -v[101:102], v[103:104], 1.0
	v_fma_f64 v[103:104], v[103:104], v[107:108], v[103:104]
	v_mul_f64 v[107:108], v[105:106], v[103:104]
	v_fma_f64 v[101:102], -v[101:102], v[107:108], v[105:106]
	v_div_fmas_f64 v[101:102], v[101:102], v[103:104], v[107:108]
	v_div_fixup_f64 v[103:104], v[101:102], v[97:98], v[99:100]
	v_fma_f64 v[97:98], v[99:100], v[103:104], v[97:98]
	v_div_scale_f64 v[99:100], s[6:7], v[97:98], v[97:98], 1.0
	v_div_scale_f64 v[107:108], vcc, 1.0, v[97:98], 1.0
	v_rcp_f64_e32 v[101:102], v[99:100]
	v_fma_f64 v[105:106], -v[99:100], v[101:102], 1.0
	v_fma_f64 v[101:102], v[101:102], v[105:106], v[101:102]
	v_fma_f64 v[105:106], -v[99:100], v[101:102], 1.0
	v_fma_f64 v[101:102], v[101:102], v[105:106], v[101:102]
	v_mul_f64 v[105:106], v[107:108], v[101:102]
	v_fma_f64 v[99:100], -v[99:100], v[105:106], v[107:108]
	v_div_fmas_f64 v[99:100], v[99:100], v[101:102], v[105:106]
	v_div_fixup_f64 v[101:102], v[99:100], v[97:98], 1.0
	v_mul_f64 v[103:104], v[103:104], -v[101:102]
.LBB97_214:
	s_or_b64 exec, exec, s[2:3]
	ds_write2_b64 v127, v[101:102], v[103:104] offset1:1
.LBB97_215:
	s_or_b64 exec, exec, s[4:5]
	s_waitcnt lgkmcnt(0)
	s_barrier
	ds_read2_b64 v[69:72], v127 offset1:1
	v_cmp_lt_u32_e32 vcc, 23, v0
	s_waitcnt lgkmcnt(0)
	buffer_store_dword v69, off, s[20:23], 0 offset:1168 ; 4-byte Folded Spill
	s_nop 0
	buffer_store_dword v70, off, s[20:23], 0 offset:1172 ; 4-byte Folded Spill
	buffer_store_dword v71, off, s[20:23], 0 offset:1176 ; 4-byte Folded Spill
	;; [unrolled: 1-line block ×3, first 2 shown]
	s_and_saveexec_b64 s[2:3], vcc
	s_cbranch_execz .LBB97_217
; %bb.216:
	buffer_load_dword v69, off, s[20:23], 0 offset:1168 ; 4-byte Folded Reload
	buffer_load_dword v70, off, s[20:23], 0 offset:1172 ; 4-byte Folded Reload
	;; [unrolled: 1-line block ×4, first 2 shown]
	s_waitcnt vmcnt(2)
	v_mul_f64 v[99:100], v[69:70], v[123:124]
	s_waitcnt vmcnt(0)
	v_mul_f64 v[97:98], v[71:72], v[123:124]
	v_fma_f64 v[123:124], v[71:72], v[121:122], v[99:100]
	ds_read2_b64 v[99:102], v125 offset0:48 offset1:49
	v_fma_f64 v[97:98], v[69:70], v[121:122], -v[97:98]
	v_mov_b32_e32 v69, v73
	v_mov_b32_e32 v70, v74
	;; [unrolled: 1-line block ×4, first 2 shown]
	s_waitcnt lgkmcnt(0)
	v_mul_f64 v[103:104], v[101:102], v[123:124]
	v_mov_b32_e32 v122, v98
	v_mov_b32_e32 v121, v97
	v_fma_f64 v[103:104], v[99:100], v[97:98], -v[103:104]
	v_mul_f64 v[99:100], v[99:100], v[123:124]
	v_add_f64 v[117:118], v[117:118], -v[103:104]
	v_fma_f64 v[99:100], v[101:102], v[97:98], v[99:100]
	v_add_f64 v[119:120], v[119:120], -v[99:100]
	ds_read2_b64 v[99:102], v125 offset0:50 offset1:51
	s_waitcnt lgkmcnt(0)
	v_mul_f64 v[103:104], v[101:102], v[123:124]
	v_fma_f64 v[103:104], v[99:100], v[97:98], -v[103:104]
	v_mul_f64 v[99:100], v[99:100], v[123:124]
	v_add_f64 v[109:110], v[109:110], -v[103:104]
	v_fma_f64 v[99:100], v[101:102], v[97:98], v[99:100]
	v_add_f64 v[111:112], v[111:112], -v[99:100]
	ds_read2_b64 v[99:102], v125 offset0:52 offset1:53
	s_waitcnt lgkmcnt(0)
	v_mul_f64 v[103:104], v[101:102], v[123:124]
	;; [unrolled: 8-line block ×3, first 2 shown]
	v_fma_f64 v[103:104], v[99:100], v[97:98], -v[103:104]
	v_mul_f64 v[99:100], v[99:100], v[123:124]
	v_add_f64 v[93:94], v[93:94], -v[103:104]
	v_fma_f64 v[99:100], v[101:102], v[97:98], v[99:100]
	v_add_f64 v[95:96], v[95:96], -v[99:100]
	ds_read2_b64 v[99:102], v125 offset0:56 offset1:57
	buffer_load_dword v77, off, s[20:23], 0 offset:32 ; 4-byte Folded Reload
	buffer_load_dword v78, off, s[20:23], 0 offset:36 ; 4-byte Folded Reload
	;; [unrolled: 1-line block ×4, first 2 shown]
	s_waitcnt lgkmcnt(0)
	v_mul_f64 v[103:104], v[101:102], v[123:124]
	v_fma_f64 v[103:104], v[99:100], v[97:98], -v[103:104]
	v_mul_f64 v[99:100], v[99:100], v[123:124]
	v_fma_f64 v[99:100], v[101:102], v[97:98], v[99:100]
	s_waitcnt vmcnt(2)
	v_add_f64 v[77:78], v[77:78], -v[103:104]
	s_waitcnt vmcnt(0)
	v_add_f64 v[79:80], v[79:80], -v[99:100]
	buffer_store_dword v77, off, s[20:23], 0 offset:32 ; 4-byte Folded Spill
	s_nop 0
	buffer_store_dword v78, off, s[20:23], 0 offset:36 ; 4-byte Folded Spill
	buffer_store_dword v79, off, s[20:23], 0 offset:40 ; 4-byte Folded Spill
	;; [unrolled: 1-line block ×3, first 2 shown]
	ds_read2_b64 v[99:102], v125 offset0:58 offset1:59
	buffer_load_dword v73, off, s[20:23], 0 offset:16 ; 4-byte Folded Reload
	buffer_load_dword v74, off, s[20:23], 0 offset:20 ; 4-byte Folded Reload
	;; [unrolled: 1-line block ×4, first 2 shown]
	s_waitcnt lgkmcnt(0)
	v_mul_f64 v[103:104], v[101:102], v[123:124]
	v_fma_f64 v[103:104], v[99:100], v[97:98], -v[103:104]
	v_mul_f64 v[99:100], v[99:100], v[123:124]
	v_fma_f64 v[99:100], v[101:102], v[97:98], v[99:100]
	s_waitcnt vmcnt(2)
	v_add_f64 v[73:74], v[73:74], -v[103:104]
	s_waitcnt vmcnt(0)
	v_add_f64 v[75:76], v[75:76], -v[99:100]
	buffer_store_dword v73, off, s[20:23], 0 offset:16 ; 4-byte Folded Spill
	s_nop 0
	buffer_store_dword v74, off, s[20:23], 0 offset:20 ; 4-byte Folded Spill
	buffer_store_dword v75, off, s[20:23], 0 offset:24 ; 4-byte Folded Spill
	;; [unrolled: 1-line block ×3, first 2 shown]
	v_mov_b32_e32 v76, v72
	v_mov_b32_e32 v75, v71
	;; [unrolled: 1-line block ×4, first 2 shown]
	ds_read2_b64 v[99:102], v125 offset0:60 offset1:61
	buffer_load_dword v69, off, s[20:23], 0 ; 4-byte Folded Reload
	buffer_load_dword v70, off, s[20:23], 0 offset:4 ; 4-byte Folded Reload
	buffer_load_dword v71, off, s[20:23], 0 offset:8 ; 4-byte Folded Reload
	;; [unrolled: 1-line block ×3, first 2 shown]
	s_waitcnt lgkmcnt(0)
	v_mul_f64 v[103:104], v[101:102], v[123:124]
	v_fma_f64 v[103:104], v[99:100], v[97:98], -v[103:104]
	v_mul_f64 v[99:100], v[99:100], v[123:124]
	v_fma_f64 v[99:100], v[101:102], v[97:98], v[99:100]
	s_waitcnt vmcnt(2)
	v_add_f64 v[69:70], v[69:70], -v[103:104]
	s_waitcnt vmcnt(0)
	v_add_f64 v[71:72], v[71:72], -v[99:100]
	buffer_store_dword v69, off, s[20:23], 0 ; 4-byte Folded Spill
	s_nop 0
	buffer_store_dword v70, off, s[20:23], 0 offset:4 ; 4-byte Folded Spill
	buffer_store_dword v71, off, s[20:23], 0 offset:8 ; 4-byte Folded Spill
	;; [unrolled: 1-line block ×3, first 2 shown]
	ds_read2_b64 v[99:102], v125 offset0:62 offset1:63
	s_waitcnt lgkmcnt(0)
	v_mul_f64 v[103:104], v[101:102], v[123:124]
	v_fma_f64 v[103:104], v[99:100], v[97:98], -v[103:104]
	v_mul_f64 v[99:100], v[99:100], v[123:124]
	v_add_f64 v[65:66], v[65:66], -v[103:104]
	v_fma_f64 v[99:100], v[101:102], v[97:98], v[99:100]
	v_add_f64 v[67:68], v[67:68], -v[99:100]
	ds_read2_b64 v[99:102], v125 offset0:64 offset1:65
	s_waitcnt lgkmcnt(0)
	v_mul_f64 v[103:104], v[101:102], v[123:124]
	v_fma_f64 v[103:104], v[99:100], v[97:98], -v[103:104]
	v_mul_f64 v[99:100], v[99:100], v[123:124]
	v_add_f64 v[61:62], v[61:62], -v[103:104]
	v_fma_f64 v[99:100], v[101:102], v[97:98], v[99:100]
	v_add_f64 v[63:64], v[63:64], -v[99:100]
	;; [unrolled: 8-line block ×18, first 2 shown]
.LBB97_217:
	s_or_b64 exec, exec, s[2:3]
	v_cmp_eq_u32_e32 vcc, 24, v0
	s_waitcnt vmcnt(0)
	s_barrier
	s_and_saveexec_b64 s[4:5], vcc
	s_cbranch_execz .LBB97_224
; %bb.218:
	ds_write2_b64 v127, v[117:118], v[119:120] offset1:1
	ds_write2_b64 v125, v[109:110], v[111:112] offset0:50 offset1:51
	ds_write2_b64 v125, v[113:114], v[115:116] offset0:52 offset1:53
	;; [unrolled: 1-line block ×3, first 2 shown]
	buffer_load_dword v77, off, s[20:23], 0 offset:32 ; 4-byte Folded Reload
	buffer_load_dword v78, off, s[20:23], 0 offset:36 ; 4-byte Folded Reload
	buffer_load_dword v79, off, s[20:23], 0 offset:40 ; 4-byte Folded Reload
	buffer_load_dword v80, off, s[20:23], 0 offset:44 ; 4-byte Folded Reload
	v_mov_b32_e32 v69, v73
	v_mov_b32_e32 v70, v74
	;; [unrolled: 1-line block ×4, first 2 shown]
	s_waitcnt vmcnt(0)
	ds_write2_b64 v125, v[77:78], v[79:80] offset0:56 offset1:57
	buffer_load_dword v73, off, s[20:23], 0 offset:16 ; 4-byte Folded Reload
	buffer_load_dword v74, off, s[20:23], 0 offset:20 ; 4-byte Folded Reload
	;; [unrolled: 1-line block ×4, first 2 shown]
	s_waitcnt vmcnt(0)
	ds_write2_b64 v125, v[73:74], v[75:76] offset0:58 offset1:59
	v_mov_b32_e32 v76, v72
	v_mov_b32_e32 v75, v71
	;; [unrolled: 1-line block ×4, first 2 shown]
	buffer_load_dword v69, off, s[20:23], 0 ; 4-byte Folded Reload
	buffer_load_dword v70, off, s[20:23], 0 offset:4 ; 4-byte Folded Reload
	buffer_load_dword v71, off, s[20:23], 0 offset:8 ; 4-byte Folded Reload
	;; [unrolled: 1-line block ×3, first 2 shown]
	s_waitcnt vmcnt(0)
	ds_write2_b64 v125, v[69:70], v[71:72] offset0:60 offset1:61
	ds_write2_b64 v125, v[65:66], v[67:68] offset0:62 offset1:63
	;; [unrolled: 1-line block ×19, first 2 shown]
	ds_read2_b64 v[97:100], v127 offset1:1
	s_waitcnt lgkmcnt(0)
	v_cmp_neq_f64_e32 vcc, 0, v[97:98]
	v_cmp_neq_f64_e64 s[2:3], 0, v[99:100]
	s_or_b64 s[2:3], vcc, s[2:3]
	s_and_b64 exec, exec, s[2:3]
	s_cbranch_execz .LBB97_224
; %bb.219:
	v_cmp_ngt_f64_e64 s[2:3], |v[97:98]|, |v[99:100]|
                                        ; implicit-def: $vgpr101_vgpr102
	s_and_saveexec_b64 s[6:7], s[2:3]
	s_xor_b64 s[2:3], exec, s[6:7]
                                        ; implicit-def: $vgpr103_vgpr104
	s_cbranch_execz .LBB97_221
; %bb.220:
	v_div_scale_f64 v[101:102], s[6:7], v[99:100], v[99:100], v[97:98]
	v_rcp_f64_e32 v[103:104], v[101:102]
	v_fma_f64 v[105:106], -v[101:102], v[103:104], 1.0
	v_fma_f64 v[103:104], v[103:104], v[105:106], v[103:104]
	v_div_scale_f64 v[105:106], vcc, v[97:98], v[99:100], v[97:98]
	v_fma_f64 v[107:108], -v[101:102], v[103:104], 1.0
	v_fma_f64 v[103:104], v[103:104], v[107:108], v[103:104]
	v_mul_f64 v[107:108], v[105:106], v[103:104]
	v_fma_f64 v[101:102], -v[101:102], v[107:108], v[105:106]
	v_div_fmas_f64 v[101:102], v[101:102], v[103:104], v[107:108]
	v_div_fixup_f64 v[101:102], v[101:102], v[99:100], v[97:98]
	v_fma_f64 v[97:98], v[97:98], v[101:102], v[99:100]
	v_div_scale_f64 v[99:100], s[6:7], v[97:98], v[97:98], 1.0
	v_div_scale_f64 v[107:108], vcc, 1.0, v[97:98], 1.0
	v_rcp_f64_e32 v[103:104], v[99:100]
	v_fma_f64 v[105:106], -v[99:100], v[103:104], 1.0
	v_fma_f64 v[103:104], v[103:104], v[105:106], v[103:104]
	v_fma_f64 v[105:106], -v[99:100], v[103:104], 1.0
	v_fma_f64 v[103:104], v[103:104], v[105:106], v[103:104]
	v_mul_f64 v[105:106], v[107:108], v[103:104]
	v_fma_f64 v[99:100], -v[99:100], v[105:106], v[107:108]
	v_div_fmas_f64 v[99:100], v[99:100], v[103:104], v[105:106]
	v_div_fixup_f64 v[103:104], v[99:100], v[97:98], 1.0
                                        ; implicit-def: $vgpr97_vgpr98
	v_mul_f64 v[101:102], v[101:102], v[103:104]
	v_xor_b32_e32 v104, 0x80000000, v104
.LBB97_221:
	s_andn2_saveexec_b64 s[2:3], s[2:3]
	s_cbranch_execz .LBB97_223
; %bb.222:
	v_div_scale_f64 v[101:102], s[6:7], v[97:98], v[97:98], v[99:100]
	v_rcp_f64_e32 v[103:104], v[101:102]
	v_fma_f64 v[105:106], -v[101:102], v[103:104], 1.0
	v_fma_f64 v[103:104], v[103:104], v[105:106], v[103:104]
	v_div_scale_f64 v[105:106], vcc, v[99:100], v[97:98], v[99:100]
	v_fma_f64 v[107:108], -v[101:102], v[103:104], 1.0
	v_fma_f64 v[103:104], v[103:104], v[107:108], v[103:104]
	v_mul_f64 v[107:108], v[105:106], v[103:104]
	v_fma_f64 v[101:102], -v[101:102], v[107:108], v[105:106]
	v_div_fmas_f64 v[101:102], v[101:102], v[103:104], v[107:108]
	v_div_fixup_f64 v[103:104], v[101:102], v[97:98], v[99:100]
	v_fma_f64 v[97:98], v[99:100], v[103:104], v[97:98]
	v_div_scale_f64 v[99:100], s[6:7], v[97:98], v[97:98], 1.0
	v_div_scale_f64 v[107:108], vcc, 1.0, v[97:98], 1.0
	v_rcp_f64_e32 v[101:102], v[99:100]
	v_fma_f64 v[105:106], -v[99:100], v[101:102], 1.0
	v_fma_f64 v[101:102], v[101:102], v[105:106], v[101:102]
	v_fma_f64 v[105:106], -v[99:100], v[101:102], 1.0
	v_fma_f64 v[101:102], v[101:102], v[105:106], v[101:102]
	v_mul_f64 v[105:106], v[107:108], v[101:102]
	v_fma_f64 v[99:100], -v[99:100], v[105:106], v[107:108]
	v_div_fmas_f64 v[99:100], v[99:100], v[101:102], v[105:106]
	v_div_fixup_f64 v[101:102], v[99:100], v[97:98], 1.0
	v_mul_f64 v[103:104], v[103:104], -v[101:102]
.LBB97_223:
	s_or_b64 exec, exec, s[2:3]
	ds_write2_b64 v127, v[101:102], v[103:104] offset1:1
.LBB97_224:
	s_or_b64 exec, exec, s[4:5]
	s_waitcnt lgkmcnt(0)
	s_barrier
	ds_read2_b64 v[69:72], v127 offset1:1
	v_cmp_lt_u32_e32 vcc, 24, v0
	s_waitcnt lgkmcnt(0)
	buffer_store_dword v69, off, s[20:23], 0 offset:1184 ; 4-byte Folded Spill
	s_nop 0
	buffer_store_dword v70, off, s[20:23], 0 offset:1188 ; 4-byte Folded Spill
	buffer_store_dword v71, off, s[20:23], 0 offset:1192 ; 4-byte Folded Spill
	;; [unrolled: 1-line block ×3, first 2 shown]
	s_and_saveexec_b64 s[2:3], vcc
	s_cbranch_execz .LBB97_226
; %bb.225:
	buffer_load_dword v69, off, s[20:23], 0 offset:1184 ; 4-byte Folded Reload
	buffer_load_dword v70, off, s[20:23], 0 offset:1188 ; 4-byte Folded Reload
	;; [unrolled: 1-line block ×4, first 2 shown]
	v_mov_b32_e32 v106, v96
	v_mov_b32_e32 v105, v95
	v_mov_b32_e32 v104, v94
	v_mov_b32_e32 v103, v93
	ds_read2_b64 v[99:102], v125 offset0:50 offset1:51
	s_waitcnt vmcnt(2)
	v_mul_f64 v[95:96], v[69:70], v[119:120]
	s_waitcnt vmcnt(0)
	v_mul_f64 v[97:98], v[71:72], v[119:120]
	v_fma_f64 v[119:120], v[71:72], v[117:118], v[95:96]
	v_fma_f64 v[97:98], v[69:70], v[117:118], -v[97:98]
	v_mov_b32_e32 v69, v73
	v_mov_b32_e32 v70, v74
	;; [unrolled: 1-line block ×4, first 2 shown]
	s_waitcnt lgkmcnt(0)
	v_mul_f64 v[93:94], v[101:102], v[119:120]
	v_mov_b32_e32 v118, v98
	v_mov_b32_e32 v117, v97
	v_fma_f64 v[93:94], v[99:100], v[97:98], -v[93:94]
	v_mul_f64 v[99:100], v[99:100], v[119:120]
	v_add_f64 v[109:110], v[109:110], -v[93:94]
	v_fma_f64 v[99:100], v[101:102], v[97:98], v[99:100]
	v_add_f64 v[111:112], v[111:112], -v[99:100]
	ds_read2_b64 v[99:102], v125 offset0:52 offset1:53
	s_waitcnt lgkmcnt(0)
	v_mul_f64 v[93:94], v[101:102], v[119:120]
	v_fma_f64 v[93:94], v[99:100], v[97:98], -v[93:94]
	v_mul_f64 v[99:100], v[99:100], v[119:120]
	v_add_f64 v[113:114], v[113:114], -v[93:94]
	v_fma_f64 v[99:100], v[101:102], v[97:98], v[99:100]
	v_add_f64 v[115:116], v[115:116], -v[99:100]
	ds_read2_b64 v[99:102], v125 offset0:54 offset1:55
	s_waitcnt lgkmcnt(0)
	v_mul_f64 v[93:94], v[101:102], v[119:120]
	v_fma_f64 v[93:94], v[99:100], v[97:98], -v[93:94]
	v_mul_f64 v[99:100], v[99:100], v[119:120]
	v_add_f64 v[103:104], v[103:104], -v[93:94]
	v_fma_f64 v[99:100], v[101:102], v[97:98], v[99:100]
	v_add_f64 v[105:106], v[105:106], -v[99:100]
	ds_read2_b64 v[99:102], v125 offset0:56 offset1:57
	buffer_load_dword v77, off, s[20:23], 0 offset:32 ; 4-byte Folded Reload
	buffer_load_dword v78, off, s[20:23], 0 offset:36 ; 4-byte Folded Reload
	;; [unrolled: 1-line block ×4, first 2 shown]
	s_waitcnt lgkmcnt(0)
	v_mul_f64 v[93:94], v[101:102], v[119:120]
	v_fma_f64 v[93:94], v[99:100], v[97:98], -v[93:94]
	v_mul_f64 v[99:100], v[99:100], v[119:120]
	v_fma_f64 v[99:100], v[101:102], v[97:98], v[99:100]
	s_waitcnt vmcnt(2)
	v_add_f64 v[77:78], v[77:78], -v[93:94]
	s_waitcnt vmcnt(0)
	v_add_f64 v[79:80], v[79:80], -v[99:100]
	buffer_store_dword v77, off, s[20:23], 0 offset:32 ; 4-byte Folded Spill
	s_nop 0
	buffer_store_dword v78, off, s[20:23], 0 offset:36 ; 4-byte Folded Spill
	buffer_store_dword v79, off, s[20:23], 0 offset:40 ; 4-byte Folded Spill
	;; [unrolled: 1-line block ×3, first 2 shown]
	ds_read2_b64 v[99:102], v125 offset0:58 offset1:59
	buffer_load_dword v73, off, s[20:23], 0 offset:16 ; 4-byte Folded Reload
	buffer_load_dword v74, off, s[20:23], 0 offset:20 ; 4-byte Folded Reload
	;; [unrolled: 1-line block ×4, first 2 shown]
	s_waitcnt lgkmcnt(0)
	v_mul_f64 v[93:94], v[101:102], v[119:120]
	v_fma_f64 v[93:94], v[99:100], v[97:98], -v[93:94]
	v_mul_f64 v[99:100], v[99:100], v[119:120]
	v_fma_f64 v[99:100], v[101:102], v[97:98], v[99:100]
	s_waitcnt vmcnt(2)
	v_add_f64 v[73:74], v[73:74], -v[93:94]
	s_waitcnt vmcnt(0)
	v_add_f64 v[75:76], v[75:76], -v[99:100]
	buffer_store_dword v73, off, s[20:23], 0 offset:16 ; 4-byte Folded Spill
	s_nop 0
	buffer_store_dword v74, off, s[20:23], 0 offset:20 ; 4-byte Folded Spill
	buffer_store_dword v75, off, s[20:23], 0 offset:24 ; 4-byte Folded Spill
	;; [unrolled: 1-line block ×3, first 2 shown]
	v_mov_b32_e32 v76, v72
	v_mov_b32_e32 v75, v71
	;; [unrolled: 1-line block ×4, first 2 shown]
	ds_read2_b64 v[99:102], v125 offset0:60 offset1:61
	buffer_load_dword v69, off, s[20:23], 0 ; 4-byte Folded Reload
	buffer_load_dword v70, off, s[20:23], 0 offset:4 ; 4-byte Folded Reload
	buffer_load_dword v71, off, s[20:23], 0 offset:8 ; 4-byte Folded Reload
	;; [unrolled: 1-line block ×3, first 2 shown]
	s_waitcnt lgkmcnt(0)
	v_mul_f64 v[93:94], v[101:102], v[119:120]
	v_fma_f64 v[93:94], v[99:100], v[97:98], -v[93:94]
	v_mul_f64 v[99:100], v[99:100], v[119:120]
	v_fma_f64 v[99:100], v[101:102], v[97:98], v[99:100]
	s_waitcnt vmcnt(2)
	v_add_f64 v[69:70], v[69:70], -v[93:94]
	s_waitcnt vmcnt(0)
	v_add_f64 v[71:72], v[71:72], -v[99:100]
	buffer_store_dword v69, off, s[20:23], 0 ; 4-byte Folded Spill
	s_nop 0
	buffer_store_dword v70, off, s[20:23], 0 offset:4 ; 4-byte Folded Spill
	buffer_store_dword v71, off, s[20:23], 0 offset:8 ; 4-byte Folded Spill
	;; [unrolled: 1-line block ×3, first 2 shown]
	ds_read2_b64 v[99:102], v125 offset0:62 offset1:63
	s_waitcnt lgkmcnt(0)
	v_mul_f64 v[93:94], v[101:102], v[119:120]
	v_fma_f64 v[93:94], v[99:100], v[97:98], -v[93:94]
	v_mul_f64 v[99:100], v[99:100], v[119:120]
	v_add_f64 v[65:66], v[65:66], -v[93:94]
	v_fma_f64 v[99:100], v[101:102], v[97:98], v[99:100]
	v_add_f64 v[67:68], v[67:68], -v[99:100]
	ds_read2_b64 v[99:102], v125 offset0:64 offset1:65
	s_waitcnt lgkmcnt(0)
	v_mul_f64 v[93:94], v[101:102], v[119:120]
	v_fma_f64 v[93:94], v[99:100], v[97:98], -v[93:94]
	v_mul_f64 v[99:100], v[99:100], v[119:120]
	v_add_f64 v[61:62], v[61:62], -v[93:94]
	v_fma_f64 v[99:100], v[101:102], v[97:98], v[99:100]
	v_add_f64 v[63:64], v[63:64], -v[99:100]
	;; [unrolled: 8-line block ×17, first 2 shown]
	ds_read2_b64 v[99:102], v125 offset0:96 offset1:97
	s_waitcnt lgkmcnt(0)
	v_mul_f64 v[93:94], v[101:102], v[119:120]
	v_fma_f64 v[93:94], v[99:100], v[97:98], -v[93:94]
	v_mul_f64 v[99:100], v[99:100], v[119:120]
	v_add_f64 v[73:74], v[73:74], -v[93:94]
	v_fma_f64 v[99:100], v[101:102], v[97:98], v[99:100]
	v_mov_b32_e32 v93, v103
	v_mov_b32_e32 v94, v104
	;; [unrolled: 1-line block ×4, first 2 shown]
	v_add_f64 v[75:76], v[75:76], -v[99:100]
.LBB97_226:
	s_or_b64 exec, exec, s[2:3]
	v_cmp_eq_u32_e32 vcc, 25, v0
	s_waitcnt vmcnt(0)
	s_barrier
	s_and_saveexec_b64 s[4:5], vcc
	s_cbranch_execz .LBB97_233
; %bb.227:
	ds_write2_b64 v127, v[109:110], v[111:112] offset1:1
	ds_write2_b64 v125, v[113:114], v[115:116] offset0:52 offset1:53
	ds_write2_b64 v125, v[93:94], v[95:96] offset0:54 offset1:55
	buffer_load_dword v77, off, s[20:23], 0 offset:32 ; 4-byte Folded Reload
	buffer_load_dword v78, off, s[20:23], 0 offset:36 ; 4-byte Folded Reload
	;; [unrolled: 1-line block ×4, first 2 shown]
	v_mov_b32_e32 v69, v73
	v_mov_b32_e32 v70, v74
	;; [unrolled: 1-line block ×4, first 2 shown]
	s_waitcnt vmcnt(0)
	ds_write2_b64 v125, v[77:78], v[79:80] offset0:56 offset1:57
	buffer_load_dword v73, off, s[20:23], 0 offset:16 ; 4-byte Folded Reload
	buffer_load_dword v74, off, s[20:23], 0 offset:20 ; 4-byte Folded Reload
	;; [unrolled: 1-line block ×4, first 2 shown]
	s_waitcnt vmcnt(0)
	ds_write2_b64 v125, v[73:74], v[75:76] offset0:58 offset1:59
	v_mov_b32_e32 v76, v72
	v_mov_b32_e32 v75, v71
	;; [unrolled: 1-line block ×4, first 2 shown]
	buffer_load_dword v69, off, s[20:23], 0 ; 4-byte Folded Reload
	buffer_load_dword v70, off, s[20:23], 0 offset:4 ; 4-byte Folded Reload
	buffer_load_dword v71, off, s[20:23], 0 offset:8 ; 4-byte Folded Reload
	;; [unrolled: 1-line block ×3, first 2 shown]
	s_waitcnt vmcnt(0)
	ds_write2_b64 v125, v[69:70], v[71:72] offset0:60 offset1:61
	ds_write2_b64 v125, v[65:66], v[67:68] offset0:62 offset1:63
	;; [unrolled: 1-line block ×19, first 2 shown]
	ds_read2_b64 v[97:100], v127 offset1:1
	s_waitcnt lgkmcnt(0)
	v_cmp_neq_f64_e32 vcc, 0, v[97:98]
	v_cmp_neq_f64_e64 s[2:3], 0, v[99:100]
	s_or_b64 s[2:3], vcc, s[2:3]
	s_and_b64 exec, exec, s[2:3]
	s_cbranch_execz .LBB97_233
; %bb.228:
	v_cmp_ngt_f64_e64 s[2:3], |v[97:98]|, |v[99:100]|
                                        ; implicit-def: $vgpr101_vgpr102
	s_and_saveexec_b64 s[6:7], s[2:3]
	s_xor_b64 s[2:3], exec, s[6:7]
                                        ; implicit-def: $vgpr103_vgpr104
	s_cbranch_execz .LBB97_230
; %bb.229:
	v_div_scale_f64 v[101:102], s[6:7], v[99:100], v[99:100], v[97:98]
	v_rcp_f64_e32 v[103:104], v[101:102]
	v_fma_f64 v[105:106], -v[101:102], v[103:104], 1.0
	v_fma_f64 v[103:104], v[103:104], v[105:106], v[103:104]
	v_div_scale_f64 v[105:106], vcc, v[97:98], v[99:100], v[97:98]
	v_fma_f64 v[107:108], -v[101:102], v[103:104], 1.0
	v_fma_f64 v[103:104], v[103:104], v[107:108], v[103:104]
	v_mul_f64 v[107:108], v[105:106], v[103:104]
	v_fma_f64 v[101:102], -v[101:102], v[107:108], v[105:106]
	v_div_fmas_f64 v[101:102], v[101:102], v[103:104], v[107:108]
	v_div_fixup_f64 v[101:102], v[101:102], v[99:100], v[97:98]
	v_fma_f64 v[97:98], v[97:98], v[101:102], v[99:100]
	v_div_scale_f64 v[99:100], s[6:7], v[97:98], v[97:98], 1.0
	v_div_scale_f64 v[107:108], vcc, 1.0, v[97:98], 1.0
	v_rcp_f64_e32 v[103:104], v[99:100]
	v_fma_f64 v[105:106], -v[99:100], v[103:104], 1.0
	v_fma_f64 v[103:104], v[103:104], v[105:106], v[103:104]
	v_fma_f64 v[105:106], -v[99:100], v[103:104], 1.0
	v_fma_f64 v[103:104], v[103:104], v[105:106], v[103:104]
	v_mul_f64 v[105:106], v[107:108], v[103:104]
	v_fma_f64 v[99:100], -v[99:100], v[105:106], v[107:108]
	v_div_fmas_f64 v[99:100], v[99:100], v[103:104], v[105:106]
	v_div_fixup_f64 v[103:104], v[99:100], v[97:98], 1.0
                                        ; implicit-def: $vgpr97_vgpr98
	v_mul_f64 v[101:102], v[101:102], v[103:104]
	v_xor_b32_e32 v104, 0x80000000, v104
.LBB97_230:
	s_andn2_saveexec_b64 s[2:3], s[2:3]
	s_cbranch_execz .LBB97_232
; %bb.231:
	v_div_scale_f64 v[101:102], s[6:7], v[97:98], v[97:98], v[99:100]
	v_rcp_f64_e32 v[103:104], v[101:102]
	v_fma_f64 v[105:106], -v[101:102], v[103:104], 1.0
	v_fma_f64 v[103:104], v[103:104], v[105:106], v[103:104]
	v_div_scale_f64 v[105:106], vcc, v[99:100], v[97:98], v[99:100]
	v_fma_f64 v[107:108], -v[101:102], v[103:104], 1.0
	v_fma_f64 v[103:104], v[103:104], v[107:108], v[103:104]
	v_mul_f64 v[107:108], v[105:106], v[103:104]
	v_fma_f64 v[101:102], -v[101:102], v[107:108], v[105:106]
	v_div_fmas_f64 v[101:102], v[101:102], v[103:104], v[107:108]
	v_div_fixup_f64 v[103:104], v[101:102], v[97:98], v[99:100]
	v_fma_f64 v[97:98], v[99:100], v[103:104], v[97:98]
	v_div_scale_f64 v[99:100], s[6:7], v[97:98], v[97:98], 1.0
	v_div_scale_f64 v[107:108], vcc, 1.0, v[97:98], 1.0
	v_rcp_f64_e32 v[101:102], v[99:100]
	v_fma_f64 v[105:106], -v[99:100], v[101:102], 1.0
	v_fma_f64 v[101:102], v[101:102], v[105:106], v[101:102]
	v_fma_f64 v[105:106], -v[99:100], v[101:102], 1.0
	v_fma_f64 v[101:102], v[101:102], v[105:106], v[101:102]
	v_mul_f64 v[105:106], v[107:108], v[101:102]
	v_fma_f64 v[99:100], -v[99:100], v[105:106], v[107:108]
	v_div_fmas_f64 v[99:100], v[99:100], v[101:102], v[105:106]
	v_div_fixup_f64 v[101:102], v[99:100], v[97:98], 1.0
	v_mul_f64 v[103:104], v[103:104], -v[101:102]
.LBB97_232:
	s_or_b64 exec, exec, s[2:3]
	ds_write2_b64 v127, v[101:102], v[103:104] offset1:1
.LBB97_233:
	s_or_b64 exec, exec, s[4:5]
	s_waitcnt lgkmcnt(0)
	s_barrier
	ds_read2_b64 v[69:72], v127 offset1:1
	v_cmp_lt_u32_e32 vcc, 25, v0
	s_waitcnt lgkmcnt(0)
	buffer_store_dword v69, off, s[20:23], 0 offset:1200 ; 4-byte Folded Spill
	s_nop 0
	buffer_store_dword v70, off, s[20:23], 0 offset:1204 ; 4-byte Folded Spill
	buffer_store_dword v71, off, s[20:23], 0 offset:1208 ; 4-byte Folded Spill
	;; [unrolled: 1-line block ×3, first 2 shown]
	s_and_saveexec_b64 s[2:3], vcc
	s_cbranch_execz .LBB97_235
; %bb.234:
	buffer_load_dword v69, off, s[20:23], 0 offset:1200 ; 4-byte Folded Reload
	buffer_load_dword v70, off, s[20:23], 0 offset:1204 ; 4-byte Folded Reload
	;; [unrolled: 1-line block ×4, first 2 shown]
	v_mov_b32_e32 v89, v91
	v_mov_b32_e32 v90, v92
	ds_read2_b64 v[99:102], v125 offset0:52 offset1:53
	s_waitcnt vmcnt(2)
	v_mul_f64 v[91:92], v[69:70], v[111:112]
	s_waitcnt vmcnt(0)
	v_mul_f64 v[97:98], v[71:72], v[111:112]
	v_fma_f64 v[111:112], v[71:72], v[109:110], v[91:92]
	v_mov_b32_e32 v92, v90
	v_fma_f64 v[97:98], v[69:70], v[109:110], -v[97:98]
	v_mov_b32_e32 v91, v89
	v_mov_b32_e32 v69, v73
	;; [unrolled: 1-line block ×5, first 2 shown]
	s_waitcnt lgkmcnt(0)
	v_mul_f64 v[89:90], v[101:102], v[111:112]
	v_mov_b32_e32 v110, v98
	v_mov_b32_e32 v109, v97
	v_fma_f64 v[89:90], v[99:100], v[97:98], -v[89:90]
	v_mul_f64 v[99:100], v[99:100], v[111:112]
	v_add_f64 v[113:114], v[113:114], -v[89:90]
	v_fma_f64 v[99:100], v[101:102], v[97:98], v[99:100]
	v_add_f64 v[115:116], v[115:116], -v[99:100]
	ds_read2_b64 v[99:102], v125 offset0:54 offset1:55
	s_waitcnt lgkmcnt(0)
	v_mul_f64 v[89:90], v[101:102], v[111:112]
	v_fma_f64 v[89:90], v[99:100], v[97:98], -v[89:90]
	v_mul_f64 v[99:100], v[99:100], v[111:112]
	v_add_f64 v[93:94], v[93:94], -v[89:90]
	v_fma_f64 v[99:100], v[101:102], v[97:98], v[99:100]
	v_add_f64 v[95:96], v[95:96], -v[99:100]
	ds_read2_b64 v[99:102], v125 offset0:56 offset1:57
	buffer_load_dword v77, off, s[20:23], 0 offset:32 ; 4-byte Folded Reload
	buffer_load_dword v78, off, s[20:23], 0 offset:36 ; 4-byte Folded Reload
	;; [unrolled: 1-line block ×4, first 2 shown]
	s_waitcnt lgkmcnt(0)
	v_mul_f64 v[89:90], v[101:102], v[111:112]
	v_fma_f64 v[89:90], v[99:100], v[97:98], -v[89:90]
	v_mul_f64 v[99:100], v[99:100], v[111:112]
	v_fma_f64 v[99:100], v[101:102], v[97:98], v[99:100]
	s_waitcnt vmcnt(2)
	v_add_f64 v[77:78], v[77:78], -v[89:90]
	s_waitcnt vmcnt(0)
	v_add_f64 v[79:80], v[79:80], -v[99:100]
	buffer_store_dword v77, off, s[20:23], 0 offset:32 ; 4-byte Folded Spill
	s_nop 0
	buffer_store_dword v78, off, s[20:23], 0 offset:36 ; 4-byte Folded Spill
	buffer_store_dword v79, off, s[20:23], 0 offset:40 ; 4-byte Folded Spill
	;; [unrolled: 1-line block ×3, first 2 shown]
	ds_read2_b64 v[99:102], v125 offset0:58 offset1:59
	buffer_load_dword v73, off, s[20:23], 0 offset:16 ; 4-byte Folded Reload
	buffer_load_dword v74, off, s[20:23], 0 offset:20 ; 4-byte Folded Reload
	;; [unrolled: 1-line block ×4, first 2 shown]
	s_waitcnt lgkmcnt(0)
	v_mul_f64 v[89:90], v[101:102], v[111:112]
	v_fma_f64 v[89:90], v[99:100], v[97:98], -v[89:90]
	v_mul_f64 v[99:100], v[99:100], v[111:112]
	v_fma_f64 v[99:100], v[101:102], v[97:98], v[99:100]
	s_waitcnt vmcnt(2)
	v_add_f64 v[73:74], v[73:74], -v[89:90]
	s_waitcnt vmcnt(0)
	v_add_f64 v[75:76], v[75:76], -v[99:100]
	buffer_store_dword v73, off, s[20:23], 0 offset:16 ; 4-byte Folded Spill
	s_nop 0
	buffer_store_dword v74, off, s[20:23], 0 offset:20 ; 4-byte Folded Spill
	buffer_store_dword v75, off, s[20:23], 0 offset:24 ; 4-byte Folded Spill
	;; [unrolled: 1-line block ×3, first 2 shown]
	v_mov_b32_e32 v76, v72
	v_mov_b32_e32 v75, v71
	v_mov_b32_e32 v74, v70
	v_mov_b32_e32 v73, v69
	ds_read2_b64 v[99:102], v125 offset0:60 offset1:61
	buffer_load_dword v69, off, s[20:23], 0 ; 4-byte Folded Reload
	buffer_load_dword v70, off, s[20:23], 0 offset:4 ; 4-byte Folded Reload
	buffer_load_dword v71, off, s[20:23], 0 offset:8 ; 4-byte Folded Reload
	;; [unrolled: 1-line block ×3, first 2 shown]
	s_waitcnt lgkmcnt(0)
	v_mul_f64 v[89:90], v[101:102], v[111:112]
	v_fma_f64 v[89:90], v[99:100], v[97:98], -v[89:90]
	v_mul_f64 v[99:100], v[99:100], v[111:112]
	v_fma_f64 v[99:100], v[101:102], v[97:98], v[99:100]
	s_waitcnt vmcnt(2)
	v_add_f64 v[69:70], v[69:70], -v[89:90]
	s_waitcnt vmcnt(0)
	v_add_f64 v[71:72], v[71:72], -v[99:100]
	buffer_store_dword v69, off, s[20:23], 0 ; 4-byte Folded Spill
	s_nop 0
	buffer_store_dword v70, off, s[20:23], 0 offset:4 ; 4-byte Folded Spill
	buffer_store_dword v71, off, s[20:23], 0 offset:8 ; 4-byte Folded Spill
	buffer_store_dword v72, off, s[20:23], 0 offset:12 ; 4-byte Folded Spill
	ds_read2_b64 v[99:102], v125 offset0:62 offset1:63
	s_waitcnt lgkmcnt(0)
	v_mul_f64 v[89:90], v[101:102], v[111:112]
	v_fma_f64 v[89:90], v[99:100], v[97:98], -v[89:90]
	v_mul_f64 v[99:100], v[99:100], v[111:112]
	v_add_f64 v[65:66], v[65:66], -v[89:90]
	v_fma_f64 v[99:100], v[101:102], v[97:98], v[99:100]
	v_add_f64 v[67:68], v[67:68], -v[99:100]
	ds_read2_b64 v[99:102], v125 offset0:64 offset1:65
	s_waitcnt lgkmcnt(0)
	v_mul_f64 v[89:90], v[101:102], v[111:112]
	v_fma_f64 v[89:90], v[99:100], v[97:98], -v[89:90]
	v_mul_f64 v[99:100], v[99:100], v[111:112]
	v_add_f64 v[61:62], v[61:62], -v[89:90]
	v_fma_f64 v[99:100], v[101:102], v[97:98], v[99:100]
	v_add_f64 v[63:64], v[63:64], -v[99:100]
	;; [unrolled: 8-line block ×18, first 2 shown]
.LBB97_235:
	s_or_b64 exec, exec, s[2:3]
	v_cmp_eq_u32_e32 vcc, 26, v0
	s_waitcnt vmcnt(0)
	s_barrier
	s_and_saveexec_b64 s[4:5], vcc
	s_cbranch_execz .LBB97_242
; %bb.236:
	ds_write2_b64 v127, v[113:114], v[115:116] offset1:1
	ds_write2_b64 v125, v[93:94], v[95:96] offset0:54 offset1:55
	buffer_load_dword v77, off, s[20:23], 0 offset:32 ; 4-byte Folded Reload
	buffer_load_dword v78, off, s[20:23], 0 offset:36 ; 4-byte Folded Reload
	;; [unrolled: 1-line block ×4, first 2 shown]
	v_mov_b32_e32 v69, v73
	v_mov_b32_e32 v70, v74
	;; [unrolled: 1-line block ×4, first 2 shown]
	s_waitcnt vmcnt(0)
	ds_write2_b64 v125, v[77:78], v[79:80] offset0:56 offset1:57
	buffer_load_dword v73, off, s[20:23], 0 offset:16 ; 4-byte Folded Reload
	buffer_load_dword v74, off, s[20:23], 0 offset:20 ; 4-byte Folded Reload
	;; [unrolled: 1-line block ×4, first 2 shown]
	s_waitcnt vmcnt(0)
	ds_write2_b64 v125, v[73:74], v[75:76] offset0:58 offset1:59
	v_mov_b32_e32 v76, v72
	v_mov_b32_e32 v75, v71
	;; [unrolled: 1-line block ×4, first 2 shown]
	buffer_load_dword v69, off, s[20:23], 0 ; 4-byte Folded Reload
	buffer_load_dword v70, off, s[20:23], 0 offset:4 ; 4-byte Folded Reload
	buffer_load_dword v71, off, s[20:23], 0 offset:8 ; 4-byte Folded Reload
	;; [unrolled: 1-line block ×3, first 2 shown]
	s_waitcnt vmcnt(0)
	ds_write2_b64 v125, v[69:70], v[71:72] offset0:60 offset1:61
	ds_write2_b64 v125, v[65:66], v[67:68] offset0:62 offset1:63
	;; [unrolled: 1-line block ×19, first 2 shown]
	ds_read2_b64 v[97:100], v127 offset1:1
	s_waitcnt lgkmcnt(0)
	v_cmp_neq_f64_e32 vcc, 0, v[97:98]
	v_cmp_neq_f64_e64 s[2:3], 0, v[99:100]
	s_or_b64 s[2:3], vcc, s[2:3]
	s_and_b64 exec, exec, s[2:3]
	s_cbranch_execz .LBB97_242
; %bb.237:
	v_cmp_ngt_f64_e64 s[2:3], |v[97:98]|, |v[99:100]|
                                        ; implicit-def: $vgpr101_vgpr102
	s_and_saveexec_b64 s[6:7], s[2:3]
	s_xor_b64 s[2:3], exec, s[6:7]
                                        ; implicit-def: $vgpr103_vgpr104
	s_cbranch_execz .LBB97_239
; %bb.238:
	v_div_scale_f64 v[101:102], s[6:7], v[99:100], v[99:100], v[97:98]
	v_rcp_f64_e32 v[103:104], v[101:102]
	v_fma_f64 v[105:106], -v[101:102], v[103:104], 1.0
	v_fma_f64 v[103:104], v[103:104], v[105:106], v[103:104]
	v_div_scale_f64 v[105:106], vcc, v[97:98], v[99:100], v[97:98]
	v_fma_f64 v[107:108], -v[101:102], v[103:104], 1.0
	v_fma_f64 v[103:104], v[103:104], v[107:108], v[103:104]
	v_mul_f64 v[107:108], v[105:106], v[103:104]
	v_fma_f64 v[101:102], -v[101:102], v[107:108], v[105:106]
	v_div_fmas_f64 v[101:102], v[101:102], v[103:104], v[107:108]
	v_div_fixup_f64 v[101:102], v[101:102], v[99:100], v[97:98]
	v_fma_f64 v[97:98], v[97:98], v[101:102], v[99:100]
	v_div_scale_f64 v[99:100], s[6:7], v[97:98], v[97:98], 1.0
	v_div_scale_f64 v[107:108], vcc, 1.0, v[97:98], 1.0
	v_rcp_f64_e32 v[103:104], v[99:100]
	v_fma_f64 v[105:106], -v[99:100], v[103:104], 1.0
	v_fma_f64 v[103:104], v[103:104], v[105:106], v[103:104]
	v_fma_f64 v[105:106], -v[99:100], v[103:104], 1.0
	v_fma_f64 v[103:104], v[103:104], v[105:106], v[103:104]
	v_mul_f64 v[105:106], v[107:108], v[103:104]
	v_fma_f64 v[99:100], -v[99:100], v[105:106], v[107:108]
	v_div_fmas_f64 v[99:100], v[99:100], v[103:104], v[105:106]
	v_div_fixup_f64 v[103:104], v[99:100], v[97:98], 1.0
                                        ; implicit-def: $vgpr97_vgpr98
	v_mul_f64 v[101:102], v[101:102], v[103:104]
	v_xor_b32_e32 v104, 0x80000000, v104
.LBB97_239:
	s_andn2_saveexec_b64 s[2:3], s[2:3]
	s_cbranch_execz .LBB97_241
; %bb.240:
	v_div_scale_f64 v[101:102], s[6:7], v[97:98], v[97:98], v[99:100]
	v_rcp_f64_e32 v[103:104], v[101:102]
	v_fma_f64 v[105:106], -v[101:102], v[103:104], 1.0
	v_fma_f64 v[103:104], v[103:104], v[105:106], v[103:104]
	v_div_scale_f64 v[105:106], vcc, v[99:100], v[97:98], v[99:100]
	v_fma_f64 v[107:108], -v[101:102], v[103:104], 1.0
	v_fma_f64 v[103:104], v[103:104], v[107:108], v[103:104]
	v_mul_f64 v[107:108], v[105:106], v[103:104]
	v_fma_f64 v[101:102], -v[101:102], v[107:108], v[105:106]
	v_div_fmas_f64 v[101:102], v[101:102], v[103:104], v[107:108]
	v_div_fixup_f64 v[103:104], v[101:102], v[97:98], v[99:100]
	v_fma_f64 v[97:98], v[99:100], v[103:104], v[97:98]
	v_div_scale_f64 v[99:100], s[6:7], v[97:98], v[97:98], 1.0
	v_div_scale_f64 v[107:108], vcc, 1.0, v[97:98], 1.0
	v_rcp_f64_e32 v[101:102], v[99:100]
	v_fma_f64 v[105:106], -v[99:100], v[101:102], 1.0
	v_fma_f64 v[101:102], v[101:102], v[105:106], v[101:102]
	v_fma_f64 v[105:106], -v[99:100], v[101:102], 1.0
	v_fma_f64 v[101:102], v[101:102], v[105:106], v[101:102]
	v_mul_f64 v[105:106], v[107:108], v[101:102]
	v_fma_f64 v[99:100], -v[99:100], v[105:106], v[107:108]
	v_div_fmas_f64 v[99:100], v[99:100], v[101:102], v[105:106]
	v_div_fixup_f64 v[101:102], v[99:100], v[97:98], 1.0
	v_mul_f64 v[103:104], v[103:104], -v[101:102]
.LBB97_241:
	s_or_b64 exec, exec, s[2:3]
	ds_write2_b64 v127, v[101:102], v[103:104] offset1:1
.LBB97_242:
	s_or_b64 exec, exec, s[4:5]
	s_waitcnt lgkmcnt(0)
	s_barrier
	ds_read2_b64 v[69:72], v127 offset1:1
	v_cmp_lt_u32_e32 vcc, 26, v0
	s_waitcnt lgkmcnt(0)
	buffer_store_dword v69, off, s[20:23], 0 offset:1216 ; 4-byte Folded Spill
	s_nop 0
	buffer_store_dword v70, off, s[20:23], 0 offset:1220 ; 4-byte Folded Spill
	buffer_store_dword v71, off, s[20:23], 0 offset:1224 ; 4-byte Folded Spill
	;; [unrolled: 1-line block ×3, first 2 shown]
	s_and_saveexec_b64 s[2:3], vcc
	s_cbranch_execz .LBB97_244
; %bb.243:
	buffer_load_dword v69, off, s[20:23], 0 offset:1216 ; 4-byte Folded Reload
	buffer_load_dword v70, off, s[20:23], 0 offset:1220 ; 4-byte Folded Reload
	;; [unrolled: 1-line block ×4, first 2 shown]
	v_mov_b32_e32 v90, v86
	v_mov_b32_e32 v89, v85
	v_mov_b32_e32 v85, v87
	v_mov_b32_e32 v86, v88
	ds_read2_b64 v[99:102], v125 offset0:54 offset1:55
	s_waitcnt vmcnt(2)
	v_mul_f64 v[87:88], v[69:70], v[115:116]
	s_waitcnt vmcnt(0)
	v_mul_f64 v[97:98], v[71:72], v[115:116]
	v_fma_f64 v[115:116], v[71:72], v[113:114], v[87:88]
	v_mov_b32_e32 v88, v86
	v_fma_f64 v[97:98], v[69:70], v[113:114], -v[97:98]
	v_mov_b32_e32 v87, v85
	v_mov_b32_e32 v69, v73
	;; [unrolled: 1-line block ×5, first 2 shown]
	s_waitcnt lgkmcnt(0)
	v_mul_f64 v[85:86], v[101:102], v[115:116]
	v_mov_b32_e32 v114, v98
	v_mov_b32_e32 v113, v97
	v_fma_f64 v[85:86], v[99:100], v[97:98], -v[85:86]
	v_mul_f64 v[99:100], v[99:100], v[115:116]
	v_add_f64 v[93:94], v[93:94], -v[85:86]
	v_fma_f64 v[99:100], v[101:102], v[97:98], v[99:100]
	v_add_f64 v[95:96], v[95:96], -v[99:100]
	ds_read2_b64 v[99:102], v125 offset0:56 offset1:57
	buffer_load_dword v77, off, s[20:23], 0 offset:32 ; 4-byte Folded Reload
	buffer_load_dword v78, off, s[20:23], 0 offset:36 ; 4-byte Folded Reload
	;; [unrolled: 1-line block ×4, first 2 shown]
	s_waitcnt lgkmcnt(0)
	v_mul_f64 v[85:86], v[101:102], v[115:116]
	v_fma_f64 v[85:86], v[99:100], v[97:98], -v[85:86]
	v_mul_f64 v[99:100], v[99:100], v[115:116]
	v_fma_f64 v[99:100], v[101:102], v[97:98], v[99:100]
	s_waitcnt vmcnt(2)
	v_add_f64 v[77:78], v[77:78], -v[85:86]
	s_waitcnt vmcnt(0)
	v_add_f64 v[79:80], v[79:80], -v[99:100]
	buffer_store_dword v77, off, s[20:23], 0 offset:32 ; 4-byte Folded Spill
	s_nop 0
	buffer_store_dword v78, off, s[20:23], 0 offset:36 ; 4-byte Folded Spill
	buffer_store_dword v79, off, s[20:23], 0 offset:40 ; 4-byte Folded Spill
	;; [unrolled: 1-line block ×3, first 2 shown]
	ds_read2_b64 v[99:102], v125 offset0:58 offset1:59
	buffer_load_dword v73, off, s[20:23], 0 offset:16 ; 4-byte Folded Reload
	buffer_load_dword v74, off, s[20:23], 0 offset:20 ; 4-byte Folded Reload
	buffer_load_dword v75, off, s[20:23], 0 offset:24 ; 4-byte Folded Reload
	buffer_load_dword v76, off, s[20:23], 0 offset:28 ; 4-byte Folded Reload
	s_waitcnt lgkmcnt(0)
	v_mul_f64 v[85:86], v[101:102], v[115:116]
	v_fma_f64 v[85:86], v[99:100], v[97:98], -v[85:86]
	v_mul_f64 v[99:100], v[99:100], v[115:116]
	v_fma_f64 v[99:100], v[101:102], v[97:98], v[99:100]
	s_waitcnt vmcnt(2)
	v_add_f64 v[73:74], v[73:74], -v[85:86]
	s_waitcnt vmcnt(0)
	v_add_f64 v[75:76], v[75:76], -v[99:100]
	buffer_store_dword v73, off, s[20:23], 0 offset:16 ; 4-byte Folded Spill
	s_nop 0
	buffer_store_dword v74, off, s[20:23], 0 offset:20 ; 4-byte Folded Spill
	buffer_store_dword v75, off, s[20:23], 0 offset:24 ; 4-byte Folded Spill
	;; [unrolled: 1-line block ×3, first 2 shown]
	v_mov_b32_e32 v76, v72
	v_mov_b32_e32 v75, v71
	;; [unrolled: 1-line block ×4, first 2 shown]
	ds_read2_b64 v[99:102], v125 offset0:60 offset1:61
	buffer_load_dword v69, off, s[20:23], 0 ; 4-byte Folded Reload
	buffer_load_dword v70, off, s[20:23], 0 offset:4 ; 4-byte Folded Reload
	buffer_load_dword v71, off, s[20:23], 0 offset:8 ; 4-byte Folded Reload
	;; [unrolled: 1-line block ×3, first 2 shown]
	s_waitcnt lgkmcnt(0)
	v_mul_f64 v[85:86], v[101:102], v[115:116]
	v_fma_f64 v[85:86], v[99:100], v[97:98], -v[85:86]
	v_mul_f64 v[99:100], v[99:100], v[115:116]
	v_fma_f64 v[99:100], v[101:102], v[97:98], v[99:100]
	s_waitcnt vmcnt(2)
	v_add_f64 v[69:70], v[69:70], -v[85:86]
	s_waitcnt vmcnt(0)
	v_add_f64 v[71:72], v[71:72], -v[99:100]
	buffer_store_dword v69, off, s[20:23], 0 ; 4-byte Folded Spill
	s_nop 0
	buffer_store_dword v70, off, s[20:23], 0 offset:4 ; 4-byte Folded Spill
	buffer_store_dword v71, off, s[20:23], 0 offset:8 ; 4-byte Folded Spill
	;; [unrolled: 1-line block ×3, first 2 shown]
	ds_read2_b64 v[99:102], v125 offset0:62 offset1:63
	s_waitcnt lgkmcnt(0)
	v_mul_f64 v[85:86], v[101:102], v[115:116]
	v_fma_f64 v[85:86], v[99:100], v[97:98], -v[85:86]
	v_mul_f64 v[99:100], v[99:100], v[115:116]
	v_add_f64 v[65:66], v[65:66], -v[85:86]
	v_fma_f64 v[99:100], v[101:102], v[97:98], v[99:100]
	v_add_f64 v[67:68], v[67:68], -v[99:100]
	ds_read2_b64 v[99:102], v125 offset0:64 offset1:65
	s_waitcnt lgkmcnt(0)
	v_mul_f64 v[85:86], v[101:102], v[115:116]
	v_fma_f64 v[85:86], v[99:100], v[97:98], -v[85:86]
	v_mul_f64 v[99:100], v[99:100], v[115:116]
	v_add_f64 v[61:62], v[61:62], -v[85:86]
	v_fma_f64 v[99:100], v[101:102], v[97:98], v[99:100]
	v_add_f64 v[63:64], v[63:64], -v[99:100]
	;; [unrolled: 8-line block ×17, first 2 shown]
	ds_read2_b64 v[99:102], v125 offset0:96 offset1:97
	s_waitcnt lgkmcnt(0)
	v_mul_f64 v[85:86], v[101:102], v[115:116]
	v_fma_f64 v[85:86], v[99:100], v[97:98], -v[85:86]
	v_mul_f64 v[99:100], v[99:100], v[115:116]
	v_add_f64 v[73:74], v[73:74], -v[85:86]
	v_fma_f64 v[99:100], v[101:102], v[97:98], v[99:100]
	v_mov_b32_e32 v85, v89
	v_mov_b32_e32 v86, v90
	v_add_f64 v[75:76], v[75:76], -v[99:100]
.LBB97_244:
	s_or_b64 exec, exec, s[2:3]
	v_cmp_eq_u32_e32 vcc, 27, v0
	s_waitcnt vmcnt(0)
	s_barrier
	s_and_saveexec_b64 s[4:5], vcc
	s_cbranch_execz .LBB97_251
; %bb.245:
	ds_write2_b64 v127, v[93:94], v[95:96] offset1:1
	buffer_load_dword v77, off, s[20:23], 0 offset:32 ; 4-byte Folded Reload
	buffer_load_dword v78, off, s[20:23], 0 offset:36 ; 4-byte Folded Reload
	;; [unrolled: 1-line block ×4, first 2 shown]
	v_mov_b32_e32 v69, v73
	v_mov_b32_e32 v70, v74
	;; [unrolled: 1-line block ×4, first 2 shown]
	s_waitcnt vmcnt(0)
	ds_write2_b64 v125, v[77:78], v[79:80] offset0:56 offset1:57
	buffer_load_dword v73, off, s[20:23], 0 offset:16 ; 4-byte Folded Reload
	buffer_load_dword v74, off, s[20:23], 0 offset:20 ; 4-byte Folded Reload
	;; [unrolled: 1-line block ×4, first 2 shown]
	s_waitcnt vmcnt(0)
	ds_write2_b64 v125, v[73:74], v[75:76] offset0:58 offset1:59
	v_mov_b32_e32 v76, v72
	v_mov_b32_e32 v75, v71
	;; [unrolled: 1-line block ×4, first 2 shown]
	buffer_load_dword v69, off, s[20:23], 0 ; 4-byte Folded Reload
	buffer_load_dword v70, off, s[20:23], 0 offset:4 ; 4-byte Folded Reload
	buffer_load_dword v71, off, s[20:23], 0 offset:8 ; 4-byte Folded Reload
	;; [unrolled: 1-line block ×3, first 2 shown]
	s_waitcnt vmcnt(0)
	ds_write2_b64 v125, v[69:70], v[71:72] offset0:60 offset1:61
	ds_write2_b64 v125, v[65:66], v[67:68] offset0:62 offset1:63
	;; [unrolled: 1-line block ×19, first 2 shown]
	ds_read2_b64 v[97:100], v127 offset1:1
	s_waitcnt lgkmcnt(0)
	v_cmp_neq_f64_e32 vcc, 0, v[97:98]
	v_cmp_neq_f64_e64 s[2:3], 0, v[99:100]
	s_or_b64 s[2:3], vcc, s[2:3]
	s_and_b64 exec, exec, s[2:3]
	s_cbranch_execz .LBB97_251
; %bb.246:
	v_cmp_ngt_f64_e64 s[2:3], |v[97:98]|, |v[99:100]|
                                        ; implicit-def: $vgpr101_vgpr102
	s_and_saveexec_b64 s[6:7], s[2:3]
	s_xor_b64 s[2:3], exec, s[6:7]
                                        ; implicit-def: $vgpr103_vgpr104
	s_cbranch_execz .LBB97_248
; %bb.247:
	v_div_scale_f64 v[101:102], s[6:7], v[99:100], v[99:100], v[97:98]
	v_rcp_f64_e32 v[103:104], v[101:102]
	v_fma_f64 v[105:106], -v[101:102], v[103:104], 1.0
	v_fma_f64 v[103:104], v[103:104], v[105:106], v[103:104]
	v_div_scale_f64 v[105:106], vcc, v[97:98], v[99:100], v[97:98]
	v_fma_f64 v[107:108], -v[101:102], v[103:104], 1.0
	v_fma_f64 v[103:104], v[103:104], v[107:108], v[103:104]
	v_mul_f64 v[107:108], v[105:106], v[103:104]
	v_fma_f64 v[101:102], -v[101:102], v[107:108], v[105:106]
	v_div_fmas_f64 v[101:102], v[101:102], v[103:104], v[107:108]
	v_div_fixup_f64 v[101:102], v[101:102], v[99:100], v[97:98]
	v_fma_f64 v[97:98], v[97:98], v[101:102], v[99:100]
	v_div_scale_f64 v[99:100], s[6:7], v[97:98], v[97:98], 1.0
	v_div_scale_f64 v[107:108], vcc, 1.0, v[97:98], 1.0
	v_rcp_f64_e32 v[103:104], v[99:100]
	v_fma_f64 v[105:106], -v[99:100], v[103:104], 1.0
	v_fma_f64 v[103:104], v[103:104], v[105:106], v[103:104]
	v_fma_f64 v[105:106], -v[99:100], v[103:104], 1.0
	v_fma_f64 v[103:104], v[103:104], v[105:106], v[103:104]
	v_mul_f64 v[105:106], v[107:108], v[103:104]
	v_fma_f64 v[99:100], -v[99:100], v[105:106], v[107:108]
	v_div_fmas_f64 v[99:100], v[99:100], v[103:104], v[105:106]
	v_div_fixup_f64 v[103:104], v[99:100], v[97:98], 1.0
                                        ; implicit-def: $vgpr97_vgpr98
	v_mul_f64 v[101:102], v[101:102], v[103:104]
	v_xor_b32_e32 v104, 0x80000000, v104
.LBB97_248:
	s_andn2_saveexec_b64 s[2:3], s[2:3]
	s_cbranch_execz .LBB97_250
; %bb.249:
	v_div_scale_f64 v[101:102], s[6:7], v[97:98], v[97:98], v[99:100]
	v_rcp_f64_e32 v[103:104], v[101:102]
	v_fma_f64 v[105:106], -v[101:102], v[103:104], 1.0
	v_fma_f64 v[103:104], v[103:104], v[105:106], v[103:104]
	v_div_scale_f64 v[105:106], vcc, v[99:100], v[97:98], v[99:100]
	v_fma_f64 v[107:108], -v[101:102], v[103:104], 1.0
	v_fma_f64 v[103:104], v[103:104], v[107:108], v[103:104]
	v_mul_f64 v[107:108], v[105:106], v[103:104]
	v_fma_f64 v[101:102], -v[101:102], v[107:108], v[105:106]
	v_div_fmas_f64 v[101:102], v[101:102], v[103:104], v[107:108]
	v_div_fixup_f64 v[103:104], v[101:102], v[97:98], v[99:100]
	v_fma_f64 v[97:98], v[99:100], v[103:104], v[97:98]
	v_div_scale_f64 v[99:100], s[6:7], v[97:98], v[97:98], 1.0
	v_div_scale_f64 v[107:108], vcc, 1.0, v[97:98], 1.0
	v_rcp_f64_e32 v[101:102], v[99:100]
	v_fma_f64 v[105:106], -v[99:100], v[101:102], 1.0
	v_fma_f64 v[101:102], v[101:102], v[105:106], v[101:102]
	v_fma_f64 v[105:106], -v[99:100], v[101:102], 1.0
	v_fma_f64 v[101:102], v[101:102], v[105:106], v[101:102]
	v_mul_f64 v[105:106], v[107:108], v[101:102]
	v_fma_f64 v[99:100], -v[99:100], v[105:106], v[107:108]
	v_div_fmas_f64 v[99:100], v[99:100], v[101:102], v[105:106]
	v_div_fixup_f64 v[101:102], v[99:100], v[97:98], 1.0
	v_mul_f64 v[103:104], v[103:104], -v[101:102]
.LBB97_250:
	s_or_b64 exec, exec, s[2:3]
	ds_write2_b64 v127, v[101:102], v[103:104] offset1:1
.LBB97_251:
	s_or_b64 exec, exec, s[4:5]
	s_waitcnt lgkmcnt(0)
	s_barrier
	ds_read2_b64 v[69:72], v127 offset1:1
	v_cmp_lt_u32_e32 vcc, 27, v0
	s_waitcnt lgkmcnt(0)
	buffer_store_dword v69, off, s[20:23], 0 offset:1232 ; 4-byte Folded Spill
	s_nop 0
	buffer_store_dword v70, off, s[20:23], 0 offset:1236 ; 4-byte Folded Spill
	buffer_store_dword v71, off, s[20:23], 0 offset:1240 ; 4-byte Folded Spill
	;; [unrolled: 1-line block ×3, first 2 shown]
	s_and_saveexec_b64 s[2:3], vcc
	s_cbranch_execz .LBB97_253
; %bb.252:
	buffer_load_dword v69, off, s[20:23], 0 offset:1232 ; 4-byte Folded Reload
	buffer_load_dword v70, off, s[20:23], 0 offset:1236 ; 4-byte Folded Reload
	;; [unrolled: 1-line block ×4, first 2 shown]
	ds_read2_b64 v[99:102], v125 offset0:56 offset1:57
	buffer_load_dword v77, off, s[20:23], 0 offset:32 ; 4-byte Folded Reload
	buffer_load_dword v78, off, s[20:23], 0 offset:36 ; 4-byte Folded Reload
	buffer_load_dword v79, off, s[20:23], 0 offset:40 ; 4-byte Folded Reload
	buffer_load_dword v80, off, s[20:23], 0 offset:44 ; 4-byte Folded Reload
	v_mov_b32_e32 v90, v82
	v_mov_b32_e32 v89, v81
	s_waitcnt vmcnt(6)
	v_mul_f64 v[83:84], v[69:70], v[95:96]
	s_waitcnt vmcnt(4)
	v_mul_f64 v[97:98], v[71:72], v[95:96]
	v_fma_f64 v[95:96], v[71:72], v[93:94], v[83:84]
	v_fma_f64 v[97:98], v[69:70], v[93:94], -v[97:98]
	v_mov_b32_e32 v69, v73
	v_mov_b32_e32 v70, v74
	;; [unrolled: 1-line block ×4, first 2 shown]
	s_waitcnt lgkmcnt(0)
	v_mul_f64 v[81:82], v[101:102], v[95:96]
	v_mov_b32_e32 v93, v97
	v_mov_b32_e32 v94, v98
	v_fma_f64 v[81:82], v[99:100], v[97:98], -v[81:82]
	v_mul_f64 v[99:100], v[99:100], v[95:96]
	s_waitcnt vmcnt(2)
	v_add_f64 v[77:78], v[77:78], -v[81:82]
	v_fma_f64 v[99:100], v[101:102], v[97:98], v[99:100]
	s_waitcnt vmcnt(0)
	v_add_f64 v[79:80], v[79:80], -v[99:100]
	buffer_store_dword v77, off, s[20:23], 0 offset:32 ; 4-byte Folded Spill
	s_nop 0
	buffer_store_dword v78, off, s[20:23], 0 offset:36 ; 4-byte Folded Spill
	buffer_store_dword v79, off, s[20:23], 0 offset:40 ; 4-byte Folded Spill
	;; [unrolled: 1-line block ×3, first 2 shown]
	ds_read2_b64 v[99:102], v125 offset0:58 offset1:59
	buffer_load_dword v73, off, s[20:23], 0 offset:16 ; 4-byte Folded Reload
	buffer_load_dword v74, off, s[20:23], 0 offset:20 ; 4-byte Folded Reload
	;; [unrolled: 1-line block ×4, first 2 shown]
	s_waitcnt lgkmcnt(0)
	v_mul_f64 v[81:82], v[101:102], v[95:96]
	v_fma_f64 v[81:82], v[99:100], v[97:98], -v[81:82]
	v_mul_f64 v[99:100], v[99:100], v[95:96]
	v_fma_f64 v[99:100], v[101:102], v[97:98], v[99:100]
	s_waitcnt vmcnt(2)
	v_add_f64 v[73:74], v[73:74], -v[81:82]
	s_waitcnt vmcnt(0)
	v_add_f64 v[75:76], v[75:76], -v[99:100]
	buffer_store_dword v73, off, s[20:23], 0 offset:16 ; 4-byte Folded Spill
	s_nop 0
	buffer_store_dword v74, off, s[20:23], 0 offset:20 ; 4-byte Folded Spill
	buffer_store_dword v75, off, s[20:23], 0 offset:24 ; 4-byte Folded Spill
	;; [unrolled: 1-line block ×3, first 2 shown]
	v_mov_b32_e32 v76, v72
	v_mov_b32_e32 v75, v71
	v_mov_b32_e32 v74, v70
	v_mov_b32_e32 v73, v69
	ds_read2_b64 v[99:102], v125 offset0:60 offset1:61
	buffer_load_dword v69, off, s[20:23], 0 ; 4-byte Folded Reload
	buffer_load_dword v70, off, s[20:23], 0 offset:4 ; 4-byte Folded Reload
	buffer_load_dword v71, off, s[20:23], 0 offset:8 ; 4-byte Folded Reload
	;; [unrolled: 1-line block ×3, first 2 shown]
	s_waitcnt lgkmcnt(0)
	v_mul_f64 v[81:82], v[101:102], v[95:96]
	v_fma_f64 v[81:82], v[99:100], v[97:98], -v[81:82]
	v_mul_f64 v[99:100], v[99:100], v[95:96]
	v_fma_f64 v[99:100], v[101:102], v[97:98], v[99:100]
	s_waitcnt vmcnt(2)
	v_add_f64 v[69:70], v[69:70], -v[81:82]
	s_waitcnt vmcnt(0)
	v_add_f64 v[71:72], v[71:72], -v[99:100]
	buffer_store_dword v69, off, s[20:23], 0 ; 4-byte Folded Spill
	s_nop 0
	buffer_store_dword v70, off, s[20:23], 0 offset:4 ; 4-byte Folded Spill
	buffer_store_dword v71, off, s[20:23], 0 offset:8 ; 4-byte Folded Spill
	;; [unrolled: 1-line block ×3, first 2 shown]
	ds_read2_b64 v[99:102], v125 offset0:62 offset1:63
	s_waitcnt lgkmcnt(0)
	v_mul_f64 v[81:82], v[101:102], v[95:96]
	v_fma_f64 v[81:82], v[99:100], v[97:98], -v[81:82]
	v_mul_f64 v[99:100], v[99:100], v[95:96]
	v_add_f64 v[65:66], v[65:66], -v[81:82]
	v_fma_f64 v[99:100], v[101:102], v[97:98], v[99:100]
	v_add_f64 v[67:68], v[67:68], -v[99:100]
	ds_read2_b64 v[99:102], v125 offset0:64 offset1:65
	s_waitcnt lgkmcnt(0)
	v_mul_f64 v[81:82], v[101:102], v[95:96]
	v_fma_f64 v[81:82], v[99:100], v[97:98], -v[81:82]
	v_mul_f64 v[99:100], v[99:100], v[95:96]
	v_add_f64 v[61:62], v[61:62], -v[81:82]
	v_fma_f64 v[99:100], v[101:102], v[97:98], v[99:100]
	v_add_f64 v[63:64], v[63:64], -v[99:100]
	;; [unrolled: 8-line block ×17, first 2 shown]
	ds_read2_b64 v[99:102], v125 offset0:96 offset1:97
	s_waitcnt lgkmcnt(0)
	v_mul_f64 v[81:82], v[101:102], v[95:96]
	v_fma_f64 v[81:82], v[99:100], v[97:98], -v[81:82]
	v_mul_f64 v[99:100], v[99:100], v[95:96]
	v_add_f64 v[73:74], v[73:74], -v[81:82]
	v_fma_f64 v[99:100], v[101:102], v[97:98], v[99:100]
	v_mov_b32_e32 v81, v89
	v_mov_b32_e32 v82, v90
	v_add_f64 v[75:76], v[75:76], -v[99:100]
.LBB97_253:
	s_or_b64 exec, exec, s[2:3]
	v_cmp_eq_u32_e32 vcc, 28, v0
	s_waitcnt vmcnt(0)
	s_barrier
	s_and_saveexec_b64 s[4:5], vcc
	s_cbranch_execz .LBB97_260
; %bb.254:
	buffer_load_dword v77, off, s[20:23], 0 offset:32 ; 4-byte Folded Reload
	buffer_load_dword v78, off, s[20:23], 0 offset:36 ; 4-byte Folded Reload
	;; [unrolled: 1-line block ×4, first 2 shown]
	v_mov_b32_e32 v69, v73
	v_mov_b32_e32 v70, v74
	;; [unrolled: 1-line block ×4, first 2 shown]
	s_waitcnt vmcnt(0)
	ds_write2_b64 v127, v[77:78], v[79:80] offset1:1
	buffer_load_dword v73, off, s[20:23], 0 offset:16 ; 4-byte Folded Reload
	buffer_load_dword v74, off, s[20:23], 0 offset:20 ; 4-byte Folded Reload
	;; [unrolled: 1-line block ×4, first 2 shown]
	s_waitcnt vmcnt(0)
	ds_write2_b64 v125, v[73:74], v[75:76] offset0:58 offset1:59
	v_mov_b32_e32 v76, v72
	v_mov_b32_e32 v75, v71
	;; [unrolled: 1-line block ×4, first 2 shown]
	buffer_load_dword v69, off, s[20:23], 0 ; 4-byte Folded Reload
	buffer_load_dword v70, off, s[20:23], 0 offset:4 ; 4-byte Folded Reload
	buffer_load_dword v71, off, s[20:23], 0 offset:8 ; 4-byte Folded Reload
	buffer_load_dword v72, off, s[20:23], 0 offset:12 ; 4-byte Folded Reload
	s_waitcnt vmcnt(0)
	ds_write2_b64 v125, v[69:70], v[71:72] offset0:60 offset1:61
	ds_write2_b64 v125, v[65:66], v[67:68] offset0:62 offset1:63
	;; [unrolled: 1-line block ×19, first 2 shown]
	ds_read2_b64 v[97:100], v127 offset1:1
	s_waitcnt lgkmcnt(0)
	v_cmp_neq_f64_e32 vcc, 0, v[97:98]
	v_cmp_neq_f64_e64 s[2:3], 0, v[99:100]
	s_or_b64 s[2:3], vcc, s[2:3]
	s_and_b64 exec, exec, s[2:3]
	s_cbranch_execz .LBB97_260
; %bb.255:
	v_cmp_ngt_f64_e64 s[2:3], |v[97:98]|, |v[99:100]|
                                        ; implicit-def: $vgpr101_vgpr102
	s_and_saveexec_b64 s[6:7], s[2:3]
	s_xor_b64 s[2:3], exec, s[6:7]
                                        ; implicit-def: $vgpr103_vgpr104
	s_cbranch_execz .LBB97_257
; %bb.256:
	v_div_scale_f64 v[101:102], s[6:7], v[99:100], v[99:100], v[97:98]
	v_rcp_f64_e32 v[103:104], v[101:102]
	v_fma_f64 v[105:106], -v[101:102], v[103:104], 1.0
	v_fma_f64 v[103:104], v[103:104], v[105:106], v[103:104]
	v_div_scale_f64 v[105:106], vcc, v[97:98], v[99:100], v[97:98]
	v_fma_f64 v[107:108], -v[101:102], v[103:104], 1.0
	v_fma_f64 v[103:104], v[103:104], v[107:108], v[103:104]
	v_mul_f64 v[107:108], v[105:106], v[103:104]
	v_fma_f64 v[101:102], -v[101:102], v[107:108], v[105:106]
	v_div_fmas_f64 v[101:102], v[101:102], v[103:104], v[107:108]
	v_div_fixup_f64 v[101:102], v[101:102], v[99:100], v[97:98]
	v_fma_f64 v[97:98], v[97:98], v[101:102], v[99:100]
	v_div_scale_f64 v[99:100], s[6:7], v[97:98], v[97:98], 1.0
	v_div_scale_f64 v[107:108], vcc, 1.0, v[97:98], 1.0
	v_rcp_f64_e32 v[103:104], v[99:100]
	v_fma_f64 v[105:106], -v[99:100], v[103:104], 1.0
	v_fma_f64 v[103:104], v[103:104], v[105:106], v[103:104]
	v_fma_f64 v[105:106], -v[99:100], v[103:104], 1.0
	v_fma_f64 v[103:104], v[103:104], v[105:106], v[103:104]
	v_mul_f64 v[105:106], v[107:108], v[103:104]
	v_fma_f64 v[99:100], -v[99:100], v[105:106], v[107:108]
	v_div_fmas_f64 v[99:100], v[99:100], v[103:104], v[105:106]
	v_div_fixup_f64 v[103:104], v[99:100], v[97:98], 1.0
                                        ; implicit-def: $vgpr97_vgpr98
	v_mul_f64 v[101:102], v[101:102], v[103:104]
	v_xor_b32_e32 v104, 0x80000000, v104
.LBB97_257:
	s_andn2_saveexec_b64 s[2:3], s[2:3]
	s_cbranch_execz .LBB97_259
; %bb.258:
	v_div_scale_f64 v[101:102], s[6:7], v[97:98], v[97:98], v[99:100]
	v_rcp_f64_e32 v[103:104], v[101:102]
	v_fma_f64 v[105:106], -v[101:102], v[103:104], 1.0
	v_fma_f64 v[103:104], v[103:104], v[105:106], v[103:104]
	v_div_scale_f64 v[105:106], vcc, v[99:100], v[97:98], v[99:100]
	v_fma_f64 v[107:108], -v[101:102], v[103:104], 1.0
	v_fma_f64 v[103:104], v[103:104], v[107:108], v[103:104]
	v_mul_f64 v[107:108], v[105:106], v[103:104]
	v_fma_f64 v[101:102], -v[101:102], v[107:108], v[105:106]
	v_div_fmas_f64 v[101:102], v[101:102], v[103:104], v[107:108]
	v_div_fixup_f64 v[103:104], v[101:102], v[97:98], v[99:100]
	v_fma_f64 v[97:98], v[99:100], v[103:104], v[97:98]
	v_div_scale_f64 v[99:100], s[6:7], v[97:98], v[97:98], 1.0
	v_div_scale_f64 v[107:108], vcc, 1.0, v[97:98], 1.0
	v_rcp_f64_e32 v[101:102], v[99:100]
	v_fma_f64 v[105:106], -v[99:100], v[101:102], 1.0
	v_fma_f64 v[101:102], v[101:102], v[105:106], v[101:102]
	v_fma_f64 v[105:106], -v[99:100], v[101:102], 1.0
	v_fma_f64 v[101:102], v[101:102], v[105:106], v[101:102]
	v_mul_f64 v[105:106], v[107:108], v[101:102]
	v_fma_f64 v[99:100], -v[99:100], v[105:106], v[107:108]
	v_div_fmas_f64 v[99:100], v[99:100], v[101:102], v[105:106]
	v_div_fixup_f64 v[101:102], v[99:100], v[97:98], 1.0
	v_mul_f64 v[103:104], v[103:104], -v[101:102]
.LBB97_259:
	s_or_b64 exec, exec, s[2:3]
	ds_write2_b64 v127, v[101:102], v[103:104] offset1:1
.LBB97_260:
	s_or_b64 exec, exec, s[4:5]
	s_waitcnt lgkmcnt(0)
	s_barrier
	ds_read2_b64 v[69:72], v127 offset1:1
	v_cmp_lt_u32_e32 vcc, 28, v0
	s_waitcnt lgkmcnt(0)
	buffer_store_dword v69, off, s[20:23], 0 offset:1248 ; 4-byte Folded Spill
	s_nop 0
	buffer_store_dword v70, off, s[20:23], 0 offset:1252 ; 4-byte Folded Spill
	buffer_store_dword v71, off, s[20:23], 0 offset:1256 ; 4-byte Folded Spill
	buffer_store_dword v72, off, s[20:23], 0 offset:1260 ; 4-byte Folded Spill
	s_and_saveexec_b64 s[2:3], vcc
	s_cbranch_execz .LBB97_262
; %bb.261:
	buffer_load_dword v77, off, s[20:23], 0 offset:32 ; 4-byte Folded Reload
	buffer_load_dword v78, off, s[20:23], 0 offset:36 ; 4-byte Folded Reload
	;; [unrolled: 1-line block ×8, first 2 shown]
	ds_read2_b64 v[99:102], v125 offset0:58 offset1:59
	s_waitcnt vmcnt(0)
	v_mul_f64 v[97:98], v[71:72], v[79:80]
	v_mul_f64 v[79:80], v[69:70], v[79:80]
	v_fma_f64 v[97:98], v[69:70], v[77:78], -v[97:98]
	v_fma_f64 v[79:80], v[71:72], v[77:78], v[79:80]
	v_mov_b32_e32 v69, v73
	v_mov_b32_e32 v70, v74
	;; [unrolled: 1-line block ×4, first 2 shown]
	buffer_load_dword v73, off, s[20:23], 0 offset:16 ; 4-byte Folded Reload
	buffer_load_dword v74, off, s[20:23], 0 offset:20 ; 4-byte Folded Reload
	;; [unrolled: 1-line block ×4, first 2 shown]
	s_waitcnt lgkmcnt(0)
	v_mul_f64 v[77:78], v[101:102], v[79:80]
	v_fma_f64 v[77:78], v[99:100], v[97:98], -v[77:78]
	v_mul_f64 v[99:100], v[99:100], v[79:80]
	v_fma_f64 v[99:100], v[101:102], v[97:98], v[99:100]
	s_waitcnt vmcnt(2)
	v_add_f64 v[73:74], v[73:74], -v[77:78]
	s_waitcnt vmcnt(0)
	v_add_f64 v[75:76], v[75:76], -v[99:100]
	buffer_store_dword v73, off, s[20:23], 0 offset:16 ; 4-byte Folded Spill
	s_nop 0
	buffer_store_dword v74, off, s[20:23], 0 offset:20 ; 4-byte Folded Spill
	buffer_store_dword v75, off, s[20:23], 0 offset:24 ; 4-byte Folded Spill
	;; [unrolled: 1-line block ×3, first 2 shown]
	v_mov_b32_e32 v76, v72
	v_mov_b32_e32 v75, v71
	;; [unrolled: 1-line block ×4, first 2 shown]
	ds_read2_b64 v[99:102], v125 offset0:60 offset1:61
	buffer_load_dword v69, off, s[20:23], 0 ; 4-byte Folded Reload
	buffer_load_dword v70, off, s[20:23], 0 offset:4 ; 4-byte Folded Reload
	buffer_load_dword v71, off, s[20:23], 0 offset:8 ; 4-byte Folded Reload
	;; [unrolled: 1-line block ×3, first 2 shown]
	s_waitcnt lgkmcnt(0)
	v_mul_f64 v[77:78], v[101:102], v[79:80]
	v_fma_f64 v[77:78], v[99:100], v[97:98], -v[77:78]
	v_mul_f64 v[99:100], v[99:100], v[79:80]
	v_fma_f64 v[99:100], v[101:102], v[97:98], v[99:100]
	s_waitcnt vmcnt(2)
	v_add_f64 v[69:70], v[69:70], -v[77:78]
	s_waitcnt vmcnt(0)
	v_add_f64 v[71:72], v[71:72], -v[99:100]
	buffer_store_dword v69, off, s[20:23], 0 ; 4-byte Folded Spill
	s_nop 0
	buffer_store_dword v70, off, s[20:23], 0 offset:4 ; 4-byte Folded Spill
	buffer_store_dword v71, off, s[20:23], 0 offset:8 ; 4-byte Folded Spill
	;; [unrolled: 1-line block ×3, first 2 shown]
	ds_read2_b64 v[99:102], v125 offset0:62 offset1:63
	s_waitcnt lgkmcnt(0)
	v_mul_f64 v[77:78], v[101:102], v[79:80]
	v_fma_f64 v[77:78], v[99:100], v[97:98], -v[77:78]
	v_mul_f64 v[99:100], v[99:100], v[79:80]
	v_add_f64 v[65:66], v[65:66], -v[77:78]
	v_fma_f64 v[99:100], v[101:102], v[97:98], v[99:100]
	v_add_f64 v[67:68], v[67:68], -v[99:100]
	ds_read2_b64 v[99:102], v125 offset0:64 offset1:65
	s_waitcnt lgkmcnt(0)
	v_mul_f64 v[77:78], v[101:102], v[79:80]
	v_fma_f64 v[77:78], v[99:100], v[97:98], -v[77:78]
	v_mul_f64 v[99:100], v[99:100], v[79:80]
	v_add_f64 v[61:62], v[61:62], -v[77:78]
	v_fma_f64 v[99:100], v[101:102], v[97:98], v[99:100]
	v_add_f64 v[63:64], v[63:64], -v[99:100]
	;; [unrolled: 8-line block ×17, first 2 shown]
	ds_read2_b64 v[99:102], v125 offset0:96 offset1:97
	s_waitcnt lgkmcnt(0)
	v_mul_f64 v[77:78], v[101:102], v[79:80]
	v_fma_f64 v[77:78], v[99:100], v[97:98], -v[77:78]
	v_mul_f64 v[99:100], v[99:100], v[79:80]
	v_add_f64 v[73:74], v[73:74], -v[77:78]
	v_fma_f64 v[99:100], v[101:102], v[97:98], v[99:100]
	v_mov_b32_e32 v77, v97
	v_mov_b32_e32 v78, v98
	buffer_store_dword v77, off, s[20:23], 0 offset:32 ; 4-byte Folded Spill
	s_nop 0
	buffer_store_dword v78, off, s[20:23], 0 offset:36 ; 4-byte Folded Spill
	buffer_store_dword v79, off, s[20:23], 0 offset:40 ; 4-byte Folded Spill
	;; [unrolled: 1-line block ×3, first 2 shown]
	v_add_f64 v[75:76], v[75:76], -v[99:100]
.LBB97_262:
	s_or_b64 exec, exec, s[2:3]
	v_cmp_eq_u32_e32 vcc, 29, v0
	s_waitcnt vmcnt(0)
	s_barrier
	s_and_saveexec_b64 s[4:5], vcc
	s_cbranch_execz .LBB97_269
; %bb.263:
	v_mov_b32_e32 v69, v73
	v_mov_b32_e32 v70, v74
	;; [unrolled: 1-line block ×4, first 2 shown]
	buffer_load_dword v73, off, s[20:23], 0 offset:16 ; 4-byte Folded Reload
	buffer_load_dword v74, off, s[20:23], 0 offset:20 ; 4-byte Folded Reload
	;; [unrolled: 1-line block ×4, first 2 shown]
	s_waitcnt vmcnt(0)
	ds_write2_b64 v127, v[73:74], v[75:76] offset1:1
	v_mov_b32_e32 v76, v72
	v_mov_b32_e32 v75, v71
	;; [unrolled: 1-line block ×4, first 2 shown]
	buffer_load_dword v69, off, s[20:23], 0 ; 4-byte Folded Reload
	buffer_load_dword v70, off, s[20:23], 0 offset:4 ; 4-byte Folded Reload
	buffer_load_dword v71, off, s[20:23], 0 offset:8 ; 4-byte Folded Reload
	;; [unrolled: 1-line block ×3, first 2 shown]
	s_waitcnt vmcnt(0)
	ds_write2_b64 v125, v[69:70], v[71:72] offset0:60 offset1:61
	ds_write2_b64 v125, v[65:66], v[67:68] offset0:62 offset1:63
	ds_write2_b64 v125, v[61:62], v[63:64] offset0:64 offset1:65
	ds_write2_b64 v125, v[57:58], v[59:60] offset0:66 offset1:67
	ds_write2_b64 v125, v[53:54], v[55:56] offset0:68 offset1:69
	ds_write2_b64 v125, v[49:50], v[51:52] offset0:70 offset1:71
	ds_write2_b64 v125, v[45:46], v[47:48] offset0:72 offset1:73
	ds_write2_b64 v125, v[41:42], v[43:44] offset0:74 offset1:75
	ds_write2_b64 v125, v[37:38], v[39:40] offset0:76 offset1:77
	ds_write2_b64 v125, v[33:34], v[35:36] offset0:78 offset1:79
	ds_write2_b64 v125, v[29:30], v[31:32] offset0:80 offset1:81
	ds_write2_b64 v125, v[25:26], v[27:28] offset0:82 offset1:83
	ds_write2_b64 v125, v[21:22], v[23:24] offset0:84 offset1:85
	ds_write2_b64 v125, v[17:18], v[19:20] offset0:86 offset1:87
	ds_write2_b64 v125, v[13:14], v[15:16] offset0:88 offset1:89
	ds_write2_b64 v125, v[9:10], v[11:12] offset0:90 offset1:91
	ds_write2_b64 v125, v[5:6], v[7:8] offset0:92 offset1:93
	ds_write2_b64 v125, v[1:2], v[3:4] offset0:94 offset1:95
	ds_write2_b64 v125, v[73:74], v[75:76] offset0:96 offset1:97
	ds_read2_b64 v[97:100], v127 offset1:1
	s_waitcnt lgkmcnt(0)
	v_cmp_neq_f64_e32 vcc, 0, v[97:98]
	v_cmp_neq_f64_e64 s[2:3], 0, v[99:100]
	s_or_b64 s[2:3], vcc, s[2:3]
	s_and_b64 exec, exec, s[2:3]
	s_cbranch_execz .LBB97_269
; %bb.264:
	v_cmp_ngt_f64_e64 s[2:3], |v[97:98]|, |v[99:100]|
                                        ; implicit-def: $vgpr101_vgpr102
	s_and_saveexec_b64 s[6:7], s[2:3]
	s_xor_b64 s[2:3], exec, s[6:7]
                                        ; implicit-def: $vgpr103_vgpr104
	s_cbranch_execz .LBB97_266
; %bb.265:
	v_div_scale_f64 v[101:102], s[6:7], v[99:100], v[99:100], v[97:98]
	v_rcp_f64_e32 v[103:104], v[101:102]
	v_fma_f64 v[105:106], -v[101:102], v[103:104], 1.0
	v_fma_f64 v[103:104], v[103:104], v[105:106], v[103:104]
	v_div_scale_f64 v[105:106], vcc, v[97:98], v[99:100], v[97:98]
	v_fma_f64 v[107:108], -v[101:102], v[103:104], 1.0
	v_fma_f64 v[103:104], v[103:104], v[107:108], v[103:104]
	v_mul_f64 v[107:108], v[105:106], v[103:104]
	v_fma_f64 v[101:102], -v[101:102], v[107:108], v[105:106]
	v_div_fmas_f64 v[101:102], v[101:102], v[103:104], v[107:108]
	v_div_fixup_f64 v[101:102], v[101:102], v[99:100], v[97:98]
	v_fma_f64 v[97:98], v[97:98], v[101:102], v[99:100]
	v_div_scale_f64 v[99:100], s[6:7], v[97:98], v[97:98], 1.0
	v_div_scale_f64 v[107:108], vcc, 1.0, v[97:98], 1.0
	v_rcp_f64_e32 v[103:104], v[99:100]
	v_fma_f64 v[105:106], -v[99:100], v[103:104], 1.0
	v_fma_f64 v[103:104], v[103:104], v[105:106], v[103:104]
	v_fma_f64 v[105:106], -v[99:100], v[103:104], 1.0
	v_fma_f64 v[103:104], v[103:104], v[105:106], v[103:104]
	v_mul_f64 v[105:106], v[107:108], v[103:104]
	v_fma_f64 v[99:100], -v[99:100], v[105:106], v[107:108]
	v_div_fmas_f64 v[99:100], v[99:100], v[103:104], v[105:106]
	v_div_fixup_f64 v[103:104], v[99:100], v[97:98], 1.0
                                        ; implicit-def: $vgpr97_vgpr98
	v_mul_f64 v[101:102], v[101:102], v[103:104]
	v_xor_b32_e32 v104, 0x80000000, v104
.LBB97_266:
	s_andn2_saveexec_b64 s[2:3], s[2:3]
	s_cbranch_execz .LBB97_268
; %bb.267:
	v_div_scale_f64 v[101:102], s[6:7], v[97:98], v[97:98], v[99:100]
	v_rcp_f64_e32 v[103:104], v[101:102]
	v_fma_f64 v[105:106], -v[101:102], v[103:104], 1.0
	v_fma_f64 v[103:104], v[103:104], v[105:106], v[103:104]
	v_div_scale_f64 v[105:106], vcc, v[99:100], v[97:98], v[99:100]
	v_fma_f64 v[107:108], -v[101:102], v[103:104], 1.0
	v_fma_f64 v[103:104], v[103:104], v[107:108], v[103:104]
	v_mul_f64 v[107:108], v[105:106], v[103:104]
	v_fma_f64 v[101:102], -v[101:102], v[107:108], v[105:106]
	v_div_fmas_f64 v[101:102], v[101:102], v[103:104], v[107:108]
	v_div_fixup_f64 v[103:104], v[101:102], v[97:98], v[99:100]
	v_fma_f64 v[97:98], v[99:100], v[103:104], v[97:98]
	v_div_scale_f64 v[99:100], s[6:7], v[97:98], v[97:98], 1.0
	v_div_scale_f64 v[107:108], vcc, 1.0, v[97:98], 1.0
	v_rcp_f64_e32 v[101:102], v[99:100]
	v_fma_f64 v[105:106], -v[99:100], v[101:102], 1.0
	v_fma_f64 v[101:102], v[101:102], v[105:106], v[101:102]
	v_fma_f64 v[105:106], -v[99:100], v[101:102], 1.0
	v_fma_f64 v[101:102], v[101:102], v[105:106], v[101:102]
	v_mul_f64 v[105:106], v[107:108], v[101:102]
	v_fma_f64 v[99:100], -v[99:100], v[105:106], v[107:108]
	v_div_fmas_f64 v[99:100], v[99:100], v[101:102], v[105:106]
	v_div_fixup_f64 v[101:102], v[99:100], v[97:98], 1.0
	v_mul_f64 v[103:104], v[103:104], -v[101:102]
.LBB97_268:
	s_or_b64 exec, exec, s[2:3]
	ds_write2_b64 v127, v[101:102], v[103:104] offset1:1
.LBB97_269:
	s_or_b64 exec, exec, s[4:5]
	s_waitcnt lgkmcnt(0)
	s_barrier
	ds_read2_b64 v[69:72], v127 offset1:1
	v_cmp_lt_u32_e32 vcc, 29, v0
	s_waitcnt lgkmcnt(0)
	buffer_store_dword v69, off, s[20:23], 0 offset:1264 ; 4-byte Folded Spill
	s_nop 0
	buffer_store_dword v70, off, s[20:23], 0 offset:1268 ; 4-byte Folded Spill
	buffer_store_dword v71, off, s[20:23], 0 offset:1272 ; 4-byte Folded Spill
	;; [unrolled: 1-line block ×3, first 2 shown]
	s_and_saveexec_b64 s[2:3], vcc
	s_cbranch_execz .LBB97_271
; %bb.270:
	v_mov_b32_e32 v80, v76
	v_mov_b32_e32 v79, v75
	;; [unrolled: 1-line block ×4, first 2 shown]
	buffer_load_dword v73, off, s[20:23], 0 offset:16 ; 4-byte Folded Reload
	buffer_load_dword v74, off, s[20:23], 0 offset:20 ; 4-byte Folded Reload
	;; [unrolled: 1-line block ×8, first 2 shown]
	ds_read2_b64 v[99:102], v125 offset0:60 offset1:61
	s_waitcnt vmcnt(0)
	v_mul_f64 v[97:98], v[71:72], v[75:76]
	v_mul_f64 v[75:76], v[69:70], v[75:76]
	v_fma_f64 v[97:98], v[69:70], v[73:74], -v[97:98]
	v_fma_f64 v[75:76], v[71:72], v[73:74], v[75:76]
	buffer_load_dword v69, off, s[20:23], 0 ; 4-byte Folded Reload
	buffer_load_dword v70, off, s[20:23], 0 offset:4 ; 4-byte Folded Reload
	buffer_load_dword v71, off, s[20:23], 0 offset:8 ; 4-byte Folded Reload
	;; [unrolled: 1-line block ×3, first 2 shown]
	s_waitcnt lgkmcnt(0)
	v_mul_f64 v[73:74], v[101:102], v[75:76]
	v_fma_f64 v[73:74], v[99:100], v[97:98], -v[73:74]
	v_mul_f64 v[99:100], v[99:100], v[75:76]
	v_fma_f64 v[99:100], v[101:102], v[97:98], v[99:100]
	s_waitcnt vmcnt(2)
	v_add_f64 v[69:70], v[69:70], -v[73:74]
	s_waitcnt vmcnt(0)
	v_add_f64 v[71:72], v[71:72], -v[99:100]
	buffer_store_dword v69, off, s[20:23], 0 ; 4-byte Folded Spill
	s_nop 0
	buffer_store_dword v70, off, s[20:23], 0 offset:4 ; 4-byte Folded Spill
	buffer_store_dword v71, off, s[20:23], 0 offset:8 ; 4-byte Folded Spill
	;; [unrolled: 1-line block ×3, first 2 shown]
	ds_read2_b64 v[99:102], v125 offset0:62 offset1:63
	s_waitcnt lgkmcnt(0)
	v_mul_f64 v[73:74], v[101:102], v[75:76]
	v_fma_f64 v[73:74], v[99:100], v[97:98], -v[73:74]
	v_mul_f64 v[99:100], v[99:100], v[75:76]
	v_add_f64 v[65:66], v[65:66], -v[73:74]
	v_fma_f64 v[99:100], v[101:102], v[97:98], v[99:100]
	v_add_f64 v[67:68], v[67:68], -v[99:100]
	ds_read2_b64 v[99:102], v125 offset0:64 offset1:65
	s_waitcnt lgkmcnt(0)
	v_mul_f64 v[73:74], v[101:102], v[75:76]
	v_fma_f64 v[73:74], v[99:100], v[97:98], -v[73:74]
	v_mul_f64 v[99:100], v[99:100], v[75:76]
	v_add_f64 v[61:62], v[61:62], -v[73:74]
	v_fma_f64 v[99:100], v[101:102], v[97:98], v[99:100]
	v_add_f64 v[63:64], v[63:64], -v[99:100]
	;; [unrolled: 8-line block ×17, first 2 shown]
	ds_read2_b64 v[99:102], v125 offset0:96 offset1:97
	s_waitcnt lgkmcnt(0)
	v_mul_f64 v[73:74], v[101:102], v[75:76]
	v_fma_f64 v[73:74], v[99:100], v[97:98], -v[73:74]
	v_mul_f64 v[99:100], v[99:100], v[75:76]
	v_add_f64 v[77:78], v[77:78], -v[73:74]
	v_fma_f64 v[99:100], v[101:102], v[97:98], v[99:100]
	v_mov_b32_e32 v73, v97
	v_mov_b32_e32 v74, v98
	buffer_store_dword v73, off, s[20:23], 0 offset:16 ; 4-byte Folded Spill
	s_nop 0
	buffer_store_dword v74, off, s[20:23], 0 offset:20 ; 4-byte Folded Spill
	buffer_store_dword v75, off, s[20:23], 0 offset:24 ; 4-byte Folded Spill
	;; [unrolled: 1-line block ×3, first 2 shown]
	v_add_f64 v[79:80], v[79:80], -v[99:100]
	v_mov_b32_e32 v73, v77
	v_mov_b32_e32 v74, v78
	;; [unrolled: 1-line block ×4, first 2 shown]
.LBB97_271:
	s_or_b64 exec, exec, s[2:3]
	v_cmp_eq_u32_e32 vcc, 30, v0
	s_waitcnt vmcnt(0)
	s_barrier
	s_and_saveexec_b64 s[4:5], vcc
	s_cbranch_execz .LBB97_278
; %bb.272:
	buffer_load_dword v69, off, s[20:23], 0 ; 4-byte Folded Reload
	buffer_load_dword v70, off, s[20:23], 0 offset:4 ; 4-byte Folded Reload
	buffer_load_dword v71, off, s[20:23], 0 offset:8 ; 4-byte Folded Reload
	;; [unrolled: 1-line block ×3, first 2 shown]
	s_waitcnt vmcnt(0)
	ds_write2_b64 v127, v[69:70], v[71:72] offset1:1
	ds_write2_b64 v125, v[65:66], v[67:68] offset0:62 offset1:63
	ds_write2_b64 v125, v[61:62], v[63:64] offset0:64 offset1:65
	;; [unrolled: 1-line block ×18, first 2 shown]
	ds_read2_b64 v[97:100], v127 offset1:1
	s_waitcnt lgkmcnt(0)
	v_cmp_neq_f64_e32 vcc, 0, v[97:98]
	v_cmp_neq_f64_e64 s[2:3], 0, v[99:100]
	s_or_b64 s[2:3], vcc, s[2:3]
	s_and_b64 exec, exec, s[2:3]
	s_cbranch_execz .LBB97_278
; %bb.273:
	v_cmp_ngt_f64_e64 s[2:3], |v[97:98]|, |v[99:100]|
                                        ; implicit-def: $vgpr101_vgpr102
	s_and_saveexec_b64 s[6:7], s[2:3]
	s_xor_b64 s[2:3], exec, s[6:7]
                                        ; implicit-def: $vgpr103_vgpr104
	s_cbranch_execz .LBB97_275
; %bb.274:
	v_div_scale_f64 v[101:102], s[6:7], v[99:100], v[99:100], v[97:98]
	v_rcp_f64_e32 v[103:104], v[101:102]
	v_fma_f64 v[105:106], -v[101:102], v[103:104], 1.0
	v_fma_f64 v[103:104], v[103:104], v[105:106], v[103:104]
	v_div_scale_f64 v[105:106], vcc, v[97:98], v[99:100], v[97:98]
	v_fma_f64 v[107:108], -v[101:102], v[103:104], 1.0
	v_fma_f64 v[103:104], v[103:104], v[107:108], v[103:104]
	v_mul_f64 v[107:108], v[105:106], v[103:104]
	v_fma_f64 v[101:102], -v[101:102], v[107:108], v[105:106]
	v_div_fmas_f64 v[101:102], v[101:102], v[103:104], v[107:108]
	v_div_fixup_f64 v[101:102], v[101:102], v[99:100], v[97:98]
	v_fma_f64 v[97:98], v[97:98], v[101:102], v[99:100]
	v_div_scale_f64 v[99:100], s[6:7], v[97:98], v[97:98], 1.0
	v_div_scale_f64 v[107:108], vcc, 1.0, v[97:98], 1.0
	v_rcp_f64_e32 v[103:104], v[99:100]
	v_fma_f64 v[105:106], -v[99:100], v[103:104], 1.0
	v_fma_f64 v[103:104], v[103:104], v[105:106], v[103:104]
	v_fma_f64 v[105:106], -v[99:100], v[103:104], 1.0
	v_fma_f64 v[103:104], v[103:104], v[105:106], v[103:104]
	v_mul_f64 v[105:106], v[107:108], v[103:104]
	v_fma_f64 v[99:100], -v[99:100], v[105:106], v[107:108]
	v_div_fmas_f64 v[99:100], v[99:100], v[103:104], v[105:106]
	v_div_fixup_f64 v[103:104], v[99:100], v[97:98], 1.0
                                        ; implicit-def: $vgpr97_vgpr98
	v_mul_f64 v[101:102], v[101:102], v[103:104]
	v_xor_b32_e32 v104, 0x80000000, v104
.LBB97_275:
	s_andn2_saveexec_b64 s[2:3], s[2:3]
	s_cbranch_execz .LBB97_277
; %bb.276:
	v_div_scale_f64 v[101:102], s[6:7], v[97:98], v[97:98], v[99:100]
	v_rcp_f64_e32 v[103:104], v[101:102]
	v_fma_f64 v[105:106], -v[101:102], v[103:104], 1.0
	v_fma_f64 v[103:104], v[103:104], v[105:106], v[103:104]
	v_div_scale_f64 v[105:106], vcc, v[99:100], v[97:98], v[99:100]
	v_fma_f64 v[107:108], -v[101:102], v[103:104], 1.0
	v_fma_f64 v[103:104], v[103:104], v[107:108], v[103:104]
	v_mul_f64 v[107:108], v[105:106], v[103:104]
	v_fma_f64 v[101:102], -v[101:102], v[107:108], v[105:106]
	v_div_fmas_f64 v[101:102], v[101:102], v[103:104], v[107:108]
	v_div_fixup_f64 v[103:104], v[101:102], v[97:98], v[99:100]
	v_fma_f64 v[97:98], v[99:100], v[103:104], v[97:98]
	v_div_scale_f64 v[99:100], s[6:7], v[97:98], v[97:98], 1.0
	v_div_scale_f64 v[107:108], vcc, 1.0, v[97:98], 1.0
	v_rcp_f64_e32 v[101:102], v[99:100]
	v_fma_f64 v[105:106], -v[99:100], v[101:102], 1.0
	v_fma_f64 v[101:102], v[101:102], v[105:106], v[101:102]
	v_fma_f64 v[105:106], -v[99:100], v[101:102], 1.0
	v_fma_f64 v[101:102], v[101:102], v[105:106], v[101:102]
	v_mul_f64 v[105:106], v[107:108], v[101:102]
	v_fma_f64 v[99:100], -v[99:100], v[105:106], v[107:108]
	v_div_fmas_f64 v[99:100], v[99:100], v[101:102], v[105:106]
	v_div_fixup_f64 v[101:102], v[99:100], v[97:98], 1.0
	v_mul_f64 v[103:104], v[103:104], -v[101:102]
.LBB97_277:
	s_or_b64 exec, exec, s[2:3]
	ds_write2_b64 v127, v[101:102], v[103:104] offset1:1
.LBB97_278:
	s_or_b64 exec, exec, s[4:5]
	s_waitcnt lgkmcnt(0)
	s_barrier
	ds_read2_b64 v[69:72], v127 offset1:1
	v_cmp_lt_u32_e32 vcc, 30, v0
	s_waitcnt lgkmcnt(0)
	buffer_store_dword v69, off, s[20:23], 0 offset:1280 ; 4-byte Folded Spill
	s_nop 0
	buffer_store_dword v70, off, s[20:23], 0 offset:1284 ; 4-byte Folded Spill
	buffer_store_dword v71, off, s[20:23], 0 offset:1288 ; 4-byte Folded Spill
	buffer_store_dword v72, off, s[20:23], 0 offset:1292 ; 4-byte Folded Spill
	s_and_saveexec_b64 s[2:3], vcc
	s_cbranch_execz .LBB97_280
; %bb.279:
	buffer_load_dword v69, off, s[20:23], 0 ; 4-byte Folded Reload
	buffer_load_dword v70, off, s[20:23], 0 offset:4 ; 4-byte Folded Reload
	buffer_load_dword v71, off, s[20:23], 0 offset:8 ; 4-byte Folded Reload
	;; [unrolled: 1-line block ×7, first 2 shown]
	ds_read2_b64 v[99:102], v125 offset0:62 offset1:63
	s_waitcnt vmcnt(0)
	v_mul_f64 v[97:98], v[79:80], v[71:72]
	v_mul_f64 v[71:72], v[77:78], v[71:72]
	v_fma_f64 v[97:98], v[77:78], v[69:70], -v[97:98]
	v_fma_f64 v[71:72], v[79:80], v[69:70], v[71:72]
	s_waitcnt lgkmcnt(0)
	v_mul_f64 v[69:70], v[101:102], v[71:72]
	v_fma_f64 v[69:70], v[99:100], v[97:98], -v[69:70]
	v_mul_f64 v[99:100], v[99:100], v[71:72]
	v_add_f64 v[65:66], v[65:66], -v[69:70]
	v_fma_f64 v[99:100], v[101:102], v[97:98], v[99:100]
	v_add_f64 v[67:68], v[67:68], -v[99:100]
	ds_read2_b64 v[99:102], v125 offset0:64 offset1:65
	s_waitcnt lgkmcnt(0)
	v_mul_f64 v[69:70], v[101:102], v[71:72]
	v_fma_f64 v[69:70], v[99:100], v[97:98], -v[69:70]
	v_mul_f64 v[99:100], v[99:100], v[71:72]
	v_add_f64 v[61:62], v[61:62], -v[69:70]
	v_fma_f64 v[99:100], v[101:102], v[97:98], v[99:100]
	v_add_f64 v[63:64], v[63:64], -v[99:100]
	ds_read2_b64 v[99:102], v125 offset0:66 offset1:67
	;; [unrolled: 8-line block ×17, first 2 shown]
	s_waitcnt lgkmcnt(0)
	v_mul_f64 v[69:70], v[101:102], v[71:72]
	v_fma_f64 v[69:70], v[99:100], v[97:98], -v[69:70]
	v_mul_f64 v[99:100], v[99:100], v[71:72]
	v_add_f64 v[73:74], v[73:74], -v[69:70]
	v_fma_f64 v[99:100], v[101:102], v[97:98], v[99:100]
	v_mov_b32_e32 v69, v97
	v_mov_b32_e32 v70, v98
	buffer_store_dword v69, off, s[20:23], 0 ; 4-byte Folded Spill
	s_nop 0
	buffer_store_dword v70, off, s[20:23], 0 offset:4 ; 4-byte Folded Spill
	buffer_store_dword v71, off, s[20:23], 0 offset:8 ; 4-byte Folded Spill
	;; [unrolled: 1-line block ×3, first 2 shown]
	v_add_f64 v[75:76], v[75:76], -v[99:100]
.LBB97_280:
	s_or_b64 exec, exec, s[2:3]
	v_cmp_eq_u32_e32 vcc, 31, v0
	s_waitcnt vmcnt(0)
	s_barrier
	s_and_saveexec_b64 s[4:5], vcc
	s_cbranch_execz .LBB97_287
; %bb.281:
	ds_write2_b64 v127, v[65:66], v[67:68] offset1:1
	ds_write2_b64 v125, v[61:62], v[63:64] offset0:64 offset1:65
	ds_write2_b64 v125, v[57:58], v[59:60] offset0:66 offset1:67
	;; [unrolled: 1-line block ×17, first 2 shown]
	ds_read2_b64 v[97:100], v127 offset1:1
	s_waitcnt lgkmcnt(0)
	v_cmp_neq_f64_e32 vcc, 0, v[97:98]
	v_cmp_neq_f64_e64 s[2:3], 0, v[99:100]
	s_or_b64 s[2:3], vcc, s[2:3]
	s_and_b64 exec, exec, s[2:3]
	s_cbranch_execz .LBB97_287
; %bb.282:
	v_cmp_ngt_f64_e64 s[2:3], |v[97:98]|, |v[99:100]|
                                        ; implicit-def: $vgpr101_vgpr102
	s_and_saveexec_b64 s[6:7], s[2:3]
	s_xor_b64 s[2:3], exec, s[6:7]
                                        ; implicit-def: $vgpr103_vgpr104
	s_cbranch_execz .LBB97_284
; %bb.283:
	v_div_scale_f64 v[101:102], s[6:7], v[99:100], v[99:100], v[97:98]
	v_rcp_f64_e32 v[103:104], v[101:102]
	v_fma_f64 v[105:106], -v[101:102], v[103:104], 1.0
	v_fma_f64 v[103:104], v[103:104], v[105:106], v[103:104]
	v_div_scale_f64 v[105:106], vcc, v[97:98], v[99:100], v[97:98]
	v_fma_f64 v[107:108], -v[101:102], v[103:104], 1.0
	v_fma_f64 v[103:104], v[103:104], v[107:108], v[103:104]
	v_mul_f64 v[107:108], v[105:106], v[103:104]
	v_fma_f64 v[101:102], -v[101:102], v[107:108], v[105:106]
	v_div_fmas_f64 v[101:102], v[101:102], v[103:104], v[107:108]
	v_div_fixup_f64 v[101:102], v[101:102], v[99:100], v[97:98]
	v_fma_f64 v[97:98], v[97:98], v[101:102], v[99:100]
	v_div_scale_f64 v[99:100], s[6:7], v[97:98], v[97:98], 1.0
	v_div_scale_f64 v[107:108], vcc, 1.0, v[97:98], 1.0
	v_rcp_f64_e32 v[103:104], v[99:100]
	v_fma_f64 v[105:106], -v[99:100], v[103:104], 1.0
	v_fma_f64 v[103:104], v[103:104], v[105:106], v[103:104]
	v_fma_f64 v[105:106], -v[99:100], v[103:104], 1.0
	v_fma_f64 v[103:104], v[103:104], v[105:106], v[103:104]
	v_mul_f64 v[105:106], v[107:108], v[103:104]
	v_fma_f64 v[99:100], -v[99:100], v[105:106], v[107:108]
	v_div_fmas_f64 v[99:100], v[99:100], v[103:104], v[105:106]
	v_div_fixup_f64 v[103:104], v[99:100], v[97:98], 1.0
                                        ; implicit-def: $vgpr97_vgpr98
	v_mul_f64 v[101:102], v[101:102], v[103:104]
	v_xor_b32_e32 v104, 0x80000000, v104
.LBB97_284:
	s_andn2_saveexec_b64 s[2:3], s[2:3]
	s_cbranch_execz .LBB97_286
; %bb.285:
	v_div_scale_f64 v[101:102], s[6:7], v[97:98], v[97:98], v[99:100]
	v_rcp_f64_e32 v[103:104], v[101:102]
	v_fma_f64 v[105:106], -v[101:102], v[103:104], 1.0
	v_fma_f64 v[103:104], v[103:104], v[105:106], v[103:104]
	v_div_scale_f64 v[105:106], vcc, v[99:100], v[97:98], v[99:100]
	v_fma_f64 v[107:108], -v[101:102], v[103:104], 1.0
	v_fma_f64 v[103:104], v[103:104], v[107:108], v[103:104]
	v_mul_f64 v[107:108], v[105:106], v[103:104]
	v_fma_f64 v[101:102], -v[101:102], v[107:108], v[105:106]
	v_div_fmas_f64 v[101:102], v[101:102], v[103:104], v[107:108]
	v_div_fixup_f64 v[103:104], v[101:102], v[97:98], v[99:100]
	v_fma_f64 v[97:98], v[99:100], v[103:104], v[97:98]
	v_div_scale_f64 v[99:100], s[6:7], v[97:98], v[97:98], 1.0
	v_div_scale_f64 v[107:108], vcc, 1.0, v[97:98], 1.0
	v_rcp_f64_e32 v[101:102], v[99:100]
	v_fma_f64 v[105:106], -v[99:100], v[101:102], 1.0
	v_fma_f64 v[101:102], v[101:102], v[105:106], v[101:102]
	v_fma_f64 v[105:106], -v[99:100], v[101:102], 1.0
	v_fma_f64 v[101:102], v[101:102], v[105:106], v[101:102]
	v_mul_f64 v[105:106], v[107:108], v[101:102]
	v_fma_f64 v[99:100], -v[99:100], v[105:106], v[107:108]
	v_div_fmas_f64 v[99:100], v[99:100], v[101:102], v[105:106]
	v_div_fixup_f64 v[101:102], v[99:100], v[97:98], 1.0
	v_mul_f64 v[103:104], v[103:104], -v[101:102]
.LBB97_286:
	s_or_b64 exec, exec, s[2:3]
	ds_write2_b64 v127, v[101:102], v[103:104] offset1:1
.LBB97_287:
	s_or_b64 exec, exec, s[4:5]
	s_waitcnt lgkmcnt(0)
	s_barrier
	ds_read2_b64 v[69:72], v127 offset1:1
	v_cmp_lt_u32_e32 vcc, 31, v0
	s_waitcnt lgkmcnt(0)
	buffer_store_dword v69, off, s[20:23], 0 offset:1296 ; 4-byte Folded Spill
	s_nop 0
	buffer_store_dword v70, off, s[20:23], 0 offset:1300 ; 4-byte Folded Spill
	buffer_store_dword v71, off, s[20:23], 0 offset:1304 ; 4-byte Folded Spill
	;; [unrolled: 1-line block ×3, first 2 shown]
	s_and_saveexec_b64 s[2:3], vcc
	s_cbranch_execz .LBB97_289
; %bb.288:
	buffer_load_dword v69, off, s[20:23], 0 offset:1296 ; 4-byte Folded Reload
	buffer_load_dword v70, off, s[20:23], 0 offset:1300 ; 4-byte Folded Reload
	;; [unrolled: 1-line block ×4, first 2 shown]
	ds_read2_b64 v[99:102], v125 offset0:64 offset1:65
	s_waitcnt vmcnt(0)
	v_mul_f64 v[97:98], v[71:72], v[67:68]
	v_mul_f64 v[67:68], v[69:70], v[67:68]
	v_fma_f64 v[97:98], v[69:70], v[65:66], -v[97:98]
	v_fma_f64 v[67:68], v[71:72], v[65:66], v[67:68]
	s_waitcnt lgkmcnt(0)
	v_mul_f64 v[65:66], v[101:102], v[67:68]
	v_fma_f64 v[65:66], v[99:100], v[97:98], -v[65:66]
	v_mul_f64 v[99:100], v[99:100], v[67:68]
	v_add_f64 v[61:62], v[61:62], -v[65:66]
	v_fma_f64 v[99:100], v[101:102], v[97:98], v[99:100]
	v_add_f64 v[63:64], v[63:64], -v[99:100]
	ds_read2_b64 v[99:102], v125 offset0:66 offset1:67
	s_waitcnt lgkmcnt(0)
	v_mul_f64 v[65:66], v[101:102], v[67:68]
	v_fma_f64 v[65:66], v[99:100], v[97:98], -v[65:66]
	v_mul_f64 v[99:100], v[99:100], v[67:68]
	v_add_f64 v[57:58], v[57:58], -v[65:66]
	v_fma_f64 v[99:100], v[101:102], v[97:98], v[99:100]
	v_add_f64 v[59:60], v[59:60], -v[99:100]
	ds_read2_b64 v[99:102], v125 offset0:68 offset1:69
	;; [unrolled: 8-line block ×16, first 2 shown]
	s_waitcnt lgkmcnt(0)
	v_mul_f64 v[65:66], v[101:102], v[67:68]
	v_fma_f64 v[65:66], v[99:100], v[97:98], -v[65:66]
	v_mul_f64 v[99:100], v[99:100], v[67:68]
	v_add_f64 v[73:74], v[73:74], -v[65:66]
	v_fma_f64 v[99:100], v[101:102], v[97:98], v[99:100]
	v_mov_b32_e32 v65, v97
	v_mov_b32_e32 v66, v98
	v_add_f64 v[75:76], v[75:76], -v[99:100]
.LBB97_289:
	s_or_b64 exec, exec, s[2:3]
	v_cmp_eq_u32_e32 vcc, 32, v0
	s_waitcnt vmcnt(0)
	s_barrier
	s_and_saveexec_b64 s[4:5], vcc
	s_cbranch_execz .LBB97_296
; %bb.290:
	ds_write2_b64 v127, v[61:62], v[63:64] offset1:1
	ds_write2_b64 v125, v[57:58], v[59:60] offset0:66 offset1:67
	ds_write2_b64 v125, v[53:54], v[55:56] offset0:68 offset1:69
	;; [unrolled: 1-line block ×16, first 2 shown]
	ds_read2_b64 v[97:100], v127 offset1:1
	s_waitcnt lgkmcnt(0)
	v_cmp_neq_f64_e32 vcc, 0, v[97:98]
	v_cmp_neq_f64_e64 s[2:3], 0, v[99:100]
	s_or_b64 s[2:3], vcc, s[2:3]
	s_and_b64 exec, exec, s[2:3]
	s_cbranch_execz .LBB97_296
; %bb.291:
	v_cmp_ngt_f64_e64 s[2:3], |v[97:98]|, |v[99:100]|
                                        ; implicit-def: $vgpr101_vgpr102
	s_and_saveexec_b64 s[6:7], s[2:3]
	s_xor_b64 s[2:3], exec, s[6:7]
                                        ; implicit-def: $vgpr103_vgpr104
	s_cbranch_execz .LBB97_293
; %bb.292:
	v_div_scale_f64 v[101:102], s[6:7], v[99:100], v[99:100], v[97:98]
	v_rcp_f64_e32 v[103:104], v[101:102]
	v_fma_f64 v[105:106], -v[101:102], v[103:104], 1.0
	v_fma_f64 v[103:104], v[103:104], v[105:106], v[103:104]
	v_div_scale_f64 v[105:106], vcc, v[97:98], v[99:100], v[97:98]
	v_fma_f64 v[107:108], -v[101:102], v[103:104], 1.0
	v_fma_f64 v[103:104], v[103:104], v[107:108], v[103:104]
	v_mul_f64 v[107:108], v[105:106], v[103:104]
	v_fma_f64 v[101:102], -v[101:102], v[107:108], v[105:106]
	v_div_fmas_f64 v[101:102], v[101:102], v[103:104], v[107:108]
	v_div_fixup_f64 v[101:102], v[101:102], v[99:100], v[97:98]
	v_fma_f64 v[97:98], v[97:98], v[101:102], v[99:100]
	v_div_scale_f64 v[99:100], s[6:7], v[97:98], v[97:98], 1.0
	v_div_scale_f64 v[107:108], vcc, 1.0, v[97:98], 1.0
	v_rcp_f64_e32 v[103:104], v[99:100]
	v_fma_f64 v[105:106], -v[99:100], v[103:104], 1.0
	v_fma_f64 v[103:104], v[103:104], v[105:106], v[103:104]
	v_fma_f64 v[105:106], -v[99:100], v[103:104], 1.0
	v_fma_f64 v[103:104], v[103:104], v[105:106], v[103:104]
	v_mul_f64 v[105:106], v[107:108], v[103:104]
	v_fma_f64 v[99:100], -v[99:100], v[105:106], v[107:108]
	v_div_fmas_f64 v[99:100], v[99:100], v[103:104], v[105:106]
	v_div_fixup_f64 v[103:104], v[99:100], v[97:98], 1.0
                                        ; implicit-def: $vgpr97_vgpr98
	v_mul_f64 v[101:102], v[101:102], v[103:104]
	v_xor_b32_e32 v104, 0x80000000, v104
.LBB97_293:
	s_andn2_saveexec_b64 s[2:3], s[2:3]
	s_cbranch_execz .LBB97_295
; %bb.294:
	v_div_scale_f64 v[101:102], s[6:7], v[97:98], v[97:98], v[99:100]
	v_rcp_f64_e32 v[103:104], v[101:102]
	v_fma_f64 v[105:106], -v[101:102], v[103:104], 1.0
	v_fma_f64 v[103:104], v[103:104], v[105:106], v[103:104]
	v_div_scale_f64 v[105:106], vcc, v[99:100], v[97:98], v[99:100]
	v_fma_f64 v[107:108], -v[101:102], v[103:104], 1.0
	v_fma_f64 v[103:104], v[103:104], v[107:108], v[103:104]
	v_mul_f64 v[107:108], v[105:106], v[103:104]
	v_fma_f64 v[101:102], -v[101:102], v[107:108], v[105:106]
	v_div_fmas_f64 v[101:102], v[101:102], v[103:104], v[107:108]
	v_div_fixup_f64 v[103:104], v[101:102], v[97:98], v[99:100]
	v_fma_f64 v[97:98], v[99:100], v[103:104], v[97:98]
	v_div_scale_f64 v[99:100], s[6:7], v[97:98], v[97:98], 1.0
	v_div_scale_f64 v[107:108], vcc, 1.0, v[97:98], 1.0
	v_rcp_f64_e32 v[101:102], v[99:100]
	v_fma_f64 v[105:106], -v[99:100], v[101:102], 1.0
	v_fma_f64 v[101:102], v[101:102], v[105:106], v[101:102]
	v_fma_f64 v[105:106], -v[99:100], v[101:102], 1.0
	v_fma_f64 v[101:102], v[101:102], v[105:106], v[101:102]
	v_mul_f64 v[105:106], v[107:108], v[101:102]
	v_fma_f64 v[99:100], -v[99:100], v[105:106], v[107:108]
	v_div_fmas_f64 v[99:100], v[99:100], v[101:102], v[105:106]
	v_div_fixup_f64 v[101:102], v[99:100], v[97:98], 1.0
	v_mul_f64 v[103:104], v[103:104], -v[101:102]
.LBB97_295:
	s_or_b64 exec, exec, s[2:3]
	ds_write2_b64 v127, v[101:102], v[103:104] offset1:1
.LBB97_296:
	s_or_b64 exec, exec, s[4:5]
	s_waitcnt lgkmcnt(0)
	s_barrier
	ds_read2_b64 v[69:72], v127 offset1:1
	v_cmp_lt_u32_e32 vcc, 32, v0
	s_waitcnt lgkmcnt(0)
	buffer_store_dword v69, off, s[20:23], 0 offset:1312 ; 4-byte Folded Spill
	s_nop 0
	buffer_store_dword v70, off, s[20:23], 0 offset:1316 ; 4-byte Folded Spill
	buffer_store_dword v71, off, s[20:23], 0 offset:1320 ; 4-byte Folded Spill
	;; [unrolled: 1-line block ×3, first 2 shown]
	s_and_saveexec_b64 s[2:3], vcc
	s_cbranch_execz .LBB97_298
; %bb.297:
	buffer_load_dword v69, off, s[20:23], 0 offset:1312 ; 4-byte Folded Reload
	buffer_load_dword v70, off, s[20:23], 0 offset:1316 ; 4-byte Folded Reload
	;; [unrolled: 1-line block ×4, first 2 shown]
	ds_read2_b64 v[99:102], v125 offset0:66 offset1:67
	s_waitcnt vmcnt(2)
	v_mul_f64 v[97:98], v[69:70], v[63:64]
	s_waitcnt vmcnt(0)
	v_mul_f64 v[63:64], v[71:72], v[63:64]
	v_fma_f64 v[97:98], v[71:72], v[61:62], v[97:98]
	v_fma_f64 v[61:62], v[69:70], v[61:62], -v[63:64]
	s_waitcnt lgkmcnt(0)
	v_mul_f64 v[63:64], v[101:102], v[97:98]
	v_fma_f64 v[63:64], v[99:100], v[61:62], -v[63:64]
	v_mul_f64 v[99:100], v[99:100], v[97:98]
	v_add_f64 v[57:58], v[57:58], -v[63:64]
	v_fma_f64 v[99:100], v[101:102], v[61:62], v[99:100]
	v_add_f64 v[59:60], v[59:60], -v[99:100]
	ds_read2_b64 v[99:102], v125 offset0:68 offset1:69
	s_waitcnt lgkmcnt(0)
	v_mul_f64 v[63:64], v[101:102], v[97:98]
	v_fma_f64 v[63:64], v[99:100], v[61:62], -v[63:64]
	v_mul_f64 v[99:100], v[99:100], v[97:98]
	v_add_f64 v[53:54], v[53:54], -v[63:64]
	v_fma_f64 v[99:100], v[101:102], v[61:62], v[99:100]
	v_add_f64 v[55:56], v[55:56], -v[99:100]
	ds_read2_b64 v[99:102], v125 offset0:70 offset1:71
	;; [unrolled: 8-line block ×15, first 2 shown]
	s_waitcnt lgkmcnt(0)
	v_mul_f64 v[63:64], v[101:102], v[97:98]
	v_fma_f64 v[63:64], v[99:100], v[61:62], -v[63:64]
	v_mul_f64 v[99:100], v[99:100], v[97:98]
	v_add_f64 v[73:74], v[73:74], -v[63:64]
	v_fma_f64 v[99:100], v[101:102], v[61:62], v[99:100]
	v_mov_b32_e32 v63, v97
	v_mov_b32_e32 v64, v98
	v_add_f64 v[75:76], v[75:76], -v[99:100]
.LBB97_298:
	s_or_b64 exec, exec, s[2:3]
	v_cmp_eq_u32_e32 vcc, 33, v0
	s_waitcnt vmcnt(0)
	s_barrier
	s_and_saveexec_b64 s[4:5], vcc
	s_cbranch_execz .LBB97_305
; %bb.299:
	ds_write2_b64 v127, v[57:58], v[59:60] offset1:1
	ds_write2_b64 v125, v[53:54], v[55:56] offset0:68 offset1:69
	ds_write2_b64 v125, v[49:50], v[51:52] offset0:70 offset1:71
	;; [unrolled: 1-line block ×15, first 2 shown]
	ds_read2_b64 v[97:100], v127 offset1:1
	s_waitcnt lgkmcnt(0)
	v_cmp_neq_f64_e32 vcc, 0, v[97:98]
	v_cmp_neq_f64_e64 s[2:3], 0, v[99:100]
	s_or_b64 s[2:3], vcc, s[2:3]
	s_and_b64 exec, exec, s[2:3]
	s_cbranch_execz .LBB97_305
; %bb.300:
	v_cmp_ngt_f64_e64 s[2:3], |v[97:98]|, |v[99:100]|
                                        ; implicit-def: $vgpr101_vgpr102
	s_and_saveexec_b64 s[6:7], s[2:3]
	s_xor_b64 s[2:3], exec, s[6:7]
                                        ; implicit-def: $vgpr103_vgpr104
	s_cbranch_execz .LBB97_302
; %bb.301:
	v_div_scale_f64 v[101:102], s[6:7], v[99:100], v[99:100], v[97:98]
	v_rcp_f64_e32 v[103:104], v[101:102]
	v_fma_f64 v[105:106], -v[101:102], v[103:104], 1.0
	v_fma_f64 v[103:104], v[103:104], v[105:106], v[103:104]
	v_div_scale_f64 v[105:106], vcc, v[97:98], v[99:100], v[97:98]
	v_fma_f64 v[107:108], -v[101:102], v[103:104], 1.0
	v_fma_f64 v[103:104], v[103:104], v[107:108], v[103:104]
	v_mul_f64 v[107:108], v[105:106], v[103:104]
	v_fma_f64 v[101:102], -v[101:102], v[107:108], v[105:106]
	v_div_fmas_f64 v[101:102], v[101:102], v[103:104], v[107:108]
	v_div_fixup_f64 v[101:102], v[101:102], v[99:100], v[97:98]
	v_fma_f64 v[97:98], v[97:98], v[101:102], v[99:100]
	v_div_scale_f64 v[99:100], s[6:7], v[97:98], v[97:98], 1.0
	v_div_scale_f64 v[107:108], vcc, 1.0, v[97:98], 1.0
	v_rcp_f64_e32 v[103:104], v[99:100]
	v_fma_f64 v[105:106], -v[99:100], v[103:104], 1.0
	v_fma_f64 v[103:104], v[103:104], v[105:106], v[103:104]
	v_fma_f64 v[105:106], -v[99:100], v[103:104], 1.0
	v_fma_f64 v[103:104], v[103:104], v[105:106], v[103:104]
	v_mul_f64 v[105:106], v[107:108], v[103:104]
	v_fma_f64 v[99:100], -v[99:100], v[105:106], v[107:108]
	v_div_fmas_f64 v[99:100], v[99:100], v[103:104], v[105:106]
	v_div_fixup_f64 v[103:104], v[99:100], v[97:98], 1.0
                                        ; implicit-def: $vgpr97_vgpr98
	v_mul_f64 v[101:102], v[101:102], v[103:104]
	v_xor_b32_e32 v104, 0x80000000, v104
.LBB97_302:
	s_andn2_saveexec_b64 s[2:3], s[2:3]
	s_cbranch_execz .LBB97_304
; %bb.303:
	v_div_scale_f64 v[101:102], s[6:7], v[97:98], v[97:98], v[99:100]
	v_rcp_f64_e32 v[103:104], v[101:102]
	v_fma_f64 v[105:106], -v[101:102], v[103:104], 1.0
	v_fma_f64 v[103:104], v[103:104], v[105:106], v[103:104]
	v_div_scale_f64 v[105:106], vcc, v[99:100], v[97:98], v[99:100]
	v_fma_f64 v[107:108], -v[101:102], v[103:104], 1.0
	v_fma_f64 v[103:104], v[103:104], v[107:108], v[103:104]
	v_mul_f64 v[107:108], v[105:106], v[103:104]
	v_fma_f64 v[101:102], -v[101:102], v[107:108], v[105:106]
	v_div_fmas_f64 v[101:102], v[101:102], v[103:104], v[107:108]
	v_div_fixup_f64 v[103:104], v[101:102], v[97:98], v[99:100]
	v_fma_f64 v[97:98], v[99:100], v[103:104], v[97:98]
	v_div_scale_f64 v[99:100], s[6:7], v[97:98], v[97:98], 1.0
	v_div_scale_f64 v[107:108], vcc, 1.0, v[97:98], 1.0
	v_rcp_f64_e32 v[101:102], v[99:100]
	v_fma_f64 v[105:106], -v[99:100], v[101:102], 1.0
	v_fma_f64 v[101:102], v[101:102], v[105:106], v[101:102]
	v_fma_f64 v[105:106], -v[99:100], v[101:102], 1.0
	v_fma_f64 v[101:102], v[101:102], v[105:106], v[101:102]
	v_mul_f64 v[105:106], v[107:108], v[101:102]
	v_fma_f64 v[99:100], -v[99:100], v[105:106], v[107:108]
	v_div_fmas_f64 v[99:100], v[99:100], v[101:102], v[105:106]
	v_div_fixup_f64 v[101:102], v[99:100], v[97:98], 1.0
	v_mul_f64 v[103:104], v[103:104], -v[101:102]
.LBB97_304:
	s_or_b64 exec, exec, s[2:3]
	ds_write2_b64 v127, v[101:102], v[103:104] offset1:1
.LBB97_305:
	s_or_b64 exec, exec, s[4:5]
	s_waitcnt lgkmcnt(0)
	s_barrier
	ds_read2_b64 v[69:72], v127 offset1:1
	v_cmp_lt_u32_e32 vcc, 33, v0
	s_waitcnt lgkmcnt(0)
	buffer_store_dword v69, off, s[20:23], 0 offset:1328 ; 4-byte Folded Spill
	s_nop 0
	buffer_store_dword v70, off, s[20:23], 0 offset:1332 ; 4-byte Folded Spill
	buffer_store_dword v71, off, s[20:23], 0 offset:1336 ; 4-byte Folded Spill
	;; [unrolled: 1-line block ×3, first 2 shown]
	s_and_saveexec_b64 s[2:3], vcc
	s_cbranch_execz .LBB97_307
; %bb.306:
	buffer_load_dword v69, off, s[20:23], 0 offset:1328 ; 4-byte Folded Reload
	buffer_load_dword v70, off, s[20:23], 0 offset:1332 ; 4-byte Folded Reload
	;; [unrolled: 1-line block ×4, first 2 shown]
	ds_read2_b64 v[99:102], v125 offset0:68 offset1:69
	s_waitcnt vmcnt(2)
	v_mul_f64 v[97:98], v[69:70], v[59:60]
	s_waitcnt vmcnt(0)
	v_mul_f64 v[59:60], v[71:72], v[59:60]
	v_fma_f64 v[97:98], v[71:72], v[57:58], v[97:98]
	v_fma_f64 v[57:58], v[69:70], v[57:58], -v[59:60]
	s_waitcnt lgkmcnt(0)
	v_mul_f64 v[59:60], v[101:102], v[97:98]
	v_fma_f64 v[59:60], v[99:100], v[57:58], -v[59:60]
	v_mul_f64 v[99:100], v[99:100], v[97:98]
	v_add_f64 v[53:54], v[53:54], -v[59:60]
	v_fma_f64 v[99:100], v[101:102], v[57:58], v[99:100]
	v_add_f64 v[55:56], v[55:56], -v[99:100]
	ds_read2_b64 v[99:102], v125 offset0:70 offset1:71
	s_waitcnt lgkmcnt(0)
	v_mul_f64 v[59:60], v[101:102], v[97:98]
	v_fma_f64 v[59:60], v[99:100], v[57:58], -v[59:60]
	v_mul_f64 v[99:100], v[99:100], v[97:98]
	v_add_f64 v[49:50], v[49:50], -v[59:60]
	v_fma_f64 v[99:100], v[101:102], v[57:58], v[99:100]
	v_add_f64 v[51:52], v[51:52], -v[99:100]
	ds_read2_b64 v[99:102], v125 offset0:72 offset1:73
	;; [unrolled: 8-line block ×14, first 2 shown]
	s_waitcnt lgkmcnt(0)
	v_mul_f64 v[59:60], v[101:102], v[97:98]
	v_fma_f64 v[59:60], v[99:100], v[57:58], -v[59:60]
	v_mul_f64 v[99:100], v[99:100], v[97:98]
	v_add_f64 v[73:74], v[73:74], -v[59:60]
	v_fma_f64 v[99:100], v[101:102], v[57:58], v[99:100]
	v_mov_b32_e32 v59, v97
	v_mov_b32_e32 v60, v98
	v_add_f64 v[75:76], v[75:76], -v[99:100]
.LBB97_307:
	s_or_b64 exec, exec, s[2:3]
	v_cmp_eq_u32_e32 vcc, 34, v0
	s_waitcnt vmcnt(0)
	s_barrier
	s_and_saveexec_b64 s[4:5], vcc
	s_cbranch_execz .LBB97_314
; %bb.308:
	ds_write2_b64 v127, v[53:54], v[55:56] offset1:1
	ds_write2_b64 v125, v[49:50], v[51:52] offset0:70 offset1:71
	ds_write2_b64 v125, v[45:46], v[47:48] offset0:72 offset1:73
	ds_write2_b64 v125, v[41:42], v[43:44] offset0:74 offset1:75
	ds_write2_b64 v125, v[37:38], v[39:40] offset0:76 offset1:77
	ds_write2_b64 v125, v[33:34], v[35:36] offset0:78 offset1:79
	ds_write2_b64 v125, v[29:30], v[31:32] offset0:80 offset1:81
	ds_write2_b64 v125, v[25:26], v[27:28] offset0:82 offset1:83
	ds_write2_b64 v125, v[21:22], v[23:24] offset0:84 offset1:85
	ds_write2_b64 v125, v[17:18], v[19:20] offset0:86 offset1:87
	ds_write2_b64 v125, v[13:14], v[15:16] offset0:88 offset1:89
	ds_write2_b64 v125, v[9:10], v[11:12] offset0:90 offset1:91
	ds_write2_b64 v125, v[5:6], v[7:8] offset0:92 offset1:93
	ds_write2_b64 v125, v[1:2], v[3:4] offset0:94 offset1:95
	ds_write2_b64 v125, v[73:74], v[75:76] offset0:96 offset1:97
	ds_read2_b64 v[97:100], v127 offset1:1
	s_waitcnt lgkmcnt(0)
	v_cmp_neq_f64_e32 vcc, 0, v[97:98]
	v_cmp_neq_f64_e64 s[2:3], 0, v[99:100]
	s_or_b64 s[2:3], vcc, s[2:3]
	s_and_b64 exec, exec, s[2:3]
	s_cbranch_execz .LBB97_314
; %bb.309:
	v_cmp_ngt_f64_e64 s[2:3], |v[97:98]|, |v[99:100]|
                                        ; implicit-def: $vgpr101_vgpr102
	s_and_saveexec_b64 s[6:7], s[2:3]
	s_xor_b64 s[2:3], exec, s[6:7]
                                        ; implicit-def: $vgpr103_vgpr104
	s_cbranch_execz .LBB97_311
; %bb.310:
	v_div_scale_f64 v[101:102], s[6:7], v[99:100], v[99:100], v[97:98]
	v_rcp_f64_e32 v[103:104], v[101:102]
	v_fma_f64 v[105:106], -v[101:102], v[103:104], 1.0
	v_fma_f64 v[103:104], v[103:104], v[105:106], v[103:104]
	v_div_scale_f64 v[105:106], vcc, v[97:98], v[99:100], v[97:98]
	v_fma_f64 v[107:108], -v[101:102], v[103:104], 1.0
	v_fma_f64 v[103:104], v[103:104], v[107:108], v[103:104]
	v_mul_f64 v[107:108], v[105:106], v[103:104]
	v_fma_f64 v[101:102], -v[101:102], v[107:108], v[105:106]
	v_div_fmas_f64 v[101:102], v[101:102], v[103:104], v[107:108]
	v_div_fixup_f64 v[101:102], v[101:102], v[99:100], v[97:98]
	v_fma_f64 v[97:98], v[97:98], v[101:102], v[99:100]
	v_div_scale_f64 v[99:100], s[6:7], v[97:98], v[97:98], 1.0
	v_div_scale_f64 v[107:108], vcc, 1.0, v[97:98], 1.0
	v_rcp_f64_e32 v[103:104], v[99:100]
	v_fma_f64 v[105:106], -v[99:100], v[103:104], 1.0
	v_fma_f64 v[103:104], v[103:104], v[105:106], v[103:104]
	v_fma_f64 v[105:106], -v[99:100], v[103:104], 1.0
	v_fma_f64 v[103:104], v[103:104], v[105:106], v[103:104]
	v_mul_f64 v[105:106], v[107:108], v[103:104]
	v_fma_f64 v[99:100], -v[99:100], v[105:106], v[107:108]
	v_div_fmas_f64 v[99:100], v[99:100], v[103:104], v[105:106]
	v_div_fixup_f64 v[103:104], v[99:100], v[97:98], 1.0
                                        ; implicit-def: $vgpr97_vgpr98
	v_mul_f64 v[101:102], v[101:102], v[103:104]
	v_xor_b32_e32 v104, 0x80000000, v104
.LBB97_311:
	s_andn2_saveexec_b64 s[2:3], s[2:3]
	s_cbranch_execz .LBB97_313
; %bb.312:
	v_div_scale_f64 v[101:102], s[6:7], v[97:98], v[97:98], v[99:100]
	v_rcp_f64_e32 v[103:104], v[101:102]
	v_fma_f64 v[105:106], -v[101:102], v[103:104], 1.0
	v_fma_f64 v[103:104], v[103:104], v[105:106], v[103:104]
	v_div_scale_f64 v[105:106], vcc, v[99:100], v[97:98], v[99:100]
	v_fma_f64 v[107:108], -v[101:102], v[103:104], 1.0
	v_fma_f64 v[103:104], v[103:104], v[107:108], v[103:104]
	v_mul_f64 v[107:108], v[105:106], v[103:104]
	v_fma_f64 v[101:102], -v[101:102], v[107:108], v[105:106]
	v_div_fmas_f64 v[101:102], v[101:102], v[103:104], v[107:108]
	v_div_fixup_f64 v[103:104], v[101:102], v[97:98], v[99:100]
	v_fma_f64 v[97:98], v[99:100], v[103:104], v[97:98]
	v_div_scale_f64 v[99:100], s[6:7], v[97:98], v[97:98], 1.0
	v_div_scale_f64 v[107:108], vcc, 1.0, v[97:98], 1.0
	v_rcp_f64_e32 v[101:102], v[99:100]
	v_fma_f64 v[105:106], -v[99:100], v[101:102], 1.0
	v_fma_f64 v[101:102], v[101:102], v[105:106], v[101:102]
	v_fma_f64 v[105:106], -v[99:100], v[101:102], 1.0
	v_fma_f64 v[101:102], v[101:102], v[105:106], v[101:102]
	v_mul_f64 v[105:106], v[107:108], v[101:102]
	v_fma_f64 v[99:100], -v[99:100], v[105:106], v[107:108]
	v_div_fmas_f64 v[99:100], v[99:100], v[101:102], v[105:106]
	v_div_fixup_f64 v[101:102], v[99:100], v[97:98], 1.0
	v_mul_f64 v[103:104], v[103:104], -v[101:102]
.LBB97_313:
	s_or_b64 exec, exec, s[2:3]
	ds_write2_b64 v127, v[101:102], v[103:104] offset1:1
.LBB97_314:
	s_or_b64 exec, exec, s[4:5]
	s_waitcnt lgkmcnt(0)
	s_barrier
	ds_read2_b64 v[69:72], v127 offset1:1
	v_cmp_lt_u32_e32 vcc, 34, v0
	s_waitcnt lgkmcnt(0)
	buffer_store_dword v69, off, s[20:23], 0 offset:1344 ; 4-byte Folded Spill
	s_nop 0
	buffer_store_dword v70, off, s[20:23], 0 offset:1348 ; 4-byte Folded Spill
	buffer_store_dword v71, off, s[20:23], 0 offset:1352 ; 4-byte Folded Spill
	;; [unrolled: 1-line block ×3, first 2 shown]
	s_and_saveexec_b64 s[2:3], vcc
	s_cbranch_execz .LBB97_316
; %bb.315:
	buffer_load_dword v69, off, s[20:23], 0 offset:1344 ; 4-byte Folded Reload
	buffer_load_dword v70, off, s[20:23], 0 offset:1348 ; 4-byte Folded Reload
	;; [unrolled: 1-line block ×4, first 2 shown]
	ds_read2_b64 v[99:102], v125 offset0:70 offset1:71
	s_waitcnt vmcnt(2)
	v_mul_f64 v[97:98], v[69:70], v[55:56]
	s_waitcnt vmcnt(0)
	v_mul_f64 v[55:56], v[71:72], v[55:56]
	v_fma_f64 v[97:98], v[71:72], v[53:54], v[97:98]
	v_fma_f64 v[53:54], v[69:70], v[53:54], -v[55:56]
	s_waitcnt lgkmcnt(0)
	v_mul_f64 v[55:56], v[101:102], v[97:98]
	v_fma_f64 v[55:56], v[99:100], v[53:54], -v[55:56]
	v_mul_f64 v[99:100], v[99:100], v[97:98]
	v_add_f64 v[49:50], v[49:50], -v[55:56]
	v_fma_f64 v[99:100], v[101:102], v[53:54], v[99:100]
	v_add_f64 v[51:52], v[51:52], -v[99:100]
	ds_read2_b64 v[99:102], v125 offset0:72 offset1:73
	s_waitcnt lgkmcnt(0)
	v_mul_f64 v[55:56], v[101:102], v[97:98]
	v_fma_f64 v[55:56], v[99:100], v[53:54], -v[55:56]
	v_mul_f64 v[99:100], v[99:100], v[97:98]
	v_add_f64 v[45:46], v[45:46], -v[55:56]
	v_fma_f64 v[99:100], v[101:102], v[53:54], v[99:100]
	v_add_f64 v[47:48], v[47:48], -v[99:100]
	ds_read2_b64 v[99:102], v125 offset0:74 offset1:75
	;; [unrolled: 8-line block ×13, first 2 shown]
	s_waitcnt lgkmcnt(0)
	v_mul_f64 v[55:56], v[101:102], v[97:98]
	v_fma_f64 v[55:56], v[99:100], v[53:54], -v[55:56]
	v_mul_f64 v[99:100], v[99:100], v[97:98]
	v_add_f64 v[73:74], v[73:74], -v[55:56]
	v_fma_f64 v[99:100], v[101:102], v[53:54], v[99:100]
	v_mov_b32_e32 v55, v97
	v_mov_b32_e32 v56, v98
	v_add_f64 v[75:76], v[75:76], -v[99:100]
.LBB97_316:
	s_or_b64 exec, exec, s[2:3]
	v_cmp_eq_u32_e32 vcc, 35, v0
	s_waitcnt vmcnt(0)
	s_barrier
	s_and_saveexec_b64 s[4:5], vcc
	s_cbranch_execz .LBB97_323
; %bb.317:
	ds_write2_b64 v127, v[49:50], v[51:52] offset1:1
	ds_write2_b64 v125, v[45:46], v[47:48] offset0:72 offset1:73
	ds_write2_b64 v125, v[41:42], v[43:44] offset0:74 offset1:75
	;; [unrolled: 1-line block ×13, first 2 shown]
	ds_read2_b64 v[97:100], v127 offset1:1
	s_waitcnt lgkmcnt(0)
	v_cmp_neq_f64_e32 vcc, 0, v[97:98]
	v_cmp_neq_f64_e64 s[2:3], 0, v[99:100]
	s_or_b64 s[2:3], vcc, s[2:3]
	s_and_b64 exec, exec, s[2:3]
	s_cbranch_execz .LBB97_323
; %bb.318:
	v_cmp_ngt_f64_e64 s[2:3], |v[97:98]|, |v[99:100]|
                                        ; implicit-def: $vgpr101_vgpr102
	s_and_saveexec_b64 s[6:7], s[2:3]
	s_xor_b64 s[2:3], exec, s[6:7]
                                        ; implicit-def: $vgpr103_vgpr104
	s_cbranch_execz .LBB97_320
; %bb.319:
	v_div_scale_f64 v[101:102], s[6:7], v[99:100], v[99:100], v[97:98]
	v_rcp_f64_e32 v[103:104], v[101:102]
	v_fma_f64 v[105:106], -v[101:102], v[103:104], 1.0
	v_fma_f64 v[103:104], v[103:104], v[105:106], v[103:104]
	v_div_scale_f64 v[105:106], vcc, v[97:98], v[99:100], v[97:98]
	v_fma_f64 v[107:108], -v[101:102], v[103:104], 1.0
	v_fma_f64 v[103:104], v[103:104], v[107:108], v[103:104]
	v_mul_f64 v[107:108], v[105:106], v[103:104]
	v_fma_f64 v[101:102], -v[101:102], v[107:108], v[105:106]
	v_div_fmas_f64 v[101:102], v[101:102], v[103:104], v[107:108]
	v_div_fixup_f64 v[101:102], v[101:102], v[99:100], v[97:98]
	v_fma_f64 v[97:98], v[97:98], v[101:102], v[99:100]
	v_div_scale_f64 v[99:100], s[6:7], v[97:98], v[97:98], 1.0
	v_div_scale_f64 v[107:108], vcc, 1.0, v[97:98], 1.0
	v_rcp_f64_e32 v[103:104], v[99:100]
	v_fma_f64 v[105:106], -v[99:100], v[103:104], 1.0
	v_fma_f64 v[103:104], v[103:104], v[105:106], v[103:104]
	v_fma_f64 v[105:106], -v[99:100], v[103:104], 1.0
	v_fma_f64 v[103:104], v[103:104], v[105:106], v[103:104]
	v_mul_f64 v[105:106], v[107:108], v[103:104]
	v_fma_f64 v[99:100], -v[99:100], v[105:106], v[107:108]
	v_div_fmas_f64 v[99:100], v[99:100], v[103:104], v[105:106]
	v_div_fixup_f64 v[103:104], v[99:100], v[97:98], 1.0
                                        ; implicit-def: $vgpr97_vgpr98
	v_mul_f64 v[101:102], v[101:102], v[103:104]
	v_xor_b32_e32 v104, 0x80000000, v104
.LBB97_320:
	s_andn2_saveexec_b64 s[2:3], s[2:3]
	s_cbranch_execz .LBB97_322
; %bb.321:
	v_div_scale_f64 v[101:102], s[6:7], v[97:98], v[97:98], v[99:100]
	v_rcp_f64_e32 v[103:104], v[101:102]
	v_fma_f64 v[105:106], -v[101:102], v[103:104], 1.0
	v_fma_f64 v[103:104], v[103:104], v[105:106], v[103:104]
	v_div_scale_f64 v[105:106], vcc, v[99:100], v[97:98], v[99:100]
	v_fma_f64 v[107:108], -v[101:102], v[103:104], 1.0
	v_fma_f64 v[103:104], v[103:104], v[107:108], v[103:104]
	v_mul_f64 v[107:108], v[105:106], v[103:104]
	v_fma_f64 v[101:102], -v[101:102], v[107:108], v[105:106]
	v_div_fmas_f64 v[101:102], v[101:102], v[103:104], v[107:108]
	v_div_fixup_f64 v[103:104], v[101:102], v[97:98], v[99:100]
	v_fma_f64 v[97:98], v[99:100], v[103:104], v[97:98]
	v_div_scale_f64 v[99:100], s[6:7], v[97:98], v[97:98], 1.0
	v_div_scale_f64 v[107:108], vcc, 1.0, v[97:98], 1.0
	v_rcp_f64_e32 v[101:102], v[99:100]
	v_fma_f64 v[105:106], -v[99:100], v[101:102], 1.0
	v_fma_f64 v[101:102], v[101:102], v[105:106], v[101:102]
	v_fma_f64 v[105:106], -v[99:100], v[101:102], 1.0
	v_fma_f64 v[101:102], v[101:102], v[105:106], v[101:102]
	v_mul_f64 v[105:106], v[107:108], v[101:102]
	v_fma_f64 v[99:100], -v[99:100], v[105:106], v[107:108]
	v_div_fmas_f64 v[99:100], v[99:100], v[101:102], v[105:106]
	v_div_fixup_f64 v[101:102], v[99:100], v[97:98], 1.0
	v_mul_f64 v[103:104], v[103:104], -v[101:102]
.LBB97_322:
	s_or_b64 exec, exec, s[2:3]
	ds_write2_b64 v127, v[101:102], v[103:104] offset1:1
.LBB97_323:
	s_or_b64 exec, exec, s[4:5]
	s_waitcnt lgkmcnt(0)
	s_barrier
	ds_read2_b64 v[69:72], v127 offset1:1
	v_cmp_lt_u32_e32 vcc, 35, v0
	s_waitcnt lgkmcnt(0)
	buffer_store_dword v69, off, s[20:23], 0 offset:1360 ; 4-byte Folded Spill
	s_nop 0
	buffer_store_dword v70, off, s[20:23], 0 offset:1364 ; 4-byte Folded Spill
	buffer_store_dword v71, off, s[20:23], 0 offset:1368 ; 4-byte Folded Spill
	;; [unrolled: 1-line block ×3, first 2 shown]
	s_and_saveexec_b64 s[2:3], vcc
	s_cbranch_execz .LBB97_325
; %bb.324:
	buffer_load_dword v69, off, s[20:23], 0 offset:1360 ; 4-byte Folded Reload
	buffer_load_dword v70, off, s[20:23], 0 offset:1364 ; 4-byte Folded Reload
	;; [unrolled: 1-line block ×4, first 2 shown]
	ds_read2_b64 v[99:102], v125 offset0:72 offset1:73
	s_waitcnt vmcnt(2)
	v_mul_f64 v[97:98], v[69:70], v[51:52]
	s_waitcnt vmcnt(0)
	v_mul_f64 v[51:52], v[71:72], v[51:52]
	v_fma_f64 v[97:98], v[71:72], v[49:50], v[97:98]
	v_fma_f64 v[49:50], v[69:70], v[49:50], -v[51:52]
	s_waitcnt lgkmcnt(0)
	v_mul_f64 v[51:52], v[101:102], v[97:98]
	v_fma_f64 v[51:52], v[99:100], v[49:50], -v[51:52]
	v_mul_f64 v[99:100], v[99:100], v[97:98]
	v_add_f64 v[45:46], v[45:46], -v[51:52]
	v_fma_f64 v[99:100], v[101:102], v[49:50], v[99:100]
	v_add_f64 v[47:48], v[47:48], -v[99:100]
	ds_read2_b64 v[99:102], v125 offset0:74 offset1:75
	s_waitcnt lgkmcnt(0)
	v_mul_f64 v[51:52], v[101:102], v[97:98]
	v_fma_f64 v[51:52], v[99:100], v[49:50], -v[51:52]
	v_mul_f64 v[99:100], v[99:100], v[97:98]
	v_add_f64 v[41:42], v[41:42], -v[51:52]
	v_fma_f64 v[99:100], v[101:102], v[49:50], v[99:100]
	v_add_f64 v[43:44], v[43:44], -v[99:100]
	ds_read2_b64 v[99:102], v125 offset0:76 offset1:77
	;; [unrolled: 8-line block ×12, first 2 shown]
	s_waitcnt lgkmcnt(0)
	v_mul_f64 v[51:52], v[101:102], v[97:98]
	v_fma_f64 v[51:52], v[99:100], v[49:50], -v[51:52]
	v_mul_f64 v[99:100], v[99:100], v[97:98]
	v_add_f64 v[73:74], v[73:74], -v[51:52]
	v_fma_f64 v[99:100], v[101:102], v[49:50], v[99:100]
	v_mov_b32_e32 v51, v97
	v_mov_b32_e32 v52, v98
	v_add_f64 v[75:76], v[75:76], -v[99:100]
.LBB97_325:
	s_or_b64 exec, exec, s[2:3]
	v_cmp_eq_u32_e32 vcc, 36, v0
	s_waitcnt vmcnt(0)
	s_barrier
	s_and_saveexec_b64 s[4:5], vcc
	s_cbranch_execz .LBB97_332
; %bb.326:
	ds_write2_b64 v127, v[45:46], v[47:48] offset1:1
	ds_write2_b64 v125, v[41:42], v[43:44] offset0:74 offset1:75
	ds_write2_b64 v125, v[37:38], v[39:40] offset0:76 offset1:77
	;; [unrolled: 1-line block ×12, first 2 shown]
	ds_read2_b64 v[97:100], v127 offset1:1
	s_waitcnt lgkmcnt(0)
	v_cmp_neq_f64_e32 vcc, 0, v[97:98]
	v_cmp_neq_f64_e64 s[2:3], 0, v[99:100]
	s_or_b64 s[2:3], vcc, s[2:3]
	s_and_b64 exec, exec, s[2:3]
	s_cbranch_execz .LBB97_332
; %bb.327:
	v_cmp_ngt_f64_e64 s[2:3], |v[97:98]|, |v[99:100]|
                                        ; implicit-def: $vgpr101_vgpr102
	s_and_saveexec_b64 s[6:7], s[2:3]
	s_xor_b64 s[2:3], exec, s[6:7]
                                        ; implicit-def: $vgpr103_vgpr104
	s_cbranch_execz .LBB97_329
; %bb.328:
	v_div_scale_f64 v[101:102], s[6:7], v[99:100], v[99:100], v[97:98]
	v_rcp_f64_e32 v[103:104], v[101:102]
	v_fma_f64 v[105:106], -v[101:102], v[103:104], 1.0
	v_fma_f64 v[103:104], v[103:104], v[105:106], v[103:104]
	v_div_scale_f64 v[105:106], vcc, v[97:98], v[99:100], v[97:98]
	v_fma_f64 v[107:108], -v[101:102], v[103:104], 1.0
	v_fma_f64 v[103:104], v[103:104], v[107:108], v[103:104]
	v_mul_f64 v[107:108], v[105:106], v[103:104]
	v_fma_f64 v[101:102], -v[101:102], v[107:108], v[105:106]
	v_div_fmas_f64 v[101:102], v[101:102], v[103:104], v[107:108]
	v_div_fixup_f64 v[101:102], v[101:102], v[99:100], v[97:98]
	v_fma_f64 v[97:98], v[97:98], v[101:102], v[99:100]
	v_div_scale_f64 v[99:100], s[6:7], v[97:98], v[97:98], 1.0
	v_div_scale_f64 v[107:108], vcc, 1.0, v[97:98], 1.0
	v_rcp_f64_e32 v[103:104], v[99:100]
	v_fma_f64 v[105:106], -v[99:100], v[103:104], 1.0
	v_fma_f64 v[103:104], v[103:104], v[105:106], v[103:104]
	v_fma_f64 v[105:106], -v[99:100], v[103:104], 1.0
	v_fma_f64 v[103:104], v[103:104], v[105:106], v[103:104]
	v_mul_f64 v[105:106], v[107:108], v[103:104]
	v_fma_f64 v[99:100], -v[99:100], v[105:106], v[107:108]
	v_div_fmas_f64 v[99:100], v[99:100], v[103:104], v[105:106]
	v_div_fixup_f64 v[103:104], v[99:100], v[97:98], 1.0
                                        ; implicit-def: $vgpr97_vgpr98
	v_mul_f64 v[101:102], v[101:102], v[103:104]
	v_xor_b32_e32 v104, 0x80000000, v104
.LBB97_329:
	s_andn2_saveexec_b64 s[2:3], s[2:3]
	s_cbranch_execz .LBB97_331
; %bb.330:
	v_div_scale_f64 v[101:102], s[6:7], v[97:98], v[97:98], v[99:100]
	v_rcp_f64_e32 v[103:104], v[101:102]
	v_fma_f64 v[105:106], -v[101:102], v[103:104], 1.0
	v_fma_f64 v[103:104], v[103:104], v[105:106], v[103:104]
	v_div_scale_f64 v[105:106], vcc, v[99:100], v[97:98], v[99:100]
	v_fma_f64 v[107:108], -v[101:102], v[103:104], 1.0
	v_fma_f64 v[103:104], v[103:104], v[107:108], v[103:104]
	v_mul_f64 v[107:108], v[105:106], v[103:104]
	v_fma_f64 v[101:102], -v[101:102], v[107:108], v[105:106]
	v_div_fmas_f64 v[101:102], v[101:102], v[103:104], v[107:108]
	v_div_fixup_f64 v[103:104], v[101:102], v[97:98], v[99:100]
	v_fma_f64 v[97:98], v[99:100], v[103:104], v[97:98]
	v_div_scale_f64 v[99:100], s[6:7], v[97:98], v[97:98], 1.0
	v_div_scale_f64 v[107:108], vcc, 1.0, v[97:98], 1.0
	v_rcp_f64_e32 v[101:102], v[99:100]
	v_fma_f64 v[105:106], -v[99:100], v[101:102], 1.0
	v_fma_f64 v[101:102], v[101:102], v[105:106], v[101:102]
	v_fma_f64 v[105:106], -v[99:100], v[101:102], 1.0
	v_fma_f64 v[101:102], v[101:102], v[105:106], v[101:102]
	v_mul_f64 v[105:106], v[107:108], v[101:102]
	v_fma_f64 v[99:100], -v[99:100], v[105:106], v[107:108]
	v_div_fmas_f64 v[99:100], v[99:100], v[101:102], v[105:106]
	v_div_fixup_f64 v[101:102], v[99:100], v[97:98], 1.0
	v_mul_f64 v[103:104], v[103:104], -v[101:102]
.LBB97_331:
	s_or_b64 exec, exec, s[2:3]
	ds_write2_b64 v127, v[101:102], v[103:104] offset1:1
.LBB97_332:
	s_or_b64 exec, exec, s[4:5]
	s_waitcnt lgkmcnt(0)
	s_barrier
	ds_read2_b64 v[69:72], v127 offset1:1
	v_cmp_lt_u32_e32 vcc, 36, v0
	s_waitcnt lgkmcnt(0)
	buffer_store_dword v69, off, s[20:23], 0 offset:1376 ; 4-byte Folded Spill
	s_nop 0
	buffer_store_dword v70, off, s[20:23], 0 offset:1380 ; 4-byte Folded Spill
	buffer_store_dword v71, off, s[20:23], 0 offset:1384 ; 4-byte Folded Spill
	;; [unrolled: 1-line block ×3, first 2 shown]
	s_and_saveexec_b64 s[2:3], vcc
	s_cbranch_execz .LBB97_334
; %bb.333:
	buffer_load_dword v69, off, s[20:23], 0 offset:1376 ; 4-byte Folded Reload
	buffer_load_dword v70, off, s[20:23], 0 offset:1380 ; 4-byte Folded Reload
	;; [unrolled: 1-line block ×4, first 2 shown]
	ds_read2_b64 v[99:102], v125 offset0:74 offset1:75
	s_waitcnt vmcnt(2)
	v_mul_f64 v[97:98], v[69:70], v[47:48]
	s_waitcnt vmcnt(0)
	v_mul_f64 v[47:48], v[71:72], v[47:48]
	v_fma_f64 v[97:98], v[71:72], v[45:46], v[97:98]
	v_fma_f64 v[45:46], v[69:70], v[45:46], -v[47:48]
	s_waitcnt lgkmcnt(0)
	v_mul_f64 v[47:48], v[101:102], v[97:98]
	v_fma_f64 v[47:48], v[99:100], v[45:46], -v[47:48]
	v_mul_f64 v[99:100], v[99:100], v[97:98]
	v_add_f64 v[41:42], v[41:42], -v[47:48]
	v_fma_f64 v[99:100], v[101:102], v[45:46], v[99:100]
	v_add_f64 v[43:44], v[43:44], -v[99:100]
	ds_read2_b64 v[99:102], v125 offset0:76 offset1:77
	s_waitcnt lgkmcnt(0)
	v_mul_f64 v[47:48], v[101:102], v[97:98]
	v_fma_f64 v[47:48], v[99:100], v[45:46], -v[47:48]
	v_mul_f64 v[99:100], v[99:100], v[97:98]
	v_add_f64 v[37:38], v[37:38], -v[47:48]
	v_fma_f64 v[99:100], v[101:102], v[45:46], v[99:100]
	v_add_f64 v[39:40], v[39:40], -v[99:100]
	ds_read2_b64 v[99:102], v125 offset0:78 offset1:79
	;; [unrolled: 8-line block ×11, first 2 shown]
	s_waitcnt lgkmcnt(0)
	v_mul_f64 v[47:48], v[101:102], v[97:98]
	v_fma_f64 v[47:48], v[99:100], v[45:46], -v[47:48]
	v_mul_f64 v[99:100], v[99:100], v[97:98]
	v_add_f64 v[73:74], v[73:74], -v[47:48]
	v_fma_f64 v[99:100], v[101:102], v[45:46], v[99:100]
	v_mov_b32_e32 v47, v97
	v_mov_b32_e32 v48, v98
	v_add_f64 v[75:76], v[75:76], -v[99:100]
.LBB97_334:
	s_or_b64 exec, exec, s[2:3]
	v_cmp_eq_u32_e32 vcc, 37, v0
	s_waitcnt vmcnt(0)
	s_barrier
	s_and_saveexec_b64 s[4:5], vcc
	s_cbranch_execz .LBB97_341
; %bb.335:
	ds_write2_b64 v127, v[41:42], v[43:44] offset1:1
	ds_write2_b64 v125, v[37:38], v[39:40] offset0:76 offset1:77
	ds_write2_b64 v125, v[33:34], v[35:36] offset0:78 offset1:79
	;; [unrolled: 1-line block ×11, first 2 shown]
	ds_read2_b64 v[97:100], v127 offset1:1
	s_waitcnt lgkmcnt(0)
	v_cmp_neq_f64_e32 vcc, 0, v[97:98]
	v_cmp_neq_f64_e64 s[2:3], 0, v[99:100]
	s_or_b64 s[2:3], vcc, s[2:3]
	s_and_b64 exec, exec, s[2:3]
	s_cbranch_execz .LBB97_341
; %bb.336:
	v_cmp_ngt_f64_e64 s[2:3], |v[97:98]|, |v[99:100]|
                                        ; implicit-def: $vgpr101_vgpr102
	s_and_saveexec_b64 s[6:7], s[2:3]
	s_xor_b64 s[2:3], exec, s[6:7]
                                        ; implicit-def: $vgpr103_vgpr104
	s_cbranch_execz .LBB97_338
; %bb.337:
	v_div_scale_f64 v[101:102], s[6:7], v[99:100], v[99:100], v[97:98]
	v_rcp_f64_e32 v[103:104], v[101:102]
	v_fma_f64 v[105:106], -v[101:102], v[103:104], 1.0
	v_fma_f64 v[103:104], v[103:104], v[105:106], v[103:104]
	v_div_scale_f64 v[105:106], vcc, v[97:98], v[99:100], v[97:98]
	v_fma_f64 v[107:108], -v[101:102], v[103:104], 1.0
	v_fma_f64 v[103:104], v[103:104], v[107:108], v[103:104]
	v_mul_f64 v[107:108], v[105:106], v[103:104]
	v_fma_f64 v[101:102], -v[101:102], v[107:108], v[105:106]
	v_div_fmas_f64 v[101:102], v[101:102], v[103:104], v[107:108]
	v_div_fixup_f64 v[101:102], v[101:102], v[99:100], v[97:98]
	v_fma_f64 v[97:98], v[97:98], v[101:102], v[99:100]
	v_div_scale_f64 v[99:100], s[6:7], v[97:98], v[97:98], 1.0
	v_div_scale_f64 v[107:108], vcc, 1.0, v[97:98], 1.0
	v_rcp_f64_e32 v[103:104], v[99:100]
	v_fma_f64 v[105:106], -v[99:100], v[103:104], 1.0
	v_fma_f64 v[103:104], v[103:104], v[105:106], v[103:104]
	v_fma_f64 v[105:106], -v[99:100], v[103:104], 1.0
	v_fma_f64 v[103:104], v[103:104], v[105:106], v[103:104]
	v_mul_f64 v[105:106], v[107:108], v[103:104]
	v_fma_f64 v[99:100], -v[99:100], v[105:106], v[107:108]
	v_div_fmas_f64 v[99:100], v[99:100], v[103:104], v[105:106]
	v_div_fixup_f64 v[103:104], v[99:100], v[97:98], 1.0
                                        ; implicit-def: $vgpr97_vgpr98
	v_mul_f64 v[101:102], v[101:102], v[103:104]
	v_xor_b32_e32 v104, 0x80000000, v104
.LBB97_338:
	s_andn2_saveexec_b64 s[2:3], s[2:3]
	s_cbranch_execz .LBB97_340
; %bb.339:
	v_div_scale_f64 v[101:102], s[6:7], v[97:98], v[97:98], v[99:100]
	v_rcp_f64_e32 v[103:104], v[101:102]
	v_fma_f64 v[105:106], -v[101:102], v[103:104], 1.0
	v_fma_f64 v[103:104], v[103:104], v[105:106], v[103:104]
	v_div_scale_f64 v[105:106], vcc, v[99:100], v[97:98], v[99:100]
	v_fma_f64 v[107:108], -v[101:102], v[103:104], 1.0
	v_fma_f64 v[103:104], v[103:104], v[107:108], v[103:104]
	v_mul_f64 v[107:108], v[105:106], v[103:104]
	v_fma_f64 v[101:102], -v[101:102], v[107:108], v[105:106]
	v_div_fmas_f64 v[101:102], v[101:102], v[103:104], v[107:108]
	v_div_fixup_f64 v[103:104], v[101:102], v[97:98], v[99:100]
	v_fma_f64 v[97:98], v[99:100], v[103:104], v[97:98]
	v_div_scale_f64 v[99:100], s[6:7], v[97:98], v[97:98], 1.0
	v_div_scale_f64 v[107:108], vcc, 1.0, v[97:98], 1.0
	v_rcp_f64_e32 v[101:102], v[99:100]
	v_fma_f64 v[105:106], -v[99:100], v[101:102], 1.0
	v_fma_f64 v[101:102], v[101:102], v[105:106], v[101:102]
	v_fma_f64 v[105:106], -v[99:100], v[101:102], 1.0
	v_fma_f64 v[101:102], v[101:102], v[105:106], v[101:102]
	v_mul_f64 v[105:106], v[107:108], v[101:102]
	v_fma_f64 v[99:100], -v[99:100], v[105:106], v[107:108]
	v_div_fmas_f64 v[99:100], v[99:100], v[101:102], v[105:106]
	v_div_fixup_f64 v[101:102], v[99:100], v[97:98], 1.0
	v_mul_f64 v[103:104], v[103:104], -v[101:102]
.LBB97_340:
	s_or_b64 exec, exec, s[2:3]
	ds_write2_b64 v127, v[101:102], v[103:104] offset1:1
.LBB97_341:
	s_or_b64 exec, exec, s[4:5]
	s_waitcnt lgkmcnt(0)
	s_barrier
	ds_read2_b64 v[69:72], v127 offset1:1
	v_cmp_lt_u32_e32 vcc, 37, v0
	s_waitcnt lgkmcnt(0)
	buffer_store_dword v69, off, s[20:23], 0 offset:1392 ; 4-byte Folded Spill
	s_nop 0
	buffer_store_dword v70, off, s[20:23], 0 offset:1396 ; 4-byte Folded Spill
	buffer_store_dword v71, off, s[20:23], 0 offset:1400 ; 4-byte Folded Spill
	;; [unrolled: 1-line block ×3, first 2 shown]
	s_and_saveexec_b64 s[2:3], vcc
	s_cbranch_execz .LBB97_343
; %bb.342:
	buffer_load_dword v69, off, s[20:23], 0 offset:1392 ; 4-byte Folded Reload
	buffer_load_dword v70, off, s[20:23], 0 offset:1396 ; 4-byte Folded Reload
	;; [unrolled: 1-line block ×4, first 2 shown]
	ds_read2_b64 v[99:102], v125 offset0:76 offset1:77
	s_waitcnt vmcnt(2)
	v_mul_f64 v[97:98], v[69:70], v[43:44]
	s_waitcnt vmcnt(0)
	v_mul_f64 v[43:44], v[71:72], v[43:44]
	v_fma_f64 v[97:98], v[71:72], v[41:42], v[97:98]
	v_fma_f64 v[41:42], v[69:70], v[41:42], -v[43:44]
	s_waitcnt lgkmcnt(0)
	v_mul_f64 v[43:44], v[101:102], v[97:98]
	v_fma_f64 v[43:44], v[99:100], v[41:42], -v[43:44]
	v_mul_f64 v[99:100], v[99:100], v[97:98]
	v_add_f64 v[37:38], v[37:38], -v[43:44]
	v_fma_f64 v[99:100], v[101:102], v[41:42], v[99:100]
	v_add_f64 v[39:40], v[39:40], -v[99:100]
	ds_read2_b64 v[99:102], v125 offset0:78 offset1:79
	s_waitcnt lgkmcnt(0)
	v_mul_f64 v[43:44], v[101:102], v[97:98]
	v_fma_f64 v[43:44], v[99:100], v[41:42], -v[43:44]
	v_mul_f64 v[99:100], v[99:100], v[97:98]
	v_add_f64 v[33:34], v[33:34], -v[43:44]
	v_fma_f64 v[99:100], v[101:102], v[41:42], v[99:100]
	v_add_f64 v[35:36], v[35:36], -v[99:100]
	ds_read2_b64 v[99:102], v125 offset0:80 offset1:81
	;; [unrolled: 8-line block ×10, first 2 shown]
	s_waitcnt lgkmcnt(0)
	v_mul_f64 v[43:44], v[101:102], v[97:98]
	v_fma_f64 v[43:44], v[99:100], v[41:42], -v[43:44]
	v_mul_f64 v[99:100], v[99:100], v[97:98]
	v_add_f64 v[73:74], v[73:74], -v[43:44]
	v_fma_f64 v[99:100], v[101:102], v[41:42], v[99:100]
	v_mov_b32_e32 v43, v97
	v_mov_b32_e32 v44, v98
	v_add_f64 v[75:76], v[75:76], -v[99:100]
.LBB97_343:
	s_or_b64 exec, exec, s[2:3]
	v_cmp_eq_u32_e32 vcc, 38, v0
	s_waitcnt vmcnt(0)
	s_barrier
	s_and_saveexec_b64 s[4:5], vcc
	s_cbranch_execz .LBB97_350
; %bb.344:
	ds_write2_b64 v127, v[37:38], v[39:40] offset1:1
	ds_write2_b64 v125, v[33:34], v[35:36] offset0:78 offset1:79
	ds_write2_b64 v125, v[29:30], v[31:32] offset0:80 offset1:81
	;; [unrolled: 1-line block ×10, first 2 shown]
	ds_read2_b64 v[97:100], v127 offset1:1
	s_waitcnt lgkmcnt(0)
	v_cmp_neq_f64_e32 vcc, 0, v[97:98]
	v_cmp_neq_f64_e64 s[2:3], 0, v[99:100]
	s_or_b64 s[2:3], vcc, s[2:3]
	s_and_b64 exec, exec, s[2:3]
	s_cbranch_execz .LBB97_350
; %bb.345:
	v_cmp_ngt_f64_e64 s[2:3], |v[97:98]|, |v[99:100]|
                                        ; implicit-def: $vgpr101_vgpr102
	s_and_saveexec_b64 s[6:7], s[2:3]
	s_xor_b64 s[2:3], exec, s[6:7]
                                        ; implicit-def: $vgpr103_vgpr104
	s_cbranch_execz .LBB97_347
; %bb.346:
	v_div_scale_f64 v[101:102], s[6:7], v[99:100], v[99:100], v[97:98]
	v_rcp_f64_e32 v[103:104], v[101:102]
	v_fma_f64 v[105:106], -v[101:102], v[103:104], 1.0
	v_fma_f64 v[103:104], v[103:104], v[105:106], v[103:104]
	v_div_scale_f64 v[105:106], vcc, v[97:98], v[99:100], v[97:98]
	v_fma_f64 v[107:108], -v[101:102], v[103:104], 1.0
	v_fma_f64 v[103:104], v[103:104], v[107:108], v[103:104]
	v_mul_f64 v[107:108], v[105:106], v[103:104]
	v_fma_f64 v[101:102], -v[101:102], v[107:108], v[105:106]
	v_div_fmas_f64 v[101:102], v[101:102], v[103:104], v[107:108]
	v_div_fixup_f64 v[101:102], v[101:102], v[99:100], v[97:98]
	v_fma_f64 v[97:98], v[97:98], v[101:102], v[99:100]
	v_div_scale_f64 v[99:100], s[6:7], v[97:98], v[97:98], 1.0
	v_div_scale_f64 v[107:108], vcc, 1.0, v[97:98], 1.0
	v_rcp_f64_e32 v[103:104], v[99:100]
	v_fma_f64 v[105:106], -v[99:100], v[103:104], 1.0
	v_fma_f64 v[103:104], v[103:104], v[105:106], v[103:104]
	v_fma_f64 v[105:106], -v[99:100], v[103:104], 1.0
	v_fma_f64 v[103:104], v[103:104], v[105:106], v[103:104]
	v_mul_f64 v[105:106], v[107:108], v[103:104]
	v_fma_f64 v[99:100], -v[99:100], v[105:106], v[107:108]
	v_div_fmas_f64 v[99:100], v[99:100], v[103:104], v[105:106]
	v_div_fixup_f64 v[103:104], v[99:100], v[97:98], 1.0
                                        ; implicit-def: $vgpr97_vgpr98
	v_mul_f64 v[101:102], v[101:102], v[103:104]
	v_xor_b32_e32 v104, 0x80000000, v104
.LBB97_347:
	s_andn2_saveexec_b64 s[2:3], s[2:3]
	s_cbranch_execz .LBB97_349
; %bb.348:
	v_div_scale_f64 v[101:102], s[6:7], v[97:98], v[97:98], v[99:100]
	v_rcp_f64_e32 v[103:104], v[101:102]
	v_fma_f64 v[105:106], -v[101:102], v[103:104], 1.0
	v_fma_f64 v[103:104], v[103:104], v[105:106], v[103:104]
	v_div_scale_f64 v[105:106], vcc, v[99:100], v[97:98], v[99:100]
	v_fma_f64 v[107:108], -v[101:102], v[103:104], 1.0
	v_fma_f64 v[103:104], v[103:104], v[107:108], v[103:104]
	v_mul_f64 v[107:108], v[105:106], v[103:104]
	v_fma_f64 v[101:102], -v[101:102], v[107:108], v[105:106]
	v_div_fmas_f64 v[101:102], v[101:102], v[103:104], v[107:108]
	v_div_fixup_f64 v[103:104], v[101:102], v[97:98], v[99:100]
	v_fma_f64 v[97:98], v[99:100], v[103:104], v[97:98]
	v_div_scale_f64 v[99:100], s[6:7], v[97:98], v[97:98], 1.0
	v_div_scale_f64 v[107:108], vcc, 1.0, v[97:98], 1.0
	v_rcp_f64_e32 v[101:102], v[99:100]
	v_fma_f64 v[105:106], -v[99:100], v[101:102], 1.0
	v_fma_f64 v[101:102], v[101:102], v[105:106], v[101:102]
	v_fma_f64 v[105:106], -v[99:100], v[101:102], 1.0
	v_fma_f64 v[101:102], v[101:102], v[105:106], v[101:102]
	v_mul_f64 v[105:106], v[107:108], v[101:102]
	v_fma_f64 v[99:100], -v[99:100], v[105:106], v[107:108]
	v_div_fmas_f64 v[99:100], v[99:100], v[101:102], v[105:106]
	v_div_fixup_f64 v[101:102], v[99:100], v[97:98], 1.0
	v_mul_f64 v[103:104], v[103:104], -v[101:102]
.LBB97_349:
	s_or_b64 exec, exec, s[2:3]
	ds_write2_b64 v127, v[101:102], v[103:104] offset1:1
.LBB97_350:
	s_or_b64 exec, exec, s[4:5]
	s_waitcnt lgkmcnt(0)
	s_barrier
	ds_read2_b64 v[69:72], v127 offset1:1
	v_cmp_lt_u32_e32 vcc, 38, v0
	s_waitcnt lgkmcnt(0)
	buffer_store_dword v69, off, s[20:23], 0 offset:1408 ; 4-byte Folded Spill
	s_nop 0
	buffer_store_dword v70, off, s[20:23], 0 offset:1412 ; 4-byte Folded Spill
	buffer_store_dword v71, off, s[20:23], 0 offset:1416 ; 4-byte Folded Spill
	;; [unrolled: 1-line block ×3, first 2 shown]
	s_and_saveexec_b64 s[2:3], vcc
	s_cbranch_execz .LBB97_352
; %bb.351:
	buffer_load_dword v69, off, s[20:23], 0 offset:1408 ; 4-byte Folded Reload
	buffer_load_dword v70, off, s[20:23], 0 offset:1412 ; 4-byte Folded Reload
	;; [unrolled: 1-line block ×4, first 2 shown]
	ds_read2_b64 v[99:102], v125 offset0:78 offset1:79
	s_waitcnt vmcnt(2)
	v_mul_f64 v[97:98], v[69:70], v[39:40]
	s_waitcnt vmcnt(0)
	v_mul_f64 v[39:40], v[71:72], v[39:40]
	v_fma_f64 v[97:98], v[71:72], v[37:38], v[97:98]
	v_fma_f64 v[37:38], v[69:70], v[37:38], -v[39:40]
	s_waitcnt lgkmcnt(0)
	v_mul_f64 v[39:40], v[101:102], v[97:98]
	v_fma_f64 v[39:40], v[99:100], v[37:38], -v[39:40]
	v_mul_f64 v[99:100], v[99:100], v[97:98]
	v_add_f64 v[33:34], v[33:34], -v[39:40]
	v_fma_f64 v[99:100], v[101:102], v[37:38], v[99:100]
	v_add_f64 v[35:36], v[35:36], -v[99:100]
	ds_read2_b64 v[99:102], v125 offset0:80 offset1:81
	s_waitcnt lgkmcnt(0)
	v_mul_f64 v[39:40], v[101:102], v[97:98]
	v_fma_f64 v[39:40], v[99:100], v[37:38], -v[39:40]
	v_mul_f64 v[99:100], v[99:100], v[97:98]
	v_add_f64 v[29:30], v[29:30], -v[39:40]
	v_fma_f64 v[99:100], v[101:102], v[37:38], v[99:100]
	v_add_f64 v[31:32], v[31:32], -v[99:100]
	ds_read2_b64 v[99:102], v125 offset0:82 offset1:83
	;; [unrolled: 8-line block ×9, first 2 shown]
	s_waitcnt lgkmcnt(0)
	v_mul_f64 v[39:40], v[101:102], v[97:98]
	v_fma_f64 v[39:40], v[99:100], v[37:38], -v[39:40]
	v_mul_f64 v[99:100], v[99:100], v[97:98]
	v_add_f64 v[73:74], v[73:74], -v[39:40]
	v_fma_f64 v[99:100], v[101:102], v[37:38], v[99:100]
	v_mov_b32_e32 v39, v97
	v_mov_b32_e32 v40, v98
	v_add_f64 v[75:76], v[75:76], -v[99:100]
.LBB97_352:
	s_or_b64 exec, exec, s[2:3]
	v_cmp_eq_u32_e32 vcc, 39, v0
	s_waitcnt vmcnt(0)
	s_barrier
	s_and_saveexec_b64 s[4:5], vcc
	s_cbranch_execz .LBB97_359
; %bb.353:
	ds_write2_b64 v127, v[33:34], v[35:36] offset1:1
	ds_write2_b64 v125, v[29:30], v[31:32] offset0:80 offset1:81
	ds_write2_b64 v125, v[25:26], v[27:28] offset0:82 offset1:83
	;; [unrolled: 1-line block ×9, first 2 shown]
	ds_read2_b64 v[97:100], v127 offset1:1
	s_waitcnt lgkmcnt(0)
	v_cmp_neq_f64_e32 vcc, 0, v[97:98]
	v_cmp_neq_f64_e64 s[2:3], 0, v[99:100]
	s_or_b64 s[2:3], vcc, s[2:3]
	s_and_b64 exec, exec, s[2:3]
	s_cbranch_execz .LBB97_359
; %bb.354:
	v_cmp_ngt_f64_e64 s[2:3], |v[97:98]|, |v[99:100]|
                                        ; implicit-def: $vgpr101_vgpr102
	s_and_saveexec_b64 s[6:7], s[2:3]
	s_xor_b64 s[2:3], exec, s[6:7]
                                        ; implicit-def: $vgpr103_vgpr104
	s_cbranch_execz .LBB97_356
; %bb.355:
	v_div_scale_f64 v[101:102], s[6:7], v[99:100], v[99:100], v[97:98]
	v_rcp_f64_e32 v[103:104], v[101:102]
	v_fma_f64 v[105:106], -v[101:102], v[103:104], 1.0
	v_fma_f64 v[103:104], v[103:104], v[105:106], v[103:104]
	v_div_scale_f64 v[105:106], vcc, v[97:98], v[99:100], v[97:98]
	v_fma_f64 v[107:108], -v[101:102], v[103:104], 1.0
	v_fma_f64 v[103:104], v[103:104], v[107:108], v[103:104]
	v_mul_f64 v[107:108], v[105:106], v[103:104]
	v_fma_f64 v[101:102], -v[101:102], v[107:108], v[105:106]
	v_div_fmas_f64 v[101:102], v[101:102], v[103:104], v[107:108]
	v_div_fixup_f64 v[101:102], v[101:102], v[99:100], v[97:98]
	v_fma_f64 v[97:98], v[97:98], v[101:102], v[99:100]
	v_div_scale_f64 v[99:100], s[6:7], v[97:98], v[97:98], 1.0
	v_div_scale_f64 v[107:108], vcc, 1.0, v[97:98], 1.0
	v_rcp_f64_e32 v[103:104], v[99:100]
	v_fma_f64 v[105:106], -v[99:100], v[103:104], 1.0
	v_fma_f64 v[103:104], v[103:104], v[105:106], v[103:104]
	v_fma_f64 v[105:106], -v[99:100], v[103:104], 1.0
	v_fma_f64 v[103:104], v[103:104], v[105:106], v[103:104]
	v_mul_f64 v[105:106], v[107:108], v[103:104]
	v_fma_f64 v[99:100], -v[99:100], v[105:106], v[107:108]
	v_div_fmas_f64 v[99:100], v[99:100], v[103:104], v[105:106]
	v_div_fixup_f64 v[103:104], v[99:100], v[97:98], 1.0
                                        ; implicit-def: $vgpr97_vgpr98
	v_mul_f64 v[101:102], v[101:102], v[103:104]
	v_xor_b32_e32 v104, 0x80000000, v104
.LBB97_356:
	s_andn2_saveexec_b64 s[2:3], s[2:3]
	s_cbranch_execz .LBB97_358
; %bb.357:
	v_div_scale_f64 v[101:102], s[6:7], v[97:98], v[97:98], v[99:100]
	v_rcp_f64_e32 v[103:104], v[101:102]
	v_fma_f64 v[105:106], -v[101:102], v[103:104], 1.0
	v_fma_f64 v[103:104], v[103:104], v[105:106], v[103:104]
	v_div_scale_f64 v[105:106], vcc, v[99:100], v[97:98], v[99:100]
	v_fma_f64 v[107:108], -v[101:102], v[103:104], 1.0
	v_fma_f64 v[103:104], v[103:104], v[107:108], v[103:104]
	v_mul_f64 v[107:108], v[105:106], v[103:104]
	v_fma_f64 v[101:102], -v[101:102], v[107:108], v[105:106]
	v_div_fmas_f64 v[101:102], v[101:102], v[103:104], v[107:108]
	v_div_fixup_f64 v[103:104], v[101:102], v[97:98], v[99:100]
	v_fma_f64 v[97:98], v[99:100], v[103:104], v[97:98]
	v_div_scale_f64 v[99:100], s[6:7], v[97:98], v[97:98], 1.0
	v_div_scale_f64 v[107:108], vcc, 1.0, v[97:98], 1.0
	v_rcp_f64_e32 v[101:102], v[99:100]
	v_fma_f64 v[105:106], -v[99:100], v[101:102], 1.0
	v_fma_f64 v[101:102], v[101:102], v[105:106], v[101:102]
	v_fma_f64 v[105:106], -v[99:100], v[101:102], 1.0
	v_fma_f64 v[101:102], v[101:102], v[105:106], v[101:102]
	v_mul_f64 v[105:106], v[107:108], v[101:102]
	v_fma_f64 v[99:100], -v[99:100], v[105:106], v[107:108]
	v_div_fmas_f64 v[99:100], v[99:100], v[101:102], v[105:106]
	v_div_fixup_f64 v[101:102], v[99:100], v[97:98], 1.0
	v_mul_f64 v[103:104], v[103:104], -v[101:102]
.LBB97_358:
	s_or_b64 exec, exec, s[2:3]
	ds_write2_b64 v127, v[101:102], v[103:104] offset1:1
.LBB97_359:
	s_or_b64 exec, exec, s[4:5]
	s_waitcnt lgkmcnt(0)
	s_barrier
	ds_read2_b64 v[69:72], v127 offset1:1
	v_cmp_lt_u32_e32 vcc, 39, v0
	s_waitcnt lgkmcnt(0)
	buffer_store_dword v69, off, s[20:23], 0 offset:1424 ; 4-byte Folded Spill
	s_nop 0
	buffer_store_dword v70, off, s[20:23], 0 offset:1428 ; 4-byte Folded Spill
	buffer_store_dword v71, off, s[20:23], 0 offset:1432 ; 4-byte Folded Spill
	;; [unrolled: 1-line block ×3, first 2 shown]
	s_and_saveexec_b64 s[2:3], vcc
	s_cbranch_execz .LBB97_361
; %bb.360:
	buffer_load_dword v69, off, s[20:23], 0 offset:1424 ; 4-byte Folded Reload
	buffer_load_dword v70, off, s[20:23], 0 offset:1428 ; 4-byte Folded Reload
	;; [unrolled: 1-line block ×4, first 2 shown]
	ds_read2_b64 v[99:102], v125 offset0:80 offset1:81
	s_waitcnt vmcnt(2)
	v_mul_f64 v[97:98], v[69:70], v[35:36]
	s_waitcnt vmcnt(0)
	v_mul_f64 v[35:36], v[71:72], v[35:36]
	v_fma_f64 v[97:98], v[71:72], v[33:34], v[97:98]
	v_fma_f64 v[33:34], v[69:70], v[33:34], -v[35:36]
	s_waitcnt lgkmcnt(0)
	v_mul_f64 v[35:36], v[101:102], v[97:98]
	v_fma_f64 v[35:36], v[99:100], v[33:34], -v[35:36]
	v_mul_f64 v[99:100], v[99:100], v[97:98]
	v_add_f64 v[29:30], v[29:30], -v[35:36]
	v_fma_f64 v[99:100], v[101:102], v[33:34], v[99:100]
	v_add_f64 v[31:32], v[31:32], -v[99:100]
	ds_read2_b64 v[99:102], v125 offset0:82 offset1:83
	s_waitcnt lgkmcnt(0)
	v_mul_f64 v[35:36], v[101:102], v[97:98]
	v_fma_f64 v[35:36], v[99:100], v[33:34], -v[35:36]
	v_mul_f64 v[99:100], v[99:100], v[97:98]
	v_add_f64 v[25:26], v[25:26], -v[35:36]
	v_fma_f64 v[99:100], v[101:102], v[33:34], v[99:100]
	v_add_f64 v[27:28], v[27:28], -v[99:100]
	ds_read2_b64 v[99:102], v125 offset0:84 offset1:85
	;; [unrolled: 8-line block ×8, first 2 shown]
	s_waitcnt lgkmcnt(0)
	v_mul_f64 v[35:36], v[101:102], v[97:98]
	v_fma_f64 v[35:36], v[99:100], v[33:34], -v[35:36]
	v_mul_f64 v[99:100], v[99:100], v[97:98]
	v_add_f64 v[73:74], v[73:74], -v[35:36]
	v_fma_f64 v[99:100], v[101:102], v[33:34], v[99:100]
	v_mov_b32_e32 v35, v97
	v_mov_b32_e32 v36, v98
	v_add_f64 v[75:76], v[75:76], -v[99:100]
.LBB97_361:
	s_or_b64 exec, exec, s[2:3]
	v_cmp_eq_u32_e32 vcc, 40, v0
	s_waitcnt vmcnt(0)
	s_barrier
	s_and_saveexec_b64 s[4:5], vcc
	s_cbranch_execz .LBB97_368
; %bb.362:
	ds_write2_b64 v127, v[29:30], v[31:32] offset1:1
	ds_write2_b64 v125, v[25:26], v[27:28] offset0:82 offset1:83
	ds_write2_b64 v125, v[21:22], v[23:24] offset0:84 offset1:85
	;; [unrolled: 1-line block ×8, first 2 shown]
	ds_read2_b64 v[97:100], v127 offset1:1
	s_waitcnt lgkmcnt(0)
	v_cmp_neq_f64_e32 vcc, 0, v[97:98]
	v_cmp_neq_f64_e64 s[2:3], 0, v[99:100]
	s_or_b64 s[2:3], vcc, s[2:3]
	s_and_b64 exec, exec, s[2:3]
	s_cbranch_execz .LBB97_368
; %bb.363:
	v_cmp_ngt_f64_e64 s[2:3], |v[97:98]|, |v[99:100]|
                                        ; implicit-def: $vgpr101_vgpr102
	s_and_saveexec_b64 s[6:7], s[2:3]
	s_xor_b64 s[2:3], exec, s[6:7]
                                        ; implicit-def: $vgpr103_vgpr104
	s_cbranch_execz .LBB97_365
; %bb.364:
	v_div_scale_f64 v[101:102], s[6:7], v[99:100], v[99:100], v[97:98]
	v_rcp_f64_e32 v[103:104], v[101:102]
	v_fma_f64 v[105:106], -v[101:102], v[103:104], 1.0
	v_fma_f64 v[103:104], v[103:104], v[105:106], v[103:104]
	v_div_scale_f64 v[105:106], vcc, v[97:98], v[99:100], v[97:98]
	v_fma_f64 v[107:108], -v[101:102], v[103:104], 1.0
	v_fma_f64 v[103:104], v[103:104], v[107:108], v[103:104]
	v_mul_f64 v[107:108], v[105:106], v[103:104]
	v_fma_f64 v[101:102], -v[101:102], v[107:108], v[105:106]
	v_div_fmas_f64 v[101:102], v[101:102], v[103:104], v[107:108]
	v_div_fixup_f64 v[101:102], v[101:102], v[99:100], v[97:98]
	v_fma_f64 v[97:98], v[97:98], v[101:102], v[99:100]
	v_div_scale_f64 v[99:100], s[6:7], v[97:98], v[97:98], 1.0
	v_div_scale_f64 v[107:108], vcc, 1.0, v[97:98], 1.0
	v_rcp_f64_e32 v[103:104], v[99:100]
	v_fma_f64 v[105:106], -v[99:100], v[103:104], 1.0
	v_fma_f64 v[103:104], v[103:104], v[105:106], v[103:104]
	v_fma_f64 v[105:106], -v[99:100], v[103:104], 1.0
	v_fma_f64 v[103:104], v[103:104], v[105:106], v[103:104]
	v_mul_f64 v[105:106], v[107:108], v[103:104]
	v_fma_f64 v[99:100], -v[99:100], v[105:106], v[107:108]
	v_div_fmas_f64 v[99:100], v[99:100], v[103:104], v[105:106]
	v_div_fixup_f64 v[103:104], v[99:100], v[97:98], 1.0
                                        ; implicit-def: $vgpr97_vgpr98
	v_mul_f64 v[101:102], v[101:102], v[103:104]
	v_xor_b32_e32 v104, 0x80000000, v104
.LBB97_365:
	s_andn2_saveexec_b64 s[2:3], s[2:3]
	s_cbranch_execz .LBB97_367
; %bb.366:
	v_div_scale_f64 v[101:102], s[6:7], v[97:98], v[97:98], v[99:100]
	v_rcp_f64_e32 v[103:104], v[101:102]
	v_fma_f64 v[105:106], -v[101:102], v[103:104], 1.0
	v_fma_f64 v[103:104], v[103:104], v[105:106], v[103:104]
	v_div_scale_f64 v[105:106], vcc, v[99:100], v[97:98], v[99:100]
	v_fma_f64 v[107:108], -v[101:102], v[103:104], 1.0
	v_fma_f64 v[103:104], v[103:104], v[107:108], v[103:104]
	v_mul_f64 v[107:108], v[105:106], v[103:104]
	v_fma_f64 v[101:102], -v[101:102], v[107:108], v[105:106]
	v_div_fmas_f64 v[101:102], v[101:102], v[103:104], v[107:108]
	v_div_fixup_f64 v[103:104], v[101:102], v[97:98], v[99:100]
	v_fma_f64 v[97:98], v[99:100], v[103:104], v[97:98]
	v_div_scale_f64 v[99:100], s[6:7], v[97:98], v[97:98], 1.0
	v_div_scale_f64 v[107:108], vcc, 1.0, v[97:98], 1.0
	v_rcp_f64_e32 v[101:102], v[99:100]
	v_fma_f64 v[105:106], -v[99:100], v[101:102], 1.0
	v_fma_f64 v[101:102], v[101:102], v[105:106], v[101:102]
	v_fma_f64 v[105:106], -v[99:100], v[101:102], 1.0
	v_fma_f64 v[101:102], v[101:102], v[105:106], v[101:102]
	v_mul_f64 v[105:106], v[107:108], v[101:102]
	v_fma_f64 v[99:100], -v[99:100], v[105:106], v[107:108]
	v_div_fmas_f64 v[99:100], v[99:100], v[101:102], v[105:106]
	v_div_fixup_f64 v[101:102], v[99:100], v[97:98], 1.0
	v_mul_f64 v[103:104], v[103:104], -v[101:102]
.LBB97_367:
	s_or_b64 exec, exec, s[2:3]
	ds_write2_b64 v127, v[101:102], v[103:104] offset1:1
.LBB97_368:
	s_or_b64 exec, exec, s[4:5]
	s_waitcnt lgkmcnt(0)
	s_barrier
	ds_read2_b64 v[69:72], v127 offset1:1
	v_cmp_lt_u32_e32 vcc, 40, v0
	s_waitcnt lgkmcnt(0)
	buffer_store_dword v69, off, s[20:23], 0 offset:1440 ; 4-byte Folded Spill
	s_nop 0
	buffer_store_dword v70, off, s[20:23], 0 offset:1444 ; 4-byte Folded Spill
	buffer_store_dword v71, off, s[20:23], 0 offset:1448 ; 4-byte Folded Spill
	;; [unrolled: 1-line block ×3, first 2 shown]
	s_and_saveexec_b64 s[2:3], vcc
	s_cbranch_execz .LBB97_370
; %bb.369:
	buffer_load_dword v69, off, s[20:23], 0 offset:1440 ; 4-byte Folded Reload
	buffer_load_dword v70, off, s[20:23], 0 offset:1444 ; 4-byte Folded Reload
	buffer_load_dword v71, off, s[20:23], 0 offset:1448 ; 4-byte Folded Reload
	buffer_load_dword v72, off, s[20:23], 0 offset:1452 ; 4-byte Folded Reload
	ds_read2_b64 v[99:102], v125 offset0:82 offset1:83
	s_waitcnt vmcnt(2)
	v_mul_f64 v[97:98], v[69:70], v[31:32]
	s_waitcnt vmcnt(0)
	v_mul_f64 v[31:32], v[71:72], v[31:32]
	v_fma_f64 v[97:98], v[71:72], v[29:30], v[97:98]
	v_fma_f64 v[29:30], v[69:70], v[29:30], -v[31:32]
	s_waitcnt lgkmcnt(0)
	v_mul_f64 v[31:32], v[101:102], v[97:98]
	v_fma_f64 v[31:32], v[99:100], v[29:30], -v[31:32]
	v_mul_f64 v[99:100], v[99:100], v[97:98]
	v_add_f64 v[25:26], v[25:26], -v[31:32]
	v_fma_f64 v[99:100], v[101:102], v[29:30], v[99:100]
	v_add_f64 v[27:28], v[27:28], -v[99:100]
	ds_read2_b64 v[99:102], v125 offset0:84 offset1:85
	s_waitcnt lgkmcnt(0)
	v_mul_f64 v[31:32], v[101:102], v[97:98]
	v_fma_f64 v[31:32], v[99:100], v[29:30], -v[31:32]
	v_mul_f64 v[99:100], v[99:100], v[97:98]
	v_add_f64 v[21:22], v[21:22], -v[31:32]
	v_fma_f64 v[99:100], v[101:102], v[29:30], v[99:100]
	v_add_f64 v[23:24], v[23:24], -v[99:100]
	ds_read2_b64 v[99:102], v125 offset0:86 offset1:87
	s_waitcnt lgkmcnt(0)
	v_mul_f64 v[31:32], v[101:102], v[97:98]
	v_fma_f64 v[31:32], v[99:100], v[29:30], -v[31:32]
	v_mul_f64 v[99:100], v[99:100], v[97:98]
	v_add_f64 v[17:18], v[17:18], -v[31:32]
	v_fma_f64 v[99:100], v[101:102], v[29:30], v[99:100]
	v_add_f64 v[19:20], v[19:20], -v[99:100]
	ds_read2_b64 v[99:102], v125 offset0:88 offset1:89
	s_waitcnt lgkmcnt(0)
	v_mul_f64 v[31:32], v[101:102], v[97:98]
	v_fma_f64 v[31:32], v[99:100], v[29:30], -v[31:32]
	v_mul_f64 v[99:100], v[99:100], v[97:98]
	v_add_f64 v[13:14], v[13:14], -v[31:32]
	v_fma_f64 v[99:100], v[101:102], v[29:30], v[99:100]
	v_add_f64 v[15:16], v[15:16], -v[99:100]
	ds_read2_b64 v[99:102], v125 offset0:90 offset1:91
	s_waitcnt lgkmcnt(0)
	v_mul_f64 v[31:32], v[101:102], v[97:98]
	v_fma_f64 v[31:32], v[99:100], v[29:30], -v[31:32]
	v_mul_f64 v[99:100], v[99:100], v[97:98]
	v_add_f64 v[9:10], v[9:10], -v[31:32]
	v_fma_f64 v[99:100], v[101:102], v[29:30], v[99:100]
	v_add_f64 v[11:12], v[11:12], -v[99:100]
	ds_read2_b64 v[99:102], v125 offset0:92 offset1:93
	s_waitcnt lgkmcnt(0)
	v_mul_f64 v[31:32], v[101:102], v[97:98]
	v_fma_f64 v[31:32], v[99:100], v[29:30], -v[31:32]
	v_mul_f64 v[99:100], v[99:100], v[97:98]
	v_add_f64 v[5:6], v[5:6], -v[31:32]
	v_fma_f64 v[99:100], v[101:102], v[29:30], v[99:100]
	v_add_f64 v[7:8], v[7:8], -v[99:100]
	ds_read2_b64 v[99:102], v125 offset0:94 offset1:95
	s_waitcnt lgkmcnt(0)
	v_mul_f64 v[31:32], v[101:102], v[97:98]
	v_fma_f64 v[31:32], v[99:100], v[29:30], -v[31:32]
	v_mul_f64 v[99:100], v[99:100], v[97:98]
	v_add_f64 v[1:2], v[1:2], -v[31:32]
	v_fma_f64 v[99:100], v[101:102], v[29:30], v[99:100]
	v_add_f64 v[3:4], v[3:4], -v[99:100]
	ds_read2_b64 v[99:102], v125 offset0:96 offset1:97
	s_waitcnt lgkmcnt(0)
	v_mul_f64 v[31:32], v[101:102], v[97:98]
	v_fma_f64 v[31:32], v[99:100], v[29:30], -v[31:32]
	v_mul_f64 v[99:100], v[99:100], v[97:98]
	v_add_f64 v[73:74], v[73:74], -v[31:32]
	v_fma_f64 v[99:100], v[101:102], v[29:30], v[99:100]
	v_mov_b32_e32 v31, v97
	v_mov_b32_e32 v32, v98
	v_add_f64 v[75:76], v[75:76], -v[99:100]
.LBB97_370:
	s_or_b64 exec, exec, s[2:3]
	v_cmp_eq_u32_e32 vcc, 41, v0
	s_waitcnt vmcnt(0)
	s_barrier
	s_and_saveexec_b64 s[4:5], vcc
	s_cbranch_execz .LBB97_377
; %bb.371:
	ds_write2_b64 v127, v[25:26], v[27:28] offset1:1
	ds_write2_b64 v125, v[21:22], v[23:24] offset0:84 offset1:85
	ds_write2_b64 v125, v[17:18], v[19:20] offset0:86 offset1:87
	;; [unrolled: 1-line block ×7, first 2 shown]
	ds_read2_b64 v[97:100], v127 offset1:1
	s_waitcnt lgkmcnt(0)
	v_cmp_neq_f64_e32 vcc, 0, v[97:98]
	v_cmp_neq_f64_e64 s[2:3], 0, v[99:100]
	s_or_b64 s[2:3], vcc, s[2:3]
	s_and_b64 exec, exec, s[2:3]
	s_cbranch_execz .LBB97_377
; %bb.372:
	v_cmp_ngt_f64_e64 s[2:3], |v[97:98]|, |v[99:100]|
                                        ; implicit-def: $vgpr101_vgpr102
	s_and_saveexec_b64 s[6:7], s[2:3]
	s_xor_b64 s[2:3], exec, s[6:7]
                                        ; implicit-def: $vgpr103_vgpr104
	s_cbranch_execz .LBB97_374
; %bb.373:
	v_div_scale_f64 v[101:102], s[6:7], v[99:100], v[99:100], v[97:98]
	v_rcp_f64_e32 v[103:104], v[101:102]
	v_fma_f64 v[105:106], -v[101:102], v[103:104], 1.0
	v_fma_f64 v[103:104], v[103:104], v[105:106], v[103:104]
	v_div_scale_f64 v[105:106], vcc, v[97:98], v[99:100], v[97:98]
	v_fma_f64 v[107:108], -v[101:102], v[103:104], 1.0
	v_fma_f64 v[103:104], v[103:104], v[107:108], v[103:104]
	v_mul_f64 v[107:108], v[105:106], v[103:104]
	v_fma_f64 v[101:102], -v[101:102], v[107:108], v[105:106]
	v_div_fmas_f64 v[101:102], v[101:102], v[103:104], v[107:108]
	v_div_fixup_f64 v[101:102], v[101:102], v[99:100], v[97:98]
	v_fma_f64 v[97:98], v[97:98], v[101:102], v[99:100]
	v_div_scale_f64 v[99:100], s[6:7], v[97:98], v[97:98], 1.0
	v_div_scale_f64 v[107:108], vcc, 1.0, v[97:98], 1.0
	v_rcp_f64_e32 v[103:104], v[99:100]
	v_fma_f64 v[105:106], -v[99:100], v[103:104], 1.0
	v_fma_f64 v[103:104], v[103:104], v[105:106], v[103:104]
	v_fma_f64 v[105:106], -v[99:100], v[103:104], 1.0
	v_fma_f64 v[103:104], v[103:104], v[105:106], v[103:104]
	v_mul_f64 v[105:106], v[107:108], v[103:104]
	v_fma_f64 v[99:100], -v[99:100], v[105:106], v[107:108]
	v_div_fmas_f64 v[99:100], v[99:100], v[103:104], v[105:106]
	v_div_fixup_f64 v[103:104], v[99:100], v[97:98], 1.0
                                        ; implicit-def: $vgpr97_vgpr98
	v_mul_f64 v[101:102], v[101:102], v[103:104]
	v_xor_b32_e32 v104, 0x80000000, v104
.LBB97_374:
	s_andn2_saveexec_b64 s[2:3], s[2:3]
	s_cbranch_execz .LBB97_376
; %bb.375:
	v_div_scale_f64 v[101:102], s[6:7], v[97:98], v[97:98], v[99:100]
	v_rcp_f64_e32 v[103:104], v[101:102]
	v_fma_f64 v[105:106], -v[101:102], v[103:104], 1.0
	v_fma_f64 v[103:104], v[103:104], v[105:106], v[103:104]
	v_div_scale_f64 v[105:106], vcc, v[99:100], v[97:98], v[99:100]
	v_fma_f64 v[107:108], -v[101:102], v[103:104], 1.0
	v_fma_f64 v[103:104], v[103:104], v[107:108], v[103:104]
	v_mul_f64 v[107:108], v[105:106], v[103:104]
	v_fma_f64 v[101:102], -v[101:102], v[107:108], v[105:106]
	v_div_fmas_f64 v[101:102], v[101:102], v[103:104], v[107:108]
	v_div_fixup_f64 v[103:104], v[101:102], v[97:98], v[99:100]
	v_fma_f64 v[97:98], v[99:100], v[103:104], v[97:98]
	v_div_scale_f64 v[99:100], s[6:7], v[97:98], v[97:98], 1.0
	v_div_scale_f64 v[107:108], vcc, 1.0, v[97:98], 1.0
	v_rcp_f64_e32 v[101:102], v[99:100]
	v_fma_f64 v[105:106], -v[99:100], v[101:102], 1.0
	v_fma_f64 v[101:102], v[101:102], v[105:106], v[101:102]
	v_fma_f64 v[105:106], -v[99:100], v[101:102], 1.0
	v_fma_f64 v[101:102], v[101:102], v[105:106], v[101:102]
	v_mul_f64 v[105:106], v[107:108], v[101:102]
	v_fma_f64 v[99:100], -v[99:100], v[105:106], v[107:108]
	v_div_fmas_f64 v[99:100], v[99:100], v[101:102], v[105:106]
	v_div_fixup_f64 v[101:102], v[99:100], v[97:98], 1.0
	v_mul_f64 v[103:104], v[103:104], -v[101:102]
.LBB97_376:
	s_or_b64 exec, exec, s[2:3]
	ds_write2_b64 v127, v[101:102], v[103:104] offset1:1
.LBB97_377:
	s_or_b64 exec, exec, s[4:5]
	s_waitcnt lgkmcnt(0)
	s_barrier
	ds_read2_b64 v[69:72], v127 offset1:1
	v_cmp_lt_u32_e32 vcc, 41, v0
	s_waitcnt lgkmcnt(0)
	buffer_store_dword v69, off, s[20:23], 0 offset:1456 ; 4-byte Folded Spill
	s_nop 0
	buffer_store_dword v70, off, s[20:23], 0 offset:1460 ; 4-byte Folded Spill
	buffer_store_dword v71, off, s[20:23], 0 offset:1464 ; 4-byte Folded Spill
	;; [unrolled: 1-line block ×3, first 2 shown]
	s_and_saveexec_b64 s[2:3], vcc
	s_cbranch_execz .LBB97_379
; %bb.378:
	buffer_load_dword v69, off, s[20:23], 0 offset:1456 ; 4-byte Folded Reload
	buffer_load_dword v70, off, s[20:23], 0 offset:1460 ; 4-byte Folded Reload
	;; [unrolled: 1-line block ×4, first 2 shown]
	ds_read2_b64 v[99:102], v125 offset0:84 offset1:85
	s_waitcnt vmcnt(2)
	v_mul_f64 v[97:98], v[69:70], v[27:28]
	s_waitcnt vmcnt(0)
	v_mul_f64 v[27:28], v[71:72], v[27:28]
	v_fma_f64 v[97:98], v[71:72], v[25:26], v[97:98]
	v_fma_f64 v[25:26], v[69:70], v[25:26], -v[27:28]
	s_waitcnt lgkmcnt(0)
	v_mul_f64 v[27:28], v[101:102], v[97:98]
	v_fma_f64 v[27:28], v[99:100], v[25:26], -v[27:28]
	v_mul_f64 v[99:100], v[99:100], v[97:98]
	v_add_f64 v[21:22], v[21:22], -v[27:28]
	v_fma_f64 v[99:100], v[101:102], v[25:26], v[99:100]
	v_add_f64 v[23:24], v[23:24], -v[99:100]
	ds_read2_b64 v[99:102], v125 offset0:86 offset1:87
	s_waitcnt lgkmcnt(0)
	v_mul_f64 v[27:28], v[101:102], v[97:98]
	v_fma_f64 v[27:28], v[99:100], v[25:26], -v[27:28]
	v_mul_f64 v[99:100], v[99:100], v[97:98]
	v_add_f64 v[17:18], v[17:18], -v[27:28]
	v_fma_f64 v[99:100], v[101:102], v[25:26], v[99:100]
	v_add_f64 v[19:20], v[19:20], -v[99:100]
	ds_read2_b64 v[99:102], v125 offset0:88 offset1:89
	;; [unrolled: 8-line block ×6, first 2 shown]
	s_waitcnt lgkmcnt(0)
	v_mul_f64 v[27:28], v[101:102], v[97:98]
	v_fma_f64 v[27:28], v[99:100], v[25:26], -v[27:28]
	v_mul_f64 v[99:100], v[99:100], v[97:98]
	v_add_f64 v[73:74], v[73:74], -v[27:28]
	v_fma_f64 v[99:100], v[101:102], v[25:26], v[99:100]
	v_mov_b32_e32 v27, v97
	v_mov_b32_e32 v28, v98
	v_add_f64 v[75:76], v[75:76], -v[99:100]
.LBB97_379:
	s_or_b64 exec, exec, s[2:3]
	v_cmp_eq_u32_e32 vcc, 42, v0
	s_waitcnt vmcnt(0)
	s_barrier
	s_and_saveexec_b64 s[4:5], vcc
	s_cbranch_execz .LBB97_386
; %bb.380:
	ds_write2_b64 v127, v[21:22], v[23:24] offset1:1
	ds_write2_b64 v125, v[17:18], v[19:20] offset0:86 offset1:87
	ds_write2_b64 v125, v[13:14], v[15:16] offset0:88 offset1:89
	;; [unrolled: 1-line block ×6, first 2 shown]
	ds_read2_b64 v[97:100], v127 offset1:1
	s_waitcnt lgkmcnt(0)
	v_cmp_neq_f64_e32 vcc, 0, v[97:98]
	v_cmp_neq_f64_e64 s[2:3], 0, v[99:100]
	s_or_b64 s[2:3], vcc, s[2:3]
	s_and_b64 exec, exec, s[2:3]
	s_cbranch_execz .LBB97_386
; %bb.381:
	v_cmp_ngt_f64_e64 s[2:3], |v[97:98]|, |v[99:100]|
                                        ; implicit-def: $vgpr101_vgpr102
	s_and_saveexec_b64 s[6:7], s[2:3]
	s_xor_b64 s[2:3], exec, s[6:7]
                                        ; implicit-def: $vgpr103_vgpr104
	s_cbranch_execz .LBB97_383
; %bb.382:
	v_div_scale_f64 v[101:102], s[6:7], v[99:100], v[99:100], v[97:98]
	v_rcp_f64_e32 v[103:104], v[101:102]
	v_fma_f64 v[105:106], -v[101:102], v[103:104], 1.0
	v_fma_f64 v[103:104], v[103:104], v[105:106], v[103:104]
	v_div_scale_f64 v[105:106], vcc, v[97:98], v[99:100], v[97:98]
	v_fma_f64 v[107:108], -v[101:102], v[103:104], 1.0
	v_fma_f64 v[103:104], v[103:104], v[107:108], v[103:104]
	v_mul_f64 v[107:108], v[105:106], v[103:104]
	v_fma_f64 v[101:102], -v[101:102], v[107:108], v[105:106]
	v_div_fmas_f64 v[101:102], v[101:102], v[103:104], v[107:108]
	v_div_fixup_f64 v[101:102], v[101:102], v[99:100], v[97:98]
	v_fma_f64 v[97:98], v[97:98], v[101:102], v[99:100]
	v_div_scale_f64 v[99:100], s[6:7], v[97:98], v[97:98], 1.0
	v_div_scale_f64 v[107:108], vcc, 1.0, v[97:98], 1.0
	v_rcp_f64_e32 v[103:104], v[99:100]
	v_fma_f64 v[105:106], -v[99:100], v[103:104], 1.0
	v_fma_f64 v[103:104], v[103:104], v[105:106], v[103:104]
	v_fma_f64 v[105:106], -v[99:100], v[103:104], 1.0
	v_fma_f64 v[103:104], v[103:104], v[105:106], v[103:104]
	v_mul_f64 v[105:106], v[107:108], v[103:104]
	v_fma_f64 v[99:100], -v[99:100], v[105:106], v[107:108]
	v_div_fmas_f64 v[99:100], v[99:100], v[103:104], v[105:106]
	v_div_fixup_f64 v[103:104], v[99:100], v[97:98], 1.0
                                        ; implicit-def: $vgpr97_vgpr98
	v_mul_f64 v[101:102], v[101:102], v[103:104]
	v_xor_b32_e32 v104, 0x80000000, v104
.LBB97_383:
	s_andn2_saveexec_b64 s[2:3], s[2:3]
	s_cbranch_execz .LBB97_385
; %bb.384:
	v_div_scale_f64 v[101:102], s[6:7], v[97:98], v[97:98], v[99:100]
	v_rcp_f64_e32 v[103:104], v[101:102]
	v_fma_f64 v[105:106], -v[101:102], v[103:104], 1.0
	v_fma_f64 v[103:104], v[103:104], v[105:106], v[103:104]
	v_div_scale_f64 v[105:106], vcc, v[99:100], v[97:98], v[99:100]
	v_fma_f64 v[107:108], -v[101:102], v[103:104], 1.0
	v_fma_f64 v[103:104], v[103:104], v[107:108], v[103:104]
	v_mul_f64 v[107:108], v[105:106], v[103:104]
	v_fma_f64 v[101:102], -v[101:102], v[107:108], v[105:106]
	v_div_fmas_f64 v[101:102], v[101:102], v[103:104], v[107:108]
	v_div_fixup_f64 v[103:104], v[101:102], v[97:98], v[99:100]
	v_fma_f64 v[97:98], v[99:100], v[103:104], v[97:98]
	v_div_scale_f64 v[99:100], s[6:7], v[97:98], v[97:98], 1.0
	v_div_scale_f64 v[107:108], vcc, 1.0, v[97:98], 1.0
	v_rcp_f64_e32 v[101:102], v[99:100]
	v_fma_f64 v[105:106], -v[99:100], v[101:102], 1.0
	v_fma_f64 v[101:102], v[101:102], v[105:106], v[101:102]
	v_fma_f64 v[105:106], -v[99:100], v[101:102], 1.0
	v_fma_f64 v[101:102], v[101:102], v[105:106], v[101:102]
	v_mul_f64 v[105:106], v[107:108], v[101:102]
	v_fma_f64 v[99:100], -v[99:100], v[105:106], v[107:108]
	v_div_fmas_f64 v[99:100], v[99:100], v[101:102], v[105:106]
	v_div_fixup_f64 v[101:102], v[99:100], v[97:98], 1.0
	v_mul_f64 v[103:104], v[103:104], -v[101:102]
.LBB97_385:
	s_or_b64 exec, exec, s[2:3]
	ds_write2_b64 v127, v[101:102], v[103:104] offset1:1
.LBB97_386:
	s_or_b64 exec, exec, s[4:5]
	s_waitcnt lgkmcnt(0)
	s_barrier
	ds_read2_b64 v[69:72], v127 offset1:1
	v_cmp_lt_u32_e32 vcc, 42, v0
	s_waitcnt lgkmcnt(0)
	buffer_store_dword v69, off, s[20:23], 0 offset:1472 ; 4-byte Folded Spill
	s_nop 0
	buffer_store_dword v70, off, s[20:23], 0 offset:1476 ; 4-byte Folded Spill
	buffer_store_dword v71, off, s[20:23], 0 offset:1480 ; 4-byte Folded Spill
	;; [unrolled: 1-line block ×3, first 2 shown]
	s_and_saveexec_b64 s[2:3], vcc
	s_cbranch_execz .LBB97_388
; %bb.387:
	buffer_load_dword v69, off, s[20:23], 0 offset:1472 ; 4-byte Folded Reload
	buffer_load_dword v70, off, s[20:23], 0 offset:1476 ; 4-byte Folded Reload
	;; [unrolled: 1-line block ×4, first 2 shown]
	ds_read2_b64 v[99:102], v125 offset0:86 offset1:87
	s_waitcnt vmcnt(2)
	v_mul_f64 v[97:98], v[69:70], v[23:24]
	s_waitcnt vmcnt(0)
	v_mul_f64 v[23:24], v[71:72], v[23:24]
	v_fma_f64 v[97:98], v[71:72], v[21:22], v[97:98]
	v_fma_f64 v[21:22], v[69:70], v[21:22], -v[23:24]
	s_waitcnt lgkmcnt(0)
	v_mul_f64 v[23:24], v[101:102], v[97:98]
	v_fma_f64 v[23:24], v[99:100], v[21:22], -v[23:24]
	v_mul_f64 v[99:100], v[99:100], v[97:98]
	v_add_f64 v[17:18], v[17:18], -v[23:24]
	v_fma_f64 v[99:100], v[101:102], v[21:22], v[99:100]
	v_add_f64 v[19:20], v[19:20], -v[99:100]
	ds_read2_b64 v[99:102], v125 offset0:88 offset1:89
	s_waitcnt lgkmcnt(0)
	v_mul_f64 v[23:24], v[101:102], v[97:98]
	v_fma_f64 v[23:24], v[99:100], v[21:22], -v[23:24]
	v_mul_f64 v[99:100], v[99:100], v[97:98]
	v_add_f64 v[13:14], v[13:14], -v[23:24]
	v_fma_f64 v[99:100], v[101:102], v[21:22], v[99:100]
	v_add_f64 v[15:16], v[15:16], -v[99:100]
	ds_read2_b64 v[99:102], v125 offset0:90 offset1:91
	;; [unrolled: 8-line block ×5, first 2 shown]
	s_waitcnt lgkmcnt(0)
	v_mul_f64 v[23:24], v[101:102], v[97:98]
	v_fma_f64 v[23:24], v[99:100], v[21:22], -v[23:24]
	v_mul_f64 v[99:100], v[99:100], v[97:98]
	v_add_f64 v[73:74], v[73:74], -v[23:24]
	v_fma_f64 v[99:100], v[101:102], v[21:22], v[99:100]
	v_mov_b32_e32 v23, v97
	v_mov_b32_e32 v24, v98
	v_add_f64 v[75:76], v[75:76], -v[99:100]
.LBB97_388:
	s_or_b64 exec, exec, s[2:3]
	v_cmp_eq_u32_e32 vcc, 43, v0
	s_waitcnt vmcnt(0)
	s_barrier
	s_and_saveexec_b64 s[4:5], vcc
	s_cbranch_execz .LBB97_395
; %bb.389:
	ds_write2_b64 v127, v[17:18], v[19:20] offset1:1
	ds_write2_b64 v125, v[13:14], v[15:16] offset0:88 offset1:89
	ds_write2_b64 v125, v[9:10], v[11:12] offset0:90 offset1:91
	;; [unrolled: 1-line block ×5, first 2 shown]
	ds_read2_b64 v[97:100], v127 offset1:1
	s_waitcnt lgkmcnt(0)
	v_cmp_neq_f64_e32 vcc, 0, v[97:98]
	v_cmp_neq_f64_e64 s[2:3], 0, v[99:100]
	s_or_b64 s[2:3], vcc, s[2:3]
	s_and_b64 exec, exec, s[2:3]
	s_cbranch_execz .LBB97_395
; %bb.390:
	v_cmp_ngt_f64_e64 s[2:3], |v[97:98]|, |v[99:100]|
                                        ; implicit-def: $vgpr101_vgpr102
	s_and_saveexec_b64 s[6:7], s[2:3]
	s_xor_b64 s[2:3], exec, s[6:7]
                                        ; implicit-def: $vgpr103_vgpr104
	s_cbranch_execz .LBB97_392
; %bb.391:
	v_div_scale_f64 v[101:102], s[6:7], v[99:100], v[99:100], v[97:98]
	v_rcp_f64_e32 v[103:104], v[101:102]
	v_fma_f64 v[105:106], -v[101:102], v[103:104], 1.0
	v_fma_f64 v[103:104], v[103:104], v[105:106], v[103:104]
	v_div_scale_f64 v[105:106], vcc, v[97:98], v[99:100], v[97:98]
	v_fma_f64 v[107:108], -v[101:102], v[103:104], 1.0
	v_fma_f64 v[103:104], v[103:104], v[107:108], v[103:104]
	v_mul_f64 v[107:108], v[105:106], v[103:104]
	v_fma_f64 v[101:102], -v[101:102], v[107:108], v[105:106]
	v_div_fmas_f64 v[101:102], v[101:102], v[103:104], v[107:108]
	v_div_fixup_f64 v[101:102], v[101:102], v[99:100], v[97:98]
	v_fma_f64 v[97:98], v[97:98], v[101:102], v[99:100]
	v_div_scale_f64 v[99:100], s[6:7], v[97:98], v[97:98], 1.0
	v_div_scale_f64 v[107:108], vcc, 1.0, v[97:98], 1.0
	v_rcp_f64_e32 v[103:104], v[99:100]
	v_fma_f64 v[105:106], -v[99:100], v[103:104], 1.0
	v_fma_f64 v[103:104], v[103:104], v[105:106], v[103:104]
	v_fma_f64 v[105:106], -v[99:100], v[103:104], 1.0
	v_fma_f64 v[103:104], v[103:104], v[105:106], v[103:104]
	v_mul_f64 v[105:106], v[107:108], v[103:104]
	v_fma_f64 v[99:100], -v[99:100], v[105:106], v[107:108]
	v_div_fmas_f64 v[99:100], v[99:100], v[103:104], v[105:106]
	v_div_fixup_f64 v[103:104], v[99:100], v[97:98], 1.0
                                        ; implicit-def: $vgpr97_vgpr98
	v_mul_f64 v[101:102], v[101:102], v[103:104]
	v_xor_b32_e32 v104, 0x80000000, v104
.LBB97_392:
	s_andn2_saveexec_b64 s[2:3], s[2:3]
	s_cbranch_execz .LBB97_394
; %bb.393:
	v_div_scale_f64 v[101:102], s[6:7], v[97:98], v[97:98], v[99:100]
	v_rcp_f64_e32 v[103:104], v[101:102]
	v_fma_f64 v[105:106], -v[101:102], v[103:104], 1.0
	v_fma_f64 v[103:104], v[103:104], v[105:106], v[103:104]
	v_div_scale_f64 v[105:106], vcc, v[99:100], v[97:98], v[99:100]
	v_fma_f64 v[107:108], -v[101:102], v[103:104], 1.0
	v_fma_f64 v[103:104], v[103:104], v[107:108], v[103:104]
	v_mul_f64 v[107:108], v[105:106], v[103:104]
	v_fma_f64 v[101:102], -v[101:102], v[107:108], v[105:106]
	v_div_fmas_f64 v[101:102], v[101:102], v[103:104], v[107:108]
	v_div_fixup_f64 v[103:104], v[101:102], v[97:98], v[99:100]
	v_fma_f64 v[97:98], v[99:100], v[103:104], v[97:98]
	v_div_scale_f64 v[99:100], s[6:7], v[97:98], v[97:98], 1.0
	v_div_scale_f64 v[107:108], vcc, 1.0, v[97:98], 1.0
	v_rcp_f64_e32 v[101:102], v[99:100]
	v_fma_f64 v[105:106], -v[99:100], v[101:102], 1.0
	v_fma_f64 v[101:102], v[101:102], v[105:106], v[101:102]
	v_fma_f64 v[105:106], -v[99:100], v[101:102], 1.0
	v_fma_f64 v[101:102], v[101:102], v[105:106], v[101:102]
	v_mul_f64 v[105:106], v[107:108], v[101:102]
	v_fma_f64 v[99:100], -v[99:100], v[105:106], v[107:108]
	v_div_fmas_f64 v[99:100], v[99:100], v[101:102], v[105:106]
	v_div_fixup_f64 v[101:102], v[99:100], v[97:98], 1.0
	v_mul_f64 v[103:104], v[103:104], -v[101:102]
.LBB97_394:
	s_or_b64 exec, exec, s[2:3]
	ds_write2_b64 v127, v[101:102], v[103:104] offset1:1
.LBB97_395:
	s_or_b64 exec, exec, s[4:5]
	s_waitcnt lgkmcnt(0)
	s_barrier
	ds_read2_b64 v[69:72], v127 offset1:1
	v_cmp_lt_u32_e32 vcc, 43, v0
	s_waitcnt lgkmcnt(0)
	buffer_store_dword v69, off, s[20:23], 0 offset:1488 ; 4-byte Folded Spill
	s_nop 0
	buffer_store_dword v70, off, s[20:23], 0 offset:1492 ; 4-byte Folded Spill
	buffer_store_dword v71, off, s[20:23], 0 offset:1496 ; 4-byte Folded Spill
	;; [unrolled: 1-line block ×3, first 2 shown]
	s_and_saveexec_b64 s[2:3], vcc
	s_cbranch_execz .LBB97_397
; %bb.396:
	buffer_load_dword v69, off, s[20:23], 0 offset:1488 ; 4-byte Folded Reload
	buffer_load_dword v70, off, s[20:23], 0 offset:1492 ; 4-byte Folded Reload
	buffer_load_dword v71, off, s[20:23], 0 offset:1496 ; 4-byte Folded Reload
	buffer_load_dword v72, off, s[20:23], 0 offset:1500 ; 4-byte Folded Reload
	s_waitcnt vmcnt(2)
	v_mul_f64 v[97:98], v[69:70], v[19:20]
	s_waitcnt vmcnt(0)
	v_mul_f64 v[19:20], v[71:72], v[19:20]
	v_fma_f64 v[101:102], v[71:72], v[17:18], v[97:98]
	ds_read2_b64 v[97:100], v125 offset0:88 offset1:89
	v_fma_f64 v[17:18], v[69:70], v[17:18], -v[19:20]
	s_waitcnt lgkmcnt(0)
	v_mul_f64 v[19:20], v[99:100], v[101:102]
	v_fma_f64 v[19:20], v[97:98], v[17:18], -v[19:20]
	v_mul_f64 v[97:98], v[97:98], v[101:102]
	v_add_f64 v[13:14], v[13:14], -v[19:20]
	v_fma_f64 v[97:98], v[99:100], v[17:18], v[97:98]
	v_add_f64 v[15:16], v[15:16], -v[97:98]
	ds_read2_b64 v[97:100], v125 offset0:90 offset1:91
	s_waitcnt lgkmcnt(0)
	v_mul_f64 v[19:20], v[99:100], v[101:102]
	v_fma_f64 v[19:20], v[97:98], v[17:18], -v[19:20]
	v_mul_f64 v[97:98], v[97:98], v[101:102]
	v_add_f64 v[9:10], v[9:10], -v[19:20]
	v_fma_f64 v[97:98], v[99:100], v[17:18], v[97:98]
	v_add_f64 v[11:12], v[11:12], -v[97:98]
	ds_read2_b64 v[97:100], v125 offset0:92 offset1:93
	;; [unrolled: 8-line block ×4, first 2 shown]
	s_waitcnt lgkmcnt(0)
	v_mul_f64 v[19:20], v[99:100], v[101:102]
	v_fma_f64 v[19:20], v[97:98], v[17:18], -v[19:20]
	v_mul_f64 v[97:98], v[97:98], v[101:102]
	v_add_f64 v[73:74], v[73:74], -v[19:20]
	v_fma_f64 v[97:98], v[99:100], v[17:18], v[97:98]
	v_mov_b32_e32 v19, v101
	v_mov_b32_e32 v20, v102
	v_add_f64 v[75:76], v[75:76], -v[97:98]
.LBB97_397:
	s_or_b64 exec, exec, s[2:3]
	v_cmp_eq_u32_e32 vcc, 44, v0
	s_waitcnt vmcnt(0)
	s_barrier
	s_and_saveexec_b64 s[4:5], vcc
	s_cbranch_execz .LBB97_404
; %bb.398:
	ds_write2_b64 v127, v[13:14], v[15:16] offset1:1
	ds_write2_b64 v125, v[9:10], v[11:12] offset0:90 offset1:91
	ds_write2_b64 v125, v[5:6], v[7:8] offset0:92 offset1:93
	;; [unrolled: 1-line block ×4, first 2 shown]
	ds_read2_b64 v[97:100], v127 offset1:1
	s_waitcnt lgkmcnt(0)
	v_cmp_neq_f64_e32 vcc, 0, v[97:98]
	v_cmp_neq_f64_e64 s[2:3], 0, v[99:100]
	s_or_b64 s[2:3], vcc, s[2:3]
	s_and_b64 exec, exec, s[2:3]
	s_cbranch_execz .LBB97_404
; %bb.399:
	v_cmp_ngt_f64_e64 s[2:3], |v[97:98]|, |v[99:100]|
                                        ; implicit-def: $vgpr101_vgpr102
	s_and_saveexec_b64 s[6:7], s[2:3]
	s_xor_b64 s[2:3], exec, s[6:7]
                                        ; implicit-def: $vgpr103_vgpr104
	s_cbranch_execz .LBB97_401
; %bb.400:
	v_div_scale_f64 v[101:102], s[6:7], v[99:100], v[99:100], v[97:98]
	v_rcp_f64_e32 v[103:104], v[101:102]
	v_fma_f64 v[105:106], -v[101:102], v[103:104], 1.0
	v_fma_f64 v[103:104], v[103:104], v[105:106], v[103:104]
	v_div_scale_f64 v[105:106], vcc, v[97:98], v[99:100], v[97:98]
	v_fma_f64 v[107:108], -v[101:102], v[103:104], 1.0
	v_fma_f64 v[103:104], v[103:104], v[107:108], v[103:104]
	v_mul_f64 v[107:108], v[105:106], v[103:104]
	v_fma_f64 v[101:102], -v[101:102], v[107:108], v[105:106]
	v_div_fmas_f64 v[101:102], v[101:102], v[103:104], v[107:108]
	v_div_fixup_f64 v[101:102], v[101:102], v[99:100], v[97:98]
	v_fma_f64 v[97:98], v[97:98], v[101:102], v[99:100]
	v_div_scale_f64 v[99:100], s[6:7], v[97:98], v[97:98], 1.0
	v_div_scale_f64 v[107:108], vcc, 1.0, v[97:98], 1.0
	v_rcp_f64_e32 v[103:104], v[99:100]
	v_fma_f64 v[105:106], -v[99:100], v[103:104], 1.0
	v_fma_f64 v[103:104], v[103:104], v[105:106], v[103:104]
	v_fma_f64 v[105:106], -v[99:100], v[103:104], 1.0
	v_fma_f64 v[103:104], v[103:104], v[105:106], v[103:104]
	v_mul_f64 v[105:106], v[107:108], v[103:104]
	v_fma_f64 v[99:100], -v[99:100], v[105:106], v[107:108]
	v_div_fmas_f64 v[99:100], v[99:100], v[103:104], v[105:106]
	v_div_fixup_f64 v[103:104], v[99:100], v[97:98], 1.0
                                        ; implicit-def: $vgpr97_vgpr98
	v_mul_f64 v[101:102], v[101:102], v[103:104]
	v_xor_b32_e32 v104, 0x80000000, v104
.LBB97_401:
	s_andn2_saveexec_b64 s[2:3], s[2:3]
	s_cbranch_execz .LBB97_403
; %bb.402:
	v_div_scale_f64 v[101:102], s[6:7], v[97:98], v[97:98], v[99:100]
	v_rcp_f64_e32 v[103:104], v[101:102]
	v_fma_f64 v[105:106], -v[101:102], v[103:104], 1.0
	v_fma_f64 v[103:104], v[103:104], v[105:106], v[103:104]
	v_div_scale_f64 v[105:106], vcc, v[99:100], v[97:98], v[99:100]
	v_fma_f64 v[107:108], -v[101:102], v[103:104], 1.0
	v_fma_f64 v[103:104], v[103:104], v[107:108], v[103:104]
	v_mul_f64 v[107:108], v[105:106], v[103:104]
	v_fma_f64 v[101:102], -v[101:102], v[107:108], v[105:106]
	v_div_fmas_f64 v[101:102], v[101:102], v[103:104], v[107:108]
	v_div_fixup_f64 v[103:104], v[101:102], v[97:98], v[99:100]
	v_fma_f64 v[97:98], v[99:100], v[103:104], v[97:98]
	v_div_scale_f64 v[99:100], s[6:7], v[97:98], v[97:98], 1.0
	v_div_scale_f64 v[107:108], vcc, 1.0, v[97:98], 1.0
	v_rcp_f64_e32 v[101:102], v[99:100]
	v_fma_f64 v[105:106], -v[99:100], v[101:102], 1.0
	v_fma_f64 v[101:102], v[101:102], v[105:106], v[101:102]
	v_fma_f64 v[105:106], -v[99:100], v[101:102], 1.0
	v_fma_f64 v[101:102], v[101:102], v[105:106], v[101:102]
	v_mul_f64 v[105:106], v[107:108], v[101:102]
	v_fma_f64 v[99:100], -v[99:100], v[105:106], v[107:108]
	v_div_fmas_f64 v[99:100], v[99:100], v[101:102], v[105:106]
	v_div_fixup_f64 v[101:102], v[99:100], v[97:98], 1.0
	v_mul_f64 v[103:104], v[103:104], -v[101:102]
.LBB97_403:
	s_or_b64 exec, exec, s[2:3]
	ds_write2_b64 v127, v[101:102], v[103:104] offset1:1
.LBB97_404:
	s_or_b64 exec, exec, s[4:5]
	s_waitcnt lgkmcnt(0)
	s_barrier
	ds_read2_b64 v[69:72], v127 offset1:1
	v_cmp_lt_u32_e32 vcc, 44, v0
	s_waitcnt lgkmcnt(0)
	buffer_store_dword v69, off, s[20:23], 0 offset:1504 ; 4-byte Folded Spill
	s_nop 0
	buffer_store_dword v70, off, s[20:23], 0 offset:1508 ; 4-byte Folded Spill
	buffer_store_dword v71, off, s[20:23], 0 offset:1512 ; 4-byte Folded Spill
	;; [unrolled: 1-line block ×3, first 2 shown]
	s_and_saveexec_b64 s[2:3], vcc
	s_cbranch_execz .LBB97_406
; %bb.405:
	buffer_load_dword v69, off, s[20:23], 0 offset:1504 ; 4-byte Folded Reload
	buffer_load_dword v70, off, s[20:23], 0 offset:1508 ; 4-byte Folded Reload
	;; [unrolled: 1-line block ×4, first 2 shown]
	s_waitcnt vmcnt(2)
	v_mul_f64 v[97:98], v[69:70], v[15:16]
	s_waitcnt vmcnt(0)
	v_mul_f64 v[15:16], v[71:72], v[15:16]
	v_fma_f64 v[101:102], v[71:72], v[13:14], v[97:98]
	ds_read2_b64 v[97:100], v125 offset0:90 offset1:91
	v_fma_f64 v[13:14], v[69:70], v[13:14], -v[15:16]
	s_waitcnt lgkmcnt(0)
	v_mul_f64 v[15:16], v[99:100], v[101:102]
	v_fma_f64 v[15:16], v[97:98], v[13:14], -v[15:16]
	v_mul_f64 v[97:98], v[97:98], v[101:102]
	v_add_f64 v[9:10], v[9:10], -v[15:16]
	v_fma_f64 v[97:98], v[99:100], v[13:14], v[97:98]
	v_add_f64 v[11:12], v[11:12], -v[97:98]
	ds_read2_b64 v[97:100], v125 offset0:92 offset1:93
	s_waitcnt lgkmcnt(0)
	v_mul_f64 v[15:16], v[99:100], v[101:102]
	v_fma_f64 v[15:16], v[97:98], v[13:14], -v[15:16]
	v_mul_f64 v[97:98], v[97:98], v[101:102]
	v_add_f64 v[5:6], v[5:6], -v[15:16]
	v_fma_f64 v[97:98], v[99:100], v[13:14], v[97:98]
	v_add_f64 v[7:8], v[7:8], -v[97:98]
	ds_read2_b64 v[97:100], v125 offset0:94 offset1:95
	;; [unrolled: 8-line block ×3, first 2 shown]
	s_waitcnt lgkmcnt(0)
	v_mul_f64 v[15:16], v[99:100], v[101:102]
	v_fma_f64 v[15:16], v[97:98], v[13:14], -v[15:16]
	v_mul_f64 v[97:98], v[97:98], v[101:102]
	v_add_f64 v[73:74], v[73:74], -v[15:16]
	v_fma_f64 v[97:98], v[99:100], v[13:14], v[97:98]
	v_mov_b32_e32 v15, v101
	v_mov_b32_e32 v16, v102
	v_add_f64 v[75:76], v[75:76], -v[97:98]
.LBB97_406:
	s_or_b64 exec, exec, s[2:3]
	v_cmp_eq_u32_e32 vcc, 45, v0
	s_waitcnt vmcnt(0)
	s_barrier
	s_and_saveexec_b64 s[4:5], vcc
	s_cbranch_execz .LBB97_413
; %bb.407:
	ds_write2_b64 v127, v[9:10], v[11:12] offset1:1
	ds_write2_b64 v125, v[5:6], v[7:8] offset0:92 offset1:93
	ds_write2_b64 v125, v[1:2], v[3:4] offset0:94 offset1:95
	;; [unrolled: 1-line block ×3, first 2 shown]
	ds_read2_b64 v[97:100], v127 offset1:1
	s_waitcnt lgkmcnt(0)
	v_cmp_neq_f64_e32 vcc, 0, v[97:98]
	v_cmp_neq_f64_e64 s[2:3], 0, v[99:100]
	s_or_b64 s[2:3], vcc, s[2:3]
	s_and_b64 exec, exec, s[2:3]
	s_cbranch_execz .LBB97_413
; %bb.408:
	v_cmp_ngt_f64_e64 s[2:3], |v[97:98]|, |v[99:100]|
                                        ; implicit-def: $vgpr101_vgpr102
	s_and_saveexec_b64 s[6:7], s[2:3]
	s_xor_b64 s[2:3], exec, s[6:7]
                                        ; implicit-def: $vgpr103_vgpr104
	s_cbranch_execz .LBB97_410
; %bb.409:
	v_div_scale_f64 v[101:102], s[6:7], v[99:100], v[99:100], v[97:98]
	v_rcp_f64_e32 v[103:104], v[101:102]
	v_fma_f64 v[105:106], -v[101:102], v[103:104], 1.0
	v_fma_f64 v[103:104], v[103:104], v[105:106], v[103:104]
	v_div_scale_f64 v[105:106], vcc, v[97:98], v[99:100], v[97:98]
	v_fma_f64 v[107:108], -v[101:102], v[103:104], 1.0
	v_fma_f64 v[103:104], v[103:104], v[107:108], v[103:104]
	v_mul_f64 v[107:108], v[105:106], v[103:104]
	v_fma_f64 v[101:102], -v[101:102], v[107:108], v[105:106]
	v_div_fmas_f64 v[101:102], v[101:102], v[103:104], v[107:108]
	v_div_fixup_f64 v[101:102], v[101:102], v[99:100], v[97:98]
	v_fma_f64 v[97:98], v[97:98], v[101:102], v[99:100]
	v_div_scale_f64 v[99:100], s[6:7], v[97:98], v[97:98], 1.0
	v_div_scale_f64 v[107:108], vcc, 1.0, v[97:98], 1.0
	v_rcp_f64_e32 v[103:104], v[99:100]
	v_fma_f64 v[105:106], -v[99:100], v[103:104], 1.0
	v_fma_f64 v[103:104], v[103:104], v[105:106], v[103:104]
	v_fma_f64 v[105:106], -v[99:100], v[103:104], 1.0
	v_fma_f64 v[103:104], v[103:104], v[105:106], v[103:104]
	v_mul_f64 v[105:106], v[107:108], v[103:104]
	v_fma_f64 v[99:100], -v[99:100], v[105:106], v[107:108]
	v_div_fmas_f64 v[99:100], v[99:100], v[103:104], v[105:106]
	v_div_fixup_f64 v[103:104], v[99:100], v[97:98], 1.0
                                        ; implicit-def: $vgpr97_vgpr98
	v_mul_f64 v[101:102], v[101:102], v[103:104]
	v_xor_b32_e32 v104, 0x80000000, v104
.LBB97_410:
	s_andn2_saveexec_b64 s[2:3], s[2:3]
	s_cbranch_execz .LBB97_412
; %bb.411:
	v_div_scale_f64 v[101:102], s[6:7], v[97:98], v[97:98], v[99:100]
	v_rcp_f64_e32 v[103:104], v[101:102]
	v_fma_f64 v[105:106], -v[101:102], v[103:104], 1.0
	v_fma_f64 v[103:104], v[103:104], v[105:106], v[103:104]
	v_div_scale_f64 v[105:106], vcc, v[99:100], v[97:98], v[99:100]
	v_fma_f64 v[107:108], -v[101:102], v[103:104], 1.0
	v_fma_f64 v[103:104], v[103:104], v[107:108], v[103:104]
	v_mul_f64 v[107:108], v[105:106], v[103:104]
	v_fma_f64 v[101:102], -v[101:102], v[107:108], v[105:106]
	v_div_fmas_f64 v[101:102], v[101:102], v[103:104], v[107:108]
	v_div_fixup_f64 v[103:104], v[101:102], v[97:98], v[99:100]
	v_fma_f64 v[97:98], v[99:100], v[103:104], v[97:98]
	v_div_scale_f64 v[99:100], s[6:7], v[97:98], v[97:98], 1.0
	v_div_scale_f64 v[107:108], vcc, 1.0, v[97:98], 1.0
	v_rcp_f64_e32 v[101:102], v[99:100]
	v_fma_f64 v[105:106], -v[99:100], v[101:102], 1.0
	v_fma_f64 v[101:102], v[101:102], v[105:106], v[101:102]
	v_fma_f64 v[105:106], -v[99:100], v[101:102], 1.0
	v_fma_f64 v[101:102], v[101:102], v[105:106], v[101:102]
	v_mul_f64 v[105:106], v[107:108], v[101:102]
	v_fma_f64 v[99:100], -v[99:100], v[105:106], v[107:108]
	v_div_fmas_f64 v[99:100], v[99:100], v[101:102], v[105:106]
	v_div_fixup_f64 v[101:102], v[99:100], v[97:98], 1.0
	v_mul_f64 v[103:104], v[103:104], -v[101:102]
.LBB97_412:
	s_or_b64 exec, exec, s[2:3]
	ds_write2_b64 v127, v[101:102], v[103:104] offset1:1
.LBB97_413:
	s_or_b64 exec, exec, s[4:5]
	s_waitcnt lgkmcnt(0)
	s_barrier
	ds_read2_b64 v[69:72], v127 offset1:1
	v_cmp_lt_u32_e32 vcc, 45, v0
	s_waitcnt lgkmcnt(0)
	buffer_store_dword v69, off, s[20:23], 0 offset:1520 ; 4-byte Folded Spill
	s_nop 0
	buffer_store_dword v70, off, s[20:23], 0 offset:1524 ; 4-byte Folded Spill
	buffer_store_dword v71, off, s[20:23], 0 offset:1528 ; 4-byte Folded Spill
	;; [unrolled: 1-line block ×3, first 2 shown]
	s_and_saveexec_b64 s[2:3], vcc
	s_cbranch_execz .LBB97_415
; %bb.414:
	buffer_load_dword v69, off, s[20:23], 0 offset:1520 ; 4-byte Folded Reload
	buffer_load_dword v70, off, s[20:23], 0 offset:1524 ; 4-byte Folded Reload
	;; [unrolled: 1-line block ×4, first 2 shown]
	s_waitcnt vmcnt(2)
	v_mul_f64 v[97:98], v[69:70], v[11:12]
	s_waitcnt vmcnt(0)
	v_mul_f64 v[11:12], v[71:72], v[11:12]
	v_fma_f64 v[101:102], v[71:72], v[9:10], v[97:98]
	ds_read2_b64 v[97:100], v125 offset0:92 offset1:93
	v_fma_f64 v[9:10], v[69:70], v[9:10], -v[11:12]
	s_waitcnt lgkmcnt(0)
	v_mul_f64 v[11:12], v[99:100], v[101:102]
	v_fma_f64 v[11:12], v[97:98], v[9:10], -v[11:12]
	v_mul_f64 v[97:98], v[97:98], v[101:102]
	v_add_f64 v[5:6], v[5:6], -v[11:12]
	v_fma_f64 v[97:98], v[99:100], v[9:10], v[97:98]
	v_add_f64 v[7:8], v[7:8], -v[97:98]
	ds_read2_b64 v[97:100], v125 offset0:94 offset1:95
	s_waitcnt lgkmcnt(0)
	v_mul_f64 v[11:12], v[99:100], v[101:102]
	v_fma_f64 v[11:12], v[97:98], v[9:10], -v[11:12]
	v_mul_f64 v[97:98], v[97:98], v[101:102]
	v_add_f64 v[1:2], v[1:2], -v[11:12]
	v_fma_f64 v[97:98], v[99:100], v[9:10], v[97:98]
	v_add_f64 v[3:4], v[3:4], -v[97:98]
	ds_read2_b64 v[97:100], v125 offset0:96 offset1:97
	s_waitcnt lgkmcnt(0)
	v_mul_f64 v[11:12], v[99:100], v[101:102]
	v_fma_f64 v[11:12], v[97:98], v[9:10], -v[11:12]
	v_mul_f64 v[97:98], v[97:98], v[101:102]
	v_add_f64 v[73:74], v[73:74], -v[11:12]
	v_fma_f64 v[97:98], v[99:100], v[9:10], v[97:98]
	v_mov_b32_e32 v11, v101
	v_mov_b32_e32 v12, v102
	v_add_f64 v[75:76], v[75:76], -v[97:98]
.LBB97_415:
	s_or_b64 exec, exec, s[2:3]
	v_cmp_eq_u32_e32 vcc, 46, v0
	s_waitcnt vmcnt(0)
	s_barrier
	s_and_saveexec_b64 s[4:5], vcc
	s_cbranch_execz .LBB97_422
; %bb.416:
	ds_write2_b64 v127, v[5:6], v[7:8] offset1:1
	ds_write2_b64 v125, v[1:2], v[3:4] offset0:94 offset1:95
	ds_write2_b64 v125, v[73:74], v[75:76] offset0:96 offset1:97
	ds_read2_b64 v[97:100], v127 offset1:1
	s_waitcnt lgkmcnt(0)
	v_cmp_neq_f64_e32 vcc, 0, v[97:98]
	v_cmp_neq_f64_e64 s[2:3], 0, v[99:100]
	s_or_b64 s[2:3], vcc, s[2:3]
	s_and_b64 exec, exec, s[2:3]
	s_cbranch_execz .LBB97_422
; %bb.417:
	v_cmp_ngt_f64_e64 s[2:3], |v[97:98]|, |v[99:100]|
                                        ; implicit-def: $vgpr101_vgpr102
	s_and_saveexec_b64 s[6:7], s[2:3]
	s_xor_b64 s[2:3], exec, s[6:7]
                                        ; implicit-def: $vgpr103_vgpr104
	s_cbranch_execz .LBB97_419
; %bb.418:
	v_div_scale_f64 v[101:102], s[6:7], v[99:100], v[99:100], v[97:98]
	v_rcp_f64_e32 v[103:104], v[101:102]
	v_fma_f64 v[105:106], -v[101:102], v[103:104], 1.0
	v_fma_f64 v[103:104], v[103:104], v[105:106], v[103:104]
	v_div_scale_f64 v[105:106], vcc, v[97:98], v[99:100], v[97:98]
	v_fma_f64 v[107:108], -v[101:102], v[103:104], 1.0
	v_fma_f64 v[103:104], v[103:104], v[107:108], v[103:104]
	v_mul_f64 v[107:108], v[105:106], v[103:104]
	v_fma_f64 v[101:102], -v[101:102], v[107:108], v[105:106]
	v_div_fmas_f64 v[101:102], v[101:102], v[103:104], v[107:108]
	v_div_fixup_f64 v[101:102], v[101:102], v[99:100], v[97:98]
	v_fma_f64 v[97:98], v[97:98], v[101:102], v[99:100]
	v_div_scale_f64 v[99:100], s[6:7], v[97:98], v[97:98], 1.0
	v_div_scale_f64 v[107:108], vcc, 1.0, v[97:98], 1.0
	v_rcp_f64_e32 v[103:104], v[99:100]
	v_fma_f64 v[105:106], -v[99:100], v[103:104], 1.0
	v_fma_f64 v[103:104], v[103:104], v[105:106], v[103:104]
	v_fma_f64 v[105:106], -v[99:100], v[103:104], 1.0
	v_fma_f64 v[103:104], v[103:104], v[105:106], v[103:104]
	v_mul_f64 v[105:106], v[107:108], v[103:104]
	v_fma_f64 v[99:100], -v[99:100], v[105:106], v[107:108]
	v_div_fmas_f64 v[99:100], v[99:100], v[103:104], v[105:106]
	v_div_fixup_f64 v[103:104], v[99:100], v[97:98], 1.0
                                        ; implicit-def: $vgpr97_vgpr98
	v_mul_f64 v[101:102], v[101:102], v[103:104]
	v_xor_b32_e32 v104, 0x80000000, v104
.LBB97_419:
	s_andn2_saveexec_b64 s[2:3], s[2:3]
	s_cbranch_execz .LBB97_421
; %bb.420:
	v_div_scale_f64 v[101:102], s[6:7], v[97:98], v[97:98], v[99:100]
	v_rcp_f64_e32 v[103:104], v[101:102]
	v_fma_f64 v[105:106], -v[101:102], v[103:104], 1.0
	v_fma_f64 v[103:104], v[103:104], v[105:106], v[103:104]
	v_div_scale_f64 v[105:106], vcc, v[99:100], v[97:98], v[99:100]
	v_fma_f64 v[107:108], -v[101:102], v[103:104], 1.0
	v_fma_f64 v[103:104], v[103:104], v[107:108], v[103:104]
	v_mul_f64 v[107:108], v[105:106], v[103:104]
	v_fma_f64 v[101:102], -v[101:102], v[107:108], v[105:106]
	v_div_fmas_f64 v[101:102], v[101:102], v[103:104], v[107:108]
	v_div_fixup_f64 v[103:104], v[101:102], v[97:98], v[99:100]
	v_fma_f64 v[97:98], v[99:100], v[103:104], v[97:98]
	v_div_scale_f64 v[99:100], s[6:7], v[97:98], v[97:98], 1.0
	v_div_scale_f64 v[107:108], vcc, 1.0, v[97:98], 1.0
	v_rcp_f64_e32 v[101:102], v[99:100]
	v_fma_f64 v[105:106], -v[99:100], v[101:102], 1.0
	v_fma_f64 v[101:102], v[101:102], v[105:106], v[101:102]
	v_fma_f64 v[105:106], -v[99:100], v[101:102], 1.0
	v_fma_f64 v[101:102], v[101:102], v[105:106], v[101:102]
	v_mul_f64 v[105:106], v[107:108], v[101:102]
	v_fma_f64 v[99:100], -v[99:100], v[105:106], v[107:108]
	v_div_fmas_f64 v[99:100], v[99:100], v[101:102], v[105:106]
	v_div_fixup_f64 v[101:102], v[99:100], v[97:98], 1.0
	v_mul_f64 v[103:104], v[103:104], -v[101:102]
.LBB97_421:
	s_or_b64 exec, exec, s[2:3]
	ds_write2_b64 v127, v[101:102], v[103:104] offset1:1
.LBB97_422:
	s_or_b64 exec, exec, s[4:5]
	s_waitcnt lgkmcnt(0)
	s_barrier
	ds_read2_b64 v[69:72], v127 offset1:1
	v_cmp_lt_u32_e32 vcc, 46, v0
	s_and_saveexec_b64 s[2:3], vcc
	s_cbranch_execz .LBB97_424
; %bb.423:
	s_waitcnt lgkmcnt(0)
	v_mul_f64 v[97:98], v[69:70], v[7:8]
	v_mul_f64 v[7:8], v[71:72], v[7:8]
	v_fma_f64 v[105:106], v[71:72], v[5:6], v[97:98]
	ds_read2_b64 v[97:100], v125 offset0:94 offset1:95
	v_fma_f64 v[5:6], v[69:70], v[5:6], -v[7:8]
	s_waitcnt lgkmcnt(0)
	v_mul_f64 v[7:8], v[99:100], v[105:106]
	v_fma_f64 v[7:8], v[97:98], v[5:6], -v[7:8]
	v_mul_f64 v[97:98], v[97:98], v[105:106]
	v_add_f64 v[1:2], v[1:2], -v[7:8]
	v_fma_f64 v[97:98], v[99:100], v[5:6], v[97:98]
	v_add_f64 v[3:4], v[3:4], -v[97:98]
	ds_read2_b64 v[97:100], v125 offset0:96 offset1:97
	s_waitcnt lgkmcnt(0)
	v_mul_f64 v[7:8], v[99:100], v[105:106]
	v_fma_f64 v[7:8], v[97:98], v[5:6], -v[7:8]
	v_mul_f64 v[97:98], v[97:98], v[105:106]
	v_add_f64 v[73:74], v[73:74], -v[7:8]
	v_fma_f64 v[97:98], v[99:100], v[5:6], v[97:98]
	v_mov_b32_e32 v7, v105
	v_mov_b32_e32 v8, v106
	v_add_f64 v[75:76], v[75:76], -v[97:98]
.LBB97_424:
	s_or_b64 exec, exec, s[2:3]
	v_cmp_eq_u32_e32 vcc, 47, v0
	s_waitcnt lgkmcnt(0)
	s_barrier
	s_and_saveexec_b64 s[4:5], vcc
	s_cbranch_execz .LBB97_431
; %bb.425:
	ds_write2_b64 v127, v[1:2], v[3:4] offset1:1
	ds_write2_b64 v125, v[73:74], v[75:76] offset0:96 offset1:97
	ds_read2_b64 v[97:100], v127 offset1:1
	s_waitcnt lgkmcnt(0)
	v_cmp_neq_f64_e32 vcc, 0, v[97:98]
	v_cmp_neq_f64_e64 s[2:3], 0, v[99:100]
	s_or_b64 s[2:3], vcc, s[2:3]
	s_and_b64 exec, exec, s[2:3]
	s_cbranch_execz .LBB97_431
; %bb.426:
	v_cmp_ngt_f64_e64 s[2:3], |v[97:98]|, |v[99:100]|
                                        ; implicit-def: $vgpr105_vgpr106
	s_and_saveexec_b64 s[6:7], s[2:3]
	s_xor_b64 s[2:3], exec, s[6:7]
                                        ; implicit-def: $vgpr107_vgpr108
	s_cbranch_execz .LBB97_428
; %bb.427:
	v_div_scale_f64 v[105:106], s[6:7], v[99:100], v[99:100], v[97:98]
	v_mov_b32_e32 v77, v93
	v_mov_b32_e32 v78, v94
	;; [unrolled: 1-line block ×4, first 2 shown]
	v_div_scale_f64 v[95:96], vcc, v[97:98], v[99:100], v[97:98]
	v_rcp_f64_e32 v[107:108], v[105:106]
	v_fma_f64 v[93:94], -v[105:106], v[107:108], 1.0
	v_fma_f64 v[93:94], v[107:108], v[93:94], v[107:108]
	v_fma_f64 v[107:108], -v[105:106], v[93:94], 1.0
	v_fma_f64 v[93:94], v[93:94], v[107:108], v[93:94]
	v_mul_f64 v[107:108], v[95:96], v[93:94]
	v_fma_f64 v[95:96], -v[105:106], v[107:108], v[95:96]
	v_div_fmas_f64 v[93:94], v[95:96], v[93:94], v[107:108]
	v_div_fixup_f64 v[93:94], v[93:94], v[99:100], v[97:98]
	v_fma_f64 v[95:96], v[97:98], v[93:94], v[99:100]
	v_div_scale_f64 v[97:98], s[6:7], v[95:96], v[95:96], 1.0
	v_div_scale_f64 v[107:108], vcc, 1.0, v[95:96], 1.0
	v_rcp_f64_e32 v[99:100], v[97:98]
	v_fma_f64 v[105:106], -v[97:98], v[99:100], 1.0
	v_fma_f64 v[99:100], v[99:100], v[105:106], v[99:100]
	v_fma_f64 v[105:106], -v[97:98], v[99:100], 1.0
	v_fma_f64 v[99:100], v[99:100], v[105:106], v[99:100]
	v_mul_f64 v[105:106], v[107:108], v[99:100]
	v_fma_f64 v[97:98], -v[97:98], v[105:106], v[107:108]
	v_div_fmas_f64 v[97:98], v[97:98], v[99:100], v[105:106]
	v_div_fixup_f64 v[107:108], v[97:98], v[95:96], 1.0
                                        ; implicit-def: $vgpr97_vgpr98
	v_mul_f64 v[105:106], v[93:94], v[107:108]
	v_mov_b32_e32 v96, v80
	v_mov_b32_e32 v95, v79
	;; [unrolled: 1-line block ×4, first 2 shown]
	v_xor_b32_e32 v108, 0x80000000, v108
.LBB97_428:
	s_andn2_saveexec_b64 s[2:3], s[2:3]
	s_cbranch_execz .LBB97_430
; %bb.429:
	v_mov_b32_e32 v77, v117
	v_mov_b32_e32 v78, v118
	v_mov_b32_e32 v79, v119
	v_mov_b32_e32 v80, v120
	v_mov_b32_e32 v120, v96
	v_mov_b32_e32 v119, v95
	v_mov_b32_e32 v118, v94
	v_mov_b32_e32 v117, v93
	v_div_scale_f64 v[93:94], s[6:7], v[97:98], v[97:98], v[99:100]
	v_rcp_f64_e32 v[95:96], v[93:94]
	v_fma_f64 v[105:106], -v[93:94], v[95:96], 1.0
	v_fma_f64 v[95:96], v[95:96], v[105:106], v[95:96]
	v_div_scale_f64 v[105:106], vcc, v[99:100], v[97:98], v[99:100]
	v_fma_f64 v[107:108], -v[93:94], v[95:96], 1.0
	v_fma_f64 v[95:96], v[95:96], v[107:108], v[95:96]
	v_mul_f64 v[107:108], v[105:106], v[95:96]
	v_fma_f64 v[93:94], -v[93:94], v[107:108], v[105:106]
	v_div_fmas_f64 v[93:94], v[93:94], v[95:96], v[107:108]
	v_div_fixup_f64 v[93:94], v[93:94], v[97:98], v[99:100]
	v_fma_f64 v[95:96], v[99:100], v[93:94], v[97:98]
	v_div_scale_f64 v[97:98], s[6:7], v[95:96], v[95:96], 1.0
	v_div_scale_f64 v[107:108], vcc, 1.0, v[95:96], 1.0
	v_rcp_f64_e32 v[99:100], v[97:98]
	v_fma_f64 v[105:106], -v[97:98], v[99:100], 1.0
	v_fma_f64 v[99:100], v[99:100], v[105:106], v[99:100]
	v_fma_f64 v[105:106], -v[97:98], v[99:100], 1.0
	v_fma_f64 v[99:100], v[99:100], v[105:106], v[99:100]
	v_mul_f64 v[105:106], v[107:108], v[99:100]
	v_fma_f64 v[97:98], -v[97:98], v[105:106], v[107:108]
	v_div_fmas_f64 v[97:98], v[97:98], v[99:100], v[105:106]
	v_div_fixup_f64 v[105:106], v[97:98], v[95:96], 1.0
	v_mul_f64 v[107:108], v[93:94], -v[105:106]
	v_mov_b32_e32 v93, v117
	v_mov_b32_e32 v94, v118
	;; [unrolled: 1-line block ×8, first 2 shown]
.LBB97_430:
	s_or_b64 exec, exec, s[2:3]
	ds_write2_b64 v127, v[105:106], v[107:108] offset1:1
.LBB97_431:
	s_or_b64 exec, exec, s[4:5]
	s_waitcnt lgkmcnt(0)
	s_barrier
	ds_read2_b64 v[97:100], v127 offset1:1
	v_cmp_lt_u32_e32 vcc, 47, v0
	s_and_saveexec_b64 s[2:3], vcc
	s_cbranch_execz .LBB97_433
; %bb.432:
	v_mov_b32_e32 v77, v117
	v_mov_b32_e32 v78, v118
	;; [unrolled: 1-line block ×8, first 2 shown]
	s_waitcnt lgkmcnt(0)
	v_mul_f64 v[93:94], v[97:98], v[3:4]
	v_mul_f64 v[3:4], v[99:100], v[3:4]
	ds_read2_b64 v[105:108], v125 offset0:96 offset1:97
	v_fma_f64 v[93:94], v[99:100], v[1:2], v[93:94]
	v_fma_f64 v[1:2], v[97:98], v[1:2], -v[3:4]
	s_waitcnt lgkmcnt(0)
	v_mul_f64 v[3:4], v[107:108], v[93:94]
	v_mul_f64 v[95:96], v[105:106], v[93:94]
	v_fma_f64 v[3:4], v[105:106], v[1:2], -v[3:4]
	v_fma_f64 v[95:96], v[107:108], v[1:2], v[95:96]
	v_add_f64 v[73:74], v[73:74], -v[3:4]
	v_add_f64 v[75:76], v[75:76], -v[95:96]
	v_mov_b32_e32 v3, v93
	v_mov_b32_e32 v4, v94
	;; [unrolled: 1-line block ×10, first 2 shown]
.LBB97_433:
	s_or_b64 exec, exec, s[2:3]
	s_waitcnt lgkmcnt(0)
	s_barrier
	v_cmp_eq_u32_e32 vcc, 48, v0
	s_mov_b64 s[4:5], exec
	s_and_b64 s[2:3], s[4:5], vcc
	buffer_store_dword v73, off, s[20:23], 0 offset:416 ; 4-byte Folded Spill
	s_nop 0
	buffer_store_dword v74, off, s[20:23], 0 offset:420 ; 4-byte Folded Spill
	buffer_store_dword v75, off, s[20:23], 0 offset:424 ; 4-byte Folded Spill
	buffer_store_dword v76, off, s[20:23], 0 offset:428 ; 4-byte Folded Spill
	s_mov_b64 exec, s[2:3]
	s_cbranch_execz .LBB97_440
; %bb.434:
	v_cmp_neq_f64_e32 vcc, 0, v[73:74]
	v_cmp_neq_f64_e64 s[2:3], 0, v[75:76]
	ds_write2_b64 v127, v[73:74], v[75:76] offset1:1
	s_or_b64 s[2:3], vcc, s[2:3]
	s_and_b64 exec, exec, s[2:3]
	s_cbranch_execz .LBB97_440
; %bb.435:
	v_cmp_ngt_f64_e64 s[2:3], |v[73:74]|, |v[75:76]|
                                        ; implicit-def: $vgpr105_vgpr106
	s_and_saveexec_b64 s[6:7], s[2:3]
	s_xor_b64 s[2:3], exec, s[6:7]
                                        ; implicit-def: $vgpr107_vgpr108
	s_cbranch_execz .LBB97_437
; %bb.436:
	v_mov_b32_e32 v77, v93
	v_mov_b32_e32 v78, v94
	;; [unrolled: 1-line block ×4, first 2 shown]
	v_div_scale_f64 v[93:94], s[6:7], v[75:76], v[75:76], v[73:74]
	v_mov_b32_e32 v101, v117
	v_mov_b32_e32 v102, v118
	;; [unrolled: 1-line block ×10, first 2 shown]
	v_rcp_f64_e32 v[95:96], v[93:94]
	v_fma_f64 v[105:106], -v[93:94], v[95:96], 1.0
	v_fma_f64 v[95:96], v[95:96], v[105:106], v[95:96]
	v_div_scale_f64 v[105:106], vcc, v[73:74], v[75:76], v[73:74]
	v_fma_f64 v[107:108], -v[93:94], v[95:96], 1.0
	v_fma_f64 v[95:96], v[95:96], v[107:108], v[95:96]
	v_mul_f64 v[107:108], v[105:106], v[95:96]
	v_fma_f64 v[93:94], -v[93:94], v[107:108], v[105:106]
	v_div_fmas_f64 v[93:94], v[93:94], v[95:96], v[107:108]
	v_div_fixup_f64 v[93:94], v[93:94], v[75:76], v[73:74]
	v_fma_f64 v[95:96], v[73:74], v[93:94], v[75:76]
	v_mov_b32_e32 v73, v121
	v_mov_b32_e32 v74, v122
	v_mov_b32_e32 v75, v123
	v_mov_b32_e32 v76, v124
	v_mov_b32_e32 v122, v112
	v_mov_b32_e32 v121, v111
	v_mov_b32_e32 v120, v110
	v_mov_b32_e32 v119, v109
	v_mov_b32_e32 v112, v4
	v_mov_b32_e32 v111, v3
	v_mov_b32_e32 v110, v2
	v_mov_b32_e32 v109, v1
	v_mov_b32_e32 v1, v5
	v_mov_b32_e32 v2, v6
	v_mov_b32_e32 v3, v7
	v_mov_b32_e32 v4, v8
	v_mov_b32_e32 v5, v9
	v_mov_b32_e32 v6, v10
	v_mov_b32_e32 v7, v11
	v_mov_b32_e32 v8, v12
	v_mov_b32_e32 v9, v13
	v_mov_b32_e32 v10, v14
	v_mov_b32_e32 v11, v15
	v_mov_b32_e32 v12, v16
	v_mov_b32_e32 v13, v17
	v_div_scale_f64 v[105:106], s[6:7], v[95:96], v[95:96], 1.0
	v_mov_b32_e32 v14, v18
	v_mov_b32_e32 v15, v19
	;; [unrolled: 1-line block ×60, first 2 shown]
	v_rcp_f64_e32 v[107:108], v[105:106]
	v_mov_b32_e32 v47, v43
	v_mov_b32_e32 v46, v42
	;; [unrolled: 1-line block ×59, first 2 shown]
	buffer_load_dword v73, off, s[20:23], 0 offset:416 ; 4-byte Folded Reload
	buffer_load_dword v74, off, s[20:23], 0 offset:420 ; 4-byte Folded Reload
	;; [unrolled: 1-line block ×4, first 2 shown]
	v_fma_f64 v[125:126], -v[105:106], v[107:108], 1.0
	v_div_scale_f64 v[89:90], vcc, 1.0, v[95:96], 1.0
	v_fma_f64 v[107:108], v[107:108], v[125:126], v[107:108]
	v_fma_f64 v[125:126], -v[105:106], v[107:108], 1.0
	v_fma_f64 v[91:92], v[107:108], v[125:126], v[107:108]
	v_mul_f64 v[107:108], v[89:90], v[91:92]
	v_fma_f64 v[89:90], -v[105:106], v[107:108], v[89:90]
	v_div_fmas_f64 v[89:90], v[89:90], v[91:92], v[107:108]
	v_mov_b32_e32 v91, v117
	v_mov_b32_e32 v92, v118
	;; [unrolled: 1-line block ×6, first 2 shown]
	v_div_fixup_f64 v[107:108], v[89:90], v[95:96], 1.0
	v_mul_f64 v[105:106], v[93:94], v[107:108]
	v_mov_b32_e32 v96, v80
	v_mov_b32_e32 v95, v79
	;; [unrolled: 1-line block ×4, first 2 shown]
	v_xor_b32_e32 v108, 0x80000000, v108
.LBB97_437:
	s_andn2_saveexec_b64 s[2:3], s[2:3]
	s_cbranch_execz .LBB97_439
; %bb.438:
	s_waitcnt vmcnt(0)
	v_div_scale_f64 v[89:90], s[6:7], v[73:74], v[73:74], v[75:76]
	v_mov_b32_e32 v126, v92
	v_mov_b32_e32 v125, v91
	;; [unrolled: 1-line block ×6, first 2 shown]
	v_rcp_f64_e32 v[91:92], v[89:90]
	v_fma_f64 v[93:94], -v[89:90], v[91:92], 1.0
	v_fma_f64 v[91:92], v[91:92], v[93:94], v[91:92]
	v_div_scale_f64 v[93:94], vcc, v[75:76], v[73:74], v[75:76]
	v_fma_f64 v[95:96], -v[89:90], v[91:92], 1.0
	v_fma_f64 v[91:92], v[91:92], v[95:96], v[91:92]
	v_mul_f64 v[95:96], v[93:94], v[91:92]
	v_fma_f64 v[89:90], -v[89:90], v[95:96], v[93:94]
	v_div_fmas_f64 v[89:90], v[89:90], v[91:92], v[95:96]
	v_div_fixup_f64 v[89:90], v[89:90], v[73:74], v[75:76]
	v_fma_f64 v[91:92], v[75:76], v[89:90], v[73:74]
	v_div_scale_f64 v[93:94], s[6:7], v[91:92], v[91:92], 1.0
	v_div_scale_f64 v[107:108], vcc, 1.0, v[91:92], 1.0
	v_rcp_f64_e32 v[95:96], v[93:94]
	v_fma_f64 v[105:106], -v[93:94], v[95:96], 1.0
	v_fma_f64 v[95:96], v[95:96], v[105:106], v[95:96]
	v_fma_f64 v[105:106], -v[93:94], v[95:96], 1.0
	v_fma_f64 v[95:96], v[95:96], v[105:106], v[95:96]
	v_mul_f64 v[105:106], v[107:108], v[95:96]
	v_fma_f64 v[93:94], -v[93:94], v[105:106], v[107:108]
	v_div_fmas_f64 v[93:94], v[93:94], v[95:96], v[105:106]
	v_div_fixup_f64 v[105:106], v[93:94], v[91:92], 1.0
	v_mov_b32_e32 v96, v80
	v_mov_b32_e32 v91, v125
	;; [unrolled: 1-line block ×6, first 2 shown]
	v_mul_f64 v[107:108], v[89:90], -v[105:106]
.LBB97_439:
	s_or_b64 exec, exec, s[2:3]
	ds_write2_b64 v127, v[105:106], v[107:108] offset1:1
.LBB97_440:
	s_or_b64 exec, exec, s[4:5]
	s_waitcnt vmcnt(0) lgkmcnt(0)
	s_barrier
	ds_read2_b64 v[105:108], v127 offset1:1
	s_waitcnt lgkmcnt(0)
	s_barrier
	s_and_saveexec_b64 s[2:3], s[0:1]
	s_cbranch_execz .LBB97_443
; %bb.441:
	buffer_load_dword v73, off, s[20:23], 0 offset:800 ; 4-byte Folded Reload
	buffer_load_dword v74, off, s[20:23], 0 offset:804 ; 4-byte Folded Reload
	;; [unrolled: 1-line block ×4, first 2 shown]
	s_waitcnt vmcnt(2)
	v_cmp_eq_f64_e32 vcc, 0, v[73:74]
	s_waitcnt vmcnt(0)
	v_cmp_eq_f64_e64 s[0:1], 0, v[75:76]
	buffer_load_dword v73, off, s[20:23], 0 offset:816 ; 4-byte Folded Reload
	buffer_load_dword v74, off, s[20:23], 0 offset:820 ; 4-byte Folded Reload
	;; [unrolled: 1-line block ×4, first 2 shown]
	s_and_b64 s[4:5], vcc, s[0:1]
	v_cndmask_b32_e64 v89, 0, 1, s[4:5]
	s_waitcnt vmcnt(2)
	v_cmp_neq_f64_e32 vcc, 0, v[73:74]
	s_waitcnt vmcnt(0)
	v_cmp_neq_f64_e64 s[0:1], 0, v[75:76]
	buffer_load_dword v73, off, s[20:23], 0 offset:832 ; 4-byte Folded Reload
	buffer_load_dword v74, off, s[20:23], 0 offset:836 ; 4-byte Folded Reload
	;; [unrolled: 1-line block ×4, first 2 shown]
	s_or_b64 s[0:1], vcc, s[0:1]
	s_or_b64 vcc, s[0:1], s[4:5]
	v_cndmask_b32_e32 v89, 2, v89, vcc
	s_waitcnt vmcnt(2)
	v_cmp_eq_f64_e32 vcc, 0, v[73:74]
	s_waitcnt vmcnt(0)
	v_cmp_eq_f64_e64 s[0:1], 0, v[75:76]
	buffer_load_dword v73, off, s[20:23], 0 offset:848 ; 4-byte Folded Reload
	buffer_load_dword v74, off, s[20:23], 0 offset:852 ; 4-byte Folded Reload
	buffer_load_dword v75, off, s[20:23], 0 offset:856 ; 4-byte Folded Reload
	buffer_load_dword v76, off, s[20:23], 0 offset:860 ; 4-byte Folded Reload
	s_and_b64 s[0:1], vcc, s[0:1]
	v_cmp_eq_u32_e32 vcc, 0, v89
	s_and_b64 s[0:1], s[0:1], vcc
	v_cndmask_b32_e64 v89, v89, 3, s[0:1]
	s_waitcnt vmcnt(2)
	v_cmp_eq_f64_e32 vcc, 0, v[73:74]
	s_waitcnt vmcnt(0)
	v_cmp_eq_f64_e64 s[0:1], 0, v[75:76]
	buffer_load_dword v73, off, s[20:23], 0 offset:864 ; 4-byte Folded Reload
	buffer_load_dword v74, off, s[20:23], 0 offset:868 ; 4-byte Folded Reload
	buffer_load_dword v75, off, s[20:23], 0 offset:872 ; 4-byte Folded Reload
	buffer_load_dword v76, off, s[20:23], 0 offset:876 ; 4-byte Folded Reload
	s_and_b64 s[0:1], vcc, s[0:1]
	v_cmp_eq_u32_e32 vcc, 0, v89
	s_and_b64 s[0:1], s[0:1], vcc
	v_cndmask_b32_e64 v89, v89, 4, s[0:1]
	;; [unrolled: 12-line block ×43, first 2 shown]
	s_waitcnt vmcnt(2)
	v_cmp_eq_f64_e32 vcc, 0, v[73:74]
	s_waitcnt vmcnt(0)
	v_cmp_eq_f64_e64 s[0:1], 0, v[75:76]
	s_and_b64 s[0:1], vcc, s[0:1]
	v_cmp_eq_u32_e32 vcc, 0, v89
	s_and_b64 s[0:1], s[0:1], vcc
	v_cndmask_b32_e64 v89, v89, 46, s[0:1]
	v_cmp_eq_f64_e32 vcc, 0, v[69:70]
	v_cmp_eq_f64_e64 s[0:1], 0, v[71:72]
	s_and_b64 s[0:1], vcc, s[0:1]
	v_cmp_eq_u32_e32 vcc, 0, v89
	s_and_b64 s[0:1], s[0:1], vcc
	v_cndmask_b32_e64 v89, v89, 47, s[0:1]
	v_cmp_eq_f64_e32 vcc, 0, v[97:98]
	;; [unrolled: 6-line block ×3, first 2 shown]
	v_cmp_eq_f64_e64 s[0:1], 0, v[107:108]
	s_and_b64 s[0:1], vcc, s[0:1]
	v_cmp_eq_u32_e32 vcc, 0, v89
	s_and_b64 s[0:1], s[0:1], vcc
	v_cndmask_b32_e64 v99, v89, 49, s[0:1]
	v_lshlrev_b64 v[89:90], 2, v[87:88]
	v_cmp_ne_u32_e64 s[0:1], 0, v99
	v_add_co_u32_e32 v97, vcc, s10, v89
	v_mov_b32_e32 v89, s11
	v_addc_co_u32_e32 v98, vcc, v89, v90, vcc
	global_load_dword v89, v[97:98], off
	s_waitcnt vmcnt(0)
	v_cmp_eq_u32_e32 vcc, 0, v89
	s_and_b64 s[0:1], vcc, s[0:1]
	s_and_b64 exec, exec, s[0:1]
	s_cbranch_execz .LBB97_443
; %bb.442:
	v_add_u32_e32 v89, s13, v99
	global_store_dword v[97:98], v89, off
.LBB97_443:
	s_or_b64 exec, exec, s[2:3]
	buffer_load_dword v69, off, s[20:23], 0 offset:784 ; 4-byte Folded Reload
	buffer_load_dword v70, off, s[20:23], 0 offset:788 ; 4-byte Folded Reload
	;; [unrolled: 1-line block ×6, first 2 shown]
	v_cmp_lt_u32_e32 vcc, 48, v0
	s_waitcnt vmcnt(0)
	global_store_dwordx4 v[69:70], v[71:74], off
	buffer_load_dword v69, off, s[20:23], 0 offset:792 ; 4-byte Folded Reload
	s_nop 0
	buffer_load_dword v70, off, s[20:23], 0 offset:796 ; 4-byte Folded Reload
	buffer_load_dword v71, off, s[20:23], 0 offset:384 ; 4-byte Folded Reload
	;; [unrolled: 1-line block ×5, first 2 shown]
	s_waitcnt vmcnt(0)
	global_store_dwordx4 v[69:70], v[71:74], off
	buffer_load_dword v69, off, s[20:23], 0 offset:368 ; 4-byte Folded Reload
	s_nop 0
	buffer_load_dword v70, off, s[20:23], 0 offset:372 ; 4-byte Folded Reload
	buffer_load_dword v71, off, s[20:23], 0 offset:376 ; 4-byte Folded Reload
	;; [unrolled: 1-line block ×3, first 2 shown]
	s_waitcnt vmcnt(0)
	global_store_dwordx4 v[91:92], v[69:72], off
	buffer_load_dword v77, off, s[20:23], 0 offset:776 ; 4-byte Folded Reload
	buffer_load_dword v78, off, s[20:23], 0 offset:780 ; 4-byte Folded Reload
	s_nop 0
	buffer_load_dword v69, off, s[20:23], 0 offset:352 ; 4-byte Folded Reload
	buffer_load_dword v70, off, s[20:23], 0 offset:356 ; 4-byte Folded Reload
	;; [unrolled: 1-line block ×4, first 2 shown]
	s_waitcnt vmcnt(0)
	global_store_dwordx4 v[77:78], v[69:72], off
	buffer_load_dword v77, off, s[20:23], 0 offset:768 ; 4-byte Folded Reload
	s_nop 0
	buffer_load_dword v78, off, s[20:23], 0 offset:772 ; 4-byte Folded Reload
	buffer_load_dword v69, off, s[20:23], 0 offset:336 ; 4-byte Folded Reload
	;; [unrolled: 1-line block ×5, first 2 shown]
	s_waitcnt vmcnt(0)
	global_store_dwordx4 v[77:78], v[69:72], off
	buffer_load_dword v87, off, s[20:23], 0 offset:432 ; 4-byte Folded Reload
	buffer_load_dword v88, off, s[20:23], 0 offset:436 ; 4-byte Folded Reload
	s_nop 0
	buffer_load_dword v69, off, s[20:23], 0 offset:320 ; 4-byte Folded Reload
	buffer_load_dword v70, off, s[20:23], 0 offset:324 ; 4-byte Folded Reload
	;; [unrolled: 1-line block ×4, first 2 shown]
	s_waitcnt vmcnt(0)
	global_store_dwordx4 v[87:88], v[69:72], off
	buffer_load_dword v69, off, s[20:23], 0 offset:304 ; 4-byte Folded Reload
	s_nop 0
	buffer_load_dword v70, off, s[20:23], 0 offset:308 ; 4-byte Folded Reload
	buffer_load_dword v71, off, s[20:23], 0 offset:312 ; 4-byte Folded Reload
	;; [unrolled: 1-line block ×3, first 2 shown]
	s_waitcnt vmcnt(0)
	global_store_dwordx4 v[85:86], v[69:72], off
	buffer_load_dword v85, off, s[20:23], 0 offset:440 ; 4-byte Folded Reload
	s_nop 0
	buffer_load_dword v86, off, s[20:23], 0 offset:444 ; 4-byte Folded Reload
	buffer_load_dword v69, off, s[20:23], 0 offset:288 ; 4-byte Folded Reload
	;; [unrolled: 1-line block ×5, first 2 shown]
	s_waitcnt vmcnt(0)
	global_store_dwordx4 v[85:86], v[69:72], off
	buffer_load_dword v69, off, s[20:23], 0 offset:416 ; 4-byte Folded Reload
	s_nop 0
	buffer_load_dword v70, off, s[20:23], 0 offset:420 ; 4-byte Folded Reload
	buffer_load_dword v71, off, s[20:23], 0 offset:424 ; 4-byte Folded Reload
	;; [unrolled: 1-line block ×3, first 2 shown]
	s_waitcnt vmcnt(0)
	v_mul_f64 v[89:90], v[105:106], v[71:72]
	v_mul_f64 v[91:92], v[107:108], v[71:72]
	v_fma_f64 v[89:90], v[107:108], v[69:70], v[89:90]
	v_fma_f64 v[91:92], v[105:106], v[69:70], -v[91:92]
	v_cndmask_b32_e32 v100, v72, v90, vcc
	v_cndmask_b32_e32 v99, v71, v89, vcc
	;; [unrolled: 1-line block ×4, first 2 shown]
	buffer_load_dword v85, off, s[20:23], 0 offset:448 ; 4-byte Folded Reload
	buffer_load_dword v86, off, s[20:23], 0 offset:452 ; 4-byte Folded Reload
	;; [unrolled: 1-line block ×6, first 2 shown]
	s_waitcnt vmcnt(0)
	global_store_dwordx4 v[85:86], v[69:72], off
	buffer_load_dword v85, off, s[20:23], 0 offset:456 ; 4-byte Folded Reload
	s_nop 0
	buffer_load_dword v86, off, s[20:23], 0 offset:460 ; 4-byte Folded Reload
	buffer_load_dword v69, off, s[20:23], 0 offset:256 ; 4-byte Folded Reload
	buffer_load_dword v70, off, s[20:23], 0 offset:260 ; 4-byte Folded Reload
	buffer_load_dword v71, off, s[20:23], 0 offset:264 ; 4-byte Folded Reload
	buffer_load_dword v72, off, s[20:23], 0 offset:268 ; 4-byte Folded Reload
	s_waitcnt vmcnt(0)
	global_store_dwordx4 v[85:86], v[69:72], off
	buffer_load_dword v85, off, s[20:23], 0 offset:464 ; 4-byte Folded Reload
	s_nop 0
	buffer_load_dword v86, off, s[20:23], 0 offset:468 ; 4-byte Folded Reload
	buffer_load_dword v69, off, s[20:23], 0 offset:240 ; 4-byte Folded Reload
	buffer_load_dword v70, off, s[20:23], 0 offset:244 ; 4-byte Folded Reload
	buffer_load_dword v71, off, s[20:23], 0 offset:248 ; 4-byte Folded Reload
	buffer_load_dword v72, off, s[20:23], 0 offset:252 ; 4-byte Folded Reload
	;; [unrolled: 9-line block ×14, first 2 shown]
	s_waitcnt vmcnt(0)
	global_store_dwordx4 v[85:86], v[69:72], off
	buffer_load_dword v83, off, s[20:23], 0 offset:568 ; 4-byte Folded Reload
	buffer_load_dword v84, off, s[20:23], 0 offset:572 ; 4-byte Folded Reload
	s_waitcnt vmcnt(0)
	global_store_dwordx4 v[83:84], v[121:124], off
	global_store_dwordx4 v[81:82], v[117:120], off
	buffer_load_dword v81, off, s[20:23], 0 offset:576 ; 4-byte Folded Reload
	s_nop 0
	buffer_load_dword v82, off, s[20:23], 0 offset:580 ; 4-byte Folded Reload
	s_waitcnt vmcnt(0)
	global_store_dwordx4 v[81:82], v[109:112], off
	buffer_load_dword v81, off, s[20:23], 0 offset:584 ; 4-byte Folded Reload
	s_nop 0
	buffer_load_dword v82, off, s[20:23], 0 offset:588 ; 4-byte Folded Reload
	s_waitcnt vmcnt(0)
	;; [unrolled: 5-line block ×3, first 2 shown]
	global_store_dwordx4 v[81:82], v[93:96], off
	buffer_load_dword v81, off, s[20:23], 0 offset:600 ; 4-byte Folded Reload
	s_nop 0
	buffer_load_dword v82, off, s[20:23], 0 offset:604 ; 4-byte Folded Reload
	buffer_load_dword v77, off, s[20:23], 0 offset:32 ; 4-byte Folded Reload
	;; [unrolled: 1-line block ×5, first 2 shown]
	s_waitcnt vmcnt(0)
	global_store_dwordx4 v[81:82], v[77:80], off
	buffer_load_dword v77, off, s[20:23], 0 offset:608 ; 4-byte Folded Reload
	s_nop 0
	buffer_load_dword v78, off, s[20:23], 0 offset:612 ; 4-byte Folded Reload
	buffer_load_dword v73, off, s[20:23], 0 offset:16 ; 4-byte Folded Reload
	;; [unrolled: 1-line block ×5, first 2 shown]
	s_waitcnt vmcnt(0)
	global_store_dwordx4 v[77:78], v[73:76], off
	buffer_load_dword v73, off, s[20:23], 0 offset:616 ; 4-byte Folded Reload
	s_nop 0
	buffer_load_dword v74, off, s[20:23], 0 offset:620 ; 4-byte Folded Reload
	buffer_load_dword v69, off, s[20:23], 0 ; 4-byte Folded Reload
	buffer_load_dword v70, off, s[20:23], 0 offset:4 ; 4-byte Folded Reload
	buffer_load_dword v71, off, s[20:23], 0 offset:8 ; 4-byte Folded Reload
	;; [unrolled: 1-line block ×3, first 2 shown]
	s_waitcnt vmcnt(0)
	global_store_dwordx4 v[73:74], v[69:72], off
	buffer_load_dword v69, off, s[20:23], 0 offset:624 ; 4-byte Folded Reload
	s_nop 0
	buffer_load_dword v70, off, s[20:23], 0 offset:628 ; 4-byte Folded Reload
	s_waitcnt vmcnt(0)
	global_store_dwordx4 v[69:70], v[65:68], off
	buffer_load_dword v65, off, s[20:23], 0 offset:632 ; 4-byte Folded Reload
	s_nop 0
	buffer_load_dword v66, off, s[20:23], 0 offset:636 ; 4-byte Folded Reload
	;; [unrolled: 5-line block ×18, first 2 shown]
	s_waitcnt vmcnt(0)
	global_store_dwordx4 v[0:1], v[97:100], off
.LBB97_444:
	s_endpgm
	.section	.rodata,"a",@progbits
	.p2align	6, 0x0
	.amdhsa_kernel _ZN9rocsolver6v33100L23getf2_npvt_small_kernelILi49E19rocblas_complex_numIdEiiPS3_EEvT1_T3_lS5_lPT2_S5_S5_
		.amdhsa_group_segment_fixed_size 0
		.amdhsa_private_segment_fixed_size 1540
		.amdhsa_kernarg_size 312
		.amdhsa_user_sgpr_count 6
		.amdhsa_user_sgpr_private_segment_buffer 1
		.amdhsa_user_sgpr_dispatch_ptr 0
		.amdhsa_user_sgpr_queue_ptr 0
		.amdhsa_user_sgpr_kernarg_segment_ptr 1
		.amdhsa_user_sgpr_dispatch_id 0
		.amdhsa_user_sgpr_flat_scratch_init 0
		.amdhsa_user_sgpr_private_segment_size 0
		.amdhsa_uses_dynamic_stack 0
		.amdhsa_system_sgpr_private_segment_wavefront_offset 1
		.amdhsa_system_sgpr_workgroup_id_x 1
		.amdhsa_system_sgpr_workgroup_id_y 1
		.amdhsa_system_sgpr_workgroup_id_z 0
		.amdhsa_system_sgpr_workgroup_info 0
		.amdhsa_system_vgpr_workitem_id 1
		.amdhsa_next_free_vgpr 128
		.amdhsa_next_free_sgpr 24
		.amdhsa_reserve_vcc 1
		.amdhsa_reserve_flat_scratch 0
		.amdhsa_float_round_mode_32 0
		.amdhsa_float_round_mode_16_64 0
		.amdhsa_float_denorm_mode_32 3
		.amdhsa_float_denorm_mode_16_64 3
		.amdhsa_dx10_clamp 1
		.amdhsa_ieee_mode 1
		.amdhsa_fp16_overflow 0
		.amdhsa_exception_fp_ieee_invalid_op 0
		.amdhsa_exception_fp_denorm_src 0
		.amdhsa_exception_fp_ieee_div_zero 0
		.amdhsa_exception_fp_ieee_overflow 0
		.amdhsa_exception_fp_ieee_underflow 0
		.amdhsa_exception_fp_ieee_inexact 0
		.amdhsa_exception_int_div_zero 0
	.end_amdhsa_kernel
	.section	.text._ZN9rocsolver6v33100L23getf2_npvt_small_kernelILi49E19rocblas_complex_numIdEiiPS3_EEvT1_T3_lS5_lPT2_S5_S5_,"axG",@progbits,_ZN9rocsolver6v33100L23getf2_npvt_small_kernelILi49E19rocblas_complex_numIdEiiPS3_EEvT1_T3_lS5_lPT2_S5_S5_,comdat
.Lfunc_end97:
	.size	_ZN9rocsolver6v33100L23getf2_npvt_small_kernelILi49E19rocblas_complex_numIdEiiPS3_EEvT1_T3_lS5_lPT2_S5_S5_, .Lfunc_end97-_ZN9rocsolver6v33100L23getf2_npvt_small_kernelILi49E19rocblas_complex_numIdEiiPS3_EEvT1_T3_lS5_lPT2_S5_S5_
                                        ; -- End function
	.set _ZN9rocsolver6v33100L23getf2_npvt_small_kernelILi49E19rocblas_complex_numIdEiiPS3_EEvT1_T3_lS5_lPT2_S5_S5_.num_vgpr, 128
	.set _ZN9rocsolver6v33100L23getf2_npvt_small_kernelILi49E19rocblas_complex_numIdEiiPS3_EEvT1_T3_lS5_lPT2_S5_S5_.num_agpr, 0
	.set _ZN9rocsolver6v33100L23getf2_npvt_small_kernelILi49E19rocblas_complex_numIdEiiPS3_EEvT1_T3_lS5_lPT2_S5_S5_.numbered_sgpr, 24
	.set _ZN9rocsolver6v33100L23getf2_npvt_small_kernelILi49E19rocblas_complex_numIdEiiPS3_EEvT1_T3_lS5_lPT2_S5_S5_.num_named_barrier, 0
	.set _ZN9rocsolver6v33100L23getf2_npvt_small_kernelILi49E19rocblas_complex_numIdEiiPS3_EEvT1_T3_lS5_lPT2_S5_S5_.private_seg_size, 1540
	.set _ZN9rocsolver6v33100L23getf2_npvt_small_kernelILi49E19rocblas_complex_numIdEiiPS3_EEvT1_T3_lS5_lPT2_S5_S5_.uses_vcc, 1
	.set _ZN9rocsolver6v33100L23getf2_npvt_small_kernelILi49E19rocblas_complex_numIdEiiPS3_EEvT1_T3_lS5_lPT2_S5_S5_.uses_flat_scratch, 0
	.set _ZN9rocsolver6v33100L23getf2_npvt_small_kernelILi49E19rocblas_complex_numIdEiiPS3_EEvT1_T3_lS5_lPT2_S5_S5_.has_dyn_sized_stack, 0
	.set _ZN9rocsolver6v33100L23getf2_npvt_small_kernelILi49E19rocblas_complex_numIdEiiPS3_EEvT1_T3_lS5_lPT2_S5_S5_.has_recursion, 0
	.set _ZN9rocsolver6v33100L23getf2_npvt_small_kernelILi49E19rocblas_complex_numIdEiiPS3_EEvT1_T3_lS5_lPT2_S5_S5_.has_indirect_call, 0
	.section	.AMDGPU.csdata,"",@progbits
; Kernel info:
; codeLenInByte = 164564
; TotalNumSgprs: 28
; NumVgprs: 128
; ScratchSize: 1540
; MemoryBound: 1
; FloatMode: 240
; IeeeMode: 1
; LDSByteSize: 0 bytes/workgroup (compile time only)
; SGPRBlocks: 3
; VGPRBlocks: 31
; NumSGPRsForWavesPerEU: 28
; NumVGPRsForWavesPerEU: 128
; Occupancy: 2
; WaveLimiterHint : 0
; COMPUTE_PGM_RSRC2:SCRATCH_EN: 1
; COMPUTE_PGM_RSRC2:USER_SGPR: 6
; COMPUTE_PGM_RSRC2:TRAP_HANDLER: 0
; COMPUTE_PGM_RSRC2:TGID_X_EN: 1
; COMPUTE_PGM_RSRC2:TGID_Y_EN: 1
; COMPUTE_PGM_RSRC2:TGID_Z_EN: 0
; COMPUTE_PGM_RSRC2:TIDIG_COMP_CNT: 1
	.section	.text._ZN9rocsolver6v33100L18getf2_small_kernelILi50E19rocblas_complex_numIdEiiPS3_EEvT1_T3_lS5_lPS5_llPT2_S5_S5_S7_l,"axG",@progbits,_ZN9rocsolver6v33100L18getf2_small_kernelILi50E19rocblas_complex_numIdEiiPS3_EEvT1_T3_lS5_lPS5_llPT2_S5_S5_S7_l,comdat
	.globl	_ZN9rocsolver6v33100L18getf2_small_kernelILi50E19rocblas_complex_numIdEiiPS3_EEvT1_T3_lS5_lPS5_llPT2_S5_S5_S7_l ; -- Begin function _ZN9rocsolver6v33100L18getf2_small_kernelILi50E19rocblas_complex_numIdEiiPS3_EEvT1_T3_lS5_lPS5_llPT2_S5_S5_S7_l
	.p2align	8
	.type	_ZN9rocsolver6v33100L18getf2_small_kernelILi50E19rocblas_complex_numIdEiiPS3_EEvT1_T3_lS5_lPS5_llPT2_S5_S5_S7_l,@function
_ZN9rocsolver6v33100L18getf2_small_kernelILi50E19rocblas_complex_numIdEiiPS3_EEvT1_T3_lS5_lPS5_llPT2_S5_S5_S7_l: ; @_ZN9rocsolver6v33100L18getf2_small_kernelILi50E19rocblas_complex_numIdEiiPS3_EEvT1_T3_lS5_lPS5_llPT2_S5_S5_S7_l
; %bb.0:
	s_mov_b64 s[26:27], s[2:3]
	s_mov_b64 s[24:25], s[0:1]
	s_load_dword s0, s[4:5], 0x6c
	s_load_dwordx2 s[16:17], s[4:5], 0x48
	s_add_u32 s24, s24, s8
	s_addc_u32 s25, s25, 0
	s_waitcnt lgkmcnt(0)
	s_lshr_b32 s0, s0, 16
	s_mul_i32 s7, s7, s0
	v_add_u32_e32 v6, s7, v1
	v_cmp_gt_i32_e32 vcc, s16, v6
	s_and_saveexec_b64 s[0:1], vcc
	s_cbranch_execnz .LBB98_1
; %bb.1052:
	s_getpc_b64 s[28:29]
.Lpost_getpc12:
	s_add_u32 s28, s28, (.LBB98_1051-.Lpost_getpc12)&4294967295
	s_addc_u32 s29, s29, (.LBB98_1051-.Lpost_getpc12)>>32
	s_setpc_b64 s[28:29]
.LBB98_1:
	s_load_dwordx4 s[0:3], s[4:5], 0x50
	v_mov_b32_e32 v2, 0
	v_ashrrev_i32_e32 v7, 31, v6
	v_mov_b32_e32 v3, 0
	buffer_store_dword v2, off, s[24:27], 0 offset:368 ; 4-byte Folded Spill
	s_nop 0
	buffer_store_dword v3, off, s[24:27], 0 offset:372 ; 4-byte Folded Spill
	s_waitcnt lgkmcnt(0)
	s_cmp_eq_u64 s[0:1], 0
	s_cselect_b64 s[6:7], -1, 0
	s_and_b64 vcc, exec, s[6:7]
	s_cbranch_vccnz .LBB98_3
; %bb.2:
	v_mul_lo_u32 v4, s3, v6
	v_mul_lo_u32 v5, s2, v7
	v_mad_u64_u32 v[2:3], s[2:3], s2, v6, 0
	v_add3_u32 v3, v3, v5, v4
	v_lshlrev_b64 v[2:3], 2, v[2:3]
	v_mov_b32_e32 v4, s1
	v_add_co_u32_e32 v2, vcc, s0, v2
	v_addc_co_u32_e32 v3, vcc, v4, v3, vcc
	buffer_store_dword v2, off, s[24:27], 0 offset:368 ; 4-byte Folded Spill
	s_nop 0
	buffer_store_dword v3, off, s[24:27], 0 offset:372 ; 4-byte Folded Spill
.LBB98_3:
	s_load_dwordx8 s[8:15], s[4:5], 0x20
	s_load_dwordx4 s[20:23], s[4:5], 0x8
	s_load_dword s2, s[4:5], 0x18
	v_lshlrev_b32_e32 v68, 4, v0
	s_waitcnt lgkmcnt(0)
	v_mul_lo_u32 v4, s9, v6
	v_mul_lo_u32 v5, s8, v7
	buffer_store_dword v6, off, s[24:27], 0 offset:424 ; 4-byte Folded Spill
	s_nop 0
	buffer_store_dword v7, off, s[24:27], 0 offset:428 ; 4-byte Folded Spill
	s_add_i32 s16, s2, s2
	s_ashr_i32 s3, s2, 31
	v_mad_u64_u32 v[2:3], s[0:1], s8, v6, 0
	v_mov_b32_e32 v6, s21
	s_lshl_b64 s[0:1], s[22:23], 4
	v_add3_u32 v3, v3, v5, v4
	v_lshlrev_b64 v[2:3], 4, v[2:3]
	v_mov_b32_e32 v4, s1
	v_add_co_u32_e32 v2, vcc, s20, v2
	v_addc_co_u32_e32 v3, vcc, v6, v3, vcc
	v_add_co_u32_e32 v127, vcc, s0, v2
	v_addc_co_u32_e32 v89, vcc, v3, v4, vcc
	v_add_u32_e32 v4, s16, v0
	v_ashrrev_i32_e32 v5, 31, v4
	v_lshlrev_b64 v[2:3], 4, v[4:5]
	v_add_u32_e32 v6, s2, v4
	v_ashrrev_i32_e32 v7, 31, v6
	v_add_co_u32_e32 v69, vcc, v127, v2
	v_lshlrev_b64 v[4:5], 4, v[6:7]
	v_add_u32_e32 v8, s2, v6
	v_addc_co_u32_e32 v70, vcc, v89, v3, vcc
	v_ashrrev_i32_e32 v9, 31, v8
	v_add_co_u32_e32 v71, vcc, v127, v4
	v_lshlrev_b64 v[6:7], 4, v[8:9]
	v_add_u32_e32 v10, s2, v8
	v_addc_co_u32_e32 v72, vcc, v89, v5, vcc
	;; [unrolled: 5-line block ×30, first 2 shown]
	v_ashrrev_i32_e32 v65, 31, v64
	v_add_co_u32_e32 v62, vcc, v127, v62
	v_lshlrev_b64 v[65:66], 4, v[64:65]
	v_addc_co_u32_e32 v63, vcc, v89, v63, vcc
	v_add_u32_e32 v64, s2, v64
	v_add_co_u32_e32 v117, vcc, v127, v65
	v_ashrrev_i32_e32 v65, 31, v64
	v_addc_co_u32_e32 v118, vcc, v89, v66, vcc
	v_lshlrev_b64 v[65:66], 4, v[64:65]
	v_add_u32_e32 v64, s2, v64
	v_add_co_u32_e32 v119, vcc, v127, v65
	v_ashrrev_i32_e32 v65, 31, v64
	v_addc_co_u32_e32 v120, vcc, v89, v66, vcc
	v_lshlrev_b64 v[65:66], 4, v[64:65]
	;; [unrolled: 5-line block ×15, first 2 shown]
	v_add_u32_e32 v64, s2, v64
	v_add_co_u32_e32 v93, vcc, v127, v65
	v_ashrrev_i32_e32 v65, 31, v64
	v_lshlrev_b64 v[64:65], 4, v[64:65]
	v_addc_co_u32_e32 v94, vcc, v89, v66, vcc
	v_add_co_u32_e32 v95, vcc, v127, v64
	v_addc_co_u32_e32 v96, vcc, v89, v65, vcc
	v_add_co_u32_e32 v66, vcc, v127, v68
	v_addc_co_u32_e32 v67, vcc, 0, v89, vcc
	s_lshl_b64 s[8:9], s[2:3], 4
	v_mov_b32_e32 v65, s9
	v_add_co_u32_e32 v64, vcc, s8, v66
	v_addc_co_u32_e32 v65, vcc, v67, v65, vcc
	global_load_dwordx4 v[73:76], v[66:67], off
	s_nop 0
	global_load_dwordx4 v[64:67], v[64:65], off
	s_waitcnt vmcnt(0)
	buffer_store_dword v64, off, s[24:27], 0 offset:392 ; 4-byte Folded Spill
	s_nop 0
	buffer_store_dword v65, off, s[24:27], 0 offset:396 ; 4-byte Folded Spill
	buffer_store_dword v66, off, s[24:27], 0 offset:400 ; 4-byte Folded Spill
	buffer_store_dword v67, off, s[24:27], 0 offset:404 ; 4-byte Folded Spill
	buffer_store_dword v73, off, s[24:27], 0 offset:408 ; 4-byte Folded Spill
	s_nop 0
	buffer_store_dword v74, off, s[24:27], 0 offset:412 ; 4-byte Folded Spill
	buffer_store_dword v75, off, s[24:27], 0 offset:416 ; 4-byte Folded Spill
	;; [unrolled: 1-line block ×3, first 2 shown]
	global_load_dwordx4 v[64:67], v[69:70], off
	s_load_dword s3, s[4:5], 0x0
	s_waitcnt lgkmcnt(0)
	s_max_i32 s0, s3, 50
	v_mul_lo_u32 v91, s0, v1
	s_load_dwordx2 s[4:5], s[4:5], 0x40
	s_cmp_lt_i32 s3, 2
	v_lshl_add_u32 v90, v91, 4, 0
	v_add_u32_e32 v1, v90, v68
	ds_write2_b64 v1, v[73:74], v[75:76] offset1:1
	s_waitcnt vmcnt(0)
	buffer_store_dword v64, off, s[24:27], 0 offset:376 ; 4-byte Folded Spill
	s_nop 0
	buffer_store_dword v65, off, s[24:27], 0 offset:380 ; 4-byte Folded Spill
	buffer_store_dword v66, off, s[24:27], 0 offset:384 ; 4-byte Folded Spill
	buffer_store_dword v67, off, s[24:27], 0 offset:388 ; 4-byte Folded Spill
	global_load_dwordx4 v[64:67], v[71:72], off
	s_waitcnt vmcnt(0)
	buffer_store_dword v64, off, s[24:27], 0 offset:352 ; 4-byte Folded Spill
	s_nop 0
	buffer_store_dword v65, off, s[24:27], 0 offset:356 ; 4-byte Folded Spill
	buffer_store_dword v66, off, s[24:27], 0 offset:360 ; 4-byte Folded Spill
	buffer_store_dword v67, off, s[24:27], 0 offset:364 ; 4-byte Folded Spill
	global_load_dwordx4 v[64:67], v[6:7], off
	;; [unrolled: 7-line block ×23, first 2 shown]
	s_waitcnt vmcnt(0)
	buffer_store_dword v6, off, s[24:27], 0 ; 4-byte Folded Spill
	s_nop 0
	buffer_store_dword v7, off, s[24:27], 0 offset:4 ; 4-byte Folded Spill
	buffer_store_dword v8, off, s[24:27], 0 offset:8 ; 4-byte Folded Spill
	buffer_store_dword v9, off, s[24:27], 0 offset:12 ; 4-byte Folded Spill
	global_load_dwordx4 v[107:110], v[50:51], off
	global_load_dwordx4 v[113:116], v[52:53], off
	;; [unrolled: 1-line block ×7, first 2 shown]
	s_nop 0
	global_load_dwordx4 v[61:64], v[117:118], off
	global_load_dwordx4 v[57:60], v[119:120], off
	global_load_dwordx4 v[53:56], v[121:122], off
	global_load_dwordx4 v[49:52], v[123:124], off
	global_load_dwordx4 v[45:48], v[125:126], off
	global_load_dwordx4 v[41:44], v[83:84], off
	global_load_dwordx4 v[37:40], v[81:82], off
	global_load_dwordx4 v[33:36], v[2:3], off
	global_load_dwordx4 v[29:32], v[111:112], off
	global_load_dwordx4 v[25:28], v[105:106], off
	global_load_dwordx4 v[21:24], v[4:5], off
	global_load_dwordx4 v[17:20], v[101:102], off
	global_load_dwordx4 v[13:16], v[103:104], off
	global_load_dwordx4 v[9:12], v[97:98], off
	s_nop 0
	global_load_dwordx4 v[5:8], v[99:100], off
	global_load_dwordx4 v[1:4], v[93:94], off
	;; [unrolled: 1-line block ×3, first 2 shown]
	s_waitcnt vmcnt(0) lgkmcnt(0)
	s_barrier
	ds_read2_b64 v[117:120], v90 offset1:1
	v_lshlrev_b32_e32 v97, 4, v91
	v_mov_b32_e32 v93, 0
	s_cbranch_scc1 .LBB98_6
; %bb.4:
	v_add3_u32 v91, v97, 0, 16
	s_mov_b32 s0, 1
	v_mov_b32_e32 v93, 0
.LBB98_5:                               ; =>This Inner Loop Header: Depth=1
	s_waitcnt lgkmcnt(0)
	v_cmp_gt_f64_e32 vcc, 0, v[117:118]
	v_xor_b32_e32 v92, 0x80000000, v118
	ds_read2_b64 v[98:101], v91 offset1:1
	v_mov_b32_e32 v94, v117
	v_mov_b32_e32 v102, v119
	v_add_u32_e32 v91, 16, v91
	s_waitcnt lgkmcnt(0)
	v_mov_b32_e32 v104, v100
	v_cndmask_b32_e32 v95, v118, v92, vcc
	v_cmp_gt_f64_e32 vcc, 0, v[119:120]
	v_xor_b32_e32 v92, 0x80000000, v120
	v_cndmask_b32_e32 v103, v120, v92, vcc
	v_cmp_gt_f64_e32 vcc, 0, v[98:99]
	v_xor_b32_e32 v92, 0x80000000, v99
	v_add_f64 v[94:95], v[94:95], v[102:103]
	v_mov_b32_e32 v102, v98
	v_cndmask_b32_e32 v103, v99, v92, vcc
	v_cmp_gt_f64_e32 vcc, 0, v[100:101]
	v_xor_b32_e32 v92, 0x80000000, v101
	v_cndmask_b32_e32 v105, v101, v92, vcc
	v_add_f64 v[102:103], v[102:103], v[104:105]
	v_mov_b32_e32 v92, s0
	s_add_i32 s0, s0, 1
	s_cmp_eq_u32 s3, s0
	v_cmp_lt_f64_e32 vcc, v[94:95], v[102:103]
	v_cndmask_b32_e32 v118, v118, v99, vcc
	v_cndmask_b32_e32 v117, v117, v98, vcc
	;; [unrolled: 1-line block ×5, first 2 shown]
	s_cbranch_scc0 .LBB98_5
.LBB98_6:
	buffer_load_dword v111, off, s[24:27], 0 offset:424 ; 4-byte Folded Reload
	buffer_load_dword v112, off, s[24:27], 0 offset:428 ; 4-byte Folded Reload
	s_waitcnt lgkmcnt(0)
	v_cmp_neq_f64_e32 vcc, 0, v[117:118]
	v_cmp_neq_f64_e64 s[0:1], 0, v[119:120]
	v_mov_b32_e32 v91, 1
	v_mov_b32_e32 v98, 1
	s_or_b64 s[18:19], vcc, s[0:1]
	s_and_saveexec_b64 s[0:1], s[18:19]
	s_cbranch_execz .LBB98_12
; %bb.7:
	v_cmp_ngt_f64_e64 s[18:19], |v[117:118]|, |v[119:120]|
	s_and_saveexec_b64 s[20:21], s[18:19]
	s_xor_b64 s[18:19], exec, s[20:21]
	s_cbranch_execz .LBB98_9
; %bb.8:
	v_div_scale_f64 v[91:92], s[20:21], v[119:120], v[119:120], v[117:118]
	v_rcp_f64_e32 v[94:95], v[91:92]
	v_fma_f64 v[98:99], -v[91:92], v[94:95], 1.0
	v_fma_f64 v[94:95], v[94:95], v[98:99], v[94:95]
	v_div_scale_f64 v[98:99], vcc, v[117:118], v[119:120], v[117:118]
	v_fma_f64 v[100:101], -v[91:92], v[94:95], 1.0
	v_fma_f64 v[94:95], v[94:95], v[100:101], v[94:95]
	v_mul_f64 v[100:101], v[98:99], v[94:95]
	v_fma_f64 v[91:92], -v[91:92], v[100:101], v[98:99]
	v_div_fmas_f64 v[91:92], v[91:92], v[94:95], v[100:101]
	v_div_fixup_f64 v[91:92], v[91:92], v[119:120], v[117:118]
	v_fma_f64 v[94:95], v[117:118], v[91:92], v[119:120]
	v_div_scale_f64 v[98:99], s[20:21], v[94:95], v[94:95], 1.0
	v_div_scale_f64 v[104:105], vcc, 1.0, v[94:95], 1.0
	v_rcp_f64_e32 v[100:101], v[98:99]
	v_fma_f64 v[102:103], -v[98:99], v[100:101], 1.0
	v_fma_f64 v[100:101], v[100:101], v[102:103], v[100:101]
	v_fma_f64 v[102:103], -v[98:99], v[100:101], 1.0
	v_fma_f64 v[100:101], v[100:101], v[102:103], v[100:101]
	v_mul_f64 v[102:103], v[104:105], v[100:101]
	v_fma_f64 v[98:99], -v[98:99], v[102:103], v[104:105]
	v_div_fmas_f64 v[98:99], v[98:99], v[100:101], v[102:103]
	v_div_fixup_f64 v[119:120], v[98:99], v[94:95], 1.0
	v_mul_f64 v[117:118], v[91:92], v[119:120]
	v_xor_b32_e32 v120, 0x80000000, v120
.LBB98_9:
	s_andn2_saveexec_b64 s[18:19], s[18:19]
	s_cbranch_execz .LBB98_11
; %bb.10:
	v_div_scale_f64 v[91:92], s[20:21], v[117:118], v[117:118], v[119:120]
	v_rcp_f64_e32 v[94:95], v[91:92]
	v_fma_f64 v[98:99], -v[91:92], v[94:95], 1.0
	v_fma_f64 v[94:95], v[94:95], v[98:99], v[94:95]
	v_div_scale_f64 v[98:99], vcc, v[119:120], v[117:118], v[119:120]
	v_fma_f64 v[100:101], -v[91:92], v[94:95], 1.0
	v_fma_f64 v[94:95], v[94:95], v[100:101], v[94:95]
	v_mul_f64 v[100:101], v[98:99], v[94:95]
	v_fma_f64 v[91:92], -v[91:92], v[100:101], v[98:99]
	v_div_fmas_f64 v[91:92], v[91:92], v[94:95], v[100:101]
	v_div_fixup_f64 v[91:92], v[91:92], v[117:118], v[119:120]
	v_fma_f64 v[94:95], v[119:120], v[91:92], v[117:118]
	v_div_scale_f64 v[98:99], s[20:21], v[94:95], v[94:95], 1.0
	v_div_scale_f64 v[104:105], vcc, 1.0, v[94:95], 1.0
	v_rcp_f64_e32 v[100:101], v[98:99]
	v_fma_f64 v[102:103], -v[98:99], v[100:101], 1.0
	v_fma_f64 v[100:101], v[100:101], v[102:103], v[100:101]
	v_fma_f64 v[102:103], -v[98:99], v[100:101], 1.0
	v_fma_f64 v[100:101], v[100:101], v[102:103], v[100:101]
	v_mul_f64 v[102:103], v[104:105], v[100:101]
	v_fma_f64 v[98:99], -v[98:99], v[102:103], v[104:105]
	v_div_fmas_f64 v[98:99], v[98:99], v[100:101], v[102:103]
	v_div_fixup_f64 v[117:118], v[98:99], v[94:95], 1.0
	v_mul_f64 v[119:120], v[91:92], -v[117:118]
.LBB98_11:
	s_or_b64 exec, exec, s[18:19]
	v_mov_b32_e32 v98, 0
	v_mov_b32_e32 v91, 2
.LBB98_12:
	s_or_b64 exec, exec, s[0:1]
	v_cmp_ne_u32_e32 vcc, v0, v93
	s_and_saveexec_b64 s[0:1], vcc
	s_xor_b64 s[0:1], exec, s[0:1]
	s_cbranch_execz .LBB98_18
; %bb.13:
	v_cmp_eq_u32_e32 vcc, 0, v0
	s_and_saveexec_b64 s[18:19], vcc
	s_cbranch_execz .LBB98_17
; %bb.14:
	v_cmp_ne_u32_e32 vcc, 0, v93
	s_xor_b64 s[20:21], s[6:7], -1
	s_and_b64 s[22:23], s[20:21], vcc
	s_and_saveexec_b64 s[20:21], s[22:23]
	s_cbranch_execz .LBB98_16
; %bb.15:
	buffer_load_dword v81, off, s[24:27], 0 offset:368 ; 4-byte Folded Reload
	buffer_load_dword v82, off, s[24:27], 0 offset:372 ; 4-byte Folded Reload
	v_ashrrev_i32_e32 v94, 31, v93
	v_lshlrev_b64 v[94:95], 2, v[93:94]
	s_waitcnt vmcnt(1)
	v_add_co_u32_e32 v94, vcc, v81, v94
	s_waitcnt vmcnt(0)
	v_addc_co_u32_e32 v95, vcc, v82, v95, vcc
	global_load_dword v0, v[94:95], off
	global_load_dword v92, v[81:82], off
	s_waitcnt vmcnt(1)
	global_store_dword v[81:82], v0, off
	s_waitcnt vmcnt(1)
	global_store_dword v[94:95], v92, off
.LBB98_16:
	s_or_b64 exec, exec, s[20:21]
	v_mov_b32_e32 v0, v93
.LBB98_17:
	s_or_b64 exec, exec, s[18:19]
.LBB98_18:
	s_or_saveexec_b64 s[0:1], s[0:1]
	v_mov_b32_e32 v92, v0
	s_xor_b64 exec, exec, s[0:1]
	s_cbranch_execz .LBB98_20
; %bb.19:
	buffer_load_dword v81, off, s[24:27], 0 offset:392 ; 4-byte Folded Reload
	buffer_load_dword v82, off, s[24:27], 0 offset:396 ; 4-byte Folded Reload
	;; [unrolled: 1-line block ×4, first 2 shown]
	v_mov_b32_e32 v92, 0
	s_waitcnt vmcnt(0)
	ds_write2_b64 v90, v[81:82], v[83:84] offset0:2 offset1:3
	buffer_load_dword v81, off, s[24:27], 0 offset:376 ; 4-byte Folded Reload
	buffer_load_dword v82, off, s[24:27], 0 offset:380 ; 4-byte Folded Reload
	buffer_load_dword v83, off, s[24:27], 0 offset:384 ; 4-byte Folded Reload
	buffer_load_dword v84, off, s[24:27], 0 offset:388 ; 4-byte Folded Reload
	s_waitcnt vmcnt(0)
	ds_write2_b64 v90, v[81:82], v[83:84] offset0:4 offset1:5
	buffer_load_dword v81, off, s[24:27], 0 offset:352 ; 4-byte Folded Reload
	buffer_load_dword v82, off, s[24:27], 0 offset:356 ; 4-byte Folded Reload
	buffer_load_dword v83, off, s[24:27], 0 offset:360 ; 4-byte Folded Reload
	buffer_load_dword v84, off, s[24:27], 0 offset:364 ; 4-byte Folded Reload
	;; [unrolled: 6-line block ×23, first 2 shown]
	s_waitcnt vmcnt(0)
	ds_write2_b64 v90, v[81:82], v[83:84] offset0:48 offset1:49
	buffer_load_dword v81, off, s[24:27], 0 ; 4-byte Folded Reload
	buffer_load_dword v82, off, s[24:27], 0 offset:4 ; 4-byte Folded Reload
	buffer_load_dword v83, off, s[24:27], 0 offset:8 ; 4-byte Folded Reload
	;; [unrolled: 1-line block ×3, first 2 shown]
	s_waitcnt vmcnt(0)
	ds_write2_b64 v90, v[81:82], v[83:84] offset0:50 offset1:51
	ds_write2_b64 v90, v[107:108], v[109:110] offset0:52 offset1:53
	;; [unrolled: 1-line block ×25, first 2 shown]
.LBB98_20:
	s_or_b64 exec, exec, s[0:1]
	v_cmp_lt_i32_e32 vcc, 0, v92
	s_waitcnt vmcnt(0) lgkmcnt(0)
	s_barrier
	s_and_saveexec_b64 s[0:1], vcc
	s_cbranch_execz .LBB98_22
; %bb.21:
	buffer_load_dword v101, off, s[24:27], 0 offset:408 ; 4-byte Folded Reload
	buffer_load_dword v102, off, s[24:27], 0 offset:412 ; 4-byte Folded Reload
	;; [unrolled: 1-line block ×4, first 2 shown]
	s_waitcnt vmcnt(0)
	v_mul_f64 v[93:94], v[119:120], v[103:104]
	v_fma_f64 v[125:126], v[117:118], v[101:102], -v[93:94]
	v_mul_f64 v[93:94], v[117:118], v[103:104]
	v_fma_f64 v[103:104], v[119:120], v[101:102], v[93:94]
	ds_read2_b64 v[93:96], v90 offset0:2 offset1:3
	buffer_load_dword v81, off, s[24:27], 0 offset:392 ; 4-byte Folded Reload
	buffer_load_dword v82, off, s[24:27], 0 offset:396 ; 4-byte Folded Reload
	buffer_load_dword v83, off, s[24:27], 0 offset:400 ; 4-byte Folded Reload
	buffer_load_dword v84, off, s[24:27], 0 offset:404 ; 4-byte Folded Reload
	s_waitcnt lgkmcnt(0)
	v_mul_f64 v[99:100], v[95:96], v[103:104]
	v_fma_f64 v[99:100], v[93:94], v[125:126], -v[99:100]
	v_mul_f64 v[93:94], v[93:94], v[103:104]
	v_fma_f64 v[93:94], v[95:96], v[125:126], v[93:94]
	s_waitcnt vmcnt(2)
	v_add_f64 v[81:82], v[81:82], -v[99:100]
	s_waitcnt vmcnt(0)
	v_add_f64 v[83:84], v[83:84], -v[93:94]
	buffer_store_dword v81, off, s[24:27], 0 offset:392 ; 4-byte Folded Spill
	s_nop 0
	buffer_store_dword v82, off, s[24:27], 0 offset:396 ; 4-byte Folded Spill
	buffer_store_dword v83, off, s[24:27], 0 offset:400 ; 4-byte Folded Spill
	buffer_store_dword v84, off, s[24:27], 0 offset:404 ; 4-byte Folded Spill
	ds_read2_b64 v[93:96], v90 offset0:4 offset1:5
	buffer_load_dword v81, off, s[24:27], 0 offset:376 ; 4-byte Folded Reload
	buffer_load_dword v82, off, s[24:27], 0 offset:380 ; 4-byte Folded Reload
	buffer_load_dword v83, off, s[24:27], 0 offset:384 ; 4-byte Folded Reload
	buffer_load_dword v84, off, s[24:27], 0 offset:388 ; 4-byte Folded Reload
	s_waitcnt lgkmcnt(0)
	v_mul_f64 v[99:100], v[95:96], v[103:104]
	v_fma_f64 v[99:100], v[93:94], v[125:126], -v[99:100]
	v_mul_f64 v[93:94], v[93:94], v[103:104]
	v_fma_f64 v[93:94], v[95:96], v[125:126], v[93:94]
	s_waitcnt vmcnt(2)
	v_add_f64 v[81:82], v[81:82], -v[99:100]
	s_waitcnt vmcnt(0)
	v_add_f64 v[83:84], v[83:84], -v[93:94]
	buffer_store_dword v81, off, s[24:27], 0 offset:376 ; 4-byte Folded Spill
	s_nop 0
	buffer_store_dword v82, off, s[24:27], 0 offset:380 ; 4-byte Folded Spill
	buffer_store_dword v83, off, s[24:27], 0 offset:384 ; 4-byte Folded Spill
	buffer_store_dword v84, off, s[24:27], 0 offset:388 ; 4-byte Folded Spill
	;; [unrolled: 19-line block ×24, first 2 shown]
	ds_read2_b64 v[93:96], v90 offset0:50 offset1:51
	buffer_load_dword v81, off, s[24:27], 0 ; 4-byte Folded Reload
	buffer_load_dword v82, off, s[24:27], 0 offset:4 ; 4-byte Folded Reload
	buffer_load_dword v83, off, s[24:27], 0 offset:8 ; 4-byte Folded Reload
	;; [unrolled: 1-line block ×3, first 2 shown]
	s_waitcnt lgkmcnt(0)
	v_mul_f64 v[99:100], v[95:96], v[103:104]
	v_fma_f64 v[99:100], v[93:94], v[125:126], -v[99:100]
	v_mul_f64 v[93:94], v[93:94], v[103:104]
	v_fma_f64 v[93:94], v[95:96], v[125:126], v[93:94]
	s_waitcnt vmcnt(2)
	v_add_f64 v[81:82], v[81:82], -v[99:100]
	s_waitcnt vmcnt(0)
	v_add_f64 v[83:84], v[83:84], -v[93:94]
	buffer_store_dword v81, off, s[24:27], 0 ; 4-byte Folded Spill
	s_nop 0
	buffer_store_dword v82, off, s[24:27], 0 offset:4 ; 4-byte Folded Spill
	buffer_store_dword v83, off, s[24:27], 0 offset:8 ; 4-byte Folded Spill
	;; [unrolled: 1-line block ×3, first 2 shown]
	ds_read2_b64 v[93:96], v90 offset0:52 offset1:53
	s_waitcnt lgkmcnt(0)
	v_mul_f64 v[99:100], v[95:96], v[103:104]
	v_fma_f64 v[99:100], v[93:94], v[125:126], -v[99:100]
	v_mul_f64 v[93:94], v[93:94], v[103:104]
	v_add_f64 v[107:108], v[107:108], -v[99:100]
	v_fma_f64 v[93:94], v[95:96], v[125:126], v[93:94]
	v_add_f64 v[109:110], v[109:110], -v[93:94]
	ds_read2_b64 v[93:96], v90 offset0:54 offset1:55
	s_waitcnt lgkmcnt(0)
	v_mul_f64 v[99:100], v[95:96], v[103:104]
	v_fma_f64 v[99:100], v[93:94], v[125:126], -v[99:100]
	v_mul_f64 v[93:94], v[93:94], v[103:104]
	v_add_f64 v[113:114], v[113:114], -v[99:100]
	v_fma_f64 v[93:94], v[95:96], v[125:126], v[93:94]
	v_add_f64 v[115:116], v[115:116], -v[93:94]
	;; [unrolled: 8-line block ×22, first 2 shown]
	ds_read2_b64 v[93:96], v90 offset0:96 offset1:97
	s_waitcnt lgkmcnt(0)
	v_mul_f64 v[99:100], v[95:96], v[103:104]
	v_fma_f64 v[99:100], v[93:94], v[125:126], -v[99:100]
	v_mul_f64 v[93:94], v[93:94], v[103:104]
	v_add_f64 v[1:2], v[1:2], -v[99:100]
	v_fma_f64 v[93:94], v[95:96], v[125:126], v[93:94]
	ds_read2_b64 v[99:102], v90 offset0:98 offset1:99
	s_waitcnt lgkmcnt(0)
	v_mul_f64 v[95:96], v[99:100], v[103:104]
	v_add_f64 v[3:4], v[3:4], -v[93:94]
	v_mul_f64 v[93:94], v[101:102], v[103:104]
	v_fma_f64 v[95:96], v[101:102], v[125:126], v[95:96]
	v_mov_b32_e32 v101, v125
	v_mov_b32_e32 v102, v126
	v_fma_f64 v[93:94], v[99:100], v[125:126], -v[93:94]
	buffer_store_dword v101, off, s[24:27], 0 offset:408 ; 4-byte Folded Spill
	s_nop 0
	buffer_store_dword v102, off, s[24:27], 0 offset:412 ; 4-byte Folded Spill
	buffer_store_dword v103, off, s[24:27], 0 offset:416 ; 4-byte Folded Spill
	;; [unrolled: 1-line block ×3, first 2 shown]
	v_add_f64 v[123:124], v[123:124], -v[95:96]
	v_add_f64 v[121:122], v[121:122], -v[93:94]
.LBB98_22:
	s_or_b64 exec, exec, s[0:1]
	s_waitcnt vmcnt(0)
	s_barrier
	buffer_load_dword v81, off, s[24:27], 0 offset:392 ; 4-byte Folded Reload
	buffer_load_dword v82, off, s[24:27], 0 offset:396 ; 4-byte Folded Reload
	;; [unrolled: 1-line block ×4, first 2 shown]
	v_lshl_add_u32 v93, v92, 4, v90
	s_cmp_lt_i32 s3, 3
	s_waitcnt vmcnt(0)
	ds_write2_b64 v93, v[81:82], v[83:84] offset1:1
	s_waitcnt lgkmcnt(0)
	s_barrier
	ds_read2_b64 v[117:120], v90 offset0:2 offset1:3
	v_mov_b32_e32 v93, 1
	s_cbranch_scc1 .LBB98_25
; %bb.23:
	v_add3_u32 v94, v97, 0, 32
	s_mov_b32 s0, 2
	v_mov_b32_e32 v93, 1
.LBB98_24:                              ; =>This Inner Loop Header: Depth=1
	s_waitcnt lgkmcnt(0)
	v_cmp_gt_f64_e32 vcc, 0, v[117:118]
	v_xor_b32_e32 v95, 0x80000000, v118
	ds_read2_b64 v[99:102], v94 offset1:1
	v_xor_b32_e32 v103, 0x80000000, v120
	v_add_u32_e32 v94, 16, v94
	s_waitcnt lgkmcnt(0)
	v_xor_b32_e32 v105, 0x80000000, v102
	v_cndmask_b32_e32 v96, v118, v95, vcc
	v_cmp_gt_f64_e32 vcc, 0, v[119:120]
	v_mov_b32_e32 v95, v117
	v_cndmask_b32_e32 v104, v120, v103, vcc
	v_cmp_gt_f64_e32 vcc, 0, v[99:100]
	v_mov_b32_e32 v103, v119
	v_add_f64 v[95:96], v[95:96], v[103:104]
	v_xor_b32_e32 v103, 0x80000000, v100
	v_cndmask_b32_e32 v104, v100, v103, vcc
	v_cmp_gt_f64_e32 vcc, 0, v[101:102]
	v_mov_b32_e32 v103, v99
	v_cndmask_b32_e32 v106, v102, v105, vcc
	v_mov_b32_e32 v105, v101
	v_add_f64 v[103:104], v[103:104], v[105:106]
	v_cmp_lt_f64_e32 vcc, v[95:96], v[103:104]
	v_mov_b32_e32 v95, s0
	s_add_i32 s0, s0, 1
	s_cmp_lg_u32 s3, s0
	v_cndmask_b32_e32 v118, v118, v100, vcc
	v_cndmask_b32_e32 v117, v117, v99, vcc
	v_cndmask_b32_e32 v120, v120, v102, vcc
	v_cndmask_b32_e32 v119, v119, v101, vcc
	v_cndmask_b32_e32 v93, v93, v95, vcc
	s_cbranch_scc1 .LBB98_24
.LBB98_25:
	s_waitcnt lgkmcnt(0)
	v_cmp_neq_f64_e32 vcc, 0, v[117:118]
	v_cmp_neq_f64_e64 s[0:1], 0, v[119:120]
	s_or_b64 s[18:19], vcc, s[0:1]
	s_and_saveexec_b64 s[0:1], s[18:19]
	s_cbranch_execz .LBB98_31
; %bb.26:
	v_cmp_ngt_f64_e64 s[18:19], |v[117:118]|, |v[119:120]|
	s_and_saveexec_b64 s[20:21], s[18:19]
	s_xor_b64 s[18:19], exec, s[20:21]
	s_cbranch_execz .LBB98_28
; %bb.27:
	v_div_scale_f64 v[94:95], s[20:21], v[119:120], v[119:120], v[117:118]
	v_mov_b32_e32 v81, v107
	v_mov_b32_e32 v82, v108
	;; [unrolled: 1-line block ×4, first 2 shown]
	v_rcp_f64_e32 v[99:100], v[94:95]
	v_fma_f64 v[101:102], -v[94:95], v[99:100], 1.0
	v_fma_f64 v[99:100], v[99:100], v[101:102], v[99:100]
	v_div_scale_f64 v[101:102], vcc, v[117:118], v[119:120], v[117:118]
	v_fma_f64 v[103:104], -v[94:95], v[99:100], 1.0
	v_fma_f64 v[99:100], v[99:100], v[103:104], v[99:100]
	v_mul_f64 v[103:104], v[101:102], v[99:100]
	v_fma_f64 v[94:95], -v[94:95], v[103:104], v[101:102]
	v_div_fmas_f64 v[94:95], v[94:95], v[99:100], v[103:104]
	v_div_fixup_f64 v[94:95], v[94:95], v[119:120], v[117:118]
	v_fma_f64 v[99:100], v[117:118], v[94:95], v[119:120]
	v_div_scale_f64 v[101:102], s[20:21], v[99:100], v[99:100], 1.0
	v_div_scale_f64 v[107:108], vcc, 1.0, v[99:100], 1.0
	v_rcp_f64_e32 v[103:104], v[101:102]
	v_fma_f64 v[105:106], -v[101:102], v[103:104], 1.0
	v_fma_f64 v[103:104], v[103:104], v[105:106], v[103:104]
	v_fma_f64 v[105:106], -v[101:102], v[103:104], 1.0
	v_fma_f64 v[103:104], v[103:104], v[105:106], v[103:104]
	v_mul_f64 v[105:106], v[107:108], v[103:104]
	v_fma_f64 v[101:102], -v[101:102], v[105:106], v[107:108]
	v_mov_b32_e32 v110, v84
	v_mov_b32_e32 v109, v83
	;; [unrolled: 1-line block ×4, first 2 shown]
	v_div_fmas_f64 v[101:102], v[101:102], v[103:104], v[105:106]
	v_div_fixup_f64 v[119:120], v[101:102], v[99:100], 1.0
	v_mul_f64 v[117:118], v[94:95], v[119:120]
	v_xor_b32_e32 v120, 0x80000000, v120
.LBB98_28:
	s_andn2_saveexec_b64 s[18:19], s[18:19]
	s_cbranch_execz .LBB98_30
; %bb.29:
	v_div_scale_f64 v[94:95], s[20:21], v[117:118], v[117:118], v[119:120]
	v_mov_b32_e32 v81, v107
	v_mov_b32_e32 v82, v108
	;; [unrolled: 1-line block ×4, first 2 shown]
	v_rcp_f64_e32 v[99:100], v[94:95]
	v_fma_f64 v[101:102], -v[94:95], v[99:100], 1.0
	v_fma_f64 v[99:100], v[99:100], v[101:102], v[99:100]
	v_div_scale_f64 v[101:102], vcc, v[119:120], v[117:118], v[119:120]
	v_fma_f64 v[103:104], -v[94:95], v[99:100], 1.0
	v_fma_f64 v[99:100], v[99:100], v[103:104], v[99:100]
	v_mul_f64 v[103:104], v[101:102], v[99:100]
	v_fma_f64 v[94:95], -v[94:95], v[103:104], v[101:102]
	v_div_fmas_f64 v[94:95], v[94:95], v[99:100], v[103:104]
	v_div_fixup_f64 v[94:95], v[94:95], v[117:118], v[119:120]
	v_fma_f64 v[99:100], v[119:120], v[94:95], v[117:118]
	v_div_scale_f64 v[101:102], s[20:21], v[99:100], v[99:100], 1.0
	v_div_scale_f64 v[107:108], vcc, 1.0, v[99:100], 1.0
	v_rcp_f64_e32 v[103:104], v[101:102]
	v_fma_f64 v[105:106], -v[101:102], v[103:104], 1.0
	v_fma_f64 v[103:104], v[103:104], v[105:106], v[103:104]
	v_fma_f64 v[105:106], -v[101:102], v[103:104], 1.0
	v_fma_f64 v[103:104], v[103:104], v[105:106], v[103:104]
	v_mul_f64 v[105:106], v[107:108], v[103:104]
	v_fma_f64 v[101:102], -v[101:102], v[105:106], v[107:108]
	v_mov_b32_e32 v110, v84
	v_mov_b32_e32 v109, v83
	;; [unrolled: 1-line block ×4, first 2 shown]
	v_div_fmas_f64 v[101:102], v[101:102], v[103:104], v[105:106]
	v_div_fixup_f64 v[117:118], v[101:102], v[99:100], 1.0
	v_mul_f64 v[119:120], v[94:95], -v[117:118]
.LBB98_30:
	s_or_b64 exec, exec, s[18:19]
	v_mov_b32_e32 v91, v98
.LBB98_31:
	s_or_b64 exec, exec, s[0:1]
	v_cmp_ne_u32_e32 vcc, v92, v93
	s_and_saveexec_b64 s[0:1], vcc
	s_xor_b64 s[0:1], exec, s[0:1]
	s_cbranch_execz .LBB98_37
; %bb.32:
	v_cmp_eq_u32_e32 vcc, 1, v92
	s_and_saveexec_b64 s[18:19], vcc
	s_cbranch_execz .LBB98_36
; %bb.33:
	v_cmp_ne_u32_e32 vcc, 1, v93
	s_xor_b64 s[20:21], s[6:7], -1
	s_and_b64 s[22:23], s[20:21], vcc
	s_and_saveexec_b64 s[20:21], s[22:23]
	s_cbranch_execz .LBB98_35
; %bb.34:
	buffer_load_dword v81, off, s[24:27], 0 offset:368 ; 4-byte Folded Reload
	buffer_load_dword v82, off, s[24:27], 0 offset:372 ; 4-byte Folded Reload
	v_ashrrev_i32_e32 v94, 31, v93
	v_lshlrev_b64 v[94:95], 2, v[93:94]
	s_waitcnt vmcnt(1)
	v_add_co_u32_e32 v94, vcc, v81, v94
	s_waitcnt vmcnt(0)
	v_addc_co_u32_e32 v95, vcc, v82, v95, vcc
	global_load_dword v0, v[94:95], off
	global_load_dword v92, v[81:82], off offset:4
	s_waitcnt vmcnt(1)
	global_store_dword v[81:82], v0, off offset:4
	s_waitcnt vmcnt(1)
	global_store_dword v[94:95], v92, off
.LBB98_35:
	s_or_b64 exec, exec, s[20:21]
	v_mov_b32_e32 v92, v93
	v_mov_b32_e32 v0, v93
.LBB98_36:
	s_or_b64 exec, exec, s[18:19]
.LBB98_37:
	s_andn2_saveexec_b64 s[0:1], s[0:1]
	s_cbranch_execz .LBB98_39
; %bb.38:
	buffer_load_dword v81, off, s[24:27], 0 offset:376 ; 4-byte Folded Reload
	buffer_load_dword v82, off, s[24:27], 0 offset:380 ; 4-byte Folded Reload
	;; [unrolled: 1-line block ×4, first 2 shown]
	v_mov_b32_e32 v92, 1
	s_waitcnt vmcnt(0)
	ds_write2_b64 v90, v[81:82], v[83:84] offset0:4 offset1:5
	buffer_load_dword v81, off, s[24:27], 0 offset:352 ; 4-byte Folded Reload
	buffer_load_dword v82, off, s[24:27], 0 offset:356 ; 4-byte Folded Reload
	buffer_load_dword v83, off, s[24:27], 0 offset:360 ; 4-byte Folded Reload
	buffer_load_dword v84, off, s[24:27], 0 offset:364 ; 4-byte Folded Reload
	s_waitcnt vmcnt(0)
	ds_write2_b64 v90, v[81:82], v[83:84] offset0:6 offset1:7
	buffer_load_dword v81, off, s[24:27], 0 offset:336 ; 4-byte Folded Reload
	buffer_load_dword v82, off, s[24:27], 0 offset:340 ; 4-byte Folded Reload
	buffer_load_dword v83, off, s[24:27], 0 offset:344 ; 4-byte Folded Reload
	buffer_load_dword v84, off, s[24:27], 0 offset:348 ; 4-byte Folded Reload
	;; [unrolled: 6-line block ×22, first 2 shown]
	s_waitcnt vmcnt(0)
	ds_write2_b64 v90, v[81:82], v[83:84] offset0:48 offset1:49
	buffer_load_dword v81, off, s[24:27], 0 ; 4-byte Folded Reload
	buffer_load_dword v82, off, s[24:27], 0 offset:4 ; 4-byte Folded Reload
	buffer_load_dword v83, off, s[24:27], 0 offset:8 ; 4-byte Folded Reload
	;; [unrolled: 1-line block ×3, first 2 shown]
	s_waitcnt vmcnt(0)
	ds_write2_b64 v90, v[81:82], v[83:84] offset0:50 offset1:51
	ds_write2_b64 v90, v[107:108], v[109:110] offset0:52 offset1:53
	ds_write2_b64 v90, v[113:114], v[115:116] offset0:54 offset1:55
	ds_write2_b64 v90, v[85:86], v[87:88] offset0:56 offset1:57
	ds_write2_b64 v90, v[77:78], v[79:80] offset0:58 offset1:59
	ds_write2_b64 v90, v[73:74], v[75:76] offset0:60 offset1:61
	ds_write2_b64 v90, v[69:70], v[71:72] offset0:62 offset1:63
	ds_write2_b64 v90, v[65:66], v[67:68] offset0:64 offset1:65
	ds_write2_b64 v90, v[61:62], v[63:64] offset0:66 offset1:67
	ds_write2_b64 v90, v[57:58], v[59:60] offset0:68 offset1:69
	ds_write2_b64 v90, v[53:54], v[55:56] offset0:70 offset1:71
	ds_write2_b64 v90, v[49:50], v[51:52] offset0:72 offset1:73
	ds_write2_b64 v90, v[45:46], v[47:48] offset0:74 offset1:75
	ds_write2_b64 v90, v[41:42], v[43:44] offset0:76 offset1:77
	ds_write2_b64 v90, v[37:38], v[39:40] offset0:78 offset1:79
	ds_write2_b64 v90, v[33:34], v[35:36] offset0:80 offset1:81
	ds_write2_b64 v90, v[29:30], v[31:32] offset0:82 offset1:83
	ds_write2_b64 v90, v[25:26], v[27:28] offset0:84 offset1:85
	ds_write2_b64 v90, v[21:22], v[23:24] offset0:86 offset1:87
	ds_write2_b64 v90, v[17:18], v[19:20] offset0:88 offset1:89
	ds_write2_b64 v90, v[13:14], v[15:16] offset0:90 offset1:91
	ds_write2_b64 v90, v[9:10], v[11:12] offset0:92 offset1:93
	ds_write2_b64 v90, v[5:6], v[7:8] offset0:94 offset1:95
	ds_write2_b64 v90, v[1:2], v[3:4] offset0:96 offset1:97
	ds_write2_b64 v90, v[121:122], v[123:124] offset0:98 offset1:99
.LBB98_39:
	s_or_b64 exec, exec, s[0:1]
	v_cmp_lt_i32_e32 vcc, 1, v92
	s_waitcnt vmcnt(0) lgkmcnt(0)
	s_barrier
	s_and_saveexec_b64 s[0:1], vcc
	s_cbranch_execz .LBB98_41
; %bb.40:
	buffer_load_dword v100, off, s[24:27], 0 offset:392 ; 4-byte Folded Reload
	buffer_load_dword v101, off, s[24:27], 0 offset:396 ; 4-byte Folded Reload
	;; [unrolled: 1-line block ×4, first 2 shown]
	s_waitcnt vmcnt(0)
	v_mul_f64 v[93:94], v[119:120], v[102:103]
	v_fma_f64 v[125:126], v[117:118], v[100:101], -v[93:94]
	v_mul_f64 v[93:94], v[117:118], v[102:103]
	v_fma_f64 v[102:103], v[119:120], v[100:101], v[93:94]
	ds_read2_b64 v[93:96], v90 offset0:4 offset1:5
	buffer_load_dword v81, off, s[24:27], 0 offset:376 ; 4-byte Folded Reload
	buffer_load_dword v82, off, s[24:27], 0 offset:380 ; 4-byte Folded Reload
	buffer_load_dword v83, off, s[24:27], 0 offset:384 ; 4-byte Folded Reload
	buffer_load_dword v84, off, s[24:27], 0 offset:388 ; 4-byte Folded Reload
	s_waitcnt lgkmcnt(0)
	v_mul_f64 v[98:99], v[95:96], v[102:103]
	v_fma_f64 v[98:99], v[93:94], v[125:126], -v[98:99]
	v_mul_f64 v[93:94], v[93:94], v[102:103]
	v_fma_f64 v[93:94], v[95:96], v[125:126], v[93:94]
	s_waitcnt vmcnt(2)
	v_add_f64 v[81:82], v[81:82], -v[98:99]
	s_waitcnt vmcnt(0)
	v_add_f64 v[83:84], v[83:84], -v[93:94]
	buffer_store_dword v81, off, s[24:27], 0 offset:376 ; 4-byte Folded Spill
	s_nop 0
	buffer_store_dword v82, off, s[24:27], 0 offset:380 ; 4-byte Folded Spill
	buffer_store_dword v83, off, s[24:27], 0 offset:384 ; 4-byte Folded Spill
	buffer_store_dword v84, off, s[24:27], 0 offset:388 ; 4-byte Folded Spill
	ds_read2_b64 v[93:96], v90 offset0:6 offset1:7
	buffer_load_dword v81, off, s[24:27], 0 offset:352 ; 4-byte Folded Reload
	buffer_load_dword v82, off, s[24:27], 0 offset:356 ; 4-byte Folded Reload
	buffer_load_dword v83, off, s[24:27], 0 offset:360 ; 4-byte Folded Reload
	buffer_load_dword v84, off, s[24:27], 0 offset:364 ; 4-byte Folded Reload
	s_waitcnt lgkmcnt(0)
	v_mul_f64 v[98:99], v[95:96], v[102:103]
	v_fma_f64 v[98:99], v[93:94], v[125:126], -v[98:99]
	v_mul_f64 v[93:94], v[93:94], v[102:103]
	v_fma_f64 v[93:94], v[95:96], v[125:126], v[93:94]
	s_waitcnt vmcnt(2)
	v_add_f64 v[81:82], v[81:82], -v[98:99]
	s_waitcnt vmcnt(0)
	v_add_f64 v[83:84], v[83:84], -v[93:94]
	buffer_store_dword v81, off, s[24:27], 0 offset:352 ; 4-byte Folded Spill
	s_nop 0
	buffer_store_dword v82, off, s[24:27], 0 offset:356 ; 4-byte Folded Spill
	buffer_store_dword v83, off, s[24:27], 0 offset:360 ; 4-byte Folded Spill
	buffer_store_dword v84, off, s[24:27], 0 offset:364 ; 4-byte Folded Spill
	;; [unrolled: 19-line block ×23, first 2 shown]
	ds_read2_b64 v[93:96], v90 offset0:50 offset1:51
	buffer_load_dword v81, off, s[24:27], 0 ; 4-byte Folded Reload
	buffer_load_dword v82, off, s[24:27], 0 offset:4 ; 4-byte Folded Reload
	buffer_load_dword v83, off, s[24:27], 0 offset:8 ; 4-byte Folded Reload
	;; [unrolled: 1-line block ×3, first 2 shown]
	s_waitcnt lgkmcnt(0)
	v_mul_f64 v[98:99], v[95:96], v[102:103]
	v_fma_f64 v[98:99], v[93:94], v[125:126], -v[98:99]
	v_mul_f64 v[93:94], v[93:94], v[102:103]
	v_fma_f64 v[93:94], v[95:96], v[125:126], v[93:94]
	s_waitcnt vmcnt(2)
	v_add_f64 v[81:82], v[81:82], -v[98:99]
	s_waitcnt vmcnt(0)
	v_add_f64 v[83:84], v[83:84], -v[93:94]
	buffer_store_dword v81, off, s[24:27], 0 ; 4-byte Folded Spill
	s_nop 0
	buffer_store_dword v82, off, s[24:27], 0 offset:4 ; 4-byte Folded Spill
	buffer_store_dword v83, off, s[24:27], 0 offset:8 ; 4-byte Folded Spill
	;; [unrolled: 1-line block ×3, first 2 shown]
	ds_read2_b64 v[93:96], v90 offset0:52 offset1:53
	s_waitcnt lgkmcnt(0)
	v_mul_f64 v[98:99], v[95:96], v[102:103]
	v_fma_f64 v[98:99], v[93:94], v[125:126], -v[98:99]
	v_mul_f64 v[93:94], v[93:94], v[102:103]
	v_add_f64 v[107:108], v[107:108], -v[98:99]
	v_fma_f64 v[93:94], v[95:96], v[125:126], v[93:94]
	v_add_f64 v[109:110], v[109:110], -v[93:94]
	ds_read2_b64 v[93:96], v90 offset0:54 offset1:55
	s_waitcnt lgkmcnt(0)
	v_mul_f64 v[98:99], v[95:96], v[102:103]
	v_fma_f64 v[98:99], v[93:94], v[125:126], -v[98:99]
	v_mul_f64 v[93:94], v[93:94], v[102:103]
	v_add_f64 v[113:114], v[113:114], -v[98:99]
	v_fma_f64 v[93:94], v[95:96], v[125:126], v[93:94]
	v_add_f64 v[115:116], v[115:116], -v[93:94]
	;; [unrolled: 8-line block ×22, first 2 shown]
	ds_read2_b64 v[93:96], v90 offset0:96 offset1:97
	s_waitcnt lgkmcnt(0)
	v_mul_f64 v[98:99], v[95:96], v[102:103]
	v_fma_f64 v[98:99], v[93:94], v[125:126], -v[98:99]
	v_mul_f64 v[93:94], v[93:94], v[102:103]
	v_add_f64 v[1:2], v[1:2], -v[98:99]
	v_fma_f64 v[93:94], v[95:96], v[125:126], v[93:94]
	ds_read2_b64 v[98:101], v90 offset0:98 offset1:99
	s_waitcnt lgkmcnt(0)
	v_mul_f64 v[95:96], v[98:99], v[102:103]
	v_add_f64 v[3:4], v[3:4], -v[93:94]
	v_mul_f64 v[93:94], v[100:101], v[102:103]
	v_fma_f64 v[95:96], v[100:101], v[125:126], v[95:96]
	v_mov_b32_e32 v100, v125
	v_mov_b32_e32 v101, v126
	v_fma_f64 v[93:94], v[98:99], v[125:126], -v[93:94]
	buffer_store_dword v100, off, s[24:27], 0 offset:392 ; 4-byte Folded Spill
	s_nop 0
	buffer_store_dword v101, off, s[24:27], 0 offset:396 ; 4-byte Folded Spill
	buffer_store_dword v102, off, s[24:27], 0 offset:400 ; 4-byte Folded Spill
	;; [unrolled: 1-line block ×3, first 2 shown]
	v_add_f64 v[123:124], v[123:124], -v[95:96]
	v_add_f64 v[121:122], v[121:122], -v[93:94]
.LBB98_41:
	s_or_b64 exec, exec, s[0:1]
	s_waitcnt vmcnt(0)
	s_barrier
	buffer_load_dword v81, off, s[24:27], 0 offset:376 ; 4-byte Folded Reload
	buffer_load_dword v82, off, s[24:27], 0 offset:380 ; 4-byte Folded Reload
	;; [unrolled: 1-line block ×4, first 2 shown]
	v_lshl_add_u32 v93, v92, 4, v90
	s_cmp_lt_i32 s3, 4
	s_waitcnt vmcnt(0)
	ds_write2_b64 v93, v[81:82], v[83:84] offset1:1
	s_waitcnt lgkmcnt(0)
	s_barrier
	ds_read2_b64 v[117:120], v90 offset0:4 offset1:5
	v_mov_b32_e32 v93, 2
	s_cbranch_scc1 .LBB98_44
; %bb.42:
	v_add3_u32 v94, v97, 0, 48
	s_mov_b32 s0, 3
	v_mov_b32_e32 v93, 2
.LBB98_43:                              ; =>This Inner Loop Header: Depth=1
	s_waitcnt lgkmcnt(0)
	v_cmp_gt_f64_e32 vcc, 0, v[117:118]
	v_xor_b32_e32 v95, 0x80000000, v118
	ds_read2_b64 v[98:101], v94 offset1:1
	v_xor_b32_e32 v102, 0x80000000, v120
	v_add_u32_e32 v94, 16, v94
	s_waitcnt lgkmcnt(0)
	v_xor_b32_e32 v104, 0x80000000, v101
	v_cndmask_b32_e32 v96, v118, v95, vcc
	v_cmp_gt_f64_e32 vcc, 0, v[119:120]
	v_mov_b32_e32 v95, v117
	v_cndmask_b32_e32 v103, v120, v102, vcc
	v_cmp_gt_f64_e32 vcc, 0, v[98:99]
	v_mov_b32_e32 v102, v119
	v_add_f64 v[95:96], v[95:96], v[102:103]
	v_xor_b32_e32 v102, 0x80000000, v99
	v_cndmask_b32_e32 v103, v99, v102, vcc
	v_cmp_gt_f64_e32 vcc, 0, v[100:101]
	v_mov_b32_e32 v102, v98
	v_cndmask_b32_e32 v105, v101, v104, vcc
	v_mov_b32_e32 v104, v100
	v_add_f64 v[102:103], v[102:103], v[104:105]
	v_cmp_lt_f64_e32 vcc, v[95:96], v[102:103]
	v_mov_b32_e32 v95, s0
	s_add_i32 s0, s0, 1
	s_cmp_lg_u32 s3, s0
	v_cndmask_b32_e32 v118, v118, v99, vcc
	v_cndmask_b32_e32 v117, v117, v98, vcc
	;; [unrolled: 1-line block ×5, first 2 shown]
	s_cbranch_scc1 .LBB98_43
.LBB98_44:
	s_waitcnt lgkmcnt(0)
	v_cmp_eq_f64_e32 vcc, 0, v[117:118]
	v_cmp_eq_f64_e64 s[0:1], 0, v[119:120]
	s_and_b64 s[0:1], vcc, s[0:1]
	s_and_saveexec_b64 s[18:19], s[0:1]
	s_xor_b64 s[0:1], exec, s[18:19]
; %bb.45:
	v_cmp_ne_u32_e32 vcc, 0, v91
	v_cndmask_b32_e32 v91, 3, v91, vcc
; %bb.46:
	s_andn2_saveexec_b64 s[0:1], s[0:1]
	s_cbranch_execz .LBB98_52
; %bb.47:
	v_cmp_ngt_f64_e64 s[18:19], |v[117:118]|, |v[119:120]|
	s_and_saveexec_b64 s[20:21], s[18:19]
	s_xor_b64 s[18:19], exec, s[20:21]
	s_cbranch_execz .LBB98_49
; %bb.48:
	v_div_scale_f64 v[94:95], s[20:21], v[119:120], v[119:120], v[117:118]
	v_mov_b32_e32 v81, v107
	v_mov_b32_e32 v82, v108
	;; [unrolled: 1-line block ×4, first 2 shown]
	v_rcp_f64_e32 v[98:99], v[94:95]
	v_fma_f64 v[100:101], -v[94:95], v[98:99], 1.0
	v_fma_f64 v[98:99], v[98:99], v[100:101], v[98:99]
	v_div_scale_f64 v[100:101], vcc, v[117:118], v[119:120], v[117:118]
	v_fma_f64 v[102:103], -v[94:95], v[98:99], 1.0
	v_fma_f64 v[98:99], v[98:99], v[102:103], v[98:99]
	v_mul_f64 v[102:103], v[100:101], v[98:99]
	v_fma_f64 v[94:95], -v[94:95], v[102:103], v[100:101]
	v_div_fmas_f64 v[94:95], v[94:95], v[98:99], v[102:103]
	v_div_fixup_f64 v[94:95], v[94:95], v[119:120], v[117:118]
	v_fma_f64 v[98:99], v[117:118], v[94:95], v[119:120]
	v_div_scale_f64 v[100:101], s[20:21], v[98:99], v[98:99], 1.0
	v_div_scale_f64 v[106:107], vcc, 1.0, v[98:99], 1.0
	v_rcp_f64_e32 v[102:103], v[100:101]
	v_fma_f64 v[104:105], -v[100:101], v[102:103], 1.0
	v_fma_f64 v[102:103], v[102:103], v[104:105], v[102:103]
	v_fma_f64 v[104:105], -v[100:101], v[102:103], 1.0
	v_fma_f64 v[102:103], v[102:103], v[104:105], v[102:103]
	v_mul_f64 v[104:105], v[106:107], v[102:103]
	v_fma_f64 v[100:101], -v[100:101], v[104:105], v[106:107]
	v_mov_b32_e32 v110, v84
	v_mov_b32_e32 v109, v83
	;; [unrolled: 1-line block ×4, first 2 shown]
	v_div_fmas_f64 v[100:101], v[100:101], v[102:103], v[104:105]
	v_div_fixup_f64 v[119:120], v[100:101], v[98:99], 1.0
	v_mul_f64 v[117:118], v[94:95], v[119:120]
	v_xor_b32_e32 v120, 0x80000000, v120
.LBB98_49:
	s_andn2_saveexec_b64 s[18:19], s[18:19]
	s_cbranch_execz .LBB98_51
; %bb.50:
	v_div_scale_f64 v[94:95], s[20:21], v[117:118], v[117:118], v[119:120]
	v_mov_b32_e32 v81, v107
	v_mov_b32_e32 v82, v108
	;; [unrolled: 1-line block ×4, first 2 shown]
	v_rcp_f64_e32 v[98:99], v[94:95]
	v_fma_f64 v[100:101], -v[94:95], v[98:99], 1.0
	v_fma_f64 v[98:99], v[98:99], v[100:101], v[98:99]
	v_div_scale_f64 v[100:101], vcc, v[119:120], v[117:118], v[119:120]
	v_fma_f64 v[102:103], -v[94:95], v[98:99], 1.0
	v_fma_f64 v[98:99], v[98:99], v[102:103], v[98:99]
	v_mul_f64 v[102:103], v[100:101], v[98:99]
	v_fma_f64 v[94:95], -v[94:95], v[102:103], v[100:101]
	v_div_fmas_f64 v[94:95], v[94:95], v[98:99], v[102:103]
	v_div_fixup_f64 v[94:95], v[94:95], v[117:118], v[119:120]
	v_fma_f64 v[98:99], v[119:120], v[94:95], v[117:118]
	v_div_scale_f64 v[100:101], s[20:21], v[98:99], v[98:99], 1.0
	v_div_scale_f64 v[106:107], vcc, 1.0, v[98:99], 1.0
	v_rcp_f64_e32 v[102:103], v[100:101]
	v_fma_f64 v[104:105], -v[100:101], v[102:103], 1.0
	v_fma_f64 v[102:103], v[102:103], v[104:105], v[102:103]
	v_fma_f64 v[104:105], -v[100:101], v[102:103], 1.0
	v_fma_f64 v[102:103], v[102:103], v[104:105], v[102:103]
	v_mul_f64 v[104:105], v[106:107], v[102:103]
	v_fma_f64 v[100:101], -v[100:101], v[104:105], v[106:107]
	v_mov_b32_e32 v110, v84
	v_mov_b32_e32 v109, v83
	;; [unrolled: 1-line block ×4, first 2 shown]
	v_div_fmas_f64 v[100:101], v[100:101], v[102:103], v[104:105]
	v_div_fixup_f64 v[117:118], v[100:101], v[98:99], 1.0
	v_mul_f64 v[119:120], v[94:95], -v[117:118]
.LBB98_51:
	s_or_b64 exec, exec, s[18:19]
.LBB98_52:
	s_or_b64 exec, exec, s[0:1]
	v_cmp_ne_u32_e32 vcc, v92, v93
	s_and_saveexec_b64 s[0:1], vcc
	s_xor_b64 s[0:1], exec, s[0:1]
	s_cbranch_execz .LBB98_58
; %bb.53:
	v_cmp_eq_u32_e32 vcc, 2, v92
	s_and_saveexec_b64 s[18:19], vcc
	s_cbranch_execz .LBB98_57
; %bb.54:
	v_cmp_ne_u32_e32 vcc, 2, v93
	s_xor_b64 s[20:21], s[6:7], -1
	s_and_b64 s[22:23], s[20:21], vcc
	s_and_saveexec_b64 s[20:21], s[22:23]
	s_cbranch_execz .LBB98_56
; %bb.55:
	buffer_load_dword v81, off, s[24:27], 0 offset:368 ; 4-byte Folded Reload
	buffer_load_dword v82, off, s[24:27], 0 offset:372 ; 4-byte Folded Reload
	v_ashrrev_i32_e32 v94, 31, v93
	v_lshlrev_b64 v[94:95], 2, v[93:94]
	s_waitcnt vmcnt(1)
	v_add_co_u32_e32 v94, vcc, v81, v94
	s_waitcnt vmcnt(0)
	v_addc_co_u32_e32 v95, vcc, v82, v95, vcc
	global_load_dword v0, v[94:95], off
	global_load_dword v92, v[81:82], off offset:8
	s_waitcnt vmcnt(1)
	global_store_dword v[81:82], v0, off offset:8
	s_waitcnt vmcnt(1)
	global_store_dword v[94:95], v92, off
.LBB98_56:
	s_or_b64 exec, exec, s[20:21]
	v_mov_b32_e32 v92, v93
	v_mov_b32_e32 v0, v93
.LBB98_57:
	s_or_b64 exec, exec, s[18:19]
.LBB98_58:
	s_andn2_saveexec_b64 s[0:1], s[0:1]
	s_cbranch_execz .LBB98_60
; %bb.59:
	buffer_load_dword v81, off, s[24:27], 0 offset:352 ; 4-byte Folded Reload
	buffer_load_dword v82, off, s[24:27], 0 offset:356 ; 4-byte Folded Reload
	;; [unrolled: 1-line block ×4, first 2 shown]
	v_mov_b32_e32 v92, 2
	s_waitcnt vmcnt(0)
	ds_write2_b64 v90, v[81:82], v[83:84] offset0:6 offset1:7
	buffer_load_dword v81, off, s[24:27], 0 offset:336 ; 4-byte Folded Reload
	buffer_load_dword v82, off, s[24:27], 0 offset:340 ; 4-byte Folded Reload
	buffer_load_dword v83, off, s[24:27], 0 offset:344 ; 4-byte Folded Reload
	buffer_load_dword v84, off, s[24:27], 0 offset:348 ; 4-byte Folded Reload
	s_waitcnt vmcnt(0)
	ds_write2_b64 v90, v[81:82], v[83:84] offset0:8 offset1:9
	buffer_load_dword v81, off, s[24:27], 0 offset:320 ; 4-byte Folded Reload
	buffer_load_dword v82, off, s[24:27], 0 offset:324 ; 4-byte Folded Reload
	buffer_load_dword v83, off, s[24:27], 0 offset:328 ; 4-byte Folded Reload
	buffer_load_dword v84, off, s[24:27], 0 offset:332 ; 4-byte Folded Reload
	;; [unrolled: 6-line block ×21, first 2 shown]
	s_waitcnt vmcnt(0)
	ds_write2_b64 v90, v[81:82], v[83:84] offset0:48 offset1:49
	buffer_load_dword v81, off, s[24:27], 0 ; 4-byte Folded Reload
	buffer_load_dword v82, off, s[24:27], 0 offset:4 ; 4-byte Folded Reload
	buffer_load_dword v83, off, s[24:27], 0 offset:8 ; 4-byte Folded Reload
	;; [unrolled: 1-line block ×3, first 2 shown]
	s_waitcnt vmcnt(0)
	ds_write2_b64 v90, v[81:82], v[83:84] offset0:50 offset1:51
	ds_write2_b64 v90, v[107:108], v[109:110] offset0:52 offset1:53
	;; [unrolled: 1-line block ×25, first 2 shown]
.LBB98_60:
	s_or_b64 exec, exec, s[0:1]
	v_cmp_lt_i32_e32 vcc, 2, v92
	s_waitcnt vmcnt(0) lgkmcnt(0)
	s_barrier
	s_and_saveexec_b64 s[0:1], vcc
	s_cbranch_execz .LBB98_62
; %bb.61:
	buffer_load_dword v100, off, s[24:27], 0 offset:376 ; 4-byte Folded Reload
	buffer_load_dword v101, off, s[24:27], 0 offset:380 ; 4-byte Folded Reload
	;; [unrolled: 1-line block ×4, first 2 shown]
	s_waitcnt vmcnt(0)
	v_mul_f64 v[93:94], v[119:120], v[102:103]
	v_fma_f64 v[125:126], v[117:118], v[100:101], -v[93:94]
	v_mul_f64 v[93:94], v[117:118], v[102:103]
	v_fma_f64 v[102:103], v[119:120], v[100:101], v[93:94]
	ds_read2_b64 v[93:96], v90 offset0:6 offset1:7
	buffer_load_dword v81, off, s[24:27], 0 offset:352 ; 4-byte Folded Reload
	buffer_load_dword v82, off, s[24:27], 0 offset:356 ; 4-byte Folded Reload
	buffer_load_dword v83, off, s[24:27], 0 offset:360 ; 4-byte Folded Reload
	buffer_load_dword v84, off, s[24:27], 0 offset:364 ; 4-byte Folded Reload
	s_waitcnt lgkmcnt(0)
	v_mul_f64 v[98:99], v[95:96], v[102:103]
	v_fma_f64 v[98:99], v[93:94], v[125:126], -v[98:99]
	v_mul_f64 v[93:94], v[93:94], v[102:103]
	v_fma_f64 v[93:94], v[95:96], v[125:126], v[93:94]
	s_waitcnt vmcnt(2)
	v_add_f64 v[81:82], v[81:82], -v[98:99]
	s_waitcnt vmcnt(0)
	v_add_f64 v[83:84], v[83:84], -v[93:94]
	buffer_store_dword v81, off, s[24:27], 0 offset:352 ; 4-byte Folded Spill
	s_nop 0
	buffer_store_dword v82, off, s[24:27], 0 offset:356 ; 4-byte Folded Spill
	buffer_store_dword v83, off, s[24:27], 0 offset:360 ; 4-byte Folded Spill
	buffer_store_dword v84, off, s[24:27], 0 offset:364 ; 4-byte Folded Spill
	ds_read2_b64 v[93:96], v90 offset0:8 offset1:9
	buffer_load_dword v81, off, s[24:27], 0 offset:336 ; 4-byte Folded Reload
	buffer_load_dword v82, off, s[24:27], 0 offset:340 ; 4-byte Folded Reload
	buffer_load_dword v83, off, s[24:27], 0 offset:344 ; 4-byte Folded Reload
	buffer_load_dword v84, off, s[24:27], 0 offset:348 ; 4-byte Folded Reload
	s_waitcnt lgkmcnt(0)
	v_mul_f64 v[98:99], v[95:96], v[102:103]
	v_fma_f64 v[98:99], v[93:94], v[125:126], -v[98:99]
	v_mul_f64 v[93:94], v[93:94], v[102:103]
	v_fma_f64 v[93:94], v[95:96], v[125:126], v[93:94]
	s_waitcnt vmcnt(2)
	v_add_f64 v[81:82], v[81:82], -v[98:99]
	s_waitcnt vmcnt(0)
	v_add_f64 v[83:84], v[83:84], -v[93:94]
	buffer_store_dword v81, off, s[24:27], 0 offset:336 ; 4-byte Folded Spill
	s_nop 0
	buffer_store_dword v82, off, s[24:27], 0 offset:340 ; 4-byte Folded Spill
	buffer_store_dword v83, off, s[24:27], 0 offset:344 ; 4-byte Folded Spill
	buffer_store_dword v84, off, s[24:27], 0 offset:348 ; 4-byte Folded Spill
	;; [unrolled: 19-line block ×22, first 2 shown]
	ds_read2_b64 v[93:96], v90 offset0:50 offset1:51
	buffer_load_dword v81, off, s[24:27], 0 ; 4-byte Folded Reload
	buffer_load_dword v82, off, s[24:27], 0 offset:4 ; 4-byte Folded Reload
	buffer_load_dword v83, off, s[24:27], 0 offset:8 ; 4-byte Folded Reload
	;; [unrolled: 1-line block ×3, first 2 shown]
	s_waitcnt lgkmcnt(0)
	v_mul_f64 v[98:99], v[95:96], v[102:103]
	v_fma_f64 v[98:99], v[93:94], v[125:126], -v[98:99]
	v_mul_f64 v[93:94], v[93:94], v[102:103]
	v_fma_f64 v[93:94], v[95:96], v[125:126], v[93:94]
	s_waitcnt vmcnt(2)
	v_add_f64 v[81:82], v[81:82], -v[98:99]
	s_waitcnt vmcnt(0)
	v_add_f64 v[83:84], v[83:84], -v[93:94]
	buffer_store_dword v81, off, s[24:27], 0 ; 4-byte Folded Spill
	s_nop 0
	buffer_store_dword v82, off, s[24:27], 0 offset:4 ; 4-byte Folded Spill
	buffer_store_dword v83, off, s[24:27], 0 offset:8 ; 4-byte Folded Spill
	;; [unrolled: 1-line block ×3, first 2 shown]
	ds_read2_b64 v[93:96], v90 offset0:52 offset1:53
	s_waitcnt lgkmcnt(0)
	v_mul_f64 v[98:99], v[95:96], v[102:103]
	v_fma_f64 v[98:99], v[93:94], v[125:126], -v[98:99]
	v_mul_f64 v[93:94], v[93:94], v[102:103]
	v_add_f64 v[107:108], v[107:108], -v[98:99]
	v_fma_f64 v[93:94], v[95:96], v[125:126], v[93:94]
	v_add_f64 v[109:110], v[109:110], -v[93:94]
	ds_read2_b64 v[93:96], v90 offset0:54 offset1:55
	s_waitcnt lgkmcnt(0)
	v_mul_f64 v[98:99], v[95:96], v[102:103]
	v_fma_f64 v[98:99], v[93:94], v[125:126], -v[98:99]
	v_mul_f64 v[93:94], v[93:94], v[102:103]
	v_add_f64 v[113:114], v[113:114], -v[98:99]
	v_fma_f64 v[93:94], v[95:96], v[125:126], v[93:94]
	v_add_f64 v[115:116], v[115:116], -v[93:94]
	;; [unrolled: 8-line block ×22, first 2 shown]
	ds_read2_b64 v[93:96], v90 offset0:96 offset1:97
	s_waitcnt lgkmcnt(0)
	v_mul_f64 v[98:99], v[95:96], v[102:103]
	v_fma_f64 v[98:99], v[93:94], v[125:126], -v[98:99]
	v_mul_f64 v[93:94], v[93:94], v[102:103]
	v_add_f64 v[1:2], v[1:2], -v[98:99]
	v_fma_f64 v[93:94], v[95:96], v[125:126], v[93:94]
	ds_read2_b64 v[98:101], v90 offset0:98 offset1:99
	s_waitcnt lgkmcnt(0)
	v_mul_f64 v[95:96], v[98:99], v[102:103]
	v_add_f64 v[3:4], v[3:4], -v[93:94]
	v_mul_f64 v[93:94], v[100:101], v[102:103]
	v_fma_f64 v[95:96], v[100:101], v[125:126], v[95:96]
	v_mov_b32_e32 v100, v125
	v_mov_b32_e32 v101, v126
	v_fma_f64 v[93:94], v[98:99], v[125:126], -v[93:94]
	buffer_store_dword v100, off, s[24:27], 0 offset:376 ; 4-byte Folded Spill
	s_nop 0
	buffer_store_dword v101, off, s[24:27], 0 offset:380 ; 4-byte Folded Spill
	buffer_store_dword v102, off, s[24:27], 0 offset:384 ; 4-byte Folded Spill
	;; [unrolled: 1-line block ×3, first 2 shown]
	v_add_f64 v[123:124], v[123:124], -v[95:96]
	v_add_f64 v[121:122], v[121:122], -v[93:94]
.LBB98_62:
	s_or_b64 exec, exec, s[0:1]
	s_waitcnt vmcnt(0)
	s_barrier
	buffer_load_dword v81, off, s[24:27], 0 offset:352 ; 4-byte Folded Reload
	buffer_load_dword v82, off, s[24:27], 0 offset:356 ; 4-byte Folded Reload
	buffer_load_dword v83, off, s[24:27], 0 offset:360 ; 4-byte Folded Reload
	buffer_load_dword v84, off, s[24:27], 0 offset:364 ; 4-byte Folded Reload
	v_lshl_add_u32 v93, v92, 4, v90
	s_mov_b32 s0, 4
	s_cmp_lt_i32 s3, 5
	s_waitcnt vmcnt(0)
	ds_write2_b64 v93, v[81:82], v[83:84] offset1:1
	s_waitcnt lgkmcnt(0)
	s_barrier
	ds_read2_b64 v[117:120], v90 offset0:6 offset1:7
	v_mov_b32_e32 v93, 3
	s_cbranch_scc1 .LBB98_65
; %bb.63:
	v_add3_u32 v94, v97, 0, 64
	v_mov_b32_e32 v93, 3
.LBB98_64:                              ; =>This Inner Loop Header: Depth=1
	s_waitcnt lgkmcnt(0)
	v_cmp_gt_f64_e32 vcc, 0, v[117:118]
	v_xor_b32_e32 v99, 0x80000000, v118
	ds_read2_b64 v[95:98], v94 offset1:1
	v_xor_b32_e32 v101, 0x80000000, v120
	v_add_u32_e32 v94, 16, v94
	s_waitcnt lgkmcnt(0)
	v_xor_b32_e32 v103, 0x80000000, v98
	v_cndmask_b32_e32 v100, v118, v99, vcc
	v_cmp_gt_f64_e32 vcc, 0, v[119:120]
	v_mov_b32_e32 v99, v117
	v_cndmask_b32_e32 v102, v120, v101, vcc
	v_cmp_gt_f64_e32 vcc, 0, v[95:96]
	v_mov_b32_e32 v101, v119
	v_add_f64 v[99:100], v[99:100], v[101:102]
	v_xor_b32_e32 v101, 0x80000000, v96
	v_cndmask_b32_e32 v102, v96, v101, vcc
	v_cmp_gt_f64_e32 vcc, 0, v[97:98]
	v_mov_b32_e32 v101, v95
	v_cndmask_b32_e32 v104, v98, v103, vcc
	v_mov_b32_e32 v103, v97
	v_add_f64 v[101:102], v[101:102], v[103:104]
	v_cmp_lt_f64_e32 vcc, v[99:100], v[101:102]
	v_cndmask_b32_e32 v117, v117, v95, vcc
	v_mov_b32_e32 v95, s0
	s_add_i32 s0, s0, 1
	v_cndmask_b32_e32 v118, v118, v96, vcc
	v_cndmask_b32_e32 v120, v120, v98, vcc
	;; [unrolled: 1-line block ×4, first 2 shown]
	s_cmp_lg_u32 s3, s0
	s_cbranch_scc1 .LBB98_64
.LBB98_65:
	s_waitcnt lgkmcnt(0)
	v_cmp_eq_f64_e32 vcc, 0, v[117:118]
	v_cmp_eq_f64_e64 s[0:1], 0, v[119:120]
	s_and_b64 s[0:1], vcc, s[0:1]
	s_and_saveexec_b64 s[18:19], s[0:1]
	s_xor_b64 s[0:1], exec, s[18:19]
; %bb.66:
	v_cmp_ne_u32_e32 vcc, 0, v91
	v_cndmask_b32_e32 v91, 4, v91, vcc
; %bb.67:
	s_andn2_saveexec_b64 s[0:1], s[0:1]
	s_cbranch_execz .LBB98_73
; %bb.68:
	v_cmp_ngt_f64_e64 s[18:19], |v[117:118]|, |v[119:120]|
	s_and_saveexec_b64 s[20:21], s[18:19]
	s_xor_b64 s[18:19], exec, s[20:21]
	s_cbranch_execz .LBB98_70
; %bb.69:
	v_div_scale_f64 v[94:95], s[20:21], v[119:120], v[119:120], v[117:118]
	v_rcp_f64_e32 v[96:97], v[94:95]
	v_fma_f64 v[98:99], -v[94:95], v[96:97], 1.0
	v_fma_f64 v[96:97], v[96:97], v[98:99], v[96:97]
	v_div_scale_f64 v[98:99], vcc, v[117:118], v[119:120], v[117:118]
	v_fma_f64 v[100:101], -v[94:95], v[96:97], 1.0
	v_fma_f64 v[96:97], v[96:97], v[100:101], v[96:97]
	v_mul_f64 v[100:101], v[98:99], v[96:97]
	v_fma_f64 v[94:95], -v[94:95], v[100:101], v[98:99]
	v_div_fmas_f64 v[94:95], v[94:95], v[96:97], v[100:101]
	v_div_fixup_f64 v[94:95], v[94:95], v[119:120], v[117:118]
	v_fma_f64 v[96:97], v[117:118], v[94:95], v[119:120]
	v_div_scale_f64 v[98:99], s[20:21], v[96:97], v[96:97], 1.0
	v_div_scale_f64 v[104:105], vcc, 1.0, v[96:97], 1.0
	v_rcp_f64_e32 v[100:101], v[98:99]
	v_fma_f64 v[102:103], -v[98:99], v[100:101], 1.0
	v_fma_f64 v[100:101], v[100:101], v[102:103], v[100:101]
	v_fma_f64 v[102:103], -v[98:99], v[100:101], 1.0
	v_fma_f64 v[100:101], v[100:101], v[102:103], v[100:101]
	v_mul_f64 v[102:103], v[104:105], v[100:101]
	v_fma_f64 v[98:99], -v[98:99], v[102:103], v[104:105]
	v_div_fmas_f64 v[98:99], v[98:99], v[100:101], v[102:103]
	v_div_fixup_f64 v[119:120], v[98:99], v[96:97], 1.0
	v_mul_f64 v[117:118], v[94:95], v[119:120]
	v_xor_b32_e32 v120, 0x80000000, v120
.LBB98_70:
	s_andn2_saveexec_b64 s[18:19], s[18:19]
	s_cbranch_execz .LBB98_72
; %bb.71:
	v_div_scale_f64 v[94:95], s[20:21], v[117:118], v[117:118], v[119:120]
	v_rcp_f64_e32 v[96:97], v[94:95]
	v_fma_f64 v[98:99], -v[94:95], v[96:97], 1.0
	v_fma_f64 v[96:97], v[96:97], v[98:99], v[96:97]
	v_div_scale_f64 v[98:99], vcc, v[119:120], v[117:118], v[119:120]
	v_fma_f64 v[100:101], -v[94:95], v[96:97], 1.0
	v_fma_f64 v[96:97], v[96:97], v[100:101], v[96:97]
	v_mul_f64 v[100:101], v[98:99], v[96:97]
	v_fma_f64 v[94:95], -v[94:95], v[100:101], v[98:99]
	v_div_fmas_f64 v[94:95], v[94:95], v[96:97], v[100:101]
	v_div_fixup_f64 v[94:95], v[94:95], v[117:118], v[119:120]
	v_fma_f64 v[96:97], v[119:120], v[94:95], v[117:118]
	v_div_scale_f64 v[98:99], s[20:21], v[96:97], v[96:97], 1.0
	v_div_scale_f64 v[104:105], vcc, 1.0, v[96:97], 1.0
	v_rcp_f64_e32 v[100:101], v[98:99]
	v_fma_f64 v[102:103], -v[98:99], v[100:101], 1.0
	v_fma_f64 v[100:101], v[100:101], v[102:103], v[100:101]
	v_fma_f64 v[102:103], -v[98:99], v[100:101], 1.0
	v_fma_f64 v[100:101], v[100:101], v[102:103], v[100:101]
	v_mul_f64 v[102:103], v[104:105], v[100:101]
	v_fma_f64 v[98:99], -v[98:99], v[102:103], v[104:105]
	v_div_fmas_f64 v[98:99], v[98:99], v[100:101], v[102:103]
	v_div_fixup_f64 v[117:118], v[98:99], v[96:97], 1.0
	v_mul_f64 v[119:120], v[94:95], -v[117:118]
.LBB98_72:
	s_or_b64 exec, exec, s[18:19]
.LBB98_73:
	s_or_b64 exec, exec, s[0:1]
	v_cmp_ne_u32_e32 vcc, v92, v93
	s_and_saveexec_b64 s[0:1], vcc
	s_xor_b64 s[0:1], exec, s[0:1]
	s_cbranch_execz .LBB98_79
; %bb.74:
	v_cmp_eq_u32_e32 vcc, 3, v92
	s_and_saveexec_b64 s[18:19], vcc
	s_cbranch_execz .LBB98_78
; %bb.75:
	v_cmp_ne_u32_e32 vcc, 3, v93
	s_xor_b64 s[20:21], s[6:7], -1
	s_and_b64 s[22:23], s[20:21], vcc
	s_and_saveexec_b64 s[20:21], s[22:23]
	s_cbranch_execz .LBB98_77
; %bb.76:
	buffer_load_dword v81, off, s[24:27], 0 offset:368 ; 4-byte Folded Reload
	buffer_load_dword v82, off, s[24:27], 0 offset:372 ; 4-byte Folded Reload
	v_ashrrev_i32_e32 v94, 31, v93
	v_lshlrev_b64 v[94:95], 2, v[93:94]
	s_waitcnt vmcnt(1)
	v_add_co_u32_e32 v94, vcc, v81, v94
	s_waitcnt vmcnt(0)
	v_addc_co_u32_e32 v95, vcc, v82, v95, vcc
	global_load_dword v0, v[94:95], off
	global_load_dword v92, v[81:82], off offset:12
	s_waitcnt vmcnt(1)
	global_store_dword v[81:82], v0, off offset:12
	s_waitcnt vmcnt(1)
	global_store_dword v[94:95], v92, off
.LBB98_77:
	s_or_b64 exec, exec, s[20:21]
	v_mov_b32_e32 v92, v93
	v_mov_b32_e32 v0, v93
.LBB98_78:
	s_or_b64 exec, exec, s[18:19]
.LBB98_79:
	s_andn2_saveexec_b64 s[0:1], s[0:1]
	s_cbranch_execz .LBB98_81
; %bb.80:
	buffer_load_dword v81, off, s[24:27], 0 offset:336 ; 4-byte Folded Reload
	buffer_load_dword v82, off, s[24:27], 0 offset:340 ; 4-byte Folded Reload
	;; [unrolled: 1-line block ×4, first 2 shown]
	v_mov_b32_e32 v92, 3
	s_waitcnt vmcnt(0)
	ds_write2_b64 v90, v[81:82], v[83:84] offset0:8 offset1:9
	buffer_load_dword v81, off, s[24:27], 0 offset:320 ; 4-byte Folded Reload
	buffer_load_dword v82, off, s[24:27], 0 offset:324 ; 4-byte Folded Reload
	buffer_load_dword v83, off, s[24:27], 0 offset:328 ; 4-byte Folded Reload
	buffer_load_dword v84, off, s[24:27], 0 offset:332 ; 4-byte Folded Reload
	s_waitcnt vmcnt(0)
	ds_write2_b64 v90, v[81:82], v[83:84] offset0:10 offset1:11
	buffer_load_dword v81, off, s[24:27], 0 offset:304 ; 4-byte Folded Reload
	buffer_load_dword v82, off, s[24:27], 0 offset:308 ; 4-byte Folded Reload
	buffer_load_dword v83, off, s[24:27], 0 offset:312 ; 4-byte Folded Reload
	buffer_load_dword v84, off, s[24:27], 0 offset:316 ; 4-byte Folded Reload
	;; [unrolled: 6-line block ×20, first 2 shown]
	s_waitcnt vmcnt(0)
	ds_write2_b64 v90, v[81:82], v[83:84] offset0:48 offset1:49
	buffer_load_dword v81, off, s[24:27], 0 ; 4-byte Folded Reload
	buffer_load_dword v82, off, s[24:27], 0 offset:4 ; 4-byte Folded Reload
	buffer_load_dword v83, off, s[24:27], 0 offset:8 ; 4-byte Folded Reload
	;; [unrolled: 1-line block ×3, first 2 shown]
	s_waitcnt vmcnt(0)
	ds_write2_b64 v90, v[81:82], v[83:84] offset0:50 offset1:51
	ds_write2_b64 v90, v[107:108], v[109:110] offset0:52 offset1:53
	;; [unrolled: 1-line block ×25, first 2 shown]
.LBB98_81:
	s_or_b64 exec, exec, s[0:1]
	v_cmp_lt_i32_e32 vcc, 3, v92
	s_waitcnt vmcnt(0) lgkmcnt(0)
	s_barrier
	s_and_saveexec_b64 s[0:1], vcc
	s_cbranch_execz .LBB98_83
; %bb.82:
	buffer_load_dword v97, off, s[24:27], 0 offset:352 ; 4-byte Folded Reload
	buffer_load_dword v98, off, s[24:27], 0 offset:356 ; 4-byte Folded Reload
	;; [unrolled: 1-line block ×4, first 2 shown]
	s_waitcnt vmcnt(0)
	v_mul_f64 v[93:94], v[119:120], v[99:100]
	v_fma_f64 v[125:126], v[117:118], v[97:98], -v[93:94]
	v_mul_f64 v[93:94], v[117:118], v[99:100]
	v_fma_f64 v[99:100], v[119:120], v[97:98], v[93:94]
	ds_read2_b64 v[93:96], v90 offset0:8 offset1:9
	buffer_load_dword v81, off, s[24:27], 0 offset:336 ; 4-byte Folded Reload
	buffer_load_dword v82, off, s[24:27], 0 offset:340 ; 4-byte Folded Reload
	buffer_load_dword v83, off, s[24:27], 0 offset:344 ; 4-byte Folded Reload
	buffer_load_dword v84, off, s[24:27], 0 offset:348 ; 4-byte Folded Reload
	s_waitcnt lgkmcnt(0)
	v_mul_f64 v[97:98], v[95:96], v[99:100]
	v_fma_f64 v[97:98], v[93:94], v[125:126], -v[97:98]
	v_mul_f64 v[93:94], v[93:94], v[99:100]
	v_fma_f64 v[93:94], v[95:96], v[125:126], v[93:94]
	s_waitcnt vmcnt(2)
	v_add_f64 v[81:82], v[81:82], -v[97:98]
	s_waitcnt vmcnt(0)
	v_add_f64 v[83:84], v[83:84], -v[93:94]
	buffer_store_dword v81, off, s[24:27], 0 offset:336 ; 4-byte Folded Spill
	s_nop 0
	buffer_store_dword v82, off, s[24:27], 0 offset:340 ; 4-byte Folded Spill
	buffer_store_dword v83, off, s[24:27], 0 offset:344 ; 4-byte Folded Spill
	buffer_store_dword v84, off, s[24:27], 0 offset:348 ; 4-byte Folded Spill
	ds_read2_b64 v[93:96], v90 offset0:10 offset1:11
	buffer_load_dword v81, off, s[24:27], 0 offset:320 ; 4-byte Folded Reload
	buffer_load_dword v82, off, s[24:27], 0 offset:324 ; 4-byte Folded Reload
	buffer_load_dword v83, off, s[24:27], 0 offset:328 ; 4-byte Folded Reload
	buffer_load_dword v84, off, s[24:27], 0 offset:332 ; 4-byte Folded Reload
	s_waitcnt lgkmcnt(0)
	v_mul_f64 v[97:98], v[95:96], v[99:100]
	v_fma_f64 v[97:98], v[93:94], v[125:126], -v[97:98]
	v_mul_f64 v[93:94], v[93:94], v[99:100]
	v_fma_f64 v[93:94], v[95:96], v[125:126], v[93:94]
	s_waitcnt vmcnt(2)
	v_add_f64 v[81:82], v[81:82], -v[97:98]
	s_waitcnt vmcnt(0)
	v_add_f64 v[83:84], v[83:84], -v[93:94]
	buffer_store_dword v81, off, s[24:27], 0 offset:320 ; 4-byte Folded Spill
	s_nop 0
	buffer_store_dword v82, off, s[24:27], 0 offset:324 ; 4-byte Folded Spill
	buffer_store_dword v83, off, s[24:27], 0 offset:328 ; 4-byte Folded Spill
	buffer_store_dword v84, off, s[24:27], 0 offset:332 ; 4-byte Folded Spill
	;; [unrolled: 19-line block ×21, first 2 shown]
	ds_read2_b64 v[93:96], v90 offset0:50 offset1:51
	buffer_load_dword v81, off, s[24:27], 0 ; 4-byte Folded Reload
	buffer_load_dword v82, off, s[24:27], 0 offset:4 ; 4-byte Folded Reload
	buffer_load_dword v83, off, s[24:27], 0 offset:8 ; 4-byte Folded Reload
	;; [unrolled: 1-line block ×3, first 2 shown]
	s_waitcnt lgkmcnt(0)
	v_mul_f64 v[97:98], v[95:96], v[99:100]
	v_fma_f64 v[97:98], v[93:94], v[125:126], -v[97:98]
	v_mul_f64 v[93:94], v[93:94], v[99:100]
	v_fma_f64 v[93:94], v[95:96], v[125:126], v[93:94]
	s_waitcnt vmcnt(2)
	v_add_f64 v[81:82], v[81:82], -v[97:98]
	s_waitcnt vmcnt(0)
	v_add_f64 v[83:84], v[83:84], -v[93:94]
	buffer_store_dword v81, off, s[24:27], 0 ; 4-byte Folded Spill
	s_nop 0
	buffer_store_dword v82, off, s[24:27], 0 offset:4 ; 4-byte Folded Spill
	buffer_store_dword v83, off, s[24:27], 0 offset:8 ; 4-byte Folded Spill
	;; [unrolled: 1-line block ×3, first 2 shown]
	ds_read2_b64 v[93:96], v90 offset0:52 offset1:53
	s_waitcnt lgkmcnt(0)
	v_mul_f64 v[97:98], v[95:96], v[99:100]
	v_fma_f64 v[97:98], v[93:94], v[125:126], -v[97:98]
	v_mul_f64 v[93:94], v[93:94], v[99:100]
	v_add_f64 v[107:108], v[107:108], -v[97:98]
	v_fma_f64 v[93:94], v[95:96], v[125:126], v[93:94]
	v_add_f64 v[109:110], v[109:110], -v[93:94]
	ds_read2_b64 v[93:96], v90 offset0:54 offset1:55
	s_waitcnt lgkmcnt(0)
	v_mul_f64 v[97:98], v[95:96], v[99:100]
	v_fma_f64 v[97:98], v[93:94], v[125:126], -v[97:98]
	v_mul_f64 v[93:94], v[93:94], v[99:100]
	v_add_f64 v[113:114], v[113:114], -v[97:98]
	v_fma_f64 v[93:94], v[95:96], v[125:126], v[93:94]
	v_add_f64 v[115:116], v[115:116], -v[93:94]
	;; [unrolled: 8-line block ×22, first 2 shown]
	ds_read2_b64 v[93:96], v90 offset0:96 offset1:97
	s_waitcnt lgkmcnt(0)
	v_mul_f64 v[97:98], v[95:96], v[99:100]
	v_fma_f64 v[97:98], v[93:94], v[125:126], -v[97:98]
	v_mul_f64 v[93:94], v[93:94], v[99:100]
	v_add_f64 v[1:2], v[1:2], -v[97:98]
	v_fma_f64 v[93:94], v[95:96], v[125:126], v[93:94]
	ds_read2_b64 v[95:98], v90 offset0:98 offset1:99
	v_add_f64 v[3:4], v[3:4], -v[93:94]
	s_waitcnt lgkmcnt(0)
	v_mul_f64 v[93:94], v[97:98], v[99:100]
	v_fma_f64 v[93:94], v[95:96], v[125:126], -v[93:94]
	v_mul_f64 v[95:96], v[95:96], v[99:100]
	v_add_f64 v[121:122], v[121:122], -v[93:94]
	v_fma_f64 v[95:96], v[97:98], v[125:126], v[95:96]
	v_mov_b32_e32 v97, v125
	v_mov_b32_e32 v98, v126
	buffer_store_dword v97, off, s[24:27], 0 offset:352 ; 4-byte Folded Spill
	s_nop 0
	buffer_store_dword v98, off, s[24:27], 0 offset:356 ; 4-byte Folded Spill
	buffer_store_dword v99, off, s[24:27], 0 offset:360 ; 4-byte Folded Spill
	;; [unrolled: 1-line block ×3, first 2 shown]
	v_add_f64 v[123:124], v[123:124], -v[95:96]
.LBB98_83:
	s_or_b64 exec, exec, s[0:1]
	s_waitcnt vmcnt(0)
	s_barrier
	buffer_load_dword v81, off, s[24:27], 0 offset:336 ; 4-byte Folded Reload
	buffer_load_dword v82, off, s[24:27], 0 offset:340 ; 4-byte Folded Reload
	;; [unrolled: 1-line block ×4, first 2 shown]
	v_lshl_add_u32 v93, v92, 4, v90
	s_cmp_lt_i32 s3, 6
	s_waitcnt vmcnt(0)
	ds_write2_b64 v93, v[81:82], v[83:84] offset1:1
	s_waitcnt lgkmcnt(0)
	s_barrier
	ds_read2_b64 v[117:120], v90 offset0:8 offset1:9
	v_mov_b32_e32 v93, 4
	s_cbranch_scc1 .LBB98_86
; %bb.84:
	v_mov_b32_e32 v93, 4
	v_add_u32_e32 v94, 0x50, v90
	s_mov_b32 s0, 5
.LBB98_85:                              ; =>This Inner Loop Header: Depth=1
	s_waitcnt lgkmcnt(0)
	v_cmp_gt_f64_e32 vcc, 0, v[117:118]
	v_xor_b32_e32 v99, 0x80000000, v118
	ds_read2_b64 v[95:98], v94 offset1:1
	v_xor_b32_e32 v101, 0x80000000, v120
	v_add_u32_e32 v94, 16, v94
	s_waitcnt lgkmcnt(0)
	v_xor_b32_e32 v103, 0x80000000, v98
	v_cndmask_b32_e32 v100, v118, v99, vcc
	v_cmp_gt_f64_e32 vcc, 0, v[119:120]
	v_mov_b32_e32 v99, v117
	v_cndmask_b32_e32 v102, v120, v101, vcc
	v_cmp_gt_f64_e32 vcc, 0, v[95:96]
	v_mov_b32_e32 v101, v119
	v_add_f64 v[99:100], v[99:100], v[101:102]
	v_xor_b32_e32 v101, 0x80000000, v96
	v_cndmask_b32_e32 v102, v96, v101, vcc
	v_cmp_gt_f64_e32 vcc, 0, v[97:98]
	v_mov_b32_e32 v101, v95
	v_cndmask_b32_e32 v104, v98, v103, vcc
	v_mov_b32_e32 v103, v97
	v_add_f64 v[101:102], v[101:102], v[103:104]
	v_cmp_lt_f64_e32 vcc, v[99:100], v[101:102]
	v_cndmask_b32_e32 v117, v117, v95, vcc
	v_mov_b32_e32 v95, s0
	s_add_i32 s0, s0, 1
	v_cndmask_b32_e32 v118, v118, v96, vcc
	v_cndmask_b32_e32 v120, v120, v98, vcc
	;; [unrolled: 1-line block ×4, first 2 shown]
	s_cmp_lg_u32 s3, s0
	s_cbranch_scc1 .LBB98_85
.LBB98_86:
	s_waitcnt lgkmcnt(0)
	v_cmp_eq_f64_e32 vcc, 0, v[117:118]
	v_cmp_eq_f64_e64 s[0:1], 0, v[119:120]
	s_and_b64 s[0:1], vcc, s[0:1]
	s_and_saveexec_b64 s[18:19], s[0:1]
	s_xor_b64 s[0:1], exec, s[18:19]
; %bb.87:
	v_cmp_ne_u32_e32 vcc, 0, v91
	v_cndmask_b32_e32 v91, 5, v91, vcc
; %bb.88:
	s_andn2_saveexec_b64 s[0:1], s[0:1]
	s_cbranch_execz .LBB98_94
; %bb.89:
	v_cmp_ngt_f64_e64 s[18:19], |v[117:118]|, |v[119:120]|
	s_and_saveexec_b64 s[20:21], s[18:19]
	s_xor_b64 s[18:19], exec, s[20:21]
	s_cbranch_execz .LBB98_91
; %bb.90:
	v_div_scale_f64 v[94:95], s[20:21], v[119:120], v[119:120], v[117:118]
	v_rcp_f64_e32 v[96:97], v[94:95]
	v_fma_f64 v[98:99], -v[94:95], v[96:97], 1.0
	v_fma_f64 v[96:97], v[96:97], v[98:99], v[96:97]
	v_div_scale_f64 v[98:99], vcc, v[117:118], v[119:120], v[117:118]
	v_fma_f64 v[100:101], -v[94:95], v[96:97], 1.0
	v_fma_f64 v[96:97], v[96:97], v[100:101], v[96:97]
	v_mul_f64 v[100:101], v[98:99], v[96:97]
	v_fma_f64 v[94:95], -v[94:95], v[100:101], v[98:99]
	v_div_fmas_f64 v[94:95], v[94:95], v[96:97], v[100:101]
	v_div_fixup_f64 v[94:95], v[94:95], v[119:120], v[117:118]
	v_fma_f64 v[96:97], v[117:118], v[94:95], v[119:120]
	v_div_scale_f64 v[98:99], s[20:21], v[96:97], v[96:97], 1.0
	v_div_scale_f64 v[104:105], vcc, 1.0, v[96:97], 1.0
	v_rcp_f64_e32 v[100:101], v[98:99]
	v_fma_f64 v[102:103], -v[98:99], v[100:101], 1.0
	v_fma_f64 v[100:101], v[100:101], v[102:103], v[100:101]
	v_fma_f64 v[102:103], -v[98:99], v[100:101], 1.0
	v_fma_f64 v[100:101], v[100:101], v[102:103], v[100:101]
	v_mul_f64 v[102:103], v[104:105], v[100:101]
	v_fma_f64 v[98:99], -v[98:99], v[102:103], v[104:105]
	v_div_fmas_f64 v[98:99], v[98:99], v[100:101], v[102:103]
	v_div_fixup_f64 v[119:120], v[98:99], v[96:97], 1.0
	v_mul_f64 v[117:118], v[94:95], v[119:120]
	v_xor_b32_e32 v120, 0x80000000, v120
.LBB98_91:
	s_andn2_saveexec_b64 s[18:19], s[18:19]
	s_cbranch_execz .LBB98_93
; %bb.92:
	v_div_scale_f64 v[94:95], s[20:21], v[117:118], v[117:118], v[119:120]
	v_rcp_f64_e32 v[96:97], v[94:95]
	v_fma_f64 v[98:99], -v[94:95], v[96:97], 1.0
	v_fma_f64 v[96:97], v[96:97], v[98:99], v[96:97]
	v_div_scale_f64 v[98:99], vcc, v[119:120], v[117:118], v[119:120]
	v_fma_f64 v[100:101], -v[94:95], v[96:97], 1.0
	v_fma_f64 v[96:97], v[96:97], v[100:101], v[96:97]
	v_mul_f64 v[100:101], v[98:99], v[96:97]
	v_fma_f64 v[94:95], -v[94:95], v[100:101], v[98:99]
	v_div_fmas_f64 v[94:95], v[94:95], v[96:97], v[100:101]
	v_div_fixup_f64 v[94:95], v[94:95], v[117:118], v[119:120]
	v_fma_f64 v[96:97], v[119:120], v[94:95], v[117:118]
	v_div_scale_f64 v[98:99], s[20:21], v[96:97], v[96:97], 1.0
	v_div_scale_f64 v[104:105], vcc, 1.0, v[96:97], 1.0
	v_rcp_f64_e32 v[100:101], v[98:99]
	v_fma_f64 v[102:103], -v[98:99], v[100:101], 1.0
	v_fma_f64 v[100:101], v[100:101], v[102:103], v[100:101]
	v_fma_f64 v[102:103], -v[98:99], v[100:101], 1.0
	v_fma_f64 v[100:101], v[100:101], v[102:103], v[100:101]
	v_mul_f64 v[102:103], v[104:105], v[100:101]
	v_fma_f64 v[98:99], -v[98:99], v[102:103], v[104:105]
	v_div_fmas_f64 v[98:99], v[98:99], v[100:101], v[102:103]
	v_div_fixup_f64 v[117:118], v[98:99], v[96:97], 1.0
	v_mul_f64 v[119:120], v[94:95], -v[117:118]
.LBB98_93:
	s_or_b64 exec, exec, s[18:19]
.LBB98_94:
	s_or_b64 exec, exec, s[0:1]
	v_cmp_ne_u32_e32 vcc, v92, v93
	s_and_saveexec_b64 s[0:1], vcc
	s_xor_b64 s[0:1], exec, s[0:1]
	s_cbranch_execz .LBB98_100
; %bb.95:
	v_cmp_eq_u32_e32 vcc, 4, v92
	s_and_saveexec_b64 s[18:19], vcc
	s_cbranch_execz .LBB98_99
; %bb.96:
	v_cmp_ne_u32_e32 vcc, 4, v93
	s_xor_b64 s[20:21], s[6:7], -1
	s_and_b64 s[22:23], s[20:21], vcc
	s_and_saveexec_b64 s[20:21], s[22:23]
	s_cbranch_execz .LBB98_98
; %bb.97:
	buffer_load_dword v81, off, s[24:27], 0 offset:368 ; 4-byte Folded Reload
	buffer_load_dword v82, off, s[24:27], 0 offset:372 ; 4-byte Folded Reload
	v_ashrrev_i32_e32 v94, 31, v93
	v_lshlrev_b64 v[94:95], 2, v[93:94]
	s_waitcnt vmcnt(1)
	v_add_co_u32_e32 v94, vcc, v81, v94
	s_waitcnt vmcnt(0)
	v_addc_co_u32_e32 v95, vcc, v82, v95, vcc
	global_load_dword v0, v[94:95], off
	global_load_dword v92, v[81:82], off offset:16
	s_waitcnt vmcnt(1)
	global_store_dword v[81:82], v0, off offset:16
	s_waitcnt vmcnt(1)
	global_store_dword v[94:95], v92, off
.LBB98_98:
	s_or_b64 exec, exec, s[20:21]
	v_mov_b32_e32 v92, v93
	v_mov_b32_e32 v0, v93
.LBB98_99:
	s_or_b64 exec, exec, s[18:19]
.LBB98_100:
	s_andn2_saveexec_b64 s[0:1], s[0:1]
	s_cbranch_execz .LBB98_102
; %bb.101:
	buffer_load_dword v81, off, s[24:27], 0 offset:320 ; 4-byte Folded Reload
	buffer_load_dword v82, off, s[24:27], 0 offset:324 ; 4-byte Folded Reload
	;; [unrolled: 1-line block ×4, first 2 shown]
	v_mov_b32_e32 v92, 4
	s_waitcnt vmcnt(0)
	ds_write2_b64 v90, v[81:82], v[83:84] offset0:10 offset1:11
	buffer_load_dword v81, off, s[24:27], 0 offset:304 ; 4-byte Folded Reload
	buffer_load_dword v82, off, s[24:27], 0 offset:308 ; 4-byte Folded Reload
	buffer_load_dword v83, off, s[24:27], 0 offset:312 ; 4-byte Folded Reload
	buffer_load_dword v84, off, s[24:27], 0 offset:316 ; 4-byte Folded Reload
	s_waitcnt vmcnt(0)
	ds_write2_b64 v90, v[81:82], v[83:84] offset0:12 offset1:13
	buffer_load_dword v81, off, s[24:27], 0 offset:288 ; 4-byte Folded Reload
	buffer_load_dword v82, off, s[24:27], 0 offset:292 ; 4-byte Folded Reload
	buffer_load_dword v83, off, s[24:27], 0 offset:296 ; 4-byte Folded Reload
	buffer_load_dword v84, off, s[24:27], 0 offset:300 ; 4-byte Folded Reload
	;; [unrolled: 6-line block ×19, first 2 shown]
	s_waitcnt vmcnt(0)
	ds_write2_b64 v90, v[81:82], v[83:84] offset0:48 offset1:49
	buffer_load_dword v81, off, s[24:27], 0 ; 4-byte Folded Reload
	buffer_load_dword v82, off, s[24:27], 0 offset:4 ; 4-byte Folded Reload
	buffer_load_dword v83, off, s[24:27], 0 offset:8 ; 4-byte Folded Reload
	buffer_load_dword v84, off, s[24:27], 0 offset:12 ; 4-byte Folded Reload
	s_waitcnt vmcnt(0)
	ds_write2_b64 v90, v[81:82], v[83:84] offset0:50 offset1:51
	ds_write2_b64 v90, v[107:108], v[109:110] offset0:52 offset1:53
	;; [unrolled: 1-line block ×25, first 2 shown]
.LBB98_102:
	s_or_b64 exec, exec, s[0:1]
	v_cmp_lt_i32_e32 vcc, 4, v92
	s_waitcnt vmcnt(0) lgkmcnt(0)
	s_barrier
	s_and_saveexec_b64 s[0:1], vcc
	s_cbranch_execz .LBB98_104
; %bb.103:
	buffer_load_dword v97, off, s[24:27], 0 offset:336 ; 4-byte Folded Reload
	buffer_load_dword v98, off, s[24:27], 0 offset:340 ; 4-byte Folded Reload
	buffer_load_dword v99, off, s[24:27], 0 offset:344 ; 4-byte Folded Reload
	buffer_load_dword v100, off, s[24:27], 0 offset:348 ; 4-byte Folded Reload
	s_waitcnt vmcnt(0)
	v_mul_f64 v[93:94], v[119:120], v[99:100]
	v_fma_f64 v[125:126], v[117:118], v[97:98], -v[93:94]
	v_mul_f64 v[93:94], v[117:118], v[99:100]
	v_fma_f64 v[99:100], v[119:120], v[97:98], v[93:94]
	ds_read2_b64 v[93:96], v90 offset0:10 offset1:11
	buffer_load_dword v81, off, s[24:27], 0 offset:320 ; 4-byte Folded Reload
	buffer_load_dword v82, off, s[24:27], 0 offset:324 ; 4-byte Folded Reload
	buffer_load_dword v83, off, s[24:27], 0 offset:328 ; 4-byte Folded Reload
	buffer_load_dword v84, off, s[24:27], 0 offset:332 ; 4-byte Folded Reload
	s_waitcnt lgkmcnt(0)
	v_mul_f64 v[97:98], v[95:96], v[99:100]
	v_fma_f64 v[97:98], v[93:94], v[125:126], -v[97:98]
	v_mul_f64 v[93:94], v[93:94], v[99:100]
	v_fma_f64 v[93:94], v[95:96], v[125:126], v[93:94]
	s_waitcnt vmcnt(2)
	v_add_f64 v[81:82], v[81:82], -v[97:98]
	s_waitcnt vmcnt(0)
	v_add_f64 v[83:84], v[83:84], -v[93:94]
	buffer_store_dword v81, off, s[24:27], 0 offset:320 ; 4-byte Folded Spill
	s_nop 0
	buffer_store_dword v82, off, s[24:27], 0 offset:324 ; 4-byte Folded Spill
	buffer_store_dword v83, off, s[24:27], 0 offset:328 ; 4-byte Folded Spill
	buffer_store_dword v84, off, s[24:27], 0 offset:332 ; 4-byte Folded Spill
	ds_read2_b64 v[93:96], v90 offset0:12 offset1:13
	buffer_load_dword v81, off, s[24:27], 0 offset:304 ; 4-byte Folded Reload
	buffer_load_dword v82, off, s[24:27], 0 offset:308 ; 4-byte Folded Reload
	buffer_load_dword v83, off, s[24:27], 0 offset:312 ; 4-byte Folded Reload
	buffer_load_dword v84, off, s[24:27], 0 offset:316 ; 4-byte Folded Reload
	s_waitcnt lgkmcnt(0)
	v_mul_f64 v[97:98], v[95:96], v[99:100]
	v_fma_f64 v[97:98], v[93:94], v[125:126], -v[97:98]
	v_mul_f64 v[93:94], v[93:94], v[99:100]
	v_fma_f64 v[93:94], v[95:96], v[125:126], v[93:94]
	s_waitcnt vmcnt(2)
	v_add_f64 v[81:82], v[81:82], -v[97:98]
	s_waitcnt vmcnt(0)
	v_add_f64 v[83:84], v[83:84], -v[93:94]
	buffer_store_dword v81, off, s[24:27], 0 offset:304 ; 4-byte Folded Spill
	s_nop 0
	buffer_store_dword v82, off, s[24:27], 0 offset:308 ; 4-byte Folded Spill
	buffer_store_dword v83, off, s[24:27], 0 offset:312 ; 4-byte Folded Spill
	buffer_store_dword v84, off, s[24:27], 0 offset:316 ; 4-byte Folded Spill
	;; [unrolled: 19-line block ×20, first 2 shown]
	ds_read2_b64 v[93:96], v90 offset0:50 offset1:51
	buffer_load_dword v81, off, s[24:27], 0 ; 4-byte Folded Reload
	buffer_load_dword v82, off, s[24:27], 0 offset:4 ; 4-byte Folded Reload
	buffer_load_dword v83, off, s[24:27], 0 offset:8 ; 4-byte Folded Reload
	;; [unrolled: 1-line block ×3, first 2 shown]
	s_waitcnt lgkmcnt(0)
	v_mul_f64 v[97:98], v[95:96], v[99:100]
	v_fma_f64 v[97:98], v[93:94], v[125:126], -v[97:98]
	v_mul_f64 v[93:94], v[93:94], v[99:100]
	v_fma_f64 v[93:94], v[95:96], v[125:126], v[93:94]
	s_waitcnt vmcnt(2)
	v_add_f64 v[81:82], v[81:82], -v[97:98]
	s_waitcnt vmcnt(0)
	v_add_f64 v[83:84], v[83:84], -v[93:94]
	buffer_store_dword v81, off, s[24:27], 0 ; 4-byte Folded Spill
	s_nop 0
	buffer_store_dword v82, off, s[24:27], 0 offset:4 ; 4-byte Folded Spill
	buffer_store_dword v83, off, s[24:27], 0 offset:8 ; 4-byte Folded Spill
	;; [unrolled: 1-line block ×3, first 2 shown]
	ds_read2_b64 v[93:96], v90 offset0:52 offset1:53
	s_waitcnt lgkmcnt(0)
	v_mul_f64 v[97:98], v[95:96], v[99:100]
	v_fma_f64 v[97:98], v[93:94], v[125:126], -v[97:98]
	v_mul_f64 v[93:94], v[93:94], v[99:100]
	v_add_f64 v[107:108], v[107:108], -v[97:98]
	v_fma_f64 v[93:94], v[95:96], v[125:126], v[93:94]
	v_add_f64 v[109:110], v[109:110], -v[93:94]
	ds_read2_b64 v[93:96], v90 offset0:54 offset1:55
	s_waitcnt lgkmcnt(0)
	v_mul_f64 v[97:98], v[95:96], v[99:100]
	v_fma_f64 v[97:98], v[93:94], v[125:126], -v[97:98]
	v_mul_f64 v[93:94], v[93:94], v[99:100]
	v_add_f64 v[113:114], v[113:114], -v[97:98]
	v_fma_f64 v[93:94], v[95:96], v[125:126], v[93:94]
	v_add_f64 v[115:116], v[115:116], -v[93:94]
	;; [unrolled: 8-line block ×22, first 2 shown]
	ds_read2_b64 v[93:96], v90 offset0:96 offset1:97
	s_waitcnt lgkmcnt(0)
	v_mul_f64 v[97:98], v[95:96], v[99:100]
	v_fma_f64 v[97:98], v[93:94], v[125:126], -v[97:98]
	v_mul_f64 v[93:94], v[93:94], v[99:100]
	v_add_f64 v[1:2], v[1:2], -v[97:98]
	v_fma_f64 v[93:94], v[95:96], v[125:126], v[93:94]
	ds_read2_b64 v[95:98], v90 offset0:98 offset1:99
	v_add_f64 v[3:4], v[3:4], -v[93:94]
	s_waitcnt lgkmcnt(0)
	v_mul_f64 v[93:94], v[97:98], v[99:100]
	v_fma_f64 v[93:94], v[95:96], v[125:126], -v[93:94]
	v_mul_f64 v[95:96], v[95:96], v[99:100]
	v_add_f64 v[121:122], v[121:122], -v[93:94]
	v_fma_f64 v[95:96], v[97:98], v[125:126], v[95:96]
	v_mov_b32_e32 v97, v125
	v_mov_b32_e32 v98, v126
	buffer_store_dword v97, off, s[24:27], 0 offset:336 ; 4-byte Folded Spill
	s_nop 0
	buffer_store_dword v98, off, s[24:27], 0 offset:340 ; 4-byte Folded Spill
	buffer_store_dword v99, off, s[24:27], 0 offset:344 ; 4-byte Folded Spill
	;; [unrolled: 1-line block ×3, first 2 shown]
	v_add_f64 v[123:124], v[123:124], -v[95:96]
.LBB98_104:
	s_or_b64 exec, exec, s[0:1]
	s_waitcnt vmcnt(0)
	s_barrier
	buffer_load_dword v81, off, s[24:27], 0 offset:320 ; 4-byte Folded Reload
	buffer_load_dword v82, off, s[24:27], 0 offset:324 ; 4-byte Folded Reload
	buffer_load_dword v83, off, s[24:27], 0 offset:328 ; 4-byte Folded Reload
	buffer_load_dword v84, off, s[24:27], 0 offset:332 ; 4-byte Folded Reload
	v_lshl_add_u32 v93, v92, 4, v90
	s_cmp_lt_i32 s3, 7
	s_waitcnt vmcnt(0)
	ds_write2_b64 v93, v[81:82], v[83:84] offset1:1
	s_waitcnt lgkmcnt(0)
	s_barrier
	ds_read2_b64 v[117:120], v90 offset0:10 offset1:11
	v_mov_b32_e32 v93, 5
	s_cbranch_scc1 .LBB98_107
; %bb.105:
	v_add_u32_e32 v94, 0x60, v90
	s_mov_b32 s0, 6
	v_mov_b32_e32 v93, 5
.LBB98_106:                             ; =>This Inner Loop Header: Depth=1
	s_waitcnt lgkmcnt(0)
	v_cmp_gt_f64_e32 vcc, 0, v[117:118]
	v_xor_b32_e32 v99, 0x80000000, v118
	ds_read2_b64 v[95:98], v94 offset1:1
	v_xor_b32_e32 v101, 0x80000000, v120
	v_add_u32_e32 v94, 16, v94
	s_waitcnt lgkmcnt(0)
	v_xor_b32_e32 v103, 0x80000000, v98
	v_cndmask_b32_e32 v100, v118, v99, vcc
	v_cmp_gt_f64_e32 vcc, 0, v[119:120]
	v_mov_b32_e32 v99, v117
	v_cndmask_b32_e32 v102, v120, v101, vcc
	v_cmp_gt_f64_e32 vcc, 0, v[95:96]
	v_mov_b32_e32 v101, v119
	v_add_f64 v[99:100], v[99:100], v[101:102]
	v_xor_b32_e32 v101, 0x80000000, v96
	v_cndmask_b32_e32 v102, v96, v101, vcc
	v_cmp_gt_f64_e32 vcc, 0, v[97:98]
	v_mov_b32_e32 v101, v95
	v_cndmask_b32_e32 v104, v98, v103, vcc
	v_mov_b32_e32 v103, v97
	v_add_f64 v[101:102], v[101:102], v[103:104]
	v_cmp_lt_f64_e32 vcc, v[99:100], v[101:102]
	v_cndmask_b32_e32 v117, v117, v95, vcc
	v_mov_b32_e32 v95, s0
	s_add_i32 s0, s0, 1
	v_cndmask_b32_e32 v118, v118, v96, vcc
	v_cndmask_b32_e32 v120, v120, v98, vcc
	;; [unrolled: 1-line block ×4, first 2 shown]
	s_cmp_lg_u32 s3, s0
	s_cbranch_scc1 .LBB98_106
.LBB98_107:
	s_waitcnt lgkmcnt(0)
	v_cmp_eq_f64_e32 vcc, 0, v[117:118]
	v_cmp_eq_f64_e64 s[0:1], 0, v[119:120]
	s_and_b64 s[0:1], vcc, s[0:1]
	s_and_saveexec_b64 s[18:19], s[0:1]
	s_xor_b64 s[0:1], exec, s[18:19]
; %bb.108:
	v_cmp_ne_u32_e32 vcc, 0, v91
	v_cndmask_b32_e32 v91, 6, v91, vcc
; %bb.109:
	s_andn2_saveexec_b64 s[0:1], s[0:1]
	s_cbranch_execz .LBB98_115
; %bb.110:
	v_cmp_ngt_f64_e64 s[18:19], |v[117:118]|, |v[119:120]|
	s_and_saveexec_b64 s[20:21], s[18:19]
	s_xor_b64 s[18:19], exec, s[20:21]
	s_cbranch_execz .LBB98_112
; %bb.111:
	v_div_scale_f64 v[94:95], s[20:21], v[119:120], v[119:120], v[117:118]
	v_rcp_f64_e32 v[96:97], v[94:95]
	v_fma_f64 v[98:99], -v[94:95], v[96:97], 1.0
	v_fma_f64 v[96:97], v[96:97], v[98:99], v[96:97]
	v_div_scale_f64 v[98:99], vcc, v[117:118], v[119:120], v[117:118]
	v_fma_f64 v[100:101], -v[94:95], v[96:97], 1.0
	v_fma_f64 v[96:97], v[96:97], v[100:101], v[96:97]
	v_mul_f64 v[100:101], v[98:99], v[96:97]
	v_fma_f64 v[94:95], -v[94:95], v[100:101], v[98:99]
	v_div_fmas_f64 v[94:95], v[94:95], v[96:97], v[100:101]
	v_div_fixup_f64 v[94:95], v[94:95], v[119:120], v[117:118]
	v_fma_f64 v[96:97], v[117:118], v[94:95], v[119:120]
	v_div_scale_f64 v[98:99], s[20:21], v[96:97], v[96:97], 1.0
	v_div_scale_f64 v[104:105], vcc, 1.0, v[96:97], 1.0
	v_rcp_f64_e32 v[100:101], v[98:99]
	v_fma_f64 v[102:103], -v[98:99], v[100:101], 1.0
	v_fma_f64 v[100:101], v[100:101], v[102:103], v[100:101]
	v_fma_f64 v[102:103], -v[98:99], v[100:101], 1.0
	v_fma_f64 v[100:101], v[100:101], v[102:103], v[100:101]
	v_mul_f64 v[102:103], v[104:105], v[100:101]
	v_fma_f64 v[98:99], -v[98:99], v[102:103], v[104:105]
	v_div_fmas_f64 v[98:99], v[98:99], v[100:101], v[102:103]
	v_div_fixup_f64 v[119:120], v[98:99], v[96:97], 1.0
	v_mul_f64 v[117:118], v[94:95], v[119:120]
	v_xor_b32_e32 v120, 0x80000000, v120
.LBB98_112:
	s_andn2_saveexec_b64 s[18:19], s[18:19]
	s_cbranch_execz .LBB98_114
; %bb.113:
	v_div_scale_f64 v[94:95], s[20:21], v[117:118], v[117:118], v[119:120]
	v_rcp_f64_e32 v[96:97], v[94:95]
	v_fma_f64 v[98:99], -v[94:95], v[96:97], 1.0
	v_fma_f64 v[96:97], v[96:97], v[98:99], v[96:97]
	v_div_scale_f64 v[98:99], vcc, v[119:120], v[117:118], v[119:120]
	v_fma_f64 v[100:101], -v[94:95], v[96:97], 1.0
	v_fma_f64 v[96:97], v[96:97], v[100:101], v[96:97]
	v_mul_f64 v[100:101], v[98:99], v[96:97]
	v_fma_f64 v[94:95], -v[94:95], v[100:101], v[98:99]
	v_div_fmas_f64 v[94:95], v[94:95], v[96:97], v[100:101]
	v_div_fixup_f64 v[94:95], v[94:95], v[117:118], v[119:120]
	v_fma_f64 v[96:97], v[119:120], v[94:95], v[117:118]
	v_div_scale_f64 v[98:99], s[20:21], v[96:97], v[96:97], 1.0
	v_div_scale_f64 v[104:105], vcc, 1.0, v[96:97], 1.0
	v_rcp_f64_e32 v[100:101], v[98:99]
	v_fma_f64 v[102:103], -v[98:99], v[100:101], 1.0
	v_fma_f64 v[100:101], v[100:101], v[102:103], v[100:101]
	v_fma_f64 v[102:103], -v[98:99], v[100:101], 1.0
	v_fma_f64 v[100:101], v[100:101], v[102:103], v[100:101]
	v_mul_f64 v[102:103], v[104:105], v[100:101]
	v_fma_f64 v[98:99], -v[98:99], v[102:103], v[104:105]
	v_div_fmas_f64 v[98:99], v[98:99], v[100:101], v[102:103]
	v_div_fixup_f64 v[117:118], v[98:99], v[96:97], 1.0
	v_mul_f64 v[119:120], v[94:95], -v[117:118]
.LBB98_114:
	s_or_b64 exec, exec, s[18:19]
.LBB98_115:
	s_or_b64 exec, exec, s[0:1]
	v_cmp_ne_u32_e32 vcc, v92, v93
	s_and_saveexec_b64 s[0:1], vcc
	s_xor_b64 s[0:1], exec, s[0:1]
	s_cbranch_execz .LBB98_121
; %bb.116:
	v_cmp_eq_u32_e32 vcc, 5, v92
	s_and_saveexec_b64 s[18:19], vcc
	s_cbranch_execz .LBB98_120
; %bb.117:
	v_cmp_ne_u32_e32 vcc, 5, v93
	s_xor_b64 s[20:21], s[6:7], -1
	s_and_b64 s[22:23], s[20:21], vcc
	s_and_saveexec_b64 s[20:21], s[22:23]
	s_cbranch_execz .LBB98_119
; %bb.118:
	buffer_load_dword v81, off, s[24:27], 0 offset:368 ; 4-byte Folded Reload
	buffer_load_dword v82, off, s[24:27], 0 offset:372 ; 4-byte Folded Reload
	v_ashrrev_i32_e32 v94, 31, v93
	v_lshlrev_b64 v[94:95], 2, v[93:94]
	s_waitcnt vmcnt(1)
	v_add_co_u32_e32 v94, vcc, v81, v94
	s_waitcnt vmcnt(0)
	v_addc_co_u32_e32 v95, vcc, v82, v95, vcc
	global_load_dword v0, v[94:95], off
	global_load_dword v92, v[81:82], off offset:20
	s_waitcnt vmcnt(1)
	global_store_dword v[81:82], v0, off offset:20
	s_waitcnt vmcnt(1)
	global_store_dword v[94:95], v92, off
.LBB98_119:
	s_or_b64 exec, exec, s[20:21]
	v_mov_b32_e32 v92, v93
	v_mov_b32_e32 v0, v93
.LBB98_120:
	s_or_b64 exec, exec, s[18:19]
.LBB98_121:
	s_andn2_saveexec_b64 s[0:1], s[0:1]
	s_cbranch_execz .LBB98_123
; %bb.122:
	buffer_load_dword v81, off, s[24:27], 0 offset:304 ; 4-byte Folded Reload
	buffer_load_dword v82, off, s[24:27], 0 offset:308 ; 4-byte Folded Reload
	;; [unrolled: 1-line block ×4, first 2 shown]
	v_mov_b32_e32 v92, 5
	s_waitcnt vmcnt(0)
	ds_write2_b64 v90, v[81:82], v[83:84] offset0:12 offset1:13
	buffer_load_dword v81, off, s[24:27], 0 offset:288 ; 4-byte Folded Reload
	buffer_load_dword v82, off, s[24:27], 0 offset:292 ; 4-byte Folded Reload
	buffer_load_dword v83, off, s[24:27], 0 offset:296 ; 4-byte Folded Reload
	buffer_load_dword v84, off, s[24:27], 0 offset:300 ; 4-byte Folded Reload
	s_waitcnt vmcnt(0)
	ds_write2_b64 v90, v[81:82], v[83:84] offset0:14 offset1:15
	buffer_load_dword v81, off, s[24:27], 0 offset:272 ; 4-byte Folded Reload
	buffer_load_dword v82, off, s[24:27], 0 offset:276 ; 4-byte Folded Reload
	buffer_load_dword v83, off, s[24:27], 0 offset:280 ; 4-byte Folded Reload
	buffer_load_dword v84, off, s[24:27], 0 offset:284 ; 4-byte Folded Reload
	;; [unrolled: 6-line block ×18, first 2 shown]
	s_waitcnt vmcnt(0)
	ds_write2_b64 v90, v[81:82], v[83:84] offset0:48 offset1:49
	buffer_load_dword v81, off, s[24:27], 0 ; 4-byte Folded Reload
	buffer_load_dword v82, off, s[24:27], 0 offset:4 ; 4-byte Folded Reload
	buffer_load_dword v83, off, s[24:27], 0 offset:8 ; 4-byte Folded Reload
	;; [unrolled: 1-line block ×3, first 2 shown]
	s_waitcnt vmcnt(0)
	ds_write2_b64 v90, v[81:82], v[83:84] offset0:50 offset1:51
	ds_write2_b64 v90, v[107:108], v[109:110] offset0:52 offset1:53
	;; [unrolled: 1-line block ×25, first 2 shown]
.LBB98_123:
	s_or_b64 exec, exec, s[0:1]
	v_cmp_lt_i32_e32 vcc, 5, v92
	s_waitcnt vmcnt(0) lgkmcnt(0)
	s_barrier
	s_and_saveexec_b64 s[0:1], vcc
	s_cbranch_execz .LBB98_125
; %bb.124:
	buffer_load_dword v97, off, s[24:27], 0 offset:320 ; 4-byte Folded Reload
	buffer_load_dword v98, off, s[24:27], 0 offset:324 ; 4-byte Folded Reload
	buffer_load_dword v99, off, s[24:27], 0 offset:328 ; 4-byte Folded Reload
	buffer_load_dword v100, off, s[24:27], 0 offset:332 ; 4-byte Folded Reload
	s_waitcnt vmcnt(0)
	v_mul_f64 v[93:94], v[119:120], v[99:100]
	v_fma_f64 v[125:126], v[117:118], v[97:98], -v[93:94]
	v_mul_f64 v[93:94], v[117:118], v[99:100]
	v_fma_f64 v[99:100], v[119:120], v[97:98], v[93:94]
	ds_read2_b64 v[93:96], v90 offset0:12 offset1:13
	buffer_load_dword v81, off, s[24:27], 0 offset:304 ; 4-byte Folded Reload
	buffer_load_dword v82, off, s[24:27], 0 offset:308 ; 4-byte Folded Reload
	buffer_load_dword v83, off, s[24:27], 0 offset:312 ; 4-byte Folded Reload
	buffer_load_dword v84, off, s[24:27], 0 offset:316 ; 4-byte Folded Reload
	s_waitcnt lgkmcnt(0)
	v_mul_f64 v[97:98], v[95:96], v[99:100]
	v_fma_f64 v[97:98], v[93:94], v[125:126], -v[97:98]
	v_mul_f64 v[93:94], v[93:94], v[99:100]
	v_fma_f64 v[93:94], v[95:96], v[125:126], v[93:94]
	s_waitcnt vmcnt(2)
	v_add_f64 v[81:82], v[81:82], -v[97:98]
	s_waitcnt vmcnt(0)
	v_add_f64 v[83:84], v[83:84], -v[93:94]
	buffer_store_dword v81, off, s[24:27], 0 offset:304 ; 4-byte Folded Spill
	s_nop 0
	buffer_store_dword v82, off, s[24:27], 0 offset:308 ; 4-byte Folded Spill
	buffer_store_dword v83, off, s[24:27], 0 offset:312 ; 4-byte Folded Spill
	buffer_store_dword v84, off, s[24:27], 0 offset:316 ; 4-byte Folded Spill
	ds_read2_b64 v[93:96], v90 offset0:14 offset1:15
	buffer_load_dword v81, off, s[24:27], 0 offset:288 ; 4-byte Folded Reload
	buffer_load_dword v82, off, s[24:27], 0 offset:292 ; 4-byte Folded Reload
	buffer_load_dword v83, off, s[24:27], 0 offset:296 ; 4-byte Folded Reload
	buffer_load_dword v84, off, s[24:27], 0 offset:300 ; 4-byte Folded Reload
	s_waitcnt lgkmcnt(0)
	v_mul_f64 v[97:98], v[95:96], v[99:100]
	v_fma_f64 v[97:98], v[93:94], v[125:126], -v[97:98]
	v_mul_f64 v[93:94], v[93:94], v[99:100]
	v_fma_f64 v[93:94], v[95:96], v[125:126], v[93:94]
	s_waitcnt vmcnt(2)
	v_add_f64 v[81:82], v[81:82], -v[97:98]
	s_waitcnt vmcnt(0)
	v_add_f64 v[83:84], v[83:84], -v[93:94]
	buffer_store_dword v81, off, s[24:27], 0 offset:288 ; 4-byte Folded Spill
	s_nop 0
	buffer_store_dword v82, off, s[24:27], 0 offset:292 ; 4-byte Folded Spill
	buffer_store_dword v83, off, s[24:27], 0 offset:296 ; 4-byte Folded Spill
	buffer_store_dword v84, off, s[24:27], 0 offset:300 ; 4-byte Folded Spill
	;; [unrolled: 19-line block ×19, first 2 shown]
	ds_read2_b64 v[93:96], v90 offset0:50 offset1:51
	buffer_load_dword v81, off, s[24:27], 0 ; 4-byte Folded Reload
	buffer_load_dword v82, off, s[24:27], 0 offset:4 ; 4-byte Folded Reload
	buffer_load_dword v83, off, s[24:27], 0 offset:8 ; 4-byte Folded Reload
	;; [unrolled: 1-line block ×3, first 2 shown]
	s_waitcnt lgkmcnt(0)
	v_mul_f64 v[97:98], v[95:96], v[99:100]
	v_fma_f64 v[97:98], v[93:94], v[125:126], -v[97:98]
	v_mul_f64 v[93:94], v[93:94], v[99:100]
	v_fma_f64 v[93:94], v[95:96], v[125:126], v[93:94]
	s_waitcnt vmcnt(2)
	v_add_f64 v[81:82], v[81:82], -v[97:98]
	s_waitcnt vmcnt(0)
	v_add_f64 v[83:84], v[83:84], -v[93:94]
	buffer_store_dword v81, off, s[24:27], 0 ; 4-byte Folded Spill
	s_nop 0
	buffer_store_dword v82, off, s[24:27], 0 offset:4 ; 4-byte Folded Spill
	buffer_store_dword v83, off, s[24:27], 0 offset:8 ; 4-byte Folded Spill
	buffer_store_dword v84, off, s[24:27], 0 offset:12 ; 4-byte Folded Spill
	ds_read2_b64 v[93:96], v90 offset0:52 offset1:53
	s_waitcnt lgkmcnt(0)
	v_mul_f64 v[97:98], v[95:96], v[99:100]
	v_fma_f64 v[97:98], v[93:94], v[125:126], -v[97:98]
	v_mul_f64 v[93:94], v[93:94], v[99:100]
	v_add_f64 v[107:108], v[107:108], -v[97:98]
	v_fma_f64 v[93:94], v[95:96], v[125:126], v[93:94]
	v_add_f64 v[109:110], v[109:110], -v[93:94]
	ds_read2_b64 v[93:96], v90 offset0:54 offset1:55
	s_waitcnt lgkmcnt(0)
	v_mul_f64 v[97:98], v[95:96], v[99:100]
	v_fma_f64 v[97:98], v[93:94], v[125:126], -v[97:98]
	v_mul_f64 v[93:94], v[93:94], v[99:100]
	v_add_f64 v[113:114], v[113:114], -v[97:98]
	v_fma_f64 v[93:94], v[95:96], v[125:126], v[93:94]
	v_add_f64 v[115:116], v[115:116], -v[93:94]
	;; [unrolled: 8-line block ×22, first 2 shown]
	ds_read2_b64 v[93:96], v90 offset0:96 offset1:97
	s_waitcnt lgkmcnt(0)
	v_mul_f64 v[97:98], v[95:96], v[99:100]
	v_fma_f64 v[97:98], v[93:94], v[125:126], -v[97:98]
	v_mul_f64 v[93:94], v[93:94], v[99:100]
	v_add_f64 v[1:2], v[1:2], -v[97:98]
	v_fma_f64 v[93:94], v[95:96], v[125:126], v[93:94]
	ds_read2_b64 v[95:98], v90 offset0:98 offset1:99
	v_add_f64 v[3:4], v[3:4], -v[93:94]
	s_waitcnt lgkmcnt(0)
	v_mul_f64 v[93:94], v[97:98], v[99:100]
	v_fma_f64 v[93:94], v[95:96], v[125:126], -v[93:94]
	v_mul_f64 v[95:96], v[95:96], v[99:100]
	v_add_f64 v[121:122], v[121:122], -v[93:94]
	v_fma_f64 v[95:96], v[97:98], v[125:126], v[95:96]
	v_mov_b32_e32 v97, v125
	v_mov_b32_e32 v98, v126
	buffer_store_dword v97, off, s[24:27], 0 offset:320 ; 4-byte Folded Spill
	s_nop 0
	buffer_store_dword v98, off, s[24:27], 0 offset:324 ; 4-byte Folded Spill
	buffer_store_dword v99, off, s[24:27], 0 offset:328 ; 4-byte Folded Spill
	;; [unrolled: 1-line block ×3, first 2 shown]
	v_add_f64 v[123:124], v[123:124], -v[95:96]
.LBB98_125:
	s_or_b64 exec, exec, s[0:1]
	s_waitcnt vmcnt(0)
	s_barrier
	buffer_load_dword v81, off, s[24:27], 0 offset:304 ; 4-byte Folded Reload
	buffer_load_dword v82, off, s[24:27], 0 offset:308 ; 4-byte Folded Reload
	;; [unrolled: 1-line block ×4, first 2 shown]
	v_lshl_add_u32 v93, v92, 4, v90
	s_cmp_lt_i32 s3, 8
	s_waitcnt vmcnt(0)
	ds_write2_b64 v93, v[81:82], v[83:84] offset1:1
	s_waitcnt lgkmcnt(0)
	s_barrier
	ds_read2_b64 v[117:120], v90 offset0:12 offset1:13
	v_mov_b32_e32 v93, 6
	s_cbranch_scc1 .LBB98_128
; %bb.126:
	v_add_u32_e32 v94, 0x70, v90
	s_mov_b32 s0, 7
	v_mov_b32_e32 v93, 6
.LBB98_127:                             ; =>This Inner Loop Header: Depth=1
	s_waitcnt lgkmcnt(0)
	v_cmp_gt_f64_e32 vcc, 0, v[117:118]
	v_xor_b32_e32 v99, 0x80000000, v118
	ds_read2_b64 v[95:98], v94 offset1:1
	v_xor_b32_e32 v101, 0x80000000, v120
	v_add_u32_e32 v94, 16, v94
	s_waitcnt lgkmcnt(0)
	v_xor_b32_e32 v103, 0x80000000, v98
	v_cndmask_b32_e32 v100, v118, v99, vcc
	v_cmp_gt_f64_e32 vcc, 0, v[119:120]
	v_mov_b32_e32 v99, v117
	v_cndmask_b32_e32 v102, v120, v101, vcc
	v_cmp_gt_f64_e32 vcc, 0, v[95:96]
	v_mov_b32_e32 v101, v119
	v_add_f64 v[99:100], v[99:100], v[101:102]
	v_xor_b32_e32 v101, 0x80000000, v96
	v_cndmask_b32_e32 v102, v96, v101, vcc
	v_cmp_gt_f64_e32 vcc, 0, v[97:98]
	v_mov_b32_e32 v101, v95
	v_cndmask_b32_e32 v104, v98, v103, vcc
	v_mov_b32_e32 v103, v97
	v_add_f64 v[101:102], v[101:102], v[103:104]
	v_cmp_lt_f64_e32 vcc, v[99:100], v[101:102]
	v_cndmask_b32_e32 v117, v117, v95, vcc
	v_mov_b32_e32 v95, s0
	s_add_i32 s0, s0, 1
	v_cndmask_b32_e32 v118, v118, v96, vcc
	v_cndmask_b32_e32 v120, v120, v98, vcc
	;; [unrolled: 1-line block ×4, first 2 shown]
	s_cmp_lg_u32 s3, s0
	s_cbranch_scc1 .LBB98_127
.LBB98_128:
	s_waitcnt lgkmcnt(0)
	v_cmp_eq_f64_e32 vcc, 0, v[117:118]
	v_cmp_eq_f64_e64 s[0:1], 0, v[119:120]
	s_and_b64 s[0:1], vcc, s[0:1]
	s_and_saveexec_b64 s[18:19], s[0:1]
	s_xor_b64 s[0:1], exec, s[18:19]
; %bb.129:
	v_cmp_ne_u32_e32 vcc, 0, v91
	v_cndmask_b32_e32 v91, 7, v91, vcc
; %bb.130:
	s_andn2_saveexec_b64 s[0:1], s[0:1]
	s_cbranch_execz .LBB98_136
; %bb.131:
	v_cmp_ngt_f64_e64 s[18:19], |v[117:118]|, |v[119:120]|
	s_and_saveexec_b64 s[20:21], s[18:19]
	s_xor_b64 s[18:19], exec, s[20:21]
	s_cbranch_execz .LBB98_133
; %bb.132:
	v_div_scale_f64 v[94:95], s[20:21], v[119:120], v[119:120], v[117:118]
	v_rcp_f64_e32 v[96:97], v[94:95]
	v_fma_f64 v[98:99], -v[94:95], v[96:97], 1.0
	v_fma_f64 v[96:97], v[96:97], v[98:99], v[96:97]
	v_div_scale_f64 v[98:99], vcc, v[117:118], v[119:120], v[117:118]
	v_fma_f64 v[100:101], -v[94:95], v[96:97], 1.0
	v_fma_f64 v[96:97], v[96:97], v[100:101], v[96:97]
	v_mul_f64 v[100:101], v[98:99], v[96:97]
	v_fma_f64 v[94:95], -v[94:95], v[100:101], v[98:99]
	v_div_fmas_f64 v[94:95], v[94:95], v[96:97], v[100:101]
	v_div_fixup_f64 v[94:95], v[94:95], v[119:120], v[117:118]
	v_fma_f64 v[96:97], v[117:118], v[94:95], v[119:120]
	v_div_scale_f64 v[98:99], s[20:21], v[96:97], v[96:97], 1.0
	v_div_scale_f64 v[104:105], vcc, 1.0, v[96:97], 1.0
	v_rcp_f64_e32 v[100:101], v[98:99]
	v_fma_f64 v[102:103], -v[98:99], v[100:101], 1.0
	v_fma_f64 v[100:101], v[100:101], v[102:103], v[100:101]
	v_fma_f64 v[102:103], -v[98:99], v[100:101], 1.0
	v_fma_f64 v[100:101], v[100:101], v[102:103], v[100:101]
	v_mul_f64 v[102:103], v[104:105], v[100:101]
	v_fma_f64 v[98:99], -v[98:99], v[102:103], v[104:105]
	v_div_fmas_f64 v[98:99], v[98:99], v[100:101], v[102:103]
	v_div_fixup_f64 v[119:120], v[98:99], v[96:97], 1.0
	v_mul_f64 v[117:118], v[94:95], v[119:120]
	v_xor_b32_e32 v120, 0x80000000, v120
.LBB98_133:
	s_andn2_saveexec_b64 s[18:19], s[18:19]
	s_cbranch_execz .LBB98_135
; %bb.134:
	v_div_scale_f64 v[94:95], s[20:21], v[117:118], v[117:118], v[119:120]
	v_rcp_f64_e32 v[96:97], v[94:95]
	v_fma_f64 v[98:99], -v[94:95], v[96:97], 1.0
	v_fma_f64 v[96:97], v[96:97], v[98:99], v[96:97]
	v_div_scale_f64 v[98:99], vcc, v[119:120], v[117:118], v[119:120]
	v_fma_f64 v[100:101], -v[94:95], v[96:97], 1.0
	v_fma_f64 v[96:97], v[96:97], v[100:101], v[96:97]
	v_mul_f64 v[100:101], v[98:99], v[96:97]
	v_fma_f64 v[94:95], -v[94:95], v[100:101], v[98:99]
	v_div_fmas_f64 v[94:95], v[94:95], v[96:97], v[100:101]
	v_div_fixup_f64 v[94:95], v[94:95], v[117:118], v[119:120]
	v_fma_f64 v[96:97], v[119:120], v[94:95], v[117:118]
	v_div_scale_f64 v[98:99], s[20:21], v[96:97], v[96:97], 1.0
	v_div_scale_f64 v[104:105], vcc, 1.0, v[96:97], 1.0
	v_rcp_f64_e32 v[100:101], v[98:99]
	v_fma_f64 v[102:103], -v[98:99], v[100:101], 1.0
	v_fma_f64 v[100:101], v[100:101], v[102:103], v[100:101]
	v_fma_f64 v[102:103], -v[98:99], v[100:101], 1.0
	v_fma_f64 v[100:101], v[100:101], v[102:103], v[100:101]
	v_mul_f64 v[102:103], v[104:105], v[100:101]
	v_fma_f64 v[98:99], -v[98:99], v[102:103], v[104:105]
	v_div_fmas_f64 v[98:99], v[98:99], v[100:101], v[102:103]
	v_div_fixup_f64 v[117:118], v[98:99], v[96:97], 1.0
	v_mul_f64 v[119:120], v[94:95], -v[117:118]
.LBB98_135:
	s_or_b64 exec, exec, s[18:19]
.LBB98_136:
	s_or_b64 exec, exec, s[0:1]
	v_cmp_ne_u32_e32 vcc, v92, v93
	s_and_saveexec_b64 s[0:1], vcc
	s_xor_b64 s[0:1], exec, s[0:1]
	s_cbranch_execz .LBB98_142
; %bb.137:
	v_cmp_eq_u32_e32 vcc, 6, v92
	s_and_saveexec_b64 s[18:19], vcc
	s_cbranch_execz .LBB98_141
; %bb.138:
	v_cmp_ne_u32_e32 vcc, 6, v93
	s_xor_b64 s[20:21], s[6:7], -1
	s_and_b64 s[22:23], s[20:21], vcc
	s_and_saveexec_b64 s[20:21], s[22:23]
	s_cbranch_execz .LBB98_140
; %bb.139:
	buffer_load_dword v81, off, s[24:27], 0 offset:368 ; 4-byte Folded Reload
	buffer_load_dword v82, off, s[24:27], 0 offset:372 ; 4-byte Folded Reload
	v_ashrrev_i32_e32 v94, 31, v93
	v_lshlrev_b64 v[94:95], 2, v[93:94]
	s_waitcnt vmcnt(1)
	v_add_co_u32_e32 v94, vcc, v81, v94
	s_waitcnt vmcnt(0)
	v_addc_co_u32_e32 v95, vcc, v82, v95, vcc
	global_load_dword v0, v[94:95], off
	global_load_dword v92, v[81:82], off offset:24
	s_waitcnt vmcnt(1)
	global_store_dword v[81:82], v0, off offset:24
	s_waitcnt vmcnt(1)
	global_store_dword v[94:95], v92, off
.LBB98_140:
	s_or_b64 exec, exec, s[20:21]
	v_mov_b32_e32 v92, v93
	v_mov_b32_e32 v0, v93
.LBB98_141:
	s_or_b64 exec, exec, s[18:19]
.LBB98_142:
	s_andn2_saveexec_b64 s[0:1], s[0:1]
	s_cbranch_execz .LBB98_144
; %bb.143:
	buffer_load_dword v81, off, s[24:27], 0 offset:288 ; 4-byte Folded Reload
	buffer_load_dword v82, off, s[24:27], 0 offset:292 ; 4-byte Folded Reload
	;; [unrolled: 1-line block ×4, first 2 shown]
	v_mov_b32_e32 v92, 6
	s_waitcnt vmcnt(0)
	ds_write2_b64 v90, v[81:82], v[83:84] offset0:14 offset1:15
	buffer_load_dword v81, off, s[24:27], 0 offset:272 ; 4-byte Folded Reload
	buffer_load_dword v82, off, s[24:27], 0 offset:276 ; 4-byte Folded Reload
	buffer_load_dword v83, off, s[24:27], 0 offset:280 ; 4-byte Folded Reload
	buffer_load_dword v84, off, s[24:27], 0 offset:284 ; 4-byte Folded Reload
	s_waitcnt vmcnt(0)
	ds_write2_b64 v90, v[81:82], v[83:84] offset0:16 offset1:17
	buffer_load_dword v81, off, s[24:27], 0 offset:256 ; 4-byte Folded Reload
	buffer_load_dword v82, off, s[24:27], 0 offset:260 ; 4-byte Folded Reload
	buffer_load_dword v83, off, s[24:27], 0 offset:264 ; 4-byte Folded Reload
	buffer_load_dword v84, off, s[24:27], 0 offset:268 ; 4-byte Folded Reload
	;; [unrolled: 6-line block ×17, first 2 shown]
	s_waitcnt vmcnt(0)
	ds_write2_b64 v90, v[81:82], v[83:84] offset0:48 offset1:49
	buffer_load_dword v81, off, s[24:27], 0 ; 4-byte Folded Reload
	buffer_load_dword v82, off, s[24:27], 0 offset:4 ; 4-byte Folded Reload
	buffer_load_dword v83, off, s[24:27], 0 offset:8 ; 4-byte Folded Reload
	;; [unrolled: 1-line block ×3, first 2 shown]
	s_waitcnt vmcnt(0)
	ds_write2_b64 v90, v[81:82], v[83:84] offset0:50 offset1:51
	ds_write2_b64 v90, v[107:108], v[109:110] offset0:52 offset1:53
	ds_write2_b64 v90, v[113:114], v[115:116] offset0:54 offset1:55
	ds_write2_b64 v90, v[85:86], v[87:88] offset0:56 offset1:57
	ds_write2_b64 v90, v[77:78], v[79:80] offset0:58 offset1:59
	ds_write2_b64 v90, v[73:74], v[75:76] offset0:60 offset1:61
	ds_write2_b64 v90, v[69:70], v[71:72] offset0:62 offset1:63
	ds_write2_b64 v90, v[65:66], v[67:68] offset0:64 offset1:65
	ds_write2_b64 v90, v[61:62], v[63:64] offset0:66 offset1:67
	ds_write2_b64 v90, v[57:58], v[59:60] offset0:68 offset1:69
	ds_write2_b64 v90, v[53:54], v[55:56] offset0:70 offset1:71
	ds_write2_b64 v90, v[49:50], v[51:52] offset0:72 offset1:73
	ds_write2_b64 v90, v[45:46], v[47:48] offset0:74 offset1:75
	ds_write2_b64 v90, v[41:42], v[43:44] offset0:76 offset1:77
	ds_write2_b64 v90, v[37:38], v[39:40] offset0:78 offset1:79
	ds_write2_b64 v90, v[33:34], v[35:36] offset0:80 offset1:81
	ds_write2_b64 v90, v[29:30], v[31:32] offset0:82 offset1:83
	ds_write2_b64 v90, v[25:26], v[27:28] offset0:84 offset1:85
	ds_write2_b64 v90, v[21:22], v[23:24] offset0:86 offset1:87
	ds_write2_b64 v90, v[17:18], v[19:20] offset0:88 offset1:89
	ds_write2_b64 v90, v[13:14], v[15:16] offset0:90 offset1:91
	ds_write2_b64 v90, v[9:10], v[11:12] offset0:92 offset1:93
	ds_write2_b64 v90, v[5:6], v[7:8] offset0:94 offset1:95
	ds_write2_b64 v90, v[1:2], v[3:4] offset0:96 offset1:97
	ds_write2_b64 v90, v[121:122], v[123:124] offset0:98 offset1:99
.LBB98_144:
	s_or_b64 exec, exec, s[0:1]
	v_cmp_lt_i32_e32 vcc, 6, v92
	s_waitcnt vmcnt(0) lgkmcnt(0)
	s_barrier
	s_and_saveexec_b64 s[0:1], vcc
	s_cbranch_execz .LBB98_146
; %bb.145:
	buffer_load_dword v97, off, s[24:27], 0 offset:304 ; 4-byte Folded Reload
	buffer_load_dword v98, off, s[24:27], 0 offset:308 ; 4-byte Folded Reload
	;; [unrolled: 1-line block ×4, first 2 shown]
	s_waitcnt vmcnt(0)
	v_mul_f64 v[93:94], v[119:120], v[99:100]
	v_fma_f64 v[125:126], v[117:118], v[97:98], -v[93:94]
	v_mul_f64 v[93:94], v[117:118], v[99:100]
	v_fma_f64 v[99:100], v[119:120], v[97:98], v[93:94]
	ds_read2_b64 v[93:96], v90 offset0:14 offset1:15
	buffer_load_dword v81, off, s[24:27], 0 offset:288 ; 4-byte Folded Reload
	buffer_load_dword v82, off, s[24:27], 0 offset:292 ; 4-byte Folded Reload
	buffer_load_dword v83, off, s[24:27], 0 offset:296 ; 4-byte Folded Reload
	buffer_load_dword v84, off, s[24:27], 0 offset:300 ; 4-byte Folded Reload
	s_waitcnt lgkmcnt(0)
	v_mul_f64 v[97:98], v[95:96], v[99:100]
	v_fma_f64 v[97:98], v[93:94], v[125:126], -v[97:98]
	v_mul_f64 v[93:94], v[93:94], v[99:100]
	v_fma_f64 v[93:94], v[95:96], v[125:126], v[93:94]
	s_waitcnt vmcnt(2)
	v_add_f64 v[81:82], v[81:82], -v[97:98]
	s_waitcnt vmcnt(0)
	v_add_f64 v[83:84], v[83:84], -v[93:94]
	buffer_store_dword v81, off, s[24:27], 0 offset:288 ; 4-byte Folded Spill
	s_nop 0
	buffer_store_dword v82, off, s[24:27], 0 offset:292 ; 4-byte Folded Spill
	buffer_store_dword v83, off, s[24:27], 0 offset:296 ; 4-byte Folded Spill
	buffer_store_dword v84, off, s[24:27], 0 offset:300 ; 4-byte Folded Spill
	ds_read2_b64 v[93:96], v90 offset0:16 offset1:17
	buffer_load_dword v81, off, s[24:27], 0 offset:272 ; 4-byte Folded Reload
	buffer_load_dword v82, off, s[24:27], 0 offset:276 ; 4-byte Folded Reload
	buffer_load_dword v83, off, s[24:27], 0 offset:280 ; 4-byte Folded Reload
	buffer_load_dword v84, off, s[24:27], 0 offset:284 ; 4-byte Folded Reload
	s_waitcnt lgkmcnt(0)
	v_mul_f64 v[97:98], v[95:96], v[99:100]
	v_fma_f64 v[97:98], v[93:94], v[125:126], -v[97:98]
	v_mul_f64 v[93:94], v[93:94], v[99:100]
	v_fma_f64 v[93:94], v[95:96], v[125:126], v[93:94]
	s_waitcnt vmcnt(2)
	v_add_f64 v[81:82], v[81:82], -v[97:98]
	s_waitcnt vmcnt(0)
	v_add_f64 v[83:84], v[83:84], -v[93:94]
	buffer_store_dword v81, off, s[24:27], 0 offset:272 ; 4-byte Folded Spill
	s_nop 0
	buffer_store_dword v82, off, s[24:27], 0 offset:276 ; 4-byte Folded Spill
	buffer_store_dword v83, off, s[24:27], 0 offset:280 ; 4-byte Folded Spill
	buffer_store_dword v84, off, s[24:27], 0 offset:284 ; 4-byte Folded Spill
	;; [unrolled: 19-line block ×18, first 2 shown]
	ds_read2_b64 v[93:96], v90 offset0:50 offset1:51
	buffer_load_dword v81, off, s[24:27], 0 ; 4-byte Folded Reload
	buffer_load_dword v82, off, s[24:27], 0 offset:4 ; 4-byte Folded Reload
	buffer_load_dword v83, off, s[24:27], 0 offset:8 ; 4-byte Folded Reload
	;; [unrolled: 1-line block ×3, first 2 shown]
	s_waitcnt lgkmcnt(0)
	v_mul_f64 v[97:98], v[95:96], v[99:100]
	v_fma_f64 v[97:98], v[93:94], v[125:126], -v[97:98]
	v_mul_f64 v[93:94], v[93:94], v[99:100]
	v_fma_f64 v[93:94], v[95:96], v[125:126], v[93:94]
	s_waitcnt vmcnt(2)
	v_add_f64 v[81:82], v[81:82], -v[97:98]
	s_waitcnt vmcnt(0)
	v_add_f64 v[83:84], v[83:84], -v[93:94]
	buffer_store_dword v81, off, s[24:27], 0 ; 4-byte Folded Spill
	s_nop 0
	buffer_store_dword v82, off, s[24:27], 0 offset:4 ; 4-byte Folded Spill
	buffer_store_dword v83, off, s[24:27], 0 offset:8 ; 4-byte Folded Spill
	;; [unrolled: 1-line block ×3, first 2 shown]
	ds_read2_b64 v[93:96], v90 offset0:52 offset1:53
	s_waitcnt lgkmcnt(0)
	v_mul_f64 v[97:98], v[95:96], v[99:100]
	v_fma_f64 v[97:98], v[93:94], v[125:126], -v[97:98]
	v_mul_f64 v[93:94], v[93:94], v[99:100]
	v_add_f64 v[107:108], v[107:108], -v[97:98]
	v_fma_f64 v[93:94], v[95:96], v[125:126], v[93:94]
	v_add_f64 v[109:110], v[109:110], -v[93:94]
	ds_read2_b64 v[93:96], v90 offset0:54 offset1:55
	s_waitcnt lgkmcnt(0)
	v_mul_f64 v[97:98], v[95:96], v[99:100]
	v_fma_f64 v[97:98], v[93:94], v[125:126], -v[97:98]
	v_mul_f64 v[93:94], v[93:94], v[99:100]
	v_add_f64 v[113:114], v[113:114], -v[97:98]
	v_fma_f64 v[93:94], v[95:96], v[125:126], v[93:94]
	v_add_f64 v[115:116], v[115:116], -v[93:94]
	ds_read2_b64 v[93:96], v90 offset0:56 offset1:57
	s_waitcnt lgkmcnt(0)
	v_mul_f64 v[97:98], v[95:96], v[99:100]
	v_fma_f64 v[97:98], v[93:94], v[125:126], -v[97:98]
	v_mul_f64 v[93:94], v[93:94], v[99:100]
	v_add_f64 v[85:86], v[85:86], -v[97:98]
	v_fma_f64 v[93:94], v[95:96], v[125:126], v[93:94]
	v_add_f64 v[87:88], v[87:88], -v[93:94]
	ds_read2_b64 v[93:96], v90 offset0:58 offset1:59
	s_waitcnt lgkmcnt(0)
	v_mul_f64 v[97:98], v[95:96], v[99:100]
	v_fma_f64 v[97:98], v[93:94], v[125:126], -v[97:98]
	v_mul_f64 v[93:94], v[93:94], v[99:100]
	v_add_f64 v[77:78], v[77:78], -v[97:98]
	v_fma_f64 v[93:94], v[95:96], v[125:126], v[93:94]
	v_add_f64 v[79:80], v[79:80], -v[93:94]
	ds_read2_b64 v[93:96], v90 offset0:60 offset1:61
	s_waitcnt lgkmcnt(0)
	v_mul_f64 v[97:98], v[95:96], v[99:100]
	v_fma_f64 v[97:98], v[93:94], v[125:126], -v[97:98]
	v_mul_f64 v[93:94], v[93:94], v[99:100]
	v_add_f64 v[73:74], v[73:74], -v[97:98]
	v_fma_f64 v[93:94], v[95:96], v[125:126], v[93:94]
	v_add_f64 v[75:76], v[75:76], -v[93:94]
	ds_read2_b64 v[93:96], v90 offset0:62 offset1:63
	s_waitcnt lgkmcnt(0)
	v_mul_f64 v[97:98], v[95:96], v[99:100]
	v_fma_f64 v[97:98], v[93:94], v[125:126], -v[97:98]
	v_mul_f64 v[93:94], v[93:94], v[99:100]
	v_add_f64 v[69:70], v[69:70], -v[97:98]
	v_fma_f64 v[93:94], v[95:96], v[125:126], v[93:94]
	v_add_f64 v[71:72], v[71:72], -v[93:94]
	ds_read2_b64 v[93:96], v90 offset0:64 offset1:65
	s_waitcnt lgkmcnt(0)
	v_mul_f64 v[97:98], v[95:96], v[99:100]
	v_fma_f64 v[97:98], v[93:94], v[125:126], -v[97:98]
	v_mul_f64 v[93:94], v[93:94], v[99:100]
	v_add_f64 v[65:66], v[65:66], -v[97:98]
	v_fma_f64 v[93:94], v[95:96], v[125:126], v[93:94]
	v_add_f64 v[67:68], v[67:68], -v[93:94]
	ds_read2_b64 v[93:96], v90 offset0:66 offset1:67
	s_waitcnt lgkmcnt(0)
	v_mul_f64 v[97:98], v[95:96], v[99:100]
	v_fma_f64 v[97:98], v[93:94], v[125:126], -v[97:98]
	v_mul_f64 v[93:94], v[93:94], v[99:100]
	v_add_f64 v[61:62], v[61:62], -v[97:98]
	v_fma_f64 v[93:94], v[95:96], v[125:126], v[93:94]
	v_add_f64 v[63:64], v[63:64], -v[93:94]
	ds_read2_b64 v[93:96], v90 offset0:68 offset1:69
	s_waitcnt lgkmcnt(0)
	v_mul_f64 v[97:98], v[95:96], v[99:100]
	v_fma_f64 v[97:98], v[93:94], v[125:126], -v[97:98]
	v_mul_f64 v[93:94], v[93:94], v[99:100]
	v_add_f64 v[57:58], v[57:58], -v[97:98]
	v_fma_f64 v[93:94], v[95:96], v[125:126], v[93:94]
	v_add_f64 v[59:60], v[59:60], -v[93:94]
	ds_read2_b64 v[93:96], v90 offset0:70 offset1:71
	s_waitcnt lgkmcnt(0)
	v_mul_f64 v[97:98], v[95:96], v[99:100]
	v_fma_f64 v[97:98], v[93:94], v[125:126], -v[97:98]
	v_mul_f64 v[93:94], v[93:94], v[99:100]
	v_add_f64 v[53:54], v[53:54], -v[97:98]
	v_fma_f64 v[93:94], v[95:96], v[125:126], v[93:94]
	v_add_f64 v[55:56], v[55:56], -v[93:94]
	ds_read2_b64 v[93:96], v90 offset0:72 offset1:73
	s_waitcnt lgkmcnt(0)
	v_mul_f64 v[97:98], v[95:96], v[99:100]
	v_fma_f64 v[97:98], v[93:94], v[125:126], -v[97:98]
	v_mul_f64 v[93:94], v[93:94], v[99:100]
	v_add_f64 v[49:50], v[49:50], -v[97:98]
	v_fma_f64 v[93:94], v[95:96], v[125:126], v[93:94]
	v_add_f64 v[51:52], v[51:52], -v[93:94]
	ds_read2_b64 v[93:96], v90 offset0:74 offset1:75
	s_waitcnt lgkmcnt(0)
	v_mul_f64 v[97:98], v[95:96], v[99:100]
	v_fma_f64 v[97:98], v[93:94], v[125:126], -v[97:98]
	v_mul_f64 v[93:94], v[93:94], v[99:100]
	v_add_f64 v[45:46], v[45:46], -v[97:98]
	v_fma_f64 v[93:94], v[95:96], v[125:126], v[93:94]
	v_add_f64 v[47:48], v[47:48], -v[93:94]
	ds_read2_b64 v[93:96], v90 offset0:76 offset1:77
	s_waitcnt lgkmcnt(0)
	v_mul_f64 v[97:98], v[95:96], v[99:100]
	v_fma_f64 v[97:98], v[93:94], v[125:126], -v[97:98]
	v_mul_f64 v[93:94], v[93:94], v[99:100]
	v_add_f64 v[41:42], v[41:42], -v[97:98]
	v_fma_f64 v[93:94], v[95:96], v[125:126], v[93:94]
	v_add_f64 v[43:44], v[43:44], -v[93:94]
	ds_read2_b64 v[93:96], v90 offset0:78 offset1:79
	s_waitcnt lgkmcnt(0)
	v_mul_f64 v[97:98], v[95:96], v[99:100]
	v_fma_f64 v[97:98], v[93:94], v[125:126], -v[97:98]
	v_mul_f64 v[93:94], v[93:94], v[99:100]
	v_add_f64 v[37:38], v[37:38], -v[97:98]
	v_fma_f64 v[93:94], v[95:96], v[125:126], v[93:94]
	v_add_f64 v[39:40], v[39:40], -v[93:94]
	ds_read2_b64 v[93:96], v90 offset0:80 offset1:81
	s_waitcnt lgkmcnt(0)
	v_mul_f64 v[97:98], v[95:96], v[99:100]
	v_fma_f64 v[97:98], v[93:94], v[125:126], -v[97:98]
	v_mul_f64 v[93:94], v[93:94], v[99:100]
	v_add_f64 v[33:34], v[33:34], -v[97:98]
	v_fma_f64 v[93:94], v[95:96], v[125:126], v[93:94]
	v_add_f64 v[35:36], v[35:36], -v[93:94]
	ds_read2_b64 v[93:96], v90 offset0:82 offset1:83
	s_waitcnt lgkmcnt(0)
	v_mul_f64 v[97:98], v[95:96], v[99:100]
	v_fma_f64 v[97:98], v[93:94], v[125:126], -v[97:98]
	v_mul_f64 v[93:94], v[93:94], v[99:100]
	v_add_f64 v[29:30], v[29:30], -v[97:98]
	v_fma_f64 v[93:94], v[95:96], v[125:126], v[93:94]
	v_add_f64 v[31:32], v[31:32], -v[93:94]
	ds_read2_b64 v[93:96], v90 offset0:84 offset1:85
	s_waitcnt lgkmcnt(0)
	v_mul_f64 v[97:98], v[95:96], v[99:100]
	v_fma_f64 v[97:98], v[93:94], v[125:126], -v[97:98]
	v_mul_f64 v[93:94], v[93:94], v[99:100]
	v_add_f64 v[25:26], v[25:26], -v[97:98]
	v_fma_f64 v[93:94], v[95:96], v[125:126], v[93:94]
	v_add_f64 v[27:28], v[27:28], -v[93:94]
	ds_read2_b64 v[93:96], v90 offset0:86 offset1:87
	s_waitcnt lgkmcnt(0)
	v_mul_f64 v[97:98], v[95:96], v[99:100]
	v_fma_f64 v[97:98], v[93:94], v[125:126], -v[97:98]
	v_mul_f64 v[93:94], v[93:94], v[99:100]
	v_add_f64 v[21:22], v[21:22], -v[97:98]
	v_fma_f64 v[93:94], v[95:96], v[125:126], v[93:94]
	v_add_f64 v[23:24], v[23:24], -v[93:94]
	ds_read2_b64 v[93:96], v90 offset0:88 offset1:89
	s_waitcnt lgkmcnt(0)
	v_mul_f64 v[97:98], v[95:96], v[99:100]
	v_fma_f64 v[97:98], v[93:94], v[125:126], -v[97:98]
	v_mul_f64 v[93:94], v[93:94], v[99:100]
	v_add_f64 v[17:18], v[17:18], -v[97:98]
	v_fma_f64 v[93:94], v[95:96], v[125:126], v[93:94]
	v_add_f64 v[19:20], v[19:20], -v[93:94]
	ds_read2_b64 v[93:96], v90 offset0:90 offset1:91
	s_waitcnt lgkmcnt(0)
	v_mul_f64 v[97:98], v[95:96], v[99:100]
	v_fma_f64 v[97:98], v[93:94], v[125:126], -v[97:98]
	v_mul_f64 v[93:94], v[93:94], v[99:100]
	v_add_f64 v[13:14], v[13:14], -v[97:98]
	v_fma_f64 v[93:94], v[95:96], v[125:126], v[93:94]
	v_add_f64 v[15:16], v[15:16], -v[93:94]
	ds_read2_b64 v[93:96], v90 offset0:92 offset1:93
	s_waitcnt lgkmcnt(0)
	v_mul_f64 v[97:98], v[95:96], v[99:100]
	v_fma_f64 v[97:98], v[93:94], v[125:126], -v[97:98]
	v_mul_f64 v[93:94], v[93:94], v[99:100]
	v_add_f64 v[9:10], v[9:10], -v[97:98]
	v_fma_f64 v[93:94], v[95:96], v[125:126], v[93:94]
	v_add_f64 v[11:12], v[11:12], -v[93:94]
	ds_read2_b64 v[93:96], v90 offset0:94 offset1:95
	s_waitcnt lgkmcnt(0)
	v_mul_f64 v[97:98], v[95:96], v[99:100]
	v_fma_f64 v[97:98], v[93:94], v[125:126], -v[97:98]
	v_mul_f64 v[93:94], v[93:94], v[99:100]
	v_add_f64 v[5:6], v[5:6], -v[97:98]
	v_fma_f64 v[93:94], v[95:96], v[125:126], v[93:94]
	v_add_f64 v[7:8], v[7:8], -v[93:94]
	ds_read2_b64 v[93:96], v90 offset0:96 offset1:97
	s_waitcnt lgkmcnt(0)
	v_mul_f64 v[97:98], v[95:96], v[99:100]
	v_fma_f64 v[97:98], v[93:94], v[125:126], -v[97:98]
	v_mul_f64 v[93:94], v[93:94], v[99:100]
	v_add_f64 v[1:2], v[1:2], -v[97:98]
	v_fma_f64 v[93:94], v[95:96], v[125:126], v[93:94]
	ds_read2_b64 v[95:98], v90 offset0:98 offset1:99
	v_add_f64 v[3:4], v[3:4], -v[93:94]
	s_waitcnt lgkmcnt(0)
	v_mul_f64 v[93:94], v[97:98], v[99:100]
	v_fma_f64 v[93:94], v[95:96], v[125:126], -v[93:94]
	v_mul_f64 v[95:96], v[95:96], v[99:100]
	v_add_f64 v[121:122], v[121:122], -v[93:94]
	v_fma_f64 v[95:96], v[97:98], v[125:126], v[95:96]
	v_mov_b32_e32 v97, v125
	v_mov_b32_e32 v98, v126
	buffer_store_dword v97, off, s[24:27], 0 offset:304 ; 4-byte Folded Spill
	s_nop 0
	buffer_store_dword v98, off, s[24:27], 0 offset:308 ; 4-byte Folded Spill
	buffer_store_dword v99, off, s[24:27], 0 offset:312 ; 4-byte Folded Spill
	;; [unrolled: 1-line block ×3, first 2 shown]
	v_add_f64 v[123:124], v[123:124], -v[95:96]
.LBB98_146:
	s_or_b64 exec, exec, s[0:1]
	s_waitcnt vmcnt(0)
	s_barrier
	buffer_load_dword v81, off, s[24:27], 0 offset:288 ; 4-byte Folded Reload
	buffer_load_dword v82, off, s[24:27], 0 offset:292 ; 4-byte Folded Reload
	buffer_load_dword v83, off, s[24:27], 0 offset:296 ; 4-byte Folded Reload
	buffer_load_dword v84, off, s[24:27], 0 offset:300 ; 4-byte Folded Reload
	v_lshl_add_u32 v93, v92, 4, v90
	s_cmp_lt_i32 s3, 9
	s_waitcnt vmcnt(0)
	ds_write2_b64 v93, v[81:82], v[83:84] offset1:1
	s_waitcnt lgkmcnt(0)
	s_barrier
	ds_read2_b64 v[117:120], v90 offset0:14 offset1:15
	v_mov_b32_e32 v93, 7
	s_cbranch_scc1 .LBB98_149
; %bb.147:
	v_add_u32_e32 v94, 0x80, v90
	s_mov_b32 s0, 8
	v_mov_b32_e32 v93, 7
.LBB98_148:                             ; =>This Inner Loop Header: Depth=1
	s_waitcnt lgkmcnt(0)
	v_cmp_gt_f64_e32 vcc, 0, v[117:118]
	v_xor_b32_e32 v99, 0x80000000, v118
	ds_read2_b64 v[95:98], v94 offset1:1
	v_xor_b32_e32 v101, 0x80000000, v120
	v_add_u32_e32 v94, 16, v94
	s_waitcnt lgkmcnt(0)
	v_xor_b32_e32 v103, 0x80000000, v98
	v_cndmask_b32_e32 v100, v118, v99, vcc
	v_cmp_gt_f64_e32 vcc, 0, v[119:120]
	v_mov_b32_e32 v99, v117
	v_cndmask_b32_e32 v102, v120, v101, vcc
	v_cmp_gt_f64_e32 vcc, 0, v[95:96]
	v_mov_b32_e32 v101, v119
	v_add_f64 v[99:100], v[99:100], v[101:102]
	v_xor_b32_e32 v101, 0x80000000, v96
	v_cndmask_b32_e32 v102, v96, v101, vcc
	v_cmp_gt_f64_e32 vcc, 0, v[97:98]
	v_mov_b32_e32 v101, v95
	v_cndmask_b32_e32 v104, v98, v103, vcc
	v_mov_b32_e32 v103, v97
	v_add_f64 v[101:102], v[101:102], v[103:104]
	v_cmp_lt_f64_e32 vcc, v[99:100], v[101:102]
	v_cndmask_b32_e32 v117, v117, v95, vcc
	v_mov_b32_e32 v95, s0
	s_add_i32 s0, s0, 1
	v_cndmask_b32_e32 v118, v118, v96, vcc
	v_cndmask_b32_e32 v120, v120, v98, vcc
	;; [unrolled: 1-line block ×4, first 2 shown]
	s_cmp_lg_u32 s3, s0
	s_cbranch_scc1 .LBB98_148
.LBB98_149:
	s_waitcnt lgkmcnt(0)
	v_cmp_eq_f64_e32 vcc, 0, v[117:118]
	v_cmp_eq_f64_e64 s[0:1], 0, v[119:120]
	s_and_b64 s[0:1], vcc, s[0:1]
	s_and_saveexec_b64 s[18:19], s[0:1]
	s_xor_b64 s[0:1], exec, s[18:19]
; %bb.150:
	v_cmp_ne_u32_e32 vcc, 0, v91
	v_cndmask_b32_e32 v91, 8, v91, vcc
; %bb.151:
	s_andn2_saveexec_b64 s[0:1], s[0:1]
	s_cbranch_execz .LBB98_157
; %bb.152:
	v_cmp_ngt_f64_e64 s[18:19], |v[117:118]|, |v[119:120]|
	s_and_saveexec_b64 s[20:21], s[18:19]
	s_xor_b64 s[18:19], exec, s[20:21]
	s_cbranch_execz .LBB98_154
; %bb.153:
	v_div_scale_f64 v[94:95], s[20:21], v[119:120], v[119:120], v[117:118]
	v_rcp_f64_e32 v[96:97], v[94:95]
	v_fma_f64 v[98:99], -v[94:95], v[96:97], 1.0
	v_fma_f64 v[96:97], v[96:97], v[98:99], v[96:97]
	v_div_scale_f64 v[98:99], vcc, v[117:118], v[119:120], v[117:118]
	v_fma_f64 v[100:101], -v[94:95], v[96:97], 1.0
	v_fma_f64 v[96:97], v[96:97], v[100:101], v[96:97]
	v_mul_f64 v[100:101], v[98:99], v[96:97]
	v_fma_f64 v[94:95], -v[94:95], v[100:101], v[98:99]
	v_div_fmas_f64 v[94:95], v[94:95], v[96:97], v[100:101]
	v_div_fixup_f64 v[94:95], v[94:95], v[119:120], v[117:118]
	v_fma_f64 v[96:97], v[117:118], v[94:95], v[119:120]
	v_div_scale_f64 v[98:99], s[20:21], v[96:97], v[96:97], 1.0
	v_div_scale_f64 v[104:105], vcc, 1.0, v[96:97], 1.0
	v_rcp_f64_e32 v[100:101], v[98:99]
	v_fma_f64 v[102:103], -v[98:99], v[100:101], 1.0
	v_fma_f64 v[100:101], v[100:101], v[102:103], v[100:101]
	v_fma_f64 v[102:103], -v[98:99], v[100:101], 1.0
	v_fma_f64 v[100:101], v[100:101], v[102:103], v[100:101]
	v_mul_f64 v[102:103], v[104:105], v[100:101]
	v_fma_f64 v[98:99], -v[98:99], v[102:103], v[104:105]
	v_div_fmas_f64 v[98:99], v[98:99], v[100:101], v[102:103]
	v_div_fixup_f64 v[119:120], v[98:99], v[96:97], 1.0
	v_mul_f64 v[117:118], v[94:95], v[119:120]
	v_xor_b32_e32 v120, 0x80000000, v120
.LBB98_154:
	s_andn2_saveexec_b64 s[18:19], s[18:19]
	s_cbranch_execz .LBB98_156
; %bb.155:
	v_div_scale_f64 v[94:95], s[20:21], v[117:118], v[117:118], v[119:120]
	v_rcp_f64_e32 v[96:97], v[94:95]
	v_fma_f64 v[98:99], -v[94:95], v[96:97], 1.0
	v_fma_f64 v[96:97], v[96:97], v[98:99], v[96:97]
	v_div_scale_f64 v[98:99], vcc, v[119:120], v[117:118], v[119:120]
	v_fma_f64 v[100:101], -v[94:95], v[96:97], 1.0
	v_fma_f64 v[96:97], v[96:97], v[100:101], v[96:97]
	v_mul_f64 v[100:101], v[98:99], v[96:97]
	v_fma_f64 v[94:95], -v[94:95], v[100:101], v[98:99]
	v_div_fmas_f64 v[94:95], v[94:95], v[96:97], v[100:101]
	v_div_fixup_f64 v[94:95], v[94:95], v[117:118], v[119:120]
	v_fma_f64 v[96:97], v[119:120], v[94:95], v[117:118]
	v_div_scale_f64 v[98:99], s[20:21], v[96:97], v[96:97], 1.0
	v_div_scale_f64 v[104:105], vcc, 1.0, v[96:97], 1.0
	v_rcp_f64_e32 v[100:101], v[98:99]
	v_fma_f64 v[102:103], -v[98:99], v[100:101], 1.0
	v_fma_f64 v[100:101], v[100:101], v[102:103], v[100:101]
	v_fma_f64 v[102:103], -v[98:99], v[100:101], 1.0
	v_fma_f64 v[100:101], v[100:101], v[102:103], v[100:101]
	v_mul_f64 v[102:103], v[104:105], v[100:101]
	v_fma_f64 v[98:99], -v[98:99], v[102:103], v[104:105]
	v_div_fmas_f64 v[98:99], v[98:99], v[100:101], v[102:103]
	v_div_fixup_f64 v[117:118], v[98:99], v[96:97], 1.0
	v_mul_f64 v[119:120], v[94:95], -v[117:118]
.LBB98_156:
	s_or_b64 exec, exec, s[18:19]
.LBB98_157:
	s_or_b64 exec, exec, s[0:1]
	v_cmp_ne_u32_e32 vcc, v92, v93
	s_and_saveexec_b64 s[0:1], vcc
	s_xor_b64 s[0:1], exec, s[0:1]
	s_cbranch_execz .LBB98_163
; %bb.158:
	v_cmp_eq_u32_e32 vcc, 7, v92
	s_and_saveexec_b64 s[18:19], vcc
	s_cbranch_execz .LBB98_162
; %bb.159:
	v_cmp_ne_u32_e32 vcc, 7, v93
	s_xor_b64 s[20:21], s[6:7], -1
	s_and_b64 s[22:23], s[20:21], vcc
	s_and_saveexec_b64 s[20:21], s[22:23]
	s_cbranch_execz .LBB98_161
; %bb.160:
	buffer_load_dword v81, off, s[24:27], 0 offset:368 ; 4-byte Folded Reload
	buffer_load_dword v82, off, s[24:27], 0 offset:372 ; 4-byte Folded Reload
	v_ashrrev_i32_e32 v94, 31, v93
	v_lshlrev_b64 v[94:95], 2, v[93:94]
	s_waitcnt vmcnt(1)
	v_add_co_u32_e32 v94, vcc, v81, v94
	s_waitcnt vmcnt(0)
	v_addc_co_u32_e32 v95, vcc, v82, v95, vcc
	global_load_dword v0, v[94:95], off
	global_load_dword v92, v[81:82], off offset:28
	s_waitcnt vmcnt(1)
	global_store_dword v[81:82], v0, off offset:28
	s_waitcnt vmcnt(1)
	global_store_dword v[94:95], v92, off
.LBB98_161:
	s_or_b64 exec, exec, s[20:21]
	v_mov_b32_e32 v92, v93
	v_mov_b32_e32 v0, v93
.LBB98_162:
	s_or_b64 exec, exec, s[18:19]
.LBB98_163:
	s_andn2_saveexec_b64 s[0:1], s[0:1]
	s_cbranch_execz .LBB98_165
; %bb.164:
	buffer_load_dword v81, off, s[24:27], 0 offset:272 ; 4-byte Folded Reload
	buffer_load_dword v82, off, s[24:27], 0 offset:276 ; 4-byte Folded Reload
	;; [unrolled: 1-line block ×4, first 2 shown]
	v_mov_b32_e32 v92, 7
	s_waitcnt vmcnt(0)
	ds_write2_b64 v90, v[81:82], v[83:84] offset0:16 offset1:17
	buffer_load_dword v81, off, s[24:27], 0 offset:256 ; 4-byte Folded Reload
	buffer_load_dword v82, off, s[24:27], 0 offset:260 ; 4-byte Folded Reload
	buffer_load_dword v83, off, s[24:27], 0 offset:264 ; 4-byte Folded Reload
	buffer_load_dword v84, off, s[24:27], 0 offset:268 ; 4-byte Folded Reload
	s_waitcnt vmcnt(0)
	ds_write2_b64 v90, v[81:82], v[83:84] offset0:18 offset1:19
	buffer_load_dword v81, off, s[24:27], 0 offset:240 ; 4-byte Folded Reload
	buffer_load_dword v82, off, s[24:27], 0 offset:244 ; 4-byte Folded Reload
	buffer_load_dword v83, off, s[24:27], 0 offset:248 ; 4-byte Folded Reload
	buffer_load_dword v84, off, s[24:27], 0 offset:252 ; 4-byte Folded Reload
	;; [unrolled: 6-line block ×16, first 2 shown]
	s_waitcnt vmcnt(0)
	ds_write2_b64 v90, v[81:82], v[83:84] offset0:48 offset1:49
	buffer_load_dword v81, off, s[24:27], 0 ; 4-byte Folded Reload
	buffer_load_dword v82, off, s[24:27], 0 offset:4 ; 4-byte Folded Reload
	buffer_load_dword v83, off, s[24:27], 0 offset:8 ; 4-byte Folded Reload
	buffer_load_dword v84, off, s[24:27], 0 offset:12 ; 4-byte Folded Reload
	s_waitcnt vmcnt(0)
	ds_write2_b64 v90, v[81:82], v[83:84] offset0:50 offset1:51
	ds_write2_b64 v90, v[107:108], v[109:110] offset0:52 offset1:53
	;; [unrolled: 1-line block ×25, first 2 shown]
.LBB98_165:
	s_or_b64 exec, exec, s[0:1]
	v_cmp_lt_i32_e32 vcc, 7, v92
	s_waitcnt vmcnt(0) lgkmcnt(0)
	s_barrier
	s_and_saveexec_b64 s[0:1], vcc
	s_cbranch_execz .LBB98_167
; %bb.166:
	buffer_load_dword v97, off, s[24:27], 0 offset:288 ; 4-byte Folded Reload
	buffer_load_dword v98, off, s[24:27], 0 offset:292 ; 4-byte Folded Reload
	buffer_load_dword v99, off, s[24:27], 0 offset:296 ; 4-byte Folded Reload
	buffer_load_dword v100, off, s[24:27], 0 offset:300 ; 4-byte Folded Reload
	s_waitcnt vmcnt(0)
	v_mul_f64 v[93:94], v[119:120], v[99:100]
	v_fma_f64 v[125:126], v[117:118], v[97:98], -v[93:94]
	v_mul_f64 v[93:94], v[117:118], v[99:100]
	v_fma_f64 v[99:100], v[119:120], v[97:98], v[93:94]
	ds_read2_b64 v[93:96], v90 offset0:16 offset1:17
	buffer_load_dword v81, off, s[24:27], 0 offset:272 ; 4-byte Folded Reload
	buffer_load_dword v82, off, s[24:27], 0 offset:276 ; 4-byte Folded Reload
	buffer_load_dword v83, off, s[24:27], 0 offset:280 ; 4-byte Folded Reload
	buffer_load_dword v84, off, s[24:27], 0 offset:284 ; 4-byte Folded Reload
	s_waitcnt lgkmcnt(0)
	v_mul_f64 v[97:98], v[95:96], v[99:100]
	v_fma_f64 v[97:98], v[93:94], v[125:126], -v[97:98]
	v_mul_f64 v[93:94], v[93:94], v[99:100]
	v_fma_f64 v[93:94], v[95:96], v[125:126], v[93:94]
	s_waitcnt vmcnt(2)
	v_add_f64 v[81:82], v[81:82], -v[97:98]
	s_waitcnt vmcnt(0)
	v_add_f64 v[83:84], v[83:84], -v[93:94]
	buffer_store_dword v81, off, s[24:27], 0 offset:272 ; 4-byte Folded Spill
	s_nop 0
	buffer_store_dword v82, off, s[24:27], 0 offset:276 ; 4-byte Folded Spill
	buffer_store_dword v83, off, s[24:27], 0 offset:280 ; 4-byte Folded Spill
	buffer_store_dword v84, off, s[24:27], 0 offset:284 ; 4-byte Folded Spill
	ds_read2_b64 v[93:96], v90 offset0:18 offset1:19
	buffer_load_dword v81, off, s[24:27], 0 offset:256 ; 4-byte Folded Reload
	buffer_load_dword v82, off, s[24:27], 0 offset:260 ; 4-byte Folded Reload
	buffer_load_dword v83, off, s[24:27], 0 offset:264 ; 4-byte Folded Reload
	buffer_load_dword v84, off, s[24:27], 0 offset:268 ; 4-byte Folded Reload
	s_waitcnt lgkmcnt(0)
	v_mul_f64 v[97:98], v[95:96], v[99:100]
	v_fma_f64 v[97:98], v[93:94], v[125:126], -v[97:98]
	v_mul_f64 v[93:94], v[93:94], v[99:100]
	v_fma_f64 v[93:94], v[95:96], v[125:126], v[93:94]
	s_waitcnt vmcnt(2)
	v_add_f64 v[81:82], v[81:82], -v[97:98]
	s_waitcnt vmcnt(0)
	v_add_f64 v[83:84], v[83:84], -v[93:94]
	buffer_store_dword v81, off, s[24:27], 0 offset:256 ; 4-byte Folded Spill
	s_nop 0
	buffer_store_dword v82, off, s[24:27], 0 offset:260 ; 4-byte Folded Spill
	buffer_store_dword v83, off, s[24:27], 0 offset:264 ; 4-byte Folded Spill
	buffer_store_dword v84, off, s[24:27], 0 offset:268 ; 4-byte Folded Spill
	;; [unrolled: 19-line block ×17, first 2 shown]
	ds_read2_b64 v[93:96], v90 offset0:50 offset1:51
	buffer_load_dword v81, off, s[24:27], 0 ; 4-byte Folded Reload
	buffer_load_dword v82, off, s[24:27], 0 offset:4 ; 4-byte Folded Reload
	buffer_load_dword v83, off, s[24:27], 0 offset:8 ; 4-byte Folded Reload
	;; [unrolled: 1-line block ×3, first 2 shown]
	s_waitcnt lgkmcnt(0)
	v_mul_f64 v[97:98], v[95:96], v[99:100]
	v_fma_f64 v[97:98], v[93:94], v[125:126], -v[97:98]
	v_mul_f64 v[93:94], v[93:94], v[99:100]
	v_fma_f64 v[93:94], v[95:96], v[125:126], v[93:94]
	s_waitcnt vmcnt(2)
	v_add_f64 v[81:82], v[81:82], -v[97:98]
	s_waitcnt vmcnt(0)
	v_add_f64 v[83:84], v[83:84], -v[93:94]
	buffer_store_dword v81, off, s[24:27], 0 ; 4-byte Folded Spill
	s_nop 0
	buffer_store_dword v82, off, s[24:27], 0 offset:4 ; 4-byte Folded Spill
	buffer_store_dword v83, off, s[24:27], 0 offset:8 ; 4-byte Folded Spill
	;; [unrolled: 1-line block ×3, first 2 shown]
	ds_read2_b64 v[93:96], v90 offset0:52 offset1:53
	s_waitcnt lgkmcnt(0)
	v_mul_f64 v[97:98], v[95:96], v[99:100]
	v_fma_f64 v[97:98], v[93:94], v[125:126], -v[97:98]
	v_mul_f64 v[93:94], v[93:94], v[99:100]
	v_add_f64 v[107:108], v[107:108], -v[97:98]
	v_fma_f64 v[93:94], v[95:96], v[125:126], v[93:94]
	v_add_f64 v[109:110], v[109:110], -v[93:94]
	ds_read2_b64 v[93:96], v90 offset0:54 offset1:55
	s_waitcnt lgkmcnt(0)
	v_mul_f64 v[97:98], v[95:96], v[99:100]
	v_fma_f64 v[97:98], v[93:94], v[125:126], -v[97:98]
	v_mul_f64 v[93:94], v[93:94], v[99:100]
	v_add_f64 v[113:114], v[113:114], -v[97:98]
	v_fma_f64 v[93:94], v[95:96], v[125:126], v[93:94]
	v_add_f64 v[115:116], v[115:116], -v[93:94]
	;; [unrolled: 8-line block ×23, first 2 shown]
	ds_read2_b64 v[93:96], v90 offset0:98 offset1:99
	s_waitcnt lgkmcnt(0)
	v_mul_f64 v[97:98], v[95:96], v[99:100]
	v_fma_f64 v[97:98], v[93:94], v[125:126], -v[97:98]
	v_mul_f64 v[93:94], v[93:94], v[99:100]
	v_add_f64 v[121:122], v[121:122], -v[97:98]
	v_fma_f64 v[93:94], v[95:96], v[125:126], v[93:94]
	v_mov_b32_e32 v97, v125
	v_mov_b32_e32 v98, v126
	buffer_store_dword v97, off, s[24:27], 0 offset:288 ; 4-byte Folded Spill
	s_nop 0
	buffer_store_dword v98, off, s[24:27], 0 offset:292 ; 4-byte Folded Spill
	buffer_store_dword v99, off, s[24:27], 0 offset:296 ; 4-byte Folded Spill
	;; [unrolled: 1-line block ×3, first 2 shown]
	v_add_f64 v[123:124], v[123:124], -v[93:94]
.LBB98_167:
	s_or_b64 exec, exec, s[0:1]
	s_waitcnt vmcnt(0)
	s_barrier
	buffer_load_dword v81, off, s[24:27], 0 offset:272 ; 4-byte Folded Reload
	buffer_load_dword v82, off, s[24:27], 0 offset:276 ; 4-byte Folded Reload
	;; [unrolled: 1-line block ×4, first 2 shown]
	v_lshl_add_u32 v93, v92, 4, v90
	s_cmp_lt_i32 s3, 10
	s_waitcnt vmcnt(0)
	ds_write2_b64 v93, v[81:82], v[83:84] offset1:1
	s_waitcnt lgkmcnt(0)
	s_barrier
	ds_read2_b64 v[117:120], v90 offset0:16 offset1:17
	v_mov_b32_e32 v93, 8
	s_cbranch_scc1 .LBB98_170
; %bb.168:
	v_add_u32_e32 v94, 0x90, v90
	s_mov_b32 s0, 9
	v_mov_b32_e32 v93, 8
.LBB98_169:                             ; =>This Inner Loop Header: Depth=1
	s_waitcnt lgkmcnt(0)
	v_cmp_gt_f64_e32 vcc, 0, v[117:118]
	v_xor_b32_e32 v99, 0x80000000, v118
	ds_read2_b64 v[95:98], v94 offset1:1
	v_xor_b32_e32 v101, 0x80000000, v120
	v_add_u32_e32 v94, 16, v94
	s_waitcnt lgkmcnt(0)
	v_xor_b32_e32 v103, 0x80000000, v98
	v_cndmask_b32_e32 v100, v118, v99, vcc
	v_cmp_gt_f64_e32 vcc, 0, v[119:120]
	v_mov_b32_e32 v99, v117
	v_cndmask_b32_e32 v102, v120, v101, vcc
	v_cmp_gt_f64_e32 vcc, 0, v[95:96]
	v_mov_b32_e32 v101, v119
	v_add_f64 v[99:100], v[99:100], v[101:102]
	v_xor_b32_e32 v101, 0x80000000, v96
	v_cndmask_b32_e32 v102, v96, v101, vcc
	v_cmp_gt_f64_e32 vcc, 0, v[97:98]
	v_mov_b32_e32 v101, v95
	v_cndmask_b32_e32 v104, v98, v103, vcc
	v_mov_b32_e32 v103, v97
	v_add_f64 v[101:102], v[101:102], v[103:104]
	v_cmp_lt_f64_e32 vcc, v[99:100], v[101:102]
	v_cndmask_b32_e32 v117, v117, v95, vcc
	v_mov_b32_e32 v95, s0
	s_add_i32 s0, s0, 1
	v_cndmask_b32_e32 v118, v118, v96, vcc
	v_cndmask_b32_e32 v120, v120, v98, vcc
	;; [unrolled: 1-line block ×4, first 2 shown]
	s_cmp_lg_u32 s3, s0
	s_cbranch_scc1 .LBB98_169
.LBB98_170:
	s_waitcnt lgkmcnt(0)
	v_cmp_eq_f64_e32 vcc, 0, v[117:118]
	v_cmp_eq_f64_e64 s[0:1], 0, v[119:120]
	s_and_b64 s[0:1], vcc, s[0:1]
	s_and_saveexec_b64 s[18:19], s[0:1]
	s_xor_b64 s[0:1], exec, s[18:19]
; %bb.171:
	v_cmp_ne_u32_e32 vcc, 0, v91
	v_cndmask_b32_e32 v91, 9, v91, vcc
; %bb.172:
	s_andn2_saveexec_b64 s[0:1], s[0:1]
	s_cbranch_execz .LBB98_178
; %bb.173:
	v_cmp_ngt_f64_e64 s[18:19], |v[117:118]|, |v[119:120]|
	s_and_saveexec_b64 s[20:21], s[18:19]
	s_xor_b64 s[18:19], exec, s[20:21]
	s_cbranch_execz .LBB98_175
; %bb.174:
	v_div_scale_f64 v[94:95], s[20:21], v[119:120], v[119:120], v[117:118]
	v_rcp_f64_e32 v[96:97], v[94:95]
	v_fma_f64 v[98:99], -v[94:95], v[96:97], 1.0
	v_fma_f64 v[96:97], v[96:97], v[98:99], v[96:97]
	v_div_scale_f64 v[98:99], vcc, v[117:118], v[119:120], v[117:118]
	v_fma_f64 v[100:101], -v[94:95], v[96:97], 1.0
	v_fma_f64 v[96:97], v[96:97], v[100:101], v[96:97]
	v_mul_f64 v[100:101], v[98:99], v[96:97]
	v_fma_f64 v[94:95], -v[94:95], v[100:101], v[98:99]
	v_div_fmas_f64 v[94:95], v[94:95], v[96:97], v[100:101]
	v_div_fixup_f64 v[94:95], v[94:95], v[119:120], v[117:118]
	v_fma_f64 v[96:97], v[117:118], v[94:95], v[119:120]
	v_div_scale_f64 v[98:99], s[20:21], v[96:97], v[96:97], 1.0
	v_div_scale_f64 v[104:105], vcc, 1.0, v[96:97], 1.0
	v_rcp_f64_e32 v[100:101], v[98:99]
	v_fma_f64 v[102:103], -v[98:99], v[100:101], 1.0
	v_fma_f64 v[100:101], v[100:101], v[102:103], v[100:101]
	v_fma_f64 v[102:103], -v[98:99], v[100:101], 1.0
	v_fma_f64 v[100:101], v[100:101], v[102:103], v[100:101]
	v_mul_f64 v[102:103], v[104:105], v[100:101]
	v_fma_f64 v[98:99], -v[98:99], v[102:103], v[104:105]
	v_div_fmas_f64 v[98:99], v[98:99], v[100:101], v[102:103]
	v_div_fixup_f64 v[119:120], v[98:99], v[96:97], 1.0
	v_mul_f64 v[117:118], v[94:95], v[119:120]
	v_xor_b32_e32 v120, 0x80000000, v120
.LBB98_175:
	s_andn2_saveexec_b64 s[18:19], s[18:19]
	s_cbranch_execz .LBB98_177
; %bb.176:
	v_div_scale_f64 v[94:95], s[20:21], v[117:118], v[117:118], v[119:120]
	v_rcp_f64_e32 v[96:97], v[94:95]
	v_fma_f64 v[98:99], -v[94:95], v[96:97], 1.0
	v_fma_f64 v[96:97], v[96:97], v[98:99], v[96:97]
	v_div_scale_f64 v[98:99], vcc, v[119:120], v[117:118], v[119:120]
	v_fma_f64 v[100:101], -v[94:95], v[96:97], 1.0
	v_fma_f64 v[96:97], v[96:97], v[100:101], v[96:97]
	v_mul_f64 v[100:101], v[98:99], v[96:97]
	v_fma_f64 v[94:95], -v[94:95], v[100:101], v[98:99]
	v_div_fmas_f64 v[94:95], v[94:95], v[96:97], v[100:101]
	v_div_fixup_f64 v[94:95], v[94:95], v[117:118], v[119:120]
	v_fma_f64 v[96:97], v[119:120], v[94:95], v[117:118]
	v_div_scale_f64 v[98:99], s[20:21], v[96:97], v[96:97], 1.0
	v_div_scale_f64 v[104:105], vcc, 1.0, v[96:97], 1.0
	v_rcp_f64_e32 v[100:101], v[98:99]
	v_fma_f64 v[102:103], -v[98:99], v[100:101], 1.0
	v_fma_f64 v[100:101], v[100:101], v[102:103], v[100:101]
	v_fma_f64 v[102:103], -v[98:99], v[100:101], 1.0
	v_fma_f64 v[100:101], v[100:101], v[102:103], v[100:101]
	v_mul_f64 v[102:103], v[104:105], v[100:101]
	v_fma_f64 v[98:99], -v[98:99], v[102:103], v[104:105]
	v_div_fmas_f64 v[98:99], v[98:99], v[100:101], v[102:103]
	v_div_fixup_f64 v[117:118], v[98:99], v[96:97], 1.0
	v_mul_f64 v[119:120], v[94:95], -v[117:118]
.LBB98_177:
	s_or_b64 exec, exec, s[18:19]
.LBB98_178:
	s_or_b64 exec, exec, s[0:1]
	v_cmp_ne_u32_e32 vcc, v92, v93
	s_and_saveexec_b64 s[0:1], vcc
	s_xor_b64 s[0:1], exec, s[0:1]
	s_cbranch_execz .LBB98_184
; %bb.179:
	v_cmp_eq_u32_e32 vcc, 8, v92
	s_and_saveexec_b64 s[18:19], vcc
	s_cbranch_execz .LBB98_183
; %bb.180:
	v_cmp_ne_u32_e32 vcc, 8, v93
	s_xor_b64 s[20:21], s[6:7], -1
	s_and_b64 s[22:23], s[20:21], vcc
	s_and_saveexec_b64 s[20:21], s[22:23]
	s_cbranch_execz .LBB98_182
; %bb.181:
	buffer_load_dword v81, off, s[24:27], 0 offset:368 ; 4-byte Folded Reload
	buffer_load_dword v82, off, s[24:27], 0 offset:372 ; 4-byte Folded Reload
	v_ashrrev_i32_e32 v94, 31, v93
	v_lshlrev_b64 v[94:95], 2, v[93:94]
	s_waitcnt vmcnt(1)
	v_add_co_u32_e32 v94, vcc, v81, v94
	s_waitcnt vmcnt(0)
	v_addc_co_u32_e32 v95, vcc, v82, v95, vcc
	global_load_dword v0, v[94:95], off
	global_load_dword v92, v[81:82], off offset:32
	s_waitcnt vmcnt(1)
	global_store_dword v[81:82], v0, off offset:32
	s_waitcnt vmcnt(1)
	global_store_dword v[94:95], v92, off
.LBB98_182:
	s_or_b64 exec, exec, s[20:21]
	v_mov_b32_e32 v92, v93
	v_mov_b32_e32 v0, v93
.LBB98_183:
	s_or_b64 exec, exec, s[18:19]
.LBB98_184:
	s_andn2_saveexec_b64 s[0:1], s[0:1]
	s_cbranch_execz .LBB98_186
; %bb.185:
	buffer_load_dword v81, off, s[24:27], 0 offset:256 ; 4-byte Folded Reload
	buffer_load_dword v82, off, s[24:27], 0 offset:260 ; 4-byte Folded Reload
	;; [unrolled: 1-line block ×4, first 2 shown]
	v_mov_b32_e32 v92, 8
	s_waitcnt vmcnt(0)
	ds_write2_b64 v90, v[81:82], v[83:84] offset0:18 offset1:19
	buffer_load_dword v81, off, s[24:27], 0 offset:240 ; 4-byte Folded Reload
	buffer_load_dword v82, off, s[24:27], 0 offset:244 ; 4-byte Folded Reload
	buffer_load_dword v83, off, s[24:27], 0 offset:248 ; 4-byte Folded Reload
	buffer_load_dword v84, off, s[24:27], 0 offset:252 ; 4-byte Folded Reload
	s_waitcnt vmcnt(0)
	ds_write2_b64 v90, v[81:82], v[83:84] offset0:20 offset1:21
	buffer_load_dword v81, off, s[24:27], 0 offset:224 ; 4-byte Folded Reload
	buffer_load_dword v82, off, s[24:27], 0 offset:228 ; 4-byte Folded Reload
	buffer_load_dword v83, off, s[24:27], 0 offset:232 ; 4-byte Folded Reload
	buffer_load_dword v84, off, s[24:27], 0 offset:236 ; 4-byte Folded Reload
	;; [unrolled: 6-line block ×15, first 2 shown]
	s_waitcnt vmcnt(0)
	ds_write2_b64 v90, v[81:82], v[83:84] offset0:48 offset1:49
	buffer_load_dword v81, off, s[24:27], 0 ; 4-byte Folded Reload
	buffer_load_dword v82, off, s[24:27], 0 offset:4 ; 4-byte Folded Reload
	buffer_load_dword v83, off, s[24:27], 0 offset:8 ; 4-byte Folded Reload
	buffer_load_dword v84, off, s[24:27], 0 offset:12 ; 4-byte Folded Reload
	s_waitcnt vmcnt(0)
	ds_write2_b64 v90, v[81:82], v[83:84] offset0:50 offset1:51
	ds_write2_b64 v90, v[107:108], v[109:110] offset0:52 offset1:53
	;; [unrolled: 1-line block ×25, first 2 shown]
.LBB98_186:
	s_or_b64 exec, exec, s[0:1]
	v_cmp_lt_i32_e32 vcc, 8, v92
	s_waitcnt vmcnt(0) lgkmcnt(0)
	s_barrier
	s_and_saveexec_b64 s[0:1], vcc
	s_cbranch_execz .LBB98_188
; %bb.187:
	buffer_load_dword v97, off, s[24:27], 0 offset:272 ; 4-byte Folded Reload
	buffer_load_dword v98, off, s[24:27], 0 offset:276 ; 4-byte Folded Reload
	;; [unrolled: 1-line block ×4, first 2 shown]
	s_waitcnt vmcnt(0)
	v_mul_f64 v[93:94], v[119:120], v[99:100]
	v_fma_f64 v[125:126], v[117:118], v[97:98], -v[93:94]
	v_mul_f64 v[93:94], v[117:118], v[99:100]
	v_fma_f64 v[99:100], v[119:120], v[97:98], v[93:94]
	ds_read2_b64 v[93:96], v90 offset0:18 offset1:19
	buffer_load_dword v81, off, s[24:27], 0 offset:256 ; 4-byte Folded Reload
	buffer_load_dword v82, off, s[24:27], 0 offset:260 ; 4-byte Folded Reload
	buffer_load_dword v83, off, s[24:27], 0 offset:264 ; 4-byte Folded Reload
	buffer_load_dword v84, off, s[24:27], 0 offset:268 ; 4-byte Folded Reload
	s_waitcnt lgkmcnt(0)
	v_mul_f64 v[97:98], v[95:96], v[99:100]
	v_fma_f64 v[97:98], v[93:94], v[125:126], -v[97:98]
	v_mul_f64 v[93:94], v[93:94], v[99:100]
	v_fma_f64 v[93:94], v[95:96], v[125:126], v[93:94]
	s_waitcnt vmcnt(2)
	v_add_f64 v[81:82], v[81:82], -v[97:98]
	s_waitcnt vmcnt(0)
	v_add_f64 v[83:84], v[83:84], -v[93:94]
	buffer_store_dword v81, off, s[24:27], 0 offset:256 ; 4-byte Folded Spill
	s_nop 0
	buffer_store_dword v82, off, s[24:27], 0 offset:260 ; 4-byte Folded Spill
	buffer_store_dword v83, off, s[24:27], 0 offset:264 ; 4-byte Folded Spill
	buffer_store_dword v84, off, s[24:27], 0 offset:268 ; 4-byte Folded Spill
	ds_read2_b64 v[93:96], v90 offset0:20 offset1:21
	buffer_load_dword v81, off, s[24:27], 0 offset:240 ; 4-byte Folded Reload
	buffer_load_dword v82, off, s[24:27], 0 offset:244 ; 4-byte Folded Reload
	buffer_load_dword v83, off, s[24:27], 0 offset:248 ; 4-byte Folded Reload
	buffer_load_dword v84, off, s[24:27], 0 offset:252 ; 4-byte Folded Reload
	s_waitcnt lgkmcnt(0)
	v_mul_f64 v[97:98], v[95:96], v[99:100]
	v_fma_f64 v[97:98], v[93:94], v[125:126], -v[97:98]
	v_mul_f64 v[93:94], v[93:94], v[99:100]
	v_fma_f64 v[93:94], v[95:96], v[125:126], v[93:94]
	s_waitcnt vmcnt(2)
	v_add_f64 v[81:82], v[81:82], -v[97:98]
	s_waitcnt vmcnt(0)
	v_add_f64 v[83:84], v[83:84], -v[93:94]
	buffer_store_dword v81, off, s[24:27], 0 offset:240 ; 4-byte Folded Spill
	s_nop 0
	buffer_store_dword v82, off, s[24:27], 0 offset:244 ; 4-byte Folded Spill
	buffer_store_dword v83, off, s[24:27], 0 offset:248 ; 4-byte Folded Spill
	buffer_store_dword v84, off, s[24:27], 0 offset:252 ; 4-byte Folded Spill
	;; [unrolled: 19-line block ×16, first 2 shown]
	ds_read2_b64 v[93:96], v90 offset0:50 offset1:51
	buffer_load_dword v81, off, s[24:27], 0 ; 4-byte Folded Reload
	buffer_load_dword v82, off, s[24:27], 0 offset:4 ; 4-byte Folded Reload
	buffer_load_dword v83, off, s[24:27], 0 offset:8 ; 4-byte Folded Reload
	;; [unrolled: 1-line block ×3, first 2 shown]
	s_waitcnt lgkmcnt(0)
	v_mul_f64 v[97:98], v[95:96], v[99:100]
	v_fma_f64 v[97:98], v[93:94], v[125:126], -v[97:98]
	v_mul_f64 v[93:94], v[93:94], v[99:100]
	v_fma_f64 v[93:94], v[95:96], v[125:126], v[93:94]
	s_waitcnt vmcnt(2)
	v_add_f64 v[81:82], v[81:82], -v[97:98]
	s_waitcnt vmcnt(0)
	v_add_f64 v[83:84], v[83:84], -v[93:94]
	buffer_store_dword v81, off, s[24:27], 0 ; 4-byte Folded Spill
	s_nop 0
	buffer_store_dword v82, off, s[24:27], 0 offset:4 ; 4-byte Folded Spill
	buffer_store_dword v83, off, s[24:27], 0 offset:8 ; 4-byte Folded Spill
	;; [unrolled: 1-line block ×3, first 2 shown]
	ds_read2_b64 v[93:96], v90 offset0:52 offset1:53
	s_waitcnt lgkmcnt(0)
	v_mul_f64 v[97:98], v[95:96], v[99:100]
	v_fma_f64 v[97:98], v[93:94], v[125:126], -v[97:98]
	v_mul_f64 v[93:94], v[93:94], v[99:100]
	v_add_f64 v[107:108], v[107:108], -v[97:98]
	v_fma_f64 v[93:94], v[95:96], v[125:126], v[93:94]
	v_add_f64 v[109:110], v[109:110], -v[93:94]
	ds_read2_b64 v[93:96], v90 offset0:54 offset1:55
	s_waitcnt lgkmcnt(0)
	v_mul_f64 v[97:98], v[95:96], v[99:100]
	v_fma_f64 v[97:98], v[93:94], v[125:126], -v[97:98]
	v_mul_f64 v[93:94], v[93:94], v[99:100]
	v_add_f64 v[113:114], v[113:114], -v[97:98]
	v_fma_f64 v[93:94], v[95:96], v[125:126], v[93:94]
	v_add_f64 v[115:116], v[115:116], -v[93:94]
	;; [unrolled: 8-line block ×23, first 2 shown]
	ds_read2_b64 v[93:96], v90 offset0:98 offset1:99
	s_waitcnt lgkmcnt(0)
	v_mul_f64 v[97:98], v[95:96], v[99:100]
	v_fma_f64 v[97:98], v[93:94], v[125:126], -v[97:98]
	v_mul_f64 v[93:94], v[93:94], v[99:100]
	v_add_f64 v[121:122], v[121:122], -v[97:98]
	v_fma_f64 v[93:94], v[95:96], v[125:126], v[93:94]
	v_mov_b32_e32 v97, v125
	v_mov_b32_e32 v98, v126
	buffer_store_dword v97, off, s[24:27], 0 offset:272 ; 4-byte Folded Spill
	s_nop 0
	buffer_store_dword v98, off, s[24:27], 0 offset:276 ; 4-byte Folded Spill
	buffer_store_dword v99, off, s[24:27], 0 offset:280 ; 4-byte Folded Spill
	;; [unrolled: 1-line block ×3, first 2 shown]
	v_add_f64 v[123:124], v[123:124], -v[93:94]
.LBB98_188:
	s_or_b64 exec, exec, s[0:1]
	s_waitcnt vmcnt(0)
	s_barrier
	buffer_load_dword v81, off, s[24:27], 0 offset:256 ; 4-byte Folded Reload
	buffer_load_dword v82, off, s[24:27], 0 offset:260 ; 4-byte Folded Reload
	;; [unrolled: 1-line block ×4, first 2 shown]
	v_lshl_add_u32 v93, v92, 4, v90
	s_cmp_lt_i32 s3, 11
	s_waitcnt vmcnt(0)
	ds_write2_b64 v93, v[81:82], v[83:84] offset1:1
	s_waitcnt lgkmcnt(0)
	s_barrier
	ds_read2_b64 v[117:120], v90 offset0:18 offset1:19
	v_mov_b32_e32 v93, 9
	s_cbranch_scc1 .LBB98_191
; %bb.189:
	v_add_u32_e32 v94, 0xa0, v90
	s_mov_b32 s0, 10
	v_mov_b32_e32 v93, 9
.LBB98_190:                             ; =>This Inner Loop Header: Depth=1
	s_waitcnt lgkmcnt(0)
	v_cmp_gt_f64_e32 vcc, 0, v[117:118]
	v_xor_b32_e32 v99, 0x80000000, v118
	ds_read2_b64 v[95:98], v94 offset1:1
	v_xor_b32_e32 v101, 0x80000000, v120
	v_add_u32_e32 v94, 16, v94
	s_waitcnt lgkmcnt(0)
	v_xor_b32_e32 v103, 0x80000000, v98
	v_cndmask_b32_e32 v100, v118, v99, vcc
	v_cmp_gt_f64_e32 vcc, 0, v[119:120]
	v_mov_b32_e32 v99, v117
	v_cndmask_b32_e32 v102, v120, v101, vcc
	v_cmp_gt_f64_e32 vcc, 0, v[95:96]
	v_mov_b32_e32 v101, v119
	v_add_f64 v[99:100], v[99:100], v[101:102]
	v_xor_b32_e32 v101, 0x80000000, v96
	v_cndmask_b32_e32 v102, v96, v101, vcc
	v_cmp_gt_f64_e32 vcc, 0, v[97:98]
	v_mov_b32_e32 v101, v95
	v_cndmask_b32_e32 v104, v98, v103, vcc
	v_mov_b32_e32 v103, v97
	v_add_f64 v[101:102], v[101:102], v[103:104]
	v_cmp_lt_f64_e32 vcc, v[99:100], v[101:102]
	v_cndmask_b32_e32 v117, v117, v95, vcc
	v_mov_b32_e32 v95, s0
	s_add_i32 s0, s0, 1
	v_cndmask_b32_e32 v118, v118, v96, vcc
	v_cndmask_b32_e32 v120, v120, v98, vcc
	v_cndmask_b32_e32 v119, v119, v97, vcc
	v_cndmask_b32_e32 v93, v93, v95, vcc
	s_cmp_lg_u32 s3, s0
	s_cbranch_scc1 .LBB98_190
.LBB98_191:
	s_waitcnt lgkmcnt(0)
	v_cmp_eq_f64_e32 vcc, 0, v[117:118]
	v_cmp_eq_f64_e64 s[0:1], 0, v[119:120]
	s_and_b64 s[0:1], vcc, s[0:1]
	s_and_saveexec_b64 s[18:19], s[0:1]
	s_xor_b64 s[0:1], exec, s[18:19]
; %bb.192:
	v_cmp_ne_u32_e32 vcc, 0, v91
	v_cndmask_b32_e32 v91, 10, v91, vcc
; %bb.193:
	s_andn2_saveexec_b64 s[0:1], s[0:1]
	s_cbranch_execz .LBB98_199
; %bb.194:
	v_cmp_ngt_f64_e64 s[18:19], |v[117:118]|, |v[119:120]|
	s_and_saveexec_b64 s[20:21], s[18:19]
	s_xor_b64 s[18:19], exec, s[20:21]
	s_cbranch_execz .LBB98_196
; %bb.195:
	v_div_scale_f64 v[94:95], s[20:21], v[119:120], v[119:120], v[117:118]
	v_rcp_f64_e32 v[96:97], v[94:95]
	v_fma_f64 v[98:99], -v[94:95], v[96:97], 1.0
	v_fma_f64 v[96:97], v[96:97], v[98:99], v[96:97]
	v_div_scale_f64 v[98:99], vcc, v[117:118], v[119:120], v[117:118]
	v_fma_f64 v[100:101], -v[94:95], v[96:97], 1.0
	v_fma_f64 v[96:97], v[96:97], v[100:101], v[96:97]
	v_mul_f64 v[100:101], v[98:99], v[96:97]
	v_fma_f64 v[94:95], -v[94:95], v[100:101], v[98:99]
	v_div_fmas_f64 v[94:95], v[94:95], v[96:97], v[100:101]
	v_div_fixup_f64 v[94:95], v[94:95], v[119:120], v[117:118]
	v_fma_f64 v[96:97], v[117:118], v[94:95], v[119:120]
	v_div_scale_f64 v[98:99], s[20:21], v[96:97], v[96:97], 1.0
	v_div_scale_f64 v[104:105], vcc, 1.0, v[96:97], 1.0
	v_rcp_f64_e32 v[100:101], v[98:99]
	v_fma_f64 v[102:103], -v[98:99], v[100:101], 1.0
	v_fma_f64 v[100:101], v[100:101], v[102:103], v[100:101]
	v_fma_f64 v[102:103], -v[98:99], v[100:101], 1.0
	v_fma_f64 v[100:101], v[100:101], v[102:103], v[100:101]
	v_mul_f64 v[102:103], v[104:105], v[100:101]
	v_fma_f64 v[98:99], -v[98:99], v[102:103], v[104:105]
	v_div_fmas_f64 v[98:99], v[98:99], v[100:101], v[102:103]
	v_div_fixup_f64 v[119:120], v[98:99], v[96:97], 1.0
	v_mul_f64 v[117:118], v[94:95], v[119:120]
	v_xor_b32_e32 v120, 0x80000000, v120
.LBB98_196:
	s_andn2_saveexec_b64 s[18:19], s[18:19]
	s_cbranch_execz .LBB98_198
; %bb.197:
	v_div_scale_f64 v[94:95], s[20:21], v[117:118], v[117:118], v[119:120]
	v_rcp_f64_e32 v[96:97], v[94:95]
	v_fma_f64 v[98:99], -v[94:95], v[96:97], 1.0
	v_fma_f64 v[96:97], v[96:97], v[98:99], v[96:97]
	v_div_scale_f64 v[98:99], vcc, v[119:120], v[117:118], v[119:120]
	v_fma_f64 v[100:101], -v[94:95], v[96:97], 1.0
	v_fma_f64 v[96:97], v[96:97], v[100:101], v[96:97]
	v_mul_f64 v[100:101], v[98:99], v[96:97]
	v_fma_f64 v[94:95], -v[94:95], v[100:101], v[98:99]
	v_div_fmas_f64 v[94:95], v[94:95], v[96:97], v[100:101]
	v_div_fixup_f64 v[94:95], v[94:95], v[117:118], v[119:120]
	v_fma_f64 v[96:97], v[119:120], v[94:95], v[117:118]
	v_div_scale_f64 v[98:99], s[20:21], v[96:97], v[96:97], 1.0
	v_div_scale_f64 v[104:105], vcc, 1.0, v[96:97], 1.0
	v_rcp_f64_e32 v[100:101], v[98:99]
	v_fma_f64 v[102:103], -v[98:99], v[100:101], 1.0
	v_fma_f64 v[100:101], v[100:101], v[102:103], v[100:101]
	v_fma_f64 v[102:103], -v[98:99], v[100:101], 1.0
	v_fma_f64 v[100:101], v[100:101], v[102:103], v[100:101]
	v_mul_f64 v[102:103], v[104:105], v[100:101]
	v_fma_f64 v[98:99], -v[98:99], v[102:103], v[104:105]
	v_div_fmas_f64 v[98:99], v[98:99], v[100:101], v[102:103]
	v_div_fixup_f64 v[117:118], v[98:99], v[96:97], 1.0
	v_mul_f64 v[119:120], v[94:95], -v[117:118]
.LBB98_198:
	s_or_b64 exec, exec, s[18:19]
.LBB98_199:
	s_or_b64 exec, exec, s[0:1]
	v_cmp_ne_u32_e32 vcc, v92, v93
	s_and_saveexec_b64 s[0:1], vcc
	s_xor_b64 s[0:1], exec, s[0:1]
	s_cbranch_execz .LBB98_205
; %bb.200:
	v_cmp_eq_u32_e32 vcc, 9, v92
	s_and_saveexec_b64 s[18:19], vcc
	s_cbranch_execz .LBB98_204
; %bb.201:
	v_cmp_ne_u32_e32 vcc, 9, v93
	s_xor_b64 s[20:21], s[6:7], -1
	s_and_b64 s[22:23], s[20:21], vcc
	s_and_saveexec_b64 s[20:21], s[22:23]
	s_cbranch_execz .LBB98_203
; %bb.202:
	buffer_load_dword v81, off, s[24:27], 0 offset:368 ; 4-byte Folded Reload
	buffer_load_dword v82, off, s[24:27], 0 offset:372 ; 4-byte Folded Reload
	v_ashrrev_i32_e32 v94, 31, v93
	v_lshlrev_b64 v[94:95], 2, v[93:94]
	s_waitcnt vmcnt(1)
	v_add_co_u32_e32 v94, vcc, v81, v94
	s_waitcnt vmcnt(0)
	v_addc_co_u32_e32 v95, vcc, v82, v95, vcc
	global_load_dword v0, v[94:95], off
	global_load_dword v92, v[81:82], off offset:36
	s_waitcnt vmcnt(1)
	global_store_dword v[81:82], v0, off offset:36
	s_waitcnt vmcnt(1)
	global_store_dword v[94:95], v92, off
.LBB98_203:
	s_or_b64 exec, exec, s[20:21]
	v_mov_b32_e32 v92, v93
	v_mov_b32_e32 v0, v93
.LBB98_204:
	s_or_b64 exec, exec, s[18:19]
.LBB98_205:
	s_andn2_saveexec_b64 s[0:1], s[0:1]
	s_cbranch_execz .LBB98_207
; %bb.206:
	buffer_load_dword v81, off, s[24:27], 0 offset:240 ; 4-byte Folded Reload
	buffer_load_dword v82, off, s[24:27], 0 offset:244 ; 4-byte Folded Reload
	;; [unrolled: 1-line block ×4, first 2 shown]
	v_mov_b32_e32 v92, 9
	s_waitcnt vmcnt(0)
	ds_write2_b64 v90, v[81:82], v[83:84] offset0:20 offset1:21
	buffer_load_dword v81, off, s[24:27], 0 offset:224 ; 4-byte Folded Reload
	buffer_load_dword v82, off, s[24:27], 0 offset:228 ; 4-byte Folded Reload
	buffer_load_dword v83, off, s[24:27], 0 offset:232 ; 4-byte Folded Reload
	buffer_load_dword v84, off, s[24:27], 0 offset:236 ; 4-byte Folded Reload
	s_waitcnt vmcnt(0)
	ds_write2_b64 v90, v[81:82], v[83:84] offset0:22 offset1:23
	buffer_load_dword v81, off, s[24:27], 0 offset:208 ; 4-byte Folded Reload
	buffer_load_dword v82, off, s[24:27], 0 offset:212 ; 4-byte Folded Reload
	buffer_load_dword v83, off, s[24:27], 0 offset:216 ; 4-byte Folded Reload
	buffer_load_dword v84, off, s[24:27], 0 offset:220 ; 4-byte Folded Reload
	;; [unrolled: 6-line block ×14, first 2 shown]
	s_waitcnt vmcnt(0)
	ds_write2_b64 v90, v[81:82], v[83:84] offset0:48 offset1:49
	buffer_load_dword v81, off, s[24:27], 0 ; 4-byte Folded Reload
	buffer_load_dword v82, off, s[24:27], 0 offset:4 ; 4-byte Folded Reload
	buffer_load_dword v83, off, s[24:27], 0 offset:8 ; 4-byte Folded Reload
	;; [unrolled: 1-line block ×3, first 2 shown]
	s_waitcnt vmcnt(0)
	ds_write2_b64 v90, v[81:82], v[83:84] offset0:50 offset1:51
	ds_write2_b64 v90, v[107:108], v[109:110] offset0:52 offset1:53
	;; [unrolled: 1-line block ×25, first 2 shown]
.LBB98_207:
	s_or_b64 exec, exec, s[0:1]
	v_cmp_lt_i32_e32 vcc, 9, v92
	s_waitcnt vmcnt(0) lgkmcnt(0)
	s_barrier
	s_and_saveexec_b64 s[0:1], vcc
	s_cbranch_execz .LBB98_209
; %bb.208:
	buffer_load_dword v97, off, s[24:27], 0 offset:256 ; 4-byte Folded Reload
	buffer_load_dword v98, off, s[24:27], 0 offset:260 ; 4-byte Folded Reload
	;; [unrolled: 1-line block ×4, first 2 shown]
	s_waitcnt vmcnt(0)
	v_mul_f64 v[93:94], v[119:120], v[99:100]
	v_fma_f64 v[125:126], v[117:118], v[97:98], -v[93:94]
	v_mul_f64 v[93:94], v[117:118], v[99:100]
	v_fma_f64 v[99:100], v[119:120], v[97:98], v[93:94]
	ds_read2_b64 v[93:96], v90 offset0:20 offset1:21
	buffer_load_dword v81, off, s[24:27], 0 offset:240 ; 4-byte Folded Reload
	buffer_load_dword v82, off, s[24:27], 0 offset:244 ; 4-byte Folded Reload
	buffer_load_dword v83, off, s[24:27], 0 offset:248 ; 4-byte Folded Reload
	buffer_load_dword v84, off, s[24:27], 0 offset:252 ; 4-byte Folded Reload
	s_waitcnt lgkmcnt(0)
	v_mul_f64 v[97:98], v[95:96], v[99:100]
	v_fma_f64 v[97:98], v[93:94], v[125:126], -v[97:98]
	v_mul_f64 v[93:94], v[93:94], v[99:100]
	v_fma_f64 v[93:94], v[95:96], v[125:126], v[93:94]
	s_waitcnt vmcnt(2)
	v_add_f64 v[81:82], v[81:82], -v[97:98]
	s_waitcnt vmcnt(0)
	v_add_f64 v[83:84], v[83:84], -v[93:94]
	buffer_store_dword v81, off, s[24:27], 0 offset:240 ; 4-byte Folded Spill
	s_nop 0
	buffer_store_dword v82, off, s[24:27], 0 offset:244 ; 4-byte Folded Spill
	buffer_store_dword v83, off, s[24:27], 0 offset:248 ; 4-byte Folded Spill
	buffer_store_dword v84, off, s[24:27], 0 offset:252 ; 4-byte Folded Spill
	ds_read2_b64 v[93:96], v90 offset0:22 offset1:23
	buffer_load_dword v81, off, s[24:27], 0 offset:224 ; 4-byte Folded Reload
	buffer_load_dword v82, off, s[24:27], 0 offset:228 ; 4-byte Folded Reload
	buffer_load_dword v83, off, s[24:27], 0 offset:232 ; 4-byte Folded Reload
	buffer_load_dword v84, off, s[24:27], 0 offset:236 ; 4-byte Folded Reload
	s_waitcnt lgkmcnt(0)
	v_mul_f64 v[97:98], v[95:96], v[99:100]
	v_fma_f64 v[97:98], v[93:94], v[125:126], -v[97:98]
	v_mul_f64 v[93:94], v[93:94], v[99:100]
	v_fma_f64 v[93:94], v[95:96], v[125:126], v[93:94]
	s_waitcnt vmcnt(2)
	v_add_f64 v[81:82], v[81:82], -v[97:98]
	s_waitcnt vmcnt(0)
	v_add_f64 v[83:84], v[83:84], -v[93:94]
	buffer_store_dword v81, off, s[24:27], 0 offset:224 ; 4-byte Folded Spill
	s_nop 0
	buffer_store_dword v82, off, s[24:27], 0 offset:228 ; 4-byte Folded Spill
	buffer_store_dword v83, off, s[24:27], 0 offset:232 ; 4-byte Folded Spill
	buffer_store_dword v84, off, s[24:27], 0 offset:236 ; 4-byte Folded Spill
	;; [unrolled: 19-line block ×15, first 2 shown]
	ds_read2_b64 v[93:96], v90 offset0:50 offset1:51
	buffer_load_dword v81, off, s[24:27], 0 ; 4-byte Folded Reload
	buffer_load_dword v82, off, s[24:27], 0 offset:4 ; 4-byte Folded Reload
	buffer_load_dword v83, off, s[24:27], 0 offset:8 ; 4-byte Folded Reload
	;; [unrolled: 1-line block ×3, first 2 shown]
	s_waitcnt lgkmcnt(0)
	v_mul_f64 v[97:98], v[95:96], v[99:100]
	v_fma_f64 v[97:98], v[93:94], v[125:126], -v[97:98]
	v_mul_f64 v[93:94], v[93:94], v[99:100]
	v_fma_f64 v[93:94], v[95:96], v[125:126], v[93:94]
	s_waitcnt vmcnt(2)
	v_add_f64 v[81:82], v[81:82], -v[97:98]
	s_waitcnt vmcnt(0)
	v_add_f64 v[83:84], v[83:84], -v[93:94]
	buffer_store_dword v81, off, s[24:27], 0 ; 4-byte Folded Spill
	s_nop 0
	buffer_store_dword v82, off, s[24:27], 0 offset:4 ; 4-byte Folded Spill
	buffer_store_dword v83, off, s[24:27], 0 offset:8 ; 4-byte Folded Spill
	;; [unrolled: 1-line block ×3, first 2 shown]
	ds_read2_b64 v[93:96], v90 offset0:52 offset1:53
	s_waitcnt lgkmcnt(0)
	v_mul_f64 v[97:98], v[95:96], v[99:100]
	v_fma_f64 v[97:98], v[93:94], v[125:126], -v[97:98]
	v_mul_f64 v[93:94], v[93:94], v[99:100]
	v_add_f64 v[107:108], v[107:108], -v[97:98]
	v_fma_f64 v[93:94], v[95:96], v[125:126], v[93:94]
	v_add_f64 v[109:110], v[109:110], -v[93:94]
	ds_read2_b64 v[93:96], v90 offset0:54 offset1:55
	s_waitcnt lgkmcnt(0)
	v_mul_f64 v[97:98], v[95:96], v[99:100]
	v_fma_f64 v[97:98], v[93:94], v[125:126], -v[97:98]
	v_mul_f64 v[93:94], v[93:94], v[99:100]
	v_add_f64 v[113:114], v[113:114], -v[97:98]
	v_fma_f64 v[93:94], v[95:96], v[125:126], v[93:94]
	v_add_f64 v[115:116], v[115:116], -v[93:94]
	;; [unrolled: 8-line block ×23, first 2 shown]
	ds_read2_b64 v[93:96], v90 offset0:98 offset1:99
	s_waitcnt lgkmcnt(0)
	v_mul_f64 v[97:98], v[95:96], v[99:100]
	v_fma_f64 v[97:98], v[93:94], v[125:126], -v[97:98]
	v_mul_f64 v[93:94], v[93:94], v[99:100]
	v_add_f64 v[121:122], v[121:122], -v[97:98]
	v_fma_f64 v[93:94], v[95:96], v[125:126], v[93:94]
	v_mov_b32_e32 v97, v125
	v_mov_b32_e32 v98, v126
	buffer_store_dword v97, off, s[24:27], 0 offset:256 ; 4-byte Folded Spill
	s_nop 0
	buffer_store_dword v98, off, s[24:27], 0 offset:260 ; 4-byte Folded Spill
	buffer_store_dword v99, off, s[24:27], 0 offset:264 ; 4-byte Folded Spill
	;; [unrolled: 1-line block ×3, first 2 shown]
	v_add_f64 v[123:124], v[123:124], -v[93:94]
.LBB98_209:
	s_or_b64 exec, exec, s[0:1]
	s_waitcnt vmcnt(0)
	s_barrier
	buffer_load_dword v81, off, s[24:27], 0 offset:240 ; 4-byte Folded Reload
	buffer_load_dword v82, off, s[24:27], 0 offset:244 ; 4-byte Folded Reload
	;; [unrolled: 1-line block ×4, first 2 shown]
	v_lshl_add_u32 v93, v92, 4, v90
	s_cmp_lt_i32 s3, 12
	s_waitcnt vmcnt(0)
	ds_write2_b64 v93, v[81:82], v[83:84] offset1:1
	s_waitcnt lgkmcnt(0)
	s_barrier
	ds_read2_b64 v[117:120], v90 offset0:20 offset1:21
	v_mov_b32_e32 v93, 10
	s_cbranch_scc1 .LBB98_212
; %bb.210:
	v_add_u32_e32 v94, 0xb0, v90
	s_mov_b32 s0, 11
	v_mov_b32_e32 v93, 10
.LBB98_211:                             ; =>This Inner Loop Header: Depth=1
	s_waitcnt lgkmcnt(0)
	v_cmp_gt_f64_e32 vcc, 0, v[117:118]
	v_xor_b32_e32 v99, 0x80000000, v118
	ds_read2_b64 v[95:98], v94 offset1:1
	v_xor_b32_e32 v101, 0x80000000, v120
	v_add_u32_e32 v94, 16, v94
	s_waitcnt lgkmcnt(0)
	v_xor_b32_e32 v103, 0x80000000, v98
	v_cndmask_b32_e32 v100, v118, v99, vcc
	v_cmp_gt_f64_e32 vcc, 0, v[119:120]
	v_mov_b32_e32 v99, v117
	v_cndmask_b32_e32 v102, v120, v101, vcc
	v_cmp_gt_f64_e32 vcc, 0, v[95:96]
	v_mov_b32_e32 v101, v119
	v_add_f64 v[99:100], v[99:100], v[101:102]
	v_xor_b32_e32 v101, 0x80000000, v96
	v_cndmask_b32_e32 v102, v96, v101, vcc
	v_cmp_gt_f64_e32 vcc, 0, v[97:98]
	v_mov_b32_e32 v101, v95
	v_cndmask_b32_e32 v104, v98, v103, vcc
	v_mov_b32_e32 v103, v97
	v_add_f64 v[101:102], v[101:102], v[103:104]
	v_cmp_lt_f64_e32 vcc, v[99:100], v[101:102]
	v_cndmask_b32_e32 v117, v117, v95, vcc
	v_mov_b32_e32 v95, s0
	s_add_i32 s0, s0, 1
	v_cndmask_b32_e32 v118, v118, v96, vcc
	v_cndmask_b32_e32 v120, v120, v98, vcc
	;; [unrolled: 1-line block ×4, first 2 shown]
	s_cmp_lg_u32 s3, s0
	s_cbranch_scc1 .LBB98_211
.LBB98_212:
	s_waitcnt lgkmcnt(0)
	v_cmp_eq_f64_e32 vcc, 0, v[117:118]
	v_cmp_eq_f64_e64 s[0:1], 0, v[119:120]
	s_and_b64 s[0:1], vcc, s[0:1]
	s_and_saveexec_b64 s[18:19], s[0:1]
	s_xor_b64 s[0:1], exec, s[18:19]
; %bb.213:
	v_cmp_ne_u32_e32 vcc, 0, v91
	v_cndmask_b32_e32 v91, 11, v91, vcc
; %bb.214:
	s_andn2_saveexec_b64 s[0:1], s[0:1]
	s_cbranch_execz .LBB98_220
; %bb.215:
	v_cmp_ngt_f64_e64 s[18:19], |v[117:118]|, |v[119:120]|
	s_and_saveexec_b64 s[20:21], s[18:19]
	s_xor_b64 s[18:19], exec, s[20:21]
	s_cbranch_execz .LBB98_217
; %bb.216:
	v_div_scale_f64 v[94:95], s[20:21], v[119:120], v[119:120], v[117:118]
	v_rcp_f64_e32 v[96:97], v[94:95]
	v_fma_f64 v[98:99], -v[94:95], v[96:97], 1.0
	v_fma_f64 v[96:97], v[96:97], v[98:99], v[96:97]
	v_div_scale_f64 v[98:99], vcc, v[117:118], v[119:120], v[117:118]
	v_fma_f64 v[100:101], -v[94:95], v[96:97], 1.0
	v_fma_f64 v[96:97], v[96:97], v[100:101], v[96:97]
	v_mul_f64 v[100:101], v[98:99], v[96:97]
	v_fma_f64 v[94:95], -v[94:95], v[100:101], v[98:99]
	v_div_fmas_f64 v[94:95], v[94:95], v[96:97], v[100:101]
	v_div_fixup_f64 v[94:95], v[94:95], v[119:120], v[117:118]
	v_fma_f64 v[96:97], v[117:118], v[94:95], v[119:120]
	v_div_scale_f64 v[98:99], s[20:21], v[96:97], v[96:97], 1.0
	v_div_scale_f64 v[104:105], vcc, 1.0, v[96:97], 1.0
	v_rcp_f64_e32 v[100:101], v[98:99]
	v_fma_f64 v[102:103], -v[98:99], v[100:101], 1.0
	v_fma_f64 v[100:101], v[100:101], v[102:103], v[100:101]
	v_fma_f64 v[102:103], -v[98:99], v[100:101], 1.0
	v_fma_f64 v[100:101], v[100:101], v[102:103], v[100:101]
	v_mul_f64 v[102:103], v[104:105], v[100:101]
	v_fma_f64 v[98:99], -v[98:99], v[102:103], v[104:105]
	v_div_fmas_f64 v[98:99], v[98:99], v[100:101], v[102:103]
	v_div_fixup_f64 v[119:120], v[98:99], v[96:97], 1.0
	v_mul_f64 v[117:118], v[94:95], v[119:120]
	v_xor_b32_e32 v120, 0x80000000, v120
.LBB98_217:
	s_andn2_saveexec_b64 s[18:19], s[18:19]
	s_cbranch_execz .LBB98_219
; %bb.218:
	v_div_scale_f64 v[94:95], s[20:21], v[117:118], v[117:118], v[119:120]
	v_rcp_f64_e32 v[96:97], v[94:95]
	v_fma_f64 v[98:99], -v[94:95], v[96:97], 1.0
	v_fma_f64 v[96:97], v[96:97], v[98:99], v[96:97]
	v_div_scale_f64 v[98:99], vcc, v[119:120], v[117:118], v[119:120]
	v_fma_f64 v[100:101], -v[94:95], v[96:97], 1.0
	v_fma_f64 v[96:97], v[96:97], v[100:101], v[96:97]
	v_mul_f64 v[100:101], v[98:99], v[96:97]
	v_fma_f64 v[94:95], -v[94:95], v[100:101], v[98:99]
	v_div_fmas_f64 v[94:95], v[94:95], v[96:97], v[100:101]
	v_div_fixup_f64 v[94:95], v[94:95], v[117:118], v[119:120]
	v_fma_f64 v[96:97], v[119:120], v[94:95], v[117:118]
	v_div_scale_f64 v[98:99], s[20:21], v[96:97], v[96:97], 1.0
	v_div_scale_f64 v[104:105], vcc, 1.0, v[96:97], 1.0
	v_rcp_f64_e32 v[100:101], v[98:99]
	v_fma_f64 v[102:103], -v[98:99], v[100:101], 1.0
	v_fma_f64 v[100:101], v[100:101], v[102:103], v[100:101]
	v_fma_f64 v[102:103], -v[98:99], v[100:101], 1.0
	v_fma_f64 v[100:101], v[100:101], v[102:103], v[100:101]
	v_mul_f64 v[102:103], v[104:105], v[100:101]
	v_fma_f64 v[98:99], -v[98:99], v[102:103], v[104:105]
	v_div_fmas_f64 v[98:99], v[98:99], v[100:101], v[102:103]
	v_div_fixup_f64 v[117:118], v[98:99], v[96:97], 1.0
	v_mul_f64 v[119:120], v[94:95], -v[117:118]
.LBB98_219:
	s_or_b64 exec, exec, s[18:19]
.LBB98_220:
	s_or_b64 exec, exec, s[0:1]
	v_cmp_ne_u32_e32 vcc, v92, v93
	s_and_saveexec_b64 s[0:1], vcc
	s_xor_b64 s[0:1], exec, s[0:1]
	s_cbranch_execz .LBB98_226
; %bb.221:
	v_cmp_eq_u32_e32 vcc, 10, v92
	s_and_saveexec_b64 s[18:19], vcc
	s_cbranch_execz .LBB98_225
; %bb.222:
	v_cmp_ne_u32_e32 vcc, 10, v93
	s_xor_b64 s[20:21], s[6:7], -1
	s_and_b64 s[22:23], s[20:21], vcc
	s_and_saveexec_b64 s[20:21], s[22:23]
	s_cbranch_execz .LBB98_224
; %bb.223:
	buffer_load_dword v81, off, s[24:27], 0 offset:368 ; 4-byte Folded Reload
	buffer_load_dword v82, off, s[24:27], 0 offset:372 ; 4-byte Folded Reload
	v_ashrrev_i32_e32 v94, 31, v93
	v_lshlrev_b64 v[94:95], 2, v[93:94]
	s_waitcnt vmcnt(1)
	v_add_co_u32_e32 v94, vcc, v81, v94
	s_waitcnt vmcnt(0)
	v_addc_co_u32_e32 v95, vcc, v82, v95, vcc
	global_load_dword v0, v[94:95], off
	global_load_dword v92, v[81:82], off offset:40
	s_waitcnt vmcnt(1)
	global_store_dword v[81:82], v0, off offset:40
	s_waitcnt vmcnt(1)
	global_store_dword v[94:95], v92, off
.LBB98_224:
	s_or_b64 exec, exec, s[20:21]
	v_mov_b32_e32 v92, v93
	v_mov_b32_e32 v0, v93
.LBB98_225:
	s_or_b64 exec, exec, s[18:19]
.LBB98_226:
	s_andn2_saveexec_b64 s[0:1], s[0:1]
	s_cbranch_execz .LBB98_228
; %bb.227:
	buffer_load_dword v81, off, s[24:27], 0 offset:224 ; 4-byte Folded Reload
	buffer_load_dword v82, off, s[24:27], 0 offset:228 ; 4-byte Folded Reload
	;; [unrolled: 1-line block ×4, first 2 shown]
	v_mov_b32_e32 v92, 10
	s_waitcnt vmcnt(0)
	ds_write2_b64 v90, v[81:82], v[83:84] offset0:22 offset1:23
	buffer_load_dword v81, off, s[24:27], 0 offset:208 ; 4-byte Folded Reload
	buffer_load_dword v82, off, s[24:27], 0 offset:212 ; 4-byte Folded Reload
	buffer_load_dword v83, off, s[24:27], 0 offset:216 ; 4-byte Folded Reload
	buffer_load_dword v84, off, s[24:27], 0 offset:220 ; 4-byte Folded Reload
	s_waitcnt vmcnt(0)
	ds_write2_b64 v90, v[81:82], v[83:84] offset0:24 offset1:25
	buffer_load_dword v81, off, s[24:27], 0 offset:192 ; 4-byte Folded Reload
	buffer_load_dword v82, off, s[24:27], 0 offset:196 ; 4-byte Folded Reload
	buffer_load_dword v83, off, s[24:27], 0 offset:200 ; 4-byte Folded Reload
	buffer_load_dword v84, off, s[24:27], 0 offset:204 ; 4-byte Folded Reload
	;; [unrolled: 6-line block ×13, first 2 shown]
	s_waitcnt vmcnt(0)
	ds_write2_b64 v90, v[81:82], v[83:84] offset0:48 offset1:49
	buffer_load_dword v81, off, s[24:27], 0 ; 4-byte Folded Reload
	buffer_load_dword v82, off, s[24:27], 0 offset:4 ; 4-byte Folded Reload
	buffer_load_dword v83, off, s[24:27], 0 offset:8 ; 4-byte Folded Reload
	;; [unrolled: 1-line block ×3, first 2 shown]
	s_waitcnt vmcnt(0)
	ds_write2_b64 v90, v[81:82], v[83:84] offset0:50 offset1:51
	ds_write2_b64 v90, v[107:108], v[109:110] offset0:52 offset1:53
	;; [unrolled: 1-line block ×25, first 2 shown]
.LBB98_228:
	s_or_b64 exec, exec, s[0:1]
	v_cmp_lt_i32_e32 vcc, 10, v92
	s_waitcnt vmcnt(0) lgkmcnt(0)
	s_barrier
	s_and_saveexec_b64 s[0:1], vcc
	s_cbranch_execz .LBB98_230
; %bb.229:
	buffer_load_dword v97, off, s[24:27], 0 offset:240 ; 4-byte Folded Reload
	buffer_load_dword v98, off, s[24:27], 0 offset:244 ; 4-byte Folded Reload
	;; [unrolled: 1-line block ×4, first 2 shown]
	s_waitcnt vmcnt(0)
	v_mul_f64 v[93:94], v[119:120], v[99:100]
	v_fma_f64 v[125:126], v[117:118], v[97:98], -v[93:94]
	v_mul_f64 v[93:94], v[117:118], v[99:100]
	v_fma_f64 v[99:100], v[119:120], v[97:98], v[93:94]
	ds_read2_b64 v[93:96], v90 offset0:22 offset1:23
	buffer_load_dword v81, off, s[24:27], 0 offset:224 ; 4-byte Folded Reload
	buffer_load_dword v82, off, s[24:27], 0 offset:228 ; 4-byte Folded Reload
	buffer_load_dword v83, off, s[24:27], 0 offset:232 ; 4-byte Folded Reload
	buffer_load_dword v84, off, s[24:27], 0 offset:236 ; 4-byte Folded Reload
	s_waitcnt lgkmcnt(0)
	v_mul_f64 v[97:98], v[95:96], v[99:100]
	v_fma_f64 v[97:98], v[93:94], v[125:126], -v[97:98]
	v_mul_f64 v[93:94], v[93:94], v[99:100]
	v_fma_f64 v[93:94], v[95:96], v[125:126], v[93:94]
	s_waitcnt vmcnt(2)
	v_add_f64 v[81:82], v[81:82], -v[97:98]
	s_waitcnt vmcnt(0)
	v_add_f64 v[83:84], v[83:84], -v[93:94]
	buffer_store_dword v81, off, s[24:27], 0 offset:224 ; 4-byte Folded Spill
	s_nop 0
	buffer_store_dword v82, off, s[24:27], 0 offset:228 ; 4-byte Folded Spill
	buffer_store_dword v83, off, s[24:27], 0 offset:232 ; 4-byte Folded Spill
	buffer_store_dword v84, off, s[24:27], 0 offset:236 ; 4-byte Folded Spill
	ds_read2_b64 v[93:96], v90 offset0:24 offset1:25
	buffer_load_dword v81, off, s[24:27], 0 offset:208 ; 4-byte Folded Reload
	buffer_load_dword v82, off, s[24:27], 0 offset:212 ; 4-byte Folded Reload
	buffer_load_dword v83, off, s[24:27], 0 offset:216 ; 4-byte Folded Reload
	buffer_load_dword v84, off, s[24:27], 0 offset:220 ; 4-byte Folded Reload
	s_waitcnt lgkmcnt(0)
	v_mul_f64 v[97:98], v[95:96], v[99:100]
	v_fma_f64 v[97:98], v[93:94], v[125:126], -v[97:98]
	v_mul_f64 v[93:94], v[93:94], v[99:100]
	v_fma_f64 v[93:94], v[95:96], v[125:126], v[93:94]
	s_waitcnt vmcnt(2)
	v_add_f64 v[81:82], v[81:82], -v[97:98]
	s_waitcnt vmcnt(0)
	v_add_f64 v[83:84], v[83:84], -v[93:94]
	buffer_store_dword v81, off, s[24:27], 0 offset:208 ; 4-byte Folded Spill
	s_nop 0
	buffer_store_dword v82, off, s[24:27], 0 offset:212 ; 4-byte Folded Spill
	buffer_store_dword v83, off, s[24:27], 0 offset:216 ; 4-byte Folded Spill
	buffer_store_dword v84, off, s[24:27], 0 offset:220 ; 4-byte Folded Spill
	;; [unrolled: 19-line block ×14, first 2 shown]
	ds_read2_b64 v[93:96], v90 offset0:50 offset1:51
	buffer_load_dword v81, off, s[24:27], 0 ; 4-byte Folded Reload
	buffer_load_dword v82, off, s[24:27], 0 offset:4 ; 4-byte Folded Reload
	buffer_load_dword v83, off, s[24:27], 0 offset:8 ; 4-byte Folded Reload
	;; [unrolled: 1-line block ×3, first 2 shown]
	s_waitcnt lgkmcnt(0)
	v_mul_f64 v[97:98], v[95:96], v[99:100]
	v_fma_f64 v[97:98], v[93:94], v[125:126], -v[97:98]
	v_mul_f64 v[93:94], v[93:94], v[99:100]
	v_fma_f64 v[93:94], v[95:96], v[125:126], v[93:94]
	s_waitcnt vmcnt(2)
	v_add_f64 v[81:82], v[81:82], -v[97:98]
	s_waitcnt vmcnt(0)
	v_add_f64 v[83:84], v[83:84], -v[93:94]
	buffer_store_dword v81, off, s[24:27], 0 ; 4-byte Folded Spill
	s_nop 0
	buffer_store_dword v82, off, s[24:27], 0 offset:4 ; 4-byte Folded Spill
	buffer_store_dword v83, off, s[24:27], 0 offset:8 ; 4-byte Folded Spill
	;; [unrolled: 1-line block ×3, first 2 shown]
	ds_read2_b64 v[93:96], v90 offset0:52 offset1:53
	s_waitcnt lgkmcnt(0)
	v_mul_f64 v[97:98], v[95:96], v[99:100]
	v_fma_f64 v[97:98], v[93:94], v[125:126], -v[97:98]
	v_mul_f64 v[93:94], v[93:94], v[99:100]
	v_add_f64 v[107:108], v[107:108], -v[97:98]
	v_fma_f64 v[93:94], v[95:96], v[125:126], v[93:94]
	v_add_f64 v[109:110], v[109:110], -v[93:94]
	ds_read2_b64 v[93:96], v90 offset0:54 offset1:55
	s_waitcnt lgkmcnt(0)
	v_mul_f64 v[97:98], v[95:96], v[99:100]
	v_fma_f64 v[97:98], v[93:94], v[125:126], -v[97:98]
	v_mul_f64 v[93:94], v[93:94], v[99:100]
	v_add_f64 v[113:114], v[113:114], -v[97:98]
	v_fma_f64 v[93:94], v[95:96], v[125:126], v[93:94]
	v_add_f64 v[115:116], v[115:116], -v[93:94]
	;; [unrolled: 8-line block ×23, first 2 shown]
	ds_read2_b64 v[93:96], v90 offset0:98 offset1:99
	s_waitcnt lgkmcnt(0)
	v_mul_f64 v[97:98], v[95:96], v[99:100]
	v_fma_f64 v[97:98], v[93:94], v[125:126], -v[97:98]
	v_mul_f64 v[93:94], v[93:94], v[99:100]
	v_add_f64 v[121:122], v[121:122], -v[97:98]
	v_fma_f64 v[93:94], v[95:96], v[125:126], v[93:94]
	v_mov_b32_e32 v97, v125
	v_mov_b32_e32 v98, v126
	buffer_store_dword v97, off, s[24:27], 0 offset:240 ; 4-byte Folded Spill
	s_nop 0
	buffer_store_dword v98, off, s[24:27], 0 offset:244 ; 4-byte Folded Spill
	buffer_store_dword v99, off, s[24:27], 0 offset:248 ; 4-byte Folded Spill
	;; [unrolled: 1-line block ×3, first 2 shown]
	v_add_f64 v[123:124], v[123:124], -v[93:94]
.LBB98_230:
	s_or_b64 exec, exec, s[0:1]
	s_waitcnt vmcnt(0)
	s_barrier
	buffer_load_dword v81, off, s[24:27], 0 offset:224 ; 4-byte Folded Reload
	buffer_load_dword v82, off, s[24:27], 0 offset:228 ; 4-byte Folded Reload
	;; [unrolled: 1-line block ×4, first 2 shown]
	v_lshl_add_u32 v93, v92, 4, v90
	s_cmp_lt_i32 s3, 13
	s_waitcnt vmcnt(0)
	ds_write2_b64 v93, v[81:82], v[83:84] offset1:1
	s_waitcnt lgkmcnt(0)
	s_barrier
	ds_read2_b64 v[117:120], v90 offset0:22 offset1:23
	v_mov_b32_e32 v93, 11
	s_cbranch_scc1 .LBB98_233
; %bb.231:
	v_add_u32_e32 v94, 0xc0, v90
	s_mov_b32 s0, 12
	v_mov_b32_e32 v93, 11
.LBB98_232:                             ; =>This Inner Loop Header: Depth=1
	s_waitcnt lgkmcnt(0)
	v_cmp_gt_f64_e32 vcc, 0, v[117:118]
	v_xor_b32_e32 v99, 0x80000000, v118
	ds_read2_b64 v[95:98], v94 offset1:1
	v_xor_b32_e32 v101, 0x80000000, v120
	v_add_u32_e32 v94, 16, v94
	s_waitcnt lgkmcnt(0)
	v_xor_b32_e32 v103, 0x80000000, v98
	v_cndmask_b32_e32 v100, v118, v99, vcc
	v_cmp_gt_f64_e32 vcc, 0, v[119:120]
	v_mov_b32_e32 v99, v117
	v_cndmask_b32_e32 v102, v120, v101, vcc
	v_cmp_gt_f64_e32 vcc, 0, v[95:96]
	v_mov_b32_e32 v101, v119
	v_add_f64 v[99:100], v[99:100], v[101:102]
	v_xor_b32_e32 v101, 0x80000000, v96
	v_cndmask_b32_e32 v102, v96, v101, vcc
	v_cmp_gt_f64_e32 vcc, 0, v[97:98]
	v_mov_b32_e32 v101, v95
	v_cndmask_b32_e32 v104, v98, v103, vcc
	v_mov_b32_e32 v103, v97
	v_add_f64 v[101:102], v[101:102], v[103:104]
	v_cmp_lt_f64_e32 vcc, v[99:100], v[101:102]
	v_cndmask_b32_e32 v117, v117, v95, vcc
	v_mov_b32_e32 v95, s0
	s_add_i32 s0, s0, 1
	v_cndmask_b32_e32 v118, v118, v96, vcc
	v_cndmask_b32_e32 v120, v120, v98, vcc
	;; [unrolled: 1-line block ×4, first 2 shown]
	s_cmp_lg_u32 s3, s0
	s_cbranch_scc1 .LBB98_232
.LBB98_233:
	s_waitcnt lgkmcnt(0)
	v_cmp_eq_f64_e32 vcc, 0, v[117:118]
	v_cmp_eq_f64_e64 s[0:1], 0, v[119:120]
	s_and_b64 s[0:1], vcc, s[0:1]
	s_and_saveexec_b64 s[18:19], s[0:1]
	s_xor_b64 s[0:1], exec, s[18:19]
; %bb.234:
	v_cmp_ne_u32_e32 vcc, 0, v91
	v_cndmask_b32_e32 v91, 12, v91, vcc
; %bb.235:
	s_andn2_saveexec_b64 s[0:1], s[0:1]
	s_cbranch_execz .LBB98_241
; %bb.236:
	v_cmp_ngt_f64_e64 s[18:19], |v[117:118]|, |v[119:120]|
	s_and_saveexec_b64 s[20:21], s[18:19]
	s_xor_b64 s[18:19], exec, s[20:21]
	s_cbranch_execz .LBB98_238
; %bb.237:
	v_div_scale_f64 v[94:95], s[20:21], v[119:120], v[119:120], v[117:118]
	v_rcp_f64_e32 v[96:97], v[94:95]
	v_fma_f64 v[98:99], -v[94:95], v[96:97], 1.0
	v_fma_f64 v[96:97], v[96:97], v[98:99], v[96:97]
	v_div_scale_f64 v[98:99], vcc, v[117:118], v[119:120], v[117:118]
	v_fma_f64 v[100:101], -v[94:95], v[96:97], 1.0
	v_fma_f64 v[96:97], v[96:97], v[100:101], v[96:97]
	v_mul_f64 v[100:101], v[98:99], v[96:97]
	v_fma_f64 v[94:95], -v[94:95], v[100:101], v[98:99]
	v_div_fmas_f64 v[94:95], v[94:95], v[96:97], v[100:101]
	v_div_fixup_f64 v[94:95], v[94:95], v[119:120], v[117:118]
	v_fma_f64 v[96:97], v[117:118], v[94:95], v[119:120]
	v_div_scale_f64 v[98:99], s[20:21], v[96:97], v[96:97], 1.0
	v_div_scale_f64 v[104:105], vcc, 1.0, v[96:97], 1.0
	v_rcp_f64_e32 v[100:101], v[98:99]
	v_fma_f64 v[102:103], -v[98:99], v[100:101], 1.0
	v_fma_f64 v[100:101], v[100:101], v[102:103], v[100:101]
	v_fma_f64 v[102:103], -v[98:99], v[100:101], 1.0
	v_fma_f64 v[100:101], v[100:101], v[102:103], v[100:101]
	v_mul_f64 v[102:103], v[104:105], v[100:101]
	v_fma_f64 v[98:99], -v[98:99], v[102:103], v[104:105]
	v_div_fmas_f64 v[98:99], v[98:99], v[100:101], v[102:103]
	v_div_fixup_f64 v[119:120], v[98:99], v[96:97], 1.0
	v_mul_f64 v[117:118], v[94:95], v[119:120]
	v_xor_b32_e32 v120, 0x80000000, v120
.LBB98_238:
	s_andn2_saveexec_b64 s[18:19], s[18:19]
	s_cbranch_execz .LBB98_240
; %bb.239:
	v_div_scale_f64 v[94:95], s[20:21], v[117:118], v[117:118], v[119:120]
	v_rcp_f64_e32 v[96:97], v[94:95]
	v_fma_f64 v[98:99], -v[94:95], v[96:97], 1.0
	v_fma_f64 v[96:97], v[96:97], v[98:99], v[96:97]
	v_div_scale_f64 v[98:99], vcc, v[119:120], v[117:118], v[119:120]
	v_fma_f64 v[100:101], -v[94:95], v[96:97], 1.0
	v_fma_f64 v[96:97], v[96:97], v[100:101], v[96:97]
	v_mul_f64 v[100:101], v[98:99], v[96:97]
	v_fma_f64 v[94:95], -v[94:95], v[100:101], v[98:99]
	v_div_fmas_f64 v[94:95], v[94:95], v[96:97], v[100:101]
	v_div_fixup_f64 v[94:95], v[94:95], v[117:118], v[119:120]
	v_fma_f64 v[96:97], v[119:120], v[94:95], v[117:118]
	v_div_scale_f64 v[98:99], s[20:21], v[96:97], v[96:97], 1.0
	v_div_scale_f64 v[104:105], vcc, 1.0, v[96:97], 1.0
	v_rcp_f64_e32 v[100:101], v[98:99]
	v_fma_f64 v[102:103], -v[98:99], v[100:101], 1.0
	v_fma_f64 v[100:101], v[100:101], v[102:103], v[100:101]
	v_fma_f64 v[102:103], -v[98:99], v[100:101], 1.0
	v_fma_f64 v[100:101], v[100:101], v[102:103], v[100:101]
	v_mul_f64 v[102:103], v[104:105], v[100:101]
	v_fma_f64 v[98:99], -v[98:99], v[102:103], v[104:105]
	v_div_fmas_f64 v[98:99], v[98:99], v[100:101], v[102:103]
	v_div_fixup_f64 v[117:118], v[98:99], v[96:97], 1.0
	v_mul_f64 v[119:120], v[94:95], -v[117:118]
.LBB98_240:
	s_or_b64 exec, exec, s[18:19]
.LBB98_241:
	s_or_b64 exec, exec, s[0:1]
	v_cmp_ne_u32_e32 vcc, v92, v93
	s_and_saveexec_b64 s[0:1], vcc
	s_xor_b64 s[0:1], exec, s[0:1]
	s_cbranch_execz .LBB98_247
; %bb.242:
	v_cmp_eq_u32_e32 vcc, 11, v92
	s_and_saveexec_b64 s[18:19], vcc
	s_cbranch_execz .LBB98_246
; %bb.243:
	v_cmp_ne_u32_e32 vcc, 11, v93
	s_xor_b64 s[20:21], s[6:7], -1
	s_and_b64 s[22:23], s[20:21], vcc
	s_and_saveexec_b64 s[20:21], s[22:23]
	s_cbranch_execz .LBB98_245
; %bb.244:
	buffer_load_dword v81, off, s[24:27], 0 offset:368 ; 4-byte Folded Reload
	buffer_load_dword v82, off, s[24:27], 0 offset:372 ; 4-byte Folded Reload
	v_ashrrev_i32_e32 v94, 31, v93
	v_lshlrev_b64 v[94:95], 2, v[93:94]
	s_waitcnt vmcnt(1)
	v_add_co_u32_e32 v94, vcc, v81, v94
	s_waitcnt vmcnt(0)
	v_addc_co_u32_e32 v95, vcc, v82, v95, vcc
	global_load_dword v0, v[94:95], off
	global_load_dword v92, v[81:82], off offset:44
	s_waitcnt vmcnt(1)
	global_store_dword v[81:82], v0, off offset:44
	s_waitcnt vmcnt(1)
	global_store_dword v[94:95], v92, off
.LBB98_245:
	s_or_b64 exec, exec, s[20:21]
	v_mov_b32_e32 v92, v93
	v_mov_b32_e32 v0, v93
.LBB98_246:
	s_or_b64 exec, exec, s[18:19]
.LBB98_247:
	s_andn2_saveexec_b64 s[0:1], s[0:1]
	s_cbranch_execz .LBB98_249
; %bb.248:
	buffer_load_dword v81, off, s[24:27], 0 offset:208 ; 4-byte Folded Reload
	buffer_load_dword v82, off, s[24:27], 0 offset:212 ; 4-byte Folded Reload
	;; [unrolled: 1-line block ×4, first 2 shown]
	v_mov_b32_e32 v92, 11
	s_waitcnt vmcnt(0)
	ds_write2_b64 v90, v[81:82], v[83:84] offset0:24 offset1:25
	buffer_load_dword v81, off, s[24:27], 0 offset:192 ; 4-byte Folded Reload
	buffer_load_dword v82, off, s[24:27], 0 offset:196 ; 4-byte Folded Reload
	buffer_load_dword v83, off, s[24:27], 0 offset:200 ; 4-byte Folded Reload
	buffer_load_dword v84, off, s[24:27], 0 offset:204 ; 4-byte Folded Reload
	s_waitcnt vmcnt(0)
	ds_write2_b64 v90, v[81:82], v[83:84] offset0:26 offset1:27
	buffer_load_dword v81, off, s[24:27], 0 offset:176 ; 4-byte Folded Reload
	buffer_load_dword v82, off, s[24:27], 0 offset:180 ; 4-byte Folded Reload
	buffer_load_dword v83, off, s[24:27], 0 offset:184 ; 4-byte Folded Reload
	buffer_load_dword v84, off, s[24:27], 0 offset:188 ; 4-byte Folded Reload
	;; [unrolled: 6-line block ×12, first 2 shown]
	s_waitcnt vmcnt(0)
	ds_write2_b64 v90, v[81:82], v[83:84] offset0:48 offset1:49
	buffer_load_dword v81, off, s[24:27], 0 ; 4-byte Folded Reload
	buffer_load_dword v82, off, s[24:27], 0 offset:4 ; 4-byte Folded Reload
	buffer_load_dword v83, off, s[24:27], 0 offset:8 ; 4-byte Folded Reload
	;; [unrolled: 1-line block ×3, first 2 shown]
	s_waitcnt vmcnt(0)
	ds_write2_b64 v90, v[81:82], v[83:84] offset0:50 offset1:51
	ds_write2_b64 v90, v[107:108], v[109:110] offset0:52 offset1:53
	;; [unrolled: 1-line block ×25, first 2 shown]
.LBB98_249:
	s_or_b64 exec, exec, s[0:1]
	v_cmp_lt_i32_e32 vcc, 11, v92
	s_waitcnt vmcnt(0) lgkmcnt(0)
	s_barrier
	s_and_saveexec_b64 s[0:1], vcc
	s_cbranch_execz .LBB98_251
; %bb.250:
	buffer_load_dword v97, off, s[24:27], 0 offset:224 ; 4-byte Folded Reload
	buffer_load_dword v98, off, s[24:27], 0 offset:228 ; 4-byte Folded Reload
	;; [unrolled: 1-line block ×4, first 2 shown]
	s_waitcnt vmcnt(0)
	v_mul_f64 v[93:94], v[119:120], v[99:100]
	v_fma_f64 v[125:126], v[117:118], v[97:98], -v[93:94]
	v_mul_f64 v[93:94], v[117:118], v[99:100]
	v_fma_f64 v[99:100], v[119:120], v[97:98], v[93:94]
	ds_read2_b64 v[93:96], v90 offset0:24 offset1:25
	buffer_load_dword v81, off, s[24:27], 0 offset:208 ; 4-byte Folded Reload
	buffer_load_dword v82, off, s[24:27], 0 offset:212 ; 4-byte Folded Reload
	buffer_load_dword v83, off, s[24:27], 0 offset:216 ; 4-byte Folded Reload
	buffer_load_dword v84, off, s[24:27], 0 offset:220 ; 4-byte Folded Reload
	s_waitcnt lgkmcnt(0)
	v_mul_f64 v[97:98], v[95:96], v[99:100]
	v_fma_f64 v[97:98], v[93:94], v[125:126], -v[97:98]
	v_mul_f64 v[93:94], v[93:94], v[99:100]
	v_fma_f64 v[93:94], v[95:96], v[125:126], v[93:94]
	s_waitcnt vmcnt(2)
	v_add_f64 v[81:82], v[81:82], -v[97:98]
	s_waitcnt vmcnt(0)
	v_add_f64 v[83:84], v[83:84], -v[93:94]
	buffer_store_dword v81, off, s[24:27], 0 offset:208 ; 4-byte Folded Spill
	s_nop 0
	buffer_store_dword v82, off, s[24:27], 0 offset:212 ; 4-byte Folded Spill
	buffer_store_dword v83, off, s[24:27], 0 offset:216 ; 4-byte Folded Spill
	buffer_store_dword v84, off, s[24:27], 0 offset:220 ; 4-byte Folded Spill
	ds_read2_b64 v[93:96], v90 offset0:26 offset1:27
	buffer_load_dword v81, off, s[24:27], 0 offset:192 ; 4-byte Folded Reload
	buffer_load_dword v82, off, s[24:27], 0 offset:196 ; 4-byte Folded Reload
	buffer_load_dword v83, off, s[24:27], 0 offset:200 ; 4-byte Folded Reload
	buffer_load_dword v84, off, s[24:27], 0 offset:204 ; 4-byte Folded Reload
	s_waitcnt lgkmcnt(0)
	v_mul_f64 v[97:98], v[95:96], v[99:100]
	v_fma_f64 v[97:98], v[93:94], v[125:126], -v[97:98]
	v_mul_f64 v[93:94], v[93:94], v[99:100]
	v_fma_f64 v[93:94], v[95:96], v[125:126], v[93:94]
	s_waitcnt vmcnt(2)
	v_add_f64 v[81:82], v[81:82], -v[97:98]
	s_waitcnt vmcnt(0)
	v_add_f64 v[83:84], v[83:84], -v[93:94]
	buffer_store_dword v81, off, s[24:27], 0 offset:192 ; 4-byte Folded Spill
	s_nop 0
	buffer_store_dword v82, off, s[24:27], 0 offset:196 ; 4-byte Folded Spill
	buffer_store_dword v83, off, s[24:27], 0 offset:200 ; 4-byte Folded Spill
	buffer_store_dword v84, off, s[24:27], 0 offset:204 ; 4-byte Folded Spill
	;; [unrolled: 19-line block ×13, first 2 shown]
	ds_read2_b64 v[93:96], v90 offset0:50 offset1:51
	buffer_load_dword v81, off, s[24:27], 0 ; 4-byte Folded Reload
	buffer_load_dword v82, off, s[24:27], 0 offset:4 ; 4-byte Folded Reload
	buffer_load_dword v83, off, s[24:27], 0 offset:8 ; 4-byte Folded Reload
	;; [unrolled: 1-line block ×3, first 2 shown]
	s_waitcnt lgkmcnt(0)
	v_mul_f64 v[97:98], v[95:96], v[99:100]
	v_fma_f64 v[97:98], v[93:94], v[125:126], -v[97:98]
	v_mul_f64 v[93:94], v[93:94], v[99:100]
	v_fma_f64 v[93:94], v[95:96], v[125:126], v[93:94]
	s_waitcnt vmcnt(2)
	v_add_f64 v[81:82], v[81:82], -v[97:98]
	s_waitcnt vmcnt(0)
	v_add_f64 v[83:84], v[83:84], -v[93:94]
	buffer_store_dword v81, off, s[24:27], 0 ; 4-byte Folded Spill
	s_nop 0
	buffer_store_dword v82, off, s[24:27], 0 offset:4 ; 4-byte Folded Spill
	buffer_store_dword v83, off, s[24:27], 0 offset:8 ; 4-byte Folded Spill
	buffer_store_dword v84, off, s[24:27], 0 offset:12 ; 4-byte Folded Spill
	ds_read2_b64 v[93:96], v90 offset0:52 offset1:53
	s_waitcnt lgkmcnt(0)
	v_mul_f64 v[97:98], v[95:96], v[99:100]
	v_fma_f64 v[97:98], v[93:94], v[125:126], -v[97:98]
	v_mul_f64 v[93:94], v[93:94], v[99:100]
	v_add_f64 v[107:108], v[107:108], -v[97:98]
	v_fma_f64 v[93:94], v[95:96], v[125:126], v[93:94]
	v_add_f64 v[109:110], v[109:110], -v[93:94]
	ds_read2_b64 v[93:96], v90 offset0:54 offset1:55
	s_waitcnt lgkmcnt(0)
	v_mul_f64 v[97:98], v[95:96], v[99:100]
	v_fma_f64 v[97:98], v[93:94], v[125:126], -v[97:98]
	v_mul_f64 v[93:94], v[93:94], v[99:100]
	v_add_f64 v[113:114], v[113:114], -v[97:98]
	v_fma_f64 v[93:94], v[95:96], v[125:126], v[93:94]
	v_add_f64 v[115:116], v[115:116], -v[93:94]
	;; [unrolled: 8-line block ×23, first 2 shown]
	ds_read2_b64 v[93:96], v90 offset0:98 offset1:99
	s_waitcnt lgkmcnt(0)
	v_mul_f64 v[97:98], v[95:96], v[99:100]
	v_fma_f64 v[97:98], v[93:94], v[125:126], -v[97:98]
	v_mul_f64 v[93:94], v[93:94], v[99:100]
	v_add_f64 v[121:122], v[121:122], -v[97:98]
	v_fma_f64 v[93:94], v[95:96], v[125:126], v[93:94]
	v_mov_b32_e32 v97, v125
	v_mov_b32_e32 v98, v126
	buffer_store_dword v97, off, s[24:27], 0 offset:224 ; 4-byte Folded Spill
	s_nop 0
	buffer_store_dword v98, off, s[24:27], 0 offset:228 ; 4-byte Folded Spill
	buffer_store_dword v99, off, s[24:27], 0 offset:232 ; 4-byte Folded Spill
	;; [unrolled: 1-line block ×3, first 2 shown]
	v_add_f64 v[123:124], v[123:124], -v[93:94]
.LBB98_251:
	s_or_b64 exec, exec, s[0:1]
	s_waitcnt vmcnt(0)
	s_barrier
	buffer_load_dword v81, off, s[24:27], 0 offset:208 ; 4-byte Folded Reload
	buffer_load_dword v82, off, s[24:27], 0 offset:212 ; 4-byte Folded Reload
	;; [unrolled: 1-line block ×4, first 2 shown]
	v_lshl_add_u32 v93, v92, 4, v90
	s_cmp_lt_i32 s3, 14
	s_waitcnt vmcnt(0)
	ds_write2_b64 v93, v[81:82], v[83:84] offset1:1
	s_waitcnt lgkmcnt(0)
	s_barrier
	ds_read2_b64 v[117:120], v90 offset0:24 offset1:25
	v_mov_b32_e32 v93, 12
	s_cbranch_scc1 .LBB98_254
; %bb.252:
	v_add_u32_e32 v94, 0xd0, v90
	s_mov_b32 s0, 13
	v_mov_b32_e32 v93, 12
.LBB98_253:                             ; =>This Inner Loop Header: Depth=1
	s_waitcnt lgkmcnt(0)
	v_cmp_gt_f64_e32 vcc, 0, v[117:118]
	v_xor_b32_e32 v99, 0x80000000, v118
	ds_read2_b64 v[95:98], v94 offset1:1
	v_xor_b32_e32 v101, 0x80000000, v120
	v_add_u32_e32 v94, 16, v94
	s_waitcnt lgkmcnt(0)
	v_xor_b32_e32 v103, 0x80000000, v98
	v_cndmask_b32_e32 v100, v118, v99, vcc
	v_cmp_gt_f64_e32 vcc, 0, v[119:120]
	v_mov_b32_e32 v99, v117
	v_cndmask_b32_e32 v102, v120, v101, vcc
	v_cmp_gt_f64_e32 vcc, 0, v[95:96]
	v_mov_b32_e32 v101, v119
	v_add_f64 v[99:100], v[99:100], v[101:102]
	v_xor_b32_e32 v101, 0x80000000, v96
	v_cndmask_b32_e32 v102, v96, v101, vcc
	v_cmp_gt_f64_e32 vcc, 0, v[97:98]
	v_mov_b32_e32 v101, v95
	v_cndmask_b32_e32 v104, v98, v103, vcc
	v_mov_b32_e32 v103, v97
	v_add_f64 v[101:102], v[101:102], v[103:104]
	v_cmp_lt_f64_e32 vcc, v[99:100], v[101:102]
	v_cndmask_b32_e32 v117, v117, v95, vcc
	v_mov_b32_e32 v95, s0
	s_add_i32 s0, s0, 1
	v_cndmask_b32_e32 v118, v118, v96, vcc
	v_cndmask_b32_e32 v120, v120, v98, vcc
	;; [unrolled: 1-line block ×4, first 2 shown]
	s_cmp_lg_u32 s3, s0
	s_cbranch_scc1 .LBB98_253
.LBB98_254:
	s_waitcnt lgkmcnt(0)
	v_cmp_eq_f64_e32 vcc, 0, v[117:118]
	v_cmp_eq_f64_e64 s[0:1], 0, v[119:120]
	s_and_b64 s[0:1], vcc, s[0:1]
	s_and_saveexec_b64 s[18:19], s[0:1]
	s_xor_b64 s[0:1], exec, s[18:19]
; %bb.255:
	v_cmp_ne_u32_e32 vcc, 0, v91
	v_cndmask_b32_e32 v91, 13, v91, vcc
; %bb.256:
	s_andn2_saveexec_b64 s[0:1], s[0:1]
	s_cbranch_execz .LBB98_262
; %bb.257:
	v_cmp_ngt_f64_e64 s[18:19], |v[117:118]|, |v[119:120]|
	s_and_saveexec_b64 s[20:21], s[18:19]
	s_xor_b64 s[18:19], exec, s[20:21]
	s_cbranch_execz .LBB98_259
; %bb.258:
	v_div_scale_f64 v[94:95], s[20:21], v[119:120], v[119:120], v[117:118]
	v_rcp_f64_e32 v[96:97], v[94:95]
	v_fma_f64 v[98:99], -v[94:95], v[96:97], 1.0
	v_fma_f64 v[96:97], v[96:97], v[98:99], v[96:97]
	v_div_scale_f64 v[98:99], vcc, v[117:118], v[119:120], v[117:118]
	v_fma_f64 v[100:101], -v[94:95], v[96:97], 1.0
	v_fma_f64 v[96:97], v[96:97], v[100:101], v[96:97]
	v_mul_f64 v[100:101], v[98:99], v[96:97]
	v_fma_f64 v[94:95], -v[94:95], v[100:101], v[98:99]
	v_div_fmas_f64 v[94:95], v[94:95], v[96:97], v[100:101]
	v_div_fixup_f64 v[94:95], v[94:95], v[119:120], v[117:118]
	v_fma_f64 v[96:97], v[117:118], v[94:95], v[119:120]
	v_div_scale_f64 v[98:99], s[20:21], v[96:97], v[96:97], 1.0
	v_div_scale_f64 v[104:105], vcc, 1.0, v[96:97], 1.0
	v_rcp_f64_e32 v[100:101], v[98:99]
	v_fma_f64 v[102:103], -v[98:99], v[100:101], 1.0
	v_fma_f64 v[100:101], v[100:101], v[102:103], v[100:101]
	v_fma_f64 v[102:103], -v[98:99], v[100:101], 1.0
	v_fma_f64 v[100:101], v[100:101], v[102:103], v[100:101]
	v_mul_f64 v[102:103], v[104:105], v[100:101]
	v_fma_f64 v[98:99], -v[98:99], v[102:103], v[104:105]
	v_div_fmas_f64 v[98:99], v[98:99], v[100:101], v[102:103]
	v_div_fixup_f64 v[119:120], v[98:99], v[96:97], 1.0
	v_mul_f64 v[117:118], v[94:95], v[119:120]
	v_xor_b32_e32 v120, 0x80000000, v120
.LBB98_259:
	s_andn2_saveexec_b64 s[18:19], s[18:19]
	s_cbranch_execz .LBB98_261
; %bb.260:
	v_div_scale_f64 v[94:95], s[20:21], v[117:118], v[117:118], v[119:120]
	v_rcp_f64_e32 v[96:97], v[94:95]
	v_fma_f64 v[98:99], -v[94:95], v[96:97], 1.0
	v_fma_f64 v[96:97], v[96:97], v[98:99], v[96:97]
	v_div_scale_f64 v[98:99], vcc, v[119:120], v[117:118], v[119:120]
	v_fma_f64 v[100:101], -v[94:95], v[96:97], 1.0
	v_fma_f64 v[96:97], v[96:97], v[100:101], v[96:97]
	v_mul_f64 v[100:101], v[98:99], v[96:97]
	v_fma_f64 v[94:95], -v[94:95], v[100:101], v[98:99]
	v_div_fmas_f64 v[94:95], v[94:95], v[96:97], v[100:101]
	v_div_fixup_f64 v[94:95], v[94:95], v[117:118], v[119:120]
	v_fma_f64 v[96:97], v[119:120], v[94:95], v[117:118]
	v_div_scale_f64 v[98:99], s[20:21], v[96:97], v[96:97], 1.0
	v_div_scale_f64 v[104:105], vcc, 1.0, v[96:97], 1.0
	v_rcp_f64_e32 v[100:101], v[98:99]
	v_fma_f64 v[102:103], -v[98:99], v[100:101], 1.0
	v_fma_f64 v[100:101], v[100:101], v[102:103], v[100:101]
	v_fma_f64 v[102:103], -v[98:99], v[100:101], 1.0
	v_fma_f64 v[100:101], v[100:101], v[102:103], v[100:101]
	v_mul_f64 v[102:103], v[104:105], v[100:101]
	v_fma_f64 v[98:99], -v[98:99], v[102:103], v[104:105]
	v_div_fmas_f64 v[98:99], v[98:99], v[100:101], v[102:103]
	v_div_fixup_f64 v[117:118], v[98:99], v[96:97], 1.0
	v_mul_f64 v[119:120], v[94:95], -v[117:118]
.LBB98_261:
	s_or_b64 exec, exec, s[18:19]
.LBB98_262:
	s_or_b64 exec, exec, s[0:1]
	v_cmp_ne_u32_e32 vcc, v92, v93
	s_and_saveexec_b64 s[0:1], vcc
	s_xor_b64 s[0:1], exec, s[0:1]
	s_cbranch_execz .LBB98_268
; %bb.263:
	v_cmp_eq_u32_e32 vcc, 12, v92
	s_and_saveexec_b64 s[18:19], vcc
	s_cbranch_execz .LBB98_267
; %bb.264:
	v_cmp_ne_u32_e32 vcc, 12, v93
	s_xor_b64 s[20:21], s[6:7], -1
	s_and_b64 s[22:23], s[20:21], vcc
	s_and_saveexec_b64 s[20:21], s[22:23]
	s_cbranch_execz .LBB98_266
; %bb.265:
	buffer_load_dword v81, off, s[24:27], 0 offset:368 ; 4-byte Folded Reload
	buffer_load_dword v82, off, s[24:27], 0 offset:372 ; 4-byte Folded Reload
	v_ashrrev_i32_e32 v94, 31, v93
	v_lshlrev_b64 v[94:95], 2, v[93:94]
	s_waitcnt vmcnt(1)
	v_add_co_u32_e32 v94, vcc, v81, v94
	s_waitcnt vmcnt(0)
	v_addc_co_u32_e32 v95, vcc, v82, v95, vcc
	global_load_dword v0, v[94:95], off
	global_load_dword v92, v[81:82], off offset:48
	s_waitcnt vmcnt(1)
	global_store_dword v[81:82], v0, off offset:48
	s_waitcnt vmcnt(1)
	global_store_dword v[94:95], v92, off
.LBB98_266:
	s_or_b64 exec, exec, s[20:21]
	v_mov_b32_e32 v92, v93
	v_mov_b32_e32 v0, v93
.LBB98_267:
	s_or_b64 exec, exec, s[18:19]
.LBB98_268:
	s_andn2_saveexec_b64 s[0:1], s[0:1]
	s_cbranch_execz .LBB98_270
; %bb.269:
	buffer_load_dword v81, off, s[24:27], 0 offset:192 ; 4-byte Folded Reload
	buffer_load_dword v82, off, s[24:27], 0 offset:196 ; 4-byte Folded Reload
	;; [unrolled: 1-line block ×4, first 2 shown]
	v_mov_b32_e32 v92, 12
	s_waitcnt vmcnt(0)
	ds_write2_b64 v90, v[81:82], v[83:84] offset0:26 offset1:27
	buffer_load_dword v81, off, s[24:27], 0 offset:176 ; 4-byte Folded Reload
	buffer_load_dword v82, off, s[24:27], 0 offset:180 ; 4-byte Folded Reload
	buffer_load_dword v83, off, s[24:27], 0 offset:184 ; 4-byte Folded Reload
	buffer_load_dword v84, off, s[24:27], 0 offset:188 ; 4-byte Folded Reload
	s_waitcnt vmcnt(0)
	ds_write2_b64 v90, v[81:82], v[83:84] offset0:28 offset1:29
	buffer_load_dword v81, off, s[24:27], 0 offset:160 ; 4-byte Folded Reload
	buffer_load_dword v82, off, s[24:27], 0 offset:164 ; 4-byte Folded Reload
	buffer_load_dword v83, off, s[24:27], 0 offset:168 ; 4-byte Folded Reload
	buffer_load_dword v84, off, s[24:27], 0 offset:172 ; 4-byte Folded Reload
	;; [unrolled: 6-line block ×11, first 2 shown]
	s_waitcnt vmcnt(0)
	ds_write2_b64 v90, v[81:82], v[83:84] offset0:48 offset1:49
	buffer_load_dword v81, off, s[24:27], 0 ; 4-byte Folded Reload
	buffer_load_dword v82, off, s[24:27], 0 offset:4 ; 4-byte Folded Reload
	buffer_load_dword v83, off, s[24:27], 0 offset:8 ; 4-byte Folded Reload
	;; [unrolled: 1-line block ×3, first 2 shown]
	s_waitcnt vmcnt(0)
	ds_write2_b64 v90, v[81:82], v[83:84] offset0:50 offset1:51
	ds_write2_b64 v90, v[107:108], v[109:110] offset0:52 offset1:53
	;; [unrolled: 1-line block ×25, first 2 shown]
.LBB98_270:
	s_or_b64 exec, exec, s[0:1]
	v_cmp_lt_i32_e32 vcc, 12, v92
	s_waitcnt vmcnt(0) lgkmcnt(0)
	s_barrier
	s_and_saveexec_b64 s[0:1], vcc
	s_cbranch_execz .LBB98_272
; %bb.271:
	buffer_load_dword v97, off, s[24:27], 0 offset:208 ; 4-byte Folded Reload
	buffer_load_dword v98, off, s[24:27], 0 offset:212 ; 4-byte Folded Reload
	;; [unrolled: 1-line block ×4, first 2 shown]
	s_waitcnt vmcnt(0)
	v_mul_f64 v[93:94], v[119:120], v[99:100]
	v_fma_f64 v[125:126], v[117:118], v[97:98], -v[93:94]
	v_mul_f64 v[93:94], v[117:118], v[99:100]
	v_fma_f64 v[99:100], v[119:120], v[97:98], v[93:94]
	ds_read2_b64 v[93:96], v90 offset0:26 offset1:27
	buffer_load_dword v81, off, s[24:27], 0 offset:192 ; 4-byte Folded Reload
	buffer_load_dword v82, off, s[24:27], 0 offset:196 ; 4-byte Folded Reload
	buffer_load_dword v83, off, s[24:27], 0 offset:200 ; 4-byte Folded Reload
	buffer_load_dword v84, off, s[24:27], 0 offset:204 ; 4-byte Folded Reload
	s_waitcnt lgkmcnt(0)
	v_mul_f64 v[97:98], v[95:96], v[99:100]
	v_fma_f64 v[97:98], v[93:94], v[125:126], -v[97:98]
	v_mul_f64 v[93:94], v[93:94], v[99:100]
	v_fma_f64 v[93:94], v[95:96], v[125:126], v[93:94]
	s_waitcnt vmcnt(2)
	v_add_f64 v[81:82], v[81:82], -v[97:98]
	s_waitcnt vmcnt(0)
	v_add_f64 v[83:84], v[83:84], -v[93:94]
	buffer_store_dword v81, off, s[24:27], 0 offset:192 ; 4-byte Folded Spill
	s_nop 0
	buffer_store_dword v82, off, s[24:27], 0 offset:196 ; 4-byte Folded Spill
	buffer_store_dword v83, off, s[24:27], 0 offset:200 ; 4-byte Folded Spill
	buffer_store_dword v84, off, s[24:27], 0 offset:204 ; 4-byte Folded Spill
	ds_read2_b64 v[93:96], v90 offset0:28 offset1:29
	buffer_load_dword v81, off, s[24:27], 0 offset:176 ; 4-byte Folded Reload
	buffer_load_dword v82, off, s[24:27], 0 offset:180 ; 4-byte Folded Reload
	buffer_load_dword v83, off, s[24:27], 0 offset:184 ; 4-byte Folded Reload
	buffer_load_dword v84, off, s[24:27], 0 offset:188 ; 4-byte Folded Reload
	s_waitcnt lgkmcnt(0)
	v_mul_f64 v[97:98], v[95:96], v[99:100]
	v_fma_f64 v[97:98], v[93:94], v[125:126], -v[97:98]
	v_mul_f64 v[93:94], v[93:94], v[99:100]
	v_fma_f64 v[93:94], v[95:96], v[125:126], v[93:94]
	s_waitcnt vmcnt(2)
	v_add_f64 v[81:82], v[81:82], -v[97:98]
	s_waitcnt vmcnt(0)
	v_add_f64 v[83:84], v[83:84], -v[93:94]
	buffer_store_dword v81, off, s[24:27], 0 offset:176 ; 4-byte Folded Spill
	s_nop 0
	buffer_store_dword v82, off, s[24:27], 0 offset:180 ; 4-byte Folded Spill
	buffer_store_dword v83, off, s[24:27], 0 offset:184 ; 4-byte Folded Spill
	buffer_store_dword v84, off, s[24:27], 0 offset:188 ; 4-byte Folded Spill
	;; [unrolled: 19-line block ×12, first 2 shown]
	ds_read2_b64 v[93:96], v90 offset0:50 offset1:51
	buffer_load_dword v81, off, s[24:27], 0 ; 4-byte Folded Reload
	buffer_load_dword v82, off, s[24:27], 0 offset:4 ; 4-byte Folded Reload
	buffer_load_dword v83, off, s[24:27], 0 offset:8 ; 4-byte Folded Reload
	;; [unrolled: 1-line block ×3, first 2 shown]
	s_waitcnt lgkmcnt(0)
	v_mul_f64 v[97:98], v[95:96], v[99:100]
	v_fma_f64 v[97:98], v[93:94], v[125:126], -v[97:98]
	v_mul_f64 v[93:94], v[93:94], v[99:100]
	v_fma_f64 v[93:94], v[95:96], v[125:126], v[93:94]
	s_waitcnt vmcnt(2)
	v_add_f64 v[81:82], v[81:82], -v[97:98]
	s_waitcnt vmcnt(0)
	v_add_f64 v[83:84], v[83:84], -v[93:94]
	buffer_store_dword v81, off, s[24:27], 0 ; 4-byte Folded Spill
	s_nop 0
	buffer_store_dword v82, off, s[24:27], 0 offset:4 ; 4-byte Folded Spill
	buffer_store_dword v83, off, s[24:27], 0 offset:8 ; 4-byte Folded Spill
	buffer_store_dword v84, off, s[24:27], 0 offset:12 ; 4-byte Folded Spill
	ds_read2_b64 v[93:96], v90 offset0:52 offset1:53
	s_waitcnt lgkmcnt(0)
	v_mul_f64 v[97:98], v[95:96], v[99:100]
	v_fma_f64 v[97:98], v[93:94], v[125:126], -v[97:98]
	v_mul_f64 v[93:94], v[93:94], v[99:100]
	v_add_f64 v[107:108], v[107:108], -v[97:98]
	v_fma_f64 v[93:94], v[95:96], v[125:126], v[93:94]
	v_add_f64 v[109:110], v[109:110], -v[93:94]
	ds_read2_b64 v[93:96], v90 offset0:54 offset1:55
	s_waitcnt lgkmcnt(0)
	v_mul_f64 v[97:98], v[95:96], v[99:100]
	v_fma_f64 v[97:98], v[93:94], v[125:126], -v[97:98]
	v_mul_f64 v[93:94], v[93:94], v[99:100]
	v_add_f64 v[113:114], v[113:114], -v[97:98]
	v_fma_f64 v[93:94], v[95:96], v[125:126], v[93:94]
	v_add_f64 v[115:116], v[115:116], -v[93:94]
	;; [unrolled: 8-line block ×23, first 2 shown]
	ds_read2_b64 v[93:96], v90 offset0:98 offset1:99
	s_waitcnt lgkmcnt(0)
	v_mul_f64 v[97:98], v[95:96], v[99:100]
	v_fma_f64 v[97:98], v[93:94], v[125:126], -v[97:98]
	v_mul_f64 v[93:94], v[93:94], v[99:100]
	v_add_f64 v[121:122], v[121:122], -v[97:98]
	v_fma_f64 v[93:94], v[95:96], v[125:126], v[93:94]
	v_mov_b32_e32 v97, v125
	v_mov_b32_e32 v98, v126
	buffer_store_dword v97, off, s[24:27], 0 offset:208 ; 4-byte Folded Spill
	s_nop 0
	buffer_store_dword v98, off, s[24:27], 0 offset:212 ; 4-byte Folded Spill
	buffer_store_dword v99, off, s[24:27], 0 offset:216 ; 4-byte Folded Spill
	buffer_store_dword v100, off, s[24:27], 0 offset:220 ; 4-byte Folded Spill
	v_add_f64 v[123:124], v[123:124], -v[93:94]
.LBB98_272:
	s_or_b64 exec, exec, s[0:1]
	s_waitcnt vmcnt(0)
	s_barrier
	buffer_load_dword v81, off, s[24:27], 0 offset:192 ; 4-byte Folded Reload
	buffer_load_dword v82, off, s[24:27], 0 offset:196 ; 4-byte Folded Reload
	;; [unrolled: 1-line block ×4, first 2 shown]
	v_lshl_add_u32 v93, v92, 4, v90
	s_cmp_lt_i32 s3, 15
	s_waitcnt vmcnt(0)
	ds_write2_b64 v93, v[81:82], v[83:84] offset1:1
	s_waitcnt lgkmcnt(0)
	s_barrier
	ds_read2_b64 v[117:120], v90 offset0:26 offset1:27
	v_mov_b32_e32 v93, 13
	s_cbranch_scc1 .LBB98_275
; %bb.273:
	v_add_u32_e32 v94, 0xe0, v90
	s_mov_b32 s0, 14
	v_mov_b32_e32 v93, 13
.LBB98_274:                             ; =>This Inner Loop Header: Depth=1
	s_waitcnt lgkmcnt(0)
	v_cmp_gt_f64_e32 vcc, 0, v[117:118]
	v_xor_b32_e32 v99, 0x80000000, v118
	ds_read2_b64 v[95:98], v94 offset1:1
	v_xor_b32_e32 v101, 0x80000000, v120
	v_add_u32_e32 v94, 16, v94
	s_waitcnt lgkmcnt(0)
	v_xor_b32_e32 v103, 0x80000000, v98
	v_cndmask_b32_e32 v100, v118, v99, vcc
	v_cmp_gt_f64_e32 vcc, 0, v[119:120]
	v_mov_b32_e32 v99, v117
	v_cndmask_b32_e32 v102, v120, v101, vcc
	v_cmp_gt_f64_e32 vcc, 0, v[95:96]
	v_mov_b32_e32 v101, v119
	v_add_f64 v[99:100], v[99:100], v[101:102]
	v_xor_b32_e32 v101, 0x80000000, v96
	v_cndmask_b32_e32 v102, v96, v101, vcc
	v_cmp_gt_f64_e32 vcc, 0, v[97:98]
	v_mov_b32_e32 v101, v95
	v_cndmask_b32_e32 v104, v98, v103, vcc
	v_mov_b32_e32 v103, v97
	v_add_f64 v[101:102], v[101:102], v[103:104]
	v_cmp_lt_f64_e32 vcc, v[99:100], v[101:102]
	v_cndmask_b32_e32 v117, v117, v95, vcc
	v_mov_b32_e32 v95, s0
	s_add_i32 s0, s0, 1
	v_cndmask_b32_e32 v118, v118, v96, vcc
	v_cndmask_b32_e32 v120, v120, v98, vcc
	;; [unrolled: 1-line block ×4, first 2 shown]
	s_cmp_lg_u32 s3, s0
	s_cbranch_scc1 .LBB98_274
.LBB98_275:
	s_waitcnt lgkmcnt(0)
	v_cmp_eq_f64_e32 vcc, 0, v[117:118]
	v_cmp_eq_f64_e64 s[0:1], 0, v[119:120]
	s_and_b64 s[0:1], vcc, s[0:1]
	s_and_saveexec_b64 s[18:19], s[0:1]
	s_xor_b64 s[0:1], exec, s[18:19]
; %bb.276:
	v_cmp_ne_u32_e32 vcc, 0, v91
	v_cndmask_b32_e32 v91, 14, v91, vcc
; %bb.277:
	s_andn2_saveexec_b64 s[0:1], s[0:1]
	s_cbranch_execz .LBB98_283
; %bb.278:
	v_cmp_ngt_f64_e64 s[18:19], |v[117:118]|, |v[119:120]|
	s_and_saveexec_b64 s[20:21], s[18:19]
	s_xor_b64 s[18:19], exec, s[20:21]
	s_cbranch_execz .LBB98_280
; %bb.279:
	v_div_scale_f64 v[94:95], s[20:21], v[119:120], v[119:120], v[117:118]
	v_rcp_f64_e32 v[96:97], v[94:95]
	v_fma_f64 v[98:99], -v[94:95], v[96:97], 1.0
	v_fma_f64 v[96:97], v[96:97], v[98:99], v[96:97]
	v_div_scale_f64 v[98:99], vcc, v[117:118], v[119:120], v[117:118]
	v_fma_f64 v[100:101], -v[94:95], v[96:97], 1.0
	v_fma_f64 v[96:97], v[96:97], v[100:101], v[96:97]
	v_mul_f64 v[100:101], v[98:99], v[96:97]
	v_fma_f64 v[94:95], -v[94:95], v[100:101], v[98:99]
	v_div_fmas_f64 v[94:95], v[94:95], v[96:97], v[100:101]
	v_div_fixup_f64 v[94:95], v[94:95], v[119:120], v[117:118]
	v_fma_f64 v[96:97], v[117:118], v[94:95], v[119:120]
	v_div_scale_f64 v[98:99], s[20:21], v[96:97], v[96:97], 1.0
	v_div_scale_f64 v[104:105], vcc, 1.0, v[96:97], 1.0
	v_rcp_f64_e32 v[100:101], v[98:99]
	v_fma_f64 v[102:103], -v[98:99], v[100:101], 1.0
	v_fma_f64 v[100:101], v[100:101], v[102:103], v[100:101]
	v_fma_f64 v[102:103], -v[98:99], v[100:101], 1.0
	v_fma_f64 v[100:101], v[100:101], v[102:103], v[100:101]
	v_mul_f64 v[102:103], v[104:105], v[100:101]
	v_fma_f64 v[98:99], -v[98:99], v[102:103], v[104:105]
	v_div_fmas_f64 v[98:99], v[98:99], v[100:101], v[102:103]
	v_div_fixup_f64 v[119:120], v[98:99], v[96:97], 1.0
	v_mul_f64 v[117:118], v[94:95], v[119:120]
	v_xor_b32_e32 v120, 0x80000000, v120
.LBB98_280:
	s_andn2_saveexec_b64 s[18:19], s[18:19]
	s_cbranch_execz .LBB98_282
; %bb.281:
	v_div_scale_f64 v[94:95], s[20:21], v[117:118], v[117:118], v[119:120]
	v_rcp_f64_e32 v[96:97], v[94:95]
	v_fma_f64 v[98:99], -v[94:95], v[96:97], 1.0
	v_fma_f64 v[96:97], v[96:97], v[98:99], v[96:97]
	v_div_scale_f64 v[98:99], vcc, v[119:120], v[117:118], v[119:120]
	v_fma_f64 v[100:101], -v[94:95], v[96:97], 1.0
	v_fma_f64 v[96:97], v[96:97], v[100:101], v[96:97]
	v_mul_f64 v[100:101], v[98:99], v[96:97]
	v_fma_f64 v[94:95], -v[94:95], v[100:101], v[98:99]
	v_div_fmas_f64 v[94:95], v[94:95], v[96:97], v[100:101]
	v_div_fixup_f64 v[94:95], v[94:95], v[117:118], v[119:120]
	v_fma_f64 v[96:97], v[119:120], v[94:95], v[117:118]
	v_div_scale_f64 v[98:99], s[20:21], v[96:97], v[96:97], 1.0
	v_div_scale_f64 v[104:105], vcc, 1.0, v[96:97], 1.0
	v_rcp_f64_e32 v[100:101], v[98:99]
	v_fma_f64 v[102:103], -v[98:99], v[100:101], 1.0
	v_fma_f64 v[100:101], v[100:101], v[102:103], v[100:101]
	v_fma_f64 v[102:103], -v[98:99], v[100:101], 1.0
	v_fma_f64 v[100:101], v[100:101], v[102:103], v[100:101]
	v_mul_f64 v[102:103], v[104:105], v[100:101]
	v_fma_f64 v[98:99], -v[98:99], v[102:103], v[104:105]
	v_div_fmas_f64 v[98:99], v[98:99], v[100:101], v[102:103]
	v_div_fixup_f64 v[117:118], v[98:99], v[96:97], 1.0
	v_mul_f64 v[119:120], v[94:95], -v[117:118]
.LBB98_282:
	s_or_b64 exec, exec, s[18:19]
.LBB98_283:
	s_or_b64 exec, exec, s[0:1]
	v_cmp_ne_u32_e32 vcc, v92, v93
	s_and_saveexec_b64 s[0:1], vcc
	s_xor_b64 s[0:1], exec, s[0:1]
	s_cbranch_execz .LBB98_289
; %bb.284:
	v_cmp_eq_u32_e32 vcc, 13, v92
	s_and_saveexec_b64 s[18:19], vcc
	s_cbranch_execz .LBB98_288
; %bb.285:
	v_cmp_ne_u32_e32 vcc, 13, v93
	s_xor_b64 s[20:21], s[6:7], -1
	s_and_b64 s[22:23], s[20:21], vcc
	s_and_saveexec_b64 s[20:21], s[22:23]
	s_cbranch_execz .LBB98_287
; %bb.286:
	buffer_load_dword v81, off, s[24:27], 0 offset:368 ; 4-byte Folded Reload
	buffer_load_dword v82, off, s[24:27], 0 offset:372 ; 4-byte Folded Reload
	v_ashrrev_i32_e32 v94, 31, v93
	v_lshlrev_b64 v[94:95], 2, v[93:94]
	s_waitcnt vmcnt(1)
	v_add_co_u32_e32 v94, vcc, v81, v94
	s_waitcnt vmcnt(0)
	v_addc_co_u32_e32 v95, vcc, v82, v95, vcc
	global_load_dword v0, v[94:95], off
	global_load_dword v92, v[81:82], off offset:52
	s_waitcnt vmcnt(1)
	global_store_dword v[81:82], v0, off offset:52
	s_waitcnt vmcnt(1)
	global_store_dword v[94:95], v92, off
.LBB98_287:
	s_or_b64 exec, exec, s[20:21]
	v_mov_b32_e32 v92, v93
	v_mov_b32_e32 v0, v93
.LBB98_288:
	s_or_b64 exec, exec, s[18:19]
.LBB98_289:
	s_andn2_saveexec_b64 s[0:1], s[0:1]
	s_cbranch_execz .LBB98_291
; %bb.290:
	buffer_load_dword v81, off, s[24:27], 0 offset:176 ; 4-byte Folded Reload
	buffer_load_dword v82, off, s[24:27], 0 offset:180 ; 4-byte Folded Reload
	;; [unrolled: 1-line block ×4, first 2 shown]
	v_mov_b32_e32 v92, 13
	s_waitcnt vmcnt(0)
	ds_write2_b64 v90, v[81:82], v[83:84] offset0:28 offset1:29
	buffer_load_dword v81, off, s[24:27], 0 offset:160 ; 4-byte Folded Reload
	buffer_load_dword v82, off, s[24:27], 0 offset:164 ; 4-byte Folded Reload
	buffer_load_dword v83, off, s[24:27], 0 offset:168 ; 4-byte Folded Reload
	buffer_load_dword v84, off, s[24:27], 0 offset:172 ; 4-byte Folded Reload
	s_waitcnt vmcnt(0)
	ds_write2_b64 v90, v[81:82], v[83:84] offset0:30 offset1:31
	buffer_load_dword v81, off, s[24:27], 0 offset:144 ; 4-byte Folded Reload
	buffer_load_dword v82, off, s[24:27], 0 offset:148 ; 4-byte Folded Reload
	buffer_load_dword v83, off, s[24:27], 0 offset:152 ; 4-byte Folded Reload
	buffer_load_dword v84, off, s[24:27], 0 offset:156 ; 4-byte Folded Reload
	;; [unrolled: 6-line block ×10, first 2 shown]
	s_waitcnt vmcnt(0)
	ds_write2_b64 v90, v[81:82], v[83:84] offset0:48 offset1:49
	buffer_load_dword v81, off, s[24:27], 0 ; 4-byte Folded Reload
	buffer_load_dword v82, off, s[24:27], 0 offset:4 ; 4-byte Folded Reload
	buffer_load_dword v83, off, s[24:27], 0 offset:8 ; 4-byte Folded Reload
	;; [unrolled: 1-line block ×3, first 2 shown]
	s_waitcnt vmcnt(0)
	ds_write2_b64 v90, v[81:82], v[83:84] offset0:50 offset1:51
	ds_write2_b64 v90, v[107:108], v[109:110] offset0:52 offset1:53
	;; [unrolled: 1-line block ×25, first 2 shown]
.LBB98_291:
	s_or_b64 exec, exec, s[0:1]
	v_cmp_lt_i32_e32 vcc, 13, v92
	s_waitcnt vmcnt(0) lgkmcnt(0)
	s_barrier
	s_and_saveexec_b64 s[0:1], vcc
	s_cbranch_execz .LBB98_293
; %bb.292:
	buffer_load_dword v97, off, s[24:27], 0 offset:192 ; 4-byte Folded Reload
	buffer_load_dword v98, off, s[24:27], 0 offset:196 ; 4-byte Folded Reload
	;; [unrolled: 1-line block ×4, first 2 shown]
	s_waitcnt vmcnt(0)
	v_mul_f64 v[93:94], v[119:120], v[99:100]
	v_fma_f64 v[125:126], v[117:118], v[97:98], -v[93:94]
	v_mul_f64 v[93:94], v[117:118], v[99:100]
	v_fma_f64 v[99:100], v[119:120], v[97:98], v[93:94]
	ds_read2_b64 v[93:96], v90 offset0:28 offset1:29
	buffer_load_dword v81, off, s[24:27], 0 offset:176 ; 4-byte Folded Reload
	buffer_load_dword v82, off, s[24:27], 0 offset:180 ; 4-byte Folded Reload
	buffer_load_dword v83, off, s[24:27], 0 offset:184 ; 4-byte Folded Reload
	buffer_load_dword v84, off, s[24:27], 0 offset:188 ; 4-byte Folded Reload
	s_waitcnt lgkmcnt(0)
	v_mul_f64 v[97:98], v[95:96], v[99:100]
	v_fma_f64 v[97:98], v[93:94], v[125:126], -v[97:98]
	v_mul_f64 v[93:94], v[93:94], v[99:100]
	v_fma_f64 v[93:94], v[95:96], v[125:126], v[93:94]
	s_waitcnt vmcnt(2)
	v_add_f64 v[81:82], v[81:82], -v[97:98]
	s_waitcnt vmcnt(0)
	v_add_f64 v[83:84], v[83:84], -v[93:94]
	buffer_store_dword v81, off, s[24:27], 0 offset:176 ; 4-byte Folded Spill
	s_nop 0
	buffer_store_dword v82, off, s[24:27], 0 offset:180 ; 4-byte Folded Spill
	buffer_store_dword v83, off, s[24:27], 0 offset:184 ; 4-byte Folded Spill
	buffer_store_dword v84, off, s[24:27], 0 offset:188 ; 4-byte Folded Spill
	ds_read2_b64 v[93:96], v90 offset0:30 offset1:31
	buffer_load_dword v81, off, s[24:27], 0 offset:160 ; 4-byte Folded Reload
	buffer_load_dword v82, off, s[24:27], 0 offset:164 ; 4-byte Folded Reload
	buffer_load_dword v83, off, s[24:27], 0 offset:168 ; 4-byte Folded Reload
	buffer_load_dword v84, off, s[24:27], 0 offset:172 ; 4-byte Folded Reload
	s_waitcnt lgkmcnt(0)
	v_mul_f64 v[97:98], v[95:96], v[99:100]
	v_fma_f64 v[97:98], v[93:94], v[125:126], -v[97:98]
	v_mul_f64 v[93:94], v[93:94], v[99:100]
	v_fma_f64 v[93:94], v[95:96], v[125:126], v[93:94]
	s_waitcnt vmcnt(2)
	v_add_f64 v[81:82], v[81:82], -v[97:98]
	s_waitcnt vmcnt(0)
	v_add_f64 v[83:84], v[83:84], -v[93:94]
	buffer_store_dword v81, off, s[24:27], 0 offset:160 ; 4-byte Folded Spill
	s_nop 0
	buffer_store_dword v82, off, s[24:27], 0 offset:164 ; 4-byte Folded Spill
	buffer_store_dword v83, off, s[24:27], 0 offset:168 ; 4-byte Folded Spill
	buffer_store_dword v84, off, s[24:27], 0 offset:172 ; 4-byte Folded Spill
	;; [unrolled: 19-line block ×11, first 2 shown]
	ds_read2_b64 v[93:96], v90 offset0:50 offset1:51
	buffer_load_dword v81, off, s[24:27], 0 ; 4-byte Folded Reload
	buffer_load_dword v82, off, s[24:27], 0 offset:4 ; 4-byte Folded Reload
	buffer_load_dword v83, off, s[24:27], 0 offset:8 ; 4-byte Folded Reload
	;; [unrolled: 1-line block ×3, first 2 shown]
	s_waitcnt lgkmcnt(0)
	v_mul_f64 v[97:98], v[95:96], v[99:100]
	v_fma_f64 v[97:98], v[93:94], v[125:126], -v[97:98]
	v_mul_f64 v[93:94], v[93:94], v[99:100]
	v_fma_f64 v[93:94], v[95:96], v[125:126], v[93:94]
	s_waitcnt vmcnt(2)
	v_add_f64 v[81:82], v[81:82], -v[97:98]
	s_waitcnt vmcnt(0)
	v_add_f64 v[83:84], v[83:84], -v[93:94]
	buffer_store_dword v81, off, s[24:27], 0 ; 4-byte Folded Spill
	s_nop 0
	buffer_store_dword v82, off, s[24:27], 0 offset:4 ; 4-byte Folded Spill
	buffer_store_dword v83, off, s[24:27], 0 offset:8 ; 4-byte Folded Spill
	;; [unrolled: 1-line block ×3, first 2 shown]
	ds_read2_b64 v[93:96], v90 offset0:52 offset1:53
	s_waitcnt lgkmcnt(0)
	v_mul_f64 v[97:98], v[95:96], v[99:100]
	v_fma_f64 v[97:98], v[93:94], v[125:126], -v[97:98]
	v_mul_f64 v[93:94], v[93:94], v[99:100]
	v_add_f64 v[107:108], v[107:108], -v[97:98]
	v_fma_f64 v[93:94], v[95:96], v[125:126], v[93:94]
	v_add_f64 v[109:110], v[109:110], -v[93:94]
	ds_read2_b64 v[93:96], v90 offset0:54 offset1:55
	s_waitcnt lgkmcnt(0)
	v_mul_f64 v[97:98], v[95:96], v[99:100]
	v_fma_f64 v[97:98], v[93:94], v[125:126], -v[97:98]
	v_mul_f64 v[93:94], v[93:94], v[99:100]
	v_add_f64 v[113:114], v[113:114], -v[97:98]
	v_fma_f64 v[93:94], v[95:96], v[125:126], v[93:94]
	v_add_f64 v[115:116], v[115:116], -v[93:94]
	;; [unrolled: 8-line block ×23, first 2 shown]
	ds_read2_b64 v[93:96], v90 offset0:98 offset1:99
	s_waitcnt lgkmcnt(0)
	v_mul_f64 v[97:98], v[95:96], v[99:100]
	v_fma_f64 v[97:98], v[93:94], v[125:126], -v[97:98]
	v_mul_f64 v[93:94], v[93:94], v[99:100]
	v_add_f64 v[121:122], v[121:122], -v[97:98]
	v_fma_f64 v[93:94], v[95:96], v[125:126], v[93:94]
	v_mov_b32_e32 v97, v125
	v_mov_b32_e32 v98, v126
	buffer_store_dword v97, off, s[24:27], 0 offset:192 ; 4-byte Folded Spill
	s_nop 0
	buffer_store_dword v98, off, s[24:27], 0 offset:196 ; 4-byte Folded Spill
	buffer_store_dword v99, off, s[24:27], 0 offset:200 ; 4-byte Folded Spill
	;; [unrolled: 1-line block ×3, first 2 shown]
	v_add_f64 v[123:124], v[123:124], -v[93:94]
.LBB98_293:
	s_or_b64 exec, exec, s[0:1]
	s_waitcnt vmcnt(0)
	s_barrier
	buffer_load_dword v81, off, s[24:27], 0 offset:176 ; 4-byte Folded Reload
	buffer_load_dword v82, off, s[24:27], 0 offset:180 ; 4-byte Folded Reload
	;; [unrolled: 1-line block ×4, first 2 shown]
	v_lshl_add_u32 v93, v92, 4, v90
	s_cmp_lt_i32 s3, 16
	s_waitcnt vmcnt(0)
	ds_write2_b64 v93, v[81:82], v[83:84] offset1:1
	s_waitcnt lgkmcnt(0)
	s_barrier
	ds_read2_b64 v[117:120], v90 offset0:28 offset1:29
	v_mov_b32_e32 v93, 14
	s_cbranch_scc1 .LBB98_296
; %bb.294:
	v_add_u32_e32 v94, 0xf0, v90
	s_mov_b32 s0, 15
	v_mov_b32_e32 v93, 14
.LBB98_295:                             ; =>This Inner Loop Header: Depth=1
	s_waitcnt lgkmcnt(0)
	v_cmp_gt_f64_e32 vcc, 0, v[117:118]
	v_xor_b32_e32 v99, 0x80000000, v118
	ds_read2_b64 v[95:98], v94 offset1:1
	v_xor_b32_e32 v101, 0x80000000, v120
	v_add_u32_e32 v94, 16, v94
	s_waitcnt lgkmcnt(0)
	v_xor_b32_e32 v103, 0x80000000, v98
	v_cndmask_b32_e32 v100, v118, v99, vcc
	v_cmp_gt_f64_e32 vcc, 0, v[119:120]
	v_mov_b32_e32 v99, v117
	v_cndmask_b32_e32 v102, v120, v101, vcc
	v_cmp_gt_f64_e32 vcc, 0, v[95:96]
	v_mov_b32_e32 v101, v119
	v_add_f64 v[99:100], v[99:100], v[101:102]
	v_xor_b32_e32 v101, 0x80000000, v96
	v_cndmask_b32_e32 v102, v96, v101, vcc
	v_cmp_gt_f64_e32 vcc, 0, v[97:98]
	v_mov_b32_e32 v101, v95
	v_cndmask_b32_e32 v104, v98, v103, vcc
	v_mov_b32_e32 v103, v97
	v_add_f64 v[101:102], v[101:102], v[103:104]
	v_cmp_lt_f64_e32 vcc, v[99:100], v[101:102]
	v_cndmask_b32_e32 v117, v117, v95, vcc
	v_mov_b32_e32 v95, s0
	s_add_i32 s0, s0, 1
	v_cndmask_b32_e32 v118, v118, v96, vcc
	v_cndmask_b32_e32 v120, v120, v98, vcc
	v_cndmask_b32_e32 v119, v119, v97, vcc
	v_cndmask_b32_e32 v93, v93, v95, vcc
	s_cmp_lg_u32 s3, s0
	s_cbranch_scc1 .LBB98_295
.LBB98_296:
	s_waitcnt lgkmcnt(0)
	v_cmp_eq_f64_e32 vcc, 0, v[117:118]
	v_cmp_eq_f64_e64 s[0:1], 0, v[119:120]
	s_and_b64 s[0:1], vcc, s[0:1]
	s_and_saveexec_b64 s[18:19], s[0:1]
	s_xor_b64 s[0:1], exec, s[18:19]
; %bb.297:
	v_cmp_ne_u32_e32 vcc, 0, v91
	v_cndmask_b32_e32 v91, 15, v91, vcc
; %bb.298:
	s_andn2_saveexec_b64 s[0:1], s[0:1]
	s_cbranch_execz .LBB98_304
; %bb.299:
	v_cmp_ngt_f64_e64 s[18:19], |v[117:118]|, |v[119:120]|
	s_and_saveexec_b64 s[20:21], s[18:19]
	s_xor_b64 s[18:19], exec, s[20:21]
	s_cbranch_execz .LBB98_301
; %bb.300:
	v_div_scale_f64 v[94:95], s[20:21], v[119:120], v[119:120], v[117:118]
	v_rcp_f64_e32 v[96:97], v[94:95]
	v_fma_f64 v[98:99], -v[94:95], v[96:97], 1.0
	v_fma_f64 v[96:97], v[96:97], v[98:99], v[96:97]
	v_div_scale_f64 v[98:99], vcc, v[117:118], v[119:120], v[117:118]
	v_fma_f64 v[100:101], -v[94:95], v[96:97], 1.0
	v_fma_f64 v[96:97], v[96:97], v[100:101], v[96:97]
	v_mul_f64 v[100:101], v[98:99], v[96:97]
	v_fma_f64 v[94:95], -v[94:95], v[100:101], v[98:99]
	v_div_fmas_f64 v[94:95], v[94:95], v[96:97], v[100:101]
	v_div_fixup_f64 v[94:95], v[94:95], v[119:120], v[117:118]
	v_fma_f64 v[96:97], v[117:118], v[94:95], v[119:120]
	v_div_scale_f64 v[98:99], s[20:21], v[96:97], v[96:97], 1.0
	v_div_scale_f64 v[104:105], vcc, 1.0, v[96:97], 1.0
	v_rcp_f64_e32 v[100:101], v[98:99]
	v_fma_f64 v[102:103], -v[98:99], v[100:101], 1.0
	v_fma_f64 v[100:101], v[100:101], v[102:103], v[100:101]
	v_fma_f64 v[102:103], -v[98:99], v[100:101], 1.0
	v_fma_f64 v[100:101], v[100:101], v[102:103], v[100:101]
	v_mul_f64 v[102:103], v[104:105], v[100:101]
	v_fma_f64 v[98:99], -v[98:99], v[102:103], v[104:105]
	v_div_fmas_f64 v[98:99], v[98:99], v[100:101], v[102:103]
	v_div_fixup_f64 v[119:120], v[98:99], v[96:97], 1.0
	v_mul_f64 v[117:118], v[94:95], v[119:120]
	v_xor_b32_e32 v120, 0x80000000, v120
.LBB98_301:
	s_andn2_saveexec_b64 s[18:19], s[18:19]
	s_cbranch_execz .LBB98_303
; %bb.302:
	v_div_scale_f64 v[94:95], s[20:21], v[117:118], v[117:118], v[119:120]
	v_rcp_f64_e32 v[96:97], v[94:95]
	v_fma_f64 v[98:99], -v[94:95], v[96:97], 1.0
	v_fma_f64 v[96:97], v[96:97], v[98:99], v[96:97]
	v_div_scale_f64 v[98:99], vcc, v[119:120], v[117:118], v[119:120]
	v_fma_f64 v[100:101], -v[94:95], v[96:97], 1.0
	v_fma_f64 v[96:97], v[96:97], v[100:101], v[96:97]
	v_mul_f64 v[100:101], v[98:99], v[96:97]
	v_fma_f64 v[94:95], -v[94:95], v[100:101], v[98:99]
	v_div_fmas_f64 v[94:95], v[94:95], v[96:97], v[100:101]
	v_div_fixup_f64 v[94:95], v[94:95], v[117:118], v[119:120]
	v_fma_f64 v[96:97], v[119:120], v[94:95], v[117:118]
	v_div_scale_f64 v[98:99], s[20:21], v[96:97], v[96:97], 1.0
	v_div_scale_f64 v[104:105], vcc, 1.0, v[96:97], 1.0
	v_rcp_f64_e32 v[100:101], v[98:99]
	v_fma_f64 v[102:103], -v[98:99], v[100:101], 1.0
	v_fma_f64 v[100:101], v[100:101], v[102:103], v[100:101]
	v_fma_f64 v[102:103], -v[98:99], v[100:101], 1.0
	v_fma_f64 v[100:101], v[100:101], v[102:103], v[100:101]
	v_mul_f64 v[102:103], v[104:105], v[100:101]
	v_fma_f64 v[98:99], -v[98:99], v[102:103], v[104:105]
	v_div_fmas_f64 v[98:99], v[98:99], v[100:101], v[102:103]
	v_div_fixup_f64 v[117:118], v[98:99], v[96:97], 1.0
	v_mul_f64 v[119:120], v[94:95], -v[117:118]
.LBB98_303:
	s_or_b64 exec, exec, s[18:19]
.LBB98_304:
	s_or_b64 exec, exec, s[0:1]
	v_cmp_ne_u32_e32 vcc, v92, v93
	s_and_saveexec_b64 s[0:1], vcc
	s_xor_b64 s[0:1], exec, s[0:1]
	s_cbranch_execz .LBB98_310
; %bb.305:
	v_cmp_eq_u32_e32 vcc, 14, v92
	s_and_saveexec_b64 s[18:19], vcc
	s_cbranch_execz .LBB98_309
; %bb.306:
	v_cmp_ne_u32_e32 vcc, 14, v93
	s_xor_b64 s[20:21], s[6:7], -1
	s_and_b64 s[22:23], s[20:21], vcc
	s_and_saveexec_b64 s[20:21], s[22:23]
	s_cbranch_execz .LBB98_308
; %bb.307:
	buffer_load_dword v81, off, s[24:27], 0 offset:368 ; 4-byte Folded Reload
	buffer_load_dword v82, off, s[24:27], 0 offset:372 ; 4-byte Folded Reload
	v_ashrrev_i32_e32 v94, 31, v93
	v_lshlrev_b64 v[94:95], 2, v[93:94]
	s_waitcnt vmcnt(1)
	v_add_co_u32_e32 v94, vcc, v81, v94
	s_waitcnt vmcnt(0)
	v_addc_co_u32_e32 v95, vcc, v82, v95, vcc
	global_load_dword v0, v[94:95], off
	global_load_dword v92, v[81:82], off offset:56
	s_waitcnt vmcnt(1)
	global_store_dword v[81:82], v0, off offset:56
	s_waitcnt vmcnt(1)
	global_store_dword v[94:95], v92, off
.LBB98_308:
	s_or_b64 exec, exec, s[20:21]
	v_mov_b32_e32 v92, v93
	v_mov_b32_e32 v0, v93
.LBB98_309:
	s_or_b64 exec, exec, s[18:19]
.LBB98_310:
	s_andn2_saveexec_b64 s[0:1], s[0:1]
	s_cbranch_execz .LBB98_312
; %bb.311:
	buffer_load_dword v81, off, s[24:27], 0 offset:160 ; 4-byte Folded Reload
	buffer_load_dword v82, off, s[24:27], 0 offset:164 ; 4-byte Folded Reload
	;; [unrolled: 1-line block ×4, first 2 shown]
	v_mov_b32_e32 v92, 14
	s_waitcnt vmcnt(0)
	ds_write2_b64 v90, v[81:82], v[83:84] offset0:30 offset1:31
	buffer_load_dword v81, off, s[24:27], 0 offset:144 ; 4-byte Folded Reload
	buffer_load_dword v82, off, s[24:27], 0 offset:148 ; 4-byte Folded Reload
	buffer_load_dword v83, off, s[24:27], 0 offset:152 ; 4-byte Folded Reload
	buffer_load_dword v84, off, s[24:27], 0 offset:156 ; 4-byte Folded Reload
	s_waitcnt vmcnt(0)
	ds_write2_b64 v90, v[81:82], v[83:84] offset0:32 offset1:33
	buffer_load_dword v81, off, s[24:27], 0 offset:128 ; 4-byte Folded Reload
	buffer_load_dword v82, off, s[24:27], 0 offset:132 ; 4-byte Folded Reload
	buffer_load_dword v83, off, s[24:27], 0 offset:136 ; 4-byte Folded Reload
	buffer_load_dword v84, off, s[24:27], 0 offset:140 ; 4-byte Folded Reload
	;; [unrolled: 6-line block ×9, first 2 shown]
	s_waitcnt vmcnt(0)
	ds_write2_b64 v90, v[81:82], v[83:84] offset0:48 offset1:49
	buffer_load_dword v81, off, s[24:27], 0 ; 4-byte Folded Reload
	buffer_load_dword v82, off, s[24:27], 0 offset:4 ; 4-byte Folded Reload
	buffer_load_dword v83, off, s[24:27], 0 offset:8 ; 4-byte Folded Reload
	;; [unrolled: 1-line block ×3, first 2 shown]
	s_waitcnt vmcnt(0)
	ds_write2_b64 v90, v[81:82], v[83:84] offset0:50 offset1:51
	ds_write2_b64 v90, v[107:108], v[109:110] offset0:52 offset1:53
	;; [unrolled: 1-line block ×25, first 2 shown]
.LBB98_312:
	s_or_b64 exec, exec, s[0:1]
	v_cmp_lt_i32_e32 vcc, 14, v92
	s_waitcnt vmcnt(0) lgkmcnt(0)
	s_barrier
	s_and_saveexec_b64 s[0:1], vcc
	s_cbranch_execz .LBB98_314
; %bb.313:
	buffer_load_dword v97, off, s[24:27], 0 offset:176 ; 4-byte Folded Reload
	buffer_load_dword v98, off, s[24:27], 0 offset:180 ; 4-byte Folded Reload
	;; [unrolled: 1-line block ×4, first 2 shown]
	s_waitcnt vmcnt(0)
	v_mul_f64 v[93:94], v[119:120], v[99:100]
	v_fma_f64 v[125:126], v[117:118], v[97:98], -v[93:94]
	v_mul_f64 v[93:94], v[117:118], v[99:100]
	v_fma_f64 v[99:100], v[119:120], v[97:98], v[93:94]
	ds_read2_b64 v[93:96], v90 offset0:30 offset1:31
	buffer_load_dword v81, off, s[24:27], 0 offset:160 ; 4-byte Folded Reload
	buffer_load_dword v82, off, s[24:27], 0 offset:164 ; 4-byte Folded Reload
	buffer_load_dword v83, off, s[24:27], 0 offset:168 ; 4-byte Folded Reload
	buffer_load_dword v84, off, s[24:27], 0 offset:172 ; 4-byte Folded Reload
	s_waitcnt lgkmcnt(0)
	v_mul_f64 v[97:98], v[95:96], v[99:100]
	v_fma_f64 v[97:98], v[93:94], v[125:126], -v[97:98]
	v_mul_f64 v[93:94], v[93:94], v[99:100]
	v_fma_f64 v[93:94], v[95:96], v[125:126], v[93:94]
	s_waitcnt vmcnt(2)
	v_add_f64 v[81:82], v[81:82], -v[97:98]
	s_waitcnt vmcnt(0)
	v_add_f64 v[83:84], v[83:84], -v[93:94]
	buffer_store_dword v81, off, s[24:27], 0 offset:160 ; 4-byte Folded Spill
	s_nop 0
	buffer_store_dword v82, off, s[24:27], 0 offset:164 ; 4-byte Folded Spill
	buffer_store_dword v83, off, s[24:27], 0 offset:168 ; 4-byte Folded Spill
	buffer_store_dword v84, off, s[24:27], 0 offset:172 ; 4-byte Folded Spill
	ds_read2_b64 v[93:96], v90 offset0:32 offset1:33
	buffer_load_dword v81, off, s[24:27], 0 offset:144 ; 4-byte Folded Reload
	buffer_load_dword v82, off, s[24:27], 0 offset:148 ; 4-byte Folded Reload
	buffer_load_dword v83, off, s[24:27], 0 offset:152 ; 4-byte Folded Reload
	buffer_load_dword v84, off, s[24:27], 0 offset:156 ; 4-byte Folded Reload
	s_waitcnt lgkmcnt(0)
	v_mul_f64 v[97:98], v[95:96], v[99:100]
	v_fma_f64 v[97:98], v[93:94], v[125:126], -v[97:98]
	v_mul_f64 v[93:94], v[93:94], v[99:100]
	v_fma_f64 v[93:94], v[95:96], v[125:126], v[93:94]
	s_waitcnt vmcnt(2)
	v_add_f64 v[81:82], v[81:82], -v[97:98]
	s_waitcnt vmcnt(0)
	v_add_f64 v[83:84], v[83:84], -v[93:94]
	buffer_store_dword v81, off, s[24:27], 0 offset:144 ; 4-byte Folded Spill
	s_nop 0
	buffer_store_dword v82, off, s[24:27], 0 offset:148 ; 4-byte Folded Spill
	buffer_store_dword v83, off, s[24:27], 0 offset:152 ; 4-byte Folded Spill
	buffer_store_dword v84, off, s[24:27], 0 offset:156 ; 4-byte Folded Spill
	;; [unrolled: 19-line block ×10, first 2 shown]
	ds_read2_b64 v[93:96], v90 offset0:50 offset1:51
	buffer_load_dword v81, off, s[24:27], 0 ; 4-byte Folded Reload
	buffer_load_dword v82, off, s[24:27], 0 offset:4 ; 4-byte Folded Reload
	buffer_load_dword v83, off, s[24:27], 0 offset:8 ; 4-byte Folded Reload
	;; [unrolled: 1-line block ×3, first 2 shown]
	s_waitcnt lgkmcnt(0)
	v_mul_f64 v[97:98], v[95:96], v[99:100]
	v_fma_f64 v[97:98], v[93:94], v[125:126], -v[97:98]
	v_mul_f64 v[93:94], v[93:94], v[99:100]
	v_fma_f64 v[93:94], v[95:96], v[125:126], v[93:94]
	s_waitcnt vmcnt(2)
	v_add_f64 v[81:82], v[81:82], -v[97:98]
	s_waitcnt vmcnt(0)
	v_add_f64 v[83:84], v[83:84], -v[93:94]
	buffer_store_dword v81, off, s[24:27], 0 ; 4-byte Folded Spill
	s_nop 0
	buffer_store_dword v82, off, s[24:27], 0 offset:4 ; 4-byte Folded Spill
	buffer_store_dword v83, off, s[24:27], 0 offset:8 ; 4-byte Folded Spill
	buffer_store_dword v84, off, s[24:27], 0 offset:12 ; 4-byte Folded Spill
	ds_read2_b64 v[93:96], v90 offset0:52 offset1:53
	s_waitcnt lgkmcnt(0)
	v_mul_f64 v[97:98], v[95:96], v[99:100]
	v_fma_f64 v[97:98], v[93:94], v[125:126], -v[97:98]
	v_mul_f64 v[93:94], v[93:94], v[99:100]
	v_add_f64 v[107:108], v[107:108], -v[97:98]
	v_fma_f64 v[93:94], v[95:96], v[125:126], v[93:94]
	v_add_f64 v[109:110], v[109:110], -v[93:94]
	ds_read2_b64 v[93:96], v90 offset0:54 offset1:55
	s_waitcnt lgkmcnt(0)
	v_mul_f64 v[97:98], v[95:96], v[99:100]
	v_fma_f64 v[97:98], v[93:94], v[125:126], -v[97:98]
	v_mul_f64 v[93:94], v[93:94], v[99:100]
	v_add_f64 v[113:114], v[113:114], -v[97:98]
	v_fma_f64 v[93:94], v[95:96], v[125:126], v[93:94]
	v_add_f64 v[115:116], v[115:116], -v[93:94]
	;; [unrolled: 8-line block ×23, first 2 shown]
	ds_read2_b64 v[93:96], v90 offset0:98 offset1:99
	s_waitcnt lgkmcnt(0)
	v_mul_f64 v[97:98], v[95:96], v[99:100]
	v_fma_f64 v[97:98], v[93:94], v[125:126], -v[97:98]
	v_mul_f64 v[93:94], v[93:94], v[99:100]
	v_add_f64 v[121:122], v[121:122], -v[97:98]
	v_fma_f64 v[93:94], v[95:96], v[125:126], v[93:94]
	v_mov_b32_e32 v97, v125
	v_mov_b32_e32 v98, v126
	buffer_store_dword v97, off, s[24:27], 0 offset:176 ; 4-byte Folded Spill
	s_nop 0
	buffer_store_dword v98, off, s[24:27], 0 offset:180 ; 4-byte Folded Spill
	buffer_store_dword v99, off, s[24:27], 0 offset:184 ; 4-byte Folded Spill
	buffer_store_dword v100, off, s[24:27], 0 offset:188 ; 4-byte Folded Spill
	v_add_f64 v[123:124], v[123:124], -v[93:94]
.LBB98_314:
	s_or_b64 exec, exec, s[0:1]
	s_waitcnt vmcnt(0)
	s_barrier
	buffer_load_dword v81, off, s[24:27], 0 offset:160 ; 4-byte Folded Reload
	buffer_load_dword v82, off, s[24:27], 0 offset:164 ; 4-byte Folded Reload
	;; [unrolled: 1-line block ×4, first 2 shown]
	v_lshl_add_u32 v93, v92, 4, v90
	s_cmp_lt_i32 s3, 17
	s_waitcnt vmcnt(0)
	ds_write2_b64 v93, v[81:82], v[83:84] offset1:1
	s_waitcnt lgkmcnt(0)
	s_barrier
	ds_read2_b64 v[117:120], v90 offset0:30 offset1:31
	v_mov_b32_e32 v93, 15
	s_cbranch_scc1 .LBB98_317
; %bb.315:
	v_add_u32_e32 v94, 0x100, v90
	s_mov_b32 s0, 16
	v_mov_b32_e32 v93, 15
.LBB98_316:                             ; =>This Inner Loop Header: Depth=1
	s_waitcnt lgkmcnt(0)
	v_cmp_gt_f64_e32 vcc, 0, v[117:118]
	v_xor_b32_e32 v99, 0x80000000, v118
	ds_read2_b64 v[95:98], v94 offset1:1
	v_xor_b32_e32 v101, 0x80000000, v120
	v_add_u32_e32 v94, 16, v94
	s_waitcnt lgkmcnt(0)
	v_xor_b32_e32 v103, 0x80000000, v98
	v_cndmask_b32_e32 v100, v118, v99, vcc
	v_cmp_gt_f64_e32 vcc, 0, v[119:120]
	v_mov_b32_e32 v99, v117
	v_cndmask_b32_e32 v102, v120, v101, vcc
	v_cmp_gt_f64_e32 vcc, 0, v[95:96]
	v_mov_b32_e32 v101, v119
	v_add_f64 v[99:100], v[99:100], v[101:102]
	v_xor_b32_e32 v101, 0x80000000, v96
	v_cndmask_b32_e32 v102, v96, v101, vcc
	v_cmp_gt_f64_e32 vcc, 0, v[97:98]
	v_mov_b32_e32 v101, v95
	v_cndmask_b32_e32 v104, v98, v103, vcc
	v_mov_b32_e32 v103, v97
	v_add_f64 v[101:102], v[101:102], v[103:104]
	v_cmp_lt_f64_e32 vcc, v[99:100], v[101:102]
	v_cndmask_b32_e32 v117, v117, v95, vcc
	v_mov_b32_e32 v95, s0
	s_add_i32 s0, s0, 1
	v_cndmask_b32_e32 v118, v118, v96, vcc
	v_cndmask_b32_e32 v120, v120, v98, vcc
	;; [unrolled: 1-line block ×4, first 2 shown]
	s_cmp_lg_u32 s3, s0
	s_cbranch_scc1 .LBB98_316
.LBB98_317:
	s_waitcnt lgkmcnt(0)
	v_cmp_eq_f64_e32 vcc, 0, v[117:118]
	v_cmp_eq_f64_e64 s[0:1], 0, v[119:120]
	s_and_b64 s[0:1], vcc, s[0:1]
	s_and_saveexec_b64 s[18:19], s[0:1]
	s_xor_b64 s[0:1], exec, s[18:19]
; %bb.318:
	v_cmp_ne_u32_e32 vcc, 0, v91
	v_cndmask_b32_e32 v91, 16, v91, vcc
; %bb.319:
	s_andn2_saveexec_b64 s[0:1], s[0:1]
	s_cbranch_execz .LBB98_325
; %bb.320:
	v_cmp_ngt_f64_e64 s[18:19], |v[117:118]|, |v[119:120]|
	s_and_saveexec_b64 s[20:21], s[18:19]
	s_xor_b64 s[18:19], exec, s[20:21]
	s_cbranch_execz .LBB98_322
; %bb.321:
	v_div_scale_f64 v[94:95], s[20:21], v[119:120], v[119:120], v[117:118]
	v_rcp_f64_e32 v[96:97], v[94:95]
	v_fma_f64 v[98:99], -v[94:95], v[96:97], 1.0
	v_fma_f64 v[96:97], v[96:97], v[98:99], v[96:97]
	v_div_scale_f64 v[98:99], vcc, v[117:118], v[119:120], v[117:118]
	v_fma_f64 v[100:101], -v[94:95], v[96:97], 1.0
	v_fma_f64 v[96:97], v[96:97], v[100:101], v[96:97]
	v_mul_f64 v[100:101], v[98:99], v[96:97]
	v_fma_f64 v[94:95], -v[94:95], v[100:101], v[98:99]
	v_div_fmas_f64 v[94:95], v[94:95], v[96:97], v[100:101]
	v_div_fixup_f64 v[94:95], v[94:95], v[119:120], v[117:118]
	v_fma_f64 v[96:97], v[117:118], v[94:95], v[119:120]
	v_div_scale_f64 v[98:99], s[20:21], v[96:97], v[96:97], 1.0
	v_div_scale_f64 v[104:105], vcc, 1.0, v[96:97], 1.0
	v_rcp_f64_e32 v[100:101], v[98:99]
	v_fma_f64 v[102:103], -v[98:99], v[100:101], 1.0
	v_fma_f64 v[100:101], v[100:101], v[102:103], v[100:101]
	v_fma_f64 v[102:103], -v[98:99], v[100:101], 1.0
	v_fma_f64 v[100:101], v[100:101], v[102:103], v[100:101]
	v_mul_f64 v[102:103], v[104:105], v[100:101]
	v_fma_f64 v[98:99], -v[98:99], v[102:103], v[104:105]
	v_div_fmas_f64 v[98:99], v[98:99], v[100:101], v[102:103]
	v_div_fixup_f64 v[119:120], v[98:99], v[96:97], 1.0
	v_mul_f64 v[117:118], v[94:95], v[119:120]
	v_xor_b32_e32 v120, 0x80000000, v120
.LBB98_322:
	s_andn2_saveexec_b64 s[18:19], s[18:19]
	s_cbranch_execz .LBB98_324
; %bb.323:
	v_div_scale_f64 v[94:95], s[20:21], v[117:118], v[117:118], v[119:120]
	v_rcp_f64_e32 v[96:97], v[94:95]
	v_fma_f64 v[98:99], -v[94:95], v[96:97], 1.0
	v_fma_f64 v[96:97], v[96:97], v[98:99], v[96:97]
	v_div_scale_f64 v[98:99], vcc, v[119:120], v[117:118], v[119:120]
	v_fma_f64 v[100:101], -v[94:95], v[96:97], 1.0
	v_fma_f64 v[96:97], v[96:97], v[100:101], v[96:97]
	v_mul_f64 v[100:101], v[98:99], v[96:97]
	v_fma_f64 v[94:95], -v[94:95], v[100:101], v[98:99]
	v_div_fmas_f64 v[94:95], v[94:95], v[96:97], v[100:101]
	v_div_fixup_f64 v[94:95], v[94:95], v[117:118], v[119:120]
	v_fma_f64 v[96:97], v[119:120], v[94:95], v[117:118]
	v_div_scale_f64 v[98:99], s[20:21], v[96:97], v[96:97], 1.0
	v_div_scale_f64 v[104:105], vcc, 1.0, v[96:97], 1.0
	v_rcp_f64_e32 v[100:101], v[98:99]
	v_fma_f64 v[102:103], -v[98:99], v[100:101], 1.0
	v_fma_f64 v[100:101], v[100:101], v[102:103], v[100:101]
	v_fma_f64 v[102:103], -v[98:99], v[100:101], 1.0
	v_fma_f64 v[100:101], v[100:101], v[102:103], v[100:101]
	v_mul_f64 v[102:103], v[104:105], v[100:101]
	v_fma_f64 v[98:99], -v[98:99], v[102:103], v[104:105]
	v_div_fmas_f64 v[98:99], v[98:99], v[100:101], v[102:103]
	v_div_fixup_f64 v[117:118], v[98:99], v[96:97], 1.0
	v_mul_f64 v[119:120], v[94:95], -v[117:118]
.LBB98_324:
	s_or_b64 exec, exec, s[18:19]
.LBB98_325:
	s_or_b64 exec, exec, s[0:1]
	v_cmp_ne_u32_e32 vcc, v92, v93
	s_and_saveexec_b64 s[0:1], vcc
	s_xor_b64 s[0:1], exec, s[0:1]
	s_cbranch_execz .LBB98_331
; %bb.326:
	v_cmp_eq_u32_e32 vcc, 15, v92
	s_and_saveexec_b64 s[18:19], vcc
	s_cbranch_execz .LBB98_330
; %bb.327:
	v_cmp_ne_u32_e32 vcc, 15, v93
	s_xor_b64 s[20:21], s[6:7], -1
	s_and_b64 s[22:23], s[20:21], vcc
	s_and_saveexec_b64 s[20:21], s[22:23]
	s_cbranch_execz .LBB98_329
; %bb.328:
	buffer_load_dword v81, off, s[24:27], 0 offset:368 ; 4-byte Folded Reload
	buffer_load_dword v82, off, s[24:27], 0 offset:372 ; 4-byte Folded Reload
	v_ashrrev_i32_e32 v94, 31, v93
	v_lshlrev_b64 v[94:95], 2, v[93:94]
	s_waitcnt vmcnt(1)
	v_add_co_u32_e32 v94, vcc, v81, v94
	s_waitcnt vmcnt(0)
	v_addc_co_u32_e32 v95, vcc, v82, v95, vcc
	global_load_dword v0, v[94:95], off
	global_load_dword v92, v[81:82], off offset:60
	s_waitcnt vmcnt(1)
	global_store_dword v[81:82], v0, off offset:60
	s_waitcnt vmcnt(1)
	global_store_dword v[94:95], v92, off
.LBB98_329:
	s_or_b64 exec, exec, s[20:21]
	v_mov_b32_e32 v92, v93
	v_mov_b32_e32 v0, v93
.LBB98_330:
	s_or_b64 exec, exec, s[18:19]
.LBB98_331:
	s_andn2_saveexec_b64 s[0:1], s[0:1]
	s_cbranch_execz .LBB98_333
; %bb.332:
	buffer_load_dword v81, off, s[24:27], 0 offset:144 ; 4-byte Folded Reload
	buffer_load_dword v82, off, s[24:27], 0 offset:148 ; 4-byte Folded Reload
	;; [unrolled: 1-line block ×4, first 2 shown]
	v_mov_b32_e32 v92, 15
	s_waitcnt vmcnt(0)
	ds_write2_b64 v90, v[81:82], v[83:84] offset0:32 offset1:33
	buffer_load_dword v81, off, s[24:27], 0 offset:128 ; 4-byte Folded Reload
	buffer_load_dword v82, off, s[24:27], 0 offset:132 ; 4-byte Folded Reload
	buffer_load_dword v83, off, s[24:27], 0 offset:136 ; 4-byte Folded Reload
	buffer_load_dword v84, off, s[24:27], 0 offset:140 ; 4-byte Folded Reload
	s_waitcnt vmcnt(0)
	ds_write2_b64 v90, v[81:82], v[83:84] offset0:34 offset1:35
	buffer_load_dword v81, off, s[24:27], 0 offset:112 ; 4-byte Folded Reload
	buffer_load_dword v82, off, s[24:27], 0 offset:116 ; 4-byte Folded Reload
	buffer_load_dword v83, off, s[24:27], 0 offset:120 ; 4-byte Folded Reload
	buffer_load_dword v84, off, s[24:27], 0 offset:124 ; 4-byte Folded Reload
	;; [unrolled: 6-line block ×8, first 2 shown]
	s_waitcnt vmcnt(0)
	ds_write2_b64 v90, v[81:82], v[83:84] offset0:48 offset1:49
	buffer_load_dword v81, off, s[24:27], 0 ; 4-byte Folded Reload
	buffer_load_dword v82, off, s[24:27], 0 offset:4 ; 4-byte Folded Reload
	buffer_load_dword v83, off, s[24:27], 0 offset:8 ; 4-byte Folded Reload
	;; [unrolled: 1-line block ×3, first 2 shown]
	s_waitcnt vmcnt(0)
	ds_write2_b64 v90, v[81:82], v[83:84] offset0:50 offset1:51
	ds_write2_b64 v90, v[107:108], v[109:110] offset0:52 offset1:53
	;; [unrolled: 1-line block ×25, first 2 shown]
.LBB98_333:
	s_or_b64 exec, exec, s[0:1]
	v_cmp_lt_i32_e32 vcc, 15, v92
	s_waitcnt vmcnt(0) lgkmcnt(0)
	s_barrier
	s_and_saveexec_b64 s[0:1], vcc
	s_cbranch_execz .LBB98_335
; %bb.334:
	buffer_load_dword v97, off, s[24:27], 0 offset:160 ; 4-byte Folded Reload
	buffer_load_dword v98, off, s[24:27], 0 offset:164 ; 4-byte Folded Reload
	;; [unrolled: 1-line block ×4, first 2 shown]
	s_waitcnt vmcnt(0)
	v_mul_f64 v[93:94], v[119:120], v[99:100]
	v_fma_f64 v[125:126], v[117:118], v[97:98], -v[93:94]
	v_mul_f64 v[93:94], v[117:118], v[99:100]
	v_fma_f64 v[99:100], v[119:120], v[97:98], v[93:94]
	ds_read2_b64 v[93:96], v90 offset0:32 offset1:33
	buffer_load_dword v81, off, s[24:27], 0 offset:144 ; 4-byte Folded Reload
	buffer_load_dword v82, off, s[24:27], 0 offset:148 ; 4-byte Folded Reload
	buffer_load_dword v83, off, s[24:27], 0 offset:152 ; 4-byte Folded Reload
	buffer_load_dword v84, off, s[24:27], 0 offset:156 ; 4-byte Folded Reload
	s_waitcnt lgkmcnt(0)
	v_mul_f64 v[97:98], v[95:96], v[99:100]
	v_fma_f64 v[97:98], v[93:94], v[125:126], -v[97:98]
	v_mul_f64 v[93:94], v[93:94], v[99:100]
	v_fma_f64 v[93:94], v[95:96], v[125:126], v[93:94]
	s_waitcnt vmcnt(2)
	v_add_f64 v[81:82], v[81:82], -v[97:98]
	s_waitcnt vmcnt(0)
	v_add_f64 v[83:84], v[83:84], -v[93:94]
	buffer_store_dword v81, off, s[24:27], 0 offset:144 ; 4-byte Folded Spill
	s_nop 0
	buffer_store_dword v82, off, s[24:27], 0 offset:148 ; 4-byte Folded Spill
	buffer_store_dword v83, off, s[24:27], 0 offset:152 ; 4-byte Folded Spill
	buffer_store_dword v84, off, s[24:27], 0 offset:156 ; 4-byte Folded Spill
	ds_read2_b64 v[93:96], v90 offset0:34 offset1:35
	buffer_load_dword v81, off, s[24:27], 0 offset:128 ; 4-byte Folded Reload
	buffer_load_dword v82, off, s[24:27], 0 offset:132 ; 4-byte Folded Reload
	buffer_load_dword v83, off, s[24:27], 0 offset:136 ; 4-byte Folded Reload
	buffer_load_dword v84, off, s[24:27], 0 offset:140 ; 4-byte Folded Reload
	s_waitcnt lgkmcnt(0)
	v_mul_f64 v[97:98], v[95:96], v[99:100]
	v_fma_f64 v[97:98], v[93:94], v[125:126], -v[97:98]
	v_mul_f64 v[93:94], v[93:94], v[99:100]
	v_fma_f64 v[93:94], v[95:96], v[125:126], v[93:94]
	s_waitcnt vmcnt(2)
	v_add_f64 v[81:82], v[81:82], -v[97:98]
	s_waitcnt vmcnt(0)
	v_add_f64 v[83:84], v[83:84], -v[93:94]
	buffer_store_dword v81, off, s[24:27], 0 offset:128 ; 4-byte Folded Spill
	s_nop 0
	buffer_store_dword v82, off, s[24:27], 0 offset:132 ; 4-byte Folded Spill
	buffer_store_dword v83, off, s[24:27], 0 offset:136 ; 4-byte Folded Spill
	buffer_store_dword v84, off, s[24:27], 0 offset:140 ; 4-byte Folded Spill
	;; [unrolled: 19-line block ×9, first 2 shown]
	ds_read2_b64 v[93:96], v90 offset0:50 offset1:51
	buffer_load_dword v81, off, s[24:27], 0 ; 4-byte Folded Reload
	buffer_load_dword v82, off, s[24:27], 0 offset:4 ; 4-byte Folded Reload
	buffer_load_dword v83, off, s[24:27], 0 offset:8 ; 4-byte Folded Reload
	;; [unrolled: 1-line block ×3, first 2 shown]
	s_waitcnt lgkmcnt(0)
	v_mul_f64 v[97:98], v[95:96], v[99:100]
	v_fma_f64 v[97:98], v[93:94], v[125:126], -v[97:98]
	v_mul_f64 v[93:94], v[93:94], v[99:100]
	v_fma_f64 v[93:94], v[95:96], v[125:126], v[93:94]
	s_waitcnt vmcnt(2)
	v_add_f64 v[81:82], v[81:82], -v[97:98]
	s_waitcnt vmcnt(0)
	v_add_f64 v[83:84], v[83:84], -v[93:94]
	buffer_store_dword v81, off, s[24:27], 0 ; 4-byte Folded Spill
	s_nop 0
	buffer_store_dword v82, off, s[24:27], 0 offset:4 ; 4-byte Folded Spill
	buffer_store_dword v83, off, s[24:27], 0 offset:8 ; 4-byte Folded Spill
	;; [unrolled: 1-line block ×3, first 2 shown]
	ds_read2_b64 v[93:96], v90 offset0:52 offset1:53
	s_waitcnt lgkmcnt(0)
	v_mul_f64 v[97:98], v[95:96], v[99:100]
	v_fma_f64 v[97:98], v[93:94], v[125:126], -v[97:98]
	v_mul_f64 v[93:94], v[93:94], v[99:100]
	v_add_f64 v[107:108], v[107:108], -v[97:98]
	v_fma_f64 v[93:94], v[95:96], v[125:126], v[93:94]
	v_add_f64 v[109:110], v[109:110], -v[93:94]
	ds_read2_b64 v[93:96], v90 offset0:54 offset1:55
	s_waitcnt lgkmcnt(0)
	v_mul_f64 v[97:98], v[95:96], v[99:100]
	v_fma_f64 v[97:98], v[93:94], v[125:126], -v[97:98]
	v_mul_f64 v[93:94], v[93:94], v[99:100]
	v_add_f64 v[113:114], v[113:114], -v[97:98]
	v_fma_f64 v[93:94], v[95:96], v[125:126], v[93:94]
	v_add_f64 v[115:116], v[115:116], -v[93:94]
	;; [unrolled: 8-line block ×23, first 2 shown]
	ds_read2_b64 v[93:96], v90 offset0:98 offset1:99
	s_waitcnt lgkmcnt(0)
	v_mul_f64 v[97:98], v[95:96], v[99:100]
	v_fma_f64 v[97:98], v[93:94], v[125:126], -v[97:98]
	v_mul_f64 v[93:94], v[93:94], v[99:100]
	v_add_f64 v[121:122], v[121:122], -v[97:98]
	v_fma_f64 v[93:94], v[95:96], v[125:126], v[93:94]
	v_mov_b32_e32 v97, v125
	v_mov_b32_e32 v98, v126
	buffer_store_dword v97, off, s[24:27], 0 offset:160 ; 4-byte Folded Spill
	s_nop 0
	buffer_store_dword v98, off, s[24:27], 0 offset:164 ; 4-byte Folded Spill
	buffer_store_dword v99, off, s[24:27], 0 offset:168 ; 4-byte Folded Spill
	;; [unrolled: 1-line block ×3, first 2 shown]
	v_add_f64 v[123:124], v[123:124], -v[93:94]
.LBB98_335:
	s_or_b64 exec, exec, s[0:1]
	s_waitcnt vmcnt(0)
	s_barrier
	buffer_load_dword v81, off, s[24:27], 0 offset:144 ; 4-byte Folded Reload
	buffer_load_dword v82, off, s[24:27], 0 offset:148 ; 4-byte Folded Reload
	;; [unrolled: 1-line block ×4, first 2 shown]
	v_lshl_add_u32 v93, v92, 4, v90
	s_cmp_lt_i32 s3, 18
	s_waitcnt vmcnt(0)
	ds_write2_b64 v93, v[81:82], v[83:84] offset1:1
	s_waitcnt lgkmcnt(0)
	s_barrier
	ds_read2_b64 v[117:120], v90 offset0:32 offset1:33
	v_mov_b32_e32 v93, 16
	s_cbranch_scc1 .LBB98_338
; %bb.336:
	v_add_u32_e32 v94, 0x110, v90
	s_mov_b32 s0, 17
	v_mov_b32_e32 v93, 16
.LBB98_337:                             ; =>This Inner Loop Header: Depth=1
	s_waitcnt lgkmcnt(0)
	v_cmp_gt_f64_e32 vcc, 0, v[117:118]
	v_xor_b32_e32 v99, 0x80000000, v118
	ds_read2_b64 v[95:98], v94 offset1:1
	v_xor_b32_e32 v101, 0x80000000, v120
	v_add_u32_e32 v94, 16, v94
	s_waitcnt lgkmcnt(0)
	v_xor_b32_e32 v103, 0x80000000, v98
	v_cndmask_b32_e32 v100, v118, v99, vcc
	v_cmp_gt_f64_e32 vcc, 0, v[119:120]
	v_mov_b32_e32 v99, v117
	v_cndmask_b32_e32 v102, v120, v101, vcc
	v_cmp_gt_f64_e32 vcc, 0, v[95:96]
	v_mov_b32_e32 v101, v119
	v_add_f64 v[99:100], v[99:100], v[101:102]
	v_xor_b32_e32 v101, 0x80000000, v96
	v_cndmask_b32_e32 v102, v96, v101, vcc
	v_cmp_gt_f64_e32 vcc, 0, v[97:98]
	v_mov_b32_e32 v101, v95
	v_cndmask_b32_e32 v104, v98, v103, vcc
	v_mov_b32_e32 v103, v97
	v_add_f64 v[101:102], v[101:102], v[103:104]
	v_cmp_lt_f64_e32 vcc, v[99:100], v[101:102]
	v_cndmask_b32_e32 v117, v117, v95, vcc
	v_mov_b32_e32 v95, s0
	s_add_i32 s0, s0, 1
	v_cndmask_b32_e32 v118, v118, v96, vcc
	v_cndmask_b32_e32 v120, v120, v98, vcc
	;; [unrolled: 1-line block ×4, first 2 shown]
	s_cmp_lg_u32 s3, s0
	s_cbranch_scc1 .LBB98_337
.LBB98_338:
	s_waitcnt lgkmcnt(0)
	v_cmp_eq_f64_e32 vcc, 0, v[117:118]
	v_cmp_eq_f64_e64 s[0:1], 0, v[119:120]
	s_and_b64 s[0:1], vcc, s[0:1]
	s_and_saveexec_b64 s[18:19], s[0:1]
	s_xor_b64 s[0:1], exec, s[18:19]
; %bb.339:
	v_cmp_ne_u32_e32 vcc, 0, v91
	v_cndmask_b32_e32 v91, 17, v91, vcc
; %bb.340:
	s_andn2_saveexec_b64 s[0:1], s[0:1]
	s_cbranch_execz .LBB98_346
; %bb.341:
	v_cmp_ngt_f64_e64 s[18:19], |v[117:118]|, |v[119:120]|
	s_and_saveexec_b64 s[20:21], s[18:19]
	s_xor_b64 s[18:19], exec, s[20:21]
	s_cbranch_execz .LBB98_343
; %bb.342:
	v_div_scale_f64 v[94:95], s[20:21], v[119:120], v[119:120], v[117:118]
	v_rcp_f64_e32 v[96:97], v[94:95]
	v_fma_f64 v[98:99], -v[94:95], v[96:97], 1.0
	v_fma_f64 v[96:97], v[96:97], v[98:99], v[96:97]
	v_div_scale_f64 v[98:99], vcc, v[117:118], v[119:120], v[117:118]
	v_fma_f64 v[100:101], -v[94:95], v[96:97], 1.0
	v_fma_f64 v[96:97], v[96:97], v[100:101], v[96:97]
	v_mul_f64 v[100:101], v[98:99], v[96:97]
	v_fma_f64 v[94:95], -v[94:95], v[100:101], v[98:99]
	v_div_fmas_f64 v[94:95], v[94:95], v[96:97], v[100:101]
	v_div_fixup_f64 v[94:95], v[94:95], v[119:120], v[117:118]
	v_fma_f64 v[96:97], v[117:118], v[94:95], v[119:120]
	v_div_scale_f64 v[98:99], s[20:21], v[96:97], v[96:97], 1.0
	v_div_scale_f64 v[104:105], vcc, 1.0, v[96:97], 1.0
	v_rcp_f64_e32 v[100:101], v[98:99]
	v_fma_f64 v[102:103], -v[98:99], v[100:101], 1.0
	v_fma_f64 v[100:101], v[100:101], v[102:103], v[100:101]
	v_fma_f64 v[102:103], -v[98:99], v[100:101], 1.0
	v_fma_f64 v[100:101], v[100:101], v[102:103], v[100:101]
	v_mul_f64 v[102:103], v[104:105], v[100:101]
	v_fma_f64 v[98:99], -v[98:99], v[102:103], v[104:105]
	v_div_fmas_f64 v[98:99], v[98:99], v[100:101], v[102:103]
	v_div_fixup_f64 v[119:120], v[98:99], v[96:97], 1.0
	v_mul_f64 v[117:118], v[94:95], v[119:120]
	v_xor_b32_e32 v120, 0x80000000, v120
.LBB98_343:
	s_andn2_saveexec_b64 s[18:19], s[18:19]
	s_cbranch_execz .LBB98_345
; %bb.344:
	v_div_scale_f64 v[94:95], s[20:21], v[117:118], v[117:118], v[119:120]
	v_rcp_f64_e32 v[96:97], v[94:95]
	v_fma_f64 v[98:99], -v[94:95], v[96:97], 1.0
	v_fma_f64 v[96:97], v[96:97], v[98:99], v[96:97]
	v_div_scale_f64 v[98:99], vcc, v[119:120], v[117:118], v[119:120]
	v_fma_f64 v[100:101], -v[94:95], v[96:97], 1.0
	v_fma_f64 v[96:97], v[96:97], v[100:101], v[96:97]
	v_mul_f64 v[100:101], v[98:99], v[96:97]
	v_fma_f64 v[94:95], -v[94:95], v[100:101], v[98:99]
	v_div_fmas_f64 v[94:95], v[94:95], v[96:97], v[100:101]
	v_div_fixup_f64 v[94:95], v[94:95], v[117:118], v[119:120]
	v_fma_f64 v[96:97], v[119:120], v[94:95], v[117:118]
	v_div_scale_f64 v[98:99], s[20:21], v[96:97], v[96:97], 1.0
	v_div_scale_f64 v[104:105], vcc, 1.0, v[96:97], 1.0
	v_rcp_f64_e32 v[100:101], v[98:99]
	v_fma_f64 v[102:103], -v[98:99], v[100:101], 1.0
	v_fma_f64 v[100:101], v[100:101], v[102:103], v[100:101]
	v_fma_f64 v[102:103], -v[98:99], v[100:101], 1.0
	v_fma_f64 v[100:101], v[100:101], v[102:103], v[100:101]
	v_mul_f64 v[102:103], v[104:105], v[100:101]
	v_fma_f64 v[98:99], -v[98:99], v[102:103], v[104:105]
	v_div_fmas_f64 v[98:99], v[98:99], v[100:101], v[102:103]
	v_div_fixup_f64 v[117:118], v[98:99], v[96:97], 1.0
	v_mul_f64 v[119:120], v[94:95], -v[117:118]
.LBB98_345:
	s_or_b64 exec, exec, s[18:19]
.LBB98_346:
	s_or_b64 exec, exec, s[0:1]
	v_cmp_ne_u32_e32 vcc, v92, v93
	s_and_saveexec_b64 s[0:1], vcc
	s_xor_b64 s[0:1], exec, s[0:1]
	s_cbranch_execz .LBB98_352
; %bb.347:
	v_cmp_eq_u32_e32 vcc, 16, v92
	s_and_saveexec_b64 s[18:19], vcc
	s_cbranch_execz .LBB98_351
; %bb.348:
	v_cmp_ne_u32_e32 vcc, 16, v93
	s_xor_b64 s[20:21], s[6:7], -1
	s_and_b64 s[22:23], s[20:21], vcc
	s_and_saveexec_b64 s[20:21], s[22:23]
	s_cbranch_execz .LBB98_350
; %bb.349:
	buffer_load_dword v81, off, s[24:27], 0 offset:368 ; 4-byte Folded Reload
	buffer_load_dword v82, off, s[24:27], 0 offset:372 ; 4-byte Folded Reload
	v_ashrrev_i32_e32 v94, 31, v93
	v_lshlrev_b64 v[94:95], 2, v[93:94]
	s_waitcnt vmcnt(1)
	v_add_co_u32_e32 v94, vcc, v81, v94
	s_waitcnt vmcnt(0)
	v_addc_co_u32_e32 v95, vcc, v82, v95, vcc
	global_load_dword v0, v[94:95], off
	global_load_dword v92, v[81:82], off offset:64
	s_waitcnt vmcnt(1)
	global_store_dword v[81:82], v0, off offset:64
	s_waitcnt vmcnt(1)
	global_store_dword v[94:95], v92, off
.LBB98_350:
	s_or_b64 exec, exec, s[20:21]
	v_mov_b32_e32 v92, v93
	v_mov_b32_e32 v0, v93
.LBB98_351:
	s_or_b64 exec, exec, s[18:19]
.LBB98_352:
	s_andn2_saveexec_b64 s[0:1], s[0:1]
	s_cbranch_execz .LBB98_354
; %bb.353:
	buffer_load_dword v81, off, s[24:27], 0 offset:128 ; 4-byte Folded Reload
	buffer_load_dword v82, off, s[24:27], 0 offset:132 ; 4-byte Folded Reload
	buffer_load_dword v83, off, s[24:27], 0 offset:136 ; 4-byte Folded Reload
	buffer_load_dword v84, off, s[24:27], 0 offset:140 ; 4-byte Folded Reload
	v_mov_b32_e32 v92, 16
	s_waitcnt vmcnt(0)
	ds_write2_b64 v90, v[81:82], v[83:84] offset0:34 offset1:35
	buffer_load_dword v81, off, s[24:27], 0 offset:112 ; 4-byte Folded Reload
	buffer_load_dword v82, off, s[24:27], 0 offset:116 ; 4-byte Folded Reload
	buffer_load_dword v83, off, s[24:27], 0 offset:120 ; 4-byte Folded Reload
	buffer_load_dword v84, off, s[24:27], 0 offset:124 ; 4-byte Folded Reload
	s_waitcnt vmcnt(0)
	ds_write2_b64 v90, v[81:82], v[83:84] offset0:36 offset1:37
	buffer_load_dword v81, off, s[24:27], 0 offset:96 ; 4-byte Folded Reload
	buffer_load_dword v82, off, s[24:27], 0 offset:100 ; 4-byte Folded Reload
	buffer_load_dword v83, off, s[24:27], 0 offset:104 ; 4-byte Folded Reload
	buffer_load_dword v84, off, s[24:27], 0 offset:108 ; 4-byte Folded Reload
	;; [unrolled: 6-line block ×7, first 2 shown]
	s_waitcnt vmcnt(0)
	ds_write2_b64 v90, v[81:82], v[83:84] offset0:48 offset1:49
	buffer_load_dword v81, off, s[24:27], 0 ; 4-byte Folded Reload
	buffer_load_dword v82, off, s[24:27], 0 offset:4 ; 4-byte Folded Reload
	buffer_load_dword v83, off, s[24:27], 0 offset:8 ; 4-byte Folded Reload
	;; [unrolled: 1-line block ×3, first 2 shown]
	s_waitcnt vmcnt(0)
	ds_write2_b64 v90, v[81:82], v[83:84] offset0:50 offset1:51
	ds_write2_b64 v90, v[107:108], v[109:110] offset0:52 offset1:53
	;; [unrolled: 1-line block ×25, first 2 shown]
.LBB98_354:
	s_or_b64 exec, exec, s[0:1]
	v_cmp_lt_i32_e32 vcc, 16, v92
	s_waitcnt vmcnt(0) lgkmcnt(0)
	s_barrier
	s_and_saveexec_b64 s[0:1], vcc
	s_cbranch_execz .LBB98_356
; %bb.355:
	buffer_load_dword v97, off, s[24:27], 0 offset:144 ; 4-byte Folded Reload
	buffer_load_dword v98, off, s[24:27], 0 offset:148 ; 4-byte Folded Reload
	;; [unrolled: 1-line block ×4, first 2 shown]
	s_waitcnt vmcnt(0)
	v_mul_f64 v[93:94], v[119:120], v[99:100]
	v_fma_f64 v[125:126], v[117:118], v[97:98], -v[93:94]
	v_mul_f64 v[93:94], v[117:118], v[99:100]
	v_fma_f64 v[99:100], v[119:120], v[97:98], v[93:94]
	ds_read2_b64 v[93:96], v90 offset0:34 offset1:35
	buffer_load_dword v81, off, s[24:27], 0 offset:128 ; 4-byte Folded Reload
	buffer_load_dword v82, off, s[24:27], 0 offset:132 ; 4-byte Folded Reload
	buffer_load_dword v83, off, s[24:27], 0 offset:136 ; 4-byte Folded Reload
	buffer_load_dword v84, off, s[24:27], 0 offset:140 ; 4-byte Folded Reload
	s_waitcnt lgkmcnt(0)
	v_mul_f64 v[97:98], v[95:96], v[99:100]
	v_fma_f64 v[97:98], v[93:94], v[125:126], -v[97:98]
	v_mul_f64 v[93:94], v[93:94], v[99:100]
	v_fma_f64 v[93:94], v[95:96], v[125:126], v[93:94]
	s_waitcnt vmcnt(2)
	v_add_f64 v[81:82], v[81:82], -v[97:98]
	s_waitcnt vmcnt(0)
	v_add_f64 v[83:84], v[83:84], -v[93:94]
	buffer_store_dword v81, off, s[24:27], 0 offset:128 ; 4-byte Folded Spill
	s_nop 0
	buffer_store_dword v82, off, s[24:27], 0 offset:132 ; 4-byte Folded Spill
	buffer_store_dword v83, off, s[24:27], 0 offset:136 ; 4-byte Folded Spill
	buffer_store_dword v84, off, s[24:27], 0 offset:140 ; 4-byte Folded Spill
	ds_read2_b64 v[93:96], v90 offset0:36 offset1:37
	buffer_load_dword v81, off, s[24:27], 0 offset:112 ; 4-byte Folded Reload
	buffer_load_dword v82, off, s[24:27], 0 offset:116 ; 4-byte Folded Reload
	buffer_load_dword v83, off, s[24:27], 0 offset:120 ; 4-byte Folded Reload
	buffer_load_dword v84, off, s[24:27], 0 offset:124 ; 4-byte Folded Reload
	s_waitcnt lgkmcnt(0)
	v_mul_f64 v[97:98], v[95:96], v[99:100]
	v_fma_f64 v[97:98], v[93:94], v[125:126], -v[97:98]
	v_mul_f64 v[93:94], v[93:94], v[99:100]
	v_fma_f64 v[93:94], v[95:96], v[125:126], v[93:94]
	s_waitcnt vmcnt(2)
	v_add_f64 v[81:82], v[81:82], -v[97:98]
	s_waitcnt vmcnt(0)
	v_add_f64 v[83:84], v[83:84], -v[93:94]
	buffer_store_dword v81, off, s[24:27], 0 offset:112 ; 4-byte Folded Spill
	s_nop 0
	buffer_store_dword v82, off, s[24:27], 0 offset:116 ; 4-byte Folded Spill
	buffer_store_dword v83, off, s[24:27], 0 offset:120 ; 4-byte Folded Spill
	buffer_store_dword v84, off, s[24:27], 0 offset:124 ; 4-byte Folded Spill
	;; [unrolled: 19-line block ×8, first 2 shown]
	ds_read2_b64 v[93:96], v90 offset0:50 offset1:51
	buffer_load_dword v81, off, s[24:27], 0 ; 4-byte Folded Reload
	buffer_load_dword v82, off, s[24:27], 0 offset:4 ; 4-byte Folded Reload
	buffer_load_dword v83, off, s[24:27], 0 offset:8 ; 4-byte Folded Reload
	;; [unrolled: 1-line block ×3, first 2 shown]
	s_waitcnt lgkmcnt(0)
	v_mul_f64 v[97:98], v[95:96], v[99:100]
	v_fma_f64 v[97:98], v[93:94], v[125:126], -v[97:98]
	v_mul_f64 v[93:94], v[93:94], v[99:100]
	v_fma_f64 v[93:94], v[95:96], v[125:126], v[93:94]
	s_waitcnt vmcnt(2)
	v_add_f64 v[81:82], v[81:82], -v[97:98]
	s_waitcnt vmcnt(0)
	v_add_f64 v[83:84], v[83:84], -v[93:94]
	buffer_store_dword v81, off, s[24:27], 0 ; 4-byte Folded Spill
	s_nop 0
	buffer_store_dword v82, off, s[24:27], 0 offset:4 ; 4-byte Folded Spill
	buffer_store_dword v83, off, s[24:27], 0 offset:8 ; 4-byte Folded Spill
	buffer_store_dword v84, off, s[24:27], 0 offset:12 ; 4-byte Folded Spill
	ds_read2_b64 v[93:96], v90 offset0:52 offset1:53
	s_waitcnt lgkmcnt(0)
	v_mul_f64 v[97:98], v[95:96], v[99:100]
	v_fma_f64 v[97:98], v[93:94], v[125:126], -v[97:98]
	v_mul_f64 v[93:94], v[93:94], v[99:100]
	v_add_f64 v[107:108], v[107:108], -v[97:98]
	v_fma_f64 v[93:94], v[95:96], v[125:126], v[93:94]
	v_add_f64 v[109:110], v[109:110], -v[93:94]
	ds_read2_b64 v[93:96], v90 offset0:54 offset1:55
	s_waitcnt lgkmcnt(0)
	v_mul_f64 v[97:98], v[95:96], v[99:100]
	v_fma_f64 v[97:98], v[93:94], v[125:126], -v[97:98]
	v_mul_f64 v[93:94], v[93:94], v[99:100]
	v_add_f64 v[113:114], v[113:114], -v[97:98]
	v_fma_f64 v[93:94], v[95:96], v[125:126], v[93:94]
	v_add_f64 v[115:116], v[115:116], -v[93:94]
	;; [unrolled: 8-line block ×23, first 2 shown]
	ds_read2_b64 v[93:96], v90 offset0:98 offset1:99
	s_waitcnt lgkmcnt(0)
	v_mul_f64 v[97:98], v[95:96], v[99:100]
	v_fma_f64 v[97:98], v[93:94], v[125:126], -v[97:98]
	v_mul_f64 v[93:94], v[93:94], v[99:100]
	v_add_f64 v[121:122], v[121:122], -v[97:98]
	v_fma_f64 v[93:94], v[95:96], v[125:126], v[93:94]
	v_mov_b32_e32 v97, v125
	v_mov_b32_e32 v98, v126
	buffer_store_dword v97, off, s[24:27], 0 offset:144 ; 4-byte Folded Spill
	s_nop 0
	buffer_store_dword v98, off, s[24:27], 0 offset:148 ; 4-byte Folded Spill
	buffer_store_dword v99, off, s[24:27], 0 offset:152 ; 4-byte Folded Spill
	;; [unrolled: 1-line block ×3, first 2 shown]
	v_add_f64 v[123:124], v[123:124], -v[93:94]
.LBB98_356:
	s_or_b64 exec, exec, s[0:1]
	s_waitcnt vmcnt(0)
	s_barrier
	buffer_load_dword v81, off, s[24:27], 0 offset:128 ; 4-byte Folded Reload
	buffer_load_dword v82, off, s[24:27], 0 offset:132 ; 4-byte Folded Reload
	buffer_load_dword v83, off, s[24:27], 0 offset:136 ; 4-byte Folded Reload
	buffer_load_dword v84, off, s[24:27], 0 offset:140 ; 4-byte Folded Reload
	v_lshl_add_u32 v93, v92, 4, v90
	s_cmp_lt_i32 s3, 19
	s_waitcnt vmcnt(0)
	ds_write2_b64 v93, v[81:82], v[83:84] offset1:1
	s_waitcnt lgkmcnt(0)
	s_barrier
	ds_read2_b64 v[117:120], v90 offset0:34 offset1:35
	v_mov_b32_e32 v93, 17
	s_cbranch_scc1 .LBB98_359
; %bb.357:
	v_add_u32_e32 v94, 0x120, v90
	s_mov_b32 s0, 18
	v_mov_b32_e32 v93, 17
.LBB98_358:                             ; =>This Inner Loop Header: Depth=1
	s_waitcnt lgkmcnt(0)
	v_cmp_gt_f64_e32 vcc, 0, v[117:118]
	v_xor_b32_e32 v99, 0x80000000, v118
	ds_read2_b64 v[95:98], v94 offset1:1
	v_xor_b32_e32 v101, 0x80000000, v120
	v_add_u32_e32 v94, 16, v94
	s_waitcnt lgkmcnt(0)
	v_xor_b32_e32 v103, 0x80000000, v98
	v_cndmask_b32_e32 v100, v118, v99, vcc
	v_cmp_gt_f64_e32 vcc, 0, v[119:120]
	v_mov_b32_e32 v99, v117
	v_cndmask_b32_e32 v102, v120, v101, vcc
	v_cmp_gt_f64_e32 vcc, 0, v[95:96]
	v_mov_b32_e32 v101, v119
	v_add_f64 v[99:100], v[99:100], v[101:102]
	v_xor_b32_e32 v101, 0x80000000, v96
	v_cndmask_b32_e32 v102, v96, v101, vcc
	v_cmp_gt_f64_e32 vcc, 0, v[97:98]
	v_mov_b32_e32 v101, v95
	v_cndmask_b32_e32 v104, v98, v103, vcc
	v_mov_b32_e32 v103, v97
	v_add_f64 v[101:102], v[101:102], v[103:104]
	v_cmp_lt_f64_e32 vcc, v[99:100], v[101:102]
	v_cndmask_b32_e32 v117, v117, v95, vcc
	v_mov_b32_e32 v95, s0
	s_add_i32 s0, s0, 1
	v_cndmask_b32_e32 v118, v118, v96, vcc
	v_cndmask_b32_e32 v120, v120, v98, vcc
	;; [unrolled: 1-line block ×4, first 2 shown]
	s_cmp_lg_u32 s3, s0
	s_cbranch_scc1 .LBB98_358
.LBB98_359:
	s_waitcnt lgkmcnt(0)
	v_cmp_eq_f64_e32 vcc, 0, v[117:118]
	v_cmp_eq_f64_e64 s[0:1], 0, v[119:120]
	s_and_b64 s[0:1], vcc, s[0:1]
	s_and_saveexec_b64 s[18:19], s[0:1]
	s_xor_b64 s[0:1], exec, s[18:19]
; %bb.360:
	v_cmp_ne_u32_e32 vcc, 0, v91
	v_cndmask_b32_e32 v91, 18, v91, vcc
; %bb.361:
	s_andn2_saveexec_b64 s[0:1], s[0:1]
	s_cbranch_execz .LBB98_367
; %bb.362:
	v_cmp_ngt_f64_e64 s[18:19], |v[117:118]|, |v[119:120]|
	s_and_saveexec_b64 s[20:21], s[18:19]
	s_xor_b64 s[18:19], exec, s[20:21]
	s_cbranch_execz .LBB98_364
; %bb.363:
	v_div_scale_f64 v[94:95], s[20:21], v[119:120], v[119:120], v[117:118]
	v_rcp_f64_e32 v[96:97], v[94:95]
	v_fma_f64 v[98:99], -v[94:95], v[96:97], 1.0
	v_fma_f64 v[96:97], v[96:97], v[98:99], v[96:97]
	v_div_scale_f64 v[98:99], vcc, v[117:118], v[119:120], v[117:118]
	v_fma_f64 v[100:101], -v[94:95], v[96:97], 1.0
	v_fma_f64 v[96:97], v[96:97], v[100:101], v[96:97]
	v_mul_f64 v[100:101], v[98:99], v[96:97]
	v_fma_f64 v[94:95], -v[94:95], v[100:101], v[98:99]
	v_div_fmas_f64 v[94:95], v[94:95], v[96:97], v[100:101]
	v_div_fixup_f64 v[94:95], v[94:95], v[119:120], v[117:118]
	v_fma_f64 v[96:97], v[117:118], v[94:95], v[119:120]
	v_div_scale_f64 v[98:99], s[20:21], v[96:97], v[96:97], 1.0
	v_div_scale_f64 v[104:105], vcc, 1.0, v[96:97], 1.0
	v_rcp_f64_e32 v[100:101], v[98:99]
	v_fma_f64 v[102:103], -v[98:99], v[100:101], 1.0
	v_fma_f64 v[100:101], v[100:101], v[102:103], v[100:101]
	v_fma_f64 v[102:103], -v[98:99], v[100:101], 1.0
	v_fma_f64 v[100:101], v[100:101], v[102:103], v[100:101]
	v_mul_f64 v[102:103], v[104:105], v[100:101]
	v_fma_f64 v[98:99], -v[98:99], v[102:103], v[104:105]
	v_div_fmas_f64 v[98:99], v[98:99], v[100:101], v[102:103]
	v_div_fixup_f64 v[119:120], v[98:99], v[96:97], 1.0
	v_mul_f64 v[117:118], v[94:95], v[119:120]
	v_xor_b32_e32 v120, 0x80000000, v120
.LBB98_364:
	s_andn2_saveexec_b64 s[18:19], s[18:19]
	s_cbranch_execz .LBB98_366
; %bb.365:
	v_div_scale_f64 v[94:95], s[20:21], v[117:118], v[117:118], v[119:120]
	v_rcp_f64_e32 v[96:97], v[94:95]
	v_fma_f64 v[98:99], -v[94:95], v[96:97], 1.0
	v_fma_f64 v[96:97], v[96:97], v[98:99], v[96:97]
	v_div_scale_f64 v[98:99], vcc, v[119:120], v[117:118], v[119:120]
	v_fma_f64 v[100:101], -v[94:95], v[96:97], 1.0
	v_fma_f64 v[96:97], v[96:97], v[100:101], v[96:97]
	v_mul_f64 v[100:101], v[98:99], v[96:97]
	v_fma_f64 v[94:95], -v[94:95], v[100:101], v[98:99]
	v_div_fmas_f64 v[94:95], v[94:95], v[96:97], v[100:101]
	v_div_fixup_f64 v[94:95], v[94:95], v[117:118], v[119:120]
	v_fma_f64 v[96:97], v[119:120], v[94:95], v[117:118]
	v_div_scale_f64 v[98:99], s[20:21], v[96:97], v[96:97], 1.0
	v_div_scale_f64 v[104:105], vcc, 1.0, v[96:97], 1.0
	v_rcp_f64_e32 v[100:101], v[98:99]
	v_fma_f64 v[102:103], -v[98:99], v[100:101], 1.0
	v_fma_f64 v[100:101], v[100:101], v[102:103], v[100:101]
	v_fma_f64 v[102:103], -v[98:99], v[100:101], 1.0
	v_fma_f64 v[100:101], v[100:101], v[102:103], v[100:101]
	v_mul_f64 v[102:103], v[104:105], v[100:101]
	v_fma_f64 v[98:99], -v[98:99], v[102:103], v[104:105]
	v_div_fmas_f64 v[98:99], v[98:99], v[100:101], v[102:103]
	v_div_fixup_f64 v[117:118], v[98:99], v[96:97], 1.0
	v_mul_f64 v[119:120], v[94:95], -v[117:118]
.LBB98_366:
	s_or_b64 exec, exec, s[18:19]
.LBB98_367:
	s_or_b64 exec, exec, s[0:1]
	v_cmp_ne_u32_e32 vcc, v92, v93
	s_and_saveexec_b64 s[0:1], vcc
	s_xor_b64 s[0:1], exec, s[0:1]
	s_cbranch_execz .LBB98_373
; %bb.368:
	v_cmp_eq_u32_e32 vcc, 17, v92
	s_and_saveexec_b64 s[18:19], vcc
	s_cbranch_execz .LBB98_372
; %bb.369:
	v_cmp_ne_u32_e32 vcc, 17, v93
	s_xor_b64 s[20:21], s[6:7], -1
	s_and_b64 s[22:23], s[20:21], vcc
	s_and_saveexec_b64 s[20:21], s[22:23]
	s_cbranch_execz .LBB98_371
; %bb.370:
	buffer_load_dword v81, off, s[24:27], 0 offset:368 ; 4-byte Folded Reload
	buffer_load_dword v82, off, s[24:27], 0 offset:372 ; 4-byte Folded Reload
	v_ashrrev_i32_e32 v94, 31, v93
	v_lshlrev_b64 v[94:95], 2, v[93:94]
	s_waitcnt vmcnt(1)
	v_add_co_u32_e32 v94, vcc, v81, v94
	s_waitcnt vmcnt(0)
	v_addc_co_u32_e32 v95, vcc, v82, v95, vcc
	global_load_dword v0, v[94:95], off
	global_load_dword v92, v[81:82], off offset:68
	s_waitcnt vmcnt(1)
	global_store_dword v[81:82], v0, off offset:68
	s_waitcnt vmcnt(1)
	global_store_dword v[94:95], v92, off
.LBB98_371:
	s_or_b64 exec, exec, s[20:21]
	v_mov_b32_e32 v92, v93
	v_mov_b32_e32 v0, v93
.LBB98_372:
	s_or_b64 exec, exec, s[18:19]
.LBB98_373:
	s_andn2_saveexec_b64 s[0:1], s[0:1]
	s_cbranch_execz .LBB98_375
; %bb.374:
	buffer_load_dword v81, off, s[24:27], 0 offset:112 ; 4-byte Folded Reload
	buffer_load_dword v82, off, s[24:27], 0 offset:116 ; 4-byte Folded Reload
	;; [unrolled: 1-line block ×4, first 2 shown]
	v_mov_b32_e32 v92, 17
	s_waitcnt vmcnt(0)
	ds_write2_b64 v90, v[81:82], v[83:84] offset0:36 offset1:37
	buffer_load_dword v81, off, s[24:27], 0 offset:96 ; 4-byte Folded Reload
	buffer_load_dword v82, off, s[24:27], 0 offset:100 ; 4-byte Folded Reload
	buffer_load_dword v83, off, s[24:27], 0 offset:104 ; 4-byte Folded Reload
	buffer_load_dword v84, off, s[24:27], 0 offset:108 ; 4-byte Folded Reload
	s_waitcnt vmcnt(0)
	ds_write2_b64 v90, v[81:82], v[83:84] offset0:38 offset1:39
	buffer_load_dword v81, off, s[24:27], 0 offset:80 ; 4-byte Folded Reload
	buffer_load_dword v82, off, s[24:27], 0 offset:84 ; 4-byte Folded Reload
	buffer_load_dword v83, off, s[24:27], 0 offset:88 ; 4-byte Folded Reload
	buffer_load_dword v84, off, s[24:27], 0 offset:92 ; 4-byte Folded Reload
	;; [unrolled: 6-line block ×6, first 2 shown]
	s_waitcnt vmcnt(0)
	ds_write2_b64 v90, v[81:82], v[83:84] offset0:48 offset1:49
	buffer_load_dword v81, off, s[24:27], 0 ; 4-byte Folded Reload
	buffer_load_dword v82, off, s[24:27], 0 offset:4 ; 4-byte Folded Reload
	buffer_load_dword v83, off, s[24:27], 0 offset:8 ; 4-byte Folded Reload
	;; [unrolled: 1-line block ×3, first 2 shown]
	s_waitcnt vmcnt(0)
	ds_write2_b64 v90, v[81:82], v[83:84] offset0:50 offset1:51
	ds_write2_b64 v90, v[107:108], v[109:110] offset0:52 offset1:53
	ds_write2_b64 v90, v[113:114], v[115:116] offset0:54 offset1:55
	ds_write2_b64 v90, v[85:86], v[87:88] offset0:56 offset1:57
	ds_write2_b64 v90, v[77:78], v[79:80] offset0:58 offset1:59
	ds_write2_b64 v90, v[73:74], v[75:76] offset0:60 offset1:61
	ds_write2_b64 v90, v[69:70], v[71:72] offset0:62 offset1:63
	ds_write2_b64 v90, v[65:66], v[67:68] offset0:64 offset1:65
	ds_write2_b64 v90, v[61:62], v[63:64] offset0:66 offset1:67
	ds_write2_b64 v90, v[57:58], v[59:60] offset0:68 offset1:69
	ds_write2_b64 v90, v[53:54], v[55:56] offset0:70 offset1:71
	ds_write2_b64 v90, v[49:50], v[51:52] offset0:72 offset1:73
	ds_write2_b64 v90, v[45:46], v[47:48] offset0:74 offset1:75
	ds_write2_b64 v90, v[41:42], v[43:44] offset0:76 offset1:77
	ds_write2_b64 v90, v[37:38], v[39:40] offset0:78 offset1:79
	ds_write2_b64 v90, v[33:34], v[35:36] offset0:80 offset1:81
	ds_write2_b64 v90, v[29:30], v[31:32] offset0:82 offset1:83
	ds_write2_b64 v90, v[25:26], v[27:28] offset0:84 offset1:85
	ds_write2_b64 v90, v[21:22], v[23:24] offset0:86 offset1:87
	ds_write2_b64 v90, v[17:18], v[19:20] offset0:88 offset1:89
	ds_write2_b64 v90, v[13:14], v[15:16] offset0:90 offset1:91
	ds_write2_b64 v90, v[9:10], v[11:12] offset0:92 offset1:93
	ds_write2_b64 v90, v[5:6], v[7:8] offset0:94 offset1:95
	ds_write2_b64 v90, v[1:2], v[3:4] offset0:96 offset1:97
	ds_write2_b64 v90, v[121:122], v[123:124] offset0:98 offset1:99
.LBB98_375:
	s_or_b64 exec, exec, s[0:1]
	v_cmp_lt_i32_e32 vcc, 17, v92
	s_waitcnt vmcnt(0) lgkmcnt(0)
	s_barrier
	s_and_saveexec_b64 s[0:1], vcc
	s_cbranch_execz .LBB98_377
; %bb.376:
	buffer_load_dword v97, off, s[24:27], 0 offset:128 ; 4-byte Folded Reload
	buffer_load_dword v98, off, s[24:27], 0 offset:132 ; 4-byte Folded Reload
	;; [unrolled: 1-line block ×4, first 2 shown]
	s_waitcnt vmcnt(0)
	v_mul_f64 v[93:94], v[119:120], v[99:100]
	v_fma_f64 v[125:126], v[117:118], v[97:98], -v[93:94]
	v_mul_f64 v[93:94], v[117:118], v[99:100]
	v_fma_f64 v[99:100], v[119:120], v[97:98], v[93:94]
	ds_read2_b64 v[93:96], v90 offset0:36 offset1:37
	buffer_load_dword v81, off, s[24:27], 0 offset:112 ; 4-byte Folded Reload
	buffer_load_dword v82, off, s[24:27], 0 offset:116 ; 4-byte Folded Reload
	buffer_load_dword v83, off, s[24:27], 0 offset:120 ; 4-byte Folded Reload
	buffer_load_dword v84, off, s[24:27], 0 offset:124 ; 4-byte Folded Reload
	s_waitcnt lgkmcnt(0)
	v_mul_f64 v[97:98], v[95:96], v[99:100]
	v_fma_f64 v[97:98], v[93:94], v[125:126], -v[97:98]
	v_mul_f64 v[93:94], v[93:94], v[99:100]
	v_fma_f64 v[93:94], v[95:96], v[125:126], v[93:94]
	s_waitcnt vmcnt(2)
	v_add_f64 v[81:82], v[81:82], -v[97:98]
	s_waitcnt vmcnt(0)
	v_add_f64 v[83:84], v[83:84], -v[93:94]
	buffer_store_dword v81, off, s[24:27], 0 offset:112 ; 4-byte Folded Spill
	s_nop 0
	buffer_store_dword v82, off, s[24:27], 0 offset:116 ; 4-byte Folded Spill
	buffer_store_dword v83, off, s[24:27], 0 offset:120 ; 4-byte Folded Spill
	buffer_store_dword v84, off, s[24:27], 0 offset:124 ; 4-byte Folded Spill
	ds_read2_b64 v[93:96], v90 offset0:38 offset1:39
	buffer_load_dword v81, off, s[24:27], 0 offset:96 ; 4-byte Folded Reload
	buffer_load_dword v82, off, s[24:27], 0 offset:100 ; 4-byte Folded Reload
	buffer_load_dword v83, off, s[24:27], 0 offset:104 ; 4-byte Folded Reload
	buffer_load_dword v84, off, s[24:27], 0 offset:108 ; 4-byte Folded Reload
	s_waitcnt lgkmcnt(0)
	v_mul_f64 v[97:98], v[95:96], v[99:100]
	v_fma_f64 v[97:98], v[93:94], v[125:126], -v[97:98]
	v_mul_f64 v[93:94], v[93:94], v[99:100]
	v_fma_f64 v[93:94], v[95:96], v[125:126], v[93:94]
	s_waitcnt vmcnt(2)
	v_add_f64 v[81:82], v[81:82], -v[97:98]
	s_waitcnt vmcnt(0)
	v_add_f64 v[83:84], v[83:84], -v[93:94]
	buffer_store_dword v81, off, s[24:27], 0 offset:96 ; 4-byte Folded Spill
	s_nop 0
	buffer_store_dword v82, off, s[24:27], 0 offset:100 ; 4-byte Folded Spill
	buffer_store_dword v83, off, s[24:27], 0 offset:104 ; 4-byte Folded Spill
	buffer_store_dword v84, off, s[24:27], 0 offset:108 ; 4-byte Folded Spill
	ds_read2_b64 v[93:96], v90 offset0:40 offset1:41
	buffer_load_dword v81, off, s[24:27], 0 offset:80 ; 4-byte Folded Reload
	buffer_load_dword v82, off, s[24:27], 0 offset:84 ; 4-byte Folded Reload
	buffer_load_dword v83, off, s[24:27], 0 offset:88 ; 4-byte Folded Reload
	buffer_load_dword v84, off, s[24:27], 0 offset:92 ; 4-byte Folded Reload
	s_waitcnt lgkmcnt(0)
	v_mul_f64 v[97:98], v[95:96], v[99:100]
	v_fma_f64 v[97:98], v[93:94], v[125:126], -v[97:98]
	v_mul_f64 v[93:94], v[93:94], v[99:100]
	v_fma_f64 v[93:94], v[95:96], v[125:126], v[93:94]
	s_waitcnt vmcnt(2)
	v_add_f64 v[81:82], v[81:82], -v[97:98]
	s_waitcnt vmcnt(0)
	v_add_f64 v[83:84], v[83:84], -v[93:94]
	buffer_store_dword v81, off, s[24:27], 0 offset:80 ; 4-byte Folded Spill
	s_nop 0
	buffer_store_dword v82, off, s[24:27], 0 offset:84 ; 4-byte Folded Spill
	buffer_store_dword v83, off, s[24:27], 0 offset:88 ; 4-byte Folded Spill
	buffer_store_dword v84, off, s[24:27], 0 offset:92 ; 4-byte Folded Spill
	ds_read2_b64 v[93:96], v90 offset0:42 offset1:43
	buffer_load_dword v81, off, s[24:27], 0 offset:64 ; 4-byte Folded Reload
	buffer_load_dword v82, off, s[24:27], 0 offset:68 ; 4-byte Folded Reload
	buffer_load_dword v83, off, s[24:27], 0 offset:72 ; 4-byte Folded Reload
	buffer_load_dword v84, off, s[24:27], 0 offset:76 ; 4-byte Folded Reload
	s_waitcnt lgkmcnt(0)
	v_mul_f64 v[97:98], v[95:96], v[99:100]
	v_fma_f64 v[97:98], v[93:94], v[125:126], -v[97:98]
	v_mul_f64 v[93:94], v[93:94], v[99:100]
	v_fma_f64 v[93:94], v[95:96], v[125:126], v[93:94]
	s_waitcnt vmcnt(2)
	v_add_f64 v[81:82], v[81:82], -v[97:98]
	s_waitcnt vmcnt(0)
	v_add_f64 v[83:84], v[83:84], -v[93:94]
	buffer_store_dword v81, off, s[24:27], 0 offset:64 ; 4-byte Folded Spill
	s_nop 0
	buffer_store_dword v82, off, s[24:27], 0 offset:68 ; 4-byte Folded Spill
	buffer_store_dword v83, off, s[24:27], 0 offset:72 ; 4-byte Folded Spill
	buffer_store_dword v84, off, s[24:27], 0 offset:76 ; 4-byte Folded Spill
	ds_read2_b64 v[93:96], v90 offset0:44 offset1:45
	buffer_load_dword v81, off, s[24:27], 0 offset:48 ; 4-byte Folded Reload
	buffer_load_dword v82, off, s[24:27], 0 offset:52 ; 4-byte Folded Reload
	buffer_load_dword v83, off, s[24:27], 0 offset:56 ; 4-byte Folded Reload
	buffer_load_dword v84, off, s[24:27], 0 offset:60 ; 4-byte Folded Reload
	s_waitcnt lgkmcnt(0)
	v_mul_f64 v[97:98], v[95:96], v[99:100]
	v_fma_f64 v[97:98], v[93:94], v[125:126], -v[97:98]
	v_mul_f64 v[93:94], v[93:94], v[99:100]
	v_fma_f64 v[93:94], v[95:96], v[125:126], v[93:94]
	s_waitcnt vmcnt(2)
	v_add_f64 v[81:82], v[81:82], -v[97:98]
	s_waitcnt vmcnt(0)
	v_add_f64 v[83:84], v[83:84], -v[93:94]
	buffer_store_dword v81, off, s[24:27], 0 offset:48 ; 4-byte Folded Spill
	s_nop 0
	buffer_store_dword v82, off, s[24:27], 0 offset:52 ; 4-byte Folded Spill
	buffer_store_dword v83, off, s[24:27], 0 offset:56 ; 4-byte Folded Spill
	buffer_store_dword v84, off, s[24:27], 0 offset:60 ; 4-byte Folded Spill
	ds_read2_b64 v[93:96], v90 offset0:46 offset1:47
	buffer_load_dword v81, off, s[24:27], 0 offset:32 ; 4-byte Folded Reload
	buffer_load_dword v82, off, s[24:27], 0 offset:36 ; 4-byte Folded Reload
	buffer_load_dword v83, off, s[24:27], 0 offset:40 ; 4-byte Folded Reload
	buffer_load_dword v84, off, s[24:27], 0 offset:44 ; 4-byte Folded Reload
	s_waitcnt lgkmcnt(0)
	v_mul_f64 v[97:98], v[95:96], v[99:100]
	v_fma_f64 v[97:98], v[93:94], v[125:126], -v[97:98]
	v_mul_f64 v[93:94], v[93:94], v[99:100]
	v_fma_f64 v[93:94], v[95:96], v[125:126], v[93:94]
	s_waitcnt vmcnt(2)
	v_add_f64 v[81:82], v[81:82], -v[97:98]
	s_waitcnt vmcnt(0)
	v_add_f64 v[83:84], v[83:84], -v[93:94]
	buffer_store_dword v81, off, s[24:27], 0 offset:32 ; 4-byte Folded Spill
	s_nop 0
	buffer_store_dword v82, off, s[24:27], 0 offset:36 ; 4-byte Folded Spill
	buffer_store_dword v83, off, s[24:27], 0 offset:40 ; 4-byte Folded Spill
	buffer_store_dword v84, off, s[24:27], 0 offset:44 ; 4-byte Folded Spill
	ds_read2_b64 v[93:96], v90 offset0:48 offset1:49
	buffer_load_dword v81, off, s[24:27], 0 offset:16 ; 4-byte Folded Reload
	buffer_load_dword v82, off, s[24:27], 0 offset:20 ; 4-byte Folded Reload
	buffer_load_dword v83, off, s[24:27], 0 offset:24 ; 4-byte Folded Reload
	buffer_load_dword v84, off, s[24:27], 0 offset:28 ; 4-byte Folded Reload
	s_waitcnt lgkmcnt(0)
	v_mul_f64 v[97:98], v[95:96], v[99:100]
	v_fma_f64 v[97:98], v[93:94], v[125:126], -v[97:98]
	v_mul_f64 v[93:94], v[93:94], v[99:100]
	v_fma_f64 v[93:94], v[95:96], v[125:126], v[93:94]
	s_waitcnt vmcnt(2)
	v_add_f64 v[81:82], v[81:82], -v[97:98]
	s_waitcnt vmcnt(0)
	v_add_f64 v[83:84], v[83:84], -v[93:94]
	buffer_store_dword v81, off, s[24:27], 0 offset:16 ; 4-byte Folded Spill
	s_nop 0
	buffer_store_dword v82, off, s[24:27], 0 offset:20 ; 4-byte Folded Spill
	buffer_store_dword v83, off, s[24:27], 0 offset:24 ; 4-byte Folded Spill
	buffer_store_dword v84, off, s[24:27], 0 offset:28 ; 4-byte Folded Spill
	ds_read2_b64 v[93:96], v90 offset0:50 offset1:51
	buffer_load_dword v81, off, s[24:27], 0 ; 4-byte Folded Reload
	buffer_load_dword v82, off, s[24:27], 0 offset:4 ; 4-byte Folded Reload
	buffer_load_dword v83, off, s[24:27], 0 offset:8 ; 4-byte Folded Reload
	;; [unrolled: 1-line block ×3, first 2 shown]
	s_waitcnt lgkmcnt(0)
	v_mul_f64 v[97:98], v[95:96], v[99:100]
	v_fma_f64 v[97:98], v[93:94], v[125:126], -v[97:98]
	v_mul_f64 v[93:94], v[93:94], v[99:100]
	v_fma_f64 v[93:94], v[95:96], v[125:126], v[93:94]
	s_waitcnt vmcnt(2)
	v_add_f64 v[81:82], v[81:82], -v[97:98]
	s_waitcnt vmcnt(0)
	v_add_f64 v[83:84], v[83:84], -v[93:94]
	buffer_store_dword v81, off, s[24:27], 0 ; 4-byte Folded Spill
	s_nop 0
	buffer_store_dword v82, off, s[24:27], 0 offset:4 ; 4-byte Folded Spill
	buffer_store_dword v83, off, s[24:27], 0 offset:8 ; 4-byte Folded Spill
	;; [unrolled: 1-line block ×3, first 2 shown]
	ds_read2_b64 v[93:96], v90 offset0:52 offset1:53
	s_waitcnt lgkmcnt(0)
	v_mul_f64 v[97:98], v[95:96], v[99:100]
	v_fma_f64 v[97:98], v[93:94], v[125:126], -v[97:98]
	v_mul_f64 v[93:94], v[93:94], v[99:100]
	v_add_f64 v[107:108], v[107:108], -v[97:98]
	v_fma_f64 v[93:94], v[95:96], v[125:126], v[93:94]
	v_add_f64 v[109:110], v[109:110], -v[93:94]
	ds_read2_b64 v[93:96], v90 offset0:54 offset1:55
	s_waitcnt lgkmcnt(0)
	v_mul_f64 v[97:98], v[95:96], v[99:100]
	v_fma_f64 v[97:98], v[93:94], v[125:126], -v[97:98]
	v_mul_f64 v[93:94], v[93:94], v[99:100]
	v_add_f64 v[113:114], v[113:114], -v[97:98]
	v_fma_f64 v[93:94], v[95:96], v[125:126], v[93:94]
	v_add_f64 v[115:116], v[115:116], -v[93:94]
	;; [unrolled: 8-line block ×23, first 2 shown]
	ds_read2_b64 v[93:96], v90 offset0:98 offset1:99
	s_waitcnt lgkmcnt(0)
	v_mul_f64 v[97:98], v[95:96], v[99:100]
	v_fma_f64 v[97:98], v[93:94], v[125:126], -v[97:98]
	v_mul_f64 v[93:94], v[93:94], v[99:100]
	v_add_f64 v[121:122], v[121:122], -v[97:98]
	v_fma_f64 v[93:94], v[95:96], v[125:126], v[93:94]
	v_mov_b32_e32 v97, v125
	v_mov_b32_e32 v98, v126
	buffer_store_dword v97, off, s[24:27], 0 offset:128 ; 4-byte Folded Spill
	s_nop 0
	buffer_store_dword v98, off, s[24:27], 0 offset:132 ; 4-byte Folded Spill
	buffer_store_dword v99, off, s[24:27], 0 offset:136 ; 4-byte Folded Spill
	buffer_store_dword v100, off, s[24:27], 0 offset:140 ; 4-byte Folded Spill
	v_add_f64 v[123:124], v[123:124], -v[93:94]
.LBB98_377:
	s_or_b64 exec, exec, s[0:1]
	s_waitcnt vmcnt(0)
	s_barrier
	buffer_load_dword v81, off, s[24:27], 0 offset:112 ; 4-byte Folded Reload
	buffer_load_dword v82, off, s[24:27], 0 offset:116 ; 4-byte Folded Reload
	;; [unrolled: 1-line block ×4, first 2 shown]
	v_lshl_add_u32 v93, v92, 4, v90
	s_cmp_lt_i32 s3, 20
	s_waitcnt vmcnt(0)
	ds_write2_b64 v93, v[81:82], v[83:84] offset1:1
	s_waitcnt lgkmcnt(0)
	s_barrier
	ds_read2_b64 v[117:120], v90 offset0:36 offset1:37
	v_mov_b32_e32 v93, 18
	s_cbranch_scc1 .LBB98_380
; %bb.378:
	v_add_u32_e32 v94, 0x130, v90
	s_mov_b32 s0, 19
	v_mov_b32_e32 v93, 18
.LBB98_379:                             ; =>This Inner Loop Header: Depth=1
	s_waitcnt lgkmcnt(0)
	v_cmp_gt_f64_e32 vcc, 0, v[117:118]
	v_xor_b32_e32 v99, 0x80000000, v118
	ds_read2_b64 v[95:98], v94 offset1:1
	v_xor_b32_e32 v101, 0x80000000, v120
	v_add_u32_e32 v94, 16, v94
	s_waitcnt lgkmcnt(0)
	v_xor_b32_e32 v103, 0x80000000, v98
	v_cndmask_b32_e32 v100, v118, v99, vcc
	v_cmp_gt_f64_e32 vcc, 0, v[119:120]
	v_mov_b32_e32 v99, v117
	v_cndmask_b32_e32 v102, v120, v101, vcc
	v_cmp_gt_f64_e32 vcc, 0, v[95:96]
	v_mov_b32_e32 v101, v119
	v_add_f64 v[99:100], v[99:100], v[101:102]
	v_xor_b32_e32 v101, 0x80000000, v96
	v_cndmask_b32_e32 v102, v96, v101, vcc
	v_cmp_gt_f64_e32 vcc, 0, v[97:98]
	v_mov_b32_e32 v101, v95
	v_cndmask_b32_e32 v104, v98, v103, vcc
	v_mov_b32_e32 v103, v97
	v_add_f64 v[101:102], v[101:102], v[103:104]
	v_cmp_lt_f64_e32 vcc, v[99:100], v[101:102]
	v_cndmask_b32_e32 v117, v117, v95, vcc
	v_mov_b32_e32 v95, s0
	s_add_i32 s0, s0, 1
	v_cndmask_b32_e32 v118, v118, v96, vcc
	v_cndmask_b32_e32 v120, v120, v98, vcc
	;; [unrolled: 1-line block ×4, first 2 shown]
	s_cmp_lg_u32 s3, s0
	s_cbranch_scc1 .LBB98_379
.LBB98_380:
	s_waitcnt lgkmcnt(0)
	v_cmp_eq_f64_e32 vcc, 0, v[117:118]
	v_cmp_eq_f64_e64 s[0:1], 0, v[119:120]
	s_and_b64 s[0:1], vcc, s[0:1]
	s_and_saveexec_b64 s[18:19], s[0:1]
	s_xor_b64 s[0:1], exec, s[18:19]
; %bb.381:
	v_cmp_ne_u32_e32 vcc, 0, v91
	v_cndmask_b32_e32 v91, 19, v91, vcc
; %bb.382:
	s_andn2_saveexec_b64 s[0:1], s[0:1]
	s_cbranch_execz .LBB98_388
; %bb.383:
	v_cmp_ngt_f64_e64 s[18:19], |v[117:118]|, |v[119:120]|
	s_and_saveexec_b64 s[20:21], s[18:19]
	s_xor_b64 s[18:19], exec, s[20:21]
	s_cbranch_execz .LBB98_385
; %bb.384:
	v_div_scale_f64 v[94:95], s[20:21], v[119:120], v[119:120], v[117:118]
	v_rcp_f64_e32 v[96:97], v[94:95]
	v_fma_f64 v[98:99], -v[94:95], v[96:97], 1.0
	v_fma_f64 v[96:97], v[96:97], v[98:99], v[96:97]
	v_div_scale_f64 v[98:99], vcc, v[117:118], v[119:120], v[117:118]
	v_fma_f64 v[100:101], -v[94:95], v[96:97], 1.0
	v_fma_f64 v[96:97], v[96:97], v[100:101], v[96:97]
	v_mul_f64 v[100:101], v[98:99], v[96:97]
	v_fma_f64 v[94:95], -v[94:95], v[100:101], v[98:99]
	v_div_fmas_f64 v[94:95], v[94:95], v[96:97], v[100:101]
	v_div_fixup_f64 v[94:95], v[94:95], v[119:120], v[117:118]
	v_fma_f64 v[96:97], v[117:118], v[94:95], v[119:120]
	v_div_scale_f64 v[98:99], s[20:21], v[96:97], v[96:97], 1.0
	v_div_scale_f64 v[104:105], vcc, 1.0, v[96:97], 1.0
	v_rcp_f64_e32 v[100:101], v[98:99]
	v_fma_f64 v[102:103], -v[98:99], v[100:101], 1.0
	v_fma_f64 v[100:101], v[100:101], v[102:103], v[100:101]
	v_fma_f64 v[102:103], -v[98:99], v[100:101], 1.0
	v_fma_f64 v[100:101], v[100:101], v[102:103], v[100:101]
	v_mul_f64 v[102:103], v[104:105], v[100:101]
	v_fma_f64 v[98:99], -v[98:99], v[102:103], v[104:105]
	v_div_fmas_f64 v[98:99], v[98:99], v[100:101], v[102:103]
	v_div_fixup_f64 v[119:120], v[98:99], v[96:97], 1.0
	v_mul_f64 v[117:118], v[94:95], v[119:120]
	v_xor_b32_e32 v120, 0x80000000, v120
.LBB98_385:
	s_andn2_saveexec_b64 s[18:19], s[18:19]
	s_cbranch_execz .LBB98_387
; %bb.386:
	v_div_scale_f64 v[94:95], s[20:21], v[117:118], v[117:118], v[119:120]
	v_rcp_f64_e32 v[96:97], v[94:95]
	v_fma_f64 v[98:99], -v[94:95], v[96:97], 1.0
	v_fma_f64 v[96:97], v[96:97], v[98:99], v[96:97]
	v_div_scale_f64 v[98:99], vcc, v[119:120], v[117:118], v[119:120]
	v_fma_f64 v[100:101], -v[94:95], v[96:97], 1.0
	v_fma_f64 v[96:97], v[96:97], v[100:101], v[96:97]
	v_mul_f64 v[100:101], v[98:99], v[96:97]
	v_fma_f64 v[94:95], -v[94:95], v[100:101], v[98:99]
	v_div_fmas_f64 v[94:95], v[94:95], v[96:97], v[100:101]
	v_div_fixup_f64 v[94:95], v[94:95], v[117:118], v[119:120]
	v_fma_f64 v[96:97], v[119:120], v[94:95], v[117:118]
	v_div_scale_f64 v[98:99], s[20:21], v[96:97], v[96:97], 1.0
	v_div_scale_f64 v[104:105], vcc, 1.0, v[96:97], 1.0
	v_rcp_f64_e32 v[100:101], v[98:99]
	v_fma_f64 v[102:103], -v[98:99], v[100:101], 1.0
	v_fma_f64 v[100:101], v[100:101], v[102:103], v[100:101]
	v_fma_f64 v[102:103], -v[98:99], v[100:101], 1.0
	v_fma_f64 v[100:101], v[100:101], v[102:103], v[100:101]
	v_mul_f64 v[102:103], v[104:105], v[100:101]
	v_fma_f64 v[98:99], -v[98:99], v[102:103], v[104:105]
	v_div_fmas_f64 v[98:99], v[98:99], v[100:101], v[102:103]
	v_div_fixup_f64 v[117:118], v[98:99], v[96:97], 1.0
	v_mul_f64 v[119:120], v[94:95], -v[117:118]
.LBB98_387:
	s_or_b64 exec, exec, s[18:19]
.LBB98_388:
	s_or_b64 exec, exec, s[0:1]
	v_cmp_ne_u32_e32 vcc, v92, v93
	s_and_saveexec_b64 s[0:1], vcc
	s_xor_b64 s[0:1], exec, s[0:1]
	s_cbranch_execz .LBB98_394
; %bb.389:
	v_cmp_eq_u32_e32 vcc, 18, v92
	s_and_saveexec_b64 s[18:19], vcc
	s_cbranch_execz .LBB98_393
; %bb.390:
	v_cmp_ne_u32_e32 vcc, 18, v93
	s_xor_b64 s[20:21], s[6:7], -1
	s_and_b64 s[22:23], s[20:21], vcc
	s_and_saveexec_b64 s[20:21], s[22:23]
	s_cbranch_execz .LBB98_392
; %bb.391:
	buffer_load_dword v81, off, s[24:27], 0 offset:368 ; 4-byte Folded Reload
	buffer_load_dword v82, off, s[24:27], 0 offset:372 ; 4-byte Folded Reload
	v_ashrrev_i32_e32 v94, 31, v93
	v_lshlrev_b64 v[94:95], 2, v[93:94]
	s_waitcnt vmcnt(1)
	v_add_co_u32_e32 v94, vcc, v81, v94
	s_waitcnt vmcnt(0)
	v_addc_co_u32_e32 v95, vcc, v82, v95, vcc
	global_load_dword v0, v[94:95], off
	global_load_dword v92, v[81:82], off offset:72
	s_waitcnt vmcnt(1)
	global_store_dword v[81:82], v0, off offset:72
	s_waitcnt vmcnt(1)
	global_store_dword v[94:95], v92, off
.LBB98_392:
	s_or_b64 exec, exec, s[20:21]
	v_mov_b32_e32 v92, v93
	v_mov_b32_e32 v0, v93
.LBB98_393:
	s_or_b64 exec, exec, s[18:19]
.LBB98_394:
	s_andn2_saveexec_b64 s[0:1], s[0:1]
	s_cbranch_execz .LBB98_396
; %bb.395:
	buffer_load_dword v81, off, s[24:27], 0 offset:96 ; 4-byte Folded Reload
	buffer_load_dword v82, off, s[24:27], 0 offset:100 ; 4-byte Folded Reload
	;; [unrolled: 1-line block ×4, first 2 shown]
	v_mov_b32_e32 v92, 18
	s_waitcnt vmcnt(0)
	ds_write2_b64 v90, v[81:82], v[83:84] offset0:38 offset1:39
	buffer_load_dword v81, off, s[24:27], 0 offset:80 ; 4-byte Folded Reload
	buffer_load_dword v82, off, s[24:27], 0 offset:84 ; 4-byte Folded Reload
	buffer_load_dword v83, off, s[24:27], 0 offset:88 ; 4-byte Folded Reload
	buffer_load_dword v84, off, s[24:27], 0 offset:92 ; 4-byte Folded Reload
	s_waitcnt vmcnt(0)
	ds_write2_b64 v90, v[81:82], v[83:84] offset0:40 offset1:41
	buffer_load_dword v81, off, s[24:27], 0 offset:64 ; 4-byte Folded Reload
	buffer_load_dword v82, off, s[24:27], 0 offset:68 ; 4-byte Folded Reload
	buffer_load_dword v83, off, s[24:27], 0 offset:72 ; 4-byte Folded Reload
	buffer_load_dword v84, off, s[24:27], 0 offset:76 ; 4-byte Folded Reload
	;; [unrolled: 6-line block ×5, first 2 shown]
	s_waitcnt vmcnt(0)
	ds_write2_b64 v90, v[81:82], v[83:84] offset0:48 offset1:49
	buffer_load_dword v81, off, s[24:27], 0 ; 4-byte Folded Reload
	buffer_load_dword v82, off, s[24:27], 0 offset:4 ; 4-byte Folded Reload
	buffer_load_dword v83, off, s[24:27], 0 offset:8 ; 4-byte Folded Reload
	;; [unrolled: 1-line block ×3, first 2 shown]
	s_waitcnt vmcnt(0)
	ds_write2_b64 v90, v[81:82], v[83:84] offset0:50 offset1:51
	ds_write2_b64 v90, v[107:108], v[109:110] offset0:52 offset1:53
	;; [unrolled: 1-line block ×25, first 2 shown]
.LBB98_396:
	s_or_b64 exec, exec, s[0:1]
	v_cmp_lt_i32_e32 vcc, 18, v92
	s_waitcnt vmcnt(0) lgkmcnt(0)
	s_barrier
	s_and_saveexec_b64 s[0:1], vcc
	s_cbranch_execz .LBB98_398
; %bb.397:
	buffer_load_dword v101, off, s[24:27], 0 offset:112 ; 4-byte Folded Reload
	buffer_load_dword v102, off, s[24:27], 0 offset:116 ; 4-byte Folded Reload
	;; [unrolled: 1-line block ×4, first 2 shown]
	v_mov_b32_e32 v81, v107
	v_mov_b32_e32 v82, v108
	;; [unrolled: 1-line block ×4, first 2 shown]
	s_waitcnt vmcnt(0)
	v_mul_f64 v[93:94], v[119:120], v[103:104]
	v_fma_f64 v[109:110], v[117:118], v[101:102], -v[93:94]
	v_mul_f64 v[93:94], v[117:118], v[103:104]
	v_fma_f64 v[103:104], v[119:120], v[101:102], v[93:94]
	ds_read2_b64 v[93:96], v90 offset0:38 offset1:39
	buffer_load_dword v99, off, s[24:27], 0 offset:96 ; 4-byte Folded Reload
	buffer_load_dword v100, off, s[24:27], 0 offset:100 ; 4-byte Folded Reload
	buffer_load_dword v101, off, s[24:27], 0 offset:104 ; 4-byte Folded Reload
	buffer_load_dword v102, off, s[24:27], 0 offset:108 ; 4-byte Folded Reload
	s_waitcnt lgkmcnt(0)
	v_mul_f64 v[97:98], v[95:96], v[103:104]
	v_fma_f64 v[97:98], v[93:94], v[109:110], -v[97:98]
	v_mul_f64 v[93:94], v[93:94], v[103:104]
	v_fma_f64 v[93:94], v[95:96], v[109:110], v[93:94]
	s_waitcnt vmcnt(2)
	v_add_f64 v[99:100], v[99:100], -v[97:98]
	s_waitcnt vmcnt(0)
	v_add_f64 v[101:102], v[101:102], -v[93:94]
	buffer_store_dword v99, off, s[24:27], 0 offset:96 ; 4-byte Folded Spill
	s_nop 0
	buffer_store_dword v100, off, s[24:27], 0 offset:100 ; 4-byte Folded Spill
	buffer_store_dword v101, off, s[24:27], 0 offset:104 ; 4-byte Folded Spill
	buffer_store_dword v102, off, s[24:27], 0 offset:108 ; 4-byte Folded Spill
	ds_read2_b64 v[93:96], v90 offset0:40 offset1:41
	buffer_load_dword v99, off, s[24:27], 0 offset:80 ; 4-byte Folded Reload
	buffer_load_dword v100, off, s[24:27], 0 offset:84 ; 4-byte Folded Reload
	buffer_load_dword v101, off, s[24:27], 0 offset:88 ; 4-byte Folded Reload
	buffer_load_dword v102, off, s[24:27], 0 offset:92 ; 4-byte Folded Reload
	s_waitcnt lgkmcnt(0)
	v_mul_f64 v[97:98], v[95:96], v[103:104]
	v_fma_f64 v[97:98], v[93:94], v[109:110], -v[97:98]
	v_mul_f64 v[93:94], v[93:94], v[103:104]
	v_fma_f64 v[93:94], v[95:96], v[109:110], v[93:94]
	s_waitcnt vmcnt(2)
	v_add_f64 v[99:100], v[99:100], -v[97:98]
	s_waitcnt vmcnt(0)
	v_add_f64 v[101:102], v[101:102], -v[93:94]
	buffer_store_dword v99, off, s[24:27], 0 offset:80 ; 4-byte Folded Spill
	s_nop 0
	buffer_store_dword v100, off, s[24:27], 0 offset:84 ; 4-byte Folded Spill
	buffer_store_dword v101, off, s[24:27], 0 offset:88 ; 4-byte Folded Spill
	buffer_store_dword v102, off, s[24:27], 0 offset:92 ; 4-byte Folded Spill
	;; [unrolled: 19-line block ×6, first 2 shown]
	ds_read2_b64 v[93:96], v90 offset0:50 offset1:51
	buffer_load_dword v99, off, s[24:27], 0 ; 4-byte Folded Reload
	buffer_load_dword v100, off, s[24:27], 0 offset:4 ; 4-byte Folded Reload
	buffer_load_dword v101, off, s[24:27], 0 offset:8 ; 4-byte Folded Reload
	;; [unrolled: 1-line block ×3, first 2 shown]
	s_waitcnt lgkmcnt(0)
	v_mul_f64 v[97:98], v[95:96], v[103:104]
	v_fma_f64 v[97:98], v[93:94], v[109:110], -v[97:98]
	v_mul_f64 v[93:94], v[93:94], v[103:104]
	v_fma_f64 v[93:94], v[95:96], v[109:110], v[93:94]
	s_waitcnt vmcnt(2)
	v_add_f64 v[99:100], v[99:100], -v[97:98]
	s_waitcnt vmcnt(0)
	v_add_f64 v[101:102], v[101:102], -v[93:94]
	buffer_store_dword v99, off, s[24:27], 0 ; 4-byte Folded Spill
	s_nop 0
	buffer_store_dword v100, off, s[24:27], 0 offset:4 ; 4-byte Folded Spill
	buffer_store_dword v101, off, s[24:27], 0 offset:8 ; 4-byte Folded Spill
	;; [unrolled: 1-line block ×3, first 2 shown]
	ds_read2_b64 v[93:96], v90 offset0:52 offset1:53
	v_mov_b32_e32 v101, v109
	v_mov_b32_e32 v102, v110
	s_waitcnt lgkmcnt(0)
	v_mul_f64 v[97:98], v[95:96], v[103:104]
	v_fma_f64 v[97:98], v[93:94], v[109:110], -v[97:98]
	v_mul_f64 v[93:94], v[93:94], v[103:104]
	v_add_f64 v[81:82], v[81:82], -v[97:98]
	v_fma_f64 v[93:94], v[95:96], v[109:110], v[93:94]
	v_add_f64 v[83:84], v[83:84], -v[93:94]
	ds_read2_b64 v[93:96], v90 offset0:54 offset1:55
	s_waitcnt lgkmcnt(0)
	v_mul_f64 v[97:98], v[95:96], v[103:104]
	v_fma_f64 v[97:98], v[93:94], v[109:110], -v[97:98]
	v_mul_f64 v[93:94], v[93:94], v[103:104]
	v_add_f64 v[113:114], v[113:114], -v[97:98]
	v_fma_f64 v[93:94], v[95:96], v[109:110], v[93:94]
	v_add_f64 v[115:116], v[115:116], -v[93:94]
	ds_read2_b64 v[93:96], v90 offset0:56 offset1:57
	;; [unrolled: 8-line block ×23, first 2 shown]
	s_waitcnt lgkmcnt(0)
	v_mul_f64 v[97:98], v[95:96], v[103:104]
	v_fma_f64 v[97:98], v[93:94], v[109:110], -v[97:98]
	v_mul_f64 v[93:94], v[93:94], v[103:104]
	buffer_store_dword v101, off, s[24:27], 0 offset:112 ; 4-byte Folded Spill
	s_nop 0
	buffer_store_dword v102, off, s[24:27], 0 offset:116 ; 4-byte Folded Spill
	buffer_store_dword v103, off, s[24:27], 0 offset:120 ; 4-byte Folded Spill
	;; [unrolled: 1-line block ×3, first 2 shown]
	v_add_f64 v[121:122], v[121:122], -v[97:98]
	v_fma_f64 v[93:94], v[95:96], v[109:110], v[93:94]
	v_mov_b32_e32 v110, v84
	v_mov_b32_e32 v109, v83
	;; [unrolled: 1-line block ×4, first 2 shown]
	v_add_f64 v[123:124], v[123:124], -v[93:94]
.LBB98_398:
	s_or_b64 exec, exec, s[0:1]
	s_waitcnt vmcnt(0)
	s_barrier
	buffer_load_dword v81, off, s[24:27], 0 offset:96 ; 4-byte Folded Reload
	buffer_load_dword v82, off, s[24:27], 0 offset:100 ; 4-byte Folded Reload
	;; [unrolled: 1-line block ×4, first 2 shown]
	v_lshl_add_u32 v93, v92, 4, v90
	s_cmp_lt_i32 s3, 21
	s_waitcnt vmcnt(0)
	ds_write2_b64 v93, v[81:82], v[83:84] offset1:1
	s_waitcnt lgkmcnt(0)
	s_barrier
	ds_read2_b64 v[117:120], v90 offset0:38 offset1:39
	v_mov_b32_e32 v93, 19
	s_cbranch_scc1 .LBB98_401
; %bb.399:
	v_add_u32_e32 v94, 0x140, v90
	s_mov_b32 s0, 20
	v_mov_b32_e32 v93, 19
.LBB98_400:                             ; =>This Inner Loop Header: Depth=1
	s_waitcnt lgkmcnt(0)
	v_cmp_gt_f64_e32 vcc, 0, v[117:118]
	v_xor_b32_e32 v99, 0x80000000, v118
	ds_read2_b64 v[95:98], v94 offset1:1
	v_xor_b32_e32 v101, 0x80000000, v120
	v_add_u32_e32 v94, 16, v94
	s_waitcnt lgkmcnt(0)
	v_xor_b32_e32 v103, 0x80000000, v98
	v_cndmask_b32_e32 v100, v118, v99, vcc
	v_cmp_gt_f64_e32 vcc, 0, v[119:120]
	v_mov_b32_e32 v99, v117
	v_cndmask_b32_e32 v102, v120, v101, vcc
	v_cmp_gt_f64_e32 vcc, 0, v[95:96]
	v_mov_b32_e32 v101, v119
	v_add_f64 v[99:100], v[99:100], v[101:102]
	v_xor_b32_e32 v101, 0x80000000, v96
	v_cndmask_b32_e32 v102, v96, v101, vcc
	v_cmp_gt_f64_e32 vcc, 0, v[97:98]
	v_mov_b32_e32 v101, v95
	v_cndmask_b32_e32 v104, v98, v103, vcc
	v_mov_b32_e32 v103, v97
	v_add_f64 v[101:102], v[101:102], v[103:104]
	v_cmp_lt_f64_e32 vcc, v[99:100], v[101:102]
	v_cndmask_b32_e32 v117, v117, v95, vcc
	v_mov_b32_e32 v95, s0
	s_add_i32 s0, s0, 1
	v_cndmask_b32_e32 v118, v118, v96, vcc
	v_cndmask_b32_e32 v120, v120, v98, vcc
	;; [unrolled: 1-line block ×4, first 2 shown]
	s_cmp_lg_u32 s3, s0
	s_cbranch_scc1 .LBB98_400
.LBB98_401:
	s_waitcnt lgkmcnt(0)
	v_cmp_eq_f64_e32 vcc, 0, v[117:118]
	v_cmp_eq_f64_e64 s[0:1], 0, v[119:120]
	s_and_b64 s[0:1], vcc, s[0:1]
	s_and_saveexec_b64 s[18:19], s[0:1]
	s_xor_b64 s[0:1], exec, s[18:19]
; %bb.402:
	v_cmp_ne_u32_e32 vcc, 0, v91
	v_cndmask_b32_e32 v91, 20, v91, vcc
; %bb.403:
	s_andn2_saveexec_b64 s[0:1], s[0:1]
	s_cbranch_execz .LBB98_409
; %bb.404:
	v_cmp_ngt_f64_e64 s[18:19], |v[117:118]|, |v[119:120]|
	s_and_saveexec_b64 s[20:21], s[18:19]
	s_xor_b64 s[18:19], exec, s[20:21]
	s_cbranch_execz .LBB98_406
; %bb.405:
	v_div_scale_f64 v[94:95], s[20:21], v[119:120], v[119:120], v[117:118]
	v_rcp_f64_e32 v[96:97], v[94:95]
	v_fma_f64 v[98:99], -v[94:95], v[96:97], 1.0
	v_fma_f64 v[96:97], v[96:97], v[98:99], v[96:97]
	v_div_scale_f64 v[98:99], vcc, v[117:118], v[119:120], v[117:118]
	v_fma_f64 v[100:101], -v[94:95], v[96:97], 1.0
	v_fma_f64 v[96:97], v[96:97], v[100:101], v[96:97]
	v_mul_f64 v[100:101], v[98:99], v[96:97]
	v_fma_f64 v[94:95], -v[94:95], v[100:101], v[98:99]
	v_div_fmas_f64 v[94:95], v[94:95], v[96:97], v[100:101]
	v_div_fixup_f64 v[94:95], v[94:95], v[119:120], v[117:118]
	v_fma_f64 v[96:97], v[117:118], v[94:95], v[119:120]
	v_div_scale_f64 v[98:99], s[20:21], v[96:97], v[96:97], 1.0
	v_div_scale_f64 v[104:105], vcc, 1.0, v[96:97], 1.0
	v_rcp_f64_e32 v[100:101], v[98:99]
	v_fma_f64 v[102:103], -v[98:99], v[100:101], 1.0
	v_fma_f64 v[100:101], v[100:101], v[102:103], v[100:101]
	v_fma_f64 v[102:103], -v[98:99], v[100:101], 1.0
	v_fma_f64 v[100:101], v[100:101], v[102:103], v[100:101]
	v_mul_f64 v[102:103], v[104:105], v[100:101]
	v_fma_f64 v[98:99], -v[98:99], v[102:103], v[104:105]
	v_div_fmas_f64 v[98:99], v[98:99], v[100:101], v[102:103]
	v_div_fixup_f64 v[119:120], v[98:99], v[96:97], 1.0
	v_mul_f64 v[117:118], v[94:95], v[119:120]
	v_xor_b32_e32 v120, 0x80000000, v120
.LBB98_406:
	s_andn2_saveexec_b64 s[18:19], s[18:19]
	s_cbranch_execz .LBB98_408
; %bb.407:
	v_div_scale_f64 v[94:95], s[20:21], v[117:118], v[117:118], v[119:120]
	v_rcp_f64_e32 v[96:97], v[94:95]
	v_fma_f64 v[98:99], -v[94:95], v[96:97], 1.0
	v_fma_f64 v[96:97], v[96:97], v[98:99], v[96:97]
	v_div_scale_f64 v[98:99], vcc, v[119:120], v[117:118], v[119:120]
	v_fma_f64 v[100:101], -v[94:95], v[96:97], 1.0
	v_fma_f64 v[96:97], v[96:97], v[100:101], v[96:97]
	v_mul_f64 v[100:101], v[98:99], v[96:97]
	v_fma_f64 v[94:95], -v[94:95], v[100:101], v[98:99]
	v_div_fmas_f64 v[94:95], v[94:95], v[96:97], v[100:101]
	v_div_fixup_f64 v[94:95], v[94:95], v[117:118], v[119:120]
	v_fma_f64 v[96:97], v[119:120], v[94:95], v[117:118]
	v_div_scale_f64 v[98:99], s[20:21], v[96:97], v[96:97], 1.0
	v_div_scale_f64 v[104:105], vcc, 1.0, v[96:97], 1.0
	v_rcp_f64_e32 v[100:101], v[98:99]
	v_fma_f64 v[102:103], -v[98:99], v[100:101], 1.0
	v_fma_f64 v[100:101], v[100:101], v[102:103], v[100:101]
	v_fma_f64 v[102:103], -v[98:99], v[100:101], 1.0
	v_fma_f64 v[100:101], v[100:101], v[102:103], v[100:101]
	v_mul_f64 v[102:103], v[104:105], v[100:101]
	v_fma_f64 v[98:99], -v[98:99], v[102:103], v[104:105]
	v_div_fmas_f64 v[98:99], v[98:99], v[100:101], v[102:103]
	v_div_fixup_f64 v[117:118], v[98:99], v[96:97], 1.0
	v_mul_f64 v[119:120], v[94:95], -v[117:118]
.LBB98_408:
	s_or_b64 exec, exec, s[18:19]
.LBB98_409:
	s_or_b64 exec, exec, s[0:1]
	v_cmp_ne_u32_e32 vcc, v92, v93
	s_and_saveexec_b64 s[0:1], vcc
	s_xor_b64 s[0:1], exec, s[0:1]
	s_cbranch_execz .LBB98_415
; %bb.410:
	v_cmp_eq_u32_e32 vcc, 19, v92
	s_and_saveexec_b64 s[18:19], vcc
	s_cbranch_execz .LBB98_414
; %bb.411:
	v_cmp_ne_u32_e32 vcc, 19, v93
	s_xor_b64 s[20:21], s[6:7], -1
	s_and_b64 s[22:23], s[20:21], vcc
	s_and_saveexec_b64 s[20:21], s[22:23]
	s_cbranch_execz .LBB98_413
; %bb.412:
	buffer_load_dword v81, off, s[24:27], 0 offset:368 ; 4-byte Folded Reload
	buffer_load_dword v82, off, s[24:27], 0 offset:372 ; 4-byte Folded Reload
	v_ashrrev_i32_e32 v94, 31, v93
	v_lshlrev_b64 v[94:95], 2, v[93:94]
	s_waitcnt vmcnt(1)
	v_add_co_u32_e32 v94, vcc, v81, v94
	s_waitcnt vmcnt(0)
	v_addc_co_u32_e32 v95, vcc, v82, v95, vcc
	global_load_dword v0, v[94:95], off
	global_load_dword v92, v[81:82], off offset:76
	s_waitcnt vmcnt(1)
	global_store_dword v[81:82], v0, off offset:76
	s_waitcnt vmcnt(1)
	global_store_dword v[94:95], v92, off
.LBB98_413:
	s_or_b64 exec, exec, s[20:21]
	v_mov_b32_e32 v92, v93
	v_mov_b32_e32 v0, v93
.LBB98_414:
	s_or_b64 exec, exec, s[18:19]
.LBB98_415:
	s_andn2_saveexec_b64 s[0:1], s[0:1]
	s_cbranch_execz .LBB98_417
; %bb.416:
	buffer_load_dword v81, off, s[24:27], 0 offset:80 ; 4-byte Folded Reload
	buffer_load_dword v82, off, s[24:27], 0 offset:84 ; 4-byte Folded Reload
	;; [unrolled: 1-line block ×4, first 2 shown]
	v_mov_b32_e32 v92, 19
	s_waitcnt vmcnt(0)
	ds_write2_b64 v90, v[81:82], v[83:84] offset0:40 offset1:41
	buffer_load_dword v81, off, s[24:27], 0 offset:64 ; 4-byte Folded Reload
	buffer_load_dword v82, off, s[24:27], 0 offset:68 ; 4-byte Folded Reload
	buffer_load_dword v83, off, s[24:27], 0 offset:72 ; 4-byte Folded Reload
	buffer_load_dword v84, off, s[24:27], 0 offset:76 ; 4-byte Folded Reload
	s_waitcnt vmcnt(0)
	ds_write2_b64 v90, v[81:82], v[83:84] offset0:42 offset1:43
	buffer_load_dword v81, off, s[24:27], 0 offset:48 ; 4-byte Folded Reload
	buffer_load_dword v82, off, s[24:27], 0 offset:52 ; 4-byte Folded Reload
	buffer_load_dword v83, off, s[24:27], 0 offset:56 ; 4-byte Folded Reload
	buffer_load_dword v84, off, s[24:27], 0 offset:60 ; 4-byte Folded Reload
	;; [unrolled: 6-line block ×4, first 2 shown]
	s_waitcnt vmcnt(0)
	ds_write2_b64 v90, v[81:82], v[83:84] offset0:48 offset1:49
	buffer_load_dword v81, off, s[24:27], 0 ; 4-byte Folded Reload
	buffer_load_dword v82, off, s[24:27], 0 offset:4 ; 4-byte Folded Reload
	buffer_load_dword v83, off, s[24:27], 0 offset:8 ; 4-byte Folded Reload
	;; [unrolled: 1-line block ×3, first 2 shown]
	s_waitcnt vmcnt(0)
	ds_write2_b64 v90, v[81:82], v[83:84] offset0:50 offset1:51
	ds_write2_b64 v90, v[107:108], v[109:110] offset0:52 offset1:53
	;; [unrolled: 1-line block ×25, first 2 shown]
.LBB98_417:
	s_or_b64 exec, exec, s[0:1]
	v_cmp_lt_i32_e32 vcc, 19, v92
	s_waitcnt vmcnt(0) lgkmcnt(0)
	s_barrier
	s_and_saveexec_b64 s[0:1], vcc
	s_cbranch_execz .LBB98_419
; %bb.418:
	buffer_load_dword v99, off, s[24:27], 0 offset:96 ; 4-byte Folded Reload
	buffer_load_dword v100, off, s[24:27], 0 offset:100 ; 4-byte Folded Reload
	;; [unrolled: 1-line block ×4, first 2 shown]
	s_waitcnt vmcnt(0)
	v_mul_f64 v[93:94], v[119:120], v[101:102]
	v_fma_f64 v[97:98], v[117:118], v[99:100], -v[93:94]
	v_mul_f64 v[93:94], v[117:118], v[101:102]
	v_fma_f64 v[101:102], v[119:120], v[99:100], v[93:94]
	ds_read2_b64 v[93:96], v90 offset0:40 offset1:41
	buffer_load_dword v81, off, s[24:27], 0 offset:80 ; 4-byte Folded Reload
	buffer_load_dword v82, off, s[24:27], 0 offset:84 ; 4-byte Folded Reload
	buffer_load_dword v83, off, s[24:27], 0 offset:88 ; 4-byte Folded Reload
	buffer_load_dword v84, off, s[24:27], 0 offset:92 ; 4-byte Folded Reload
	s_waitcnt lgkmcnt(0)
	v_mul_f64 v[99:100], v[95:96], v[101:102]
	v_fma_f64 v[99:100], v[93:94], v[97:98], -v[99:100]
	v_mul_f64 v[93:94], v[93:94], v[101:102]
	v_fma_f64 v[93:94], v[95:96], v[97:98], v[93:94]
	s_waitcnt vmcnt(2)
	v_add_f64 v[81:82], v[81:82], -v[99:100]
	s_waitcnt vmcnt(0)
	v_add_f64 v[83:84], v[83:84], -v[93:94]
	buffer_store_dword v81, off, s[24:27], 0 offset:80 ; 4-byte Folded Spill
	s_nop 0
	buffer_store_dword v82, off, s[24:27], 0 offset:84 ; 4-byte Folded Spill
	buffer_store_dword v83, off, s[24:27], 0 offset:88 ; 4-byte Folded Spill
	buffer_store_dword v84, off, s[24:27], 0 offset:92 ; 4-byte Folded Spill
	ds_read2_b64 v[93:96], v90 offset0:42 offset1:43
	buffer_load_dword v81, off, s[24:27], 0 offset:64 ; 4-byte Folded Reload
	buffer_load_dword v82, off, s[24:27], 0 offset:68 ; 4-byte Folded Reload
	buffer_load_dword v83, off, s[24:27], 0 offset:72 ; 4-byte Folded Reload
	buffer_load_dword v84, off, s[24:27], 0 offset:76 ; 4-byte Folded Reload
	s_waitcnt lgkmcnt(0)
	v_mul_f64 v[99:100], v[95:96], v[101:102]
	v_fma_f64 v[99:100], v[93:94], v[97:98], -v[99:100]
	v_mul_f64 v[93:94], v[93:94], v[101:102]
	v_fma_f64 v[93:94], v[95:96], v[97:98], v[93:94]
	s_waitcnt vmcnt(2)
	v_add_f64 v[81:82], v[81:82], -v[99:100]
	s_waitcnt vmcnt(0)
	v_add_f64 v[83:84], v[83:84], -v[93:94]
	buffer_store_dword v81, off, s[24:27], 0 offset:64 ; 4-byte Folded Spill
	s_nop 0
	buffer_store_dword v82, off, s[24:27], 0 offset:68 ; 4-byte Folded Spill
	buffer_store_dword v83, off, s[24:27], 0 offset:72 ; 4-byte Folded Spill
	buffer_store_dword v84, off, s[24:27], 0 offset:76 ; 4-byte Folded Spill
	;; [unrolled: 19-line block ×5, first 2 shown]
	ds_read2_b64 v[93:96], v90 offset0:50 offset1:51
	buffer_load_dword v81, off, s[24:27], 0 ; 4-byte Folded Reload
	buffer_load_dword v82, off, s[24:27], 0 offset:4 ; 4-byte Folded Reload
	buffer_load_dword v83, off, s[24:27], 0 offset:8 ; 4-byte Folded Reload
	;; [unrolled: 1-line block ×3, first 2 shown]
	s_waitcnt lgkmcnt(0)
	v_mul_f64 v[99:100], v[95:96], v[101:102]
	v_fma_f64 v[99:100], v[93:94], v[97:98], -v[99:100]
	v_mul_f64 v[93:94], v[93:94], v[101:102]
	v_fma_f64 v[93:94], v[95:96], v[97:98], v[93:94]
	s_waitcnt vmcnt(2)
	v_add_f64 v[81:82], v[81:82], -v[99:100]
	s_waitcnt vmcnt(0)
	v_add_f64 v[83:84], v[83:84], -v[93:94]
	buffer_store_dword v81, off, s[24:27], 0 ; 4-byte Folded Spill
	s_nop 0
	buffer_store_dword v82, off, s[24:27], 0 offset:4 ; 4-byte Folded Spill
	buffer_store_dword v83, off, s[24:27], 0 offset:8 ; 4-byte Folded Spill
	;; [unrolled: 1-line block ×3, first 2 shown]
	ds_read2_b64 v[93:96], v90 offset0:52 offset1:53
	s_waitcnt lgkmcnt(0)
	v_mul_f64 v[99:100], v[95:96], v[101:102]
	v_fma_f64 v[99:100], v[93:94], v[97:98], -v[99:100]
	v_mul_f64 v[93:94], v[93:94], v[101:102]
	v_add_f64 v[107:108], v[107:108], -v[99:100]
	v_fma_f64 v[93:94], v[95:96], v[97:98], v[93:94]
	v_add_f64 v[109:110], v[109:110], -v[93:94]
	ds_read2_b64 v[93:96], v90 offset0:54 offset1:55
	s_waitcnt lgkmcnt(0)
	v_mul_f64 v[99:100], v[95:96], v[101:102]
	v_fma_f64 v[99:100], v[93:94], v[97:98], -v[99:100]
	v_mul_f64 v[93:94], v[93:94], v[101:102]
	v_add_f64 v[113:114], v[113:114], -v[99:100]
	v_fma_f64 v[93:94], v[95:96], v[97:98], v[93:94]
	v_add_f64 v[115:116], v[115:116], -v[93:94]
	;; [unrolled: 8-line block ×23, first 2 shown]
	ds_read2_b64 v[93:96], v90 offset0:98 offset1:99
	s_waitcnt lgkmcnt(0)
	v_mul_f64 v[99:100], v[95:96], v[101:102]
	v_fma_f64 v[99:100], v[93:94], v[97:98], -v[99:100]
	v_mul_f64 v[93:94], v[93:94], v[101:102]
	v_add_f64 v[121:122], v[121:122], -v[99:100]
	v_fma_f64 v[93:94], v[95:96], v[97:98], v[93:94]
	v_mov_b32_e32 v100, v98
	v_mov_b32_e32 v99, v97
	buffer_store_dword v99, off, s[24:27], 0 offset:96 ; 4-byte Folded Spill
	s_nop 0
	buffer_store_dword v100, off, s[24:27], 0 offset:100 ; 4-byte Folded Spill
	buffer_store_dword v101, off, s[24:27], 0 offset:104 ; 4-byte Folded Spill
	;; [unrolled: 1-line block ×3, first 2 shown]
	v_add_f64 v[123:124], v[123:124], -v[93:94]
.LBB98_419:
	s_or_b64 exec, exec, s[0:1]
	s_waitcnt vmcnt(0)
	s_barrier
	buffer_load_dword v81, off, s[24:27], 0 offset:80 ; 4-byte Folded Reload
	buffer_load_dword v82, off, s[24:27], 0 offset:84 ; 4-byte Folded Reload
	buffer_load_dword v83, off, s[24:27], 0 offset:88 ; 4-byte Folded Reload
	buffer_load_dword v84, off, s[24:27], 0 offset:92 ; 4-byte Folded Reload
	v_lshl_add_u32 v93, v92, 4, v90
	s_cmp_lt_i32 s3, 22
	s_waitcnt vmcnt(0)
	ds_write2_b64 v93, v[81:82], v[83:84] offset1:1
	s_waitcnt lgkmcnt(0)
	s_barrier
	ds_read2_b64 v[117:120], v90 offset0:40 offset1:41
	v_mov_b32_e32 v93, 20
	s_cbranch_scc1 .LBB98_422
; %bb.420:
	v_add_u32_e32 v94, 0x150, v90
	s_mov_b32 s0, 21
	v_mov_b32_e32 v93, 20
.LBB98_421:                             ; =>This Inner Loop Header: Depth=1
	s_waitcnt lgkmcnt(0)
	v_cmp_gt_f64_e32 vcc, 0, v[117:118]
	v_xor_b32_e32 v99, 0x80000000, v118
	ds_read2_b64 v[95:98], v94 offset1:1
	v_xor_b32_e32 v101, 0x80000000, v120
	v_add_u32_e32 v94, 16, v94
	s_waitcnt lgkmcnt(0)
	v_xor_b32_e32 v103, 0x80000000, v98
	v_cndmask_b32_e32 v100, v118, v99, vcc
	v_cmp_gt_f64_e32 vcc, 0, v[119:120]
	v_mov_b32_e32 v99, v117
	v_cndmask_b32_e32 v102, v120, v101, vcc
	v_cmp_gt_f64_e32 vcc, 0, v[95:96]
	v_mov_b32_e32 v101, v119
	v_add_f64 v[99:100], v[99:100], v[101:102]
	v_xor_b32_e32 v101, 0x80000000, v96
	v_cndmask_b32_e32 v102, v96, v101, vcc
	v_cmp_gt_f64_e32 vcc, 0, v[97:98]
	v_mov_b32_e32 v101, v95
	v_cndmask_b32_e32 v104, v98, v103, vcc
	v_mov_b32_e32 v103, v97
	v_add_f64 v[101:102], v[101:102], v[103:104]
	v_cmp_lt_f64_e32 vcc, v[99:100], v[101:102]
	v_cndmask_b32_e32 v117, v117, v95, vcc
	v_mov_b32_e32 v95, s0
	s_add_i32 s0, s0, 1
	v_cndmask_b32_e32 v118, v118, v96, vcc
	v_cndmask_b32_e32 v120, v120, v98, vcc
	;; [unrolled: 1-line block ×4, first 2 shown]
	s_cmp_lg_u32 s3, s0
	s_cbranch_scc1 .LBB98_421
.LBB98_422:
	s_waitcnt lgkmcnt(0)
	v_cmp_eq_f64_e32 vcc, 0, v[117:118]
	v_cmp_eq_f64_e64 s[0:1], 0, v[119:120]
	s_and_b64 s[0:1], vcc, s[0:1]
	s_and_saveexec_b64 s[18:19], s[0:1]
	s_xor_b64 s[0:1], exec, s[18:19]
; %bb.423:
	v_cmp_ne_u32_e32 vcc, 0, v91
	v_cndmask_b32_e32 v91, 21, v91, vcc
; %bb.424:
	s_andn2_saveexec_b64 s[0:1], s[0:1]
	s_cbranch_execz .LBB98_430
; %bb.425:
	v_cmp_ngt_f64_e64 s[18:19], |v[117:118]|, |v[119:120]|
	s_and_saveexec_b64 s[20:21], s[18:19]
	s_xor_b64 s[18:19], exec, s[20:21]
	s_cbranch_execz .LBB98_427
; %bb.426:
	v_div_scale_f64 v[94:95], s[20:21], v[119:120], v[119:120], v[117:118]
	v_rcp_f64_e32 v[96:97], v[94:95]
	v_fma_f64 v[98:99], -v[94:95], v[96:97], 1.0
	v_fma_f64 v[96:97], v[96:97], v[98:99], v[96:97]
	v_div_scale_f64 v[98:99], vcc, v[117:118], v[119:120], v[117:118]
	v_fma_f64 v[100:101], -v[94:95], v[96:97], 1.0
	v_fma_f64 v[96:97], v[96:97], v[100:101], v[96:97]
	v_mul_f64 v[100:101], v[98:99], v[96:97]
	v_fma_f64 v[94:95], -v[94:95], v[100:101], v[98:99]
	v_div_fmas_f64 v[94:95], v[94:95], v[96:97], v[100:101]
	v_div_fixup_f64 v[94:95], v[94:95], v[119:120], v[117:118]
	v_fma_f64 v[96:97], v[117:118], v[94:95], v[119:120]
	v_div_scale_f64 v[98:99], s[20:21], v[96:97], v[96:97], 1.0
	v_div_scale_f64 v[104:105], vcc, 1.0, v[96:97], 1.0
	v_rcp_f64_e32 v[100:101], v[98:99]
	v_fma_f64 v[102:103], -v[98:99], v[100:101], 1.0
	v_fma_f64 v[100:101], v[100:101], v[102:103], v[100:101]
	v_fma_f64 v[102:103], -v[98:99], v[100:101], 1.0
	v_fma_f64 v[100:101], v[100:101], v[102:103], v[100:101]
	v_mul_f64 v[102:103], v[104:105], v[100:101]
	v_fma_f64 v[98:99], -v[98:99], v[102:103], v[104:105]
	v_div_fmas_f64 v[98:99], v[98:99], v[100:101], v[102:103]
	v_div_fixup_f64 v[119:120], v[98:99], v[96:97], 1.0
	v_mul_f64 v[117:118], v[94:95], v[119:120]
	v_xor_b32_e32 v120, 0x80000000, v120
.LBB98_427:
	s_andn2_saveexec_b64 s[18:19], s[18:19]
	s_cbranch_execz .LBB98_429
; %bb.428:
	v_div_scale_f64 v[94:95], s[20:21], v[117:118], v[117:118], v[119:120]
	v_rcp_f64_e32 v[96:97], v[94:95]
	v_fma_f64 v[98:99], -v[94:95], v[96:97], 1.0
	v_fma_f64 v[96:97], v[96:97], v[98:99], v[96:97]
	v_div_scale_f64 v[98:99], vcc, v[119:120], v[117:118], v[119:120]
	v_fma_f64 v[100:101], -v[94:95], v[96:97], 1.0
	v_fma_f64 v[96:97], v[96:97], v[100:101], v[96:97]
	v_mul_f64 v[100:101], v[98:99], v[96:97]
	v_fma_f64 v[94:95], -v[94:95], v[100:101], v[98:99]
	v_div_fmas_f64 v[94:95], v[94:95], v[96:97], v[100:101]
	v_div_fixup_f64 v[94:95], v[94:95], v[117:118], v[119:120]
	v_fma_f64 v[96:97], v[119:120], v[94:95], v[117:118]
	v_div_scale_f64 v[98:99], s[20:21], v[96:97], v[96:97], 1.0
	v_div_scale_f64 v[104:105], vcc, 1.0, v[96:97], 1.0
	v_rcp_f64_e32 v[100:101], v[98:99]
	v_fma_f64 v[102:103], -v[98:99], v[100:101], 1.0
	v_fma_f64 v[100:101], v[100:101], v[102:103], v[100:101]
	v_fma_f64 v[102:103], -v[98:99], v[100:101], 1.0
	v_fma_f64 v[100:101], v[100:101], v[102:103], v[100:101]
	v_mul_f64 v[102:103], v[104:105], v[100:101]
	v_fma_f64 v[98:99], -v[98:99], v[102:103], v[104:105]
	v_div_fmas_f64 v[98:99], v[98:99], v[100:101], v[102:103]
	v_div_fixup_f64 v[117:118], v[98:99], v[96:97], 1.0
	v_mul_f64 v[119:120], v[94:95], -v[117:118]
.LBB98_429:
	s_or_b64 exec, exec, s[18:19]
.LBB98_430:
	s_or_b64 exec, exec, s[0:1]
	v_cmp_ne_u32_e32 vcc, v92, v93
	s_and_saveexec_b64 s[0:1], vcc
	s_xor_b64 s[0:1], exec, s[0:1]
	s_cbranch_execz .LBB98_436
; %bb.431:
	v_cmp_eq_u32_e32 vcc, 20, v92
	s_and_saveexec_b64 s[18:19], vcc
	s_cbranch_execz .LBB98_435
; %bb.432:
	v_cmp_ne_u32_e32 vcc, 20, v93
	s_xor_b64 s[20:21], s[6:7], -1
	s_and_b64 s[22:23], s[20:21], vcc
	s_and_saveexec_b64 s[20:21], s[22:23]
	s_cbranch_execz .LBB98_434
; %bb.433:
	buffer_load_dword v81, off, s[24:27], 0 offset:368 ; 4-byte Folded Reload
	buffer_load_dword v82, off, s[24:27], 0 offset:372 ; 4-byte Folded Reload
	v_ashrrev_i32_e32 v94, 31, v93
	v_lshlrev_b64 v[94:95], 2, v[93:94]
	s_waitcnt vmcnt(1)
	v_add_co_u32_e32 v94, vcc, v81, v94
	s_waitcnt vmcnt(0)
	v_addc_co_u32_e32 v95, vcc, v82, v95, vcc
	global_load_dword v0, v[94:95], off
	global_load_dword v92, v[81:82], off offset:80
	s_waitcnt vmcnt(1)
	global_store_dword v[81:82], v0, off offset:80
	s_waitcnt vmcnt(1)
	global_store_dword v[94:95], v92, off
.LBB98_434:
	s_or_b64 exec, exec, s[20:21]
	v_mov_b32_e32 v92, v93
	v_mov_b32_e32 v0, v93
.LBB98_435:
	s_or_b64 exec, exec, s[18:19]
.LBB98_436:
	s_andn2_saveexec_b64 s[0:1], s[0:1]
	s_cbranch_execz .LBB98_438
; %bb.437:
	buffer_load_dword v81, off, s[24:27], 0 offset:64 ; 4-byte Folded Reload
	buffer_load_dword v82, off, s[24:27], 0 offset:68 ; 4-byte Folded Reload
	buffer_load_dword v83, off, s[24:27], 0 offset:72 ; 4-byte Folded Reload
	buffer_load_dword v84, off, s[24:27], 0 offset:76 ; 4-byte Folded Reload
	v_mov_b32_e32 v92, 20
	s_waitcnt vmcnt(0)
	ds_write2_b64 v90, v[81:82], v[83:84] offset0:42 offset1:43
	buffer_load_dword v81, off, s[24:27], 0 offset:48 ; 4-byte Folded Reload
	buffer_load_dword v82, off, s[24:27], 0 offset:52 ; 4-byte Folded Reload
	buffer_load_dword v83, off, s[24:27], 0 offset:56 ; 4-byte Folded Reload
	buffer_load_dword v84, off, s[24:27], 0 offset:60 ; 4-byte Folded Reload
	s_waitcnt vmcnt(0)
	ds_write2_b64 v90, v[81:82], v[83:84] offset0:44 offset1:45
	buffer_load_dword v81, off, s[24:27], 0 offset:32 ; 4-byte Folded Reload
	buffer_load_dword v82, off, s[24:27], 0 offset:36 ; 4-byte Folded Reload
	buffer_load_dword v83, off, s[24:27], 0 offset:40 ; 4-byte Folded Reload
	buffer_load_dword v84, off, s[24:27], 0 offset:44 ; 4-byte Folded Reload
	;; [unrolled: 6-line block ×3, first 2 shown]
	s_waitcnt vmcnt(0)
	ds_write2_b64 v90, v[81:82], v[83:84] offset0:48 offset1:49
	buffer_load_dword v81, off, s[24:27], 0 ; 4-byte Folded Reload
	buffer_load_dword v82, off, s[24:27], 0 offset:4 ; 4-byte Folded Reload
	buffer_load_dword v83, off, s[24:27], 0 offset:8 ; 4-byte Folded Reload
	buffer_load_dword v84, off, s[24:27], 0 offset:12 ; 4-byte Folded Reload
	s_waitcnt vmcnt(0)
	ds_write2_b64 v90, v[81:82], v[83:84] offset0:50 offset1:51
	ds_write2_b64 v90, v[107:108], v[109:110] offset0:52 offset1:53
	;; [unrolled: 1-line block ×25, first 2 shown]
.LBB98_438:
	s_or_b64 exec, exec, s[0:1]
	v_cmp_lt_i32_e32 vcc, 20, v92
	s_waitcnt vmcnt(0) lgkmcnt(0)
	s_barrier
	s_and_saveexec_b64 s[0:1], vcc
	s_cbranch_execz .LBB98_440
; %bb.439:
	buffer_load_dword v99, off, s[24:27], 0 offset:80 ; 4-byte Folded Reload
	buffer_load_dword v100, off, s[24:27], 0 offset:84 ; 4-byte Folded Reload
	;; [unrolled: 1-line block ×4, first 2 shown]
	s_waitcnt vmcnt(0)
	v_mul_f64 v[95:96], v[117:118], v[101:102]
	v_mul_f64 v[93:94], v[119:120], v[101:102]
	v_fma_f64 v[101:102], v[119:120], v[99:100], v[95:96]
	ds_read2_b64 v[95:98], v90 offset0:42 offset1:43
	buffer_load_dword v81, off, s[24:27], 0 offset:64 ; 4-byte Folded Reload
	buffer_load_dword v82, off, s[24:27], 0 offset:68 ; 4-byte Folded Reload
	buffer_load_dword v83, off, s[24:27], 0 offset:72 ; 4-byte Folded Reload
	buffer_load_dword v84, off, s[24:27], 0 offset:76 ; 4-byte Folded Reload
	v_fma_f64 v[93:94], v[117:118], v[99:100], -v[93:94]
	s_waitcnt lgkmcnt(0)
	v_mul_f64 v[99:100], v[97:98], v[101:102]
	v_fma_f64 v[99:100], v[95:96], v[93:94], -v[99:100]
	v_mul_f64 v[95:96], v[95:96], v[101:102]
	v_fma_f64 v[95:96], v[97:98], v[93:94], v[95:96]
	s_waitcnt vmcnt(2)
	v_add_f64 v[81:82], v[81:82], -v[99:100]
	s_waitcnt vmcnt(0)
	v_add_f64 v[83:84], v[83:84], -v[95:96]
	buffer_store_dword v81, off, s[24:27], 0 offset:64 ; 4-byte Folded Spill
	s_nop 0
	buffer_store_dword v82, off, s[24:27], 0 offset:68 ; 4-byte Folded Spill
	buffer_store_dword v83, off, s[24:27], 0 offset:72 ; 4-byte Folded Spill
	buffer_store_dword v84, off, s[24:27], 0 offset:76 ; 4-byte Folded Spill
	ds_read2_b64 v[95:98], v90 offset0:44 offset1:45
	buffer_load_dword v81, off, s[24:27], 0 offset:48 ; 4-byte Folded Reload
	buffer_load_dword v82, off, s[24:27], 0 offset:52 ; 4-byte Folded Reload
	buffer_load_dword v83, off, s[24:27], 0 offset:56 ; 4-byte Folded Reload
	buffer_load_dword v84, off, s[24:27], 0 offset:60 ; 4-byte Folded Reload
	s_waitcnt lgkmcnt(0)
	v_mul_f64 v[99:100], v[97:98], v[101:102]
	v_fma_f64 v[99:100], v[95:96], v[93:94], -v[99:100]
	v_mul_f64 v[95:96], v[95:96], v[101:102]
	v_fma_f64 v[95:96], v[97:98], v[93:94], v[95:96]
	s_waitcnt vmcnt(2)
	v_add_f64 v[81:82], v[81:82], -v[99:100]
	s_waitcnt vmcnt(0)
	v_add_f64 v[83:84], v[83:84], -v[95:96]
	buffer_store_dword v81, off, s[24:27], 0 offset:48 ; 4-byte Folded Spill
	s_nop 0
	buffer_store_dword v82, off, s[24:27], 0 offset:52 ; 4-byte Folded Spill
	buffer_store_dword v83, off, s[24:27], 0 offset:56 ; 4-byte Folded Spill
	buffer_store_dword v84, off, s[24:27], 0 offset:60 ; 4-byte Folded Spill
	ds_read2_b64 v[95:98], v90 offset0:46 offset1:47
	buffer_load_dword v81, off, s[24:27], 0 offset:32 ; 4-byte Folded Reload
	buffer_load_dword v82, off, s[24:27], 0 offset:36 ; 4-byte Folded Reload
	buffer_load_dword v83, off, s[24:27], 0 offset:40 ; 4-byte Folded Reload
	buffer_load_dword v84, off, s[24:27], 0 offset:44 ; 4-byte Folded Reload
	;; [unrolled: 19-line block ×3, first 2 shown]
	s_waitcnt lgkmcnt(0)
	v_mul_f64 v[99:100], v[97:98], v[101:102]
	v_fma_f64 v[99:100], v[95:96], v[93:94], -v[99:100]
	v_mul_f64 v[95:96], v[95:96], v[101:102]
	v_fma_f64 v[95:96], v[97:98], v[93:94], v[95:96]
	s_waitcnt vmcnt(2)
	v_add_f64 v[81:82], v[81:82], -v[99:100]
	s_waitcnt vmcnt(0)
	v_add_f64 v[83:84], v[83:84], -v[95:96]
	buffer_store_dword v81, off, s[24:27], 0 offset:16 ; 4-byte Folded Spill
	s_nop 0
	buffer_store_dword v82, off, s[24:27], 0 offset:20 ; 4-byte Folded Spill
	buffer_store_dword v83, off, s[24:27], 0 offset:24 ; 4-byte Folded Spill
	;; [unrolled: 1-line block ×3, first 2 shown]
	ds_read2_b64 v[95:98], v90 offset0:50 offset1:51
	buffer_load_dword v81, off, s[24:27], 0 ; 4-byte Folded Reload
	buffer_load_dword v82, off, s[24:27], 0 offset:4 ; 4-byte Folded Reload
	buffer_load_dword v83, off, s[24:27], 0 offset:8 ; 4-byte Folded Reload
	;; [unrolled: 1-line block ×3, first 2 shown]
	s_waitcnt lgkmcnt(0)
	v_mul_f64 v[99:100], v[97:98], v[101:102]
	v_fma_f64 v[99:100], v[95:96], v[93:94], -v[99:100]
	v_mul_f64 v[95:96], v[95:96], v[101:102]
	v_fma_f64 v[95:96], v[97:98], v[93:94], v[95:96]
	s_waitcnt vmcnt(2)
	v_add_f64 v[81:82], v[81:82], -v[99:100]
	s_waitcnt vmcnt(0)
	v_add_f64 v[83:84], v[83:84], -v[95:96]
	buffer_store_dword v81, off, s[24:27], 0 ; 4-byte Folded Spill
	s_nop 0
	buffer_store_dword v82, off, s[24:27], 0 offset:4 ; 4-byte Folded Spill
	buffer_store_dword v83, off, s[24:27], 0 offset:8 ; 4-byte Folded Spill
	;; [unrolled: 1-line block ×3, first 2 shown]
	ds_read2_b64 v[95:98], v90 offset0:52 offset1:53
	s_waitcnt lgkmcnt(0)
	v_mul_f64 v[99:100], v[97:98], v[101:102]
	v_fma_f64 v[99:100], v[95:96], v[93:94], -v[99:100]
	v_mul_f64 v[95:96], v[95:96], v[101:102]
	v_add_f64 v[107:108], v[107:108], -v[99:100]
	v_fma_f64 v[95:96], v[97:98], v[93:94], v[95:96]
	v_add_f64 v[109:110], v[109:110], -v[95:96]
	ds_read2_b64 v[95:98], v90 offset0:54 offset1:55
	s_waitcnt lgkmcnt(0)
	v_mul_f64 v[99:100], v[97:98], v[101:102]
	v_fma_f64 v[99:100], v[95:96], v[93:94], -v[99:100]
	v_mul_f64 v[95:96], v[95:96], v[101:102]
	v_add_f64 v[113:114], v[113:114], -v[99:100]
	v_fma_f64 v[95:96], v[97:98], v[93:94], v[95:96]
	v_add_f64 v[115:116], v[115:116], -v[95:96]
	;; [unrolled: 8-line block ×23, first 2 shown]
	ds_read2_b64 v[95:98], v90 offset0:98 offset1:99
	s_waitcnt lgkmcnt(0)
	v_mul_f64 v[99:100], v[97:98], v[101:102]
	v_fma_f64 v[99:100], v[95:96], v[93:94], -v[99:100]
	v_mul_f64 v[95:96], v[95:96], v[101:102]
	v_add_f64 v[121:122], v[121:122], -v[99:100]
	v_fma_f64 v[95:96], v[97:98], v[93:94], v[95:96]
	v_mov_b32_e32 v100, v94
	v_mov_b32_e32 v99, v93
	buffer_store_dword v99, off, s[24:27], 0 offset:80 ; 4-byte Folded Spill
	s_nop 0
	buffer_store_dword v100, off, s[24:27], 0 offset:84 ; 4-byte Folded Spill
	buffer_store_dword v101, off, s[24:27], 0 offset:88 ; 4-byte Folded Spill
	;; [unrolled: 1-line block ×3, first 2 shown]
	v_add_f64 v[123:124], v[123:124], -v[95:96]
.LBB98_440:
	s_or_b64 exec, exec, s[0:1]
	s_waitcnt vmcnt(0)
	s_barrier
	buffer_load_dword v81, off, s[24:27], 0 offset:64 ; 4-byte Folded Reload
	buffer_load_dword v82, off, s[24:27], 0 offset:68 ; 4-byte Folded Reload
	;; [unrolled: 1-line block ×4, first 2 shown]
	v_lshl_add_u32 v93, v92, 4, v90
	s_cmp_lt_i32 s3, 23
	s_waitcnt vmcnt(0)
	ds_write2_b64 v93, v[81:82], v[83:84] offset1:1
	s_waitcnt lgkmcnt(0)
	s_barrier
	ds_read2_b64 v[117:120], v90 offset0:42 offset1:43
	v_mov_b32_e32 v93, 21
	s_cbranch_scc1 .LBB98_443
; %bb.441:
	v_add_u32_e32 v94, 0x160, v90
	s_mov_b32 s0, 22
	v_mov_b32_e32 v93, 21
.LBB98_442:                             ; =>This Inner Loop Header: Depth=1
	s_waitcnt lgkmcnt(0)
	v_cmp_gt_f64_e32 vcc, 0, v[117:118]
	v_xor_b32_e32 v99, 0x80000000, v118
	ds_read2_b64 v[95:98], v94 offset1:1
	v_xor_b32_e32 v101, 0x80000000, v120
	v_add_u32_e32 v94, 16, v94
	s_waitcnt lgkmcnt(0)
	v_xor_b32_e32 v103, 0x80000000, v98
	v_cndmask_b32_e32 v100, v118, v99, vcc
	v_cmp_gt_f64_e32 vcc, 0, v[119:120]
	v_mov_b32_e32 v99, v117
	v_cndmask_b32_e32 v102, v120, v101, vcc
	v_cmp_gt_f64_e32 vcc, 0, v[95:96]
	v_mov_b32_e32 v101, v119
	v_add_f64 v[99:100], v[99:100], v[101:102]
	v_xor_b32_e32 v101, 0x80000000, v96
	v_cndmask_b32_e32 v102, v96, v101, vcc
	v_cmp_gt_f64_e32 vcc, 0, v[97:98]
	v_mov_b32_e32 v101, v95
	v_cndmask_b32_e32 v104, v98, v103, vcc
	v_mov_b32_e32 v103, v97
	v_add_f64 v[101:102], v[101:102], v[103:104]
	v_cmp_lt_f64_e32 vcc, v[99:100], v[101:102]
	v_cndmask_b32_e32 v117, v117, v95, vcc
	v_mov_b32_e32 v95, s0
	s_add_i32 s0, s0, 1
	v_cndmask_b32_e32 v118, v118, v96, vcc
	v_cndmask_b32_e32 v120, v120, v98, vcc
	;; [unrolled: 1-line block ×4, first 2 shown]
	s_cmp_lg_u32 s3, s0
	s_cbranch_scc1 .LBB98_442
.LBB98_443:
	s_waitcnt lgkmcnt(0)
	v_cmp_eq_f64_e32 vcc, 0, v[117:118]
	v_cmp_eq_f64_e64 s[0:1], 0, v[119:120]
	s_and_b64 s[0:1], vcc, s[0:1]
	s_and_saveexec_b64 s[18:19], s[0:1]
	s_xor_b64 s[0:1], exec, s[18:19]
; %bb.444:
	v_cmp_ne_u32_e32 vcc, 0, v91
	v_cndmask_b32_e32 v91, 22, v91, vcc
; %bb.445:
	s_andn2_saveexec_b64 s[0:1], s[0:1]
	s_cbranch_execz .LBB98_451
; %bb.446:
	v_cmp_ngt_f64_e64 s[18:19], |v[117:118]|, |v[119:120]|
	s_and_saveexec_b64 s[20:21], s[18:19]
	s_xor_b64 s[18:19], exec, s[20:21]
	s_cbranch_execz .LBB98_448
; %bb.447:
	v_div_scale_f64 v[94:95], s[20:21], v[119:120], v[119:120], v[117:118]
	v_rcp_f64_e32 v[96:97], v[94:95]
	v_fma_f64 v[98:99], -v[94:95], v[96:97], 1.0
	v_fma_f64 v[96:97], v[96:97], v[98:99], v[96:97]
	v_div_scale_f64 v[98:99], vcc, v[117:118], v[119:120], v[117:118]
	v_fma_f64 v[100:101], -v[94:95], v[96:97], 1.0
	v_fma_f64 v[96:97], v[96:97], v[100:101], v[96:97]
	v_mul_f64 v[100:101], v[98:99], v[96:97]
	v_fma_f64 v[94:95], -v[94:95], v[100:101], v[98:99]
	v_div_fmas_f64 v[94:95], v[94:95], v[96:97], v[100:101]
	v_div_fixup_f64 v[94:95], v[94:95], v[119:120], v[117:118]
	v_fma_f64 v[96:97], v[117:118], v[94:95], v[119:120]
	v_div_scale_f64 v[98:99], s[20:21], v[96:97], v[96:97], 1.0
	v_div_scale_f64 v[104:105], vcc, 1.0, v[96:97], 1.0
	v_rcp_f64_e32 v[100:101], v[98:99]
	v_fma_f64 v[102:103], -v[98:99], v[100:101], 1.0
	v_fma_f64 v[100:101], v[100:101], v[102:103], v[100:101]
	v_fma_f64 v[102:103], -v[98:99], v[100:101], 1.0
	v_fma_f64 v[100:101], v[100:101], v[102:103], v[100:101]
	v_mul_f64 v[102:103], v[104:105], v[100:101]
	v_fma_f64 v[98:99], -v[98:99], v[102:103], v[104:105]
	v_div_fmas_f64 v[98:99], v[98:99], v[100:101], v[102:103]
	v_div_fixup_f64 v[119:120], v[98:99], v[96:97], 1.0
	v_mul_f64 v[117:118], v[94:95], v[119:120]
	v_xor_b32_e32 v120, 0x80000000, v120
.LBB98_448:
	s_andn2_saveexec_b64 s[18:19], s[18:19]
	s_cbranch_execz .LBB98_450
; %bb.449:
	v_div_scale_f64 v[94:95], s[20:21], v[117:118], v[117:118], v[119:120]
	v_rcp_f64_e32 v[96:97], v[94:95]
	v_fma_f64 v[98:99], -v[94:95], v[96:97], 1.0
	v_fma_f64 v[96:97], v[96:97], v[98:99], v[96:97]
	v_div_scale_f64 v[98:99], vcc, v[119:120], v[117:118], v[119:120]
	v_fma_f64 v[100:101], -v[94:95], v[96:97], 1.0
	v_fma_f64 v[96:97], v[96:97], v[100:101], v[96:97]
	v_mul_f64 v[100:101], v[98:99], v[96:97]
	v_fma_f64 v[94:95], -v[94:95], v[100:101], v[98:99]
	v_div_fmas_f64 v[94:95], v[94:95], v[96:97], v[100:101]
	v_div_fixup_f64 v[94:95], v[94:95], v[117:118], v[119:120]
	v_fma_f64 v[96:97], v[119:120], v[94:95], v[117:118]
	v_div_scale_f64 v[98:99], s[20:21], v[96:97], v[96:97], 1.0
	v_div_scale_f64 v[104:105], vcc, 1.0, v[96:97], 1.0
	v_rcp_f64_e32 v[100:101], v[98:99]
	v_fma_f64 v[102:103], -v[98:99], v[100:101], 1.0
	v_fma_f64 v[100:101], v[100:101], v[102:103], v[100:101]
	v_fma_f64 v[102:103], -v[98:99], v[100:101], 1.0
	v_fma_f64 v[100:101], v[100:101], v[102:103], v[100:101]
	v_mul_f64 v[102:103], v[104:105], v[100:101]
	v_fma_f64 v[98:99], -v[98:99], v[102:103], v[104:105]
	v_div_fmas_f64 v[98:99], v[98:99], v[100:101], v[102:103]
	v_div_fixup_f64 v[117:118], v[98:99], v[96:97], 1.0
	v_mul_f64 v[119:120], v[94:95], -v[117:118]
.LBB98_450:
	s_or_b64 exec, exec, s[18:19]
.LBB98_451:
	s_or_b64 exec, exec, s[0:1]
	v_cmp_ne_u32_e32 vcc, v92, v93
	s_and_saveexec_b64 s[0:1], vcc
	s_xor_b64 s[0:1], exec, s[0:1]
	s_cbranch_execz .LBB98_457
; %bb.452:
	v_cmp_eq_u32_e32 vcc, 21, v92
	s_and_saveexec_b64 s[18:19], vcc
	s_cbranch_execz .LBB98_456
; %bb.453:
	v_cmp_ne_u32_e32 vcc, 21, v93
	s_xor_b64 s[20:21], s[6:7], -1
	s_and_b64 s[22:23], s[20:21], vcc
	s_and_saveexec_b64 s[20:21], s[22:23]
	s_cbranch_execz .LBB98_455
; %bb.454:
	buffer_load_dword v81, off, s[24:27], 0 offset:368 ; 4-byte Folded Reload
	buffer_load_dword v82, off, s[24:27], 0 offset:372 ; 4-byte Folded Reload
	v_ashrrev_i32_e32 v94, 31, v93
	v_lshlrev_b64 v[94:95], 2, v[93:94]
	s_waitcnt vmcnt(1)
	v_add_co_u32_e32 v94, vcc, v81, v94
	s_waitcnt vmcnt(0)
	v_addc_co_u32_e32 v95, vcc, v82, v95, vcc
	global_load_dword v0, v[94:95], off
	global_load_dword v92, v[81:82], off offset:84
	s_waitcnt vmcnt(1)
	global_store_dword v[81:82], v0, off offset:84
	s_waitcnt vmcnt(1)
	global_store_dword v[94:95], v92, off
.LBB98_455:
	s_or_b64 exec, exec, s[20:21]
	v_mov_b32_e32 v92, v93
	v_mov_b32_e32 v0, v93
.LBB98_456:
	s_or_b64 exec, exec, s[18:19]
.LBB98_457:
	s_andn2_saveexec_b64 s[0:1], s[0:1]
	s_cbranch_execz .LBB98_459
; %bb.458:
	buffer_load_dword v81, off, s[24:27], 0 offset:48 ; 4-byte Folded Reload
	buffer_load_dword v82, off, s[24:27], 0 offset:52 ; 4-byte Folded Reload
	;; [unrolled: 1-line block ×4, first 2 shown]
	v_mov_b32_e32 v92, 21
	s_waitcnt vmcnt(0)
	ds_write2_b64 v90, v[81:82], v[83:84] offset0:44 offset1:45
	buffer_load_dword v81, off, s[24:27], 0 offset:32 ; 4-byte Folded Reload
	buffer_load_dword v82, off, s[24:27], 0 offset:36 ; 4-byte Folded Reload
	;; [unrolled: 1-line block ×4, first 2 shown]
	s_waitcnt vmcnt(0)
	ds_write2_b64 v90, v[81:82], v[83:84] offset0:46 offset1:47
	buffer_load_dword v81, off, s[24:27], 0 offset:16 ; 4-byte Folded Reload
	buffer_load_dword v82, off, s[24:27], 0 offset:20 ; 4-byte Folded Reload
	;; [unrolled: 1-line block ×4, first 2 shown]
	s_waitcnt vmcnt(0)
	ds_write2_b64 v90, v[81:82], v[83:84] offset0:48 offset1:49
	buffer_load_dword v81, off, s[24:27], 0 ; 4-byte Folded Reload
	buffer_load_dword v82, off, s[24:27], 0 offset:4 ; 4-byte Folded Reload
	buffer_load_dword v83, off, s[24:27], 0 offset:8 ; 4-byte Folded Reload
	;; [unrolled: 1-line block ×3, first 2 shown]
	s_waitcnt vmcnt(0)
	ds_write2_b64 v90, v[81:82], v[83:84] offset0:50 offset1:51
	ds_write2_b64 v90, v[107:108], v[109:110] offset0:52 offset1:53
	;; [unrolled: 1-line block ×25, first 2 shown]
.LBB98_459:
	s_or_b64 exec, exec, s[0:1]
	v_cmp_lt_i32_e32 vcc, 21, v92
	s_waitcnt vmcnt(0) lgkmcnt(0)
	s_barrier
	s_and_saveexec_b64 s[0:1], vcc
	s_cbranch_execz .LBB98_461
; %bb.460:
	buffer_load_dword v99, off, s[24:27], 0 offset:64 ; 4-byte Folded Reload
	buffer_load_dword v100, off, s[24:27], 0 offset:68 ; 4-byte Folded Reload
	;; [unrolled: 1-line block ×4, first 2 shown]
	s_waitcnt vmcnt(0)
	v_mul_f64 v[95:96], v[117:118], v[101:102]
	v_mul_f64 v[93:94], v[119:120], v[101:102]
	v_fma_f64 v[101:102], v[119:120], v[99:100], v[95:96]
	ds_read2_b64 v[95:98], v90 offset0:44 offset1:45
	buffer_load_dword v81, off, s[24:27], 0 offset:48 ; 4-byte Folded Reload
	buffer_load_dword v82, off, s[24:27], 0 offset:52 ; 4-byte Folded Reload
	;; [unrolled: 1-line block ×4, first 2 shown]
	v_fma_f64 v[93:94], v[117:118], v[99:100], -v[93:94]
	s_waitcnt lgkmcnt(0)
	v_mul_f64 v[99:100], v[97:98], v[101:102]
	v_fma_f64 v[99:100], v[95:96], v[93:94], -v[99:100]
	v_mul_f64 v[95:96], v[95:96], v[101:102]
	v_fma_f64 v[95:96], v[97:98], v[93:94], v[95:96]
	s_waitcnt vmcnt(2)
	v_add_f64 v[81:82], v[81:82], -v[99:100]
	s_waitcnt vmcnt(0)
	v_add_f64 v[83:84], v[83:84], -v[95:96]
	buffer_store_dword v81, off, s[24:27], 0 offset:48 ; 4-byte Folded Spill
	s_nop 0
	buffer_store_dword v82, off, s[24:27], 0 offset:52 ; 4-byte Folded Spill
	buffer_store_dword v83, off, s[24:27], 0 offset:56 ; 4-byte Folded Spill
	;; [unrolled: 1-line block ×3, first 2 shown]
	ds_read2_b64 v[95:98], v90 offset0:46 offset1:47
	buffer_load_dword v81, off, s[24:27], 0 offset:32 ; 4-byte Folded Reload
	buffer_load_dword v82, off, s[24:27], 0 offset:36 ; 4-byte Folded Reload
	;; [unrolled: 1-line block ×4, first 2 shown]
	s_waitcnt lgkmcnt(0)
	v_mul_f64 v[99:100], v[97:98], v[101:102]
	v_fma_f64 v[99:100], v[95:96], v[93:94], -v[99:100]
	v_mul_f64 v[95:96], v[95:96], v[101:102]
	v_fma_f64 v[95:96], v[97:98], v[93:94], v[95:96]
	s_waitcnt vmcnt(2)
	v_add_f64 v[81:82], v[81:82], -v[99:100]
	s_waitcnt vmcnt(0)
	v_add_f64 v[83:84], v[83:84], -v[95:96]
	buffer_store_dword v81, off, s[24:27], 0 offset:32 ; 4-byte Folded Spill
	s_nop 0
	buffer_store_dword v82, off, s[24:27], 0 offset:36 ; 4-byte Folded Spill
	buffer_store_dword v83, off, s[24:27], 0 offset:40 ; 4-byte Folded Spill
	;; [unrolled: 1-line block ×3, first 2 shown]
	ds_read2_b64 v[95:98], v90 offset0:48 offset1:49
	buffer_load_dword v81, off, s[24:27], 0 offset:16 ; 4-byte Folded Reload
	buffer_load_dword v82, off, s[24:27], 0 offset:20 ; 4-byte Folded Reload
	;; [unrolled: 1-line block ×4, first 2 shown]
	s_waitcnt lgkmcnt(0)
	v_mul_f64 v[99:100], v[97:98], v[101:102]
	v_fma_f64 v[99:100], v[95:96], v[93:94], -v[99:100]
	v_mul_f64 v[95:96], v[95:96], v[101:102]
	v_fma_f64 v[95:96], v[97:98], v[93:94], v[95:96]
	s_waitcnt vmcnt(2)
	v_add_f64 v[81:82], v[81:82], -v[99:100]
	s_waitcnt vmcnt(0)
	v_add_f64 v[83:84], v[83:84], -v[95:96]
	buffer_store_dword v81, off, s[24:27], 0 offset:16 ; 4-byte Folded Spill
	s_nop 0
	buffer_store_dword v82, off, s[24:27], 0 offset:20 ; 4-byte Folded Spill
	buffer_store_dword v83, off, s[24:27], 0 offset:24 ; 4-byte Folded Spill
	;; [unrolled: 1-line block ×3, first 2 shown]
	ds_read2_b64 v[95:98], v90 offset0:50 offset1:51
	buffer_load_dword v81, off, s[24:27], 0 ; 4-byte Folded Reload
	buffer_load_dword v82, off, s[24:27], 0 offset:4 ; 4-byte Folded Reload
	buffer_load_dword v83, off, s[24:27], 0 offset:8 ; 4-byte Folded Reload
	;; [unrolled: 1-line block ×3, first 2 shown]
	s_waitcnt lgkmcnt(0)
	v_mul_f64 v[99:100], v[97:98], v[101:102]
	v_fma_f64 v[99:100], v[95:96], v[93:94], -v[99:100]
	v_mul_f64 v[95:96], v[95:96], v[101:102]
	v_fma_f64 v[95:96], v[97:98], v[93:94], v[95:96]
	s_waitcnt vmcnt(2)
	v_add_f64 v[81:82], v[81:82], -v[99:100]
	s_waitcnt vmcnt(0)
	v_add_f64 v[83:84], v[83:84], -v[95:96]
	buffer_store_dword v81, off, s[24:27], 0 ; 4-byte Folded Spill
	s_nop 0
	buffer_store_dword v82, off, s[24:27], 0 offset:4 ; 4-byte Folded Spill
	buffer_store_dword v83, off, s[24:27], 0 offset:8 ; 4-byte Folded Spill
	;; [unrolled: 1-line block ×3, first 2 shown]
	ds_read2_b64 v[95:98], v90 offset0:52 offset1:53
	s_waitcnt lgkmcnt(0)
	v_mul_f64 v[99:100], v[97:98], v[101:102]
	v_fma_f64 v[99:100], v[95:96], v[93:94], -v[99:100]
	v_mul_f64 v[95:96], v[95:96], v[101:102]
	v_add_f64 v[107:108], v[107:108], -v[99:100]
	v_fma_f64 v[95:96], v[97:98], v[93:94], v[95:96]
	v_add_f64 v[109:110], v[109:110], -v[95:96]
	ds_read2_b64 v[95:98], v90 offset0:54 offset1:55
	s_waitcnt lgkmcnt(0)
	v_mul_f64 v[99:100], v[97:98], v[101:102]
	v_fma_f64 v[99:100], v[95:96], v[93:94], -v[99:100]
	v_mul_f64 v[95:96], v[95:96], v[101:102]
	v_add_f64 v[113:114], v[113:114], -v[99:100]
	v_fma_f64 v[95:96], v[97:98], v[93:94], v[95:96]
	v_add_f64 v[115:116], v[115:116], -v[95:96]
	ds_read2_b64 v[95:98], v90 offset0:56 offset1:57
	s_waitcnt lgkmcnt(0)
	v_mul_f64 v[99:100], v[97:98], v[101:102]
	v_fma_f64 v[99:100], v[95:96], v[93:94], -v[99:100]
	v_mul_f64 v[95:96], v[95:96], v[101:102]
	v_add_f64 v[85:86], v[85:86], -v[99:100]
	v_fma_f64 v[95:96], v[97:98], v[93:94], v[95:96]
	v_add_f64 v[87:88], v[87:88], -v[95:96]
	ds_read2_b64 v[95:98], v90 offset0:58 offset1:59
	s_waitcnt lgkmcnt(0)
	v_mul_f64 v[99:100], v[97:98], v[101:102]
	v_fma_f64 v[99:100], v[95:96], v[93:94], -v[99:100]
	v_mul_f64 v[95:96], v[95:96], v[101:102]
	v_add_f64 v[77:78], v[77:78], -v[99:100]
	v_fma_f64 v[95:96], v[97:98], v[93:94], v[95:96]
	v_add_f64 v[79:80], v[79:80], -v[95:96]
	ds_read2_b64 v[95:98], v90 offset0:60 offset1:61
	s_waitcnt lgkmcnt(0)
	v_mul_f64 v[99:100], v[97:98], v[101:102]
	v_fma_f64 v[99:100], v[95:96], v[93:94], -v[99:100]
	v_mul_f64 v[95:96], v[95:96], v[101:102]
	v_add_f64 v[73:74], v[73:74], -v[99:100]
	v_fma_f64 v[95:96], v[97:98], v[93:94], v[95:96]
	v_add_f64 v[75:76], v[75:76], -v[95:96]
	ds_read2_b64 v[95:98], v90 offset0:62 offset1:63
	s_waitcnt lgkmcnt(0)
	v_mul_f64 v[99:100], v[97:98], v[101:102]
	v_fma_f64 v[99:100], v[95:96], v[93:94], -v[99:100]
	v_mul_f64 v[95:96], v[95:96], v[101:102]
	v_add_f64 v[69:70], v[69:70], -v[99:100]
	v_fma_f64 v[95:96], v[97:98], v[93:94], v[95:96]
	v_add_f64 v[71:72], v[71:72], -v[95:96]
	ds_read2_b64 v[95:98], v90 offset0:64 offset1:65
	s_waitcnt lgkmcnt(0)
	v_mul_f64 v[99:100], v[97:98], v[101:102]
	v_fma_f64 v[99:100], v[95:96], v[93:94], -v[99:100]
	v_mul_f64 v[95:96], v[95:96], v[101:102]
	v_add_f64 v[65:66], v[65:66], -v[99:100]
	v_fma_f64 v[95:96], v[97:98], v[93:94], v[95:96]
	v_add_f64 v[67:68], v[67:68], -v[95:96]
	ds_read2_b64 v[95:98], v90 offset0:66 offset1:67
	s_waitcnt lgkmcnt(0)
	v_mul_f64 v[99:100], v[97:98], v[101:102]
	v_fma_f64 v[99:100], v[95:96], v[93:94], -v[99:100]
	v_mul_f64 v[95:96], v[95:96], v[101:102]
	v_add_f64 v[61:62], v[61:62], -v[99:100]
	v_fma_f64 v[95:96], v[97:98], v[93:94], v[95:96]
	v_add_f64 v[63:64], v[63:64], -v[95:96]
	ds_read2_b64 v[95:98], v90 offset0:68 offset1:69
	s_waitcnt lgkmcnt(0)
	v_mul_f64 v[99:100], v[97:98], v[101:102]
	v_fma_f64 v[99:100], v[95:96], v[93:94], -v[99:100]
	v_mul_f64 v[95:96], v[95:96], v[101:102]
	v_add_f64 v[57:58], v[57:58], -v[99:100]
	v_fma_f64 v[95:96], v[97:98], v[93:94], v[95:96]
	v_add_f64 v[59:60], v[59:60], -v[95:96]
	ds_read2_b64 v[95:98], v90 offset0:70 offset1:71
	s_waitcnt lgkmcnt(0)
	v_mul_f64 v[99:100], v[97:98], v[101:102]
	v_fma_f64 v[99:100], v[95:96], v[93:94], -v[99:100]
	v_mul_f64 v[95:96], v[95:96], v[101:102]
	v_add_f64 v[53:54], v[53:54], -v[99:100]
	v_fma_f64 v[95:96], v[97:98], v[93:94], v[95:96]
	v_add_f64 v[55:56], v[55:56], -v[95:96]
	ds_read2_b64 v[95:98], v90 offset0:72 offset1:73
	s_waitcnt lgkmcnt(0)
	v_mul_f64 v[99:100], v[97:98], v[101:102]
	v_fma_f64 v[99:100], v[95:96], v[93:94], -v[99:100]
	v_mul_f64 v[95:96], v[95:96], v[101:102]
	v_add_f64 v[49:50], v[49:50], -v[99:100]
	v_fma_f64 v[95:96], v[97:98], v[93:94], v[95:96]
	v_add_f64 v[51:52], v[51:52], -v[95:96]
	ds_read2_b64 v[95:98], v90 offset0:74 offset1:75
	s_waitcnt lgkmcnt(0)
	v_mul_f64 v[99:100], v[97:98], v[101:102]
	v_fma_f64 v[99:100], v[95:96], v[93:94], -v[99:100]
	v_mul_f64 v[95:96], v[95:96], v[101:102]
	v_add_f64 v[45:46], v[45:46], -v[99:100]
	v_fma_f64 v[95:96], v[97:98], v[93:94], v[95:96]
	v_add_f64 v[47:48], v[47:48], -v[95:96]
	ds_read2_b64 v[95:98], v90 offset0:76 offset1:77
	s_waitcnt lgkmcnt(0)
	v_mul_f64 v[99:100], v[97:98], v[101:102]
	v_fma_f64 v[99:100], v[95:96], v[93:94], -v[99:100]
	v_mul_f64 v[95:96], v[95:96], v[101:102]
	v_add_f64 v[41:42], v[41:42], -v[99:100]
	v_fma_f64 v[95:96], v[97:98], v[93:94], v[95:96]
	v_add_f64 v[43:44], v[43:44], -v[95:96]
	ds_read2_b64 v[95:98], v90 offset0:78 offset1:79
	s_waitcnt lgkmcnt(0)
	v_mul_f64 v[99:100], v[97:98], v[101:102]
	v_fma_f64 v[99:100], v[95:96], v[93:94], -v[99:100]
	v_mul_f64 v[95:96], v[95:96], v[101:102]
	v_add_f64 v[37:38], v[37:38], -v[99:100]
	v_fma_f64 v[95:96], v[97:98], v[93:94], v[95:96]
	v_add_f64 v[39:40], v[39:40], -v[95:96]
	ds_read2_b64 v[95:98], v90 offset0:80 offset1:81
	s_waitcnt lgkmcnt(0)
	v_mul_f64 v[99:100], v[97:98], v[101:102]
	v_fma_f64 v[99:100], v[95:96], v[93:94], -v[99:100]
	v_mul_f64 v[95:96], v[95:96], v[101:102]
	v_add_f64 v[33:34], v[33:34], -v[99:100]
	v_fma_f64 v[95:96], v[97:98], v[93:94], v[95:96]
	v_add_f64 v[35:36], v[35:36], -v[95:96]
	ds_read2_b64 v[95:98], v90 offset0:82 offset1:83
	s_waitcnt lgkmcnt(0)
	v_mul_f64 v[99:100], v[97:98], v[101:102]
	v_fma_f64 v[99:100], v[95:96], v[93:94], -v[99:100]
	v_mul_f64 v[95:96], v[95:96], v[101:102]
	v_add_f64 v[29:30], v[29:30], -v[99:100]
	v_fma_f64 v[95:96], v[97:98], v[93:94], v[95:96]
	v_add_f64 v[31:32], v[31:32], -v[95:96]
	ds_read2_b64 v[95:98], v90 offset0:84 offset1:85
	s_waitcnt lgkmcnt(0)
	v_mul_f64 v[99:100], v[97:98], v[101:102]
	v_fma_f64 v[99:100], v[95:96], v[93:94], -v[99:100]
	v_mul_f64 v[95:96], v[95:96], v[101:102]
	v_add_f64 v[25:26], v[25:26], -v[99:100]
	v_fma_f64 v[95:96], v[97:98], v[93:94], v[95:96]
	v_add_f64 v[27:28], v[27:28], -v[95:96]
	ds_read2_b64 v[95:98], v90 offset0:86 offset1:87
	s_waitcnt lgkmcnt(0)
	v_mul_f64 v[99:100], v[97:98], v[101:102]
	v_fma_f64 v[99:100], v[95:96], v[93:94], -v[99:100]
	v_mul_f64 v[95:96], v[95:96], v[101:102]
	v_add_f64 v[21:22], v[21:22], -v[99:100]
	v_fma_f64 v[95:96], v[97:98], v[93:94], v[95:96]
	v_add_f64 v[23:24], v[23:24], -v[95:96]
	ds_read2_b64 v[95:98], v90 offset0:88 offset1:89
	s_waitcnt lgkmcnt(0)
	v_mul_f64 v[99:100], v[97:98], v[101:102]
	v_fma_f64 v[99:100], v[95:96], v[93:94], -v[99:100]
	v_mul_f64 v[95:96], v[95:96], v[101:102]
	v_add_f64 v[17:18], v[17:18], -v[99:100]
	v_fma_f64 v[95:96], v[97:98], v[93:94], v[95:96]
	v_add_f64 v[19:20], v[19:20], -v[95:96]
	ds_read2_b64 v[95:98], v90 offset0:90 offset1:91
	s_waitcnt lgkmcnt(0)
	v_mul_f64 v[99:100], v[97:98], v[101:102]
	v_fma_f64 v[99:100], v[95:96], v[93:94], -v[99:100]
	v_mul_f64 v[95:96], v[95:96], v[101:102]
	v_add_f64 v[13:14], v[13:14], -v[99:100]
	v_fma_f64 v[95:96], v[97:98], v[93:94], v[95:96]
	v_add_f64 v[15:16], v[15:16], -v[95:96]
	ds_read2_b64 v[95:98], v90 offset0:92 offset1:93
	s_waitcnt lgkmcnt(0)
	v_mul_f64 v[99:100], v[97:98], v[101:102]
	v_fma_f64 v[99:100], v[95:96], v[93:94], -v[99:100]
	v_mul_f64 v[95:96], v[95:96], v[101:102]
	v_add_f64 v[9:10], v[9:10], -v[99:100]
	v_fma_f64 v[95:96], v[97:98], v[93:94], v[95:96]
	v_add_f64 v[11:12], v[11:12], -v[95:96]
	ds_read2_b64 v[95:98], v90 offset0:94 offset1:95
	s_waitcnt lgkmcnt(0)
	v_mul_f64 v[99:100], v[97:98], v[101:102]
	v_fma_f64 v[99:100], v[95:96], v[93:94], -v[99:100]
	v_mul_f64 v[95:96], v[95:96], v[101:102]
	v_add_f64 v[5:6], v[5:6], -v[99:100]
	v_fma_f64 v[95:96], v[97:98], v[93:94], v[95:96]
	v_add_f64 v[7:8], v[7:8], -v[95:96]
	ds_read2_b64 v[95:98], v90 offset0:96 offset1:97
	s_waitcnt lgkmcnt(0)
	v_mul_f64 v[99:100], v[97:98], v[101:102]
	v_fma_f64 v[99:100], v[95:96], v[93:94], -v[99:100]
	v_mul_f64 v[95:96], v[95:96], v[101:102]
	v_add_f64 v[1:2], v[1:2], -v[99:100]
	v_fma_f64 v[95:96], v[97:98], v[93:94], v[95:96]
	v_add_f64 v[3:4], v[3:4], -v[95:96]
	ds_read2_b64 v[95:98], v90 offset0:98 offset1:99
	s_waitcnt lgkmcnt(0)
	v_mul_f64 v[99:100], v[97:98], v[101:102]
	v_fma_f64 v[99:100], v[95:96], v[93:94], -v[99:100]
	v_mul_f64 v[95:96], v[95:96], v[101:102]
	v_add_f64 v[121:122], v[121:122], -v[99:100]
	v_fma_f64 v[95:96], v[97:98], v[93:94], v[95:96]
	v_mov_b32_e32 v100, v94
	v_mov_b32_e32 v99, v93
	buffer_store_dword v99, off, s[24:27], 0 offset:64 ; 4-byte Folded Spill
	s_nop 0
	buffer_store_dword v100, off, s[24:27], 0 offset:68 ; 4-byte Folded Spill
	buffer_store_dword v101, off, s[24:27], 0 offset:72 ; 4-byte Folded Spill
	;; [unrolled: 1-line block ×3, first 2 shown]
	v_add_f64 v[123:124], v[123:124], -v[95:96]
.LBB98_461:
	s_or_b64 exec, exec, s[0:1]
	s_waitcnt vmcnt(0)
	s_barrier
	buffer_load_dword v81, off, s[24:27], 0 offset:48 ; 4-byte Folded Reload
	buffer_load_dword v82, off, s[24:27], 0 offset:52 ; 4-byte Folded Reload
	;; [unrolled: 1-line block ×4, first 2 shown]
	v_lshl_add_u32 v93, v92, 4, v90
	s_cmp_lt_i32 s3, 24
	s_waitcnt vmcnt(0)
	ds_write2_b64 v93, v[81:82], v[83:84] offset1:1
	s_waitcnt lgkmcnt(0)
	s_barrier
	ds_read2_b64 v[117:120], v90 offset0:44 offset1:45
	v_mov_b32_e32 v93, 22
	s_cbranch_scc1 .LBB98_464
; %bb.462:
	v_add_u32_e32 v94, 0x170, v90
	s_mov_b32 s0, 23
	v_mov_b32_e32 v93, 22
.LBB98_463:                             ; =>This Inner Loop Header: Depth=1
	s_waitcnt lgkmcnt(0)
	v_cmp_gt_f64_e32 vcc, 0, v[117:118]
	v_xor_b32_e32 v99, 0x80000000, v118
	ds_read2_b64 v[95:98], v94 offset1:1
	v_xor_b32_e32 v101, 0x80000000, v120
	v_add_u32_e32 v94, 16, v94
	s_waitcnt lgkmcnt(0)
	v_xor_b32_e32 v103, 0x80000000, v98
	v_cndmask_b32_e32 v100, v118, v99, vcc
	v_cmp_gt_f64_e32 vcc, 0, v[119:120]
	v_mov_b32_e32 v99, v117
	v_cndmask_b32_e32 v102, v120, v101, vcc
	v_cmp_gt_f64_e32 vcc, 0, v[95:96]
	v_mov_b32_e32 v101, v119
	v_add_f64 v[99:100], v[99:100], v[101:102]
	v_xor_b32_e32 v101, 0x80000000, v96
	v_cndmask_b32_e32 v102, v96, v101, vcc
	v_cmp_gt_f64_e32 vcc, 0, v[97:98]
	v_mov_b32_e32 v101, v95
	v_cndmask_b32_e32 v104, v98, v103, vcc
	v_mov_b32_e32 v103, v97
	v_add_f64 v[101:102], v[101:102], v[103:104]
	v_cmp_lt_f64_e32 vcc, v[99:100], v[101:102]
	v_cndmask_b32_e32 v117, v117, v95, vcc
	v_mov_b32_e32 v95, s0
	s_add_i32 s0, s0, 1
	v_cndmask_b32_e32 v118, v118, v96, vcc
	v_cndmask_b32_e32 v120, v120, v98, vcc
	;; [unrolled: 1-line block ×4, first 2 shown]
	s_cmp_lg_u32 s3, s0
	s_cbranch_scc1 .LBB98_463
.LBB98_464:
	s_waitcnt lgkmcnt(0)
	v_cmp_eq_f64_e32 vcc, 0, v[117:118]
	v_cmp_eq_f64_e64 s[0:1], 0, v[119:120]
	s_and_b64 s[0:1], vcc, s[0:1]
	s_and_saveexec_b64 s[18:19], s[0:1]
	s_xor_b64 s[0:1], exec, s[18:19]
; %bb.465:
	v_cmp_ne_u32_e32 vcc, 0, v91
	v_cndmask_b32_e32 v91, 23, v91, vcc
; %bb.466:
	s_andn2_saveexec_b64 s[0:1], s[0:1]
	s_cbranch_execz .LBB98_472
; %bb.467:
	v_cmp_ngt_f64_e64 s[18:19], |v[117:118]|, |v[119:120]|
	s_and_saveexec_b64 s[20:21], s[18:19]
	s_xor_b64 s[18:19], exec, s[20:21]
	s_cbranch_execz .LBB98_469
; %bb.468:
	v_div_scale_f64 v[94:95], s[20:21], v[119:120], v[119:120], v[117:118]
	v_rcp_f64_e32 v[96:97], v[94:95]
	v_fma_f64 v[98:99], -v[94:95], v[96:97], 1.0
	v_fma_f64 v[96:97], v[96:97], v[98:99], v[96:97]
	v_div_scale_f64 v[98:99], vcc, v[117:118], v[119:120], v[117:118]
	v_fma_f64 v[100:101], -v[94:95], v[96:97], 1.0
	v_fma_f64 v[96:97], v[96:97], v[100:101], v[96:97]
	v_mul_f64 v[100:101], v[98:99], v[96:97]
	v_fma_f64 v[94:95], -v[94:95], v[100:101], v[98:99]
	v_div_fmas_f64 v[94:95], v[94:95], v[96:97], v[100:101]
	v_div_fixup_f64 v[94:95], v[94:95], v[119:120], v[117:118]
	v_fma_f64 v[96:97], v[117:118], v[94:95], v[119:120]
	v_div_scale_f64 v[98:99], s[20:21], v[96:97], v[96:97], 1.0
	v_div_scale_f64 v[104:105], vcc, 1.0, v[96:97], 1.0
	v_rcp_f64_e32 v[100:101], v[98:99]
	v_fma_f64 v[102:103], -v[98:99], v[100:101], 1.0
	v_fma_f64 v[100:101], v[100:101], v[102:103], v[100:101]
	v_fma_f64 v[102:103], -v[98:99], v[100:101], 1.0
	v_fma_f64 v[100:101], v[100:101], v[102:103], v[100:101]
	v_mul_f64 v[102:103], v[104:105], v[100:101]
	v_fma_f64 v[98:99], -v[98:99], v[102:103], v[104:105]
	v_div_fmas_f64 v[98:99], v[98:99], v[100:101], v[102:103]
	v_div_fixup_f64 v[119:120], v[98:99], v[96:97], 1.0
	v_mul_f64 v[117:118], v[94:95], v[119:120]
	v_xor_b32_e32 v120, 0x80000000, v120
.LBB98_469:
	s_andn2_saveexec_b64 s[18:19], s[18:19]
	s_cbranch_execz .LBB98_471
; %bb.470:
	v_div_scale_f64 v[94:95], s[20:21], v[117:118], v[117:118], v[119:120]
	v_rcp_f64_e32 v[96:97], v[94:95]
	v_fma_f64 v[98:99], -v[94:95], v[96:97], 1.0
	v_fma_f64 v[96:97], v[96:97], v[98:99], v[96:97]
	v_div_scale_f64 v[98:99], vcc, v[119:120], v[117:118], v[119:120]
	v_fma_f64 v[100:101], -v[94:95], v[96:97], 1.0
	v_fma_f64 v[96:97], v[96:97], v[100:101], v[96:97]
	v_mul_f64 v[100:101], v[98:99], v[96:97]
	v_fma_f64 v[94:95], -v[94:95], v[100:101], v[98:99]
	v_div_fmas_f64 v[94:95], v[94:95], v[96:97], v[100:101]
	v_div_fixup_f64 v[94:95], v[94:95], v[117:118], v[119:120]
	v_fma_f64 v[96:97], v[119:120], v[94:95], v[117:118]
	v_div_scale_f64 v[98:99], s[20:21], v[96:97], v[96:97], 1.0
	v_div_scale_f64 v[104:105], vcc, 1.0, v[96:97], 1.0
	v_rcp_f64_e32 v[100:101], v[98:99]
	v_fma_f64 v[102:103], -v[98:99], v[100:101], 1.0
	v_fma_f64 v[100:101], v[100:101], v[102:103], v[100:101]
	v_fma_f64 v[102:103], -v[98:99], v[100:101], 1.0
	v_fma_f64 v[100:101], v[100:101], v[102:103], v[100:101]
	v_mul_f64 v[102:103], v[104:105], v[100:101]
	v_fma_f64 v[98:99], -v[98:99], v[102:103], v[104:105]
	v_div_fmas_f64 v[98:99], v[98:99], v[100:101], v[102:103]
	v_div_fixup_f64 v[117:118], v[98:99], v[96:97], 1.0
	v_mul_f64 v[119:120], v[94:95], -v[117:118]
.LBB98_471:
	s_or_b64 exec, exec, s[18:19]
.LBB98_472:
	s_or_b64 exec, exec, s[0:1]
	v_cmp_ne_u32_e32 vcc, v92, v93
	s_and_saveexec_b64 s[0:1], vcc
	s_xor_b64 s[0:1], exec, s[0:1]
	s_cbranch_execz .LBB98_478
; %bb.473:
	v_cmp_eq_u32_e32 vcc, 22, v92
	s_and_saveexec_b64 s[18:19], vcc
	s_cbranch_execz .LBB98_477
; %bb.474:
	v_cmp_ne_u32_e32 vcc, 22, v93
	s_xor_b64 s[20:21], s[6:7], -1
	s_and_b64 s[22:23], s[20:21], vcc
	s_and_saveexec_b64 s[20:21], s[22:23]
	s_cbranch_execz .LBB98_476
; %bb.475:
	buffer_load_dword v81, off, s[24:27], 0 offset:368 ; 4-byte Folded Reload
	buffer_load_dword v82, off, s[24:27], 0 offset:372 ; 4-byte Folded Reload
	v_ashrrev_i32_e32 v94, 31, v93
	v_lshlrev_b64 v[94:95], 2, v[93:94]
	s_waitcnt vmcnt(1)
	v_add_co_u32_e32 v94, vcc, v81, v94
	s_waitcnt vmcnt(0)
	v_addc_co_u32_e32 v95, vcc, v82, v95, vcc
	global_load_dword v0, v[94:95], off
	global_load_dword v92, v[81:82], off offset:88
	s_waitcnt vmcnt(1)
	global_store_dword v[81:82], v0, off offset:88
	s_waitcnt vmcnt(1)
	global_store_dword v[94:95], v92, off
.LBB98_476:
	s_or_b64 exec, exec, s[20:21]
	v_mov_b32_e32 v92, v93
	v_mov_b32_e32 v0, v93
.LBB98_477:
	s_or_b64 exec, exec, s[18:19]
.LBB98_478:
	s_andn2_saveexec_b64 s[0:1], s[0:1]
	s_cbranch_execz .LBB98_480
; %bb.479:
	buffer_load_dword v81, off, s[24:27], 0 offset:32 ; 4-byte Folded Reload
	buffer_load_dword v82, off, s[24:27], 0 offset:36 ; 4-byte Folded Reload
	;; [unrolled: 1-line block ×4, first 2 shown]
	v_mov_b32_e32 v92, 22
	s_waitcnt vmcnt(0)
	ds_write2_b64 v90, v[81:82], v[83:84] offset0:46 offset1:47
	buffer_load_dword v81, off, s[24:27], 0 offset:16 ; 4-byte Folded Reload
	buffer_load_dword v82, off, s[24:27], 0 offset:20 ; 4-byte Folded Reload
	;; [unrolled: 1-line block ×4, first 2 shown]
	s_waitcnt vmcnt(0)
	ds_write2_b64 v90, v[81:82], v[83:84] offset0:48 offset1:49
	buffer_load_dword v81, off, s[24:27], 0 ; 4-byte Folded Reload
	buffer_load_dword v82, off, s[24:27], 0 offset:4 ; 4-byte Folded Reload
	buffer_load_dword v83, off, s[24:27], 0 offset:8 ; 4-byte Folded Reload
	;; [unrolled: 1-line block ×3, first 2 shown]
	s_waitcnt vmcnt(0)
	ds_write2_b64 v90, v[81:82], v[83:84] offset0:50 offset1:51
	ds_write2_b64 v90, v[107:108], v[109:110] offset0:52 offset1:53
	;; [unrolled: 1-line block ×25, first 2 shown]
.LBB98_480:
	s_or_b64 exec, exec, s[0:1]
	v_cmp_lt_i32_e32 vcc, 22, v92
	s_waitcnt vmcnt(0) lgkmcnt(0)
	s_barrier
	s_and_saveexec_b64 s[0:1], vcc
	s_cbranch_execz .LBB98_482
; %bb.481:
	buffer_load_dword v99, off, s[24:27], 0 offset:48 ; 4-byte Folded Reload
	buffer_load_dword v100, off, s[24:27], 0 offset:52 ; 4-byte Folded Reload
	;; [unrolled: 1-line block ×4, first 2 shown]
	s_waitcnt vmcnt(0)
	v_mul_f64 v[95:96], v[117:118], v[101:102]
	v_mul_f64 v[93:94], v[119:120], v[101:102]
	v_fma_f64 v[101:102], v[119:120], v[99:100], v[95:96]
	ds_read2_b64 v[95:98], v90 offset0:46 offset1:47
	buffer_load_dword v81, off, s[24:27], 0 offset:32 ; 4-byte Folded Reload
	buffer_load_dword v82, off, s[24:27], 0 offset:36 ; 4-byte Folded Reload
	;; [unrolled: 1-line block ×4, first 2 shown]
	v_fma_f64 v[93:94], v[117:118], v[99:100], -v[93:94]
	s_waitcnt lgkmcnt(0)
	v_mul_f64 v[99:100], v[97:98], v[101:102]
	v_fma_f64 v[99:100], v[95:96], v[93:94], -v[99:100]
	v_mul_f64 v[95:96], v[95:96], v[101:102]
	v_fma_f64 v[95:96], v[97:98], v[93:94], v[95:96]
	s_waitcnt vmcnt(2)
	v_add_f64 v[81:82], v[81:82], -v[99:100]
	s_waitcnt vmcnt(0)
	v_add_f64 v[83:84], v[83:84], -v[95:96]
	buffer_store_dword v81, off, s[24:27], 0 offset:32 ; 4-byte Folded Spill
	s_nop 0
	buffer_store_dword v82, off, s[24:27], 0 offset:36 ; 4-byte Folded Spill
	buffer_store_dword v83, off, s[24:27], 0 offset:40 ; 4-byte Folded Spill
	;; [unrolled: 1-line block ×3, first 2 shown]
	ds_read2_b64 v[95:98], v90 offset0:48 offset1:49
	buffer_load_dword v81, off, s[24:27], 0 offset:16 ; 4-byte Folded Reload
	buffer_load_dword v82, off, s[24:27], 0 offset:20 ; 4-byte Folded Reload
	;; [unrolled: 1-line block ×4, first 2 shown]
	s_waitcnt lgkmcnt(0)
	v_mul_f64 v[99:100], v[97:98], v[101:102]
	v_fma_f64 v[99:100], v[95:96], v[93:94], -v[99:100]
	v_mul_f64 v[95:96], v[95:96], v[101:102]
	v_fma_f64 v[95:96], v[97:98], v[93:94], v[95:96]
	s_waitcnt vmcnt(2)
	v_add_f64 v[81:82], v[81:82], -v[99:100]
	s_waitcnt vmcnt(0)
	v_add_f64 v[83:84], v[83:84], -v[95:96]
	buffer_store_dword v81, off, s[24:27], 0 offset:16 ; 4-byte Folded Spill
	s_nop 0
	buffer_store_dword v82, off, s[24:27], 0 offset:20 ; 4-byte Folded Spill
	buffer_store_dword v83, off, s[24:27], 0 offset:24 ; 4-byte Folded Spill
	;; [unrolled: 1-line block ×3, first 2 shown]
	ds_read2_b64 v[95:98], v90 offset0:50 offset1:51
	buffer_load_dword v81, off, s[24:27], 0 ; 4-byte Folded Reload
	buffer_load_dword v82, off, s[24:27], 0 offset:4 ; 4-byte Folded Reload
	buffer_load_dword v83, off, s[24:27], 0 offset:8 ; 4-byte Folded Reload
	;; [unrolled: 1-line block ×3, first 2 shown]
	s_waitcnt lgkmcnt(0)
	v_mul_f64 v[99:100], v[97:98], v[101:102]
	v_fma_f64 v[99:100], v[95:96], v[93:94], -v[99:100]
	v_mul_f64 v[95:96], v[95:96], v[101:102]
	v_fma_f64 v[95:96], v[97:98], v[93:94], v[95:96]
	s_waitcnt vmcnt(2)
	v_add_f64 v[81:82], v[81:82], -v[99:100]
	s_waitcnt vmcnt(0)
	v_add_f64 v[83:84], v[83:84], -v[95:96]
	buffer_store_dword v81, off, s[24:27], 0 ; 4-byte Folded Spill
	s_nop 0
	buffer_store_dword v82, off, s[24:27], 0 offset:4 ; 4-byte Folded Spill
	buffer_store_dword v83, off, s[24:27], 0 offset:8 ; 4-byte Folded Spill
	;; [unrolled: 1-line block ×3, first 2 shown]
	ds_read2_b64 v[95:98], v90 offset0:52 offset1:53
	s_waitcnt lgkmcnt(0)
	v_mul_f64 v[99:100], v[97:98], v[101:102]
	v_fma_f64 v[99:100], v[95:96], v[93:94], -v[99:100]
	v_mul_f64 v[95:96], v[95:96], v[101:102]
	v_add_f64 v[107:108], v[107:108], -v[99:100]
	v_fma_f64 v[95:96], v[97:98], v[93:94], v[95:96]
	v_add_f64 v[109:110], v[109:110], -v[95:96]
	ds_read2_b64 v[95:98], v90 offset0:54 offset1:55
	s_waitcnt lgkmcnt(0)
	v_mul_f64 v[99:100], v[97:98], v[101:102]
	v_fma_f64 v[99:100], v[95:96], v[93:94], -v[99:100]
	v_mul_f64 v[95:96], v[95:96], v[101:102]
	v_add_f64 v[113:114], v[113:114], -v[99:100]
	v_fma_f64 v[95:96], v[97:98], v[93:94], v[95:96]
	v_add_f64 v[115:116], v[115:116], -v[95:96]
	;; [unrolled: 8-line block ×23, first 2 shown]
	ds_read2_b64 v[95:98], v90 offset0:98 offset1:99
	s_waitcnt lgkmcnt(0)
	v_mul_f64 v[99:100], v[97:98], v[101:102]
	v_fma_f64 v[99:100], v[95:96], v[93:94], -v[99:100]
	v_mul_f64 v[95:96], v[95:96], v[101:102]
	v_add_f64 v[121:122], v[121:122], -v[99:100]
	v_fma_f64 v[95:96], v[97:98], v[93:94], v[95:96]
	v_mov_b32_e32 v100, v94
	v_mov_b32_e32 v99, v93
	buffer_store_dword v99, off, s[24:27], 0 offset:48 ; 4-byte Folded Spill
	s_nop 0
	buffer_store_dword v100, off, s[24:27], 0 offset:52 ; 4-byte Folded Spill
	buffer_store_dword v101, off, s[24:27], 0 offset:56 ; 4-byte Folded Spill
	;; [unrolled: 1-line block ×3, first 2 shown]
	v_add_f64 v[123:124], v[123:124], -v[95:96]
.LBB98_482:
	s_or_b64 exec, exec, s[0:1]
	s_waitcnt vmcnt(0)
	s_barrier
	buffer_load_dword v81, off, s[24:27], 0 offset:32 ; 4-byte Folded Reload
	buffer_load_dword v82, off, s[24:27], 0 offset:36 ; 4-byte Folded Reload
	;; [unrolled: 1-line block ×4, first 2 shown]
	v_lshl_add_u32 v93, v92, 4, v90
	s_cmp_lt_i32 s3, 25
	s_waitcnt vmcnt(0)
	ds_write2_b64 v93, v[81:82], v[83:84] offset1:1
	s_waitcnt lgkmcnt(0)
	s_barrier
	ds_read2_b64 v[117:120], v90 offset0:46 offset1:47
	v_mov_b32_e32 v93, 23
	s_cbranch_scc1 .LBB98_485
; %bb.483:
	v_add_u32_e32 v94, 0x180, v90
	s_mov_b32 s0, 24
	v_mov_b32_e32 v93, 23
.LBB98_484:                             ; =>This Inner Loop Header: Depth=1
	s_waitcnt lgkmcnt(0)
	v_cmp_gt_f64_e32 vcc, 0, v[117:118]
	v_xor_b32_e32 v99, 0x80000000, v118
	ds_read2_b64 v[95:98], v94 offset1:1
	v_xor_b32_e32 v101, 0x80000000, v120
	v_add_u32_e32 v94, 16, v94
	s_waitcnt lgkmcnt(0)
	v_xor_b32_e32 v103, 0x80000000, v98
	v_cndmask_b32_e32 v100, v118, v99, vcc
	v_cmp_gt_f64_e32 vcc, 0, v[119:120]
	v_mov_b32_e32 v99, v117
	v_cndmask_b32_e32 v102, v120, v101, vcc
	v_cmp_gt_f64_e32 vcc, 0, v[95:96]
	v_mov_b32_e32 v101, v119
	v_add_f64 v[99:100], v[99:100], v[101:102]
	v_xor_b32_e32 v101, 0x80000000, v96
	v_cndmask_b32_e32 v102, v96, v101, vcc
	v_cmp_gt_f64_e32 vcc, 0, v[97:98]
	v_mov_b32_e32 v101, v95
	v_cndmask_b32_e32 v104, v98, v103, vcc
	v_mov_b32_e32 v103, v97
	v_add_f64 v[101:102], v[101:102], v[103:104]
	v_cmp_lt_f64_e32 vcc, v[99:100], v[101:102]
	v_cndmask_b32_e32 v117, v117, v95, vcc
	v_mov_b32_e32 v95, s0
	s_add_i32 s0, s0, 1
	v_cndmask_b32_e32 v118, v118, v96, vcc
	v_cndmask_b32_e32 v120, v120, v98, vcc
	;; [unrolled: 1-line block ×4, first 2 shown]
	s_cmp_lg_u32 s3, s0
	s_cbranch_scc1 .LBB98_484
.LBB98_485:
	s_waitcnt lgkmcnt(0)
	v_cmp_eq_f64_e32 vcc, 0, v[117:118]
	v_cmp_eq_f64_e64 s[0:1], 0, v[119:120]
	s_and_b64 s[0:1], vcc, s[0:1]
	s_and_saveexec_b64 s[18:19], s[0:1]
	s_xor_b64 s[0:1], exec, s[18:19]
; %bb.486:
	v_cmp_ne_u32_e32 vcc, 0, v91
	v_cndmask_b32_e32 v91, 24, v91, vcc
; %bb.487:
	s_andn2_saveexec_b64 s[0:1], s[0:1]
	s_cbranch_execz .LBB98_493
; %bb.488:
	v_cmp_ngt_f64_e64 s[18:19], |v[117:118]|, |v[119:120]|
	s_and_saveexec_b64 s[20:21], s[18:19]
	s_xor_b64 s[18:19], exec, s[20:21]
	s_cbranch_execz .LBB98_490
; %bb.489:
	v_div_scale_f64 v[94:95], s[20:21], v[119:120], v[119:120], v[117:118]
	v_rcp_f64_e32 v[96:97], v[94:95]
	v_fma_f64 v[98:99], -v[94:95], v[96:97], 1.0
	v_fma_f64 v[96:97], v[96:97], v[98:99], v[96:97]
	v_div_scale_f64 v[98:99], vcc, v[117:118], v[119:120], v[117:118]
	v_fma_f64 v[100:101], -v[94:95], v[96:97], 1.0
	v_fma_f64 v[96:97], v[96:97], v[100:101], v[96:97]
	v_mul_f64 v[100:101], v[98:99], v[96:97]
	v_fma_f64 v[94:95], -v[94:95], v[100:101], v[98:99]
	v_div_fmas_f64 v[94:95], v[94:95], v[96:97], v[100:101]
	v_div_fixup_f64 v[94:95], v[94:95], v[119:120], v[117:118]
	v_fma_f64 v[96:97], v[117:118], v[94:95], v[119:120]
	v_div_scale_f64 v[98:99], s[20:21], v[96:97], v[96:97], 1.0
	v_div_scale_f64 v[104:105], vcc, 1.0, v[96:97], 1.0
	v_rcp_f64_e32 v[100:101], v[98:99]
	v_fma_f64 v[102:103], -v[98:99], v[100:101], 1.0
	v_fma_f64 v[100:101], v[100:101], v[102:103], v[100:101]
	v_fma_f64 v[102:103], -v[98:99], v[100:101], 1.0
	v_fma_f64 v[100:101], v[100:101], v[102:103], v[100:101]
	v_mul_f64 v[102:103], v[104:105], v[100:101]
	v_fma_f64 v[98:99], -v[98:99], v[102:103], v[104:105]
	v_div_fmas_f64 v[98:99], v[98:99], v[100:101], v[102:103]
	v_div_fixup_f64 v[119:120], v[98:99], v[96:97], 1.0
	v_mul_f64 v[117:118], v[94:95], v[119:120]
	v_xor_b32_e32 v120, 0x80000000, v120
.LBB98_490:
	s_andn2_saveexec_b64 s[18:19], s[18:19]
	s_cbranch_execz .LBB98_492
; %bb.491:
	v_div_scale_f64 v[94:95], s[20:21], v[117:118], v[117:118], v[119:120]
	v_rcp_f64_e32 v[96:97], v[94:95]
	v_fma_f64 v[98:99], -v[94:95], v[96:97], 1.0
	v_fma_f64 v[96:97], v[96:97], v[98:99], v[96:97]
	v_div_scale_f64 v[98:99], vcc, v[119:120], v[117:118], v[119:120]
	v_fma_f64 v[100:101], -v[94:95], v[96:97], 1.0
	v_fma_f64 v[96:97], v[96:97], v[100:101], v[96:97]
	v_mul_f64 v[100:101], v[98:99], v[96:97]
	v_fma_f64 v[94:95], -v[94:95], v[100:101], v[98:99]
	v_div_fmas_f64 v[94:95], v[94:95], v[96:97], v[100:101]
	v_div_fixup_f64 v[94:95], v[94:95], v[117:118], v[119:120]
	v_fma_f64 v[96:97], v[119:120], v[94:95], v[117:118]
	v_div_scale_f64 v[98:99], s[20:21], v[96:97], v[96:97], 1.0
	v_div_scale_f64 v[104:105], vcc, 1.0, v[96:97], 1.0
	v_rcp_f64_e32 v[100:101], v[98:99]
	v_fma_f64 v[102:103], -v[98:99], v[100:101], 1.0
	v_fma_f64 v[100:101], v[100:101], v[102:103], v[100:101]
	v_fma_f64 v[102:103], -v[98:99], v[100:101], 1.0
	v_fma_f64 v[100:101], v[100:101], v[102:103], v[100:101]
	v_mul_f64 v[102:103], v[104:105], v[100:101]
	v_fma_f64 v[98:99], -v[98:99], v[102:103], v[104:105]
	v_div_fmas_f64 v[98:99], v[98:99], v[100:101], v[102:103]
	v_div_fixup_f64 v[117:118], v[98:99], v[96:97], 1.0
	v_mul_f64 v[119:120], v[94:95], -v[117:118]
.LBB98_492:
	s_or_b64 exec, exec, s[18:19]
.LBB98_493:
	s_or_b64 exec, exec, s[0:1]
	v_cmp_ne_u32_e32 vcc, v92, v93
	s_and_saveexec_b64 s[0:1], vcc
	s_xor_b64 s[0:1], exec, s[0:1]
	s_cbranch_execz .LBB98_499
; %bb.494:
	v_cmp_eq_u32_e32 vcc, 23, v92
	s_and_saveexec_b64 s[18:19], vcc
	s_cbranch_execz .LBB98_498
; %bb.495:
	v_cmp_ne_u32_e32 vcc, 23, v93
	s_xor_b64 s[20:21], s[6:7], -1
	s_and_b64 s[22:23], s[20:21], vcc
	s_and_saveexec_b64 s[20:21], s[22:23]
	s_cbranch_execz .LBB98_497
; %bb.496:
	buffer_load_dword v81, off, s[24:27], 0 offset:368 ; 4-byte Folded Reload
	buffer_load_dword v82, off, s[24:27], 0 offset:372 ; 4-byte Folded Reload
	v_ashrrev_i32_e32 v94, 31, v93
	v_lshlrev_b64 v[94:95], 2, v[93:94]
	s_waitcnt vmcnt(1)
	v_add_co_u32_e32 v94, vcc, v81, v94
	s_waitcnt vmcnt(0)
	v_addc_co_u32_e32 v95, vcc, v82, v95, vcc
	global_load_dword v0, v[94:95], off
	global_load_dword v92, v[81:82], off offset:92
	s_waitcnt vmcnt(1)
	global_store_dword v[81:82], v0, off offset:92
	s_waitcnt vmcnt(1)
	global_store_dword v[94:95], v92, off
.LBB98_497:
	s_or_b64 exec, exec, s[20:21]
	v_mov_b32_e32 v92, v93
	v_mov_b32_e32 v0, v93
.LBB98_498:
	s_or_b64 exec, exec, s[18:19]
.LBB98_499:
	s_andn2_saveexec_b64 s[0:1], s[0:1]
	s_cbranch_execz .LBB98_501
; %bb.500:
	buffer_load_dword v81, off, s[24:27], 0 offset:16 ; 4-byte Folded Reload
	buffer_load_dword v82, off, s[24:27], 0 offset:20 ; 4-byte Folded Reload
	;; [unrolled: 1-line block ×4, first 2 shown]
	v_mov_b32_e32 v92, 23
	s_waitcnt vmcnt(0)
	ds_write2_b64 v90, v[81:82], v[83:84] offset0:48 offset1:49
	buffer_load_dword v81, off, s[24:27], 0 ; 4-byte Folded Reload
	buffer_load_dword v82, off, s[24:27], 0 offset:4 ; 4-byte Folded Reload
	buffer_load_dword v83, off, s[24:27], 0 offset:8 ; 4-byte Folded Reload
	;; [unrolled: 1-line block ×3, first 2 shown]
	s_waitcnt vmcnt(0)
	ds_write2_b64 v90, v[81:82], v[83:84] offset0:50 offset1:51
	ds_write2_b64 v90, v[107:108], v[109:110] offset0:52 offset1:53
	;; [unrolled: 1-line block ×25, first 2 shown]
.LBB98_501:
	s_or_b64 exec, exec, s[0:1]
	v_cmp_lt_i32_e32 vcc, 23, v92
	s_waitcnt vmcnt(0) lgkmcnt(0)
	s_barrier
	s_and_saveexec_b64 s[0:1], vcc
	s_cbranch_execz .LBB98_503
; %bb.502:
	buffer_load_dword v99, off, s[24:27], 0 offset:32 ; 4-byte Folded Reload
	buffer_load_dword v100, off, s[24:27], 0 offset:36 ; 4-byte Folded Reload
	;; [unrolled: 1-line block ×4, first 2 shown]
	s_waitcnt vmcnt(0)
	v_mul_f64 v[95:96], v[117:118], v[101:102]
	v_mul_f64 v[93:94], v[119:120], v[101:102]
	v_fma_f64 v[101:102], v[119:120], v[99:100], v[95:96]
	ds_read2_b64 v[95:98], v90 offset0:48 offset1:49
	buffer_load_dword v81, off, s[24:27], 0 offset:16 ; 4-byte Folded Reload
	buffer_load_dword v82, off, s[24:27], 0 offset:20 ; 4-byte Folded Reload
	;; [unrolled: 1-line block ×4, first 2 shown]
	v_fma_f64 v[93:94], v[117:118], v[99:100], -v[93:94]
	s_waitcnt lgkmcnt(0)
	v_mul_f64 v[99:100], v[97:98], v[101:102]
	v_fma_f64 v[99:100], v[95:96], v[93:94], -v[99:100]
	v_mul_f64 v[95:96], v[95:96], v[101:102]
	v_fma_f64 v[95:96], v[97:98], v[93:94], v[95:96]
	s_waitcnt vmcnt(2)
	v_add_f64 v[81:82], v[81:82], -v[99:100]
	s_waitcnt vmcnt(0)
	v_add_f64 v[83:84], v[83:84], -v[95:96]
	buffer_store_dword v81, off, s[24:27], 0 offset:16 ; 4-byte Folded Spill
	s_nop 0
	buffer_store_dword v82, off, s[24:27], 0 offset:20 ; 4-byte Folded Spill
	buffer_store_dword v83, off, s[24:27], 0 offset:24 ; 4-byte Folded Spill
	;; [unrolled: 1-line block ×3, first 2 shown]
	ds_read2_b64 v[95:98], v90 offset0:50 offset1:51
	buffer_load_dword v81, off, s[24:27], 0 ; 4-byte Folded Reload
	buffer_load_dword v82, off, s[24:27], 0 offset:4 ; 4-byte Folded Reload
	buffer_load_dword v83, off, s[24:27], 0 offset:8 ; 4-byte Folded Reload
	;; [unrolled: 1-line block ×3, first 2 shown]
	s_waitcnt lgkmcnt(0)
	v_mul_f64 v[99:100], v[97:98], v[101:102]
	v_fma_f64 v[99:100], v[95:96], v[93:94], -v[99:100]
	v_mul_f64 v[95:96], v[95:96], v[101:102]
	v_fma_f64 v[95:96], v[97:98], v[93:94], v[95:96]
	s_waitcnt vmcnt(2)
	v_add_f64 v[81:82], v[81:82], -v[99:100]
	s_waitcnt vmcnt(0)
	v_add_f64 v[83:84], v[83:84], -v[95:96]
	buffer_store_dword v81, off, s[24:27], 0 ; 4-byte Folded Spill
	s_nop 0
	buffer_store_dword v82, off, s[24:27], 0 offset:4 ; 4-byte Folded Spill
	buffer_store_dword v83, off, s[24:27], 0 offset:8 ; 4-byte Folded Spill
	;; [unrolled: 1-line block ×3, first 2 shown]
	ds_read2_b64 v[95:98], v90 offset0:52 offset1:53
	s_waitcnt lgkmcnt(0)
	v_mul_f64 v[99:100], v[97:98], v[101:102]
	v_fma_f64 v[99:100], v[95:96], v[93:94], -v[99:100]
	v_mul_f64 v[95:96], v[95:96], v[101:102]
	v_add_f64 v[107:108], v[107:108], -v[99:100]
	v_fma_f64 v[95:96], v[97:98], v[93:94], v[95:96]
	v_add_f64 v[109:110], v[109:110], -v[95:96]
	ds_read2_b64 v[95:98], v90 offset0:54 offset1:55
	s_waitcnt lgkmcnt(0)
	v_mul_f64 v[99:100], v[97:98], v[101:102]
	v_fma_f64 v[99:100], v[95:96], v[93:94], -v[99:100]
	v_mul_f64 v[95:96], v[95:96], v[101:102]
	v_add_f64 v[113:114], v[113:114], -v[99:100]
	v_fma_f64 v[95:96], v[97:98], v[93:94], v[95:96]
	v_add_f64 v[115:116], v[115:116], -v[95:96]
	;; [unrolled: 8-line block ×23, first 2 shown]
	ds_read2_b64 v[95:98], v90 offset0:98 offset1:99
	s_waitcnt lgkmcnt(0)
	v_mul_f64 v[99:100], v[97:98], v[101:102]
	v_fma_f64 v[99:100], v[95:96], v[93:94], -v[99:100]
	v_mul_f64 v[95:96], v[95:96], v[101:102]
	v_add_f64 v[121:122], v[121:122], -v[99:100]
	v_fma_f64 v[95:96], v[97:98], v[93:94], v[95:96]
	v_mov_b32_e32 v100, v94
	v_mov_b32_e32 v99, v93
	buffer_store_dword v99, off, s[24:27], 0 offset:32 ; 4-byte Folded Spill
	s_nop 0
	buffer_store_dword v100, off, s[24:27], 0 offset:36 ; 4-byte Folded Spill
	buffer_store_dword v101, off, s[24:27], 0 offset:40 ; 4-byte Folded Spill
	;; [unrolled: 1-line block ×3, first 2 shown]
	v_add_f64 v[123:124], v[123:124], -v[95:96]
.LBB98_503:
	s_or_b64 exec, exec, s[0:1]
	s_waitcnt vmcnt(0)
	s_barrier
	buffer_load_dword v81, off, s[24:27], 0 offset:16 ; 4-byte Folded Reload
	buffer_load_dword v82, off, s[24:27], 0 offset:20 ; 4-byte Folded Reload
	;; [unrolled: 1-line block ×4, first 2 shown]
	v_lshl_add_u32 v93, v92, 4, v90
	s_cmp_lt_i32 s3, 26
	s_waitcnt vmcnt(0)
	ds_write2_b64 v93, v[81:82], v[83:84] offset1:1
	s_waitcnt lgkmcnt(0)
	s_barrier
	ds_read2_b64 v[117:120], v90 offset0:48 offset1:49
	v_mov_b32_e32 v93, 24
	s_cbranch_scc1 .LBB98_506
; %bb.504:
	v_add_u32_e32 v94, 0x190, v90
	s_mov_b32 s0, 25
	v_mov_b32_e32 v93, 24
.LBB98_505:                             ; =>This Inner Loop Header: Depth=1
	s_waitcnt lgkmcnt(0)
	v_cmp_gt_f64_e32 vcc, 0, v[117:118]
	v_xor_b32_e32 v99, 0x80000000, v118
	ds_read2_b64 v[95:98], v94 offset1:1
	v_xor_b32_e32 v101, 0x80000000, v120
	v_add_u32_e32 v94, 16, v94
	s_waitcnt lgkmcnt(0)
	v_xor_b32_e32 v103, 0x80000000, v98
	v_cndmask_b32_e32 v100, v118, v99, vcc
	v_cmp_gt_f64_e32 vcc, 0, v[119:120]
	v_mov_b32_e32 v99, v117
	v_cndmask_b32_e32 v102, v120, v101, vcc
	v_cmp_gt_f64_e32 vcc, 0, v[95:96]
	v_mov_b32_e32 v101, v119
	v_add_f64 v[99:100], v[99:100], v[101:102]
	v_xor_b32_e32 v101, 0x80000000, v96
	v_cndmask_b32_e32 v102, v96, v101, vcc
	v_cmp_gt_f64_e32 vcc, 0, v[97:98]
	v_mov_b32_e32 v101, v95
	v_cndmask_b32_e32 v104, v98, v103, vcc
	v_mov_b32_e32 v103, v97
	v_add_f64 v[101:102], v[101:102], v[103:104]
	v_cmp_lt_f64_e32 vcc, v[99:100], v[101:102]
	v_cndmask_b32_e32 v117, v117, v95, vcc
	v_mov_b32_e32 v95, s0
	s_add_i32 s0, s0, 1
	v_cndmask_b32_e32 v118, v118, v96, vcc
	v_cndmask_b32_e32 v120, v120, v98, vcc
	v_cndmask_b32_e32 v119, v119, v97, vcc
	v_cndmask_b32_e32 v93, v93, v95, vcc
	s_cmp_lg_u32 s3, s0
	s_cbranch_scc1 .LBB98_505
.LBB98_506:
	s_waitcnt lgkmcnt(0)
	v_cmp_eq_f64_e32 vcc, 0, v[117:118]
	v_cmp_eq_f64_e64 s[0:1], 0, v[119:120]
	s_and_b64 s[0:1], vcc, s[0:1]
	s_and_saveexec_b64 s[18:19], s[0:1]
	s_xor_b64 s[0:1], exec, s[18:19]
; %bb.507:
	v_cmp_ne_u32_e32 vcc, 0, v91
	v_cndmask_b32_e32 v91, 25, v91, vcc
; %bb.508:
	s_andn2_saveexec_b64 s[0:1], s[0:1]
	s_cbranch_execz .LBB98_514
; %bb.509:
	v_cmp_ngt_f64_e64 s[18:19], |v[117:118]|, |v[119:120]|
	s_and_saveexec_b64 s[20:21], s[18:19]
	s_xor_b64 s[18:19], exec, s[20:21]
	s_cbranch_execz .LBB98_511
; %bb.510:
	v_div_scale_f64 v[94:95], s[20:21], v[119:120], v[119:120], v[117:118]
	v_rcp_f64_e32 v[96:97], v[94:95]
	v_fma_f64 v[98:99], -v[94:95], v[96:97], 1.0
	v_fma_f64 v[96:97], v[96:97], v[98:99], v[96:97]
	v_div_scale_f64 v[98:99], vcc, v[117:118], v[119:120], v[117:118]
	v_fma_f64 v[100:101], -v[94:95], v[96:97], 1.0
	v_fma_f64 v[96:97], v[96:97], v[100:101], v[96:97]
	v_mul_f64 v[100:101], v[98:99], v[96:97]
	v_fma_f64 v[94:95], -v[94:95], v[100:101], v[98:99]
	v_div_fmas_f64 v[94:95], v[94:95], v[96:97], v[100:101]
	v_div_fixup_f64 v[94:95], v[94:95], v[119:120], v[117:118]
	v_fma_f64 v[96:97], v[117:118], v[94:95], v[119:120]
	v_div_scale_f64 v[98:99], s[20:21], v[96:97], v[96:97], 1.0
	v_div_scale_f64 v[104:105], vcc, 1.0, v[96:97], 1.0
	v_rcp_f64_e32 v[100:101], v[98:99]
	v_fma_f64 v[102:103], -v[98:99], v[100:101], 1.0
	v_fma_f64 v[100:101], v[100:101], v[102:103], v[100:101]
	v_fma_f64 v[102:103], -v[98:99], v[100:101], 1.0
	v_fma_f64 v[100:101], v[100:101], v[102:103], v[100:101]
	v_mul_f64 v[102:103], v[104:105], v[100:101]
	v_fma_f64 v[98:99], -v[98:99], v[102:103], v[104:105]
	v_div_fmas_f64 v[98:99], v[98:99], v[100:101], v[102:103]
	v_div_fixup_f64 v[119:120], v[98:99], v[96:97], 1.0
	v_mul_f64 v[117:118], v[94:95], v[119:120]
	v_xor_b32_e32 v120, 0x80000000, v120
.LBB98_511:
	s_andn2_saveexec_b64 s[18:19], s[18:19]
	s_cbranch_execz .LBB98_513
; %bb.512:
	v_div_scale_f64 v[94:95], s[20:21], v[117:118], v[117:118], v[119:120]
	v_rcp_f64_e32 v[96:97], v[94:95]
	v_fma_f64 v[98:99], -v[94:95], v[96:97], 1.0
	v_fma_f64 v[96:97], v[96:97], v[98:99], v[96:97]
	v_div_scale_f64 v[98:99], vcc, v[119:120], v[117:118], v[119:120]
	v_fma_f64 v[100:101], -v[94:95], v[96:97], 1.0
	v_fma_f64 v[96:97], v[96:97], v[100:101], v[96:97]
	v_mul_f64 v[100:101], v[98:99], v[96:97]
	v_fma_f64 v[94:95], -v[94:95], v[100:101], v[98:99]
	v_div_fmas_f64 v[94:95], v[94:95], v[96:97], v[100:101]
	v_div_fixup_f64 v[94:95], v[94:95], v[117:118], v[119:120]
	v_fma_f64 v[96:97], v[119:120], v[94:95], v[117:118]
	v_div_scale_f64 v[98:99], s[20:21], v[96:97], v[96:97], 1.0
	v_div_scale_f64 v[104:105], vcc, 1.0, v[96:97], 1.0
	v_rcp_f64_e32 v[100:101], v[98:99]
	v_fma_f64 v[102:103], -v[98:99], v[100:101], 1.0
	v_fma_f64 v[100:101], v[100:101], v[102:103], v[100:101]
	v_fma_f64 v[102:103], -v[98:99], v[100:101], 1.0
	v_fma_f64 v[100:101], v[100:101], v[102:103], v[100:101]
	v_mul_f64 v[102:103], v[104:105], v[100:101]
	v_fma_f64 v[98:99], -v[98:99], v[102:103], v[104:105]
	v_div_fmas_f64 v[98:99], v[98:99], v[100:101], v[102:103]
	v_div_fixup_f64 v[117:118], v[98:99], v[96:97], 1.0
	v_mul_f64 v[119:120], v[94:95], -v[117:118]
.LBB98_513:
	s_or_b64 exec, exec, s[18:19]
.LBB98_514:
	s_or_b64 exec, exec, s[0:1]
	v_cmp_ne_u32_e32 vcc, v92, v93
	s_and_saveexec_b64 s[0:1], vcc
	s_xor_b64 s[0:1], exec, s[0:1]
	s_cbranch_execz .LBB98_520
; %bb.515:
	v_cmp_eq_u32_e32 vcc, 24, v92
	s_and_saveexec_b64 s[18:19], vcc
	s_cbranch_execz .LBB98_519
; %bb.516:
	v_cmp_ne_u32_e32 vcc, 24, v93
	s_xor_b64 s[20:21], s[6:7], -1
	s_and_b64 s[22:23], s[20:21], vcc
	s_and_saveexec_b64 s[20:21], s[22:23]
	s_cbranch_execz .LBB98_518
; %bb.517:
	buffer_load_dword v81, off, s[24:27], 0 offset:368 ; 4-byte Folded Reload
	buffer_load_dword v82, off, s[24:27], 0 offset:372 ; 4-byte Folded Reload
	v_ashrrev_i32_e32 v94, 31, v93
	v_lshlrev_b64 v[94:95], 2, v[93:94]
	s_waitcnt vmcnt(1)
	v_add_co_u32_e32 v94, vcc, v81, v94
	s_waitcnt vmcnt(0)
	v_addc_co_u32_e32 v95, vcc, v82, v95, vcc
	global_load_dword v0, v[94:95], off
	global_load_dword v92, v[81:82], off offset:96
	s_waitcnt vmcnt(1)
	global_store_dword v[81:82], v0, off offset:96
	s_waitcnt vmcnt(1)
	global_store_dword v[94:95], v92, off
.LBB98_518:
	s_or_b64 exec, exec, s[20:21]
	v_mov_b32_e32 v92, v93
	v_mov_b32_e32 v0, v93
.LBB98_519:
	s_or_b64 exec, exec, s[18:19]
.LBB98_520:
	s_andn2_saveexec_b64 s[0:1], s[0:1]
	s_cbranch_execz .LBB98_522
; %bb.521:
	buffer_load_dword v81, off, s[24:27], 0 ; 4-byte Folded Reload
	buffer_load_dword v82, off, s[24:27], 0 offset:4 ; 4-byte Folded Reload
	buffer_load_dword v83, off, s[24:27], 0 offset:8 ; 4-byte Folded Reload
	;; [unrolled: 1-line block ×3, first 2 shown]
	v_mov_b32_e32 v92, 24
	s_waitcnt vmcnt(0)
	ds_write2_b64 v90, v[81:82], v[83:84] offset0:50 offset1:51
	ds_write2_b64 v90, v[107:108], v[109:110] offset0:52 offset1:53
	;; [unrolled: 1-line block ×25, first 2 shown]
.LBB98_522:
	s_or_b64 exec, exec, s[0:1]
	v_cmp_lt_i32_e32 vcc, 24, v92
	s_waitcnt vmcnt(0) lgkmcnt(0)
	s_barrier
	s_and_saveexec_b64 s[0:1], vcc
	s_cbranch_execz .LBB98_524
; %bb.523:
	buffer_load_dword v99, off, s[24:27], 0 offset:16 ; 4-byte Folded Reload
	buffer_load_dword v100, off, s[24:27], 0 offset:20 ; 4-byte Folded Reload
	buffer_load_dword v101, off, s[24:27], 0 offset:24 ; 4-byte Folded Reload
	buffer_load_dword v102, off, s[24:27], 0 offset:28 ; 4-byte Folded Reload
	s_waitcnt vmcnt(0)
	v_mul_f64 v[95:96], v[117:118], v[101:102]
	v_mul_f64 v[93:94], v[119:120], v[101:102]
	v_fma_f64 v[101:102], v[119:120], v[99:100], v[95:96]
	ds_read2_b64 v[95:98], v90 offset0:50 offset1:51
	buffer_load_dword v81, off, s[24:27], 0 ; 4-byte Folded Reload
	buffer_load_dword v82, off, s[24:27], 0 offset:4 ; 4-byte Folded Reload
	buffer_load_dword v83, off, s[24:27], 0 offset:8 ; 4-byte Folded Reload
	;; [unrolled: 1-line block ×3, first 2 shown]
	v_fma_f64 v[93:94], v[117:118], v[99:100], -v[93:94]
	s_waitcnt lgkmcnt(0)
	v_mul_f64 v[99:100], v[97:98], v[101:102]
	v_fma_f64 v[99:100], v[95:96], v[93:94], -v[99:100]
	v_mul_f64 v[95:96], v[95:96], v[101:102]
	v_fma_f64 v[95:96], v[97:98], v[93:94], v[95:96]
	s_waitcnt vmcnt(2)
	v_add_f64 v[81:82], v[81:82], -v[99:100]
	s_waitcnt vmcnt(0)
	v_add_f64 v[83:84], v[83:84], -v[95:96]
	buffer_store_dword v81, off, s[24:27], 0 ; 4-byte Folded Spill
	s_nop 0
	buffer_store_dword v82, off, s[24:27], 0 offset:4 ; 4-byte Folded Spill
	buffer_store_dword v83, off, s[24:27], 0 offset:8 ; 4-byte Folded Spill
	;; [unrolled: 1-line block ×3, first 2 shown]
	ds_read2_b64 v[95:98], v90 offset0:52 offset1:53
	s_waitcnt lgkmcnt(0)
	v_mul_f64 v[99:100], v[97:98], v[101:102]
	v_fma_f64 v[99:100], v[95:96], v[93:94], -v[99:100]
	v_mul_f64 v[95:96], v[95:96], v[101:102]
	v_add_f64 v[107:108], v[107:108], -v[99:100]
	v_fma_f64 v[95:96], v[97:98], v[93:94], v[95:96]
	v_add_f64 v[109:110], v[109:110], -v[95:96]
	ds_read2_b64 v[95:98], v90 offset0:54 offset1:55
	s_waitcnt lgkmcnt(0)
	v_mul_f64 v[99:100], v[97:98], v[101:102]
	v_fma_f64 v[99:100], v[95:96], v[93:94], -v[99:100]
	v_mul_f64 v[95:96], v[95:96], v[101:102]
	v_add_f64 v[113:114], v[113:114], -v[99:100]
	v_fma_f64 v[95:96], v[97:98], v[93:94], v[95:96]
	v_add_f64 v[115:116], v[115:116], -v[95:96]
	;; [unrolled: 8-line block ×23, first 2 shown]
	ds_read2_b64 v[95:98], v90 offset0:98 offset1:99
	s_waitcnt lgkmcnt(0)
	v_mul_f64 v[99:100], v[97:98], v[101:102]
	v_fma_f64 v[99:100], v[95:96], v[93:94], -v[99:100]
	v_mul_f64 v[95:96], v[95:96], v[101:102]
	v_add_f64 v[121:122], v[121:122], -v[99:100]
	v_fma_f64 v[95:96], v[97:98], v[93:94], v[95:96]
	v_mov_b32_e32 v100, v94
	v_mov_b32_e32 v99, v93
	buffer_store_dword v99, off, s[24:27], 0 offset:16 ; 4-byte Folded Spill
	s_nop 0
	buffer_store_dword v100, off, s[24:27], 0 offset:20 ; 4-byte Folded Spill
	buffer_store_dword v101, off, s[24:27], 0 offset:24 ; 4-byte Folded Spill
	;; [unrolled: 1-line block ×3, first 2 shown]
	v_add_f64 v[123:124], v[123:124], -v[95:96]
.LBB98_524:
	s_or_b64 exec, exec, s[0:1]
	s_waitcnt vmcnt(0)
	s_barrier
	buffer_load_dword v81, off, s[24:27], 0 ; 4-byte Folded Reload
	buffer_load_dword v82, off, s[24:27], 0 offset:4 ; 4-byte Folded Reload
	buffer_load_dword v83, off, s[24:27], 0 offset:8 ; 4-byte Folded Reload
	;; [unrolled: 1-line block ×3, first 2 shown]
	v_lshl_add_u32 v93, v92, 4, v90
	s_cmp_lt_i32 s3, 27
	s_waitcnt vmcnt(0)
	ds_write2_b64 v93, v[81:82], v[83:84] offset1:1
	s_waitcnt lgkmcnt(0)
	s_barrier
	ds_read2_b64 v[117:120], v90 offset0:50 offset1:51
	v_mov_b32_e32 v93, 25
	s_cbranch_scc1 .LBB98_527
; %bb.525:
	v_add_u32_e32 v94, 0x1a0, v90
	s_mov_b32 s0, 26
	v_mov_b32_e32 v93, 25
.LBB98_526:                             ; =>This Inner Loop Header: Depth=1
	s_waitcnt lgkmcnt(0)
	v_cmp_gt_f64_e32 vcc, 0, v[117:118]
	v_xor_b32_e32 v99, 0x80000000, v118
	ds_read2_b64 v[95:98], v94 offset1:1
	v_xor_b32_e32 v101, 0x80000000, v120
	v_add_u32_e32 v94, 16, v94
	s_waitcnt lgkmcnt(0)
	v_xor_b32_e32 v103, 0x80000000, v98
	v_cndmask_b32_e32 v100, v118, v99, vcc
	v_cmp_gt_f64_e32 vcc, 0, v[119:120]
	v_mov_b32_e32 v99, v117
	v_cndmask_b32_e32 v102, v120, v101, vcc
	v_cmp_gt_f64_e32 vcc, 0, v[95:96]
	v_mov_b32_e32 v101, v119
	v_add_f64 v[99:100], v[99:100], v[101:102]
	v_xor_b32_e32 v101, 0x80000000, v96
	v_cndmask_b32_e32 v102, v96, v101, vcc
	v_cmp_gt_f64_e32 vcc, 0, v[97:98]
	v_mov_b32_e32 v101, v95
	v_cndmask_b32_e32 v104, v98, v103, vcc
	v_mov_b32_e32 v103, v97
	v_add_f64 v[101:102], v[101:102], v[103:104]
	v_cmp_lt_f64_e32 vcc, v[99:100], v[101:102]
	v_cndmask_b32_e32 v117, v117, v95, vcc
	v_mov_b32_e32 v95, s0
	s_add_i32 s0, s0, 1
	v_cndmask_b32_e32 v118, v118, v96, vcc
	v_cndmask_b32_e32 v120, v120, v98, vcc
	;; [unrolled: 1-line block ×4, first 2 shown]
	s_cmp_lg_u32 s3, s0
	s_cbranch_scc1 .LBB98_526
.LBB98_527:
	s_waitcnt lgkmcnt(0)
	v_cmp_eq_f64_e32 vcc, 0, v[117:118]
	v_cmp_eq_f64_e64 s[0:1], 0, v[119:120]
	s_and_b64 s[0:1], vcc, s[0:1]
	s_and_saveexec_b64 s[18:19], s[0:1]
	s_xor_b64 s[0:1], exec, s[18:19]
; %bb.528:
	v_cmp_ne_u32_e32 vcc, 0, v91
	v_cndmask_b32_e32 v91, 26, v91, vcc
; %bb.529:
	s_andn2_saveexec_b64 s[0:1], s[0:1]
	s_cbranch_execz .LBB98_535
; %bb.530:
	v_cmp_ngt_f64_e64 s[18:19], |v[117:118]|, |v[119:120]|
	s_and_saveexec_b64 s[20:21], s[18:19]
	s_xor_b64 s[18:19], exec, s[20:21]
	s_cbranch_execz .LBB98_532
; %bb.531:
	v_div_scale_f64 v[94:95], s[20:21], v[119:120], v[119:120], v[117:118]
	v_rcp_f64_e32 v[96:97], v[94:95]
	v_fma_f64 v[98:99], -v[94:95], v[96:97], 1.0
	v_fma_f64 v[96:97], v[96:97], v[98:99], v[96:97]
	v_div_scale_f64 v[98:99], vcc, v[117:118], v[119:120], v[117:118]
	v_fma_f64 v[100:101], -v[94:95], v[96:97], 1.0
	v_fma_f64 v[96:97], v[96:97], v[100:101], v[96:97]
	v_mul_f64 v[100:101], v[98:99], v[96:97]
	v_fma_f64 v[94:95], -v[94:95], v[100:101], v[98:99]
	v_div_fmas_f64 v[94:95], v[94:95], v[96:97], v[100:101]
	v_div_fixup_f64 v[94:95], v[94:95], v[119:120], v[117:118]
	v_fma_f64 v[96:97], v[117:118], v[94:95], v[119:120]
	v_div_scale_f64 v[98:99], s[20:21], v[96:97], v[96:97], 1.0
	v_div_scale_f64 v[104:105], vcc, 1.0, v[96:97], 1.0
	v_rcp_f64_e32 v[100:101], v[98:99]
	v_fma_f64 v[102:103], -v[98:99], v[100:101], 1.0
	v_fma_f64 v[100:101], v[100:101], v[102:103], v[100:101]
	v_fma_f64 v[102:103], -v[98:99], v[100:101], 1.0
	v_fma_f64 v[100:101], v[100:101], v[102:103], v[100:101]
	v_mul_f64 v[102:103], v[104:105], v[100:101]
	v_fma_f64 v[98:99], -v[98:99], v[102:103], v[104:105]
	v_div_fmas_f64 v[98:99], v[98:99], v[100:101], v[102:103]
	v_div_fixup_f64 v[119:120], v[98:99], v[96:97], 1.0
	v_mul_f64 v[117:118], v[94:95], v[119:120]
	v_xor_b32_e32 v120, 0x80000000, v120
.LBB98_532:
	s_andn2_saveexec_b64 s[18:19], s[18:19]
	s_cbranch_execz .LBB98_534
; %bb.533:
	v_div_scale_f64 v[94:95], s[20:21], v[117:118], v[117:118], v[119:120]
	v_rcp_f64_e32 v[96:97], v[94:95]
	v_fma_f64 v[98:99], -v[94:95], v[96:97], 1.0
	v_fma_f64 v[96:97], v[96:97], v[98:99], v[96:97]
	v_div_scale_f64 v[98:99], vcc, v[119:120], v[117:118], v[119:120]
	v_fma_f64 v[100:101], -v[94:95], v[96:97], 1.0
	v_fma_f64 v[96:97], v[96:97], v[100:101], v[96:97]
	v_mul_f64 v[100:101], v[98:99], v[96:97]
	v_fma_f64 v[94:95], -v[94:95], v[100:101], v[98:99]
	v_div_fmas_f64 v[94:95], v[94:95], v[96:97], v[100:101]
	v_div_fixup_f64 v[94:95], v[94:95], v[117:118], v[119:120]
	v_fma_f64 v[96:97], v[119:120], v[94:95], v[117:118]
	v_div_scale_f64 v[98:99], s[20:21], v[96:97], v[96:97], 1.0
	v_div_scale_f64 v[104:105], vcc, 1.0, v[96:97], 1.0
	v_rcp_f64_e32 v[100:101], v[98:99]
	v_fma_f64 v[102:103], -v[98:99], v[100:101], 1.0
	v_fma_f64 v[100:101], v[100:101], v[102:103], v[100:101]
	v_fma_f64 v[102:103], -v[98:99], v[100:101], 1.0
	v_fma_f64 v[100:101], v[100:101], v[102:103], v[100:101]
	v_mul_f64 v[102:103], v[104:105], v[100:101]
	v_fma_f64 v[98:99], -v[98:99], v[102:103], v[104:105]
	v_div_fmas_f64 v[98:99], v[98:99], v[100:101], v[102:103]
	v_div_fixup_f64 v[117:118], v[98:99], v[96:97], 1.0
	v_mul_f64 v[119:120], v[94:95], -v[117:118]
.LBB98_534:
	s_or_b64 exec, exec, s[18:19]
.LBB98_535:
	s_or_b64 exec, exec, s[0:1]
	v_cmp_ne_u32_e32 vcc, v92, v93
	s_and_saveexec_b64 s[0:1], vcc
	s_xor_b64 s[0:1], exec, s[0:1]
	s_cbranch_execz .LBB98_541
; %bb.536:
	v_cmp_eq_u32_e32 vcc, 25, v92
	s_and_saveexec_b64 s[18:19], vcc
	s_cbranch_execz .LBB98_540
; %bb.537:
	v_cmp_ne_u32_e32 vcc, 25, v93
	s_xor_b64 s[20:21], s[6:7], -1
	s_and_b64 s[22:23], s[20:21], vcc
	s_and_saveexec_b64 s[20:21], s[22:23]
	s_cbranch_execz .LBB98_539
; %bb.538:
	buffer_load_dword v81, off, s[24:27], 0 offset:368 ; 4-byte Folded Reload
	buffer_load_dword v82, off, s[24:27], 0 offset:372 ; 4-byte Folded Reload
	v_ashrrev_i32_e32 v94, 31, v93
	v_lshlrev_b64 v[94:95], 2, v[93:94]
	s_waitcnt vmcnt(1)
	v_add_co_u32_e32 v94, vcc, v81, v94
	s_waitcnt vmcnt(0)
	v_addc_co_u32_e32 v95, vcc, v82, v95, vcc
	global_load_dword v0, v[94:95], off
	global_load_dword v92, v[81:82], off offset:100
	s_waitcnt vmcnt(1)
	global_store_dword v[81:82], v0, off offset:100
	s_waitcnt vmcnt(1)
	global_store_dword v[94:95], v92, off
.LBB98_539:
	s_or_b64 exec, exec, s[20:21]
	v_mov_b32_e32 v92, v93
	v_mov_b32_e32 v0, v93
.LBB98_540:
	s_or_b64 exec, exec, s[18:19]
.LBB98_541:
	s_andn2_saveexec_b64 s[0:1], s[0:1]
	s_cbranch_execz .LBB98_543
; %bb.542:
	v_mov_b32_e32 v92, 25
	ds_write2_b64 v90, v[107:108], v[109:110] offset0:52 offset1:53
	ds_write2_b64 v90, v[113:114], v[115:116] offset0:54 offset1:55
	;; [unrolled: 1-line block ×24, first 2 shown]
.LBB98_543:
	s_or_b64 exec, exec, s[0:1]
	v_cmp_lt_i32_e32 vcc, 25, v92
	s_waitcnt vmcnt(0) lgkmcnt(0)
	s_barrier
	s_and_saveexec_b64 s[0:1], vcc
	s_cbranch_execz .LBB98_545
; %bb.544:
	buffer_load_dword v81, off, s[24:27], 0 ; 4-byte Folded Reload
	buffer_load_dword v82, off, s[24:27], 0 offset:4 ; 4-byte Folded Reload
	buffer_load_dword v83, off, s[24:27], 0 offset:8 ; 4-byte Folded Reload
	buffer_load_dword v84, off, s[24:27], 0 offset:12 ; 4-byte Folded Reload
	s_waitcnt vmcnt(0)
	v_mul_f64 v[95:96], v[117:118], v[83:84]
	v_mul_f64 v[93:94], v[119:120], v[83:84]
	v_fma_f64 v[83:84], v[119:120], v[81:82], v[95:96]
	ds_read2_b64 v[95:98], v90 offset0:52 offset1:53
	v_fma_f64 v[93:94], v[117:118], v[81:82], -v[93:94]
	s_waitcnt lgkmcnt(0)
	v_mul_f64 v[99:100], v[97:98], v[83:84]
	v_mov_b32_e32 v81, v93
	v_mov_b32_e32 v82, v94
	v_fma_f64 v[99:100], v[95:96], v[93:94], -v[99:100]
	v_mul_f64 v[95:96], v[95:96], v[83:84]
	v_add_f64 v[107:108], v[107:108], -v[99:100]
	v_fma_f64 v[95:96], v[97:98], v[93:94], v[95:96]
	v_add_f64 v[109:110], v[109:110], -v[95:96]
	ds_read2_b64 v[95:98], v90 offset0:54 offset1:55
	s_waitcnt lgkmcnt(0)
	v_mul_f64 v[99:100], v[97:98], v[83:84]
	v_fma_f64 v[99:100], v[95:96], v[93:94], -v[99:100]
	v_mul_f64 v[95:96], v[95:96], v[83:84]
	v_add_f64 v[113:114], v[113:114], -v[99:100]
	v_fma_f64 v[95:96], v[97:98], v[93:94], v[95:96]
	v_add_f64 v[115:116], v[115:116], -v[95:96]
	ds_read2_b64 v[95:98], v90 offset0:56 offset1:57
	s_waitcnt lgkmcnt(0)
	v_mul_f64 v[99:100], v[97:98], v[83:84]
	;; [unrolled: 8-line block ×23, first 2 shown]
	v_fma_f64 v[99:100], v[95:96], v[93:94], -v[99:100]
	v_mul_f64 v[95:96], v[95:96], v[83:84]
	buffer_store_dword v81, off, s[24:27], 0 ; 4-byte Folded Spill
	s_nop 0
	buffer_store_dword v82, off, s[24:27], 0 offset:4 ; 4-byte Folded Spill
	buffer_store_dword v83, off, s[24:27], 0 offset:8 ; 4-byte Folded Spill
	;; [unrolled: 1-line block ×3, first 2 shown]
	v_add_f64 v[121:122], v[121:122], -v[99:100]
	v_fma_f64 v[95:96], v[97:98], v[93:94], v[95:96]
	v_add_f64 v[123:124], v[123:124], -v[95:96]
.LBB98_545:
	s_or_b64 exec, exec, s[0:1]
	v_lshl_add_u32 v93, v92, 4, v90
	s_waitcnt vmcnt(0)
	s_barrier
	ds_write2_b64 v93, v[107:108], v[109:110] offset1:1
	s_waitcnt lgkmcnt(0)
	s_barrier
	ds_read2_b64 v[117:120], v90 offset0:52 offset1:53
	s_cmp_lt_i32 s3, 28
	v_mov_b32_e32 v93, 26
	s_cbranch_scc1 .LBB98_548
; %bb.546:
	v_add_u32_e32 v94, 0x1b0, v90
	s_mov_b32 s0, 27
	v_mov_b32_e32 v93, 26
.LBB98_547:                             ; =>This Inner Loop Header: Depth=1
	s_waitcnt lgkmcnt(0)
	v_cmp_gt_f64_e32 vcc, 0, v[117:118]
	v_xor_b32_e32 v99, 0x80000000, v118
	ds_read2_b64 v[95:98], v94 offset1:1
	v_xor_b32_e32 v101, 0x80000000, v120
	v_add_u32_e32 v94, 16, v94
	s_waitcnt lgkmcnt(0)
	v_xor_b32_e32 v103, 0x80000000, v98
	v_cndmask_b32_e32 v100, v118, v99, vcc
	v_cmp_gt_f64_e32 vcc, 0, v[119:120]
	v_mov_b32_e32 v99, v117
	v_cndmask_b32_e32 v102, v120, v101, vcc
	v_cmp_gt_f64_e32 vcc, 0, v[95:96]
	v_mov_b32_e32 v101, v119
	v_add_f64 v[99:100], v[99:100], v[101:102]
	v_xor_b32_e32 v101, 0x80000000, v96
	v_cndmask_b32_e32 v102, v96, v101, vcc
	v_cmp_gt_f64_e32 vcc, 0, v[97:98]
	v_mov_b32_e32 v101, v95
	v_cndmask_b32_e32 v104, v98, v103, vcc
	v_mov_b32_e32 v103, v97
	v_add_f64 v[101:102], v[101:102], v[103:104]
	v_cmp_lt_f64_e32 vcc, v[99:100], v[101:102]
	v_cndmask_b32_e32 v117, v117, v95, vcc
	v_mov_b32_e32 v95, s0
	s_add_i32 s0, s0, 1
	v_cndmask_b32_e32 v118, v118, v96, vcc
	v_cndmask_b32_e32 v120, v120, v98, vcc
	;; [unrolled: 1-line block ×4, first 2 shown]
	s_cmp_lg_u32 s3, s0
	s_cbranch_scc1 .LBB98_547
.LBB98_548:
	s_waitcnt lgkmcnt(0)
	v_cmp_eq_f64_e32 vcc, 0, v[117:118]
	v_cmp_eq_f64_e64 s[0:1], 0, v[119:120]
	s_and_b64 s[0:1], vcc, s[0:1]
	s_and_saveexec_b64 s[18:19], s[0:1]
	s_xor_b64 s[0:1], exec, s[18:19]
; %bb.549:
	v_cmp_ne_u32_e32 vcc, 0, v91
	v_cndmask_b32_e32 v91, 27, v91, vcc
; %bb.550:
	s_andn2_saveexec_b64 s[0:1], s[0:1]
	s_cbranch_execz .LBB98_556
; %bb.551:
	v_cmp_ngt_f64_e64 s[18:19], |v[117:118]|, |v[119:120]|
	s_and_saveexec_b64 s[20:21], s[18:19]
	s_xor_b64 s[18:19], exec, s[20:21]
	s_cbranch_execz .LBB98_553
; %bb.552:
	v_div_scale_f64 v[94:95], s[20:21], v[119:120], v[119:120], v[117:118]
	v_rcp_f64_e32 v[96:97], v[94:95]
	v_fma_f64 v[98:99], -v[94:95], v[96:97], 1.0
	v_fma_f64 v[96:97], v[96:97], v[98:99], v[96:97]
	v_div_scale_f64 v[98:99], vcc, v[117:118], v[119:120], v[117:118]
	v_fma_f64 v[100:101], -v[94:95], v[96:97], 1.0
	v_fma_f64 v[96:97], v[96:97], v[100:101], v[96:97]
	v_mul_f64 v[100:101], v[98:99], v[96:97]
	v_fma_f64 v[94:95], -v[94:95], v[100:101], v[98:99]
	v_div_fmas_f64 v[94:95], v[94:95], v[96:97], v[100:101]
	v_div_fixup_f64 v[94:95], v[94:95], v[119:120], v[117:118]
	v_fma_f64 v[96:97], v[117:118], v[94:95], v[119:120]
	v_div_scale_f64 v[98:99], s[20:21], v[96:97], v[96:97], 1.0
	v_div_scale_f64 v[104:105], vcc, 1.0, v[96:97], 1.0
	v_rcp_f64_e32 v[100:101], v[98:99]
	v_fma_f64 v[102:103], -v[98:99], v[100:101], 1.0
	v_fma_f64 v[100:101], v[100:101], v[102:103], v[100:101]
	v_fma_f64 v[102:103], -v[98:99], v[100:101], 1.0
	v_fma_f64 v[100:101], v[100:101], v[102:103], v[100:101]
	v_mul_f64 v[102:103], v[104:105], v[100:101]
	v_fma_f64 v[98:99], -v[98:99], v[102:103], v[104:105]
	v_div_fmas_f64 v[98:99], v[98:99], v[100:101], v[102:103]
	v_div_fixup_f64 v[119:120], v[98:99], v[96:97], 1.0
	v_mul_f64 v[117:118], v[94:95], v[119:120]
	v_xor_b32_e32 v120, 0x80000000, v120
.LBB98_553:
	s_andn2_saveexec_b64 s[18:19], s[18:19]
	s_cbranch_execz .LBB98_555
; %bb.554:
	v_div_scale_f64 v[94:95], s[20:21], v[117:118], v[117:118], v[119:120]
	v_rcp_f64_e32 v[96:97], v[94:95]
	v_fma_f64 v[98:99], -v[94:95], v[96:97], 1.0
	v_fma_f64 v[96:97], v[96:97], v[98:99], v[96:97]
	v_div_scale_f64 v[98:99], vcc, v[119:120], v[117:118], v[119:120]
	v_fma_f64 v[100:101], -v[94:95], v[96:97], 1.0
	v_fma_f64 v[96:97], v[96:97], v[100:101], v[96:97]
	v_mul_f64 v[100:101], v[98:99], v[96:97]
	v_fma_f64 v[94:95], -v[94:95], v[100:101], v[98:99]
	v_div_fmas_f64 v[94:95], v[94:95], v[96:97], v[100:101]
	v_div_fixup_f64 v[94:95], v[94:95], v[117:118], v[119:120]
	v_fma_f64 v[96:97], v[119:120], v[94:95], v[117:118]
	v_div_scale_f64 v[98:99], s[20:21], v[96:97], v[96:97], 1.0
	v_div_scale_f64 v[104:105], vcc, 1.0, v[96:97], 1.0
	v_rcp_f64_e32 v[100:101], v[98:99]
	v_fma_f64 v[102:103], -v[98:99], v[100:101], 1.0
	v_fma_f64 v[100:101], v[100:101], v[102:103], v[100:101]
	v_fma_f64 v[102:103], -v[98:99], v[100:101], 1.0
	v_fma_f64 v[100:101], v[100:101], v[102:103], v[100:101]
	v_mul_f64 v[102:103], v[104:105], v[100:101]
	v_fma_f64 v[98:99], -v[98:99], v[102:103], v[104:105]
	v_div_fmas_f64 v[98:99], v[98:99], v[100:101], v[102:103]
	v_div_fixup_f64 v[117:118], v[98:99], v[96:97], 1.0
	v_mul_f64 v[119:120], v[94:95], -v[117:118]
.LBB98_555:
	s_or_b64 exec, exec, s[18:19]
.LBB98_556:
	s_or_b64 exec, exec, s[0:1]
	v_cmp_ne_u32_e32 vcc, v92, v93
	s_and_saveexec_b64 s[0:1], vcc
	s_xor_b64 s[0:1], exec, s[0:1]
	s_cbranch_execz .LBB98_562
; %bb.557:
	v_cmp_eq_u32_e32 vcc, 26, v92
	s_and_saveexec_b64 s[18:19], vcc
	s_cbranch_execz .LBB98_561
; %bb.558:
	v_cmp_ne_u32_e32 vcc, 26, v93
	s_xor_b64 s[20:21], s[6:7], -1
	s_and_b64 s[22:23], s[20:21], vcc
	s_and_saveexec_b64 s[20:21], s[22:23]
	s_cbranch_execz .LBB98_560
; %bb.559:
	buffer_load_dword v81, off, s[24:27], 0 offset:368 ; 4-byte Folded Reload
	buffer_load_dword v82, off, s[24:27], 0 offset:372 ; 4-byte Folded Reload
	v_ashrrev_i32_e32 v94, 31, v93
	v_lshlrev_b64 v[94:95], 2, v[93:94]
	s_waitcnt vmcnt(1)
	v_add_co_u32_e32 v94, vcc, v81, v94
	s_waitcnt vmcnt(0)
	v_addc_co_u32_e32 v95, vcc, v82, v95, vcc
	global_load_dword v0, v[94:95], off
	global_load_dword v92, v[81:82], off offset:104
	s_waitcnt vmcnt(1)
	global_store_dword v[81:82], v0, off offset:104
	s_waitcnt vmcnt(1)
	global_store_dword v[94:95], v92, off
.LBB98_560:
	s_or_b64 exec, exec, s[20:21]
	v_mov_b32_e32 v92, v93
	v_mov_b32_e32 v0, v93
.LBB98_561:
	s_or_b64 exec, exec, s[18:19]
.LBB98_562:
	s_andn2_saveexec_b64 s[0:1], s[0:1]
	s_cbranch_execz .LBB98_564
; %bb.563:
	v_mov_b32_e32 v92, 26
	ds_write2_b64 v90, v[113:114], v[115:116] offset0:54 offset1:55
	ds_write2_b64 v90, v[85:86], v[87:88] offset0:56 offset1:57
	;; [unrolled: 1-line block ×23, first 2 shown]
.LBB98_564:
	s_or_b64 exec, exec, s[0:1]
	v_cmp_lt_i32_e32 vcc, 26, v92
	s_waitcnt vmcnt(0) lgkmcnt(0)
	s_barrier
	s_and_saveexec_b64 s[0:1], vcc
	s_cbranch_execz .LBB98_566
; %bb.565:
	v_mul_f64 v[95:96], v[117:118], v[109:110]
	v_mul_f64 v[93:94], v[119:120], v[109:110]
	v_fma_f64 v[109:110], v[119:120], v[107:108], v[95:96]
	ds_read2_b64 v[95:98], v90 offset0:54 offset1:55
	v_fma_f64 v[93:94], v[117:118], v[107:108], -v[93:94]
	s_waitcnt lgkmcnt(0)
	v_mul_f64 v[99:100], v[97:98], v[109:110]
	v_mov_b32_e32 v108, v94
	v_mov_b32_e32 v107, v93
	v_fma_f64 v[99:100], v[95:96], v[93:94], -v[99:100]
	v_mul_f64 v[95:96], v[95:96], v[109:110]
	v_add_f64 v[113:114], v[113:114], -v[99:100]
	v_fma_f64 v[95:96], v[97:98], v[93:94], v[95:96]
	v_add_f64 v[115:116], v[115:116], -v[95:96]
	ds_read2_b64 v[95:98], v90 offset0:56 offset1:57
	s_waitcnt lgkmcnt(0)
	v_mul_f64 v[99:100], v[97:98], v[109:110]
	v_fma_f64 v[99:100], v[95:96], v[93:94], -v[99:100]
	v_mul_f64 v[95:96], v[95:96], v[109:110]
	v_add_f64 v[85:86], v[85:86], -v[99:100]
	v_fma_f64 v[95:96], v[97:98], v[93:94], v[95:96]
	v_add_f64 v[87:88], v[87:88], -v[95:96]
	ds_read2_b64 v[95:98], v90 offset0:58 offset1:59
	s_waitcnt lgkmcnt(0)
	v_mul_f64 v[99:100], v[97:98], v[109:110]
	;; [unrolled: 8-line block ×22, first 2 shown]
	v_fma_f64 v[99:100], v[95:96], v[93:94], -v[99:100]
	v_mul_f64 v[95:96], v[95:96], v[109:110]
	v_add_f64 v[121:122], v[121:122], -v[99:100]
	v_fma_f64 v[95:96], v[97:98], v[93:94], v[95:96]
	v_add_f64 v[123:124], v[123:124], -v[95:96]
.LBB98_566:
	s_or_b64 exec, exec, s[0:1]
	v_lshl_add_u32 v93, v92, 4, v90
	s_barrier
	ds_write2_b64 v93, v[113:114], v[115:116] offset1:1
	s_waitcnt lgkmcnt(0)
	s_barrier
	ds_read2_b64 v[117:120], v90 offset0:54 offset1:55
	s_cmp_lt_i32 s3, 29
	v_mov_b32_e32 v93, 27
	s_cbranch_scc1 .LBB98_569
; %bb.567:
	v_add_u32_e32 v94, 0x1c0, v90
	s_mov_b32 s0, 28
	v_mov_b32_e32 v93, 27
.LBB98_568:                             ; =>This Inner Loop Header: Depth=1
	s_waitcnt lgkmcnt(0)
	v_cmp_gt_f64_e32 vcc, 0, v[117:118]
	v_xor_b32_e32 v99, 0x80000000, v118
	ds_read2_b64 v[95:98], v94 offset1:1
	v_xor_b32_e32 v101, 0x80000000, v120
	v_add_u32_e32 v94, 16, v94
	s_waitcnt lgkmcnt(0)
	v_xor_b32_e32 v103, 0x80000000, v98
	v_cndmask_b32_e32 v100, v118, v99, vcc
	v_cmp_gt_f64_e32 vcc, 0, v[119:120]
	v_mov_b32_e32 v99, v117
	v_cndmask_b32_e32 v102, v120, v101, vcc
	v_cmp_gt_f64_e32 vcc, 0, v[95:96]
	v_mov_b32_e32 v101, v119
	v_add_f64 v[99:100], v[99:100], v[101:102]
	v_xor_b32_e32 v101, 0x80000000, v96
	v_cndmask_b32_e32 v102, v96, v101, vcc
	v_cmp_gt_f64_e32 vcc, 0, v[97:98]
	v_mov_b32_e32 v101, v95
	v_cndmask_b32_e32 v104, v98, v103, vcc
	v_mov_b32_e32 v103, v97
	v_add_f64 v[101:102], v[101:102], v[103:104]
	v_cmp_lt_f64_e32 vcc, v[99:100], v[101:102]
	v_cndmask_b32_e32 v117, v117, v95, vcc
	v_mov_b32_e32 v95, s0
	s_add_i32 s0, s0, 1
	v_cndmask_b32_e32 v118, v118, v96, vcc
	v_cndmask_b32_e32 v120, v120, v98, vcc
	;; [unrolled: 1-line block ×4, first 2 shown]
	s_cmp_lg_u32 s3, s0
	s_cbranch_scc1 .LBB98_568
.LBB98_569:
	s_waitcnt lgkmcnt(0)
	v_cmp_eq_f64_e32 vcc, 0, v[117:118]
	v_cmp_eq_f64_e64 s[0:1], 0, v[119:120]
	s_and_b64 s[0:1], vcc, s[0:1]
	s_and_saveexec_b64 s[18:19], s[0:1]
	s_xor_b64 s[0:1], exec, s[18:19]
; %bb.570:
	v_cmp_ne_u32_e32 vcc, 0, v91
	v_cndmask_b32_e32 v91, 28, v91, vcc
; %bb.571:
	s_andn2_saveexec_b64 s[0:1], s[0:1]
	s_cbranch_execz .LBB98_577
; %bb.572:
	v_cmp_ngt_f64_e64 s[18:19], |v[117:118]|, |v[119:120]|
	s_and_saveexec_b64 s[20:21], s[18:19]
	s_xor_b64 s[18:19], exec, s[20:21]
	s_cbranch_execz .LBB98_574
; %bb.573:
	v_div_scale_f64 v[94:95], s[20:21], v[119:120], v[119:120], v[117:118]
	v_rcp_f64_e32 v[96:97], v[94:95]
	v_fma_f64 v[98:99], -v[94:95], v[96:97], 1.0
	v_fma_f64 v[96:97], v[96:97], v[98:99], v[96:97]
	v_div_scale_f64 v[98:99], vcc, v[117:118], v[119:120], v[117:118]
	v_fma_f64 v[100:101], -v[94:95], v[96:97], 1.0
	v_fma_f64 v[96:97], v[96:97], v[100:101], v[96:97]
	v_mul_f64 v[100:101], v[98:99], v[96:97]
	v_fma_f64 v[94:95], -v[94:95], v[100:101], v[98:99]
	v_div_fmas_f64 v[94:95], v[94:95], v[96:97], v[100:101]
	v_div_fixup_f64 v[94:95], v[94:95], v[119:120], v[117:118]
	v_fma_f64 v[96:97], v[117:118], v[94:95], v[119:120]
	v_div_scale_f64 v[98:99], s[20:21], v[96:97], v[96:97], 1.0
	v_div_scale_f64 v[104:105], vcc, 1.0, v[96:97], 1.0
	v_rcp_f64_e32 v[100:101], v[98:99]
	v_fma_f64 v[102:103], -v[98:99], v[100:101], 1.0
	v_fma_f64 v[100:101], v[100:101], v[102:103], v[100:101]
	v_fma_f64 v[102:103], -v[98:99], v[100:101], 1.0
	v_fma_f64 v[100:101], v[100:101], v[102:103], v[100:101]
	v_mul_f64 v[102:103], v[104:105], v[100:101]
	v_fma_f64 v[98:99], -v[98:99], v[102:103], v[104:105]
	v_div_fmas_f64 v[98:99], v[98:99], v[100:101], v[102:103]
	v_div_fixup_f64 v[119:120], v[98:99], v[96:97], 1.0
	v_mul_f64 v[117:118], v[94:95], v[119:120]
	v_xor_b32_e32 v120, 0x80000000, v120
.LBB98_574:
	s_andn2_saveexec_b64 s[18:19], s[18:19]
	s_cbranch_execz .LBB98_576
; %bb.575:
	v_div_scale_f64 v[94:95], s[20:21], v[117:118], v[117:118], v[119:120]
	v_rcp_f64_e32 v[96:97], v[94:95]
	v_fma_f64 v[98:99], -v[94:95], v[96:97], 1.0
	v_fma_f64 v[96:97], v[96:97], v[98:99], v[96:97]
	v_div_scale_f64 v[98:99], vcc, v[119:120], v[117:118], v[119:120]
	v_fma_f64 v[100:101], -v[94:95], v[96:97], 1.0
	v_fma_f64 v[96:97], v[96:97], v[100:101], v[96:97]
	v_mul_f64 v[100:101], v[98:99], v[96:97]
	v_fma_f64 v[94:95], -v[94:95], v[100:101], v[98:99]
	v_div_fmas_f64 v[94:95], v[94:95], v[96:97], v[100:101]
	v_div_fixup_f64 v[94:95], v[94:95], v[117:118], v[119:120]
	v_fma_f64 v[96:97], v[119:120], v[94:95], v[117:118]
	v_div_scale_f64 v[98:99], s[20:21], v[96:97], v[96:97], 1.0
	v_div_scale_f64 v[104:105], vcc, 1.0, v[96:97], 1.0
	v_rcp_f64_e32 v[100:101], v[98:99]
	v_fma_f64 v[102:103], -v[98:99], v[100:101], 1.0
	v_fma_f64 v[100:101], v[100:101], v[102:103], v[100:101]
	v_fma_f64 v[102:103], -v[98:99], v[100:101], 1.0
	v_fma_f64 v[100:101], v[100:101], v[102:103], v[100:101]
	v_mul_f64 v[102:103], v[104:105], v[100:101]
	v_fma_f64 v[98:99], -v[98:99], v[102:103], v[104:105]
	v_div_fmas_f64 v[98:99], v[98:99], v[100:101], v[102:103]
	v_div_fixup_f64 v[117:118], v[98:99], v[96:97], 1.0
	v_mul_f64 v[119:120], v[94:95], -v[117:118]
.LBB98_576:
	s_or_b64 exec, exec, s[18:19]
.LBB98_577:
	s_or_b64 exec, exec, s[0:1]
	v_cmp_ne_u32_e32 vcc, v92, v93
	s_and_saveexec_b64 s[0:1], vcc
	s_xor_b64 s[0:1], exec, s[0:1]
	s_cbranch_execz .LBB98_583
; %bb.578:
	v_cmp_eq_u32_e32 vcc, 27, v92
	s_and_saveexec_b64 s[18:19], vcc
	s_cbranch_execz .LBB98_582
; %bb.579:
	v_cmp_ne_u32_e32 vcc, 27, v93
	s_xor_b64 s[20:21], s[6:7], -1
	s_and_b64 s[22:23], s[20:21], vcc
	s_and_saveexec_b64 s[20:21], s[22:23]
	s_cbranch_execz .LBB98_581
; %bb.580:
	buffer_load_dword v81, off, s[24:27], 0 offset:368 ; 4-byte Folded Reload
	buffer_load_dword v82, off, s[24:27], 0 offset:372 ; 4-byte Folded Reload
	v_ashrrev_i32_e32 v94, 31, v93
	v_lshlrev_b64 v[94:95], 2, v[93:94]
	s_waitcnt vmcnt(1)
	v_add_co_u32_e32 v94, vcc, v81, v94
	s_waitcnt vmcnt(0)
	v_addc_co_u32_e32 v95, vcc, v82, v95, vcc
	global_load_dword v0, v[94:95], off
	global_load_dword v92, v[81:82], off offset:108
	s_waitcnt vmcnt(1)
	global_store_dword v[81:82], v0, off offset:108
	s_waitcnt vmcnt(1)
	global_store_dword v[94:95], v92, off
.LBB98_581:
	s_or_b64 exec, exec, s[20:21]
	v_mov_b32_e32 v92, v93
	v_mov_b32_e32 v0, v93
.LBB98_582:
	s_or_b64 exec, exec, s[18:19]
.LBB98_583:
	s_andn2_saveexec_b64 s[0:1], s[0:1]
	s_cbranch_execz .LBB98_585
; %bb.584:
	v_mov_b32_e32 v92, 27
	ds_write2_b64 v90, v[85:86], v[87:88] offset0:56 offset1:57
	ds_write2_b64 v90, v[77:78], v[79:80] offset0:58 offset1:59
	;; [unrolled: 1-line block ×22, first 2 shown]
.LBB98_585:
	s_or_b64 exec, exec, s[0:1]
	v_cmp_lt_i32_e32 vcc, 27, v92
	s_waitcnt vmcnt(0) lgkmcnt(0)
	s_barrier
	s_and_saveexec_b64 s[0:1], vcc
	s_cbranch_execz .LBB98_587
; %bb.586:
	v_mov_b32_e32 v81, v85
	v_mov_b32_e32 v82, v86
	;; [unrolled: 1-line block ×4, first 2 shown]
	v_mul_f64 v[87:88], v[117:118], v[115:116]
	v_mul_f64 v[93:94], v[119:120], v[115:116]
	ds_read2_b64 v[95:98], v90 offset0:56 offset1:57
	v_fma_f64 v[115:116], v[119:120], v[113:114], v[87:88]
	v_fma_f64 v[93:94], v[117:118], v[113:114], -v[93:94]
	s_waitcnt lgkmcnt(0)
	v_mul_f64 v[85:86], v[97:98], v[115:116]
	v_mov_b32_e32 v114, v94
	v_mov_b32_e32 v113, v93
	v_fma_f64 v[85:86], v[95:96], v[93:94], -v[85:86]
	v_mul_f64 v[95:96], v[95:96], v[115:116]
	v_add_f64 v[81:82], v[81:82], -v[85:86]
	v_fma_f64 v[95:96], v[97:98], v[93:94], v[95:96]
	v_add_f64 v[83:84], v[83:84], -v[95:96]
	ds_read2_b64 v[95:98], v90 offset0:58 offset1:59
	s_waitcnt lgkmcnt(0)
	v_mul_f64 v[85:86], v[97:98], v[115:116]
	v_fma_f64 v[85:86], v[95:96], v[93:94], -v[85:86]
	v_mul_f64 v[95:96], v[95:96], v[115:116]
	v_add_f64 v[77:78], v[77:78], -v[85:86]
	v_fma_f64 v[95:96], v[97:98], v[93:94], v[95:96]
	v_add_f64 v[79:80], v[79:80], -v[95:96]
	ds_read2_b64 v[95:98], v90 offset0:60 offset1:61
	s_waitcnt lgkmcnt(0)
	v_mul_f64 v[85:86], v[97:98], v[115:116]
	;; [unrolled: 8-line block ×21, first 2 shown]
	v_fma_f64 v[85:86], v[95:96], v[93:94], -v[85:86]
	v_mul_f64 v[95:96], v[95:96], v[115:116]
	v_add_f64 v[121:122], v[121:122], -v[85:86]
	v_fma_f64 v[95:96], v[97:98], v[93:94], v[95:96]
	v_mov_b32_e32 v88, v84
	v_mov_b32_e32 v87, v83
	;; [unrolled: 1-line block ×4, first 2 shown]
	v_add_f64 v[123:124], v[123:124], -v[95:96]
.LBB98_587:
	s_or_b64 exec, exec, s[0:1]
	v_lshl_add_u32 v93, v92, 4, v90
	s_barrier
	ds_write2_b64 v93, v[85:86], v[87:88] offset1:1
	s_waitcnt lgkmcnt(0)
	s_barrier
	ds_read2_b64 v[117:120], v90 offset0:56 offset1:57
	s_cmp_lt_i32 s3, 30
	v_mov_b32_e32 v93, 28
	s_cbranch_scc1 .LBB98_590
; %bb.588:
	v_add_u32_e32 v94, 0x1d0, v90
	s_mov_b32 s0, 29
	v_mov_b32_e32 v93, 28
.LBB98_589:                             ; =>This Inner Loop Header: Depth=1
	s_waitcnt lgkmcnt(0)
	v_cmp_gt_f64_e32 vcc, 0, v[117:118]
	v_xor_b32_e32 v99, 0x80000000, v118
	ds_read2_b64 v[95:98], v94 offset1:1
	v_xor_b32_e32 v101, 0x80000000, v120
	v_add_u32_e32 v94, 16, v94
	s_waitcnt lgkmcnt(0)
	v_xor_b32_e32 v103, 0x80000000, v98
	v_cndmask_b32_e32 v100, v118, v99, vcc
	v_cmp_gt_f64_e32 vcc, 0, v[119:120]
	v_mov_b32_e32 v99, v117
	v_cndmask_b32_e32 v102, v120, v101, vcc
	v_cmp_gt_f64_e32 vcc, 0, v[95:96]
	v_mov_b32_e32 v101, v119
	v_add_f64 v[99:100], v[99:100], v[101:102]
	v_xor_b32_e32 v101, 0x80000000, v96
	v_cndmask_b32_e32 v102, v96, v101, vcc
	v_cmp_gt_f64_e32 vcc, 0, v[97:98]
	v_mov_b32_e32 v101, v95
	v_cndmask_b32_e32 v104, v98, v103, vcc
	v_mov_b32_e32 v103, v97
	v_add_f64 v[101:102], v[101:102], v[103:104]
	v_cmp_lt_f64_e32 vcc, v[99:100], v[101:102]
	v_cndmask_b32_e32 v117, v117, v95, vcc
	v_mov_b32_e32 v95, s0
	s_add_i32 s0, s0, 1
	v_cndmask_b32_e32 v118, v118, v96, vcc
	v_cndmask_b32_e32 v120, v120, v98, vcc
	;; [unrolled: 1-line block ×4, first 2 shown]
	s_cmp_lg_u32 s3, s0
	s_cbranch_scc1 .LBB98_589
.LBB98_590:
	s_waitcnt lgkmcnt(0)
	v_cmp_eq_f64_e32 vcc, 0, v[117:118]
	v_cmp_eq_f64_e64 s[0:1], 0, v[119:120]
	s_and_b64 s[0:1], vcc, s[0:1]
	s_and_saveexec_b64 s[18:19], s[0:1]
	s_xor_b64 s[0:1], exec, s[18:19]
; %bb.591:
	v_cmp_ne_u32_e32 vcc, 0, v91
	v_cndmask_b32_e32 v91, 29, v91, vcc
; %bb.592:
	s_andn2_saveexec_b64 s[0:1], s[0:1]
	s_cbranch_execz .LBB98_598
; %bb.593:
	v_cmp_ngt_f64_e64 s[18:19], |v[117:118]|, |v[119:120]|
	s_and_saveexec_b64 s[20:21], s[18:19]
	s_xor_b64 s[18:19], exec, s[20:21]
	s_cbranch_execz .LBB98_595
; %bb.594:
	v_div_scale_f64 v[94:95], s[20:21], v[119:120], v[119:120], v[117:118]
	v_rcp_f64_e32 v[96:97], v[94:95]
	v_fma_f64 v[98:99], -v[94:95], v[96:97], 1.0
	v_fma_f64 v[96:97], v[96:97], v[98:99], v[96:97]
	v_div_scale_f64 v[98:99], vcc, v[117:118], v[119:120], v[117:118]
	v_fma_f64 v[100:101], -v[94:95], v[96:97], 1.0
	v_fma_f64 v[96:97], v[96:97], v[100:101], v[96:97]
	v_mul_f64 v[100:101], v[98:99], v[96:97]
	v_fma_f64 v[94:95], -v[94:95], v[100:101], v[98:99]
	v_div_fmas_f64 v[94:95], v[94:95], v[96:97], v[100:101]
	v_div_fixup_f64 v[94:95], v[94:95], v[119:120], v[117:118]
	v_fma_f64 v[96:97], v[117:118], v[94:95], v[119:120]
	v_div_scale_f64 v[98:99], s[20:21], v[96:97], v[96:97], 1.0
	v_div_scale_f64 v[104:105], vcc, 1.0, v[96:97], 1.0
	v_rcp_f64_e32 v[100:101], v[98:99]
	v_fma_f64 v[102:103], -v[98:99], v[100:101], 1.0
	v_fma_f64 v[100:101], v[100:101], v[102:103], v[100:101]
	v_fma_f64 v[102:103], -v[98:99], v[100:101], 1.0
	v_fma_f64 v[100:101], v[100:101], v[102:103], v[100:101]
	v_mul_f64 v[102:103], v[104:105], v[100:101]
	v_fma_f64 v[98:99], -v[98:99], v[102:103], v[104:105]
	v_div_fmas_f64 v[98:99], v[98:99], v[100:101], v[102:103]
	v_div_fixup_f64 v[119:120], v[98:99], v[96:97], 1.0
	v_mul_f64 v[117:118], v[94:95], v[119:120]
	v_xor_b32_e32 v120, 0x80000000, v120
.LBB98_595:
	s_andn2_saveexec_b64 s[18:19], s[18:19]
	s_cbranch_execz .LBB98_597
; %bb.596:
	v_div_scale_f64 v[94:95], s[20:21], v[117:118], v[117:118], v[119:120]
	v_rcp_f64_e32 v[96:97], v[94:95]
	v_fma_f64 v[98:99], -v[94:95], v[96:97], 1.0
	v_fma_f64 v[96:97], v[96:97], v[98:99], v[96:97]
	v_div_scale_f64 v[98:99], vcc, v[119:120], v[117:118], v[119:120]
	v_fma_f64 v[100:101], -v[94:95], v[96:97], 1.0
	v_fma_f64 v[96:97], v[96:97], v[100:101], v[96:97]
	v_mul_f64 v[100:101], v[98:99], v[96:97]
	v_fma_f64 v[94:95], -v[94:95], v[100:101], v[98:99]
	v_div_fmas_f64 v[94:95], v[94:95], v[96:97], v[100:101]
	v_div_fixup_f64 v[94:95], v[94:95], v[117:118], v[119:120]
	v_fma_f64 v[96:97], v[119:120], v[94:95], v[117:118]
	v_div_scale_f64 v[98:99], s[20:21], v[96:97], v[96:97], 1.0
	v_div_scale_f64 v[104:105], vcc, 1.0, v[96:97], 1.0
	v_rcp_f64_e32 v[100:101], v[98:99]
	v_fma_f64 v[102:103], -v[98:99], v[100:101], 1.0
	v_fma_f64 v[100:101], v[100:101], v[102:103], v[100:101]
	v_fma_f64 v[102:103], -v[98:99], v[100:101], 1.0
	v_fma_f64 v[100:101], v[100:101], v[102:103], v[100:101]
	v_mul_f64 v[102:103], v[104:105], v[100:101]
	v_fma_f64 v[98:99], -v[98:99], v[102:103], v[104:105]
	v_div_fmas_f64 v[98:99], v[98:99], v[100:101], v[102:103]
	v_div_fixup_f64 v[117:118], v[98:99], v[96:97], 1.0
	v_mul_f64 v[119:120], v[94:95], -v[117:118]
.LBB98_597:
	s_or_b64 exec, exec, s[18:19]
.LBB98_598:
	s_or_b64 exec, exec, s[0:1]
	v_cmp_ne_u32_e32 vcc, v92, v93
	s_and_saveexec_b64 s[0:1], vcc
	s_xor_b64 s[0:1], exec, s[0:1]
	s_cbranch_execz .LBB98_604
; %bb.599:
	v_cmp_eq_u32_e32 vcc, 28, v92
	s_and_saveexec_b64 s[18:19], vcc
	s_cbranch_execz .LBB98_603
; %bb.600:
	v_cmp_ne_u32_e32 vcc, 28, v93
	s_xor_b64 s[20:21], s[6:7], -1
	s_and_b64 s[22:23], s[20:21], vcc
	s_and_saveexec_b64 s[20:21], s[22:23]
	s_cbranch_execz .LBB98_602
; %bb.601:
	buffer_load_dword v81, off, s[24:27], 0 offset:368 ; 4-byte Folded Reload
	buffer_load_dword v82, off, s[24:27], 0 offset:372 ; 4-byte Folded Reload
	v_ashrrev_i32_e32 v94, 31, v93
	v_lshlrev_b64 v[94:95], 2, v[93:94]
	s_waitcnt vmcnt(1)
	v_add_co_u32_e32 v94, vcc, v81, v94
	s_waitcnt vmcnt(0)
	v_addc_co_u32_e32 v95, vcc, v82, v95, vcc
	global_load_dword v0, v[94:95], off
	global_load_dword v92, v[81:82], off offset:112
	s_waitcnt vmcnt(1)
	global_store_dword v[81:82], v0, off offset:112
	s_waitcnt vmcnt(1)
	global_store_dword v[94:95], v92, off
.LBB98_602:
	s_or_b64 exec, exec, s[20:21]
	v_mov_b32_e32 v92, v93
	v_mov_b32_e32 v0, v93
.LBB98_603:
	s_or_b64 exec, exec, s[18:19]
.LBB98_604:
	s_andn2_saveexec_b64 s[0:1], s[0:1]
	s_cbranch_execz .LBB98_606
; %bb.605:
	v_mov_b32_e32 v92, 28
	ds_write2_b64 v90, v[77:78], v[79:80] offset0:58 offset1:59
	ds_write2_b64 v90, v[73:74], v[75:76] offset0:60 offset1:61
	;; [unrolled: 1-line block ×21, first 2 shown]
.LBB98_606:
	s_or_b64 exec, exec, s[0:1]
	v_cmp_lt_i32_e32 vcc, 28, v92
	s_waitcnt vmcnt(0) lgkmcnt(0)
	s_barrier
	s_and_saveexec_b64 s[0:1], vcc
	s_cbranch_execz .LBB98_608
; %bb.607:
	v_mul_f64 v[83:84], v[117:118], v[87:88]
	v_mul_f64 v[93:94], v[119:120], v[87:88]
	ds_read2_b64 v[95:98], v90 offset0:58 offset1:59
	v_fma_f64 v[87:88], v[119:120], v[85:86], v[83:84]
	v_fma_f64 v[93:94], v[117:118], v[85:86], -v[93:94]
	s_waitcnt lgkmcnt(0)
	v_mul_f64 v[81:82], v[97:98], v[87:88]
	v_mov_b32_e32 v85, v93
	v_mov_b32_e32 v86, v94
	v_fma_f64 v[81:82], v[95:96], v[93:94], -v[81:82]
	v_mul_f64 v[95:96], v[95:96], v[87:88]
	v_add_f64 v[77:78], v[77:78], -v[81:82]
	v_fma_f64 v[95:96], v[97:98], v[93:94], v[95:96]
	v_add_f64 v[79:80], v[79:80], -v[95:96]
	ds_read2_b64 v[95:98], v90 offset0:60 offset1:61
	s_waitcnt lgkmcnt(0)
	v_mul_f64 v[81:82], v[97:98], v[87:88]
	v_fma_f64 v[81:82], v[95:96], v[93:94], -v[81:82]
	v_mul_f64 v[95:96], v[95:96], v[87:88]
	v_add_f64 v[73:74], v[73:74], -v[81:82]
	v_fma_f64 v[95:96], v[97:98], v[93:94], v[95:96]
	v_add_f64 v[75:76], v[75:76], -v[95:96]
	ds_read2_b64 v[95:98], v90 offset0:62 offset1:63
	s_waitcnt lgkmcnt(0)
	v_mul_f64 v[81:82], v[97:98], v[87:88]
	;; [unrolled: 8-line block ×20, first 2 shown]
	v_fma_f64 v[81:82], v[95:96], v[93:94], -v[81:82]
	v_mul_f64 v[95:96], v[95:96], v[87:88]
	v_add_f64 v[121:122], v[121:122], -v[81:82]
	v_fma_f64 v[95:96], v[97:98], v[93:94], v[95:96]
	v_add_f64 v[123:124], v[123:124], -v[95:96]
.LBB98_608:
	s_or_b64 exec, exec, s[0:1]
	v_lshl_add_u32 v93, v92, 4, v90
	s_barrier
	ds_write2_b64 v93, v[77:78], v[79:80] offset1:1
	s_waitcnt lgkmcnt(0)
	s_barrier
	ds_read2_b64 v[117:120], v90 offset0:58 offset1:59
	s_cmp_lt_i32 s3, 31
	v_mov_b32_e32 v93, 29
	s_cbranch_scc1 .LBB98_611
; %bb.609:
	v_add_u32_e32 v94, 0x1e0, v90
	s_mov_b32 s0, 30
	v_mov_b32_e32 v93, 29
.LBB98_610:                             ; =>This Inner Loop Header: Depth=1
	s_waitcnt lgkmcnt(0)
	v_cmp_gt_f64_e32 vcc, 0, v[117:118]
	v_xor_b32_e32 v99, 0x80000000, v118
	ds_read2_b64 v[95:98], v94 offset1:1
	v_xor_b32_e32 v101, 0x80000000, v120
	v_add_u32_e32 v94, 16, v94
	s_waitcnt lgkmcnt(0)
	v_xor_b32_e32 v103, 0x80000000, v98
	v_cndmask_b32_e32 v100, v118, v99, vcc
	v_cmp_gt_f64_e32 vcc, 0, v[119:120]
	v_mov_b32_e32 v99, v117
	v_cndmask_b32_e32 v102, v120, v101, vcc
	v_cmp_gt_f64_e32 vcc, 0, v[95:96]
	v_mov_b32_e32 v101, v119
	v_add_f64 v[99:100], v[99:100], v[101:102]
	v_xor_b32_e32 v101, 0x80000000, v96
	v_cndmask_b32_e32 v102, v96, v101, vcc
	v_cmp_gt_f64_e32 vcc, 0, v[97:98]
	v_mov_b32_e32 v101, v95
	v_cndmask_b32_e32 v104, v98, v103, vcc
	v_mov_b32_e32 v103, v97
	v_add_f64 v[101:102], v[101:102], v[103:104]
	v_cmp_lt_f64_e32 vcc, v[99:100], v[101:102]
	v_cndmask_b32_e32 v117, v117, v95, vcc
	v_mov_b32_e32 v95, s0
	s_add_i32 s0, s0, 1
	v_cndmask_b32_e32 v118, v118, v96, vcc
	v_cndmask_b32_e32 v120, v120, v98, vcc
	;; [unrolled: 1-line block ×4, first 2 shown]
	s_cmp_lg_u32 s3, s0
	s_cbranch_scc1 .LBB98_610
.LBB98_611:
	s_waitcnt lgkmcnt(0)
	v_cmp_eq_f64_e32 vcc, 0, v[117:118]
	v_cmp_eq_f64_e64 s[0:1], 0, v[119:120]
	s_and_b64 s[0:1], vcc, s[0:1]
	s_and_saveexec_b64 s[18:19], s[0:1]
	s_xor_b64 s[0:1], exec, s[18:19]
; %bb.612:
	v_cmp_ne_u32_e32 vcc, 0, v91
	v_cndmask_b32_e32 v91, 30, v91, vcc
; %bb.613:
	s_andn2_saveexec_b64 s[0:1], s[0:1]
	s_cbranch_execz .LBB98_619
; %bb.614:
	v_cmp_ngt_f64_e64 s[18:19], |v[117:118]|, |v[119:120]|
	s_and_saveexec_b64 s[20:21], s[18:19]
	s_xor_b64 s[18:19], exec, s[20:21]
	s_cbranch_execz .LBB98_616
; %bb.615:
	v_div_scale_f64 v[94:95], s[20:21], v[119:120], v[119:120], v[117:118]
	v_rcp_f64_e32 v[96:97], v[94:95]
	v_fma_f64 v[98:99], -v[94:95], v[96:97], 1.0
	v_fma_f64 v[96:97], v[96:97], v[98:99], v[96:97]
	v_div_scale_f64 v[98:99], vcc, v[117:118], v[119:120], v[117:118]
	v_fma_f64 v[100:101], -v[94:95], v[96:97], 1.0
	v_fma_f64 v[96:97], v[96:97], v[100:101], v[96:97]
	v_mul_f64 v[100:101], v[98:99], v[96:97]
	v_fma_f64 v[94:95], -v[94:95], v[100:101], v[98:99]
	v_div_fmas_f64 v[94:95], v[94:95], v[96:97], v[100:101]
	v_div_fixup_f64 v[94:95], v[94:95], v[119:120], v[117:118]
	v_fma_f64 v[96:97], v[117:118], v[94:95], v[119:120]
	v_div_scale_f64 v[98:99], s[20:21], v[96:97], v[96:97], 1.0
	v_div_scale_f64 v[104:105], vcc, 1.0, v[96:97], 1.0
	v_rcp_f64_e32 v[100:101], v[98:99]
	v_fma_f64 v[102:103], -v[98:99], v[100:101], 1.0
	v_fma_f64 v[100:101], v[100:101], v[102:103], v[100:101]
	v_fma_f64 v[102:103], -v[98:99], v[100:101], 1.0
	v_fma_f64 v[100:101], v[100:101], v[102:103], v[100:101]
	v_mul_f64 v[102:103], v[104:105], v[100:101]
	v_fma_f64 v[98:99], -v[98:99], v[102:103], v[104:105]
	v_div_fmas_f64 v[98:99], v[98:99], v[100:101], v[102:103]
	v_div_fixup_f64 v[119:120], v[98:99], v[96:97], 1.0
	v_mul_f64 v[117:118], v[94:95], v[119:120]
	v_xor_b32_e32 v120, 0x80000000, v120
.LBB98_616:
	s_andn2_saveexec_b64 s[18:19], s[18:19]
	s_cbranch_execz .LBB98_618
; %bb.617:
	v_div_scale_f64 v[94:95], s[20:21], v[117:118], v[117:118], v[119:120]
	v_rcp_f64_e32 v[96:97], v[94:95]
	v_fma_f64 v[98:99], -v[94:95], v[96:97], 1.0
	v_fma_f64 v[96:97], v[96:97], v[98:99], v[96:97]
	v_div_scale_f64 v[98:99], vcc, v[119:120], v[117:118], v[119:120]
	v_fma_f64 v[100:101], -v[94:95], v[96:97], 1.0
	v_fma_f64 v[96:97], v[96:97], v[100:101], v[96:97]
	v_mul_f64 v[100:101], v[98:99], v[96:97]
	v_fma_f64 v[94:95], -v[94:95], v[100:101], v[98:99]
	v_div_fmas_f64 v[94:95], v[94:95], v[96:97], v[100:101]
	v_div_fixup_f64 v[94:95], v[94:95], v[117:118], v[119:120]
	v_fma_f64 v[96:97], v[119:120], v[94:95], v[117:118]
	v_div_scale_f64 v[98:99], s[20:21], v[96:97], v[96:97], 1.0
	v_div_scale_f64 v[104:105], vcc, 1.0, v[96:97], 1.0
	v_rcp_f64_e32 v[100:101], v[98:99]
	v_fma_f64 v[102:103], -v[98:99], v[100:101], 1.0
	v_fma_f64 v[100:101], v[100:101], v[102:103], v[100:101]
	v_fma_f64 v[102:103], -v[98:99], v[100:101], 1.0
	v_fma_f64 v[100:101], v[100:101], v[102:103], v[100:101]
	v_mul_f64 v[102:103], v[104:105], v[100:101]
	v_fma_f64 v[98:99], -v[98:99], v[102:103], v[104:105]
	v_div_fmas_f64 v[98:99], v[98:99], v[100:101], v[102:103]
	v_div_fixup_f64 v[117:118], v[98:99], v[96:97], 1.0
	v_mul_f64 v[119:120], v[94:95], -v[117:118]
.LBB98_618:
	s_or_b64 exec, exec, s[18:19]
.LBB98_619:
	s_or_b64 exec, exec, s[0:1]
	v_cmp_ne_u32_e32 vcc, v92, v93
	s_and_saveexec_b64 s[0:1], vcc
	s_xor_b64 s[0:1], exec, s[0:1]
	s_cbranch_execz .LBB98_625
; %bb.620:
	v_cmp_eq_u32_e32 vcc, 29, v92
	s_and_saveexec_b64 s[18:19], vcc
	s_cbranch_execz .LBB98_624
; %bb.621:
	v_cmp_ne_u32_e32 vcc, 29, v93
	s_xor_b64 s[20:21], s[6:7], -1
	s_and_b64 s[22:23], s[20:21], vcc
	s_and_saveexec_b64 s[20:21], s[22:23]
	s_cbranch_execz .LBB98_623
; %bb.622:
	buffer_load_dword v81, off, s[24:27], 0 offset:368 ; 4-byte Folded Reload
	buffer_load_dword v82, off, s[24:27], 0 offset:372 ; 4-byte Folded Reload
	v_ashrrev_i32_e32 v94, 31, v93
	v_lshlrev_b64 v[94:95], 2, v[93:94]
	s_waitcnt vmcnt(1)
	v_add_co_u32_e32 v94, vcc, v81, v94
	s_waitcnt vmcnt(0)
	v_addc_co_u32_e32 v95, vcc, v82, v95, vcc
	global_load_dword v0, v[94:95], off
	global_load_dword v92, v[81:82], off offset:116
	s_waitcnt vmcnt(1)
	global_store_dword v[81:82], v0, off offset:116
	s_waitcnt vmcnt(1)
	global_store_dword v[94:95], v92, off
.LBB98_623:
	s_or_b64 exec, exec, s[20:21]
	v_mov_b32_e32 v92, v93
	v_mov_b32_e32 v0, v93
.LBB98_624:
	s_or_b64 exec, exec, s[18:19]
.LBB98_625:
	s_andn2_saveexec_b64 s[0:1], s[0:1]
	s_cbranch_execz .LBB98_627
; %bb.626:
	v_mov_b32_e32 v92, 29
	ds_write2_b64 v90, v[73:74], v[75:76] offset0:60 offset1:61
	ds_write2_b64 v90, v[69:70], v[71:72] offset0:62 offset1:63
	;; [unrolled: 1-line block ×20, first 2 shown]
.LBB98_627:
	s_or_b64 exec, exec, s[0:1]
	v_cmp_lt_i32_e32 vcc, 29, v92
	s_waitcnt vmcnt(0) lgkmcnt(0)
	s_barrier
	s_and_saveexec_b64 s[0:1], vcc
	s_cbranch_execz .LBB98_629
; %bb.628:
	v_mul_f64 v[93:94], v[119:120], v[79:80]
	v_mul_f64 v[79:80], v[117:118], v[79:80]
	ds_read2_b64 v[95:98], v90 offset0:60 offset1:61
	v_fma_f64 v[93:94], v[117:118], v[77:78], -v[93:94]
	v_fma_f64 v[79:80], v[119:120], v[77:78], v[79:80]
	s_waitcnt lgkmcnt(0)
	v_mul_f64 v[77:78], v[97:98], v[79:80]
	v_fma_f64 v[77:78], v[95:96], v[93:94], -v[77:78]
	v_mul_f64 v[95:96], v[95:96], v[79:80]
	v_add_f64 v[73:74], v[73:74], -v[77:78]
	v_fma_f64 v[95:96], v[97:98], v[93:94], v[95:96]
	v_add_f64 v[75:76], v[75:76], -v[95:96]
	ds_read2_b64 v[95:98], v90 offset0:62 offset1:63
	s_waitcnt lgkmcnt(0)
	v_mul_f64 v[77:78], v[97:98], v[79:80]
	v_fma_f64 v[77:78], v[95:96], v[93:94], -v[77:78]
	v_mul_f64 v[95:96], v[95:96], v[79:80]
	v_add_f64 v[69:70], v[69:70], -v[77:78]
	v_fma_f64 v[95:96], v[97:98], v[93:94], v[95:96]
	v_add_f64 v[71:72], v[71:72], -v[95:96]
	ds_read2_b64 v[95:98], v90 offset0:64 offset1:65
	;; [unrolled: 8-line block ×19, first 2 shown]
	s_waitcnt lgkmcnt(0)
	v_mul_f64 v[77:78], v[97:98], v[79:80]
	v_fma_f64 v[77:78], v[95:96], v[93:94], -v[77:78]
	v_mul_f64 v[95:96], v[95:96], v[79:80]
	v_add_f64 v[121:122], v[121:122], -v[77:78]
	v_fma_f64 v[95:96], v[97:98], v[93:94], v[95:96]
	v_mov_b32_e32 v77, v93
	v_mov_b32_e32 v78, v94
	v_add_f64 v[123:124], v[123:124], -v[95:96]
.LBB98_629:
	s_or_b64 exec, exec, s[0:1]
	v_lshl_add_u32 v93, v92, 4, v90
	s_barrier
	ds_write2_b64 v93, v[73:74], v[75:76] offset1:1
	s_waitcnt lgkmcnt(0)
	s_barrier
	ds_read2_b64 v[117:120], v90 offset0:60 offset1:61
	s_cmp_lt_i32 s3, 32
	v_mov_b32_e32 v93, 30
	s_cbranch_scc1 .LBB98_632
; %bb.630:
	v_add_u32_e32 v94, 0x1f0, v90
	s_mov_b32 s0, 31
	v_mov_b32_e32 v93, 30
.LBB98_631:                             ; =>This Inner Loop Header: Depth=1
	s_waitcnt lgkmcnt(0)
	v_cmp_gt_f64_e32 vcc, 0, v[117:118]
	v_xor_b32_e32 v99, 0x80000000, v118
	ds_read2_b64 v[95:98], v94 offset1:1
	v_xor_b32_e32 v101, 0x80000000, v120
	v_add_u32_e32 v94, 16, v94
	s_waitcnt lgkmcnt(0)
	v_xor_b32_e32 v103, 0x80000000, v98
	v_cndmask_b32_e32 v100, v118, v99, vcc
	v_cmp_gt_f64_e32 vcc, 0, v[119:120]
	v_mov_b32_e32 v99, v117
	v_cndmask_b32_e32 v102, v120, v101, vcc
	v_cmp_gt_f64_e32 vcc, 0, v[95:96]
	v_mov_b32_e32 v101, v119
	v_add_f64 v[99:100], v[99:100], v[101:102]
	v_xor_b32_e32 v101, 0x80000000, v96
	v_cndmask_b32_e32 v102, v96, v101, vcc
	v_cmp_gt_f64_e32 vcc, 0, v[97:98]
	v_mov_b32_e32 v101, v95
	v_cndmask_b32_e32 v104, v98, v103, vcc
	v_mov_b32_e32 v103, v97
	v_add_f64 v[101:102], v[101:102], v[103:104]
	v_cmp_lt_f64_e32 vcc, v[99:100], v[101:102]
	v_cndmask_b32_e32 v117, v117, v95, vcc
	v_mov_b32_e32 v95, s0
	s_add_i32 s0, s0, 1
	v_cndmask_b32_e32 v118, v118, v96, vcc
	v_cndmask_b32_e32 v120, v120, v98, vcc
	;; [unrolled: 1-line block ×4, first 2 shown]
	s_cmp_lg_u32 s3, s0
	s_cbranch_scc1 .LBB98_631
.LBB98_632:
	s_waitcnt lgkmcnt(0)
	v_cmp_eq_f64_e32 vcc, 0, v[117:118]
	v_cmp_eq_f64_e64 s[0:1], 0, v[119:120]
	s_and_b64 s[0:1], vcc, s[0:1]
	s_and_saveexec_b64 s[18:19], s[0:1]
	s_xor_b64 s[0:1], exec, s[18:19]
; %bb.633:
	v_cmp_ne_u32_e32 vcc, 0, v91
	v_cndmask_b32_e32 v91, 31, v91, vcc
; %bb.634:
	s_andn2_saveexec_b64 s[0:1], s[0:1]
	s_cbranch_execz .LBB98_640
; %bb.635:
	v_cmp_ngt_f64_e64 s[18:19], |v[117:118]|, |v[119:120]|
	s_and_saveexec_b64 s[20:21], s[18:19]
	s_xor_b64 s[18:19], exec, s[20:21]
	s_cbranch_execz .LBB98_637
; %bb.636:
	v_div_scale_f64 v[94:95], s[20:21], v[119:120], v[119:120], v[117:118]
	v_rcp_f64_e32 v[96:97], v[94:95]
	v_fma_f64 v[98:99], -v[94:95], v[96:97], 1.0
	v_fma_f64 v[96:97], v[96:97], v[98:99], v[96:97]
	v_div_scale_f64 v[98:99], vcc, v[117:118], v[119:120], v[117:118]
	v_fma_f64 v[100:101], -v[94:95], v[96:97], 1.0
	v_fma_f64 v[96:97], v[96:97], v[100:101], v[96:97]
	v_mul_f64 v[100:101], v[98:99], v[96:97]
	v_fma_f64 v[94:95], -v[94:95], v[100:101], v[98:99]
	v_div_fmas_f64 v[94:95], v[94:95], v[96:97], v[100:101]
	v_div_fixup_f64 v[94:95], v[94:95], v[119:120], v[117:118]
	v_fma_f64 v[96:97], v[117:118], v[94:95], v[119:120]
	v_div_scale_f64 v[98:99], s[20:21], v[96:97], v[96:97], 1.0
	v_div_scale_f64 v[104:105], vcc, 1.0, v[96:97], 1.0
	v_rcp_f64_e32 v[100:101], v[98:99]
	v_fma_f64 v[102:103], -v[98:99], v[100:101], 1.0
	v_fma_f64 v[100:101], v[100:101], v[102:103], v[100:101]
	v_fma_f64 v[102:103], -v[98:99], v[100:101], 1.0
	v_fma_f64 v[100:101], v[100:101], v[102:103], v[100:101]
	v_mul_f64 v[102:103], v[104:105], v[100:101]
	v_fma_f64 v[98:99], -v[98:99], v[102:103], v[104:105]
	v_div_fmas_f64 v[98:99], v[98:99], v[100:101], v[102:103]
	v_div_fixup_f64 v[119:120], v[98:99], v[96:97], 1.0
	v_mul_f64 v[117:118], v[94:95], v[119:120]
	v_xor_b32_e32 v120, 0x80000000, v120
.LBB98_637:
	s_andn2_saveexec_b64 s[18:19], s[18:19]
	s_cbranch_execz .LBB98_639
; %bb.638:
	v_div_scale_f64 v[94:95], s[20:21], v[117:118], v[117:118], v[119:120]
	v_rcp_f64_e32 v[96:97], v[94:95]
	v_fma_f64 v[98:99], -v[94:95], v[96:97], 1.0
	v_fma_f64 v[96:97], v[96:97], v[98:99], v[96:97]
	v_div_scale_f64 v[98:99], vcc, v[119:120], v[117:118], v[119:120]
	v_fma_f64 v[100:101], -v[94:95], v[96:97], 1.0
	v_fma_f64 v[96:97], v[96:97], v[100:101], v[96:97]
	v_mul_f64 v[100:101], v[98:99], v[96:97]
	v_fma_f64 v[94:95], -v[94:95], v[100:101], v[98:99]
	v_div_fmas_f64 v[94:95], v[94:95], v[96:97], v[100:101]
	v_div_fixup_f64 v[94:95], v[94:95], v[117:118], v[119:120]
	v_fma_f64 v[96:97], v[119:120], v[94:95], v[117:118]
	v_div_scale_f64 v[98:99], s[20:21], v[96:97], v[96:97], 1.0
	v_div_scale_f64 v[104:105], vcc, 1.0, v[96:97], 1.0
	v_rcp_f64_e32 v[100:101], v[98:99]
	v_fma_f64 v[102:103], -v[98:99], v[100:101], 1.0
	v_fma_f64 v[100:101], v[100:101], v[102:103], v[100:101]
	v_fma_f64 v[102:103], -v[98:99], v[100:101], 1.0
	v_fma_f64 v[100:101], v[100:101], v[102:103], v[100:101]
	v_mul_f64 v[102:103], v[104:105], v[100:101]
	v_fma_f64 v[98:99], -v[98:99], v[102:103], v[104:105]
	v_div_fmas_f64 v[98:99], v[98:99], v[100:101], v[102:103]
	v_div_fixup_f64 v[117:118], v[98:99], v[96:97], 1.0
	v_mul_f64 v[119:120], v[94:95], -v[117:118]
.LBB98_639:
	s_or_b64 exec, exec, s[18:19]
.LBB98_640:
	s_or_b64 exec, exec, s[0:1]
	v_cmp_ne_u32_e32 vcc, v92, v93
	s_and_saveexec_b64 s[0:1], vcc
	s_xor_b64 s[0:1], exec, s[0:1]
	s_cbranch_execz .LBB98_646
; %bb.641:
	v_cmp_eq_u32_e32 vcc, 30, v92
	s_and_saveexec_b64 s[18:19], vcc
	s_cbranch_execz .LBB98_645
; %bb.642:
	v_cmp_ne_u32_e32 vcc, 30, v93
	s_xor_b64 s[20:21], s[6:7], -1
	s_and_b64 s[22:23], s[20:21], vcc
	s_and_saveexec_b64 s[20:21], s[22:23]
	s_cbranch_execz .LBB98_644
; %bb.643:
	buffer_load_dword v81, off, s[24:27], 0 offset:368 ; 4-byte Folded Reload
	buffer_load_dword v82, off, s[24:27], 0 offset:372 ; 4-byte Folded Reload
	v_ashrrev_i32_e32 v94, 31, v93
	v_lshlrev_b64 v[94:95], 2, v[93:94]
	s_waitcnt vmcnt(1)
	v_add_co_u32_e32 v94, vcc, v81, v94
	s_waitcnt vmcnt(0)
	v_addc_co_u32_e32 v95, vcc, v82, v95, vcc
	global_load_dword v0, v[94:95], off
	global_load_dword v92, v[81:82], off offset:120
	s_waitcnt vmcnt(1)
	global_store_dword v[81:82], v0, off offset:120
	s_waitcnt vmcnt(1)
	global_store_dword v[94:95], v92, off
.LBB98_644:
	s_or_b64 exec, exec, s[20:21]
	v_mov_b32_e32 v92, v93
	v_mov_b32_e32 v0, v93
.LBB98_645:
	s_or_b64 exec, exec, s[18:19]
.LBB98_646:
	s_andn2_saveexec_b64 s[0:1], s[0:1]
	s_cbranch_execz .LBB98_648
; %bb.647:
	v_mov_b32_e32 v92, 30
	ds_write2_b64 v90, v[69:70], v[71:72] offset0:62 offset1:63
	ds_write2_b64 v90, v[65:66], v[67:68] offset0:64 offset1:65
	;; [unrolled: 1-line block ×19, first 2 shown]
.LBB98_648:
	s_or_b64 exec, exec, s[0:1]
	v_cmp_lt_i32_e32 vcc, 30, v92
	s_waitcnt vmcnt(0) lgkmcnt(0)
	s_barrier
	s_and_saveexec_b64 s[0:1], vcc
	s_cbranch_execz .LBB98_650
; %bb.649:
	v_mul_f64 v[93:94], v[119:120], v[75:76]
	v_mul_f64 v[75:76], v[117:118], v[75:76]
	ds_read2_b64 v[95:98], v90 offset0:62 offset1:63
	v_fma_f64 v[93:94], v[117:118], v[73:74], -v[93:94]
	v_fma_f64 v[75:76], v[119:120], v[73:74], v[75:76]
	s_waitcnt lgkmcnt(0)
	v_mul_f64 v[73:74], v[97:98], v[75:76]
	v_fma_f64 v[73:74], v[95:96], v[93:94], -v[73:74]
	v_mul_f64 v[95:96], v[95:96], v[75:76]
	v_add_f64 v[69:70], v[69:70], -v[73:74]
	v_fma_f64 v[95:96], v[97:98], v[93:94], v[95:96]
	v_add_f64 v[71:72], v[71:72], -v[95:96]
	ds_read2_b64 v[95:98], v90 offset0:64 offset1:65
	s_waitcnt lgkmcnt(0)
	v_mul_f64 v[73:74], v[97:98], v[75:76]
	v_fma_f64 v[73:74], v[95:96], v[93:94], -v[73:74]
	v_mul_f64 v[95:96], v[95:96], v[75:76]
	v_add_f64 v[65:66], v[65:66], -v[73:74]
	v_fma_f64 v[95:96], v[97:98], v[93:94], v[95:96]
	v_add_f64 v[67:68], v[67:68], -v[95:96]
	ds_read2_b64 v[95:98], v90 offset0:66 offset1:67
	;; [unrolled: 8-line block ×18, first 2 shown]
	s_waitcnt lgkmcnt(0)
	v_mul_f64 v[73:74], v[97:98], v[75:76]
	v_fma_f64 v[73:74], v[95:96], v[93:94], -v[73:74]
	v_mul_f64 v[95:96], v[95:96], v[75:76]
	v_add_f64 v[121:122], v[121:122], -v[73:74]
	v_fma_f64 v[95:96], v[97:98], v[93:94], v[95:96]
	v_mov_b32_e32 v73, v93
	v_mov_b32_e32 v74, v94
	v_add_f64 v[123:124], v[123:124], -v[95:96]
.LBB98_650:
	s_or_b64 exec, exec, s[0:1]
	v_lshl_add_u32 v93, v92, 4, v90
	s_barrier
	ds_write2_b64 v93, v[69:70], v[71:72] offset1:1
	s_waitcnt lgkmcnt(0)
	s_barrier
	ds_read2_b64 v[117:120], v90 offset0:62 offset1:63
	s_cmp_lt_i32 s3, 33
	v_mov_b32_e32 v93, 31
	s_cbranch_scc1 .LBB98_653
; %bb.651:
	v_add_u32_e32 v94, 0x200, v90
	s_mov_b32 s0, 32
	v_mov_b32_e32 v93, 31
.LBB98_652:                             ; =>This Inner Loop Header: Depth=1
	s_waitcnt lgkmcnt(0)
	v_cmp_gt_f64_e32 vcc, 0, v[117:118]
	v_xor_b32_e32 v99, 0x80000000, v118
	ds_read2_b64 v[95:98], v94 offset1:1
	v_xor_b32_e32 v101, 0x80000000, v120
	v_add_u32_e32 v94, 16, v94
	s_waitcnt lgkmcnt(0)
	v_xor_b32_e32 v103, 0x80000000, v98
	v_cndmask_b32_e32 v100, v118, v99, vcc
	v_cmp_gt_f64_e32 vcc, 0, v[119:120]
	v_mov_b32_e32 v99, v117
	v_cndmask_b32_e32 v102, v120, v101, vcc
	v_cmp_gt_f64_e32 vcc, 0, v[95:96]
	v_mov_b32_e32 v101, v119
	v_add_f64 v[99:100], v[99:100], v[101:102]
	v_xor_b32_e32 v101, 0x80000000, v96
	v_cndmask_b32_e32 v102, v96, v101, vcc
	v_cmp_gt_f64_e32 vcc, 0, v[97:98]
	v_mov_b32_e32 v101, v95
	v_cndmask_b32_e32 v104, v98, v103, vcc
	v_mov_b32_e32 v103, v97
	v_add_f64 v[101:102], v[101:102], v[103:104]
	v_cmp_lt_f64_e32 vcc, v[99:100], v[101:102]
	v_cndmask_b32_e32 v117, v117, v95, vcc
	v_mov_b32_e32 v95, s0
	s_add_i32 s0, s0, 1
	v_cndmask_b32_e32 v118, v118, v96, vcc
	v_cndmask_b32_e32 v120, v120, v98, vcc
	;; [unrolled: 1-line block ×4, first 2 shown]
	s_cmp_lg_u32 s3, s0
	s_cbranch_scc1 .LBB98_652
.LBB98_653:
	s_waitcnt lgkmcnt(0)
	v_cmp_eq_f64_e32 vcc, 0, v[117:118]
	v_cmp_eq_f64_e64 s[0:1], 0, v[119:120]
	s_and_b64 s[0:1], vcc, s[0:1]
	s_and_saveexec_b64 s[18:19], s[0:1]
	s_xor_b64 s[0:1], exec, s[18:19]
; %bb.654:
	v_cmp_ne_u32_e32 vcc, 0, v91
	v_cndmask_b32_e32 v91, 32, v91, vcc
; %bb.655:
	s_andn2_saveexec_b64 s[0:1], s[0:1]
	s_cbranch_execz .LBB98_661
; %bb.656:
	v_cmp_ngt_f64_e64 s[18:19], |v[117:118]|, |v[119:120]|
	s_and_saveexec_b64 s[20:21], s[18:19]
	s_xor_b64 s[18:19], exec, s[20:21]
	s_cbranch_execz .LBB98_658
; %bb.657:
	v_div_scale_f64 v[94:95], s[20:21], v[119:120], v[119:120], v[117:118]
	v_rcp_f64_e32 v[96:97], v[94:95]
	v_fma_f64 v[98:99], -v[94:95], v[96:97], 1.0
	v_fma_f64 v[96:97], v[96:97], v[98:99], v[96:97]
	v_div_scale_f64 v[98:99], vcc, v[117:118], v[119:120], v[117:118]
	v_fma_f64 v[100:101], -v[94:95], v[96:97], 1.0
	v_fma_f64 v[96:97], v[96:97], v[100:101], v[96:97]
	v_mul_f64 v[100:101], v[98:99], v[96:97]
	v_fma_f64 v[94:95], -v[94:95], v[100:101], v[98:99]
	v_div_fmas_f64 v[94:95], v[94:95], v[96:97], v[100:101]
	v_div_fixup_f64 v[94:95], v[94:95], v[119:120], v[117:118]
	v_fma_f64 v[96:97], v[117:118], v[94:95], v[119:120]
	v_div_scale_f64 v[98:99], s[20:21], v[96:97], v[96:97], 1.0
	v_div_scale_f64 v[104:105], vcc, 1.0, v[96:97], 1.0
	v_rcp_f64_e32 v[100:101], v[98:99]
	v_fma_f64 v[102:103], -v[98:99], v[100:101], 1.0
	v_fma_f64 v[100:101], v[100:101], v[102:103], v[100:101]
	v_fma_f64 v[102:103], -v[98:99], v[100:101], 1.0
	v_fma_f64 v[100:101], v[100:101], v[102:103], v[100:101]
	v_mul_f64 v[102:103], v[104:105], v[100:101]
	v_fma_f64 v[98:99], -v[98:99], v[102:103], v[104:105]
	v_div_fmas_f64 v[98:99], v[98:99], v[100:101], v[102:103]
	v_div_fixup_f64 v[119:120], v[98:99], v[96:97], 1.0
	v_mul_f64 v[117:118], v[94:95], v[119:120]
	v_xor_b32_e32 v120, 0x80000000, v120
.LBB98_658:
	s_andn2_saveexec_b64 s[18:19], s[18:19]
	s_cbranch_execz .LBB98_660
; %bb.659:
	v_div_scale_f64 v[94:95], s[20:21], v[117:118], v[117:118], v[119:120]
	v_rcp_f64_e32 v[96:97], v[94:95]
	v_fma_f64 v[98:99], -v[94:95], v[96:97], 1.0
	v_fma_f64 v[96:97], v[96:97], v[98:99], v[96:97]
	v_div_scale_f64 v[98:99], vcc, v[119:120], v[117:118], v[119:120]
	v_fma_f64 v[100:101], -v[94:95], v[96:97], 1.0
	v_fma_f64 v[96:97], v[96:97], v[100:101], v[96:97]
	v_mul_f64 v[100:101], v[98:99], v[96:97]
	v_fma_f64 v[94:95], -v[94:95], v[100:101], v[98:99]
	v_div_fmas_f64 v[94:95], v[94:95], v[96:97], v[100:101]
	v_div_fixup_f64 v[94:95], v[94:95], v[117:118], v[119:120]
	v_fma_f64 v[96:97], v[119:120], v[94:95], v[117:118]
	v_div_scale_f64 v[98:99], s[20:21], v[96:97], v[96:97], 1.0
	v_div_scale_f64 v[104:105], vcc, 1.0, v[96:97], 1.0
	v_rcp_f64_e32 v[100:101], v[98:99]
	v_fma_f64 v[102:103], -v[98:99], v[100:101], 1.0
	v_fma_f64 v[100:101], v[100:101], v[102:103], v[100:101]
	v_fma_f64 v[102:103], -v[98:99], v[100:101], 1.0
	v_fma_f64 v[100:101], v[100:101], v[102:103], v[100:101]
	v_mul_f64 v[102:103], v[104:105], v[100:101]
	v_fma_f64 v[98:99], -v[98:99], v[102:103], v[104:105]
	v_div_fmas_f64 v[98:99], v[98:99], v[100:101], v[102:103]
	v_div_fixup_f64 v[117:118], v[98:99], v[96:97], 1.0
	v_mul_f64 v[119:120], v[94:95], -v[117:118]
.LBB98_660:
	s_or_b64 exec, exec, s[18:19]
.LBB98_661:
	s_or_b64 exec, exec, s[0:1]
	v_cmp_ne_u32_e32 vcc, v92, v93
	s_and_saveexec_b64 s[0:1], vcc
	s_xor_b64 s[0:1], exec, s[0:1]
	s_cbranch_execz .LBB98_667
; %bb.662:
	v_cmp_eq_u32_e32 vcc, 31, v92
	s_and_saveexec_b64 s[18:19], vcc
	s_cbranch_execz .LBB98_666
; %bb.663:
	v_cmp_ne_u32_e32 vcc, 31, v93
	s_xor_b64 s[20:21], s[6:7], -1
	s_and_b64 s[22:23], s[20:21], vcc
	s_and_saveexec_b64 s[20:21], s[22:23]
	s_cbranch_execz .LBB98_665
; %bb.664:
	buffer_load_dword v81, off, s[24:27], 0 offset:368 ; 4-byte Folded Reload
	buffer_load_dword v82, off, s[24:27], 0 offset:372 ; 4-byte Folded Reload
	v_ashrrev_i32_e32 v94, 31, v93
	v_lshlrev_b64 v[94:95], 2, v[93:94]
	s_waitcnt vmcnt(1)
	v_add_co_u32_e32 v94, vcc, v81, v94
	s_waitcnt vmcnt(0)
	v_addc_co_u32_e32 v95, vcc, v82, v95, vcc
	global_load_dword v0, v[94:95], off
	global_load_dword v92, v[81:82], off offset:124
	s_waitcnt vmcnt(1)
	global_store_dword v[81:82], v0, off offset:124
	s_waitcnt vmcnt(1)
	global_store_dword v[94:95], v92, off
.LBB98_665:
	s_or_b64 exec, exec, s[20:21]
	v_mov_b32_e32 v92, v93
	v_mov_b32_e32 v0, v93
.LBB98_666:
	s_or_b64 exec, exec, s[18:19]
.LBB98_667:
	s_andn2_saveexec_b64 s[0:1], s[0:1]
	s_cbranch_execz .LBB98_669
; %bb.668:
	v_mov_b32_e32 v92, 31
	ds_write2_b64 v90, v[65:66], v[67:68] offset0:64 offset1:65
	ds_write2_b64 v90, v[61:62], v[63:64] offset0:66 offset1:67
	;; [unrolled: 1-line block ×18, first 2 shown]
.LBB98_669:
	s_or_b64 exec, exec, s[0:1]
	v_cmp_lt_i32_e32 vcc, 31, v92
	s_waitcnt vmcnt(0) lgkmcnt(0)
	s_barrier
	s_and_saveexec_b64 s[0:1], vcc
	s_cbranch_execz .LBB98_671
; %bb.670:
	v_mul_f64 v[93:94], v[119:120], v[71:72]
	v_mul_f64 v[71:72], v[117:118], v[71:72]
	ds_read2_b64 v[95:98], v90 offset0:64 offset1:65
	v_fma_f64 v[93:94], v[117:118], v[69:70], -v[93:94]
	v_fma_f64 v[71:72], v[119:120], v[69:70], v[71:72]
	s_waitcnt lgkmcnt(0)
	v_mul_f64 v[69:70], v[97:98], v[71:72]
	v_fma_f64 v[69:70], v[95:96], v[93:94], -v[69:70]
	v_mul_f64 v[95:96], v[95:96], v[71:72]
	v_add_f64 v[65:66], v[65:66], -v[69:70]
	v_fma_f64 v[95:96], v[97:98], v[93:94], v[95:96]
	v_add_f64 v[67:68], v[67:68], -v[95:96]
	ds_read2_b64 v[95:98], v90 offset0:66 offset1:67
	s_waitcnt lgkmcnt(0)
	v_mul_f64 v[69:70], v[97:98], v[71:72]
	v_fma_f64 v[69:70], v[95:96], v[93:94], -v[69:70]
	v_mul_f64 v[95:96], v[95:96], v[71:72]
	v_add_f64 v[61:62], v[61:62], -v[69:70]
	v_fma_f64 v[95:96], v[97:98], v[93:94], v[95:96]
	v_add_f64 v[63:64], v[63:64], -v[95:96]
	ds_read2_b64 v[95:98], v90 offset0:68 offset1:69
	;; [unrolled: 8-line block ×17, first 2 shown]
	s_waitcnt lgkmcnt(0)
	v_mul_f64 v[69:70], v[97:98], v[71:72]
	v_fma_f64 v[69:70], v[95:96], v[93:94], -v[69:70]
	v_mul_f64 v[95:96], v[95:96], v[71:72]
	v_add_f64 v[121:122], v[121:122], -v[69:70]
	v_fma_f64 v[95:96], v[97:98], v[93:94], v[95:96]
	v_mov_b32_e32 v69, v93
	v_mov_b32_e32 v70, v94
	v_add_f64 v[123:124], v[123:124], -v[95:96]
.LBB98_671:
	s_or_b64 exec, exec, s[0:1]
	v_lshl_add_u32 v93, v92, 4, v90
	s_barrier
	ds_write2_b64 v93, v[65:66], v[67:68] offset1:1
	s_waitcnt lgkmcnt(0)
	s_barrier
	ds_read2_b64 v[117:120], v90 offset0:64 offset1:65
	s_cmp_lt_i32 s3, 34
	v_mov_b32_e32 v93, 32
	s_cbranch_scc1 .LBB98_674
; %bb.672:
	v_add_u32_e32 v94, 0x210, v90
	s_mov_b32 s0, 33
	v_mov_b32_e32 v93, 32
.LBB98_673:                             ; =>This Inner Loop Header: Depth=1
	s_waitcnt lgkmcnt(0)
	v_cmp_gt_f64_e32 vcc, 0, v[117:118]
	v_xor_b32_e32 v99, 0x80000000, v118
	ds_read2_b64 v[95:98], v94 offset1:1
	v_xor_b32_e32 v101, 0x80000000, v120
	v_add_u32_e32 v94, 16, v94
	s_waitcnt lgkmcnt(0)
	v_xor_b32_e32 v103, 0x80000000, v98
	v_cndmask_b32_e32 v100, v118, v99, vcc
	v_cmp_gt_f64_e32 vcc, 0, v[119:120]
	v_mov_b32_e32 v99, v117
	v_cndmask_b32_e32 v102, v120, v101, vcc
	v_cmp_gt_f64_e32 vcc, 0, v[95:96]
	v_mov_b32_e32 v101, v119
	v_add_f64 v[99:100], v[99:100], v[101:102]
	v_xor_b32_e32 v101, 0x80000000, v96
	v_cndmask_b32_e32 v102, v96, v101, vcc
	v_cmp_gt_f64_e32 vcc, 0, v[97:98]
	v_mov_b32_e32 v101, v95
	v_cndmask_b32_e32 v104, v98, v103, vcc
	v_mov_b32_e32 v103, v97
	v_add_f64 v[101:102], v[101:102], v[103:104]
	v_cmp_lt_f64_e32 vcc, v[99:100], v[101:102]
	v_cndmask_b32_e32 v117, v117, v95, vcc
	v_mov_b32_e32 v95, s0
	s_add_i32 s0, s0, 1
	v_cndmask_b32_e32 v118, v118, v96, vcc
	v_cndmask_b32_e32 v120, v120, v98, vcc
	;; [unrolled: 1-line block ×4, first 2 shown]
	s_cmp_lg_u32 s3, s0
	s_cbranch_scc1 .LBB98_673
.LBB98_674:
	s_waitcnt lgkmcnt(0)
	v_cmp_eq_f64_e32 vcc, 0, v[117:118]
	v_cmp_eq_f64_e64 s[0:1], 0, v[119:120]
	s_and_b64 s[0:1], vcc, s[0:1]
	s_and_saveexec_b64 s[18:19], s[0:1]
	s_xor_b64 s[0:1], exec, s[18:19]
; %bb.675:
	v_cmp_ne_u32_e32 vcc, 0, v91
	v_cndmask_b32_e32 v91, 33, v91, vcc
; %bb.676:
	s_andn2_saveexec_b64 s[0:1], s[0:1]
	s_cbranch_execz .LBB98_682
; %bb.677:
	v_cmp_ngt_f64_e64 s[18:19], |v[117:118]|, |v[119:120]|
	s_and_saveexec_b64 s[20:21], s[18:19]
	s_xor_b64 s[18:19], exec, s[20:21]
	s_cbranch_execz .LBB98_679
; %bb.678:
	v_div_scale_f64 v[94:95], s[20:21], v[119:120], v[119:120], v[117:118]
	v_rcp_f64_e32 v[96:97], v[94:95]
	v_fma_f64 v[98:99], -v[94:95], v[96:97], 1.0
	v_fma_f64 v[96:97], v[96:97], v[98:99], v[96:97]
	v_div_scale_f64 v[98:99], vcc, v[117:118], v[119:120], v[117:118]
	v_fma_f64 v[100:101], -v[94:95], v[96:97], 1.0
	v_fma_f64 v[96:97], v[96:97], v[100:101], v[96:97]
	v_mul_f64 v[100:101], v[98:99], v[96:97]
	v_fma_f64 v[94:95], -v[94:95], v[100:101], v[98:99]
	v_div_fmas_f64 v[94:95], v[94:95], v[96:97], v[100:101]
	v_div_fixup_f64 v[94:95], v[94:95], v[119:120], v[117:118]
	v_fma_f64 v[96:97], v[117:118], v[94:95], v[119:120]
	v_div_scale_f64 v[98:99], s[20:21], v[96:97], v[96:97], 1.0
	v_div_scale_f64 v[104:105], vcc, 1.0, v[96:97], 1.0
	v_rcp_f64_e32 v[100:101], v[98:99]
	v_fma_f64 v[102:103], -v[98:99], v[100:101], 1.0
	v_fma_f64 v[100:101], v[100:101], v[102:103], v[100:101]
	v_fma_f64 v[102:103], -v[98:99], v[100:101], 1.0
	v_fma_f64 v[100:101], v[100:101], v[102:103], v[100:101]
	v_mul_f64 v[102:103], v[104:105], v[100:101]
	v_fma_f64 v[98:99], -v[98:99], v[102:103], v[104:105]
	v_div_fmas_f64 v[98:99], v[98:99], v[100:101], v[102:103]
	v_div_fixup_f64 v[119:120], v[98:99], v[96:97], 1.0
	v_mul_f64 v[117:118], v[94:95], v[119:120]
	v_xor_b32_e32 v120, 0x80000000, v120
.LBB98_679:
	s_andn2_saveexec_b64 s[18:19], s[18:19]
	s_cbranch_execz .LBB98_681
; %bb.680:
	v_div_scale_f64 v[94:95], s[20:21], v[117:118], v[117:118], v[119:120]
	v_rcp_f64_e32 v[96:97], v[94:95]
	v_fma_f64 v[98:99], -v[94:95], v[96:97], 1.0
	v_fma_f64 v[96:97], v[96:97], v[98:99], v[96:97]
	v_div_scale_f64 v[98:99], vcc, v[119:120], v[117:118], v[119:120]
	v_fma_f64 v[100:101], -v[94:95], v[96:97], 1.0
	v_fma_f64 v[96:97], v[96:97], v[100:101], v[96:97]
	v_mul_f64 v[100:101], v[98:99], v[96:97]
	v_fma_f64 v[94:95], -v[94:95], v[100:101], v[98:99]
	v_div_fmas_f64 v[94:95], v[94:95], v[96:97], v[100:101]
	v_div_fixup_f64 v[94:95], v[94:95], v[117:118], v[119:120]
	v_fma_f64 v[96:97], v[119:120], v[94:95], v[117:118]
	v_div_scale_f64 v[98:99], s[20:21], v[96:97], v[96:97], 1.0
	v_div_scale_f64 v[104:105], vcc, 1.0, v[96:97], 1.0
	v_rcp_f64_e32 v[100:101], v[98:99]
	v_fma_f64 v[102:103], -v[98:99], v[100:101], 1.0
	v_fma_f64 v[100:101], v[100:101], v[102:103], v[100:101]
	v_fma_f64 v[102:103], -v[98:99], v[100:101], 1.0
	v_fma_f64 v[100:101], v[100:101], v[102:103], v[100:101]
	v_mul_f64 v[102:103], v[104:105], v[100:101]
	v_fma_f64 v[98:99], -v[98:99], v[102:103], v[104:105]
	v_div_fmas_f64 v[98:99], v[98:99], v[100:101], v[102:103]
	v_div_fixup_f64 v[117:118], v[98:99], v[96:97], 1.0
	v_mul_f64 v[119:120], v[94:95], -v[117:118]
.LBB98_681:
	s_or_b64 exec, exec, s[18:19]
.LBB98_682:
	s_or_b64 exec, exec, s[0:1]
	v_cmp_ne_u32_e32 vcc, v92, v93
	s_and_saveexec_b64 s[0:1], vcc
	s_xor_b64 s[0:1], exec, s[0:1]
	s_cbranch_execz .LBB98_688
; %bb.683:
	v_cmp_eq_u32_e32 vcc, 32, v92
	s_and_saveexec_b64 s[18:19], vcc
	s_cbranch_execz .LBB98_687
; %bb.684:
	v_cmp_ne_u32_e32 vcc, 32, v93
	s_xor_b64 s[20:21], s[6:7], -1
	s_and_b64 s[22:23], s[20:21], vcc
	s_and_saveexec_b64 s[20:21], s[22:23]
	s_cbranch_execz .LBB98_686
; %bb.685:
	buffer_load_dword v81, off, s[24:27], 0 offset:368 ; 4-byte Folded Reload
	buffer_load_dword v82, off, s[24:27], 0 offset:372 ; 4-byte Folded Reload
	v_ashrrev_i32_e32 v94, 31, v93
	v_lshlrev_b64 v[94:95], 2, v[93:94]
	s_waitcnt vmcnt(1)
	v_add_co_u32_e32 v94, vcc, v81, v94
	s_waitcnt vmcnt(0)
	v_addc_co_u32_e32 v95, vcc, v82, v95, vcc
	global_load_dword v0, v[94:95], off
	global_load_dword v92, v[81:82], off offset:128
	s_waitcnt vmcnt(1)
	global_store_dword v[81:82], v0, off offset:128
	s_waitcnt vmcnt(1)
	global_store_dword v[94:95], v92, off
.LBB98_686:
	s_or_b64 exec, exec, s[20:21]
	v_mov_b32_e32 v92, v93
	v_mov_b32_e32 v0, v93
.LBB98_687:
	s_or_b64 exec, exec, s[18:19]
.LBB98_688:
	s_andn2_saveexec_b64 s[0:1], s[0:1]
	s_cbranch_execz .LBB98_690
; %bb.689:
	v_mov_b32_e32 v92, 32
	ds_write2_b64 v90, v[61:62], v[63:64] offset0:66 offset1:67
	ds_write2_b64 v90, v[57:58], v[59:60] offset0:68 offset1:69
	;; [unrolled: 1-line block ×17, first 2 shown]
.LBB98_690:
	s_or_b64 exec, exec, s[0:1]
	v_cmp_lt_i32_e32 vcc, 32, v92
	s_waitcnt vmcnt(0) lgkmcnt(0)
	s_barrier
	s_and_saveexec_b64 s[0:1], vcc
	s_cbranch_execz .LBB98_692
; %bb.691:
	v_mul_f64 v[93:94], v[119:120], v[67:68]
	v_mul_f64 v[67:68], v[117:118], v[67:68]
	ds_read2_b64 v[95:98], v90 offset0:66 offset1:67
	v_fma_f64 v[93:94], v[117:118], v[65:66], -v[93:94]
	v_fma_f64 v[67:68], v[119:120], v[65:66], v[67:68]
	s_waitcnt lgkmcnt(0)
	v_mul_f64 v[65:66], v[97:98], v[67:68]
	v_fma_f64 v[65:66], v[95:96], v[93:94], -v[65:66]
	v_mul_f64 v[95:96], v[95:96], v[67:68]
	v_add_f64 v[61:62], v[61:62], -v[65:66]
	v_fma_f64 v[95:96], v[97:98], v[93:94], v[95:96]
	v_add_f64 v[63:64], v[63:64], -v[95:96]
	ds_read2_b64 v[95:98], v90 offset0:68 offset1:69
	s_waitcnt lgkmcnt(0)
	v_mul_f64 v[65:66], v[97:98], v[67:68]
	v_fma_f64 v[65:66], v[95:96], v[93:94], -v[65:66]
	v_mul_f64 v[95:96], v[95:96], v[67:68]
	v_add_f64 v[57:58], v[57:58], -v[65:66]
	v_fma_f64 v[95:96], v[97:98], v[93:94], v[95:96]
	v_add_f64 v[59:60], v[59:60], -v[95:96]
	ds_read2_b64 v[95:98], v90 offset0:70 offset1:71
	;; [unrolled: 8-line block ×16, first 2 shown]
	s_waitcnt lgkmcnt(0)
	v_mul_f64 v[65:66], v[97:98], v[67:68]
	v_fma_f64 v[65:66], v[95:96], v[93:94], -v[65:66]
	v_mul_f64 v[95:96], v[95:96], v[67:68]
	v_add_f64 v[121:122], v[121:122], -v[65:66]
	v_fma_f64 v[95:96], v[97:98], v[93:94], v[95:96]
	v_mov_b32_e32 v65, v93
	v_mov_b32_e32 v66, v94
	v_add_f64 v[123:124], v[123:124], -v[95:96]
.LBB98_692:
	s_or_b64 exec, exec, s[0:1]
	v_lshl_add_u32 v93, v92, 4, v90
	s_barrier
	ds_write2_b64 v93, v[61:62], v[63:64] offset1:1
	s_waitcnt lgkmcnt(0)
	s_barrier
	ds_read2_b64 v[117:120], v90 offset0:66 offset1:67
	s_cmp_lt_i32 s3, 35
	v_mov_b32_e32 v93, 33
	s_cbranch_scc1 .LBB98_695
; %bb.693:
	v_add_u32_e32 v94, 0x220, v90
	s_mov_b32 s0, 34
	v_mov_b32_e32 v93, 33
.LBB98_694:                             ; =>This Inner Loop Header: Depth=1
	s_waitcnt lgkmcnt(0)
	v_cmp_gt_f64_e32 vcc, 0, v[117:118]
	v_xor_b32_e32 v99, 0x80000000, v118
	ds_read2_b64 v[95:98], v94 offset1:1
	v_xor_b32_e32 v101, 0x80000000, v120
	v_add_u32_e32 v94, 16, v94
	s_waitcnt lgkmcnt(0)
	v_xor_b32_e32 v103, 0x80000000, v98
	v_cndmask_b32_e32 v100, v118, v99, vcc
	v_cmp_gt_f64_e32 vcc, 0, v[119:120]
	v_mov_b32_e32 v99, v117
	v_cndmask_b32_e32 v102, v120, v101, vcc
	v_cmp_gt_f64_e32 vcc, 0, v[95:96]
	v_mov_b32_e32 v101, v119
	v_add_f64 v[99:100], v[99:100], v[101:102]
	v_xor_b32_e32 v101, 0x80000000, v96
	v_cndmask_b32_e32 v102, v96, v101, vcc
	v_cmp_gt_f64_e32 vcc, 0, v[97:98]
	v_mov_b32_e32 v101, v95
	v_cndmask_b32_e32 v104, v98, v103, vcc
	v_mov_b32_e32 v103, v97
	v_add_f64 v[101:102], v[101:102], v[103:104]
	v_cmp_lt_f64_e32 vcc, v[99:100], v[101:102]
	v_cndmask_b32_e32 v117, v117, v95, vcc
	v_mov_b32_e32 v95, s0
	s_add_i32 s0, s0, 1
	v_cndmask_b32_e32 v118, v118, v96, vcc
	v_cndmask_b32_e32 v120, v120, v98, vcc
	;; [unrolled: 1-line block ×4, first 2 shown]
	s_cmp_lg_u32 s3, s0
	s_cbranch_scc1 .LBB98_694
.LBB98_695:
	s_waitcnt lgkmcnt(0)
	v_cmp_eq_f64_e32 vcc, 0, v[117:118]
	v_cmp_eq_f64_e64 s[0:1], 0, v[119:120]
	s_and_b64 s[0:1], vcc, s[0:1]
	s_and_saveexec_b64 s[18:19], s[0:1]
	s_xor_b64 s[0:1], exec, s[18:19]
; %bb.696:
	v_cmp_ne_u32_e32 vcc, 0, v91
	v_cndmask_b32_e32 v91, 34, v91, vcc
; %bb.697:
	s_andn2_saveexec_b64 s[0:1], s[0:1]
	s_cbranch_execz .LBB98_703
; %bb.698:
	v_cmp_ngt_f64_e64 s[18:19], |v[117:118]|, |v[119:120]|
	s_and_saveexec_b64 s[20:21], s[18:19]
	s_xor_b64 s[18:19], exec, s[20:21]
	s_cbranch_execz .LBB98_700
; %bb.699:
	v_div_scale_f64 v[94:95], s[20:21], v[119:120], v[119:120], v[117:118]
	v_rcp_f64_e32 v[96:97], v[94:95]
	v_fma_f64 v[98:99], -v[94:95], v[96:97], 1.0
	v_fma_f64 v[96:97], v[96:97], v[98:99], v[96:97]
	v_div_scale_f64 v[98:99], vcc, v[117:118], v[119:120], v[117:118]
	v_fma_f64 v[100:101], -v[94:95], v[96:97], 1.0
	v_fma_f64 v[96:97], v[96:97], v[100:101], v[96:97]
	v_mul_f64 v[100:101], v[98:99], v[96:97]
	v_fma_f64 v[94:95], -v[94:95], v[100:101], v[98:99]
	v_div_fmas_f64 v[94:95], v[94:95], v[96:97], v[100:101]
	v_div_fixup_f64 v[94:95], v[94:95], v[119:120], v[117:118]
	v_fma_f64 v[96:97], v[117:118], v[94:95], v[119:120]
	v_div_scale_f64 v[98:99], s[20:21], v[96:97], v[96:97], 1.0
	v_div_scale_f64 v[104:105], vcc, 1.0, v[96:97], 1.0
	v_rcp_f64_e32 v[100:101], v[98:99]
	v_fma_f64 v[102:103], -v[98:99], v[100:101], 1.0
	v_fma_f64 v[100:101], v[100:101], v[102:103], v[100:101]
	v_fma_f64 v[102:103], -v[98:99], v[100:101], 1.0
	v_fma_f64 v[100:101], v[100:101], v[102:103], v[100:101]
	v_mul_f64 v[102:103], v[104:105], v[100:101]
	v_fma_f64 v[98:99], -v[98:99], v[102:103], v[104:105]
	v_div_fmas_f64 v[98:99], v[98:99], v[100:101], v[102:103]
	v_div_fixup_f64 v[119:120], v[98:99], v[96:97], 1.0
	v_mul_f64 v[117:118], v[94:95], v[119:120]
	v_xor_b32_e32 v120, 0x80000000, v120
.LBB98_700:
	s_andn2_saveexec_b64 s[18:19], s[18:19]
	s_cbranch_execz .LBB98_702
; %bb.701:
	v_div_scale_f64 v[94:95], s[20:21], v[117:118], v[117:118], v[119:120]
	v_rcp_f64_e32 v[96:97], v[94:95]
	v_fma_f64 v[98:99], -v[94:95], v[96:97], 1.0
	v_fma_f64 v[96:97], v[96:97], v[98:99], v[96:97]
	v_div_scale_f64 v[98:99], vcc, v[119:120], v[117:118], v[119:120]
	v_fma_f64 v[100:101], -v[94:95], v[96:97], 1.0
	v_fma_f64 v[96:97], v[96:97], v[100:101], v[96:97]
	v_mul_f64 v[100:101], v[98:99], v[96:97]
	v_fma_f64 v[94:95], -v[94:95], v[100:101], v[98:99]
	v_div_fmas_f64 v[94:95], v[94:95], v[96:97], v[100:101]
	v_div_fixup_f64 v[94:95], v[94:95], v[117:118], v[119:120]
	v_fma_f64 v[96:97], v[119:120], v[94:95], v[117:118]
	v_div_scale_f64 v[98:99], s[20:21], v[96:97], v[96:97], 1.0
	v_div_scale_f64 v[104:105], vcc, 1.0, v[96:97], 1.0
	v_rcp_f64_e32 v[100:101], v[98:99]
	v_fma_f64 v[102:103], -v[98:99], v[100:101], 1.0
	v_fma_f64 v[100:101], v[100:101], v[102:103], v[100:101]
	v_fma_f64 v[102:103], -v[98:99], v[100:101], 1.0
	v_fma_f64 v[100:101], v[100:101], v[102:103], v[100:101]
	v_mul_f64 v[102:103], v[104:105], v[100:101]
	v_fma_f64 v[98:99], -v[98:99], v[102:103], v[104:105]
	v_div_fmas_f64 v[98:99], v[98:99], v[100:101], v[102:103]
	v_div_fixup_f64 v[117:118], v[98:99], v[96:97], 1.0
	v_mul_f64 v[119:120], v[94:95], -v[117:118]
.LBB98_702:
	s_or_b64 exec, exec, s[18:19]
.LBB98_703:
	s_or_b64 exec, exec, s[0:1]
	v_cmp_ne_u32_e32 vcc, v92, v93
	s_and_saveexec_b64 s[0:1], vcc
	s_xor_b64 s[0:1], exec, s[0:1]
	s_cbranch_execz .LBB98_709
; %bb.704:
	v_cmp_eq_u32_e32 vcc, 33, v92
	s_and_saveexec_b64 s[18:19], vcc
	s_cbranch_execz .LBB98_708
; %bb.705:
	v_cmp_ne_u32_e32 vcc, 33, v93
	s_xor_b64 s[20:21], s[6:7], -1
	s_and_b64 s[22:23], s[20:21], vcc
	s_and_saveexec_b64 s[20:21], s[22:23]
	s_cbranch_execz .LBB98_707
; %bb.706:
	buffer_load_dword v81, off, s[24:27], 0 offset:368 ; 4-byte Folded Reload
	buffer_load_dword v82, off, s[24:27], 0 offset:372 ; 4-byte Folded Reload
	v_ashrrev_i32_e32 v94, 31, v93
	v_lshlrev_b64 v[94:95], 2, v[93:94]
	s_waitcnt vmcnt(1)
	v_add_co_u32_e32 v94, vcc, v81, v94
	s_waitcnt vmcnt(0)
	v_addc_co_u32_e32 v95, vcc, v82, v95, vcc
	global_load_dword v0, v[94:95], off
	global_load_dword v92, v[81:82], off offset:132
	s_waitcnt vmcnt(1)
	global_store_dword v[81:82], v0, off offset:132
	s_waitcnt vmcnt(1)
	global_store_dword v[94:95], v92, off
.LBB98_707:
	s_or_b64 exec, exec, s[20:21]
	v_mov_b32_e32 v92, v93
	v_mov_b32_e32 v0, v93
.LBB98_708:
	s_or_b64 exec, exec, s[18:19]
.LBB98_709:
	s_andn2_saveexec_b64 s[0:1], s[0:1]
	s_cbranch_execz .LBB98_711
; %bb.710:
	v_mov_b32_e32 v92, 33
	ds_write2_b64 v90, v[57:58], v[59:60] offset0:68 offset1:69
	ds_write2_b64 v90, v[53:54], v[55:56] offset0:70 offset1:71
	;; [unrolled: 1-line block ×16, first 2 shown]
.LBB98_711:
	s_or_b64 exec, exec, s[0:1]
	v_cmp_lt_i32_e32 vcc, 33, v92
	s_waitcnt vmcnt(0) lgkmcnt(0)
	s_barrier
	s_and_saveexec_b64 s[0:1], vcc
	s_cbranch_execz .LBB98_713
; %bb.712:
	v_mul_f64 v[93:94], v[117:118], v[63:64]
	v_mul_f64 v[63:64], v[119:120], v[63:64]
	ds_read2_b64 v[95:98], v90 offset0:68 offset1:69
	v_fma_f64 v[93:94], v[119:120], v[61:62], v[93:94]
	v_fma_f64 v[61:62], v[117:118], v[61:62], -v[63:64]
	s_waitcnt lgkmcnt(0)
	v_mul_f64 v[63:64], v[97:98], v[93:94]
	v_fma_f64 v[63:64], v[95:96], v[61:62], -v[63:64]
	v_mul_f64 v[95:96], v[95:96], v[93:94]
	v_add_f64 v[57:58], v[57:58], -v[63:64]
	v_fma_f64 v[95:96], v[97:98], v[61:62], v[95:96]
	v_add_f64 v[59:60], v[59:60], -v[95:96]
	ds_read2_b64 v[95:98], v90 offset0:70 offset1:71
	s_waitcnt lgkmcnt(0)
	v_mul_f64 v[63:64], v[97:98], v[93:94]
	v_fma_f64 v[63:64], v[95:96], v[61:62], -v[63:64]
	v_mul_f64 v[95:96], v[95:96], v[93:94]
	v_add_f64 v[53:54], v[53:54], -v[63:64]
	v_fma_f64 v[95:96], v[97:98], v[61:62], v[95:96]
	v_add_f64 v[55:56], v[55:56], -v[95:96]
	ds_read2_b64 v[95:98], v90 offset0:72 offset1:73
	s_waitcnt lgkmcnt(0)
	v_mul_f64 v[63:64], v[97:98], v[93:94]
	v_fma_f64 v[63:64], v[95:96], v[61:62], -v[63:64]
	v_mul_f64 v[95:96], v[95:96], v[93:94]
	v_add_f64 v[49:50], v[49:50], -v[63:64]
	v_fma_f64 v[95:96], v[97:98], v[61:62], v[95:96]
	v_add_f64 v[51:52], v[51:52], -v[95:96]
	ds_read2_b64 v[95:98], v90 offset0:74 offset1:75
	s_waitcnt lgkmcnt(0)
	v_mul_f64 v[63:64], v[97:98], v[93:94]
	v_fma_f64 v[63:64], v[95:96], v[61:62], -v[63:64]
	v_mul_f64 v[95:96], v[95:96], v[93:94]
	v_add_f64 v[45:46], v[45:46], -v[63:64]
	v_fma_f64 v[95:96], v[97:98], v[61:62], v[95:96]
	v_add_f64 v[47:48], v[47:48], -v[95:96]
	ds_read2_b64 v[95:98], v90 offset0:76 offset1:77
	s_waitcnt lgkmcnt(0)
	v_mul_f64 v[63:64], v[97:98], v[93:94]
	v_fma_f64 v[63:64], v[95:96], v[61:62], -v[63:64]
	v_mul_f64 v[95:96], v[95:96], v[93:94]
	v_add_f64 v[41:42], v[41:42], -v[63:64]
	v_fma_f64 v[95:96], v[97:98], v[61:62], v[95:96]
	v_add_f64 v[43:44], v[43:44], -v[95:96]
	ds_read2_b64 v[95:98], v90 offset0:78 offset1:79
	s_waitcnt lgkmcnt(0)
	v_mul_f64 v[63:64], v[97:98], v[93:94]
	v_fma_f64 v[63:64], v[95:96], v[61:62], -v[63:64]
	v_mul_f64 v[95:96], v[95:96], v[93:94]
	v_add_f64 v[37:38], v[37:38], -v[63:64]
	v_fma_f64 v[95:96], v[97:98], v[61:62], v[95:96]
	v_add_f64 v[39:40], v[39:40], -v[95:96]
	ds_read2_b64 v[95:98], v90 offset0:80 offset1:81
	s_waitcnt lgkmcnt(0)
	v_mul_f64 v[63:64], v[97:98], v[93:94]
	v_fma_f64 v[63:64], v[95:96], v[61:62], -v[63:64]
	v_mul_f64 v[95:96], v[95:96], v[93:94]
	v_add_f64 v[33:34], v[33:34], -v[63:64]
	v_fma_f64 v[95:96], v[97:98], v[61:62], v[95:96]
	v_add_f64 v[35:36], v[35:36], -v[95:96]
	ds_read2_b64 v[95:98], v90 offset0:82 offset1:83
	s_waitcnt lgkmcnt(0)
	v_mul_f64 v[63:64], v[97:98], v[93:94]
	v_fma_f64 v[63:64], v[95:96], v[61:62], -v[63:64]
	v_mul_f64 v[95:96], v[95:96], v[93:94]
	v_add_f64 v[29:30], v[29:30], -v[63:64]
	v_fma_f64 v[95:96], v[97:98], v[61:62], v[95:96]
	v_add_f64 v[31:32], v[31:32], -v[95:96]
	ds_read2_b64 v[95:98], v90 offset0:84 offset1:85
	s_waitcnt lgkmcnt(0)
	v_mul_f64 v[63:64], v[97:98], v[93:94]
	v_fma_f64 v[63:64], v[95:96], v[61:62], -v[63:64]
	v_mul_f64 v[95:96], v[95:96], v[93:94]
	v_add_f64 v[25:26], v[25:26], -v[63:64]
	v_fma_f64 v[95:96], v[97:98], v[61:62], v[95:96]
	v_add_f64 v[27:28], v[27:28], -v[95:96]
	ds_read2_b64 v[95:98], v90 offset0:86 offset1:87
	s_waitcnt lgkmcnt(0)
	v_mul_f64 v[63:64], v[97:98], v[93:94]
	v_fma_f64 v[63:64], v[95:96], v[61:62], -v[63:64]
	v_mul_f64 v[95:96], v[95:96], v[93:94]
	v_add_f64 v[21:22], v[21:22], -v[63:64]
	v_fma_f64 v[95:96], v[97:98], v[61:62], v[95:96]
	v_add_f64 v[23:24], v[23:24], -v[95:96]
	ds_read2_b64 v[95:98], v90 offset0:88 offset1:89
	s_waitcnt lgkmcnt(0)
	v_mul_f64 v[63:64], v[97:98], v[93:94]
	v_fma_f64 v[63:64], v[95:96], v[61:62], -v[63:64]
	v_mul_f64 v[95:96], v[95:96], v[93:94]
	v_add_f64 v[17:18], v[17:18], -v[63:64]
	v_fma_f64 v[95:96], v[97:98], v[61:62], v[95:96]
	v_add_f64 v[19:20], v[19:20], -v[95:96]
	ds_read2_b64 v[95:98], v90 offset0:90 offset1:91
	s_waitcnt lgkmcnt(0)
	v_mul_f64 v[63:64], v[97:98], v[93:94]
	v_fma_f64 v[63:64], v[95:96], v[61:62], -v[63:64]
	v_mul_f64 v[95:96], v[95:96], v[93:94]
	v_add_f64 v[13:14], v[13:14], -v[63:64]
	v_fma_f64 v[95:96], v[97:98], v[61:62], v[95:96]
	v_add_f64 v[15:16], v[15:16], -v[95:96]
	ds_read2_b64 v[95:98], v90 offset0:92 offset1:93
	s_waitcnt lgkmcnt(0)
	v_mul_f64 v[63:64], v[97:98], v[93:94]
	v_fma_f64 v[63:64], v[95:96], v[61:62], -v[63:64]
	v_mul_f64 v[95:96], v[95:96], v[93:94]
	v_add_f64 v[9:10], v[9:10], -v[63:64]
	v_fma_f64 v[95:96], v[97:98], v[61:62], v[95:96]
	v_add_f64 v[11:12], v[11:12], -v[95:96]
	ds_read2_b64 v[95:98], v90 offset0:94 offset1:95
	s_waitcnt lgkmcnt(0)
	v_mul_f64 v[63:64], v[97:98], v[93:94]
	v_fma_f64 v[63:64], v[95:96], v[61:62], -v[63:64]
	v_mul_f64 v[95:96], v[95:96], v[93:94]
	v_add_f64 v[5:6], v[5:6], -v[63:64]
	v_fma_f64 v[95:96], v[97:98], v[61:62], v[95:96]
	v_add_f64 v[7:8], v[7:8], -v[95:96]
	ds_read2_b64 v[95:98], v90 offset0:96 offset1:97
	s_waitcnt lgkmcnt(0)
	v_mul_f64 v[63:64], v[97:98], v[93:94]
	v_fma_f64 v[63:64], v[95:96], v[61:62], -v[63:64]
	v_mul_f64 v[95:96], v[95:96], v[93:94]
	v_add_f64 v[1:2], v[1:2], -v[63:64]
	v_fma_f64 v[95:96], v[97:98], v[61:62], v[95:96]
	v_add_f64 v[3:4], v[3:4], -v[95:96]
	ds_read2_b64 v[95:98], v90 offset0:98 offset1:99
	s_waitcnt lgkmcnt(0)
	v_mul_f64 v[63:64], v[97:98], v[93:94]
	v_fma_f64 v[63:64], v[95:96], v[61:62], -v[63:64]
	v_mul_f64 v[95:96], v[95:96], v[93:94]
	v_add_f64 v[121:122], v[121:122], -v[63:64]
	v_fma_f64 v[95:96], v[97:98], v[61:62], v[95:96]
	v_mov_b32_e32 v63, v93
	v_mov_b32_e32 v64, v94
	v_add_f64 v[123:124], v[123:124], -v[95:96]
.LBB98_713:
	s_or_b64 exec, exec, s[0:1]
	v_lshl_add_u32 v93, v92, 4, v90
	s_barrier
	ds_write2_b64 v93, v[57:58], v[59:60] offset1:1
	s_waitcnt lgkmcnt(0)
	s_barrier
	ds_read2_b64 v[117:120], v90 offset0:68 offset1:69
	s_cmp_lt_i32 s3, 36
	v_mov_b32_e32 v93, 34
	s_cbranch_scc1 .LBB98_716
; %bb.714:
	v_add_u32_e32 v94, 0x230, v90
	s_mov_b32 s0, 35
	v_mov_b32_e32 v93, 34
.LBB98_715:                             ; =>This Inner Loop Header: Depth=1
	s_waitcnt lgkmcnt(0)
	v_cmp_gt_f64_e32 vcc, 0, v[117:118]
	v_xor_b32_e32 v99, 0x80000000, v118
	ds_read2_b64 v[95:98], v94 offset1:1
	v_xor_b32_e32 v101, 0x80000000, v120
	v_add_u32_e32 v94, 16, v94
	s_waitcnt lgkmcnt(0)
	v_xor_b32_e32 v103, 0x80000000, v98
	v_cndmask_b32_e32 v100, v118, v99, vcc
	v_cmp_gt_f64_e32 vcc, 0, v[119:120]
	v_mov_b32_e32 v99, v117
	v_cndmask_b32_e32 v102, v120, v101, vcc
	v_cmp_gt_f64_e32 vcc, 0, v[95:96]
	v_mov_b32_e32 v101, v119
	v_add_f64 v[99:100], v[99:100], v[101:102]
	v_xor_b32_e32 v101, 0x80000000, v96
	v_cndmask_b32_e32 v102, v96, v101, vcc
	v_cmp_gt_f64_e32 vcc, 0, v[97:98]
	v_mov_b32_e32 v101, v95
	v_cndmask_b32_e32 v104, v98, v103, vcc
	v_mov_b32_e32 v103, v97
	v_add_f64 v[101:102], v[101:102], v[103:104]
	v_cmp_lt_f64_e32 vcc, v[99:100], v[101:102]
	v_cndmask_b32_e32 v117, v117, v95, vcc
	v_mov_b32_e32 v95, s0
	s_add_i32 s0, s0, 1
	v_cndmask_b32_e32 v118, v118, v96, vcc
	v_cndmask_b32_e32 v120, v120, v98, vcc
	;; [unrolled: 1-line block ×4, first 2 shown]
	s_cmp_lg_u32 s3, s0
	s_cbranch_scc1 .LBB98_715
.LBB98_716:
	s_waitcnt lgkmcnt(0)
	v_cmp_eq_f64_e32 vcc, 0, v[117:118]
	v_cmp_eq_f64_e64 s[0:1], 0, v[119:120]
	s_and_b64 s[0:1], vcc, s[0:1]
	s_and_saveexec_b64 s[18:19], s[0:1]
	s_xor_b64 s[0:1], exec, s[18:19]
; %bb.717:
	v_cmp_ne_u32_e32 vcc, 0, v91
	v_cndmask_b32_e32 v91, 35, v91, vcc
; %bb.718:
	s_andn2_saveexec_b64 s[0:1], s[0:1]
	s_cbranch_execz .LBB98_724
; %bb.719:
	v_cmp_ngt_f64_e64 s[18:19], |v[117:118]|, |v[119:120]|
	s_and_saveexec_b64 s[20:21], s[18:19]
	s_xor_b64 s[18:19], exec, s[20:21]
	s_cbranch_execz .LBB98_721
; %bb.720:
	v_div_scale_f64 v[94:95], s[20:21], v[119:120], v[119:120], v[117:118]
	v_rcp_f64_e32 v[96:97], v[94:95]
	v_fma_f64 v[98:99], -v[94:95], v[96:97], 1.0
	v_fma_f64 v[96:97], v[96:97], v[98:99], v[96:97]
	v_div_scale_f64 v[98:99], vcc, v[117:118], v[119:120], v[117:118]
	v_fma_f64 v[100:101], -v[94:95], v[96:97], 1.0
	v_fma_f64 v[96:97], v[96:97], v[100:101], v[96:97]
	v_mul_f64 v[100:101], v[98:99], v[96:97]
	v_fma_f64 v[94:95], -v[94:95], v[100:101], v[98:99]
	v_div_fmas_f64 v[94:95], v[94:95], v[96:97], v[100:101]
	v_div_fixup_f64 v[94:95], v[94:95], v[119:120], v[117:118]
	v_fma_f64 v[96:97], v[117:118], v[94:95], v[119:120]
	v_div_scale_f64 v[98:99], s[20:21], v[96:97], v[96:97], 1.0
	v_div_scale_f64 v[104:105], vcc, 1.0, v[96:97], 1.0
	v_rcp_f64_e32 v[100:101], v[98:99]
	v_fma_f64 v[102:103], -v[98:99], v[100:101], 1.0
	v_fma_f64 v[100:101], v[100:101], v[102:103], v[100:101]
	v_fma_f64 v[102:103], -v[98:99], v[100:101], 1.0
	v_fma_f64 v[100:101], v[100:101], v[102:103], v[100:101]
	v_mul_f64 v[102:103], v[104:105], v[100:101]
	v_fma_f64 v[98:99], -v[98:99], v[102:103], v[104:105]
	v_div_fmas_f64 v[98:99], v[98:99], v[100:101], v[102:103]
	v_div_fixup_f64 v[119:120], v[98:99], v[96:97], 1.0
	v_mul_f64 v[117:118], v[94:95], v[119:120]
	v_xor_b32_e32 v120, 0x80000000, v120
.LBB98_721:
	s_andn2_saveexec_b64 s[18:19], s[18:19]
	s_cbranch_execz .LBB98_723
; %bb.722:
	v_div_scale_f64 v[94:95], s[20:21], v[117:118], v[117:118], v[119:120]
	v_rcp_f64_e32 v[96:97], v[94:95]
	v_fma_f64 v[98:99], -v[94:95], v[96:97], 1.0
	v_fma_f64 v[96:97], v[96:97], v[98:99], v[96:97]
	v_div_scale_f64 v[98:99], vcc, v[119:120], v[117:118], v[119:120]
	v_fma_f64 v[100:101], -v[94:95], v[96:97], 1.0
	v_fma_f64 v[96:97], v[96:97], v[100:101], v[96:97]
	v_mul_f64 v[100:101], v[98:99], v[96:97]
	v_fma_f64 v[94:95], -v[94:95], v[100:101], v[98:99]
	v_div_fmas_f64 v[94:95], v[94:95], v[96:97], v[100:101]
	v_div_fixup_f64 v[94:95], v[94:95], v[117:118], v[119:120]
	v_fma_f64 v[96:97], v[119:120], v[94:95], v[117:118]
	v_div_scale_f64 v[98:99], s[20:21], v[96:97], v[96:97], 1.0
	v_div_scale_f64 v[104:105], vcc, 1.0, v[96:97], 1.0
	v_rcp_f64_e32 v[100:101], v[98:99]
	v_fma_f64 v[102:103], -v[98:99], v[100:101], 1.0
	v_fma_f64 v[100:101], v[100:101], v[102:103], v[100:101]
	v_fma_f64 v[102:103], -v[98:99], v[100:101], 1.0
	v_fma_f64 v[100:101], v[100:101], v[102:103], v[100:101]
	v_mul_f64 v[102:103], v[104:105], v[100:101]
	v_fma_f64 v[98:99], -v[98:99], v[102:103], v[104:105]
	v_div_fmas_f64 v[98:99], v[98:99], v[100:101], v[102:103]
	v_div_fixup_f64 v[117:118], v[98:99], v[96:97], 1.0
	v_mul_f64 v[119:120], v[94:95], -v[117:118]
.LBB98_723:
	s_or_b64 exec, exec, s[18:19]
.LBB98_724:
	s_or_b64 exec, exec, s[0:1]
	v_cmp_ne_u32_e32 vcc, v92, v93
	s_and_saveexec_b64 s[0:1], vcc
	s_xor_b64 s[0:1], exec, s[0:1]
	s_cbranch_execz .LBB98_730
; %bb.725:
	v_cmp_eq_u32_e32 vcc, 34, v92
	s_and_saveexec_b64 s[18:19], vcc
	s_cbranch_execz .LBB98_729
; %bb.726:
	v_cmp_ne_u32_e32 vcc, 34, v93
	s_xor_b64 s[20:21], s[6:7], -1
	s_and_b64 s[22:23], s[20:21], vcc
	s_and_saveexec_b64 s[20:21], s[22:23]
	s_cbranch_execz .LBB98_728
; %bb.727:
	buffer_load_dword v81, off, s[24:27], 0 offset:368 ; 4-byte Folded Reload
	buffer_load_dword v82, off, s[24:27], 0 offset:372 ; 4-byte Folded Reload
	v_ashrrev_i32_e32 v94, 31, v93
	v_lshlrev_b64 v[94:95], 2, v[93:94]
	s_waitcnt vmcnt(1)
	v_add_co_u32_e32 v94, vcc, v81, v94
	s_waitcnt vmcnt(0)
	v_addc_co_u32_e32 v95, vcc, v82, v95, vcc
	global_load_dword v0, v[94:95], off
	global_load_dword v92, v[81:82], off offset:136
	s_waitcnt vmcnt(1)
	global_store_dword v[81:82], v0, off offset:136
	s_waitcnt vmcnt(1)
	global_store_dword v[94:95], v92, off
.LBB98_728:
	s_or_b64 exec, exec, s[20:21]
	v_mov_b32_e32 v92, v93
	v_mov_b32_e32 v0, v93
.LBB98_729:
	s_or_b64 exec, exec, s[18:19]
.LBB98_730:
	s_andn2_saveexec_b64 s[0:1], s[0:1]
	s_cbranch_execz .LBB98_732
; %bb.731:
	v_mov_b32_e32 v92, 34
	ds_write2_b64 v90, v[53:54], v[55:56] offset0:70 offset1:71
	ds_write2_b64 v90, v[49:50], v[51:52] offset0:72 offset1:73
	;; [unrolled: 1-line block ×15, first 2 shown]
.LBB98_732:
	s_or_b64 exec, exec, s[0:1]
	v_cmp_lt_i32_e32 vcc, 34, v92
	s_waitcnt vmcnt(0) lgkmcnt(0)
	s_barrier
	s_and_saveexec_b64 s[0:1], vcc
	s_cbranch_execz .LBB98_734
; %bb.733:
	v_mul_f64 v[93:94], v[117:118], v[59:60]
	v_mul_f64 v[59:60], v[119:120], v[59:60]
	ds_read2_b64 v[95:98], v90 offset0:70 offset1:71
	v_fma_f64 v[93:94], v[119:120], v[57:58], v[93:94]
	v_fma_f64 v[57:58], v[117:118], v[57:58], -v[59:60]
	s_waitcnt lgkmcnt(0)
	v_mul_f64 v[59:60], v[97:98], v[93:94]
	v_fma_f64 v[59:60], v[95:96], v[57:58], -v[59:60]
	v_mul_f64 v[95:96], v[95:96], v[93:94]
	v_add_f64 v[53:54], v[53:54], -v[59:60]
	v_fma_f64 v[95:96], v[97:98], v[57:58], v[95:96]
	v_add_f64 v[55:56], v[55:56], -v[95:96]
	ds_read2_b64 v[95:98], v90 offset0:72 offset1:73
	s_waitcnt lgkmcnt(0)
	v_mul_f64 v[59:60], v[97:98], v[93:94]
	v_fma_f64 v[59:60], v[95:96], v[57:58], -v[59:60]
	v_mul_f64 v[95:96], v[95:96], v[93:94]
	v_add_f64 v[49:50], v[49:50], -v[59:60]
	v_fma_f64 v[95:96], v[97:98], v[57:58], v[95:96]
	v_add_f64 v[51:52], v[51:52], -v[95:96]
	ds_read2_b64 v[95:98], v90 offset0:74 offset1:75
	;; [unrolled: 8-line block ×14, first 2 shown]
	s_waitcnt lgkmcnt(0)
	v_mul_f64 v[59:60], v[97:98], v[93:94]
	v_fma_f64 v[59:60], v[95:96], v[57:58], -v[59:60]
	v_mul_f64 v[95:96], v[95:96], v[93:94]
	v_add_f64 v[121:122], v[121:122], -v[59:60]
	v_fma_f64 v[95:96], v[97:98], v[57:58], v[95:96]
	v_mov_b32_e32 v59, v93
	v_mov_b32_e32 v60, v94
	v_add_f64 v[123:124], v[123:124], -v[95:96]
.LBB98_734:
	s_or_b64 exec, exec, s[0:1]
	v_lshl_add_u32 v93, v92, 4, v90
	s_barrier
	ds_write2_b64 v93, v[53:54], v[55:56] offset1:1
	s_waitcnt lgkmcnt(0)
	s_barrier
	ds_read2_b64 v[117:120], v90 offset0:70 offset1:71
	s_cmp_lt_i32 s3, 37
	v_mov_b32_e32 v93, 35
	s_cbranch_scc1 .LBB98_737
; %bb.735:
	v_add_u32_e32 v94, 0x240, v90
	s_mov_b32 s0, 36
	v_mov_b32_e32 v93, 35
.LBB98_736:                             ; =>This Inner Loop Header: Depth=1
	s_waitcnt lgkmcnt(0)
	v_cmp_gt_f64_e32 vcc, 0, v[117:118]
	v_xor_b32_e32 v99, 0x80000000, v118
	ds_read2_b64 v[95:98], v94 offset1:1
	v_xor_b32_e32 v101, 0x80000000, v120
	v_add_u32_e32 v94, 16, v94
	s_waitcnt lgkmcnt(0)
	v_xor_b32_e32 v103, 0x80000000, v98
	v_cndmask_b32_e32 v100, v118, v99, vcc
	v_cmp_gt_f64_e32 vcc, 0, v[119:120]
	v_mov_b32_e32 v99, v117
	v_cndmask_b32_e32 v102, v120, v101, vcc
	v_cmp_gt_f64_e32 vcc, 0, v[95:96]
	v_mov_b32_e32 v101, v119
	v_add_f64 v[99:100], v[99:100], v[101:102]
	v_xor_b32_e32 v101, 0x80000000, v96
	v_cndmask_b32_e32 v102, v96, v101, vcc
	v_cmp_gt_f64_e32 vcc, 0, v[97:98]
	v_mov_b32_e32 v101, v95
	v_cndmask_b32_e32 v104, v98, v103, vcc
	v_mov_b32_e32 v103, v97
	v_add_f64 v[101:102], v[101:102], v[103:104]
	v_cmp_lt_f64_e32 vcc, v[99:100], v[101:102]
	v_cndmask_b32_e32 v117, v117, v95, vcc
	v_mov_b32_e32 v95, s0
	s_add_i32 s0, s0, 1
	v_cndmask_b32_e32 v118, v118, v96, vcc
	v_cndmask_b32_e32 v120, v120, v98, vcc
	;; [unrolled: 1-line block ×4, first 2 shown]
	s_cmp_lg_u32 s3, s0
	s_cbranch_scc1 .LBB98_736
.LBB98_737:
	s_waitcnt lgkmcnt(0)
	v_cmp_eq_f64_e32 vcc, 0, v[117:118]
	v_cmp_eq_f64_e64 s[0:1], 0, v[119:120]
	s_and_b64 s[0:1], vcc, s[0:1]
	s_and_saveexec_b64 s[18:19], s[0:1]
	s_xor_b64 s[0:1], exec, s[18:19]
; %bb.738:
	v_cmp_ne_u32_e32 vcc, 0, v91
	v_cndmask_b32_e32 v91, 36, v91, vcc
; %bb.739:
	s_andn2_saveexec_b64 s[0:1], s[0:1]
	s_cbranch_execz .LBB98_745
; %bb.740:
	v_cmp_ngt_f64_e64 s[18:19], |v[117:118]|, |v[119:120]|
	s_and_saveexec_b64 s[20:21], s[18:19]
	s_xor_b64 s[18:19], exec, s[20:21]
	s_cbranch_execz .LBB98_742
; %bb.741:
	v_div_scale_f64 v[94:95], s[20:21], v[119:120], v[119:120], v[117:118]
	v_rcp_f64_e32 v[96:97], v[94:95]
	v_fma_f64 v[98:99], -v[94:95], v[96:97], 1.0
	v_fma_f64 v[96:97], v[96:97], v[98:99], v[96:97]
	v_div_scale_f64 v[98:99], vcc, v[117:118], v[119:120], v[117:118]
	v_fma_f64 v[100:101], -v[94:95], v[96:97], 1.0
	v_fma_f64 v[96:97], v[96:97], v[100:101], v[96:97]
	v_mul_f64 v[100:101], v[98:99], v[96:97]
	v_fma_f64 v[94:95], -v[94:95], v[100:101], v[98:99]
	v_div_fmas_f64 v[94:95], v[94:95], v[96:97], v[100:101]
	v_div_fixup_f64 v[94:95], v[94:95], v[119:120], v[117:118]
	v_fma_f64 v[96:97], v[117:118], v[94:95], v[119:120]
	v_div_scale_f64 v[98:99], s[20:21], v[96:97], v[96:97], 1.0
	v_div_scale_f64 v[104:105], vcc, 1.0, v[96:97], 1.0
	v_rcp_f64_e32 v[100:101], v[98:99]
	v_fma_f64 v[102:103], -v[98:99], v[100:101], 1.0
	v_fma_f64 v[100:101], v[100:101], v[102:103], v[100:101]
	v_fma_f64 v[102:103], -v[98:99], v[100:101], 1.0
	v_fma_f64 v[100:101], v[100:101], v[102:103], v[100:101]
	v_mul_f64 v[102:103], v[104:105], v[100:101]
	v_fma_f64 v[98:99], -v[98:99], v[102:103], v[104:105]
	v_div_fmas_f64 v[98:99], v[98:99], v[100:101], v[102:103]
	v_div_fixup_f64 v[119:120], v[98:99], v[96:97], 1.0
	v_mul_f64 v[117:118], v[94:95], v[119:120]
	v_xor_b32_e32 v120, 0x80000000, v120
.LBB98_742:
	s_andn2_saveexec_b64 s[18:19], s[18:19]
	s_cbranch_execz .LBB98_744
; %bb.743:
	v_div_scale_f64 v[94:95], s[20:21], v[117:118], v[117:118], v[119:120]
	v_rcp_f64_e32 v[96:97], v[94:95]
	v_fma_f64 v[98:99], -v[94:95], v[96:97], 1.0
	v_fma_f64 v[96:97], v[96:97], v[98:99], v[96:97]
	v_div_scale_f64 v[98:99], vcc, v[119:120], v[117:118], v[119:120]
	v_fma_f64 v[100:101], -v[94:95], v[96:97], 1.0
	v_fma_f64 v[96:97], v[96:97], v[100:101], v[96:97]
	v_mul_f64 v[100:101], v[98:99], v[96:97]
	v_fma_f64 v[94:95], -v[94:95], v[100:101], v[98:99]
	v_div_fmas_f64 v[94:95], v[94:95], v[96:97], v[100:101]
	v_div_fixup_f64 v[94:95], v[94:95], v[117:118], v[119:120]
	v_fma_f64 v[96:97], v[119:120], v[94:95], v[117:118]
	v_div_scale_f64 v[98:99], s[20:21], v[96:97], v[96:97], 1.0
	v_div_scale_f64 v[104:105], vcc, 1.0, v[96:97], 1.0
	v_rcp_f64_e32 v[100:101], v[98:99]
	v_fma_f64 v[102:103], -v[98:99], v[100:101], 1.0
	v_fma_f64 v[100:101], v[100:101], v[102:103], v[100:101]
	v_fma_f64 v[102:103], -v[98:99], v[100:101], 1.0
	v_fma_f64 v[100:101], v[100:101], v[102:103], v[100:101]
	v_mul_f64 v[102:103], v[104:105], v[100:101]
	v_fma_f64 v[98:99], -v[98:99], v[102:103], v[104:105]
	v_div_fmas_f64 v[98:99], v[98:99], v[100:101], v[102:103]
	v_div_fixup_f64 v[117:118], v[98:99], v[96:97], 1.0
	v_mul_f64 v[119:120], v[94:95], -v[117:118]
.LBB98_744:
	s_or_b64 exec, exec, s[18:19]
.LBB98_745:
	s_or_b64 exec, exec, s[0:1]
	v_cmp_ne_u32_e32 vcc, v92, v93
	s_and_saveexec_b64 s[0:1], vcc
	s_xor_b64 s[0:1], exec, s[0:1]
	s_cbranch_execz .LBB98_751
; %bb.746:
	v_cmp_eq_u32_e32 vcc, 35, v92
	s_and_saveexec_b64 s[18:19], vcc
	s_cbranch_execz .LBB98_750
; %bb.747:
	v_cmp_ne_u32_e32 vcc, 35, v93
	s_xor_b64 s[20:21], s[6:7], -1
	s_and_b64 s[22:23], s[20:21], vcc
	s_and_saveexec_b64 s[20:21], s[22:23]
	s_cbranch_execz .LBB98_749
; %bb.748:
	buffer_load_dword v81, off, s[24:27], 0 offset:368 ; 4-byte Folded Reload
	buffer_load_dword v82, off, s[24:27], 0 offset:372 ; 4-byte Folded Reload
	v_ashrrev_i32_e32 v94, 31, v93
	v_lshlrev_b64 v[94:95], 2, v[93:94]
	s_waitcnt vmcnt(1)
	v_add_co_u32_e32 v94, vcc, v81, v94
	s_waitcnt vmcnt(0)
	v_addc_co_u32_e32 v95, vcc, v82, v95, vcc
	global_load_dword v0, v[94:95], off
	global_load_dword v92, v[81:82], off offset:140
	s_waitcnt vmcnt(1)
	global_store_dword v[81:82], v0, off offset:140
	s_waitcnt vmcnt(1)
	global_store_dword v[94:95], v92, off
.LBB98_749:
	s_or_b64 exec, exec, s[20:21]
	v_mov_b32_e32 v92, v93
	v_mov_b32_e32 v0, v93
.LBB98_750:
	s_or_b64 exec, exec, s[18:19]
.LBB98_751:
	s_andn2_saveexec_b64 s[0:1], s[0:1]
	s_cbranch_execz .LBB98_753
; %bb.752:
	v_mov_b32_e32 v92, 35
	ds_write2_b64 v90, v[49:50], v[51:52] offset0:72 offset1:73
	ds_write2_b64 v90, v[45:46], v[47:48] offset0:74 offset1:75
	;; [unrolled: 1-line block ×14, first 2 shown]
.LBB98_753:
	s_or_b64 exec, exec, s[0:1]
	v_cmp_lt_i32_e32 vcc, 35, v92
	s_waitcnt vmcnt(0) lgkmcnt(0)
	s_barrier
	s_and_saveexec_b64 s[0:1], vcc
	s_cbranch_execz .LBB98_755
; %bb.754:
	v_mul_f64 v[93:94], v[117:118], v[55:56]
	v_mul_f64 v[55:56], v[119:120], v[55:56]
	ds_read2_b64 v[95:98], v90 offset0:72 offset1:73
	v_fma_f64 v[93:94], v[119:120], v[53:54], v[93:94]
	v_fma_f64 v[53:54], v[117:118], v[53:54], -v[55:56]
	s_waitcnt lgkmcnt(0)
	v_mul_f64 v[55:56], v[97:98], v[93:94]
	v_fma_f64 v[55:56], v[95:96], v[53:54], -v[55:56]
	v_mul_f64 v[95:96], v[95:96], v[93:94]
	v_add_f64 v[49:50], v[49:50], -v[55:56]
	v_fma_f64 v[95:96], v[97:98], v[53:54], v[95:96]
	v_add_f64 v[51:52], v[51:52], -v[95:96]
	ds_read2_b64 v[95:98], v90 offset0:74 offset1:75
	s_waitcnt lgkmcnt(0)
	v_mul_f64 v[55:56], v[97:98], v[93:94]
	v_fma_f64 v[55:56], v[95:96], v[53:54], -v[55:56]
	v_mul_f64 v[95:96], v[95:96], v[93:94]
	v_add_f64 v[45:46], v[45:46], -v[55:56]
	v_fma_f64 v[95:96], v[97:98], v[53:54], v[95:96]
	v_add_f64 v[47:48], v[47:48], -v[95:96]
	ds_read2_b64 v[95:98], v90 offset0:76 offset1:77
	;; [unrolled: 8-line block ×13, first 2 shown]
	s_waitcnt lgkmcnt(0)
	v_mul_f64 v[55:56], v[97:98], v[93:94]
	v_fma_f64 v[55:56], v[95:96], v[53:54], -v[55:56]
	v_mul_f64 v[95:96], v[95:96], v[93:94]
	v_add_f64 v[121:122], v[121:122], -v[55:56]
	v_fma_f64 v[95:96], v[97:98], v[53:54], v[95:96]
	v_mov_b32_e32 v55, v93
	v_mov_b32_e32 v56, v94
	v_add_f64 v[123:124], v[123:124], -v[95:96]
.LBB98_755:
	s_or_b64 exec, exec, s[0:1]
	v_lshl_add_u32 v93, v92, 4, v90
	s_barrier
	ds_write2_b64 v93, v[49:50], v[51:52] offset1:1
	s_waitcnt lgkmcnt(0)
	s_barrier
	ds_read2_b64 v[117:120], v90 offset0:72 offset1:73
	s_cmp_lt_i32 s3, 38
	v_mov_b32_e32 v93, 36
	s_cbranch_scc1 .LBB98_758
; %bb.756:
	v_add_u32_e32 v94, 0x250, v90
	s_mov_b32 s0, 37
	v_mov_b32_e32 v93, 36
.LBB98_757:                             ; =>This Inner Loop Header: Depth=1
	s_waitcnt lgkmcnt(0)
	v_cmp_gt_f64_e32 vcc, 0, v[117:118]
	v_xor_b32_e32 v99, 0x80000000, v118
	ds_read2_b64 v[95:98], v94 offset1:1
	v_xor_b32_e32 v101, 0x80000000, v120
	v_add_u32_e32 v94, 16, v94
	s_waitcnt lgkmcnt(0)
	v_xor_b32_e32 v103, 0x80000000, v98
	v_cndmask_b32_e32 v100, v118, v99, vcc
	v_cmp_gt_f64_e32 vcc, 0, v[119:120]
	v_mov_b32_e32 v99, v117
	v_cndmask_b32_e32 v102, v120, v101, vcc
	v_cmp_gt_f64_e32 vcc, 0, v[95:96]
	v_mov_b32_e32 v101, v119
	v_add_f64 v[99:100], v[99:100], v[101:102]
	v_xor_b32_e32 v101, 0x80000000, v96
	v_cndmask_b32_e32 v102, v96, v101, vcc
	v_cmp_gt_f64_e32 vcc, 0, v[97:98]
	v_mov_b32_e32 v101, v95
	v_cndmask_b32_e32 v104, v98, v103, vcc
	v_mov_b32_e32 v103, v97
	v_add_f64 v[101:102], v[101:102], v[103:104]
	v_cmp_lt_f64_e32 vcc, v[99:100], v[101:102]
	v_cndmask_b32_e32 v117, v117, v95, vcc
	v_mov_b32_e32 v95, s0
	s_add_i32 s0, s0, 1
	v_cndmask_b32_e32 v118, v118, v96, vcc
	v_cndmask_b32_e32 v120, v120, v98, vcc
	;; [unrolled: 1-line block ×4, first 2 shown]
	s_cmp_lg_u32 s3, s0
	s_cbranch_scc1 .LBB98_757
.LBB98_758:
	s_waitcnt lgkmcnt(0)
	v_cmp_eq_f64_e32 vcc, 0, v[117:118]
	v_cmp_eq_f64_e64 s[0:1], 0, v[119:120]
	s_and_b64 s[0:1], vcc, s[0:1]
	s_and_saveexec_b64 s[18:19], s[0:1]
	s_xor_b64 s[0:1], exec, s[18:19]
; %bb.759:
	v_cmp_ne_u32_e32 vcc, 0, v91
	v_cndmask_b32_e32 v91, 37, v91, vcc
; %bb.760:
	s_andn2_saveexec_b64 s[0:1], s[0:1]
	s_cbranch_execz .LBB98_766
; %bb.761:
	v_cmp_ngt_f64_e64 s[18:19], |v[117:118]|, |v[119:120]|
	s_and_saveexec_b64 s[20:21], s[18:19]
	s_xor_b64 s[18:19], exec, s[20:21]
	s_cbranch_execz .LBB98_763
; %bb.762:
	v_div_scale_f64 v[94:95], s[20:21], v[119:120], v[119:120], v[117:118]
	v_rcp_f64_e32 v[96:97], v[94:95]
	v_fma_f64 v[98:99], -v[94:95], v[96:97], 1.0
	v_fma_f64 v[96:97], v[96:97], v[98:99], v[96:97]
	v_div_scale_f64 v[98:99], vcc, v[117:118], v[119:120], v[117:118]
	v_fma_f64 v[100:101], -v[94:95], v[96:97], 1.0
	v_fma_f64 v[96:97], v[96:97], v[100:101], v[96:97]
	v_mul_f64 v[100:101], v[98:99], v[96:97]
	v_fma_f64 v[94:95], -v[94:95], v[100:101], v[98:99]
	v_div_fmas_f64 v[94:95], v[94:95], v[96:97], v[100:101]
	v_div_fixup_f64 v[94:95], v[94:95], v[119:120], v[117:118]
	v_fma_f64 v[96:97], v[117:118], v[94:95], v[119:120]
	v_div_scale_f64 v[98:99], s[20:21], v[96:97], v[96:97], 1.0
	v_div_scale_f64 v[104:105], vcc, 1.0, v[96:97], 1.0
	v_rcp_f64_e32 v[100:101], v[98:99]
	v_fma_f64 v[102:103], -v[98:99], v[100:101], 1.0
	v_fma_f64 v[100:101], v[100:101], v[102:103], v[100:101]
	v_fma_f64 v[102:103], -v[98:99], v[100:101], 1.0
	v_fma_f64 v[100:101], v[100:101], v[102:103], v[100:101]
	v_mul_f64 v[102:103], v[104:105], v[100:101]
	v_fma_f64 v[98:99], -v[98:99], v[102:103], v[104:105]
	v_div_fmas_f64 v[98:99], v[98:99], v[100:101], v[102:103]
	v_div_fixup_f64 v[119:120], v[98:99], v[96:97], 1.0
	v_mul_f64 v[117:118], v[94:95], v[119:120]
	v_xor_b32_e32 v120, 0x80000000, v120
.LBB98_763:
	s_andn2_saveexec_b64 s[18:19], s[18:19]
	s_cbranch_execz .LBB98_765
; %bb.764:
	v_div_scale_f64 v[94:95], s[20:21], v[117:118], v[117:118], v[119:120]
	v_rcp_f64_e32 v[96:97], v[94:95]
	v_fma_f64 v[98:99], -v[94:95], v[96:97], 1.0
	v_fma_f64 v[96:97], v[96:97], v[98:99], v[96:97]
	v_div_scale_f64 v[98:99], vcc, v[119:120], v[117:118], v[119:120]
	v_fma_f64 v[100:101], -v[94:95], v[96:97], 1.0
	v_fma_f64 v[96:97], v[96:97], v[100:101], v[96:97]
	v_mul_f64 v[100:101], v[98:99], v[96:97]
	v_fma_f64 v[94:95], -v[94:95], v[100:101], v[98:99]
	v_div_fmas_f64 v[94:95], v[94:95], v[96:97], v[100:101]
	v_div_fixup_f64 v[94:95], v[94:95], v[117:118], v[119:120]
	v_fma_f64 v[96:97], v[119:120], v[94:95], v[117:118]
	v_div_scale_f64 v[98:99], s[20:21], v[96:97], v[96:97], 1.0
	v_div_scale_f64 v[104:105], vcc, 1.0, v[96:97], 1.0
	v_rcp_f64_e32 v[100:101], v[98:99]
	v_fma_f64 v[102:103], -v[98:99], v[100:101], 1.0
	v_fma_f64 v[100:101], v[100:101], v[102:103], v[100:101]
	v_fma_f64 v[102:103], -v[98:99], v[100:101], 1.0
	v_fma_f64 v[100:101], v[100:101], v[102:103], v[100:101]
	v_mul_f64 v[102:103], v[104:105], v[100:101]
	v_fma_f64 v[98:99], -v[98:99], v[102:103], v[104:105]
	v_div_fmas_f64 v[98:99], v[98:99], v[100:101], v[102:103]
	v_div_fixup_f64 v[117:118], v[98:99], v[96:97], 1.0
	v_mul_f64 v[119:120], v[94:95], -v[117:118]
.LBB98_765:
	s_or_b64 exec, exec, s[18:19]
.LBB98_766:
	s_or_b64 exec, exec, s[0:1]
	v_cmp_ne_u32_e32 vcc, v92, v93
	s_and_saveexec_b64 s[0:1], vcc
	s_xor_b64 s[0:1], exec, s[0:1]
	s_cbranch_execz .LBB98_772
; %bb.767:
	v_cmp_eq_u32_e32 vcc, 36, v92
	s_and_saveexec_b64 s[18:19], vcc
	s_cbranch_execz .LBB98_771
; %bb.768:
	v_cmp_ne_u32_e32 vcc, 36, v93
	s_xor_b64 s[20:21], s[6:7], -1
	s_and_b64 s[22:23], s[20:21], vcc
	s_and_saveexec_b64 s[20:21], s[22:23]
	s_cbranch_execz .LBB98_770
; %bb.769:
	buffer_load_dword v81, off, s[24:27], 0 offset:368 ; 4-byte Folded Reload
	buffer_load_dword v82, off, s[24:27], 0 offset:372 ; 4-byte Folded Reload
	v_ashrrev_i32_e32 v94, 31, v93
	v_lshlrev_b64 v[94:95], 2, v[93:94]
	s_waitcnt vmcnt(1)
	v_add_co_u32_e32 v94, vcc, v81, v94
	s_waitcnt vmcnt(0)
	v_addc_co_u32_e32 v95, vcc, v82, v95, vcc
	global_load_dword v0, v[94:95], off
	global_load_dword v92, v[81:82], off offset:144
	s_waitcnt vmcnt(1)
	global_store_dword v[81:82], v0, off offset:144
	s_waitcnt vmcnt(1)
	global_store_dword v[94:95], v92, off
.LBB98_770:
	s_or_b64 exec, exec, s[20:21]
	v_mov_b32_e32 v92, v93
	v_mov_b32_e32 v0, v93
.LBB98_771:
	s_or_b64 exec, exec, s[18:19]
.LBB98_772:
	s_andn2_saveexec_b64 s[0:1], s[0:1]
	s_cbranch_execz .LBB98_774
; %bb.773:
	v_mov_b32_e32 v92, 36
	ds_write2_b64 v90, v[45:46], v[47:48] offset0:74 offset1:75
	ds_write2_b64 v90, v[41:42], v[43:44] offset0:76 offset1:77
	;; [unrolled: 1-line block ×13, first 2 shown]
.LBB98_774:
	s_or_b64 exec, exec, s[0:1]
	v_cmp_lt_i32_e32 vcc, 36, v92
	s_waitcnt vmcnt(0) lgkmcnt(0)
	s_barrier
	s_and_saveexec_b64 s[0:1], vcc
	s_cbranch_execz .LBB98_776
; %bb.775:
	v_mul_f64 v[93:94], v[117:118], v[51:52]
	v_mul_f64 v[51:52], v[119:120], v[51:52]
	ds_read2_b64 v[95:98], v90 offset0:74 offset1:75
	v_fma_f64 v[93:94], v[119:120], v[49:50], v[93:94]
	v_fma_f64 v[49:50], v[117:118], v[49:50], -v[51:52]
	s_waitcnt lgkmcnt(0)
	v_mul_f64 v[51:52], v[97:98], v[93:94]
	v_fma_f64 v[51:52], v[95:96], v[49:50], -v[51:52]
	v_mul_f64 v[95:96], v[95:96], v[93:94]
	v_add_f64 v[45:46], v[45:46], -v[51:52]
	v_fma_f64 v[95:96], v[97:98], v[49:50], v[95:96]
	v_add_f64 v[47:48], v[47:48], -v[95:96]
	ds_read2_b64 v[95:98], v90 offset0:76 offset1:77
	s_waitcnt lgkmcnt(0)
	v_mul_f64 v[51:52], v[97:98], v[93:94]
	v_fma_f64 v[51:52], v[95:96], v[49:50], -v[51:52]
	v_mul_f64 v[95:96], v[95:96], v[93:94]
	v_add_f64 v[41:42], v[41:42], -v[51:52]
	v_fma_f64 v[95:96], v[97:98], v[49:50], v[95:96]
	v_add_f64 v[43:44], v[43:44], -v[95:96]
	ds_read2_b64 v[95:98], v90 offset0:78 offset1:79
	;; [unrolled: 8-line block ×12, first 2 shown]
	s_waitcnt lgkmcnt(0)
	v_mul_f64 v[51:52], v[97:98], v[93:94]
	v_fma_f64 v[51:52], v[95:96], v[49:50], -v[51:52]
	v_mul_f64 v[95:96], v[95:96], v[93:94]
	v_add_f64 v[121:122], v[121:122], -v[51:52]
	v_fma_f64 v[95:96], v[97:98], v[49:50], v[95:96]
	v_mov_b32_e32 v51, v93
	v_mov_b32_e32 v52, v94
	v_add_f64 v[123:124], v[123:124], -v[95:96]
.LBB98_776:
	s_or_b64 exec, exec, s[0:1]
	v_lshl_add_u32 v93, v92, 4, v90
	s_barrier
	ds_write2_b64 v93, v[45:46], v[47:48] offset1:1
	s_waitcnt lgkmcnt(0)
	s_barrier
	ds_read2_b64 v[117:120], v90 offset0:74 offset1:75
	s_cmp_lt_i32 s3, 39
	v_mov_b32_e32 v93, 37
	s_cbranch_scc1 .LBB98_779
; %bb.777:
	v_add_u32_e32 v94, 0x260, v90
	s_mov_b32 s0, 38
	v_mov_b32_e32 v93, 37
.LBB98_778:                             ; =>This Inner Loop Header: Depth=1
	s_waitcnt lgkmcnt(0)
	v_cmp_gt_f64_e32 vcc, 0, v[117:118]
	v_xor_b32_e32 v99, 0x80000000, v118
	ds_read2_b64 v[95:98], v94 offset1:1
	v_xor_b32_e32 v101, 0x80000000, v120
	v_add_u32_e32 v94, 16, v94
	s_waitcnt lgkmcnt(0)
	v_xor_b32_e32 v103, 0x80000000, v98
	v_cndmask_b32_e32 v100, v118, v99, vcc
	v_cmp_gt_f64_e32 vcc, 0, v[119:120]
	v_mov_b32_e32 v99, v117
	v_cndmask_b32_e32 v102, v120, v101, vcc
	v_cmp_gt_f64_e32 vcc, 0, v[95:96]
	v_mov_b32_e32 v101, v119
	v_add_f64 v[99:100], v[99:100], v[101:102]
	v_xor_b32_e32 v101, 0x80000000, v96
	v_cndmask_b32_e32 v102, v96, v101, vcc
	v_cmp_gt_f64_e32 vcc, 0, v[97:98]
	v_mov_b32_e32 v101, v95
	v_cndmask_b32_e32 v104, v98, v103, vcc
	v_mov_b32_e32 v103, v97
	v_add_f64 v[101:102], v[101:102], v[103:104]
	v_cmp_lt_f64_e32 vcc, v[99:100], v[101:102]
	v_cndmask_b32_e32 v117, v117, v95, vcc
	v_mov_b32_e32 v95, s0
	s_add_i32 s0, s0, 1
	v_cndmask_b32_e32 v118, v118, v96, vcc
	v_cndmask_b32_e32 v120, v120, v98, vcc
	;; [unrolled: 1-line block ×4, first 2 shown]
	s_cmp_lg_u32 s3, s0
	s_cbranch_scc1 .LBB98_778
.LBB98_779:
	s_waitcnt lgkmcnt(0)
	v_cmp_eq_f64_e32 vcc, 0, v[117:118]
	v_cmp_eq_f64_e64 s[0:1], 0, v[119:120]
	s_and_b64 s[0:1], vcc, s[0:1]
	s_and_saveexec_b64 s[18:19], s[0:1]
	s_xor_b64 s[0:1], exec, s[18:19]
; %bb.780:
	v_cmp_ne_u32_e32 vcc, 0, v91
	v_cndmask_b32_e32 v91, 38, v91, vcc
; %bb.781:
	s_andn2_saveexec_b64 s[0:1], s[0:1]
	s_cbranch_execz .LBB98_787
; %bb.782:
	v_cmp_ngt_f64_e64 s[18:19], |v[117:118]|, |v[119:120]|
	s_and_saveexec_b64 s[20:21], s[18:19]
	s_xor_b64 s[18:19], exec, s[20:21]
	s_cbranch_execz .LBB98_784
; %bb.783:
	v_div_scale_f64 v[94:95], s[20:21], v[119:120], v[119:120], v[117:118]
	v_rcp_f64_e32 v[96:97], v[94:95]
	v_fma_f64 v[98:99], -v[94:95], v[96:97], 1.0
	v_fma_f64 v[96:97], v[96:97], v[98:99], v[96:97]
	v_div_scale_f64 v[98:99], vcc, v[117:118], v[119:120], v[117:118]
	v_fma_f64 v[100:101], -v[94:95], v[96:97], 1.0
	v_fma_f64 v[96:97], v[96:97], v[100:101], v[96:97]
	v_mul_f64 v[100:101], v[98:99], v[96:97]
	v_fma_f64 v[94:95], -v[94:95], v[100:101], v[98:99]
	v_div_fmas_f64 v[94:95], v[94:95], v[96:97], v[100:101]
	v_div_fixup_f64 v[94:95], v[94:95], v[119:120], v[117:118]
	v_fma_f64 v[96:97], v[117:118], v[94:95], v[119:120]
	v_div_scale_f64 v[98:99], s[20:21], v[96:97], v[96:97], 1.0
	v_div_scale_f64 v[104:105], vcc, 1.0, v[96:97], 1.0
	v_rcp_f64_e32 v[100:101], v[98:99]
	v_fma_f64 v[102:103], -v[98:99], v[100:101], 1.0
	v_fma_f64 v[100:101], v[100:101], v[102:103], v[100:101]
	v_fma_f64 v[102:103], -v[98:99], v[100:101], 1.0
	v_fma_f64 v[100:101], v[100:101], v[102:103], v[100:101]
	v_mul_f64 v[102:103], v[104:105], v[100:101]
	v_fma_f64 v[98:99], -v[98:99], v[102:103], v[104:105]
	v_div_fmas_f64 v[98:99], v[98:99], v[100:101], v[102:103]
	v_div_fixup_f64 v[119:120], v[98:99], v[96:97], 1.0
	v_mul_f64 v[117:118], v[94:95], v[119:120]
	v_xor_b32_e32 v120, 0x80000000, v120
.LBB98_784:
	s_andn2_saveexec_b64 s[18:19], s[18:19]
	s_cbranch_execz .LBB98_786
; %bb.785:
	v_div_scale_f64 v[94:95], s[20:21], v[117:118], v[117:118], v[119:120]
	v_rcp_f64_e32 v[96:97], v[94:95]
	v_fma_f64 v[98:99], -v[94:95], v[96:97], 1.0
	v_fma_f64 v[96:97], v[96:97], v[98:99], v[96:97]
	v_div_scale_f64 v[98:99], vcc, v[119:120], v[117:118], v[119:120]
	v_fma_f64 v[100:101], -v[94:95], v[96:97], 1.0
	v_fma_f64 v[96:97], v[96:97], v[100:101], v[96:97]
	v_mul_f64 v[100:101], v[98:99], v[96:97]
	v_fma_f64 v[94:95], -v[94:95], v[100:101], v[98:99]
	v_div_fmas_f64 v[94:95], v[94:95], v[96:97], v[100:101]
	v_div_fixup_f64 v[94:95], v[94:95], v[117:118], v[119:120]
	v_fma_f64 v[96:97], v[119:120], v[94:95], v[117:118]
	v_div_scale_f64 v[98:99], s[20:21], v[96:97], v[96:97], 1.0
	v_div_scale_f64 v[104:105], vcc, 1.0, v[96:97], 1.0
	v_rcp_f64_e32 v[100:101], v[98:99]
	v_fma_f64 v[102:103], -v[98:99], v[100:101], 1.0
	v_fma_f64 v[100:101], v[100:101], v[102:103], v[100:101]
	v_fma_f64 v[102:103], -v[98:99], v[100:101], 1.0
	v_fma_f64 v[100:101], v[100:101], v[102:103], v[100:101]
	v_mul_f64 v[102:103], v[104:105], v[100:101]
	v_fma_f64 v[98:99], -v[98:99], v[102:103], v[104:105]
	v_div_fmas_f64 v[98:99], v[98:99], v[100:101], v[102:103]
	v_div_fixup_f64 v[117:118], v[98:99], v[96:97], 1.0
	v_mul_f64 v[119:120], v[94:95], -v[117:118]
.LBB98_786:
	s_or_b64 exec, exec, s[18:19]
.LBB98_787:
	s_or_b64 exec, exec, s[0:1]
	v_cmp_ne_u32_e32 vcc, v92, v93
	s_and_saveexec_b64 s[0:1], vcc
	s_xor_b64 s[0:1], exec, s[0:1]
	s_cbranch_execz .LBB98_793
; %bb.788:
	v_cmp_eq_u32_e32 vcc, 37, v92
	s_and_saveexec_b64 s[18:19], vcc
	s_cbranch_execz .LBB98_792
; %bb.789:
	v_cmp_ne_u32_e32 vcc, 37, v93
	s_xor_b64 s[20:21], s[6:7], -1
	s_and_b64 s[22:23], s[20:21], vcc
	s_and_saveexec_b64 s[20:21], s[22:23]
	s_cbranch_execz .LBB98_791
; %bb.790:
	buffer_load_dword v81, off, s[24:27], 0 offset:368 ; 4-byte Folded Reload
	buffer_load_dword v82, off, s[24:27], 0 offset:372 ; 4-byte Folded Reload
	v_ashrrev_i32_e32 v94, 31, v93
	v_lshlrev_b64 v[94:95], 2, v[93:94]
	s_waitcnt vmcnt(1)
	v_add_co_u32_e32 v94, vcc, v81, v94
	s_waitcnt vmcnt(0)
	v_addc_co_u32_e32 v95, vcc, v82, v95, vcc
	global_load_dword v0, v[94:95], off
	global_load_dword v92, v[81:82], off offset:148
	s_waitcnt vmcnt(1)
	global_store_dword v[81:82], v0, off offset:148
	s_waitcnt vmcnt(1)
	global_store_dword v[94:95], v92, off
.LBB98_791:
	s_or_b64 exec, exec, s[20:21]
	v_mov_b32_e32 v92, v93
	v_mov_b32_e32 v0, v93
.LBB98_792:
	s_or_b64 exec, exec, s[18:19]
.LBB98_793:
	s_andn2_saveexec_b64 s[0:1], s[0:1]
	s_cbranch_execz .LBB98_795
; %bb.794:
	v_mov_b32_e32 v92, 37
	ds_write2_b64 v90, v[41:42], v[43:44] offset0:76 offset1:77
	ds_write2_b64 v90, v[37:38], v[39:40] offset0:78 offset1:79
	;; [unrolled: 1-line block ×12, first 2 shown]
.LBB98_795:
	s_or_b64 exec, exec, s[0:1]
	v_cmp_lt_i32_e32 vcc, 37, v92
	s_waitcnt vmcnt(0) lgkmcnt(0)
	s_barrier
	s_and_saveexec_b64 s[0:1], vcc
	s_cbranch_execz .LBB98_797
; %bb.796:
	v_mul_f64 v[93:94], v[117:118], v[47:48]
	v_mul_f64 v[47:48], v[119:120], v[47:48]
	ds_read2_b64 v[95:98], v90 offset0:76 offset1:77
	v_fma_f64 v[93:94], v[119:120], v[45:46], v[93:94]
	v_fma_f64 v[45:46], v[117:118], v[45:46], -v[47:48]
	s_waitcnt lgkmcnt(0)
	v_mul_f64 v[47:48], v[97:98], v[93:94]
	v_fma_f64 v[47:48], v[95:96], v[45:46], -v[47:48]
	v_mul_f64 v[95:96], v[95:96], v[93:94]
	v_add_f64 v[41:42], v[41:42], -v[47:48]
	v_fma_f64 v[95:96], v[97:98], v[45:46], v[95:96]
	v_add_f64 v[43:44], v[43:44], -v[95:96]
	ds_read2_b64 v[95:98], v90 offset0:78 offset1:79
	s_waitcnt lgkmcnt(0)
	v_mul_f64 v[47:48], v[97:98], v[93:94]
	v_fma_f64 v[47:48], v[95:96], v[45:46], -v[47:48]
	v_mul_f64 v[95:96], v[95:96], v[93:94]
	v_add_f64 v[37:38], v[37:38], -v[47:48]
	v_fma_f64 v[95:96], v[97:98], v[45:46], v[95:96]
	v_add_f64 v[39:40], v[39:40], -v[95:96]
	ds_read2_b64 v[95:98], v90 offset0:80 offset1:81
	;; [unrolled: 8-line block ×11, first 2 shown]
	s_waitcnt lgkmcnt(0)
	v_mul_f64 v[47:48], v[97:98], v[93:94]
	v_fma_f64 v[47:48], v[95:96], v[45:46], -v[47:48]
	v_mul_f64 v[95:96], v[95:96], v[93:94]
	v_add_f64 v[121:122], v[121:122], -v[47:48]
	v_fma_f64 v[95:96], v[97:98], v[45:46], v[95:96]
	v_mov_b32_e32 v47, v93
	v_mov_b32_e32 v48, v94
	v_add_f64 v[123:124], v[123:124], -v[95:96]
.LBB98_797:
	s_or_b64 exec, exec, s[0:1]
	v_lshl_add_u32 v93, v92, 4, v90
	s_barrier
	ds_write2_b64 v93, v[41:42], v[43:44] offset1:1
	s_waitcnt lgkmcnt(0)
	s_barrier
	ds_read2_b64 v[117:120], v90 offset0:76 offset1:77
	s_cmp_lt_i32 s3, 40
	v_mov_b32_e32 v93, 38
	s_cbranch_scc1 .LBB98_800
; %bb.798:
	v_add_u32_e32 v94, 0x270, v90
	s_mov_b32 s0, 39
	v_mov_b32_e32 v93, 38
.LBB98_799:                             ; =>This Inner Loop Header: Depth=1
	s_waitcnt lgkmcnt(0)
	v_cmp_gt_f64_e32 vcc, 0, v[117:118]
	v_xor_b32_e32 v99, 0x80000000, v118
	ds_read2_b64 v[95:98], v94 offset1:1
	v_xor_b32_e32 v101, 0x80000000, v120
	v_add_u32_e32 v94, 16, v94
	s_waitcnt lgkmcnt(0)
	v_xor_b32_e32 v103, 0x80000000, v98
	v_cndmask_b32_e32 v100, v118, v99, vcc
	v_cmp_gt_f64_e32 vcc, 0, v[119:120]
	v_mov_b32_e32 v99, v117
	v_cndmask_b32_e32 v102, v120, v101, vcc
	v_cmp_gt_f64_e32 vcc, 0, v[95:96]
	v_mov_b32_e32 v101, v119
	v_add_f64 v[99:100], v[99:100], v[101:102]
	v_xor_b32_e32 v101, 0x80000000, v96
	v_cndmask_b32_e32 v102, v96, v101, vcc
	v_cmp_gt_f64_e32 vcc, 0, v[97:98]
	v_mov_b32_e32 v101, v95
	v_cndmask_b32_e32 v104, v98, v103, vcc
	v_mov_b32_e32 v103, v97
	v_add_f64 v[101:102], v[101:102], v[103:104]
	v_cmp_lt_f64_e32 vcc, v[99:100], v[101:102]
	v_cndmask_b32_e32 v117, v117, v95, vcc
	v_mov_b32_e32 v95, s0
	s_add_i32 s0, s0, 1
	v_cndmask_b32_e32 v118, v118, v96, vcc
	v_cndmask_b32_e32 v120, v120, v98, vcc
	;; [unrolled: 1-line block ×4, first 2 shown]
	s_cmp_lg_u32 s3, s0
	s_cbranch_scc1 .LBB98_799
.LBB98_800:
	s_waitcnt lgkmcnt(0)
	v_cmp_eq_f64_e32 vcc, 0, v[117:118]
	v_cmp_eq_f64_e64 s[0:1], 0, v[119:120]
	s_and_b64 s[0:1], vcc, s[0:1]
	s_and_saveexec_b64 s[18:19], s[0:1]
	s_xor_b64 s[0:1], exec, s[18:19]
; %bb.801:
	v_cmp_ne_u32_e32 vcc, 0, v91
	v_cndmask_b32_e32 v91, 39, v91, vcc
; %bb.802:
	s_andn2_saveexec_b64 s[0:1], s[0:1]
	s_cbranch_execz .LBB98_808
; %bb.803:
	v_cmp_ngt_f64_e64 s[18:19], |v[117:118]|, |v[119:120]|
	s_and_saveexec_b64 s[20:21], s[18:19]
	s_xor_b64 s[18:19], exec, s[20:21]
	s_cbranch_execz .LBB98_805
; %bb.804:
	v_div_scale_f64 v[94:95], s[20:21], v[119:120], v[119:120], v[117:118]
	v_rcp_f64_e32 v[96:97], v[94:95]
	v_fma_f64 v[98:99], -v[94:95], v[96:97], 1.0
	v_fma_f64 v[96:97], v[96:97], v[98:99], v[96:97]
	v_div_scale_f64 v[98:99], vcc, v[117:118], v[119:120], v[117:118]
	v_fma_f64 v[100:101], -v[94:95], v[96:97], 1.0
	v_fma_f64 v[96:97], v[96:97], v[100:101], v[96:97]
	v_mul_f64 v[100:101], v[98:99], v[96:97]
	v_fma_f64 v[94:95], -v[94:95], v[100:101], v[98:99]
	v_div_fmas_f64 v[94:95], v[94:95], v[96:97], v[100:101]
	v_div_fixup_f64 v[94:95], v[94:95], v[119:120], v[117:118]
	v_fma_f64 v[96:97], v[117:118], v[94:95], v[119:120]
	v_div_scale_f64 v[98:99], s[20:21], v[96:97], v[96:97], 1.0
	v_div_scale_f64 v[104:105], vcc, 1.0, v[96:97], 1.0
	v_rcp_f64_e32 v[100:101], v[98:99]
	v_fma_f64 v[102:103], -v[98:99], v[100:101], 1.0
	v_fma_f64 v[100:101], v[100:101], v[102:103], v[100:101]
	v_fma_f64 v[102:103], -v[98:99], v[100:101], 1.0
	v_fma_f64 v[100:101], v[100:101], v[102:103], v[100:101]
	v_mul_f64 v[102:103], v[104:105], v[100:101]
	v_fma_f64 v[98:99], -v[98:99], v[102:103], v[104:105]
	v_div_fmas_f64 v[98:99], v[98:99], v[100:101], v[102:103]
	v_div_fixup_f64 v[119:120], v[98:99], v[96:97], 1.0
	v_mul_f64 v[117:118], v[94:95], v[119:120]
	v_xor_b32_e32 v120, 0x80000000, v120
.LBB98_805:
	s_andn2_saveexec_b64 s[18:19], s[18:19]
	s_cbranch_execz .LBB98_807
; %bb.806:
	v_div_scale_f64 v[94:95], s[20:21], v[117:118], v[117:118], v[119:120]
	v_rcp_f64_e32 v[96:97], v[94:95]
	v_fma_f64 v[98:99], -v[94:95], v[96:97], 1.0
	v_fma_f64 v[96:97], v[96:97], v[98:99], v[96:97]
	v_div_scale_f64 v[98:99], vcc, v[119:120], v[117:118], v[119:120]
	v_fma_f64 v[100:101], -v[94:95], v[96:97], 1.0
	v_fma_f64 v[96:97], v[96:97], v[100:101], v[96:97]
	v_mul_f64 v[100:101], v[98:99], v[96:97]
	v_fma_f64 v[94:95], -v[94:95], v[100:101], v[98:99]
	v_div_fmas_f64 v[94:95], v[94:95], v[96:97], v[100:101]
	v_div_fixup_f64 v[94:95], v[94:95], v[117:118], v[119:120]
	v_fma_f64 v[96:97], v[119:120], v[94:95], v[117:118]
	v_div_scale_f64 v[98:99], s[20:21], v[96:97], v[96:97], 1.0
	v_div_scale_f64 v[104:105], vcc, 1.0, v[96:97], 1.0
	v_rcp_f64_e32 v[100:101], v[98:99]
	v_fma_f64 v[102:103], -v[98:99], v[100:101], 1.0
	v_fma_f64 v[100:101], v[100:101], v[102:103], v[100:101]
	v_fma_f64 v[102:103], -v[98:99], v[100:101], 1.0
	v_fma_f64 v[100:101], v[100:101], v[102:103], v[100:101]
	v_mul_f64 v[102:103], v[104:105], v[100:101]
	v_fma_f64 v[98:99], -v[98:99], v[102:103], v[104:105]
	v_div_fmas_f64 v[98:99], v[98:99], v[100:101], v[102:103]
	v_div_fixup_f64 v[117:118], v[98:99], v[96:97], 1.0
	v_mul_f64 v[119:120], v[94:95], -v[117:118]
.LBB98_807:
	s_or_b64 exec, exec, s[18:19]
.LBB98_808:
	s_or_b64 exec, exec, s[0:1]
	v_cmp_ne_u32_e32 vcc, v92, v93
	s_and_saveexec_b64 s[0:1], vcc
	s_xor_b64 s[0:1], exec, s[0:1]
	s_cbranch_execz .LBB98_814
; %bb.809:
	v_cmp_eq_u32_e32 vcc, 38, v92
	s_and_saveexec_b64 s[18:19], vcc
	s_cbranch_execz .LBB98_813
; %bb.810:
	v_cmp_ne_u32_e32 vcc, 38, v93
	s_xor_b64 s[20:21], s[6:7], -1
	s_and_b64 s[22:23], s[20:21], vcc
	s_and_saveexec_b64 s[20:21], s[22:23]
	s_cbranch_execz .LBB98_812
; %bb.811:
	buffer_load_dword v81, off, s[24:27], 0 offset:368 ; 4-byte Folded Reload
	buffer_load_dword v82, off, s[24:27], 0 offset:372 ; 4-byte Folded Reload
	v_ashrrev_i32_e32 v94, 31, v93
	v_lshlrev_b64 v[94:95], 2, v[93:94]
	s_waitcnt vmcnt(1)
	v_add_co_u32_e32 v94, vcc, v81, v94
	s_waitcnt vmcnt(0)
	v_addc_co_u32_e32 v95, vcc, v82, v95, vcc
	global_load_dword v0, v[94:95], off
	global_load_dword v92, v[81:82], off offset:152
	s_waitcnt vmcnt(1)
	global_store_dword v[81:82], v0, off offset:152
	s_waitcnt vmcnt(1)
	global_store_dword v[94:95], v92, off
.LBB98_812:
	s_or_b64 exec, exec, s[20:21]
	v_mov_b32_e32 v92, v93
	v_mov_b32_e32 v0, v93
.LBB98_813:
	s_or_b64 exec, exec, s[18:19]
.LBB98_814:
	s_andn2_saveexec_b64 s[0:1], s[0:1]
	s_cbranch_execz .LBB98_816
; %bb.815:
	v_mov_b32_e32 v92, 38
	ds_write2_b64 v90, v[37:38], v[39:40] offset0:78 offset1:79
	ds_write2_b64 v90, v[33:34], v[35:36] offset0:80 offset1:81
	;; [unrolled: 1-line block ×11, first 2 shown]
.LBB98_816:
	s_or_b64 exec, exec, s[0:1]
	v_cmp_lt_i32_e32 vcc, 38, v92
	s_waitcnt vmcnt(0) lgkmcnt(0)
	s_barrier
	s_and_saveexec_b64 s[0:1], vcc
	s_cbranch_execz .LBB98_818
; %bb.817:
	v_mul_f64 v[93:94], v[117:118], v[43:44]
	v_mul_f64 v[43:44], v[119:120], v[43:44]
	ds_read2_b64 v[95:98], v90 offset0:78 offset1:79
	v_fma_f64 v[93:94], v[119:120], v[41:42], v[93:94]
	v_fma_f64 v[41:42], v[117:118], v[41:42], -v[43:44]
	s_waitcnt lgkmcnt(0)
	v_mul_f64 v[43:44], v[97:98], v[93:94]
	v_fma_f64 v[43:44], v[95:96], v[41:42], -v[43:44]
	v_mul_f64 v[95:96], v[95:96], v[93:94]
	v_add_f64 v[37:38], v[37:38], -v[43:44]
	v_fma_f64 v[95:96], v[97:98], v[41:42], v[95:96]
	v_add_f64 v[39:40], v[39:40], -v[95:96]
	ds_read2_b64 v[95:98], v90 offset0:80 offset1:81
	s_waitcnt lgkmcnt(0)
	v_mul_f64 v[43:44], v[97:98], v[93:94]
	v_fma_f64 v[43:44], v[95:96], v[41:42], -v[43:44]
	v_mul_f64 v[95:96], v[95:96], v[93:94]
	v_add_f64 v[33:34], v[33:34], -v[43:44]
	v_fma_f64 v[95:96], v[97:98], v[41:42], v[95:96]
	v_add_f64 v[35:36], v[35:36], -v[95:96]
	ds_read2_b64 v[95:98], v90 offset0:82 offset1:83
	;; [unrolled: 8-line block ×10, first 2 shown]
	s_waitcnt lgkmcnt(0)
	v_mul_f64 v[43:44], v[97:98], v[93:94]
	v_fma_f64 v[43:44], v[95:96], v[41:42], -v[43:44]
	v_mul_f64 v[95:96], v[95:96], v[93:94]
	v_add_f64 v[121:122], v[121:122], -v[43:44]
	v_fma_f64 v[95:96], v[97:98], v[41:42], v[95:96]
	v_mov_b32_e32 v43, v93
	v_mov_b32_e32 v44, v94
	v_add_f64 v[123:124], v[123:124], -v[95:96]
.LBB98_818:
	s_or_b64 exec, exec, s[0:1]
	v_lshl_add_u32 v93, v92, 4, v90
	s_barrier
	ds_write2_b64 v93, v[37:38], v[39:40] offset1:1
	s_waitcnt lgkmcnt(0)
	s_barrier
	ds_read2_b64 v[117:120], v90 offset0:78 offset1:79
	s_cmp_lt_i32 s3, 41
	v_mov_b32_e32 v93, 39
	s_cbranch_scc1 .LBB98_821
; %bb.819:
	v_add_u32_e32 v94, 0x280, v90
	s_mov_b32 s0, 40
	v_mov_b32_e32 v93, 39
.LBB98_820:                             ; =>This Inner Loop Header: Depth=1
	s_waitcnt lgkmcnt(0)
	v_cmp_gt_f64_e32 vcc, 0, v[117:118]
	v_xor_b32_e32 v99, 0x80000000, v118
	ds_read2_b64 v[95:98], v94 offset1:1
	v_xor_b32_e32 v101, 0x80000000, v120
	v_add_u32_e32 v94, 16, v94
	s_waitcnt lgkmcnt(0)
	v_xor_b32_e32 v103, 0x80000000, v98
	v_cndmask_b32_e32 v100, v118, v99, vcc
	v_cmp_gt_f64_e32 vcc, 0, v[119:120]
	v_mov_b32_e32 v99, v117
	v_cndmask_b32_e32 v102, v120, v101, vcc
	v_cmp_gt_f64_e32 vcc, 0, v[95:96]
	v_mov_b32_e32 v101, v119
	v_add_f64 v[99:100], v[99:100], v[101:102]
	v_xor_b32_e32 v101, 0x80000000, v96
	v_cndmask_b32_e32 v102, v96, v101, vcc
	v_cmp_gt_f64_e32 vcc, 0, v[97:98]
	v_mov_b32_e32 v101, v95
	v_cndmask_b32_e32 v104, v98, v103, vcc
	v_mov_b32_e32 v103, v97
	v_add_f64 v[101:102], v[101:102], v[103:104]
	v_cmp_lt_f64_e32 vcc, v[99:100], v[101:102]
	v_cndmask_b32_e32 v117, v117, v95, vcc
	v_mov_b32_e32 v95, s0
	s_add_i32 s0, s0, 1
	v_cndmask_b32_e32 v118, v118, v96, vcc
	v_cndmask_b32_e32 v120, v120, v98, vcc
	;; [unrolled: 1-line block ×4, first 2 shown]
	s_cmp_lg_u32 s3, s0
	s_cbranch_scc1 .LBB98_820
.LBB98_821:
	s_waitcnt lgkmcnt(0)
	v_cmp_eq_f64_e32 vcc, 0, v[117:118]
	v_cmp_eq_f64_e64 s[0:1], 0, v[119:120]
	s_and_b64 s[0:1], vcc, s[0:1]
	s_and_saveexec_b64 s[18:19], s[0:1]
	s_xor_b64 s[0:1], exec, s[18:19]
; %bb.822:
	v_cmp_ne_u32_e32 vcc, 0, v91
	v_cndmask_b32_e32 v91, 40, v91, vcc
; %bb.823:
	s_andn2_saveexec_b64 s[0:1], s[0:1]
	s_cbranch_execz .LBB98_829
; %bb.824:
	v_cmp_ngt_f64_e64 s[18:19], |v[117:118]|, |v[119:120]|
	s_and_saveexec_b64 s[20:21], s[18:19]
	s_xor_b64 s[18:19], exec, s[20:21]
	s_cbranch_execz .LBB98_826
; %bb.825:
	v_div_scale_f64 v[94:95], s[20:21], v[119:120], v[119:120], v[117:118]
	v_rcp_f64_e32 v[96:97], v[94:95]
	v_fma_f64 v[98:99], -v[94:95], v[96:97], 1.0
	v_fma_f64 v[96:97], v[96:97], v[98:99], v[96:97]
	v_div_scale_f64 v[98:99], vcc, v[117:118], v[119:120], v[117:118]
	v_fma_f64 v[100:101], -v[94:95], v[96:97], 1.0
	v_fma_f64 v[96:97], v[96:97], v[100:101], v[96:97]
	v_mul_f64 v[100:101], v[98:99], v[96:97]
	v_fma_f64 v[94:95], -v[94:95], v[100:101], v[98:99]
	v_div_fmas_f64 v[94:95], v[94:95], v[96:97], v[100:101]
	v_div_fixup_f64 v[94:95], v[94:95], v[119:120], v[117:118]
	v_fma_f64 v[96:97], v[117:118], v[94:95], v[119:120]
	v_div_scale_f64 v[98:99], s[20:21], v[96:97], v[96:97], 1.0
	v_div_scale_f64 v[104:105], vcc, 1.0, v[96:97], 1.0
	v_rcp_f64_e32 v[100:101], v[98:99]
	v_fma_f64 v[102:103], -v[98:99], v[100:101], 1.0
	v_fma_f64 v[100:101], v[100:101], v[102:103], v[100:101]
	v_fma_f64 v[102:103], -v[98:99], v[100:101], 1.0
	v_fma_f64 v[100:101], v[100:101], v[102:103], v[100:101]
	v_mul_f64 v[102:103], v[104:105], v[100:101]
	v_fma_f64 v[98:99], -v[98:99], v[102:103], v[104:105]
	v_div_fmas_f64 v[98:99], v[98:99], v[100:101], v[102:103]
	v_div_fixup_f64 v[119:120], v[98:99], v[96:97], 1.0
	v_mul_f64 v[117:118], v[94:95], v[119:120]
	v_xor_b32_e32 v120, 0x80000000, v120
.LBB98_826:
	s_andn2_saveexec_b64 s[18:19], s[18:19]
	s_cbranch_execz .LBB98_828
; %bb.827:
	v_div_scale_f64 v[94:95], s[20:21], v[117:118], v[117:118], v[119:120]
	v_rcp_f64_e32 v[96:97], v[94:95]
	v_fma_f64 v[98:99], -v[94:95], v[96:97], 1.0
	v_fma_f64 v[96:97], v[96:97], v[98:99], v[96:97]
	v_div_scale_f64 v[98:99], vcc, v[119:120], v[117:118], v[119:120]
	v_fma_f64 v[100:101], -v[94:95], v[96:97], 1.0
	v_fma_f64 v[96:97], v[96:97], v[100:101], v[96:97]
	v_mul_f64 v[100:101], v[98:99], v[96:97]
	v_fma_f64 v[94:95], -v[94:95], v[100:101], v[98:99]
	v_div_fmas_f64 v[94:95], v[94:95], v[96:97], v[100:101]
	v_div_fixup_f64 v[94:95], v[94:95], v[117:118], v[119:120]
	v_fma_f64 v[96:97], v[119:120], v[94:95], v[117:118]
	v_div_scale_f64 v[98:99], s[20:21], v[96:97], v[96:97], 1.0
	v_div_scale_f64 v[104:105], vcc, 1.0, v[96:97], 1.0
	v_rcp_f64_e32 v[100:101], v[98:99]
	v_fma_f64 v[102:103], -v[98:99], v[100:101], 1.0
	v_fma_f64 v[100:101], v[100:101], v[102:103], v[100:101]
	v_fma_f64 v[102:103], -v[98:99], v[100:101], 1.0
	v_fma_f64 v[100:101], v[100:101], v[102:103], v[100:101]
	v_mul_f64 v[102:103], v[104:105], v[100:101]
	v_fma_f64 v[98:99], -v[98:99], v[102:103], v[104:105]
	v_div_fmas_f64 v[98:99], v[98:99], v[100:101], v[102:103]
	v_div_fixup_f64 v[117:118], v[98:99], v[96:97], 1.0
	v_mul_f64 v[119:120], v[94:95], -v[117:118]
.LBB98_828:
	s_or_b64 exec, exec, s[18:19]
.LBB98_829:
	s_or_b64 exec, exec, s[0:1]
	v_cmp_ne_u32_e32 vcc, v92, v93
	s_and_saveexec_b64 s[0:1], vcc
	s_xor_b64 s[0:1], exec, s[0:1]
	s_cbranch_execz .LBB98_835
; %bb.830:
	v_cmp_eq_u32_e32 vcc, 39, v92
	s_and_saveexec_b64 s[18:19], vcc
	s_cbranch_execz .LBB98_834
; %bb.831:
	v_cmp_ne_u32_e32 vcc, 39, v93
	s_xor_b64 s[20:21], s[6:7], -1
	s_and_b64 s[22:23], s[20:21], vcc
	s_and_saveexec_b64 s[20:21], s[22:23]
	s_cbranch_execz .LBB98_833
; %bb.832:
	buffer_load_dword v81, off, s[24:27], 0 offset:368 ; 4-byte Folded Reload
	buffer_load_dword v82, off, s[24:27], 0 offset:372 ; 4-byte Folded Reload
	v_ashrrev_i32_e32 v94, 31, v93
	v_lshlrev_b64 v[94:95], 2, v[93:94]
	s_waitcnt vmcnt(1)
	v_add_co_u32_e32 v94, vcc, v81, v94
	s_waitcnt vmcnt(0)
	v_addc_co_u32_e32 v95, vcc, v82, v95, vcc
	global_load_dword v0, v[94:95], off
	global_load_dword v92, v[81:82], off offset:156
	s_waitcnt vmcnt(1)
	global_store_dword v[81:82], v0, off offset:156
	s_waitcnt vmcnt(1)
	global_store_dword v[94:95], v92, off
.LBB98_833:
	s_or_b64 exec, exec, s[20:21]
	v_mov_b32_e32 v92, v93
	v_mov_b32_e32 v0, v93
.LBB98_834:
	s_or_b64 exec, exec, s[18:19]
.LBB98_835:
	s_andn2_saveexec_b64 s[0:1], s[0:1]
	s_cbranch_execz .LBB98_837
; %bb.836:
	v_mov_b32_e32 v92, 39
	ds_write2_b64 v90, v[33:34], v[35:36] offset0:80 offset1:81
	ds_write2_b64 v90, v[29:30], v[31:32] offset0:82 offset1:83
	;; [unrolled: 1-line block ×10, first 2 shown]
.LBB98_837:
	s_or_b64 exec, exec, s[0:1]
	v_cmp_lt_i32_e32 vcc, 39, v92
	s_waitcnt vmcnt(0) lgkmcnt(0)
	s_barrier
	s_and_saveexec_b64 s[0:1], vcc
	s_cbranch_execz .LBB98_839
; %bb.838:
	v_mul_f64 v[93:94], v[117:118], v[39:40]
	v_mul_f64 v[39:40], v[119:120], v[39:40]
	ds_read2_b64 v[95:98], v90 offset0:80 offset1:81
	v_fma_f64 v[93:94], v[119:120], v[37:38], v[93:94]
	v_fma_f64 v[37:38], v[117:118], v[37:38], -v[39:40]
	s_waitcnt lgkmcnt(0)
	v_mul_f64 v[39:40], v[97:98], v[93:94]
	v_fma_f64 v[39:40], v[95:96], v[37:38], -v[39:40]
	v_mul_f64 v[95:96], v[95:96], v[93:94]
	v_add_f64 v[33:34], v[33:34], -v[39:40]
	v_fma_f64 v[95:96], v[97:98], v[37:38], v[95:96]
	v_add_f64 v[35:36], v[35:36], -v[95:96]
	ds_read2_b64 v[95:98], v90 offset0:82 offset1:83
	s_waitcnt lgkmcnt(0)
	v_mul_f64 v[39:40], v[97:98], v[93:94]
	v_fma_f64 v[39:40], v[95:96], v[37:38], -v[39:40]
	v_mul_f64 v[95:96], v[95:96], v[93:94]
	v_add_f64 v[29:30], v[29:30], -v[39:40]
	v_fma_f64 v[95:96], v[97:98], v[37:38], v[95:96]
	v_add_f64 v[31:32], v[31:32], -v[95:96]
	ds_read2_b64 v[95:98], v90 offset0:84 offset1:85
	;; [unrolled: 8-line block ×9, first 2 shown]
	s_waitcnt lgkmcnt(0)
	v_mul_f64 v[39:40], v[97:98], v[93:94]
	v_fma_f64 v[39:40], v[95:96], v[37:38], -v[39:40]
	v_mul_f64 v[95:96], v[95:96], v[93:94]
	v_add_f64 v[121:122], v[121:122], -v[39:40]
	v_fma_f64 v[95:96], v[97:98], v[37:38], v[95:96]
	v_mov_b32_e32 v39, v93
	v_mov_b32_e32 v40, v94
	v_add_f64 v[123:124], v[123:124], -v[95:96]
.LBB98_839:
	s_or_b64 exec, exec, s[0:1]
	v_lshl_add_u32 v93, v92, 4, v90
	s_barrier
	ds_write2_b64 v93, v[33:34], v[35:36] offset1:1
	s_waitcnt lgkmcnt(0)
	s_barrier
	ds_read2_b64 v[117:120], v90 offset0:80 offset1:81
	s_cmp_lt_i32 s3, 42
	v_mov_b32_e32 v93, 40
	s_cbranch_scc1 .LBB98_842
; %bb.840:
	v_add_u32_e32 v94, 0x290, v90
	s_mov_b32 s0, 41
	v_mov_b32_e32 v93, 40
.LBB98_841:                             ; =>This Inner Loop Header: Depth=1
	s_waitcnt lgkmcnt(0)
	v_cmp_gt_f64_e32 vcc, 0, v[117:118]
	v_xor_b32_e32 v99, 0x80000000, v118
	ds_read2_b64 v[95:98], v94 offset1:1
	v_xor_b32_e32 v101, 0x80000000, v120
	v_add_u32_e32 v94, 16, v94
	s_waitcnt lgkmcnt(0)
	v_xor_b32_e32 v103, 0x80000000, v98
	v_cndmask_b32_e32 v100, v118, v99, vcc
	v_cmp_gt_f64_e32 vcc, 0, v[119:120]
	v_mov_b32_e32 v99, v117
	v_cndmask_b32_e32 v102, v120, v101, vcc
	v_cmp_gt_f64_e32 vcc, 0, v[95:96]
	v_mov_b32_e32 v101, v119
	v_add_f64 v[99:100], v[99:100], v[101:102]
	v_xor_b32_e32 v101, 0x80000000, v96
	v_cndmask_b32_e32 v102, v96, v101, vcc
	v_cmp_gt_f64_e32 vcc, 0, v[97:98]
	v_mov_b32_e32 v101, v95
	v_cndmask_b32_e32 v104, v98, v103, vcc
	v_mov_b32_e32 v103, v97
	v_add_f64 v[101:102], v[101:102], v[103:104]
	v_cmp_lt_f64_e32 vcc, v[99:100], v[101:102]
	v_cndmask_b32_e32 v117, v117, v95, vcc
	v_mov_b32_e32 v95, s0
	s_add_i32 s0, s0, 1
	v_cndmask_b32_e32 v118, v118, v96, vcc
	v_cndmask_b32_e32 v120, v120, v98, vcc
	;; [unrolled: 1-line block ×4, first 2 shown]
	s_cmp_lg_u32 s3, s0
	s_cbranch_scc1 .LBB98_841
.LBB98_842:
	s_waitcnt lgkmcnt(0)
	v_cmp_eq_f64_e32 vcc, 0, v[117:118]
	v_cmp_eq_f64_e64 s[0:1], 0, v[119:120]
	s_and_b64 s[0:1], vcc, s[0:1]
	s_and_saveexec_b64 s[18:19], s[0:1]
	s_xor_b64 s[0:1], exec, s[18:19]
; %bb.843:
	v_cmp_ne_u32_e32 vcc, 0, v91
	v_cndmask_b32_e32 v91, 41, v91, vcc
; %bb.844:
	s_andn2_saveexec_b64 s[0:1], s[0:1]
	s_cbranch_execz .LBB98_850
; %bb.845:
	v_cmp_ngt_f64_e64 s[18:19], |v[117:118]|, |v[119:120]|
	s_and_saveexec_b64 s[20:21], s[18:19]
	s_xor_b64 s[18:19], exec, s[20:21]
	s_cbranch_execz .LBB98_847
; %bb.846:
	v_div_scale_f64 v[94:95], s[20:21], v[119:120], v[119:120], v[117:118]
	v_rcp_f64_e32 v[96:97], v[94:95]
	v_fma_f64 v[98:99], -v[94:95], v[96:97], 1.0
	v_fma_f64 v[96:97], v[96:97], v[98:99], v[96:97]
	v_div_scale_f64 v[98:99], vcc, v[117:118], v[119:120], v[117:118]
	v_fma_f64 v[100:101], -v[94:95], v[96:97], 1.0
	v_fma_f64 v[96:97], v[96:97], v[100:101], v[96:97]
	v_mul_f64 v[100:101], v[98:99], v[96:97]
	v_fma_f64 v[94:95], -v[94:95], v[100:101], v[98:99]
	v_div_fmas_f64 v[94:95], v[94:95], v[96:97], v[100:101]
	v_div_fixup_f64 v[94:95], v[94:95], v[119:120], v[117:118]
	v_fma_f64 v[96:97], v[117:118], v[94:95], v[119:120]
	v_div_scale_f64 v[98:99], s[20:21], v[96:97], v[96:97], 1.0
	v_div_scale_f64 v[104:105], vcc, 1.0, v[96:97], 1.0
	v_rcp_f64_e32 v[100:101], v[98:99]
	v_fma_f64 v[102:103], -v[98:99], v[100:101], 1.0
	v_fma_f64 v[100:101], v[100:101], v[102:103], v[100:101]
	v_fma_f64 v[102:103], -v[98:99], v[100:101], 1.0
	v_fma_f64 v[100:101], v[100:101], v[102:103], v[100:101]
	v_mul_f64 v[102:103], v[104:105], v[100:101]
	v_fma_f64 v[98:99], -v[98:99], v[102:103], v[104:105]
	v_div_fmas_f64 v[98:99], v[98:99], v[100:101], v[102:103]
	v_div_fixup_f64 v[119:120], v[98:99], v[96:97], 1.0
	v_mul_f64 v[117:118], v[94:95], v[119:120]
	v_xor_b32_e32 v120, 0x80000000, v120
.LBB98_847:
	s_andn2_saveexec_b64 s[18:19], s[18:19]
	s_cbranch_execz .LBB98_849
; %bb.848:
	v_div_scale_f64 v[94:95], s[20:21], v[117:118], v[117:118], v[119:120]
	v_rcp_f64_e32 v[96:97], v[94:95]
	v_fma_f64 v[98:99], -v[94:95], v[96:97], 1.0
	v_fma_f64 v[96:97], v[96:97], v[98:99], v[96:97]
	v_div_scale_f64 v[98:99], vcc, v[119:120], v[117:118], v[119:120]
	v_fma_f64 v[100:101], -v[94:95], v[96:97], 1.0
	v_fma_f64 v[96:97], v[96:97], v[100:101], v[96:97]
	v_mul_f64 v[100:101], v[98:99], v[96:97]
	v_fma_f64 v[94:95], -v[94:95], v[100:101], v[98:99]
	v_div_fmas_f64 v[94:95], v[94:95], v[96:97], v[100:101]
	v_div_fixup_f64 v[94:95], v[94:95], v[117:118], v[119:120]
	v_fma_f64 v[96:97], v[119:120], v[94:95], v[117:118]
	v_div_scale_f64 v[98:99], s[20:21], v[96:97], v[96:97], 1.0
	v_div_scale_f64 v[104:105], vcc, 1.0, v[96:97], 1.0
	v_rcp_f64_e32 v[100:101], v[98:99]
	v_fma_f64 v[102:103], -v[98:99], v[100:101], 1.0
	v_fma_f64 v[100:101], v[100:101], v[102:103], v[100:101]
	v_fma_f64 v[102:103], -v[98:99], v[100:101], 1.0
	v_fma_f64 v[100:101], v[100:101], v[102:103], v[100:101]
	v_mul_f64 v[102:103], v[104:105], v[100:101]
	v_fma_f64 v[98:99], -v[98:99], v[102:103], v[104:105]
	v_div_fmas_f64 v[98:99], v[98:99], v[100:101], v[102:103]
	v_div_fixup_f64 v[117:118], v[98:99], v[96:97], 1.0
	v_mul_f64 v[119:120], v[94:95], -v[117:118]
.LBB98_849:
	s_or_b64 exec, exec, s[18:19]
.LBB98_850:
	s_or_b64 exec, exec, s[0:1]
	v_cmp_ne_u32_e32 vcc, v92, v93
	s_and_saveexec_b64 s[0:1], vcc
	s_xor_b64 s[0:1], exec, s[0:1]
	s_cbranch_execz .LBB98_856
; %bb.851:
	v_cmp_eq_u32_e32 vcc, 40, v92
	s_and_saveexec_b64 s[18:19], vcc
	s_cbranch_execz .LBB98_855
; %bb.852:
	v_cmp_ne_u32_e32 vcc, 40, v93
	s_xor_b64 s[20:21], s[6:7], -1
	s_and_b64 s[22:23], s[20:21], vcc
	s_and_saveexec_b64 s[20:21], s[22:23]
	s_cbranch_execz .LBB98_854
; %bb.853:
	buffer_load_dword v81, off, s[24:27], 0 offset:368 ; 4-byte Folded Reload
	buffer_load_dword v82, off, s[24:27], 0 offset:372 ; 4-byte Folded Reload
	v_ashrrev_i32_e32 v94, 31, v93
	v_lshlrev_b64 v[94:95], 2, v[93:94]
	s_waitcnt vmcnt(1)
	v_add_co_u32_e32 v94, vcc, v81, v94
	s_waitcnt vmcnt(0)
	v_addc_co_u32_e32 v95, vcc, v82, v95, vcc
	global_load_dword v0, v[94:95], off
	global_load_dword v92, v[81:82], off offset:160
	s_waitcnt vmcnt(1)
	global_store_dword v[81:82], v0, off offset:160
	s_waitcnt vmcnt(1)
	global_store_dword v[94:95], v92, off
.LBB98_854:
	s_or_b64 exec, exec, s[20:21]
	v_mov_b32_e32 v92, v93
	v_mov_b32_e32 v0, v93
.LBB98_855:
	s_or_b64 exec, exec, s[18:19]
.LBB98_856:
	s_andn2_saveexec_b64 s[0:1], s[0:1]
	s_cbranch_execz .LBB98_858
; %bb.857:
	v_mov_b32_e32 v92, 40
	ds_write2_b64 v90, v[29:30], v[31:32] offset0:82 offset1:83
	ds_write2_b64 v90, v[25:26], v[27:28] offset0:84 offset1:85
	;; [unrolled: 1-line block ×9, first 2 shown]
.LBB98_858:
	s_or_b64 exec, exec, s[0:1]
	v_cmp_lt_i32_e32 vcc, 40, v92
	s_waitcnt vmcnt(0) lgkmcnt(0)
	s_barrier
	s_and_saveexec_b64 s[0:1], vcc
	s_cbranch_execz .LBB98_860
; %bb.859:
	v_mul_f64 v[93:94], v[117:118], v[35:36]
	v_mul_f64 v[35:36], v[119:120], v[35:36]
	ds_read2_b64 v[95:98], v90 offset0:82 offset1:83
	v_fma_f64 v[93:94], v[119:120], v[33:34], v[93:94]
	v_fma_f64 v[33:34], v[117:118], v[33:34], -v[35:36]
	s_waitcnt lgkmcnt(0)
	v_mul_f64 v[35:36], v[97:98], v[93:94]
	v_fma_f64 v[35:36], v[95:96], v[33:34], -v[35:36]
	v_mul_f64 v[95:96], v[95:96], v[93:94]
	v_add_f64 v[29:30], v[29:30], -v[35:36]
	v_fma_f64 v[95:96], v[97:98], v[33:34], v[95:96]
	v_add_f64 v[31:32], v[31:32], -v[95:96]
	ds_read2_b64 v[95:98], v90 offset0:84 offset1:85
	s_waitcnt lgkmcnt(0)
	v_mul_f64 v[35:36], v[97:98], v[93:94]
	v_fma_f64 v[35:36], v[95:96], v[33:34], -v[35:36]
	v_mul_f64 v[95:96], v[95:96], v[93:94]
	v_add_f64 v[25:26], v[25:26], -v[35:36]
	v_fma_f64 v[95:96], v[97:98], v[33:34], v[95:96]
	v_add_f64 v[27:28], v[27:28], -v[95:96]
	ds_read2_b64 v[95:98], v90 offset0:86 offset1:87
	;; [unrolled: 8-line block ×8, first 2 shown]
	s_waitcnt lgkmcnt(0)
	v_mul_f64 v[35:36], v[97:98], v[93:94]
	v_fma_f64 v[35:36], v[95:96], v[33:34], -v[35:36]
	v_mul_f64 v[95:96], v[95:96], v[93:94]
	v_add_f64 v[121:122], v[121:122], -v[35:36]
	v_fma_f64 v[95:96], v[97:98], v[33:34], v[95:96]
	v_mov_b32_e32 v35, v93
	v_mov_b32_e32 v36, v94
	v_add_f64 v[123:124], v[123:124], -v[95:96]
.LBB98_860:
	s_or_b64 exec, exec, s[0:1]
	v_lshl_add_u32 v93, v92, 4, v90
	s_barrier
	ds_write2_b64 v93, v[29:30], v[31:32] offset1:1
	s_waitcnt lgkmcnt(0)
	s_barrier
	ds_read2_b64 v[117:120], v90 offset0:82 offset1:83
	s_cmp_lt_i32 s3, 43
	v_mov_b32_e32 v93, 41
	s_cbranch_scc1 .LBB98_863
; %bb.861:
	v_add_u32_e32 v94, 0x2a0, v90
	s_mov_b32 s0, 42
	v_mov_b32_e32 v93, 41
.LBB98_862:                             ; =>This Inner Loop Header: Depth=1
	s_waitcnt lgkmcnt(0)
	v_cmp_gt_f64_e32 vcc, 0, v[117:118]
	v_xor_b32_e32 v99, 0x80000000, v118
	ds_read2_b64 v[95:98], v94 offset1:1
	v_xor_b32_e32 v101, 0x80000000, v120
	v_add_u32_e32 v94, 16, v94
	s_waitcnt lgkmcnt(0)
	v_xor_b32_e32 v103, 0x80000000, v98
	v_cndmask_b32_e32 v100, v118, v99, vcc
	v_cmp_gt_f64_e32 vcc, 0, v[119:120]
	v_mov_b32_e32 v99, v117
	v_cndmask_b32_e32 v102, v120, v101, vcc
	v_cmp_gt_f64_e32 vcc, 0, v[95:96]
	v_mov_b32_e32 v101, v119
	v_add_f64 v[99:100], v[99:100], v[101:102]
	v_xor_b32_e32 v101, 0x80000000, v96
	v_cndmask_b32_e32 v102, v96, v101, vcc
	v_cmp_gt_f64_e32 vcc, 0, v[97:98]
	v_mov_b32_e32 v101, v95
	v_cndmask_b32_e32 v104, v98, v103, vcc
	v_mov_b32_e32 v103, v97
	v_add_f64 v[101:102], v[101:102], v[103:104]
	v_cmp_lt_f64_e32 vcc, v[99:100], v[101:102]
	v_cndmask_b32_e32 v117, v117, v95, vcc
	v_mov_b32_e32 v95, s0
	s_add_i32 s0, s0, 1
	v_cndmask_b32_e32 v118, v118, v96, vcc
	v_cndmask_b32_e32 v120, v120, v98, vcc
	;; [unrolled: 1-line block ×4, first 2 shown]
	s_cmp_lg_u32 s3, s0
	s_cbranch_scc1 .LBB98_862
.LBB98_863:
	s_waitcnt lgkmcnt(0)
	v_cmp_eq_f64_e32 vcc, 0, v[117:118]
	v_cmp_eq_f64_e64 s[0:1], 0, v[119:120]
	s_and_b64 s[0:1], vcc, s[0:1]
	s_and_saveexec_b64 s[18:19], s[0:1]
	s_xor_b64 s[0:1], exec, s[18:19]
; %bb.864:
	v_cmp_ne_u32_e32 vcc, 0, v91
	v_cndmask_b32_e32 v91, 42, v91, vcc
; %bb.865:
	s_andn2_saveexec_b64 s[0:1], s[0:1]
	s_cbranch_execz .LBB98_871
; %bb.866:
	v_cmp_ngt_f64_e64 s[18:19], |v[117:118]|, |v[119:120]|
	s_and_saveexec_b64 s[20:21], s[18:19]
	s_xor_b64 s[18:19], exec, s[20:21]
	s_cbranch_execz .LBB98_868
; %bb.867:
	v_div_scale_f64 v[94:95], s[20:21], v[119:120], v[119:120], v[117:118]
	v_rcp_f64_e32 v[96:97], v[94:95]
	v_fma_f64 v[98:99], -v[94:95], v[96:97], 1.0
	v_fma_f64 v[96:97], v[96:97], v[98:99], v[96:97]
	v_div_scale_f64 v[98:99], vcc, v[117:118], v[119:120], v[117:118]
	v_fma_f64 v[100:101], -v[94:95], v[96:97], 1.0
	v_fma_f64 v[96:97], v[96:97], v[100:101], v[96:97]
	v_mul_f64 v[100:101], v[98:99], v[96:97]
	v_fma_f64 v[94:95], -v[94:95], v[100:101], v[98:99]
	v_div_fmas_f64 v[94:95], v[94:95], v[96:97], v[100:101]
	v_div_fixup_f64 v[94:95], v[94:95], v[119:120], v[117:118]
	v_fma_f64 v[96:97], v[117:118], v[94:95], v[119:120]
	v_div_scale_f64 v[98:99], s[20:21], v[96:97], v[96:97], 1.0
	v_div_scale_f64 v[104:105], vcc, 1.0, v[96:97], 1.0
	v_rcp_f64_e32 v[100:101], v[98:99]
	v_fma_f64 v[102:103], -v[98:99], v[100:101], 1.0
	v_fma_f64 v[100:101], v[100:101], v[102:103], v[100:101]
	v_fma_f64 v[102:103], -v[98:99], v[100:101], 1.0
	v_fma_f64 v[100:101], v[100:101], v[102:103], v[100:101]
	v_mul_f64 v[102:103], v[104:105], v[100:101]
	v_fma_f64 v[98:99], -v[98:99], v[102:103], v[104:105]
	v_div_fmas_f64 v[98:99], v[98:99], v[100:101], v[102:103]
	v_div_fixup_f64 v[119:120], v[98:99], v[96:97], 1.0
	v_mul_f64 v[117:118], v[94:95], v[119:120]
	v_xor_b32_e32 v120, 0x80000000, v120
.LBB98_868:
	s_andn2_saveexec_b64 s[18:19], s[18:19]
	s_cbranch_execz .LBB98_870
; %bb.869:
	v_div_scale_f64 v[94:95], s[20:21], v[117:118], v[117:118], v[119:120]
	v_rcp_f64_e32 v[96:97], v[94:95]
	v_fma_f64 v[98:99], -v[94:95], v[96:97], 1.0
	v_fma_f64 v[96:97], v[96:97], v[98:99], v[96:97]
	v_div_scale_f64 v[98:99], vcc, v[119:120], v[117:118], v[119:120]
	v_fma_f64 v[100:101], -v[94:95], v[96:97], 1.0
	v_fma_f64 v[96:97], v[96:97], v[100:101], v[96:97]
	v_mul_f64 v[100:101], v[98:99], v[96:97]
	v_fma_f64 v[94:95], -v[94:95], v[100:101], v[98:99]
	v_div_fmas_f64 v[94:95], v[94:95], v[96:97], v[100:101]
	v_div_fixup_f64 v[94:95], v[94:95], v[117:118], v[119:120]
	v_fma_f64 v[96:97], v[119:120], v[94:95], v[117:118]
	v_div_scale_f64 v[98:99], s[20:21], v[96:97], v[96:97], 1.0
	v_div_scale_f64 v[104:105], vcc, 1.0, v[96:97], 1.0
	v_rcp_f64_e32 v[100:101], v[98:99]
	v_fma_f64 v[102:103], -v[98:99], v[100:101], 1.0
	v_fma_f64 v[100:101], v[100:101], v[102:103], v[100:101]
	v_fma_f64 v[102:103], -v[98:99], v[100:101], 1.0
	v_fma_f64 v[100:101], v[100:101], v[102:103], v[100:101]
	v_mul_f64 v[102:103], v[104:105], v[100:101]
	v_fma_f64 v[98:99], -v[98:99], v[102:103], v[104:105]
	v_div_fmas_f64 v[98:99], v[98:99], v[100:101], v[102:103]
	v_div_fixup_f64 v[117:118], v[98:99], v[96:97], 1.0
	v_mul_f64 v[119:120], v[94:95], -v[117:118]
.LBB98_870:
	s_or_b64 exec, exec, s[18:19]
.LBB98_871:
	s_or_b64 exec, exec, s[0:1]
	v_cmp_ne_u32_e32 vcc, v92, v93
	s_and_saveexec_b64 s[0:1], vcc
	s_xor_b64 s[0:1], exec, s[0:1]
	s_cbranch_execz .LBB98_877
; %bb.872:
	v_cmp_eq_u32_e32 vcc, 41, v92
	s_and_saveexec_b64 s[18:19], vcc
	s_cbranch_execz .LBB98_876
; %bb.873:
	v_cmp_ne_u32_e32 vcc, 41, v93
	s_xor_b64 s[20:21], s[6:7], -1
	s_and_b64 s[22:23], s[20:21], vcc
	s_and_saveexec_b64 s[20:21], s[22:23]
	s_cbranch_execz .LBB98_875
; %bb.874:
	buffer_load_dword v81, off, s[24:27], 0 offset:368 ; 4-byte Folded Reload
	buffer_load_dword v82, off, s[24:27], 0 offset:372 ; 4-byte Folded Reload
	v_ashrrev_i32_e32 v94, 31, v93
	v_lshlrev_b64 v[94:95], 2, v[93:94]
	s_waitcnt vmcnt(1)
	v_add_co_u32_e32 v94, vcc, v81, v94
	s_waitcnt vmcnt(0)
	v_addc_co_u32_e32 v95, vcc, v82, v95, vcc
	global_load_dword v0, v[94:95], off
	global_load_dword v92, v[81:82], off offset:164
	s_waitcnt vmcnt(1)
	global_store_dword v[81:82], v0, off offset:164
	s_waitcnt vmcnt(1)
	global_store_dword v[94:95], v92, off
.LBB98_875:
	s_or_b64 exec, exec, s[20:21]
	v_mov_b32_e32 v92, v93
	v_mov_b32_e32 v0, v93
.LBB98_876:
	s_or_b64 exec, exec, s[18:19]
.LBB98_877:
	s_andn2_saveexec_b64 s[0:1], s[0:1]
	s_cbranch_execz .LBB98_879
; %bb.878:
	v_mov_b32_e32 v92, 41
	ds_write2_b64 v90, v[25:26], v[27:28] offset0:84 offset1:85
	ds_write2_b64 v90, v[21:22], v[23:24] offset0:86 offset1:87
	;; [unrolled: 1-line block ×8, first 2 shown]
.LBB98_879:
	s_or_b64 exec, exec, s[0:1]
	v_cmp_lt_i32_e32 vcc, 41, v92
	s_waitcnt vmcnt(0) lgkmcnt(0)
	s_barrier
	s_and_saveexec_b64 s[0:1], vcc
	s_cbranch_execz .LBB98_881
; %bb.880:
	v_mul_f64 v[93:94], v[117:118], v[31:32]
	v_mul_f64 v[31:32], v[119:120], v[31:32]
	ds_read2_b64 v[95:98], v90 offset0:84 offset1:85
	v_fma_f64 v[93:94], v[119:120], v[29:30], v[93:94]
	v_fma_f64 v[29:30], v[117:118], v[29:30], -v[31:32]
	s_waitcnt lgkmcnt(0)
	v_mul_f64 v[31:32], v[97:98], v[93:94]
	v_fma_f64 v[31:32], v[95:96], v[29:30], -v[31:32]
	v_mul_f64 v[95:96], v[95:96], v[93:94]
	v_add_f64 v[25:26], v[25:26], -v[31:32]
	v_fma_f64 v[95:96], v[97:98], v[29:30], v[95:96]
	v_add_f64 v[27:28], v[27:28], -v[95:96]
	ds_read2_b64 v[95:98], v90 offset0:86 offset1:87
	s_waitcnt lgkmcnt(0)
	v_mul_f64 v[31:32], v[97:98], v[93:94]
	v_fma_f64 v[31:32], v[95:96], v[29:30], -v[31:32]
	v_mul_f64 v[95:96], v[95:96], v[93:94]
	v_add_f64 v[21:22], v[21:22], -v[31:32]
	v_fma_f64 v[95:96], v[97:98], v[29:30], v[95:96]
	v_add_f64 v[23:24], v[23:24], -v[95:96]
	ds_read2_b64 v[95:98], v90 offset0:88 offset1:89
	;; [unrolled: 8-line block ×7, first 2 shown]
	s_waitcnt lgkmcnt(0)
	v_mul_f64 v[31:32], v[97:98], v[93:94]
	v_fma_f64 v[31:32], v[95:96], v[29:30], -v[31:32]
	v_mul_f64 v[95:96], v[95:96], v[93:94]
	v_add_f64 v[121:122], v[121:122], -v[31:32]
	v_fma_f64 v[95:96], v[97:98], v[29:30], v[95:96]
	v_mov_b32_e32 v31, v93
	v_mov_b32_e32 v32, v94
	v_add_f64 v[123:124], v[123:124], -v[95:96]
.LBB98_881:
	s_or_b64 exec, exec, s[0:1]
	v_lshl_add_u32 v93, v92, 4, v90
	s_barrier
	ds_write2_b64 v93, v[25:26], v[27:28] offset1:1
	s_waitcnt lgkmcnt(0)
	s_barrier
	ds_read2_b64 v[117:120], v90 offset0:84 offset1:85
	s_cmp_lt_i32 s3, 44
	v_mov_b32_e32 v93, 42
	s_cbranch_scc1 .LBB98_884
; %bb.882:
	v_add_u32_e32 v94, 0x2b0, v90
	s_mov_b32 s0, 43
	v_mov_b32_e32 v93, 42
.LBB98_883:                             ; =>This Inner Loop Header: Depth=1
	s_waitcnt lgkmcnt(0)
	v_cmp_gt_f64_e32 vcc, 0, v[117:118]
	v_xor_b32_e32 v99, 0x80000000, v118
	ds_read2_b64 v[95:98], v94 offset1:1
	v_xor_b32_e32 v101, 0x80000000, v120
	v_add_u32_e32 v94, 16, v94
	s_waitcnt lgkmcnt(0)
	v_xor_b32_e32 v103, 0x80000000, v98
	v_cndmask_b32_e32 v100, v118, v99, vcc
	v_cmp_gt_f64_e32 vcc, 0, v[119:120]
	v_mov_b32_e32 v99, v117
	v_cndmask_b32_e32 v102, v120, v101, vcc
	v_cmp_gt_f64_e32 vcc, 0, v[95:96]
	v_mov_b32_e32 v101, v119
	v_add_f64 v[99:100], v[99:100], v[101:102]
	v_xor_b32_e32 v101, 0x80000000, v96
	v_cndmask_b32_e32 v102, v96, v101, vcc
	v_cmp_gt_f64_e32 vcc, 0, v[97:98]
	v_mov_b32_e32 v101, v95
	v_cndmask_b32_e32 v104, v98, v103, vcc
	v_mov_b32_e32 v103, v97
	v_add_f64 v[101:102], v[101:102], v[103:104]
	v_cmp_lt_f64_e32 vcc, v[99:100], v[101:102]
	v_cndmask_b32_e32 v117, v117, v95, vcc
	v_mov_b32_e32 v95, s0
	s_add_i32 s0, s0, 1
	v_cndmask_b32_e32 v118, v118, v96, vcc
	v_cndmask_b32_e32 v120, v120, v98, vcc
	;; [unrolled: 1-line block ×4, first 2 shown]
	s_cmp_lg_u32 s3, s0
	s_cbranch_scc1 .LBB98_883
.LBB98_884:
	s_waitcnt lgkmcnt(0)
	v_cmp_eq_f64_e32 vcc, 0, v[117:118]
	v_cmp_eq_f64_e64 s[0:1], 0, v[119:120]
	s_and_b64 s[0:1], vcc, s[0:1]
	s_and_saveexec_b64 s[18:19], s[0:1]
	s_xor_b64 s[0:1], exec, s[18:19]
; %bb.885:
	v_cmp_ne_u32_e32 vcc, 0, v91
	v_cndmask_b32_e32 v91, 43, v91, vcc
; %bb.886:
	s_andn2_saveexec_b64 s[0:1], s[0:1]
	s_cbranch_execz .LBB98_892
; %bb.887:
	v_cmp_ngt_f64_e64 s[18:19], |v[117:118]|, |v[119:120]|
	s_and_saveexec_b64 s[20:21], s[18:19]
	s_xor_b64 s[18:19], exec, s[20:21]
	s_cbranch_execz .LBB98_889
; %bb.888:
	v_div_scale_f64 v[94:95], s[20:21], v[119:120], v[119:120], v[117:118]
	v_rcp_f64_e32 v[96:97], v[94:95]
	v_fma_f64 v[98:99], -v[94:95], v[96:97], 1.0
	v_fma_f64 v[96:97], v[96:97], v[98:99], v[96:97]
	v_div_scale_f64 v[98:99], vcc, v[117:118], v[119:120], v[117:118]
	v_fma_f64 v[100:101], -v[94:95], v[96:97], 1.0
	v_fma_f64 v[96:97], v[96:97], v[100:101], v[96:97]
	v_mul_f64 v[100:101], v[98:99], v[96:97]
	v_fma_f64 v[94:95], -v[94:95], v[100:101], v[98:99]
	v_div_fmas_f64 v[94:95], v[94:95], v[96:97], v[100:101]
	v_div_fixup_f64 v[94:95], v[94:95], v[119:120], v[117:118]
	v_fma_f64 v[96:97], v[117:118], v[94:95], v[119:120]
	v_div_scale_f64 v[98:99], s[20:21], v[96:97], v[96:97], 1.0
	v_div_scale_f64 v[104:105], vcc, 1.0, v[96:97], 1.0
	v_rcp_f64_e32 v[100:101], v[98:99]
	v_fma_f64 v[102:103], -v[98:99], v[100:101], 1.0
	v_fma_f64 v[100:101], v[100:101], v[102:103], v[100:101]
	v_fma_f64 v[102:103], -v[98:99], v[100:101], 1.0
	v_fma_f64 v[100:101], v[100:101], v[102:103], v[100:101]
	v_mul_f64 v[102:103], v[104:105], v[100:101]
	v_fma_f64 v[98:99], -v[98:99], v[102:103], v[104:105]
	v_div_fmas_f64 v[98:99], v[98:99], v[100:101], v[102:103]
	v_div_fixup_f64 v[119:120], v[98:99], v[96:97], 1.0
	v_mul_f64 v[117:118], v[94:95], v[119:120]
	v_xor_b32_e32 v120, 0x80000000, v120
.LBB98_889:
	s_andn2_saveexec_b64 s[18:19], s[18:19]
	s_cbranch_execz .LBB98_891
; %bb.890:
	v_div_scale_f64 v[94:95], s[20:21], v[117:118], v[117:118], v[119:120]
	v_rcp_f64_e32 v[96:97], v[94:95]
	v_fma_f64 v[98:99], -v[94:95], v[96:97], 1.0
	v_fma_f64 v[96:97], v[96:97], v[98:99], v[96:97]
	v_div_scale_f64 v[98:99], vcc, v[119:120], v[117:118], v[119:120]
	v_fma_f64 v[100:101], -v[94:95], v[96:97], 1.0
	v_fma_f64 v[96:97], v[96:97], v[100:101], v[96:97]
	v_mul_f64 v[100:101], v[98:99], v[96:97]
	v_fma_f64 v[94:95], -v[94:95], v[100:101], v[98:99]
	v_div_fmas_f64 v[94:95], v[94:95], v[96:97], v[100:101]
	v_div_fixup_f64 v[94:95], v[94:95], v[117:118], v[119:120]
	v_fma_f64 v[96:97], v[119:120], v[94:95], v[117:118]
	v_div_scale_f64 v[98:99], s[20:21], v[96:97], v[96:97], 1.0
	v_div_scale_f64 v[104:105], vcc, 1.0, v[96:97], 1.0
	v_rcp_f64_e32 v[100:101], v[98:99]
	v_fma_f64 v[102:103], -v[98:99], v[100:101], 1.0
	v_fma_f64 v[100:101], v[100:101], v[102:103], v[100:101]
	v_fma_f64 v[102:103], -v[98:99], v[100:101], 1.0
	v_fma_f64 v[100:101], v[100:101], v[102:103], v[100:101]
	v_mul_f64 v[102:103], v[104:105], v[100:101]
	v_fma_f64 v[98:99], -v[98:99], v[102:103], v[104:105]
	v_div_fmas_f64 v[98:99], v[98:99], v[100:101], v[102:103]
	v_div_fixup_f64 v[117:118], v[98:99], v[96:97], 1.0
	v_mul_f64 v[119:120], v[94:95], -v[117:118]
.LBB98_891:
	s_or_b64 exec, exec, s[18:19]
.LBB98_892:
	s_or_b64 exec, exec, s[0:1]
	v_cmp_ne_u32_e32 vcc, v92, v93
	s_and_saveexec_b64 s[0:1], vcc
	s_xor_b64 s[0:1], exec, s[0:1]
	s_cbranch_execz .LBB98_898
; %bb.893:
	v_cmp_eq_u32_e32 vcc, 42, v92
	s_and_saveexec_b64 s[18:19], vcc
	s_cbranch_execz .LBB98_897
; %bb.894:
	v_cmp_ne_u32_e32 vcc, 42, v93
	s_xor_b64 s[20:21], s[6:7], -1
	s_and_b64 s[22:23], s[20:21], vcc
	s_and_saveexec_b64 s[20:21], s[22:23]
	s_cbranch_execz .LBB98_896
; %bb.895:
	buffer_load_dword v81, off, s[24:27], 0 offset:368 ; 4-byte Folded Reload
	buffer_load_dword v82, off, s[24:27], 0 offset:372 ; 4-byte Folded Reload
	v_ashrrev_i32_e32 v94, 31, v93
	v_lshlrev_b64 v[94:95], 2, v[93:94]
	s_waitcnt vmcnt(1)
	v_add_co_u32_e32 v94, vcc, v81, v94
	s_waitcnt vmcnt(0)
	v_addc_co_u32_e32 v95, vcc, v82, v95, vcc
	global_load_dword v0, v[94:95], off
	global_load_dword v92, v[81:82], off offset:168
	s_waitcnt vmcnt(1)
	global_store_dword v[81:82], v0, off offset:168
	s_waitcnt vmcnt(1)
	global_store_dword v[94:95], v92, off
.LBB98_896:
	s_or_b64 exec, exec, s[20:21]
	v_mov_b32_e32 v92, v93
	v_mov_b32_e32 v0, v93
.LBB98_897:
	s_or_b64 exec, exec, s[18:19]
.LBB98_898:
	s_andn2_saveexec_b64 s[0:1], s[0:1]
	s_cbranch_execz .LBB98_900
; %bb.899:
	v_mov_b32_e32 v92, 42
	ds_write2_b64 v90, v[21:22], v[23:24] offset0:86 offset1:87
	ds_write2_b64 v90, v[17:18], v[19:20] offset0:88 offset1:89
	;; [unrolled: 1-line block ×7, first 2 shown]
.LBB98_900:
	s_or_b64 exec, exec, s[0:1]
	v_cmp_lt_i32_e32 vcc, 42, v92
	s_waitcnt vmcnt(0) lgkmcnt(0)
	s_barrier
	s_and_saveexec_b64 s[0:1], vcc
	s_cbranch_execz .LBB98_902
; %bb.901:
	v_mul_f64 v[93:94], v[117:118], v[27:28]
	v_mul_f64 v[27:28], v[119:120], v[27:28]
	ds_read2_b64 v[95:98], v90 offset0:86 offset1:87
	v_fma_f64 v[93:94], v[119:120], v[25:26], v[93:94]
	v_fma_f64 v[25:26], v[117:118], v[25:26], -v[27:28]
	s_waitcnt lgkmcnt(0)
	v_mul_f64 v[27:28], v[97:98], v[93:94]
	v_fma_f64 v[27:28], v[95:96], v[25:26], -v[27:28]
	v_mul_f64 v[95:96], v[95:96], v[93:94]
	v_add_f64 v[21:22], v[21:22], -v[27:28]
	v_fma_f64 v[95:96], v[97:98], v[25:26], v[95:96]
	v_add_f64 v[23:24], v[23:24], -v[95:96]
	ds_read2_b64 v[95:98], v90 offset0:88 offset1:89
	s_waitcnt lgkmcnt(0)
	v_mul_f64 v[27:28], v[97:98], v[93:94]
	v_fma_f64 v[27:28], v[95:96], v[25:26], -v[27:28]
	v_mul_f64 v[95:96], v[95:96], v[93:94]
	v_add_f64 v[17:18], v[17:18], -v[27:28]
	v_fma_f64 v[95:96], v[97:98], v[25:26], v[95:96]
	v_add_f64 v[19:20], v[19:20], -v[95:96]
	ds_read2_b64 v[95:98], v90 offset0:90 offset1:91
	;; [unrolled: 8-line block ×6, first 2 shown]
	s_waitcnt lgkmcnt(0)
	v_mul_f64 v[27:28], v[97:98], v[93:94]
	v_fma_f64 v[27:28], v[95:96], v[25:26], -v[27:28]
	v_mul_f64 v[95:96], v[95:96], v[93:94]
	v_add_f64 v[121:122], v[121:122], -v[27:28]
	v_fma_f64 v[95:96], v[97:98], v[25:26], v[95:96]
	v_mov_b32_e32 v27, v93
	v_mov_b32_e32 v28, v94
	v_add_f64 v[123:124], v[123:124], -v[95:96]
.LBB98_902:
	s_or_b64 exec, exec, s[0:1]
	v_lshl_add_u32 v93, v92, 4, v90
	s_barrier
	ds_write2_b64 v93, v[21:22], v[23:24] offset1:1
	s_waitcnt lgkmcnt(0)
	s_barrier
	ds_read2_b64 v[117:120], v90 offset0:86 offset1:87
	s_cmp_lt_i32 s3, 45
	v_mov_b32_e32 v93, 43
	s_cbranch_scc1 .LBB98_905
; %bb.903:
	v_add_u32_e32 v94, 0x2c0, v90
	s_mov_b32 s0, 44
	v_mov_b32_e32 v93, 43
.LBB98_904:                             ; =>This Inner Loop Header: Depth=1
	s_waitcnt lgkmcnt(0)
	v_cmp_gt_f64_e32 vcc, 0, v[117:118]
	v_xor_b32_e32 v99, 0x80000000, v118
	ds_read2_b64 v[95:98], v94 offset1:1
	v_xor_b32_e32 v101, 0x80000000, v120
	v_add_u32_e32 v94, 16, v94
	s_waitcnt lgkmcnt(0)
	v_xor_b32_e32 v103, 0x80000000, v98
	v_cndmask_b32_e32 v100, v118, v99, vcc
	v_cmp_gt_f64_e32 vcc, 0, v[119:120]
	v_mov_b32_e32 v99, v117
	v_cndmask_b32_e32 v102, v120, v101, vcc
	v_cmp_gt_f64_e32 vcc, 0, v[95:96]
	v_mov_b32_e32 v101, v119
	v_add_f64 v[99:100], v[99:100], v[101:102]
	v_xor_b32_e32 v101, 0x80000000, v96
	v_cndmask_b32_e32 v102, v96, v101, vcc
	v_cmp_gt_f64_e32 vcc, 0, v[97:98]
	v_mov_b32_e32 v101, v95
	v_cndmask_b32_e32 v104, v98, v103, vcc
	v_mov_b32_e32 v103, v97
	v_add_f64 v[101:102], v[101:102], v[103:104]
	v_cmp_lt_f64_e32 vcc, v[99:100], v[101:102]
	v_cndmask_b32_e32 v117, v117, v95, vcc
	v_mov_b32_e32 v95, s0
	s_add_i32 s0, s0, 1
	v_cndmask_b32_e32 v118, v118, v96, vcc
	v_cndmask_b32_e32 v120, v120, v98, vcc
	;; [unrolled: 1-line block ×4, first 2 shown]
	s_cmp_lg_u32 s3, s0
	s_cbranch_scc1 .LBB98_904
.LBB98_905:
	s_waitcnt lgkmcnt(0)
	v_cmp_eq_f64_e32 vcc, 0, v[117:118]
	v_cmp_eq_f64_e64 s[0:1], 0, v[119:120]
	s_and_b64 s[0:1], vcc, s[0:1]
	s_and_saveexec_b64 s[18:19], s[0:1]
	s_xor_b64 s[0:1], exec, s[18:19]
; %bb.906:
	v_cmp_ne_u32_e32 vcc, 0, v91
	v_cndmask_b32_e32 v91, 44, v91, vcc
; %bb.907:
	s_andn2_saveexec_b64 s[0:1], s[0:1]
	s_cbranch_execz .LBB98_913
; %bb.908:
	v_cmp_ngt_f64_e64 s[18:19], |v[117:118]|, |v[119:120]|
	s_and_saveexec_b64 s[20:21], s[18:19]
	s_xor_b64 s[18:19], exec, s[20:21]
	s_cbranch_execz .LBB98_910
; %bb.909:
	v_div_scale_f64 v[94:95], s[20:21], v[119:120], v[119:120], v[117:118]
	v_rcp_f64_e32 v[96:97], v[94:95]
	v_fma_f64 v[98:99], -v[94:95], v[96:97], 1.0
	v_fma_f64 v[96:97], v[96:97], v[98:99], v[96:97]
	v_div_scale_f64 v[98:99], vcc, v[117:118], v[119:120], v[117:118]
	v_fma_f64 v[100:101], -v[94:95], v[96:97], 1.0
	v_fma_f64 v[96:97], v[96:97], v[100:101], v[96:97]
	v_mul_f64 v[100:101], v[98:99], v[96:97]
	v_fma_f64 v[94:95], -v[94:95], v[100:101], v[98:99]
	v_div_fmas_f64 v[94:95], v[94:95], v[96:97], v[100:101]
	v_div_fixup_f64 v[94:95], v[94:95], v[119:120], v[117:118]
	v_fma_f64 v[96:97], v[117:118], v[94:95], v[119:120]
	v_div_scale_f64 v[98:99], s[20:21], v[96:97], v[96:97], 1.0
	v_div_scale_f64 v[104:105], vcc, 1.0, v[96:97], 1.0
	v_rcp_f64_e32 v[100:101], v[98:99]
	v_fma_f64 v[102:103], -v[98:99], v[100:101], 1.0
	v_fma_f64 v[100:101], v[100:101], v[102:103], v[100:101]
	v_fma_f64 v[102:103], -v[98:99], v[100:101], 1.0
	v_fma_f64 v[100:101], v[100:101], v[102:103], v[100:101]
	v_mul_f64 v[102:103], v[104:105], v[100:101]
	v_fma_f64 v[98:99], -v[98:99], v[102:103], v[104:105]
	v_div_fmas_f64 v[98:99], v[98:99], v[100:101], v[102:103]
	v_div_fixup_f64 v[119:120], v[98:99], v[96:97], 1.0
	v_mul_f64 v[117:118], v[94:95], v[119:120]
	v_xor_b32_e32 v120, 0x80000000, v120
.LBB98_910:
	s_andn2_saveexec_b64 s[18:19], s[18:19]
	s_cbranch_execz .LBB98_912
; %bb.911:
	v_div_scale_f64 v[94:95], s[20:21], v[117:118], v[117:118], v[119:120]
	v_rcp_f64_e32 v[96:97], v[94:95]
	v_fma_f64 v[98:99], -v[94:95], v[96:97], 1.0
	v_fma_f64 v[96:97], v[96:97], v[98:99], v[96:97]
	v_div_scale_f64 v[98:99], vcc, v[119:120], v[117:118], v[119:120]
	v_fma_f64 v[100:101], -v[94:95], v[96:97], 1.0
	v_fma_f64 v[96:97], v[96:97], v[100:101], v[96:97]
	v_mul_f64 v[100:101], v[98:99], v[96:97]
	v_fma_f64 v[94:95], -v[94:95], v[100:101], v[98:99]
	v_div_fmas_f64 v[94:95], v[94:95], v[96:97], v[100:101]
	v_div_fixup_f64 v[94:95], v[94:95], v[117:118], v[119:120]
	v_fma_f64 v[96:97], v[119:120], v[94:95], v[117:118]
	v_div_scale_f64 v[98:99], s[20:21], v[96:97], v[96:97], 1.0
	v_div_scale_f64 v[104:105], vcc, 1.0, v[96:97], 1.0
	v_rcp_f64_e32 v[100:101], v[98:99]
	v_fma_f64 v[102:103], -v[98:99], v[100:101], 1.0
	v_fma_f64 v[100:101], v[100:101], v[102:103], v[100:101]
	v_fma_f64 v[102:103], -v[98:99], v[100:101], 1.0
	v_fma_f64 v[100:101], v[100:101], v[102:103], v[100:101]
	v_mul_f64 v[102:103], v[104:105], v[100:101]
	v_fma_f64 v[98:99], -v[98:99], v[102:103], v[104:105]
	v_div_fmas_f64 v[98:99], v[98:99], v[100:101], v[102:103]
	v_div_fixup_f64 v[117:118], v[98:99], v[96:97], 1.0
	v_mul_f64 v[119:120], v[94:95], -v[117:118]
.LBB98_912:
	s_or_b64 exec, exec, s[18:19]
.LBB98_913:
	s_or_b64 exec, exec, s[0:1]
	v_cmp_ne_u32_e32 vcc, v92, v93
	s_and_saveexec_b64 s[0:1], vcc
	s_xor_b64 s[0:1], exec, s[0:1]
	s_cbranch_execz .LBB98_919
; %bb.914:
	v_cmp_eq_u32_e32 vcc, 43, v92
	s_and_saveexec_b64 s[18:19], vcc
	s_cbranch_execz .LBB98_918
; %bb.915:
	v_cmp_ne_u32_e32 vcc, 43, v93
	s_xor_b64 s[20:21], s[6:7], -1
	s_and_b64 s[22:23], s[20:21], vcc
	s_and_saveexec_b64 s[20:21], s[22:23]
	s_cbranch_execz .LBB98_917
; %bb.916:
	buffer_load_dword v81, off, s[24:27], 0 offset:368 ; 4-byte Folded Reload
	buffer_load_dword v82, off, s[24:27], 0 offset:372 ; 4-byte Folded Reload
	v_ashrrev_i32_e32 v94, 31, v93
	v_lshlrev_b64 v[94:95], 2, v[93:94]
	s_waitcnt vmcnt(1)
	v_add_co_u32_e32 v94, vcc, v81, v94
	s_waitcnt vmcnt(0)
	v_addc_co_u32_e32 v95, vcc, v82, v95, vcc
	global_load_dword v0, v[94:95], off
	global_load_dword v92, v[81:82], off offset:172
	s_waitcnt vmcnt(1)
	global_store_dword v[81:82], v0, off offset:172
	s_waitcnt vmcnt(1)
	global_store_dword v[94:95], v92, off
.LBB98_917:
	s_or_b64 exec, exec, s[20:21]
	v_mov_b32_e32 v92, v93
	v_mov_b32_e32 v0, v93
.LBB98_918:
	s_or_b64 exec, exec, s[18:19]
.LBB98_919:
	s_andn2_saveexec_b64 s[0:1], s[0:1]
	s_cbranch_execz .LBB98_921
; %bb.920:
	v_mov_b32_e32 v92, 43
	ds_write2_b64 v90, v[17:18], v[19:20] offset0:88 offset1:89
	ds_write2_b64 v90, v[13:14], v[15:16] offset0:90 offset1:91
	;; [unrolled: 1-line block ×6, first 2 shown]
.LBB98_921:
	s_or_b64 exec, exec, s[0:1]
	v_cmp_lt_i32_e32 vcc, 43, v92
	s_waitcnt vmcnt(0) lgkmcnt(0)
	s_barrier
	s_and_saveexec_b64 s[0:1], vcc
	s_cbranch_execz .LBB98_923
; %bb.922:
	v_mul_f64 v[93:94], v[117:118], v[23:24]
	v_mul_f64 v[23:24], v[119:120], v[23:24]
	ds_read2_b64 v[95:98], v90 offset0:88 offset1:89
	v_fma_f64 v[93:94], v[119:120], v[21:22], v[93:94]
	v_fma_f64 v[21:22], v[117:118], v[21:22], -v[23:24]
	s_waitcnt lgkmcnt(0)
	v_mul_f64 v[23:24], v[97:98], v[93:94]
	v_fma_f64 v[23:24], v[95:96], v[21:22], -v[23:24]
	v_mul_f64 v[95:96], v[95:96], v[93:94]
	v_add_f64 v[17:18], v[17:18], -v[23:24]
	v_fma_f64 v[95:96], v[97:98], v[21:22], v[95:96]
	v_add_f64 v[19:20], v[19:20], -v[95:96]
	ds_read2_b64 v[95:98], v90 offset0:90 offset1:91
	s_waitcnt lgkmcnt(0)
	v_mul_f64 v[23:24], v[97:98], v[93:94]
	v_fma_f64 v[23:24], v[95:96], v[21:22], -v[23:24]
	v_mul_f64 v[95:96], v[95:96], v[93:94]
	v_add_f64 v[13:14], v[13:14], -v[23:24]
	v_fma_f64 v[95:96], v[97:98], v[21:22], v[95:96]
	v_add_f64 v[15:16], v[15:16], -v[95:96]
	ds_read2_b64 v[95:98], v90 offset0:92 offset1:93
	;; [unrolled: 8-line block ×5, first 2 shown]
	s_waitcnt lgkmcnt(0)
	v_mul_f64 v[23:24], v[97:98], v[93:94]
	v_fma_f64 v[23:24], v[95:96], v[21:22], -v[23:24]
	v_mul_f64 v[95:96], v[95:96], v[93:94]
	v_add_f64 v[121:122], v[121:122], -v[23:24]
	v_fma_f64 v[95:96], v[97:98], v[21:22], v[95:96]
	v_mov_b32_e32 v23, v93
	v_mov_b32_e32 v24, v94
	v_add_f64 v[123:124], v[123:124], -v[95:96]
.LBB98_923:
	s_or_b64 exec, exec, s[0:1]
	v_lshl_add_u32 v93, v92, 4, v90
	s_barrier
	ds_write2_b64 v93, v[17:18], v[19:20] offset1:1
	s_waitcnt lgkmcnt(0)
	s_barrier
	ds_read2_b64 v[117:120], v90 offset0:88 offset1:89
	s_cmp_lt_i32 s3, 46
	v_mov_b32_e32 v93, 44
	s_cbranch_scc1 .LBB98_926
; %bb.924:
	v_add_u32_e32 v94, 0x2d0, v90
	s_mov_b32 s0, 45
	v_mov_b32_e32 v93, 44
.LBB98_925:                             ; =>This Inner Loop Header: Depth=1
	s_waitcnt lgkmcnt(0)
	v_cmp_gt_f64_e32 vcc, 0, v[117:118]
	v_xor_b32_e32 v99, 0x80000000, v118
	ds_read2_b64 v[95:98], v94 offset1:1
	v_xor_b32_e32 v101, 0x80000000, v120
	v_add_u32_e32 v94, 16, v94
	s_waitcnt lgkmcnt(0)
	v_xor_b32_e32 v103, 0x80000000, v98
	v_cndmask_b32_e32 v100, v118, v99, vcc
	v_cmp_gt_f64_e32 vcc, 0, v[119:120]
	v_mov_b32_e32 v99, v117
	v_cndmask_b32_e32 v102, v120, v101, vcc
	v_cmp_gt_f64_e32 vcc, 0, v[95:96]
	v_mov_b32_e32 v101, v119
	v_add_f64 v[99:100], v[99:100], v[101:102]
	v_xor_b32_e32 v101, 0x80000000, v96
	v_cndmask_b32_e32 v102, v96, v101, vcc
	v_cmp_gt_f64_e32 vcc, 0, v[97:98]
	v_mov_b32_e32 v101, v95
	v_cndmask_b32_e32 v104, v98, v103, vcc
	v_mov_b32_e32 v103, v97
	v_add_f64 v[101:102], v[101:102], v[103:104]
	v_cmp_lt_f64_e32 vcc, v[99:100], v[101:102]
	v_cndmask_b32_e32 v117, v117, v95, vcc
	v_mov_b32_e32 v95, s0
	s_add_i32 s0, s0, 1
	v_cndmask_b32_e32 v118, v118, v96, vcc
	v_cndmask_b32_e32 v120, v120, v98, vcc
	;; [unrolled: 1-line block ×4, first 2 shown]
	s_cmp_lg_u32 s3, s0
	s_cbranch_scc1 .LBB98_925
.LBB98_926:
	s_waitcnt lgkmcnt(0)
	v_cmp_eq_f64_e32 vcc, 0, v[117:118]
	v_cmp_eq_f64_e64 s[0:1], 0, v[119:120]
	s_and_b64 s[0:1], vcc, s[0:1]
	s_and_saveexec_b64 s[18:19], s[0:1]
	s_xor_b64 s[0:1], exec, s[18:19]
; %bb.927:
	v_cmp_ne_u32_e32 vcc, 0, v91
	v_cndmask_b32_e32 v91, 45, v91, vcc
; %bb.928:
	s_andn2_saveexec_b64 s[0:1], s[0:1]
	s_cbranch_execz .LBB98_934
; %bb.929:
	v_cmp_ngt_f64_e64 s[18:19], |v[117:118]|, |v[119:120]|
	s_and_saveexec_b64 s[20:21], s[18:19]
	s_xor_b64 s[18:19], exec, s[20:21]
	s_cbranch_execz .LBB98_931
; %bb.930:
	v_div_scale_f64 v[94:95], s[20:21], v[119:120], v[119:120], v[117:118]
	v_rcp_f64_e32 v[96:97], v[94:95]
	v_fma_f64 v[98:99], -v[94:95], v[96:97], 1.0
	v_fma_f64 v[96:97], v[96:97], v[98:99], v[96:97]
	v_div_scale_f64 v[98:99], vcc, v[117:118], v[119:120], v[117:118]
	v_fma_f64 v[100:101], -v[94:95], v[96:97], 1.0
	v_fma_f64 v[96:97], v[96:97], v[100:101], v[96:97]
	v_mul_f64 v[100:101], v[98:99], v[96:97]
	v_fma_f64 v[94:95], -v[94:95], v[100:101], v[98:99]
	v_div_fmas_f64 v[94:95], v[94:95], v[96:97], v[100:101]
	v_div_fixup_f64 v[94:95], v[94:95], v[119:120], v[117:118]
	v_fma_f64 v[96:97], v[117:118], v[94:95], v[119:120]
	v_div_scale_f64 v[98:99], s[20:21], v[96:97], v[96:97], 1.0
	v_div_scale_f64 v[104:105], vcc, 1.0, v[96:97], 1.0
	v_rcp_f64_e32 v[100:101], v[98:99]
	v_fma_f64 v[102:103], -v[98:99], v[100:101], 1.0
	v_fma_f64 v[100:101], v[100:101], v[102:103], v[100:101]
	v_fma_f64 v[102:103], -v[98:99], v[100:101], 1.0
	v_fma_f64 v[100:101], v[100:101], v[102:103], v[100:101]
	v_mul_f64 v[102:103], v[104:105], v[100:101]
	v_fma_f64 v[98:99], -v[98:99], v[102:103], v[104:105]
	v_div_fmas_f64 v[98:99], v[98:99], v[100:101], v[102:103]
	v_div_fixup_f64 v[119:120], v[98:99], v[96:97], 1.0
	v_mul_f64 v[117:118], v[94:95], v[119:120]
	v_xor_b32_e32 v120, 0x80000000, v120
.LBB98_931:
	s_andn2_saveexec_b64 s[18:19], s[18:19]
	s_cbranch_execz .LBB98_933
; %bb.932:
	v_div_scale_f64 v[94:95], s[20:21], v[117:118], v[117:118], v[119:120]
	v_rcp_f64_e32 v[96:97], v[94:95]
	v_fma_f64 v[98:99], -v[94:95], v[96:97], 1.0
	v_fma_f64 v[96:97], v[96:97], v[98:99], v[96:97]
	v_div_scale_f64 v[98:99], vcc, v[119:120], v[117:118], v[119:120]
	v_fma_f64 v[100:101], -v[94:95], v[96:97], 1.0
	v_fma_f64 v[96:97], v[96:97], v[100:101], v[96:97]
	v_mul_f64 v[100:101], v[98:99], v[96:97]
	v_fma_f64 v[94:95], -v[94:95], v[100:101], v[98:99]
	v_div_fmas_f64 v[94:95], v[94:95], v[96:97], v[100:101]
	v_div_fixup_f64 v[94:95], v[94:95], v[117:118], v[119:120]
	v_fma_f64 v[96:97], v[119:120], v[94:95], v[117:118]
	v_div_scale_f64 v[98:99], s[20:21], v[96:97], v[96:97], 1.0
	v_div_scale_f64 v[104:105], vcc, 1.0, v[96:97], 1.0
	v_rcp_f64_e32 v[100:101], v[98:99]
	v_fma_f64 v[102:103], -v[98:99], v[100:101], 1.0
	v_fma_f64 v[100:101], v[100:101], v[102:103], v[100:101]
	v_fma_f64 v[102:103], -v[98:99], v[100:101], 1.0
	v_fma_f64 v[100:101], v[100:101], v[102:103], v[100:101]
	v_mul_f64 v[102:103], v[104:105], v[100:101]
	v_fma_f64 v[98:99], -v[98:99], v[102:103], v[104:105]
	v_div_fmas_f64 v[98:99], v[98:99], v[100:101], v[102:103]
	v_div_fixup_f64 v[117:118], v[98:99], v[96:97], 1.0
	v_mul_f64 v[119:120], v[94:95], -v[117:118]
.LBB98_933:
	s_or_b64 exec, exec, s[18:19]
.LBB98_934:
	s_or_b64 exec, exec, s[0:1]
	v_cmp_ne_u32_e32 vcc, v92, v93
	s_and_saveexec_b64 s[0:1], vcc
	s_xor_b64 s[0:1], exec, s[0:1]
	s_cbranch_execz .LBB98_940
; %bb.935:
	v_cmp_eq_u32_e32 vcc, 44, v92
	s_and_saveexec_b64 s[18:19], vcc
	s_cbranch_execz .LBB98_939
; %bb.936:
	v_cmp_ne_u32_e32 vcc, 44, v93
	s_xor_b64 s[20:21], s[6:7], -1
	s_and_b64 s[22:23], s[20:21], vcc
	s_and_saveexec_b64 s[20:21], s[22:23]
	s_cbranch_execz .LBB98_938
; %bb.937:
	buffer_load_dword v81, off, s[24:27], 0 offset:368 ; 4-byte Folded Reload
	buffer_load_dword v82, off, s[24:27], 0 offset:372 ; 4-byte Folded Reload
	v_ashrrev_i32_e32 v94, 31, v93
	v_lshlrev_b64 v[94:95], 2, v[93:94]
	s_waitcnt vmcnt(1)
	v_add_co_u32_e32 v94, vcc, v81, v94
	s_waitcnt vmcnt(0)
	v_addc_co_u32_e32 v95, vcc, v82, v95, vcc
	global_load_dword v0, v[94:95], off
	global_load_dword v92, v[81:82], off offset:176
	s_waitcnt vmcnt(1)
	global_store_dword v[81:82], v0, off offset:176
	s_waitcnt vmcnt(1)
	global_store_dword v[94:95], v92, off
.LBB98_938:
	s_or_b64 exec, exec, s[20:21]
	v_mov_b32_e32 v92, v93
	v_mov_b32_e32 v0, v93
.LBB98_939:
	s_or_b64 exec, exec, s[18:19]
.LBB98_940:
	s_andn2_saveexec_b64 s[0:1], s[0:1]
	s_cbranch_execz .LBB98_942
; %bb.941:
	v_mov_b32_e32 v92, 44
	ds_write2_b64 v90, v[13:14], v[15:16] offset0:90 offset1:91
	ds_write2_b64 v90, v[9:10], v[11:12] offset0:92 offset1:93
	ds_write2_b64 v90, v[5:6], v[7:8] offset0:94 offset1:95
	ds_write2_b64 v90, v[1:2], v[3:4] offset0:96 offset1:97
	ds_write2_b64 v90, v[121:122], v[123:124] offset0:98 offset1:99
.LBB98_942:
	s_or_b64 exec, exec, s[0:1]
	v_cmp_lt_i32_e32 vcc, 44, v92
	s_waitcnt vmcnt(0) lgkmcnt(0)
	s_barrier
	s_and_saveexec_b64 s[0:1], vcc
	s_cbranch_execz .LBB98_944
; %bb.943:
	v_mul_f64 v[93:94], v[117:118], v[19:20]
	v_mul_f64 v[19:20], v[119:120], v[19:20]
	v_fma_f64 v[97:98], v[119:120], v[17:18], v[93:94]
	ds_read2_b64 v[93:96], v90 offset0:90 offset1:91
	v_fma_f64 v[17:18], v[117:118], v[17:18], -v[19:20]
	s_waitcnt lgkmcnt(0)
	v_mul_f64 v[19:20], v[95:96], v[97:98]
	v_fma_f64 v[19:20], v[93:94], v[17:18], -v[19:20]
	v_mul_f64 v[93:94], v[93:94], v[97:98]
	v_add_f64 v[13:14], v[13:14], -v[19:20]
	v_fma_f64 v[93:94], v[95:96], v[17:18], v[93:94]
	v_add_f64 v[15:16], v[15:16], -v[93:94]
	ds_read2_b64 v[93:96], v90 offset0:92 offset1:93
	s_waitcnt lgkmcnt(0)
	v_mul_f64 v[19:20], v[95:96], v[97:98]
	v_fma_f64 v[19:20], v[93:94], v[17:18], -v[19:20]
	v_mul_f64 v[93:94], v[93:94], v[97:98]
	v_add_f64 v[9:10], v[9:10], -v[19:20]
	v_fma_f64 v[93:94], v[95:96], v[17:18], v[93:94]
	v_add_f64 v[11:12], v[11:12], -v[93:94]
	ds_read2_b64 v[93:96], v90 offset0:94 offset1:95
	;; [unrolled: 8-line block ×4, first 2 shown]
	s_waitcnt lgkmcnt(0)
	v_mul_f64 v[19:20], v[95:96], v[97:98]
	v_fma_f64 v[19:20], v[93:94], v[17:18], -v[19:20]
	v_mul_f64 v[93:94], v[93:94], v[97:98]
	v_add_f64 v[121:122], v[121:122], -v[19:20]
	v_fma_f64 v[93:94], v[95:96], v[17:18], v[93:94]
	v_mov_b32_e32 v19, v97
	v_mov_b32_e32 v20, v98
	v_add_f64 v[123:124], v[123:124], -v[93:94]
.LBB98_944:
	s_or_b64 exec, exec, s[0:1]
	v_lshl_add_u32 v93, v92, 4, v90
	s_barrier
	ds_write2_b64 v93, v[13:14], v[15:16] offset1:1
	s_waitcnt lgkmcnt(0)
	s_barrier
	ds_read2_b64 v[117:120], v90 offset0:90 offset1:91
	s_cmp_lt_i32 s3, 47
	v_mov_b32_e32 v93, 45
	s_cbranch_scc1 .LBB98_947
; %bb.945:
	v_add_u32_e32 v94, 0x2e0, v90
	s_mov_b32 s0, 46
	v_mov_b32_e32 v93, 45
.LBB98_946:                             ; =>This Inner Loop Header: Depth=1
	s_waitcnt lgkmcnt(0)
	v_cmp_gt_f64_e32 vcc, 0, v[117:118]
	v_xor_b32_e32 v99, 0x80000000, v118
	ds_read2_b64 v[95:98], v94 offset1:1
	v_xor_b32_e32 v101, 0x80000000, v120
	v_add_u32_e32 v94, 16, v94
	s_waitcnt lgkmcnt(0)
	v_xor_b32_e32 v103, 0x80000000, v98
	v_cndmask_b32_e32 v100, v118, v99, vcc
	v_cmp_gt_f64_e32 vcc, 0, v[119:120]
	v_mov_b32_e32 v99, v117
	v_cndmask_b32_e32 v102, v120, v101, vcc
	v_cmp_gt_f64_e32 vcc, 0, v[95:96]
	v_mov_b32_e32 v101, v119
	v_add_f64 v[99:100], v[99:100], v[101:102]
	v_xor_b32_e32 v101, 0x80000000, v96
	v_cndmask_b32_e32 v102, v96, v101, vcc
	v_cmp_gt_f64_e32 vcc, 0, v[97:98]
	v_mov_b32_e32 v101, v95
	v_cndmask_b32_e32 v104, v98, v103, vcc
	v_mov_b32_e32 v103, v97
	v_add_f64 v[101:102], v[101:102], v[103:104]
	v_cmp_lt_f64_e32 vcc, v[99:100], v[101:102]
	v_cndmask_b32_e32 v117, v117, v95, vcc
	v_mov_b32_e32 v95, s0
	s_add_i32 s0, s0, 1
	v_cndmask_b32_e32 v118, v118, v96, vcc
	v_cndmask_b32_e32 v120, v120, v98, vcc
	;; [unrolled: 1-line block ×4, first 2 shown]
	s_cmp_lg_u32 s3, s0
	s_cbranch_scc1 .LBB98_946
.LBB98_947:
	s_waitcnt lgkmcnt(0)
	v_cmp_eq_f64_e32 vcc, 0, v[117:118]
	v_cmp_eq_f64_e64 s[0:1], 0, v[119:120]
	s_and_b64 s[0:1], vcc, s[0:1]
	s_and_saveexec_b64 s[18:19], s[0:1]
	s_xor_b64 s[0:1], exec, s[18:19]
; %bb.948:
	v_cmp_ne_u32_e32 vcc, 0, v91
	v_cndmask_b32_e32 v91, 46, v91, vcc
; %bb.949:
	s_andn2_saveexec_b64 s[0:1], s[0:1]
	s_cbranch_execz .LBB98_955
; %bb.950:
	v_cmp_ngt_f64_e64 s[18:19], |v[117:118]|, |v[119:120]|
	s_and_saveexec_b64 s[20:21], s[18:19]
	s_xor_b64 s[18:19], exec, s[20:21]
	s_cbranch_execz .LBB98_952
; %bb.951:
	v_div_scale_f64 v[94:95], s[20:21], v[119:120], v[119:120], v[117:118]
	v_rcp_f64_e32 v[96:97], v[94:95]
	v_fma_f64 v[98:99], -v[94:95], v[96:97], 1.0
	v_fma_f64 v[96:97], v[96:97], v[98:99], v[96:97]
	v_div_scale_f64 v[98:99], vcc, v[117:118], v[119:120], v[117:118]
	v_fma_f64 v[100:101], -v[94:95], v[96:97], 1.0
	v_fma_f64 v[96:97], v[96:97], v[100:101], v[96:97]
	v_mul_f64 v[100:101], v[98:99], v[96:97]
	v_fma_f64 v[94:95], -v[94:95], v[100:101], v[98:99]
	v_div_fmas_f64 v[94:95], v[94:95], v[96:97], v[100:101]
	v_div_fixup_f64 v[94:95], v[94:95], v[119:120], v[117:118]
	v_fma_f64 v[96:97], v[117:118], v[94:95], v[119:120]
	v_div_scale_f64 v[98:99], s[20:21], v[96:97], v[96:97], 1.0
	v_div_scale_f64 v[104:105], vcc, 1.0, v[96:97], 1.0
	v_rcp_f64_e32 v[100:101], v[98:99]
	v_fma_f64 v[102:103], -v[98:99], v[100:101], 1.0
	v_fma_f64 v[100:101], v[100:101], v[102:103], v[100:101]
	v_fma_f64 v[102:103], -v[98:99], v[100:101], 1.0
	v_fma_f64 v[100:101], v[100:101], v[102:103], v[100:101]
	v_mul_f64 v[102:103], v[104:105], v[100:101]
	v_fma_f64 v[98:99], -v[98:99], v[102:103], v[104:105]
	v_div_fmas_f64 v[98:99], v[98:99], v[100:101], v[102:103]
	v_div_fixup_f64 v[119:120], v[98:99], v[96:97], 1.0
	v_mul_f64 v[117:118], v[94:95], v[119:120]
	v_xor_b32_e32 v120, 0x80000000, v120
.LBB98_952:
	s_andn2_saveexec_b64 s[18:19], s[18:19]
	s_cbranch_execz .LBB98_954
; %bb.953:
	v_div_scale_f64 v[94:95], s[20:21], v[117:118], v[117:118], v[119:120]
	v_rcp_f64_e32 v[96:97], v[94:95]
	v_fma_f64 v[98:99], -v[94:95], v[96:97], 1.0
	v_fma_f64 v[96:97], v[96:97], v[98:99], v[96:97]
	v_div_scale_f64 v[98:99], vcc, v[119:120], v[117:118], v[119:120]
	v_fma_f64 v[100:101], -v[94:95], v[96:97], 1.0
	v_fma_f64 v[96:97], v[96:97], v[100:101], v[96:97]
	v_mul_f64 v[100:101], v[98:99], v[96:97]
	v_fma_f64 v[94:95], -v[94:95], v[100:101], v[98:99]
	v_div_fmas_f64 v[94:95], v[94:95], v[96:97], v[100:101]
	v_div_fixup_f64 v[94:95], v[94:95], v[117:118], v[119:120]
	v_fma_f64 v[96:97], v[119:120], v[94:95], v[117:118]
	v_div_scale_f64 v[98:99], s[20:21], v[96:97], v[96:97], 1.0
	v_div_scale_f64 v[104:105], vcc, 1.0, v[96:97], 1.0
	v_rcp_f64_e32 v[100:101], v[98:99]
	v_fma_f64 v[102:103], -v[98:99], v[100:101], 1.0
	v_fma_f64 v[100:101], v[100:101], v[102:103], v[100:101]
	v_fma_f64 v[102:103], -v[98:99], v[100:101], 1.0
	v_fma_f64 v[100:101], v[100:101], v[102:103], v[100:101]
	v_mul_f64 v[102:103], v[104:105], v[100:101]
	v_fma_f64 v[98:99], -v[98:99], v[102:103], v[104:105]
	v_div_fmas_f64 v[98:99], v[98:99], v[100:101], v[102:103]
	v_div_fixup_f64 v[117:118], v[98:99], v[96:97], 1.0
	v_mul_f64 v[119:120], v[94:95], -v[117:118]
.LBB98_954:
	s_or_b64 exec, exec, s[18:19]
.LBB98_955:
	s_or_b64 exec, exec, s[0:1]
	v_cmp_ne_u32_e32 vcc, v92, v93
	s_and_saveexec_b64 s[0:1], vcc
	s_xor_b64 s[0:1], exec, s[0:1]
	s_cbranch_execz .LBB98_961
; %bb.956:
	v_cmp_eq_u32_e32 vcc, 45, v92
	s_and_saveexec_b64 s[18:19], vcc
	s_cbranch_execz .LBB98_960
; %bb.957:
	v_cmp_ne_u32_e32 vcc, 45, v93
	s_xor_b64 s[20:21], s[6:7], -1
	s_and_b64 s[22:23], s[20:21], vcc
	s_and_saveexec_b64 s[20:21], s[22:23]
	s_cbranch_execz .LBB98_959
; %bb.958:
	buffer_load_dword v81, off, s[24:27], 0 offset:368 ; 4-byte Folded Reload
	buffer_load_dword v82, off, s[24:27], 0 offset:372 ; 4-byte Folded Reload
	v_ashrrev_i32_e32 v94, 31, v93
	v_lshlrev_b64 v[94:95], 2, v[93:94]
	s_waitcnt vmcnt(1)
	v_add_co_u32_e32 v94, vcc, v81, v94
	s_waitcnt vmcnt(0)
	v_addc_co_u32_e32 v95, vcc, v82, v95, vcc
	global_load_dword v0, v[94:95], off
	global_load_dword v92, v[81:82], off offset:180
	s_waitcnt vmcnt(1)
	global_store_dword v[81:82], v0, off offset:180
	s_waitcnt vmcnt(1)
	global_store_dword v[94:95], v92, off
.LBB98_959:
	s_or_b64 exec, exec, s[20:21]
	v_mov_b32_e32 v92, v93
	v_mov_b32_e32 v0, v93
.LBB98_960:
	s_or_b64 exec, exec, s[18:19]
.LBB98_961:
	s_andn2_saveexec_b64 s[0:1], s[0:1]
	s_cbranch_execz .LBB98_963
; %bb.962:
	v_mov_b32_e32 v92, 45
	ds_write2_b64 v90, v[9:10], v[11:12] offset0:92 offset1:93
	ds_write2_b64 v90, v[5:6], v[7:8] offset0:94 offset1:95
	;; [unrolled: 1-line block ×4, first 2 shown]
.LBB98_963:
	s_or_b64 exec, exec, s[0:1]
	v_cmp_lt_i32_e32 vcc, 45, v92
	s_waitcnt vmcnt(0) lgkmcnt(0)
	s_barrier
	s_and_saveexec_b64 s[0:1], vcc
	s_cbranch_execz .LBB98_965
; %bb.964:
	v_mul_f64 v[93:94], v[117:118], v[15:16]
	v_mul_f64 v[15:16], v[119:120], v[15:16]
	v_fma_f64 v[97:98], v[119:120], v[13:14], v[93:94]
	ds_read2_b64 v[93:96], v90 offset0:92 offset1:93
	v_fma_f64 v[13:14], v[117:118], v[13:14], -v[15:16]
	s_waitcnt lgkmcnt(0)
	v_mul_f64 v[15:16], v[95:96], v[97:98]
	v_fma_f64 v[15:16], v[93:94], v[13:14], -v[15:16]
	v_mul_f64 v[93:94], v[93:94], v[97:98]
	v_add_f64 v[9:10], v[9:10], -v[15:16]
	v_fma_f64 v[93:94], v[95:96], v[13:14], v[93:94]
	v_add_f64 v[11:12], v[11:12], -v[93:94]
	ds_read2_b64 v[93:96], v90 offset0:94 offset1:95
	s_waitcnt lgkmcnt(0)
	v_mul_f64 v[15:16], v[95:96], v[97:98]
	v_fma_f64 v[15:16], v[93:94], v[13:14], -v[15:16]
	v_mul_f64 v[93:94], v[93:94], v[97:98]
	v_add_f64 v[5:6], v[5:6], -v[15:16]
	v_fma_f64 v[93:94], v[95:96], v[13:14], v[93:94]
	v_add_f64 v[7:8], v[7:8], -v[93:94]
	ds_read2_b64 v[93:96], v90 offset0:96 offset1:97
	;; [unrolled: 8-line block ×3, first 2 shown]
	s_waitcnt lgkmcnt(0)
	v_mul_f64 v[15:16], v[95:96], v[97:98]
	v_fma_f64 v[15:16], v[93:94], v[13:14], -v[15:16]
	v_mul_f64 v[93:94], v[93:94], v[97:98]
	v_add_f64 v[121:122], v[121:122], -v[15:16]
	v_fma_f64 v[93:94], v[95:96], v[13:14], v[93:94]
	v_mov_b32_e32 v15, v97
	v_mov_b32_e32 v16, v98
	v_add_f64 v[123:124], v[123:124], -v[93:94]
.LBB98_965:
	s_or_b64 exec, exec, s[0:1]
	v_lshl_add_u32 v93, v92, 4, v90
	s_barrier
	ds_write2_b64 v93, v[9:10], v[11:12] offset1:1
	s_waitcnt lgkmcnt(0)
	s_barrier
	ds_read2_b64 v[117:120], v90 offset0:92 offset1:93
	s_cmp_lt_i32 s3, 48
	v_mov_b32_e32 v93, 46
	s_cbranch_scc1 .LBB98_968
; %bb.966:
	v_add_u32_e32 v94, 0x2f0, v90
	s_mov_b32 s0, 47
	v_mov_b32_e32 v93, 46
.LBB98_967:                             ; =>This Inner Loop Header: Depth=1
	s_waitcnt lgkmcnt(0)
	v_cmp_gt_f64_e32 vcc, 0, v[117:118]
	v_xor_b32_e32 v99, 0x80000000, v118
	ds_read2_b64 v[95:98], v94 offset1:1
	v_xor_b32_e32 v101, 0x80000000, v120
	v_add_u32_e32 v94, 16, v94
	s_waitcnt lgkmcnt(0)
	v_xor_b32_e32 v103, 0x80000000, v98
	v_cndmask_b32_e32 v100, v118, v99, vcc
	v_cmp_gt_f64_e32 vcc, 0, v[119:120]
	v_mov_b32_e32 v99, v117
	v_cndmask_b32_e32 v102, v120, v101, vcc
	v_cmp_gt_f64_e32 vcc, 0, v[95:96]
	v_mov_b32_e32 v101, v119
	v_add_f64 v[99:100], v[99:100], v[101:102]
	v_xor_b32_e32 v101, 0x80000000, v96
	v_cndmask_b32_e32 v102, v96, v101, vcc
	v_cmp_gt_f64_e32 vcc, 0, v[97:98]
	v_mov_b32_e32 v101, v95
	v_cndmask_b32_e32 v104, v98, v103, vcc
	v_mov_b32_e32 v103, v97
	v_add_f64 v[101:102], v[101:102], v[103:104]
	v_cmp_lt_f64_e32 vcc, v[99:100], v[101:102]
	v_cndmask_b32_e32 v117, v117, v95, vcc
	v_mov_b32_e32 v95, s0
	s_add_i32 s0, s0, 1
	v_cndmask_b32_e32 v118, v118, v96, vcc
	v_cndmask_b32_e32 v120, v120, v98, vcc
	;; [unrolled: 1-line block ×4, first 2 shown]
	s_cmp_lg_u32 s3, s0
	s_cbranch_scc1 .LBB98_967
.LBB98_968:
	s_waitcnt lgkmcnt(0)
	v_cmp_eq_f64_e32 vcc, 0, v[117:118]
	v_cmp_eq_f64_e64 s[0:1], 0, v[119:120]
	s_and_b64 s[0:1], vcc, s[0:1]
	s_and_saveexec_b64 s[18:19], s[0:1]
	s_xor_b64 s[0:1], exec, s[18:19]
; %bb.969:
	v_cmp_ne_u32_e32 vcc, 0, v91
	v_cndmask_b32_e32 v91, 47, v91, vcc
; %bb.970:
	s_andn2_saveexec_b64 s[0:1], s[0:1]
	s_cbranch_execz .LBB98_976
; %bb.971:
	v_cmp_ngt_f64_e64 s[18:19], |v[117:118]|, |v[119:120]|
	s_and_saveexec_b64 s[20:21], s[18:19]
	s_xor_b64 s[18:19], exec, s[20:21]
	s_cbranch_execz .LBB98_973
; %bb.972:
	v_div_scale_f64 v[94:95], s[20:21], v[119:120], v[119:120], v[117:118]
	v_rcp_f64_e32 v[96:97], v[94:95]
	v_fma_f64 v[98:99], -v[94:95], v[96:97], 1.0
	v_fma_f64 v[96:97], v[96:97], v[98:99], v[96:97]
	v_div_scale_f64 v[98:99], vcc, v[117:118], v[119:120], v[117:118]
	v_fma_f64 v[100:101], -v[94:95], v[96:97], 1.0
	v_fma_f64 v[96:97], v[96:97], v[100:101], v[96:97]
	v_mul_f64 v[100:101], v[98:99], v[96:97]
	v_fma_f64 v[94:95], -v[94:95], v[100:101], v[98:99]
	v_div_fmas_f64 v[94:95], v[94:95], v[96:97], v[100:101]
	v_div_fixup_f64 v[94:95], v[94:95], v[119:120], v[117:118]
	v_fma_f64 v[96:97], v[117:118], v[94:95], v[119:120]
	v_div_scale_f64 v[98:99], s[20:21], v[96:97], v[96:97], 1.0
	v_div_scale_f64 v[104:105], vcc, 1.0, v[96:97], 1.0
	v_rcp_f64_e32 v[100:101], v[98:99]
	v_fma_f64 v[102:103], -v[98:99], v[100:101], 1.0
	v_fma_f64 v[100:101], v[100:101], v[102:103], v[100:101]
	v_fma_f64 v[102:103], -v[98:99], v[100:101], 1.0
	v_fma_f64 v[100:101], v[100:101], v[102:103], v[100:101]
	v_mul_f64 v[102:103], v[104:105], v[100:101]
	v_fma_f64 v[98:99], -v[98:99], v[102:103], v[104:105]
	v_div_fmas_f64 v[98:99], v[98:99], v[100:101], v[102:103]
	v_div_fixup_f64 v[119:120], v[98:99], v[96:97], 1.0
	v_mul_f64 v[117:118], v[94:95], v[119:120]
	v_xor_b32_e32 v120, 0x80000000, v120
.LBB98_973:
	s_andn2_saveexec_b64 s[18:19], s[18:19]
	s_cbranch_execz .LBB98_975
; %bb.974:
	v_div_scale_f64 v[94:95], s[20:21], v[117:118], v[117:118], v[119:120]
	v_rcp_f64_e32 v[96:97], v[94:95]
	v_fma_f64 v[98:99], -v[94:95], v[96:97], 1.0
	v_fma_f64 v[96:97], v[96:97], v[98:99], v[96:97]
	v_div_scale_f64 v[98:99], vcc, v[119:120], v[117:118], v[119:120]
	v_fma_f64 v[100:101], -v[94:95], v[96:97], 1.0
	v_fma_f64 v[96:97], v[96:97], v[100:101], v[96:97]
	v_mul_f64 v[100:101], v[98:99], v[96:97]
	v_fma_f64 v[94:95], -v[94:95], v[100:101], v[98:99]
	v_div_fmas_f64 v[94:95], v[94:95], v[96:97], v[100:101]
	v_div_fixup_f64 v[94:95], v[94:95], v[117:118], v[119:120]
	v_fma_f64 v[96:97], v[119:120], v[94:95], v[117:118]
	v_div_scale_f64 v[98:99], s[20:21], v[96:97], v[96:97], 1.0
	v_div_scale_f64 v[104:105], vcc, 1.0, v[96:97], 1.0
	v_rcp_f64_e32 v[100:101], v[98:99]
	v_fma_f64 v[102:103], -v[98:99], v[100:101], 1.0
	v_fma_f64 v[100:101], v[100:101], v[102:103], v[100:101]
	v_fma_f64 v[102:103], -v[98:99], v[100:101], 1.0
	v_fma_f64 v[100:101], v[100:101], v[102:103], v[100:101]
	v_mul_f64 v[102:103], v[104:105], v[100:101]
	v_fma_f64 v[98:99], -v[98:99], v[102:103], v[104:105]
	v_div_fmas_f64 v[98:99], v[98:99], v[100:101], v[102:103]
	v_div_fixup_f64 v[117:118], v[98:99], v[96:97], 1.0
	v_mul_f64 v[119:120], v[94:95], -v[117:118]
.LBB98_975:
	s_or_b64 exec, exec, s[18:19]
.LBB98_976:
	s_or_b64 exec, exec, s[0:1]
	v_cmp_ne_u32_e32 vcc, v92, v93
	s_and_saveexec_b64 s[0:1], vcc
	s_xor_b64 s[0:1], exec, s[0:1]
	s_cbranch_execz .LBB98_982
; %bb.977:
	v_cmp_eq_u32_e32 vcc, 46, v92
	s_and_saveexec_b64 s[18:19], vcc
	s_cbranch_execz .LBB98_981
; %bb.978:
	v_cmp_ne_u32_e32 vcc, 46, v93
	s_xor_b64 s[20:21], s[6:7], -1
	s_and_b64 s[22:23], s[20:21], vcc
	s_and_saveexec_b64 s[20:21], s[22:23]
	s_cbranch_execz .LBB98_980
; %bb.979:
	buffer_load_dword v81, off, s[24:27], 0 offset:368 ; 4-byte Folded Reload
	buffer_load_dword v82, off, s[24:27], 0 offset:372 ; 4-byte Folded Reload
	v_ashrrev_i32_e32 v94, 31, v93
	v_lshlrev_b64 v[94:95], 2, v[93:94]
	s_waitcnt vmcnt(1)
	v_add_co_u32_e32 v94, vcc, v81, v94
	s_waitcnt vmcnt(0)
	v_addc_co_u32_e32 v95, vcc, v82, v95, vcc
	global_load_dword v0, v[94:95], off
	global_load_dword v92, v[81:82], off offset:184
	s_waitcnt vmcnt(1)
	global_store_dword v[81:82], v0, off offset:184
	s_waitcnt vmcnt(1)
	global_store_dword v[94:95], v92, off
.LBB98_980:
	s_or_b64 exec, exec, s[20:21]
	v_mov_b32_e32 v92, v93
	v_mov_b32_e32 v0, v93
.LBB98_981:
	s_or_b64 exec, exec, s[18:19]
.LBB98_982:
	s_andn2_saveexec_b64 s[0:1], s[0:1]
	s_cbranch_execz .LBB98_984
; %bb.983:
	v_mov_b32_e32 v92, 46
	ds_write2_b64 v90, v[5:6], v[7:8] offset0:94 offset1:95
	ds_write2_b64 v90, v[1:2], v[3:4] offset0:96 offset1:97
	ds_write2_b64 v90, v[121:122], v[123:124] offset0:98 offset1:99
.LBB98_984:
	s_or_b64 exec, exec, s[0:1]
	v_cmp_lt_i32_e32 vcc, 46, v92
	s_waitcnt vmcnt(0) lgkmcnt(0)
	s_barrier
	s_and_saveexec_b64 s[0:1], vcc
	s_cbranch_execz .LBB98_986
; %bb.985:
	v_mul_f64 v[93:94], v[117:118], v[11:12]
	v_mul_f64 v[11:12], v[119:120], v[11:12]
	v_fma_f64 v[97:98], v[119:120], v[9:10], v[93:94]
	ds_read2_b64 v[93:96], v90 offset0:94 offset1:95
	v_fma_f64 v[9:10], v[117:118], v[9:10], -v[11:12]
	s_waitcnt lgkmcnt(0)
	v_mul_f64 v[11:12], v[95:96], v[97:98]
	v_fma_f64 v[11:12], v[93:94], v[9:10], -v[11:12]
	v_mul_f64 v[93:94], v[93:94], v[97:98]
	v_add_f64 v[5:6], v[5:6], -v[11:12]
	v_fma_f64 v[93:94], v[95:96], v[9:10], v[93:94]
	v_add_f64 v[7:8], v[7:8], -v[93:94]
	ds_read2_b64 v[93:96], v90 offset0:96 offset1:97
	s_waitcnt lgkmcnt(0)
	v_mul_f64 v[11:12], v[95:96], v[97:98]
	v_fma_f64 v[11:12], v[93:94], v[9:10], -v[11:12]
	v_mul_f64 v[93:94], v[93:94], v[97:98]
	v_add_f64 v[1:2], v[1:2], -v[11:12]
	v_fma_f64 v[93:94], v[95:96], v[9:10], v[93:94]
	v_add_f64 v[3:4], v[3:4], -v[93:94]
	ds_read2_b64 v[93:96], v90 offset0:98 offset1:99
	s_waitcnt lgkmcnt(0)
	v_mul_f64 v[11:12], v[95:96], v[97:98]
	v_fma_f64 v[11:12], v[93:94], v[9:10], -v[11:12]
	v_mul_f64 v[93:94], v[93:94], v[97:98]
	v_add_f64 v[121:122], v[121:122], -v[11:12]
	v_fma_f64 v[93:94], v[95:96], v[9:10], v[93:94]
	v_mov_b32_e32 v11, v97
	v_mov_b32_e32 v12, v98
	v_add_f64 v[123:124], v[123:124], -v[93:94]
.LBB98_986:
	s_or_b64 exec, exec, s[0:1]
	v_lshl_add_u32 v93, v92, 4, v90
	s_barrier
	ds_write2_b64 v93, v[5:6], v[7:8] offset1:1
	s_waitcnt lgkmcnt(0)
	s_barrier
	ds_read2_b64 v[117:120], v90 offset0:94 offset1:95
	s_cmp_lt_i32 s3, 49
	v_mov_b32_e32 v93, 47
	s_cbranch_scc1 .LBB98_989
; %bb.987:
	v_add_u32_e32 v94, 0x300, v90
	s_mov_b32 s0, 48
	v_mov_b32_e32 v93, 47
.LBB98_988:                             ; =>This Inner Loop Header: Depth=1
	s_waitcnt lgkmcnt(0)
	v_cmp_gt_f64_e32 vcc, 0, v[117:118]
	v_xor_b32_e32 v99, 0x80000000, v118
	ds_read2_b64 v[95:98], v94 offset1:1
	v_xor_b32_e32 v101, 0x80000000, v120
	v_add_u32_e32 v94, 16, v94
	s_waitcnt lgkmcnt(0)
	v_xor_b32_e32 v103, 0x80000000, v98
	v_cndmask_b32_e32 v100, v118, v99, vcc
	v_cmp_gt_f64_e32 vcc, 0, v[119:120]
	v_mov_b32_e32 v99, v117
	v_cndmask_b32_e32 v102, v120, v101, vcc
	v_cmp_gt_f64_e32 vcc, 0, v[95:96]
	v_mov_b32_e32 v101, v119
	v_add_f64 v[99:100], v[99:100], v[101:102]
	v_xor_b32_e32 v101, 0x80000000, v96
	v_cndmask_b32_e32 v102, v96, v101, vcc
	v_cmp_gt_f64_e32 vcc, 0, v[97:98]
	v_mov_b32_e32 v101, v95
	v_cndmask_b32_e32 v104, v98, v103, vcc
	v_mov_b32_e32 v103, v97
	v_add_f64 v[101:102], v[101:102], v[103:104]
	v_cmp_lt_f64_e32 vcc, v[99:100], v[101:102]
	v_cndmask_b32_e32 v117, v117, v95, vcc
	v_mov_b32_e32 v95, s0
	s_add_i32 s0, s0, 1
	v_cndmask_b32_e32 v118, v118, v96, vcc
	v_cndmask_b32_e32 v120, v120, v98, vcc
	;; [unrolled: 1-line block ×4, first 2 shown]
	s_cmp_lg_u32 s3, s0
	s_cbranch_scc1 .LBB98_988
.LBB98_989:
	s_waitcnt lgkmcnt(0)
	v_cmp_eq_f64_e32 vcc, 0, v[117:118]
	v_cmp_eq_f64_e64 s[0:1], 0, v[119:120]
	s_and_b64 s[0:1], vcc, s[0:1]
	s_and_saveexec_b64 s[18:19], s[0:1]
	s_xor_b64 s[0:1], exec, s[18:19]
; %bb.990:
	v_cmp_ne_u32_e32 vcc, 0, v91
	v_cndmask_b32_e32 v91, 48, v91, vcc
; %bb.991:
	s_andn2_saveexec_b64 s[0:1], s[0:1]
	s_cbranch_execz .LBB98_997
; %bb.992:
	v_cmp_ngt_f64_e64 s[18:19], |v[117:118]|, |v[119:120]|
	s_and_saveexec_b64 s[20:21], s[18:19]
	s_xor_b64 s[18:19], exec, s[20:21]
	s_cbranch_execz .LBB98_994
; %bb.993:
	v_div_scale_f64 v[94:95], s[20:21], v[119:120], v[119:120], v[117:118]
	v_rcp_f64_e32 v[96:97], v[94:95]
	v_fma_f64 v[98:99], -v[94:95], v[96:97], 1.0
	v_fma_f64 v[96:97], v[96:97], v[98:99], v[96:97]
	v_div_scale_f64 v[98:99], vcc, v[117:118], v[119:120], v[117:118]
	v_fma_f64 v[100:101], -v[94:95], v[96:97], 1.0
	v_fma_f64 v[96:97], v[96:97], v[100:101], v[96:97]
	v_mul_f64 v[100:101], v[98:99], v[96:97]
	v_fma_f64 v[94:95], -v[94:95], v[100:101], v[98:99]
	v_div_fmas_f64 v[94:95], v[94:95], v[96:97], v[100:101]
	v_div_fixup_f64 v[94:95], v[94:95], v[119:120], v[117:118]
	v_fma_f64 v[96:97], v[117:118], v[94:95], v[119:120]
	v_div_scale_f64 v[98:99], s[20:21], v[96:97], v[96:97], 1.0
	v_div_scale_f64 v[104:105], vcc, 1.0, v[96:97], 1.0
	v_rcp_f64_e32 v[100:101], v[98:99]
	v_fma_f64 v[102:103], -v[98:99], v[100:101], 1.0
	v_fma_f64 v[100:101], v[100:101], v[102:103], v[100:101]
	v_fma_f64 v[102:103], -v[98:99], v[100:101], 1.0
	v_fma_f64 v[100:101], v[100:101], v[102:103], v[100:101]
	v_mul_f64 v[102:103], v[104:105], v[100:101]
	v_fma_f64 v[98:99], -v[98:99], v[102:103], v[104:105]
	v_div_fmas_f64 v[98:99], v[98:99], v[100:101], v[102:103]
	v_div_fixup_f64 v[119:120], v[98:99], v[96:97], 1.0
	v_mul_f64 v[117:118], v[94:95], v[119:120]
	v_xor_b32_e32 v120, 0x80000000, v120
.LBB98_994:
	s_andn2_saveexec_b64 s[18:19], s[18:19]
	s_cbranch_execz .LBB98_996
; %bb.995:
	v_div_scale_f64 v[94:95], s[20:21], v[117:118], v[117:118], v[119:120]
	v_rcp_f64_e32 v[96:97], v[94:95]
	v_fma_f64 v[98:99], -v[94:95], v[96:97], 1.0
	v_fma_f64 v[96:97], v[96:97], v[98:99], v[96:97]
	v_div_scale_f64 v[98:99], vcc, v[119:120], v[117:118], v[119:120]
	v_fma_f64 v[100:101], -v[94:95], v[96:97], 1.0
	v_fma_f64 v[96:97], v[96:97], v[100:101], v[96:97]
	v_mul_f64 v[100:101], v[98:99], v[96:97]
	v_fma_f64 v[94:95], -v[94:95], v[100:101], v[98:99]
	v_div_fmas_f64 v[94:95], v[94:95], v[96:97], v[100:101]
	v_div_fixup_f64 v[94:95], v[94:95], v[117:118], v[119:120]
	v_fma_f64 v[96:97], v[119:120], v[94:95], v[117:118]
	v_div_scale_f64 v[98:99], s[20:21], v[96:97], v[96:97], 1.0
	v_div_scale_f64 v[104:105], vcc, 1.0, v[96:97], 1.0
	v_rcp_f64_e32 v[100:101], v[98:99]
	v_fma_f64 v[102:103], -v[98:99], v[100:101], 1.0
	v_fma_f64 v[100:101], v[100:101], v[102:103], v[100:101]
	v_fma_f64 v[102:103], -v[98:99], v[100:101], 1.0
	v_fma_f64 v[100:101], v[100:101], v[102:103], v[100:101]
	v_mul_f64 v[102:103], v[104:105], v[100:101]
	v_fma_f64 v[98:99], -v[98:99], v[102:103], v[104:105]
	v_div_fmas_f64 v[98:99], v[98:99], v[100:101], v[102:103]
	v_div_fixup_f64 v[117:118], v[98:99], v[96:97], 1.0
	v_mul_f64 v[119:120], v[94:95], -v[117:118]
.LBB98_996:
	s_or_b64 exec, exec, s[18:19]
.LBB98_997:
	s_or_b64 exec, exec, s[0:1]
	v_cmp_ne_u32_e32 vcc, v92, v93
	s_and_saveexec_b64 s[0:1], vcc
	s_xor_b64 s[0:1], exec, s[0:1]
	s_cbranch_execz .LBB98_1003
; %bb.998:
	v_cmp_eq_u32_e32 vcc, 47, v92
	s_and_saveexec_b64 s[18:19], vcc
	s_cbranch_execz .LBB98_1002
; %bb.999:
	v_cmp_ne_u32_e32 vcc, 47, v93
	s_xor_b64 s[20:21], s[6:7], -1
	s_and_b64 s[22:23], s[20:21], vcc
	s_and_saveexec_b64 s[20:21], s[22:23]
	s_cbranch_execz .LBB98_1001
; %bb.1000:
	buffer_load_dword v81, off, s[24:27], 0 offset:368 ; 4-byte Folded Reload
	buffer_load_dword v82, off, s[24:27], 0 offset:372 ; 4-byte Folded Reload
	v_ashrrev_i32_e32 v94, 31, v93
	v_lshlrev_b64 v[94:95], 2, v[93:94]
	s_waitcnt vmcnt(1)
	v_add_co_u32_e32 v94, vcc, v81, v94
	s_waitcnt vmcnt(0)
	v_addc_co_u32_e32 v95, vcc, v82, v95, vcc
	global_load_dword v0, v[94:95], off
	global_load_dword v92, v[81:82], off offset:188
	s_waitcnt vmcnt(1)
	global_store_dword v[81:82], v0, off offset:188
	s_waitcnt vmcnt(1)
	global_store_dword v[94:95], v92, off
.LBB98_1001:
	s_or_b64 exec, exec, s[20:21]
	v_mov_b32_e32 v92, v93
	v_mov_b32_e32 v0, v93
.LBB98_1002:
	s_or_b64 exec, exec, s[18:19]
.LBB98_1003:
	s_andn2_saveexec_b64 s[0:1], s[0:1]
	s_cbranch_execz .LBB98_1005
; %bb.1004:
	v_mov_b32_e32 v92, 47
	ds_write2_b64 v90, v[1:2], v[3:4] offset0:96 offset1:97
	ds_write2_b64 v90, v[121:122], v[123:124] offset0:98 offset1:99
.LBB98_1005:
	s_or_b64 exec, exec, s[0:1]
	v_cmp_lt_i32_e32 vcc, 47, v92
	s_waitcnt vmcnt(0) lgkmcnt(0)
	s_barrier
	s_and_saveexec_b64 s[0:1], vcc
	s_cbranch_execz .LBB98_1007
; %bb.1006:
	v_mul_f64 v[93:94], v[117:118], v[7:8]
	v_mul_f64 v[7:8], v[119:120], v[7:8]
	v_fma_f64 v[97:98], v[119:120], v[5:6], v[93:94]
	ds_read2_b64 v[93:96], v90 offset0:96 offset1:97
	v_fma_f64 v[5:6], v[117:118], v[5:6], -v[7:8]
	s_waitcnt lgkmcnt(0)
	v_mul_f64 v[7:8], v[95:96], v[97:98]
	v_fma_f64 v[7:8], v[93:94], v[5:6], -v[7:8]
	v_mul_f64 v[93:94], v[93:94], v[97:98]
	v_add_f64 v[1:2], v[1:2], -v[7:8]
	v_fma_f64 v[93:94], v[95:96], v[5:6], v[93:94]
	v_add_f64 v[3:4], v[3:4], -v[93:94]
	ds_read2_b64 v[93:96], v90 offset0:98 offset1:99
	s_waitcnt lgkmcnt(0)
	v_mul_f64 v[7:8], v[95:96], v[97:98]
	v_fma_f64 v[7:8], v[93:94], v[5:6], -v[7:8]
	v_mul_f64 v[93:94], v[93:94], v[97:98]
	v_add_f64 v[121:122], v[121:122], -v[7:8]
	v_fma_f64 v[93:94], v[95:96], v[5:6], v[93:94]
	v_mov_b32_e32 v7, v97
	v_mov_b32_e32 v8, v98
	v_add_f64 v[123:124], v[123:124], -v[93:94]
.LBB98_1007:
	s_or_b64 exec, exec, s[0:1]
	v_lshl_add_u32 v93, v92, 4, v90
	s_barrier
	ds_write2_b64 v93, v[1:2], v[3:4] offset1:1
	s_waitcnt lgkmcnt(0)
	s_barrier
	ds_read2_b64 v[117:120], v90 offset0:96 offset1:97
	s_cmp_lt_i32 s3, 50
	v_mov_b32_e32 v93, 48
	s_cbranch_scc1 .LBB98_1010
; %bb.1008:
	v_add_u32_e32 v94, 0x310, v90
	s_mov_b32 s0, 49
	v_mov_b32_e32 v93, 48
.LBB98_1009:                            ; =>This Inner Loop Header: Depth=1
	s_waitcnt lgkmcnt(0)
	v_cmp_gt_f64_e32 vcc, 0, v[117:118]
	v_xor_b32_e32 v99, 0x80000000, v118
	ds_read2_b64 v[95:98], v94 offset1:1
	v_xor_b32_e32 v101, 0x80000000, v120
	v_add_u32_e32 v94, 16, v94
	s_waitcnt lgkmcnt(0)
	v_xor_b32_e32 v103, 0x80000000, v98
	v_cndmask_b32_e32 v100, v118, v99, vcc
	v_cmp_gt_f64_e32 vcc, 0, v[119:120]
	v_mov_b32_e32 v99, v117
	v_cndmask_b32_e32 v102, v120, v101, vcc
	v_cmp_gt_f64_e32 vcc, 0, v[95:96]
	v_mov_b32_e32 v101, v119
	v_add_f64 v[99:100], v[99:100], v[101:102]
	v_xor_b32_e32 v101, 0x80000000, v96
	v_cndmask_b32_e32 v102, v96, v101, vcc
	v_cmp_gt_f64_e32 vcc, 0, v[97:98]
	v_mov_b32_e32 v101, v95
	v_cndmask_b32_e32 v104, v98, v103, vcc
	v_mov_b32_e32 v103, v97
	v_add_f64 v[101:102], v[101:102], v[103:104]
	v_cmp_lt_f64_e32 vcc, v[99:100], v[101:102]
	v_cndmask_b32_e32 v117, v117, v95, vcc
	v_mov_b32_e32 v95, s0
	s_add_i32 s0, s0, 1
	v_cndmask_b32_e32 v118, v118, v96, vcc
	v_cndmask_b32_e32 v120, v120, v98, vcc
	;; [unrolled: 1-line block ×4, first 2 shown]
	s_cmp_lg_u32 s3, s0
	s_cbranch_scc1 .LBB98_1009
.LBB98_1010:
	s_waitcnt lgkmcnt(0)
	v_cmp_eq_f64_e32 vcc, 0, v[117:118]
	v_cmp_eq_f64_e64 s[0:1], 0, v[119:120]
	s_and_b64 s[0:1], vcc, s[0:1]
	s_and_saveexec_b64 s[18:19], s[0:1]
	s_xor_b64 s[0:1], exec, s[18:19]
; %bb.1011:
	v_cmp_ne_u32_e32 vcc, 0, v91
	v_cndmask_b32_e32 v91, 49, v91, vcc
; %bb.1012:
	s_andn2_saveexec_b64 s[0:1], s[0:1]
	s_cbranch_execz .LBB98_1018
; %bb.1013:
	v_cmp_ngt_f64_e64 s[18:19], |v[117:118]|, |v[119:120]|
	s_and_saveexec_b64 s[20:21], s[18:19]
	s_xor_b64 s[18:19], exec, s[20:21]
	s_cbranch_execz .LBB98_1015
; %bb.1014:
	v_div_scale_f64 v[94:95], s[20:21], v[119:120], v[119:120], v[117:118]
	v_rcp_f64_e32 v[96:97], v[94:95]
	v_fma_f64 v[98:99], -v[94:95], v[96:97], 1.0
	v_fma_f64 v[96:97], v[96:97], v[98:99], v[96:97]
	v_div_scale_f64 v[98:99], vcc, v[117:118], v[119:120], v[117:118]
	v_fma_f64 v[100:101], -v[94:95], v[96:97], 1.0
	v_fma_f64 v[96:97], v[96:97], v[100:101], v[96:97]
	v_mul_f64 v[100:101], v[98:99], v[96:97]
	v_fma_f64 v[94:95], -v[94:95], v[100:101], v[98:99]
	v_div_fmas_f64 v[94:95], v[94:95], v[96:97], v[100:101]
	v_div_fixup_f64 v[94:95], v[94:95], v[119:120], v[117:118]
	v_fma_f64 v[96:97], v[117:118], v[94:95], v[119:120]
	v_div_scale_f64 v[98:99], s[20:21], v[96:97], v[96:97], 1.0
	v_div_scale_f64 v[104:105], vcc, 1.0, v[96:97], 1.0
	v_rcp_f64_e32 v[100:101], v[98:99]
	v_fma_f64 v[102:103], -v[98:99], v[100:101], 1.0
	v_fma_f64 v[100:101], v[100:101], v[102:103], v[100:101]
	v_fma_f64 v[102:103], -v[98:99], v[100:101], 1.0
	v_fma_f64 v[100:101], v[100:101], v[102:103], v[100:101]
	v_mul_f64 v[102:103], v[104:105], v[100:101]
	v_fma_f64 v[98:99], -v[98:99], v[102:103], v[104:105]
	v_div_fmas_f64 v[98:99], v[98:99], v[100:101], v[102:103]
	v_div_fixup_f64 v[119:120], v[98:99], v[96:97], 1.0
	v_mul_f64 v[117:118], v[94:95], v[119:120]
	v_xor_b32_e32 v120, 0x80000000, v120
.LBB98_1015:
	s_andn2_saveexec_b64 s[18:19], s[18:19]
	s_cbranch_execz .LBB98_1017
; %bb.1016:
	v_div_scale_f64 v[94:95], s[20:21], v[117:118], v[117:118], v[119:120]
	v_rcp_f64_e32 v[96:97], v[94:95]
	v_fma_f64 v[98:99], -v[94:95], v[96:97], 1.0
	v_fma_f64 v[96:97], v[96:97], v[98:99], v[96:97]
	v_div_scale_f64 v[98:99], vcc, v[119:120], v[117:118], v[119:120]
	v_fma_f64 v[100:101], -v[94:95], v[96:97], 1.0
	v_fma_f64 v[96:97], v[96:97], v[100:101], v[96:97]
	v_mul_f64 v[100:101], v[98:99], v[96:97]
	v_fma_f64 v[94:95], -v[94:95], v[100:101], v[98:99]
	v_div_fmas_f64 v[94:95], v[94:95], v[96:97], v[100:101]
	v_div_fixup_f64 v[94:95], v[94:95], v[117:118], v[119:120]
	v_fma_f64 v[96:97], v[119:120], v[94:95], v[117:118]
	v_div_scale_f64 v[98:99], s[20:21], v[96:97], v[96:97], 1.0
	v_div_scale_f64 v[104:105], vcc, 1.0, v[96:97], 1.0
	v_rcp_f64_e32 v[100:101], v[98:99]
	v_fma_f64 v[102:103], -v[98:99], v[100:101], 1.0
	v_fma_f64 v[100:101], v[100:101], v[102:103], v[100:101]
	v_fma_f64 v[102:103], -v[98:99], v[100:101], 1.0
	v_fma_f64 v[100:101], v[100:101], v[102:103], v[100:101]
	v_mul_f64 v[102:103], v[104:105], v[100:101]
	v_fma_f64 v[98:99], -v[98:99], v[102:103], v[104:105]
	v_div_fmas_f64 v[98:99], v[98:99], v[100:101], v[102:103]
	v_div_fixup_f64 v[117:118], v[98:99], v[96:97], 1.0
	v_mul_f64 v[119:120], v[94:95], -v[117:118]
.LBB98_1017:
	s_or_b64 exec, exec, s[18:19]
.LBB98_1018:
	s_or_b64 exec, exec, s[0:1]
	v_cmp_ne_u32_e32 vcc, v92, v93
	s_and_saveexec_b64 s[0:1], vcc
	s_xor_b64 s[0:1], exec, s[0:1]
	s_cbranch_execz .LBB98_1024
; %bb.1019:
	v_cmp_eq_u32_e32 vcc, 48, v92
	s_and_saveexec_b64 s[18:19], vcc
	s_cbranch_execz .LBB98_1023
; %bb.1020:
	v_cmp_ne_u32_e32 vcc, 48, v93
	s_xor_b64 s[20:21], s[6:7], -1
	s_and_b64 s[22:23], s[20:21], vcc
	s_and_saveexec_b64 s[20:21], s[22:23]
	s_cbranch_execz .LBB98_1022
; %bb.1021:
	buffer_load_dword v81, off, s[24:27], 0 offset:368 ; 4-byte Folded Reload
	buffer_load_dword v82, off, s[24:27], 0 offset:372 ; 4-byte Folded Reload
	v_ashrrev_i32_e32 v94, 31, v93
	v_lshlrev_b64 v[94:95], 2, v[93:94]
	s_waitcnt vmcnt(1)
	v_add_co_u32_e32 v94, vcc, v81, v94
	s_waitcnt vmcnt(0)
	v_addc_co_u32_e32 v95, vcc, v82, v95, vcc
	global_load_dword v0, v[94:95], off
	global_load_dword v92, v[81:82], off offset:192
	s_waitcnt vmcnt(1)
	global_store_dword v[81:82], v0, off offset:192
	s_waitcnt vmcnt(1)
	global_store_dword v[94:95], v92, off
.LBB98_1022:
	s_or_b64 exec, exec, s[20:21]
	v_mov_b32_e32 v92, v93
	v_mov_b32_e32 v0, v93
.LBB98_1023:
	s_or_b64 exec, exec, s[18:19]
.LBB98_1024:
	s_andn2_saveexec_b64 s[0:1], s[0:1]
; %bb.1025:
	v_mov_b32_e32 v92, 48
	ds_write2_b64 v90, v[121:122], v[123:124] offset0:98 offset1:99
; %bb.1026:
	s_or_b64 exec, exec, s[0:1]
	v_cmp_lt_i32_e32 vcc, 48, v92
	s_waitcnt vmcnt(0) lgkmcnt(0)
	s_barrier
	s_and_saveexec_b64 s[0:1], vcc
	s_cbranch_execz .LBB98_1028
; %bb.1027:
	v_mul_f64 v[93:94], v[117:118], v[3:4]
	v_mul_f64 v[3:4], v[119:120], v[3:4]
	v_fma_f64 v[97:98], v[119:120], v[1:2], v[93:94]
	ds_read2_b64 v[93:96], v90 offset0:98 offset1:99
	v_fma_f64 v[1:2], v[117:118], v[1:2], -v[3:4]
	s_waitcnt lgkmcnt(0)
	v_mul_f64 v[3:4], v[95:96], v[97:98]
	v_fma_f64 v[3:4], v[93:94], v[1:2], -v[3:4]
	v_mul_f64 v[93:94], v[93:94], v[97:98]
	v_add_f64 v[121:122], v[121:122], -v[3:4]
	v_fma_f64 v[93:94], v[95:96], v[1:2], v[93:94]
	v_mov_b32_e32 v3, v97
	v_mov_b32_e32 v4, v98
	v_add_f64 v[123:124], v[123:124], -v[93:94]
.LBB98_1028:
	s_or_b64 exec, exec, s[0:1]
	v_lshl_add_u32 v93, v92, 4, v90
	s_barrier
	ds_write2_b64 v93, v[121:122], v[123:124] offset1:1
	s_waitcnt lgkmcnt(0)
	s_barrier
	ds_read2_b64 v[117:120], v90 offset0:98 offset1:99
	s_cmp_lt_i32 s3, 51
	v_mov_b32_e32 v93, 49
	s_cbranch_scc1 .LBB98_1031
; %bb.1029:
	v_add_u32_e32 v90, 0x320, v90
	s_mov_b32 s0, 50
	v_mov_b32_e32 v93, 49
.LBB98_1030:                            ; =>This Inner Loop Header: Depth=1
	s_waitcnt lgkmcnt(0)
	v_cmp_gt_f64_e32 vcc, 0, v[117:118]
	v_xor_b32_e32 v98, 0x80000000, v118
	ds_read2_b64 v[94:97], v90 offset1:1
	v_xor_b32_e32 v100, 0x80000000, v120
	v_add_u32_e32 v90, 16, v90
	s_waitcnt lgkmcnt(0)
	v_xor_b32_e32 v102, 0x80000000, v97
	v_cndmask_b32_e32 v99, v118, v98, vcc
	v_cmp_gt_f64_e32 vcc, 0, v[119:120]
	v_mov_b32_e32 v98, v117
	v_cndmask_b32_e32 v101, v120, v100, vcc
	v_cmp_gt_f64_e32 vcc, 0, v[94:95]
	v_mov_b32_e32 v100, v119
	v_add_f64 v[98:99], v[98:99], v[100:101]
	v_xor_b32_e32 v100, 0x80000000, v95
	v_cndmask_b32_e32 v101, v95, v100, vcc
	v_cmp_gt_f64_e32 vcc, 0, v[96:97]
	v_mov_b32_e32 v100, v94
	v_cndmask_b32_e32 v103, v97, v102, vcc
	v_mov_b32_e32 v102, v96
	v_add_f64 v[100:101], v[100:101], v[102:103]
	v_cmp_lt_f64_e32 vcc, v[98:99], v[100:101]
	v_cndmask_b32_e32 v117, v117, v94, vcc
	v_mov_b32_e32 v94, s0
	s_add_i32 s0, s0, 1
	v_cndmask_b32_e32 v118, v118, v95, vcc
	v_cndmask_b32_e32 v120, v120, v97, vcc
	;; [unrolled: 1-line block ×4, first 2 shown]
	s_cmp_lg_u32 s3, s0
	s_cbranch_scc1 .LBB98_1030
.LBB98_1031:
	s_waitcnt lgkmcnt(0)
	v_cmp_eq_f64_e32 vcc, 0, v[117:118]
	v_cmp_eq_f64_e64 s[0:1], 0, v[119:120]
	s_and_b64 s[0:1], vcc, s[0:1]
	s_and_saveexec_b64 s[18:19], s[0:1]
	s_xor_b64 s[0:1], exec, s[18:19]
; %bb.1032:
	v_cmp_ne_u32_e32 vcc, 0, v91
	v_cndmask_b32_e32 v91, 50, v91, vcc
; %bb.1033:
	s_andn2_saveexec_b64 s[0:1], s[0:1]
	s_cbranch_execz .LBB98_1039
; %bb.1034:
	v_cmp_ngt_f64_e64 s[18:19], |v[117:118]|, |v[119:120]|
	s_and_saveexec_b64 s[20:21], s[18:19]
	s_xor_b64 s[18:19], exec, s[20:21]
	s_cbranch_execz .LBB98_1036
; %bb.1035:
	v_div_scale_f64 v[94:95], s[20:21], v[119:120], v[119:120], v[117:118]
	v_rcp_f64_e32 v[96:97], v[94:95]
	v_fma_f64 v[98:99], -v[94:95], v[96:97], 1.0
	v_fma_f64 v[96:97], v[96:97], v[98:99], v[96:97]
	v_div_scale_f64 v[98:99], vcc, v[117:118], v[119:120], v[117:118]
	v_fma_f64 v[100:101], -v[94:95], v[96:97], 1.0
	v_fma_f64 v[96:97], v[96:97], v[100:101], v[96:97]
	v_mul_f64 v[100:101], v[98:99], v[96:97]
	v_fma_f64 v[94:95], -v[94:95], v[100:101], v[98:99]
	v_div_fmas_f64 v[94:95], v[94:95], v[96:97], v[100:101]
	v_div_fixup_f64 v[94:95], v[94:95], v[119:120], v[117:118]
	v_fma_f64 v[96:97], v[117:118], v[94:95], v[119:120]
	v_div_scale_f64 v[98:99], s[20:21], v[96:97], v[96:97], 1.0
	v_div_scale_f64 v[104:105], vcc, 1.0, v[96:97], 1.0
	v_rcp_f64_e32 v[100:101], v[98:99]
	v_fma_f64 v[102:103], -v[98:99], v[100:101], 1.0
	v_fma_f64 v[100:101], v[100:101], v[102:103], v[100:101]
	v_fma_f64 v[102:103], -v[98:99], v[100:101], 1.0
	v_fma_f64 v[100:101], v[100:101], v[102:103], v[100:101]
	v_mul_f64 v[102:103], v[104:105], v[100:101]
	v_fma_f64 v[98:99], -v[98:99], v[102:103], v[104:105]
	v_div_fmas_f64 v[98:99], v[98:99], v[100:101], v[102:103]
	v_div_fixup_f64 v[119:120], v[98:99], v[96:97], 1.0
	v_mul_f64 v[117:118], v[94:95], v[119:120]
	v_xor_b32_e32 v120, 0x80000000, v120
.LBB98_1036:
	s_andn2_saveexec_b64 s[18:19], s[18:19]
	s_cbranch_execz .LBB98_1038
; %bb.1037:
	v_div_scale_f64 v[94:95], s[20:21], v[117:118], v[117:118], v[119:120]
	v_rcp_f64_e32 v[96:97], v[94:95]
	v_fma_f64 v[98:99], -v[94:95], v[96:97], 1.0
	v_fma_f64 v[96:97], v[96:97], v[98:99], v[96:97]
	v_div_scale_f64 v[98:99], vcc, v[119:120], v[117:118], v[119:120]
	v_fma_f64 v[100:101], -v[94:95], v[96:97], 1.0
	v_fma_f64 v[96:97], v[96:97], v[100:101], v[96:97]
	v_mul_f64 v[100:101], v[98:99], v[96:97]
	v_fma_f64 v[94:95], -v[94:95], v[100:101], v[98:99]
	v_div_fmas_f64 v[94:95], v[94:95], v[96:97], v[100:101]
	v_div_fixup_f64 v[94:95], v[94:95], v[117:118], v[119:120]
	v_fma_f64 v[96:97], v[119:120], v[94:95], v[117:118]
	v_div_scale_f64 v[98:99], s[20:21], v[96:97], v[96:97], 1.0
	v_div_scale_f64 v[104:105], vcc, 1.0, v[96:97], 1.0
	v_rcp_f64_e32 v[100:101], v[98:99]
	v_fma_f64 v[102:103], -v[98:99], v[100:101], 1.0
	v_fma_f64 v[100:101], v[100:101], v[102:103], v[100:101]
	v_fma_f64 v[102:103], -v[98:99], v[100:101], 1.0
	v_fma_f64 v[100:101], v[100:101], v[102:103], v[100:101]
	v_mul_f64 v[102:103], v[104:105], v[100:101]
	v_fma_f64 v[98:99], -v[98:99], v[102:103], v[104:105]
	v_div_fmas_f64 v[98:99], v[98:99], v[100:101], v[102:103]
	v_div_fixup_f64 v[117:118], v[98:99], v[96:97], 1.0
	v_mul_f64 v[119:120], v[94:95], -v[117:118]
.LBB98_1038:
	s_or_b64 exec, exec, s[18:19]
.LBB98_1039:
	s_or_b64 exec, exec, s[0:1]
	v_cmp_ne_u32_e32 vcc, v92, v93
	v_mov_b32_e32 v94, 49
	s_and_saveexec_b64 s[0:1], vcc
	s_cbranch_execz .LBB98_1045
; %bb.1040:
	v_cmp_eq_u32_e32 vcc, 49, v92
	s_and_saveexec_b64 s[18:19], vcc
	s_cbranch_execz .LBB98_1044
; %bb.1041:
	v_cmp_ne_u32_e32 vcc, 49, v93
	s_xor_b64 s[6:7], s[6:7], -1
	s_and_b64 s[20:21], s[6:7], vcc
	s_and_saveexec_b64 s[6:7], s[20:21]
	s_cbranch_execz .LBB98_1043
; %bb.1042:
	buffer_load_dword v81, off, s[24:27], 0 offset:368 ; 4-byte Folded Reload
	buffer_load_dword v82, off, s[24:27], 0 offset:372 ; 4-byte Folded Reload
	v_ashrrev_i32_e32 v94, 31, v93
	v_lshlrev_b64 v[94:95], 2, v[93:94]
	s_waitcnt vmcnt(1)
	v_add_co_u32_e32 v94, vcc, v81, v94
	s_waitcnt vmcnt(0)
	v_addc_co_u32_e32 v95, vcc, v82, v95, vcc
	global_load_dword v0, v[94:95], off
	global_load_dword v90, v[81:82], off offset:196
	s_waitcnt vmcnt(1)
	global_store_dword v[81:82], v0, off offset:196
	s_waitcnt vmcnt(1)
	global_store_dword v[94:95], v90, off
.LBB98_1043:
	s_or_b64 exec, exec, s[6:7]
	v_mov_b32_e32 v92, v93
	v_mov_b32_e32 v0, v93
.LBB98_1044:
	s_or_b64 exec, exec, s[18:19]
	v_mov_b32_e32 v94, v92
.LBB98_1045:
	s_or_b64 exec, exec, s[0:1]
	v_cmp_gt_i32_e32 vcc, 50, v94
	v_ashrrev_i32_e32 v95, 31, v94
	s_waitcnt vmcnt(0)
	s_barrier
	s_barrier
	s_and_saveexec_b64 s[0:1], vcc
	s_cbranch_execz .LBB98_1047
; %bb.1046:
	v_mul_lo_u32 v90, s15, v111
	v_mul_lo_u32 v96, s14, v112
	v_mad_u64_u32 v[92:93], s[6:7], s14, v111, 0
	s_lshl_b64 s[6:7], s[12:13], 2
	v_add3_u32 v0, v0, s17, 1
	v_add3_u32 v93, v93, v96, v90
	v_lshlrev_b64 v[92:93], 2, v[92:93]
	v_mov_b32_e32 v90, s11
	v_add_co_u32_e32 v92, vcc, s10, v92
	v_addc_co_u32_e32 v90, vcc, v90, v93, vcc
	v_mov_b32_e32 v93, s7
	v_add_co_u32_e32 v96, vcc, s6, v92
	v_addc_co_u32_e32 v90, vcc, v90, v93, vcc
	v_lshlrev_b64 v[92:93], 2, v[94:95]
	v_add_co_u32_e32 v92, vcc, v96, v92
	v_addc_co_u32_e32 v93, vcc, v90, v93, vcc
	global_store_dword v[92:93], v0, off
.LBB98_1047:
	s_or_b64 exec, exec, s[0:1]
	v_mov_b32_e32 v81, v85
	v_mov_b32_e32 v82, v86
	;; [unrolled: 1-line block ×4, first 2 shown]
	v_cmp_eq_u32_e32 vcc, 0, v94
	s_and_saveexec_b64 s[6:7], vcc
	s_cbranch_execz .LBB98_1050
; %bb.1048:
	v_lshlrev_b64 v[92:93], 2, v[111:112]
	v_mov_b32_e32 v0, s5
	v_add_co_u32_e32 v96, vcc, s4, v92
	v_addc_co_u32_e32 v97, vcc, v0, v93, vcc
	global_load_dword v0, v[96:97], off
	v_cmp_ne_u32_e64 s[0:1], 0, v91
	s_waitcnt vmcnt(0)
	v_cmp_eq_u32_e32 vcc, 0, v0
	s_and_b64 s[0:1], vcc, s[0:1]
	s_and_b64 exec, exec, s[0:1]
	s_cbranch_execz .LBB98_1050
; %bb.1049:
	v_add_u32_e32 v0, s17, v91
	global_store_dword v[96:97], v0, off
.LBB98_1050:
	s_or_b64 exec, exec, s[6:7]
	buffer_load_dword v85, off, s[24:27], 0 offset:408 ; 4-byte Folded Reload
	buffer_load_dword v86, off, s[24:27], 0 offset:412 ; 4-byte Folded Reload
	;; [unrolled: 1-line block ×4, first 2 shown]
	v_mul_f64 v[90:91], v[117:118], v[123:124]
	v_mul_f64 v[92:93], v[119:120], v[123:124]
	v_cmp_lt_i32_e32 vcc, 49, v94
	v_mov_b32_e32 v0, s9
	v_fma_f64 v[90:91], v[119:120], v[121:122], v[90:91]
	v_fma_f64 v[92:93], v[117:118], v[121:122], -v[92:93]
	v_cndmask_b32_e32 v120, v124, v91, vcc
	v_cndmask_b32_e32 v119, v123, v90, vcc
	v_lshlrev_b64 v[90:91], 4, v[94:95]
	v_cndmask_b32_e32 v118, v122, v93, vcc
	v_cndmask_b32_e32 v117, v121, v92, vcc
	v_add_co_u32_e32 v90, vcc, v127, v90
	v_addc_co_u32_e32 v91, vcc, v89, v91, vcc
	s_waitcnt vmcnt(0)
	global_store_dwordx4 v[90:91], v[85:88], off
	buffer_load_dword v85, off, s[24:27], 0 offset:392 ; 4-byte Folded Reload
	s_nop 0
	buffer_load_dword v86, off, s[24:27], 0 offset:396 ; 4-byte Folded Reload
	buffer_load_dword v87, off, s[24:27], 0 offset:400 ; 4-byte Folded Reload
	;; [unrolled: 1-line block ×3, first 2 shown]
	v_add_co_u32_e32 v90, vcc, s8, v90
	v_addc_co_u32_e32 v91, vcc, v91, v0, vcc
	s_waitcnt vmcnt(0)
	global_store_dwordx4 v[90:91], v[85:88], off
	buffer_load_dword v85, off, s[24:27], 0 offset:376 ; 4-byte Folded Reload
	s_nop 0
	buffer_load_dword v86, off, s[24:27], 0 offset:380 ; 4-byte Folded Reload
	buffer_load_dword v87, off, s[24:27], 0 offset:384 ; 4-byte Folded Reload
	buffer_load_dword v88, off, s[24:27], 0 offset:388 ; 4-byte Folded Reload
	v_add_u32_e32 v90, s16, v94
	v_ashrrev_i32_e32 v91, 31, v90
	v_lshlrev_b64 v[91:92], 4, v[90:91]
	v_add_u32_e32 v90, s2, v90
	v_add_co_u32_e32 v91, vcc, v127, v91
	v_addc_co_u32_e32 v92, vcc, v89, v92, vcc
	s_waitcnt vmcnt(0)
	global_store_dwordx4 v[91:92], v[85:88], off
	buffer_load_dword v85, off, s[24:27], 0 offset:352 ; 4-byte Folded Reload
	s_nop 0
	buffer_load_dword v86, off, s[24:27], 0 offset:356 ; 4-byte Folded Reload
	buffer_load_dword v87, off, s[24:27], 0 offset:360 ; 4-byte Folded Reload
	buffer_load_dword v88, off, s[24:27], 0 offset:364 ; 4-byte Folded Reload
	v_ashrrev_i32_e32 v91, 31, v90
	v_lshlrev_b64 v[91:92], 4, v[90:91]
	v_add_u32_e32 v90, s2, v90
	v_add_co_u32_e32 v91, vcc, v127, v91
	v_addc_co_u32_e32 v92, vcc, v89, v92, vcc
	s_waitcnt vmcnt(0)
	global_store_dwordx4 v[91:92], v[85:88], off
	buffer_load_dword v85, off, s[24:27], 0 offset:336 ; 4-byte Folded Reload
	s_nop 0
	buffer_load_dword v86, off, s[24:27], 0 offset:340 ; 4-byte Folded Reload
	buffer_load_dword v87, off, s[24:27], 0 offset:344 ; 4-byte Folded Reload
	buffer_load_dword v88, off, s[24:27], 0 offset:348 ; 4-byte Folded Reload
	;; [unrolled: 12-line block ×22, first 2 shown]
	v_ashrrev_i32_e32 v91, 31, v90
	v_lshlrev_b64 v[91:92], 4, v[90:91]
	v_add_u32_e32 v90, s2, v90
	v_add_co_u32_e32 v91, vcc, v127, v91
	v_addc_co_u32_e32 v92, vcc, v89, v92, vcc
	s_waitcnt vmcnt(0)
	global_store_dwordx4 v[91:92], v[85:88], off
	buffer_load_dword v85, off, s[24:27], 0 ; 4-byte Folded Reload
	s_nop 0
	buffer_load_dword v86, off, s[24:27], 0 offset:4 ; 4-byte Folded Reload
	buffer_load_dword v87, off, s[24:27], 0 offset:8 ; 4-byte Folded Reload
	;; [unrolled: 1-line block ×3, first 2 shown]
	v_ashrrev_i32_e32 v91, 31, v90
	v_lshlrev_b64 v[91:92], 4, v[90:91]
	v_add_u32_e32 v90, s2, v90
	v_add_co_u32_e32 v91, vcc, v127, v91
	v_addc_co_u32_e32 v92, vcc, v89, v92, vcc
	s_waitcnt vmcnt(0)
	global_store_dwordx4 v[91:92], v[85:88], off
	v_ashrrev_i32_e32 v91, 31, v90
	v_lshlrev_b64 v[91:92], 4, v[90:91]
	v_add_u32_e32 v90, s2, v90
	v_add_co_u32_e32 v91, vcc, v127, v91
	v_addc_co_u32_e32 v92, vcc, v89, v92, vcc
	global_store_dwordx4 v[91:92], v[107:110], off
	v_ashrrev_i32_e32 v91, 31, v90
	v_lshlrev_b64 v[91:92], 4, v[90:91]
	v_add_u32_e32 v85, s2, v90
	v_ashrrev_i32_e32 v86, 31, v85
	v_add_co_u32_e32 v91, vcc, v127, v91
	v_lshlrev_b64 v[86:87], 4, v[85:86]
	v_addc_co_u32_e32 v92, vcc, v89, v92, vcc
	v_add_co_u32_e32 v86, vcc, v127, v86
	v_addc_co_u32_e32 v87, vcc, v89, v87, vcc
	global_store_dwordx4 v[91:92], v[113:116], off
	global_store_dwordx4 v[86:87], v[81:84], off
	s_nop 0
	v_add_u32_e32 v81, s2, v85
	v_ashrrev_i32_e32 v82, 31, v81
	v_lshlrev_b64 v[82:83], 4, v[81:82]
	v_add_co_u32_e32 v82, vcc, v127, v82
	v_addc_co_u32_e32 v83, vcc, v89, v83, vcc
	global_store_dwordx4 v[82:83], v[77:80], off
	s_nop 0
	v_add_u32_e32 v77, s2, v81
	v_ashrrev_i32_e32 v78, 31, v77
	v_lshlrev_b64 v[78:79], 4, v[77:78]
	v_add_co_u32_e32 v78, vcc, v127, v78
	v_addc_co_u32_e32 v79, vcc, v89, v79, vcc
	;; [unrolled: 7-line block ×19, first 2 shown]
	global_store_dwordx4 v[10:11], v[5:8], off
	s_nop 0
	v_add_u32_e32 v5, s2, v9
	v_ashrrev_i32_e32 v6, 31, v5
	v_lshlrev_b64 v[6:7], 4, v[5:6]
	v_add_u32_e32 v0, s2, v5
	v_add_co_u32_e32 v6, vcc, v127, v6
	v_addc_co_u32_e32 v7, vcc, v89, v7, vcc
	global_store_dwordx4 v[6:7], v[1:4], off
	s_nop 0
	v_ashrrev_i32_e32 v1, 31, v0
	v_lshlrev_b64 v[0:1], 4, v[0:1]
	v_add_co_u32_e32 v0, vcc, v127, v0
	v_addc_co_u32_e32 v1, vcc, v89, v1, vcc
	global_store_dwordx4 v[0:1], v[117:120], off
.LBB98_1051:
	s_endpgm
	.section	.rodata,"a",@progbits
	.p2align	6, 0x0
	.amdhsa_kernel _ZN9rocsolver6v33100L18getf2_small_kernelILi50E19rocblas_complex_numIdEiiPS3_EEvT1_T3_lS5_lPS5_llPT2_S5_S5_S7_l
		.amdhsa_group_segment_fixed_size 0
		.amdhsa_private_segment_fixed_size 436
		.amdhsa_kernarg_size 352
		.amdhsa_user_sgpr_count 6
		.amdhsa_user_sgpr_private_segment_buffer 1
		.amdhsa_user_sgpr_dispatch_ptr 0
		.amdhsa_user_sgpr_queue_ptr 0
		.amdhsa_user_sgpr_kernarg_segment_ptr 1
		.amdhsa_user_sgpr_dispatch_id 0
		.amdhsa_user_sgpr_flat_scratch_init 0
		.amdhsa_user_sgpr_private_segment_size 0
		.amdhsa_uses_dynamic_stack 0
		.amdhsa_system_sgpr_private_segment_wavefront_offset 1
		.amdhsa_system_sgpr_workgroup_id_x 1
		.amdhsa_system_sgpr_workgroup_id_y 1
		.amdhsa_system_sgpr_workgroup_id_z 0
		.amdhsa_system_sgpr_workgroup_info 0
		.amdhsa_system_vgpr_workitem_id 1
		.amdhsa_next_free_vgpr 128
		.amdhsa_next_free_sgpr 30
		.amdhsa_reserve_vcc 1
		.amdhsa_reserve_flat_scratch 0
		.amdhsa_float_round_mode_32 0
		.amdhsa_float_round_mode_16_64 0
		.amdhsa_float_denorm_mode_32 3
		.amdhsa_float_denorm_mode_16_64 3
		.amdhsa_dx10_clamp 1
		.amdhsa_ieee_mode 1
		.amdhsa_fp16_overflow 0
		.amdhsa_exception_fp_ieee_invalid_op 0
		.amdhsa_exception_fp_denorm_src 0
		.amdhsa_exception_fp_ieee_div_zero 0
		.amdhsa_exception_fp_ieee_overflow 0
		.amdhsa_exception_fp_ieee_underflow 0
		.amdhsa_exception_fp_ieee_inexact 0
		.amdhsa_exception_int_div_zero 0
	.end_amdhsa_kernel
	.section	.text._ZN9rocsolver6v33100L18getf2_small_kernelILi50E19rocblas_complex_numIdEiiPS3_EEvT1_T3_lS5_lPS5_llPT2_S5_S5_S7_l,"axG",@progbits,_ZN9rocsolver6v33100L18getf2_small_kernelILi50E19rocblas_complex_numIdEiiPS3_EEvT1_T3_lS5_lPS5_llPT2_S5_S5_S7_l,comdat
.Lfunc_end98:
	.size	_ZN9rocsolver6v33100L18getf2_small_kernelILi50E19rocblas_complex_numIdEiiPS3_EEvT1_T3_lS5_lPS5_llPT2_S5_S5_S7_l, .Lfunc_end98-_ZN9rocsolver6v33100L18getf2_small_kernelILi50E19rocblas_complex_numIdEiiPS3_EEvT1_T3_lS5_lPS5_llPT2_S5_S5_S7_l
                                        ; -- End function
	.set _ZN9rocsolver6v33100L18getf2_small_kernelILi50E19rocblas_complex_numIdEiiPS3_EEvT1_T3_lS5_lPS5_llPT2_S5_S5_S7_l.num_vgpr, 128
	.set _ZN9rocsolver6v33100L18getf2_small_kernelILi50E19rocblas_complex_numIdEiiPS3_EEvT1_T3_lS5_lPS5_llPT2_S5_S5_S7_l.num_agpr, 0
	.set _ZN9rocsolver6v33100L18getf2_small_kernelILi50E19rocblas_complex_numIdEiiPS3_EEvT1_T3_lS5_lPS5_llPT2_S5_S5_S7_l.numbered_sgpr, 30
	.set _ZN9rocsolver6v33100L18getf2_small_kernelILi50E19rocblas_complex_numIdEiiPS3_EEvT1_T3_lS5_lPS5_llPT2_S5_S5_S7_l.num_named_barrier, 0
	.set _ZN9rocsolver6v33100L18getf2_small_kernelILi50E19rocblas_complex_numIdEiiPS3_EEvT1_T3_lS5_lPS5_llPT2_S5_S5_S7_l.private_seg_size, 436
	.set _ZN9rocsolver6v33100L18getf2_small_kernelILi50E19rocblas_complex_numIdEiiPS3_EEvT1_T3_lS5_lPS5_llPT2_S5_S5_S7_l.uses_vcc, 1
	.set _ZN9rocsolver6v33100L18getf2_small_kernelILi50E19rocblas_complex_numIdEiiPS3_EEvT1_T3_lS5_lPS5_llPT2_S5_S5_S7_l.uses_flat_scratch, 0
	.set _ZN9rocsolver6v33100L18getf2_small_kernelILi50E19rocblas_complex_numIdEiiPS3_EEvT1_T3_lS5_lPS5_llPT2_S5_S5_S7_l.has_dyn_sized_stack, 0
	.set _ZN9rocsolver6v33100L18getf2_small_kernelILi50E19rocblas_complex_numIdEiiPS3_EEvT1_T3_lS5_lPS5_llPT2_S5_S5_S7_l.has_recursion, 0
	.set _ZN9rocsolver6v33100L18getf2_small_kernelILi50E19rocblas_complex_numIdEiiPS3_EEvT1_T3_lS5_lPS5_llPT2_S5_S5_S7_l.has_indirect_call, 0
	.section	.AMDGPU.csdata,"",@progbits
; Kernel info:
; codeLenInByte = 173892
; TotalNumSgprs: 34
; NumVgprs: 128
; ScratchSize: 436
; MemoryBound: 0
; FloatMode: 240
; IeeeMode: 1
; LDSByteSize: 0 bytes/workgroup (compile time only)
; SGPRBlocks: 4
; VGPRBlocks: 31
; NumSGPRsForWavesPerEU: 34
; NumVGPRsForWavesPerEU: 128
; Occupancy: 2
; WaveLimiterHint : 0
; COMPUTE_PGM_RSRC2:SCRATCH_EN: 1
; COMPUTE_PGM_RSRC2:USER_SGPR: 6
; COMPUTE_PGM_RSRC2:TRAP_HANDLER: 0
; COMPUTE_PGM_RSRC2:TGID_X_EN: 1
; COMPUTE_PGM_RSRC2:TGID_Y_EN: 1
; COMPUTE_PGM_RSRC2:TGID_Z_EN: 0
; COMPUTE_PGM_RSRC2:TIDIG_COMP_CNT: 1
	.section	.text._ZN9rocsolver6v33100L23getf2_npvt_small_kernelILi50E19rocblas_complex_numIdEiiPS3_EEvT1_T3_lS5_lPT2_S5_S5_,"axG",@progbits,_ZN9rocsolver6v33100L23getf2_npvt_small_kernelILi50E19rocblas_complex_numIdEiiPS3_EEvT1_T3_lS5_lPT2_S5_S5_,comdat
	.globl	_ZN9rocsolver6v33100L23getf2_npvt_small_kernelILi50E19rocblas_complex_numIdEiiPS3_EEvT1_T3_lS5_lPT2_S5_S5_ ; -- Begin function _ZN9rocsolver6v33100L23getf2_npvt_small_kernelILi50E19rocblas_complex_numIdEiiPS3_EEvT1_T3_lS5_lPT2_S5_S5_
	.p2align	8
	.type	_ZN9rocsolver6v33100L23getf2_npvt_small_kernelILi50E19rocblas_complex_numIdEiiPS3_EEvT1_T3_lS5_lPT2_S5_S5_,@function
_ZN9rocsolver6v33100L23getf2_npvt_small_kernelILi50E19rocblas_complex_numIdEiiPS3_EEvT1_T3_lS5_lPT2_S5_S5_: ; @_ZN9rocsolver6v33100L23getf2_npvt_small_kernelILi50E19rocblas_complex_numIdEiiPS3_EEvT1_T3_lS5_lPT2_S5_S5_
; %bb.0:
	s_mov_b64 s[22:23], s[2:3]
	s_mov_b64 s[20:21], s[0:1]
	s_load_dword s0, s[4:5], 0x44
	s_load_dwordx2 s[12:13], s[4:5], 0x30
	s_add_u32 s20, s20, s8
	s_addc_u32 s21, s21, 0
	s_waitcnt lgkmcnt(0)
	s_lshr_b32 s2, s0, 16
	s_mul_i32 s7, s7, s2
	v_add_u32_e32 v87, s7, v1
	v_cmp_gt_i32_e32 vcc, s12, v87
	s_and_saveexec_b64 s[0:1], vcc
	s_cbranch_execnz .LBB99_1
; %bb.454:
	s_getpc_b64 s[0:1]
.Lpost_getpc13:
	s_add_u32 s0, s0, (.LBB99_453-.Lpost_getpc13)&4294967295
	s_addc_u32 s1, s1, (.LBB99_453-.Lpost_getpc13)>>32
	s_setpc_b64 s[0:1]
.LBB99_1:
	s_load_dwordx4 s[8:11], s[4:5], 0x20
	s_load_dwordx4 s[16:19], s[4:5], 0x8
	v_ashrrev_i32_e32 v88, 31, v87
	s_mulk_i32 s2, 0x320
	s_waitcnt lgkmcnt(0)
	v_mul_lo_u32 v4, s9, v87
	v_mul_lo_u32 v5, s8, v88
	v_mad_u64_u32 v[2:3], s[0:1], s8, v87, 0
	s_load_dword s0, s[4:5], 0x18
	v_mov_b32_e32 v6, s17
	v_add3_u32 v3, v3, v5, v4
	v_lshlrev_b64 v[2:3], 4, v[2:3]
	s_lshl_b64 s[4:5], s[18:19], 4
	v_add_co_u32_e32 v2, vcc, s16, v2
	v_addc_co_u32_e32 v3, vcc, v6, v3, vcc
	v_mov_b32_e32 v4, s5
	v_add_co_u32_e32 v2, vcc, s4, v2
	s_waitcnt lgkmcnt(0)
	s_add_i32 s1, s0, s0
	v_addc_co_u32_e32 v3, vcc, v3, v4, vcc
	v_add_u32_e32 v4, s1, v0
	v_ashrrev_i32_e32 v5, 31, v4
	v_lshlrev_b64 v[5:6], 4, v[4:5]
	v_add_u32_e32 v4, s0, v4
	v_add_co_u32_e32 v91, vcc, v2, v5
	v_ashrrev_i32_e32 v5, 31, v4
	v_addc_co_u32_e32 v92, vcc, v3, v6, vcc
	v_lshlrev_b64 v[5:6], 4, v[4:5]
	v_add_u32_e32 v4, s0, v4
	v_add_co_u32_e32 v61, vcc, v2, v5
	v_ashrrev_i32_e32 v5, 31, v4
	v_addc_co_u32_e32 v62, vcc, v3, v6, vcc
	;; [unrolled: 5-line block ×46, first 2 shown]
	v_lshlrev_b64 v[5:6], 4, v[4:5]
	v_add_u32_e32 v4, s0, v4
	v_add_co_u32_e32 v121, vcc, v2, v5
	v_ashrrev_i32_e32 v5, 31, v4
	v_lshlrev_b64 v[4:5], 4, v[4:5]
	v_addc_co_u32_e32 v122, vcc, v3, v6, vcc
	v_add_co_u32_e32 v123, vcc, v2, v4
	v_addc_co_u32_e32 v124, vcc, v3, v5, vcc
	v_lshlrev_b32_e32 v4, 4, v0
	v_add_co_u32_e32 v4, vcc, v2, v4
	s_ashr_i32 s1, s0, 31
	v_addc_co_u32_e32 v5, vcc, 0, v3, vcc
	s_lshl_b64 s[0:1], s[0:1], 4
	v_mov_b32_e32 v2, s1
	v_add_co_u32_e32 v65, vcc, s0, v4
	v_addc_co_u32_e32 v66, vcc, v5, v2, vcc
	buffer_store_dword v4, off, s[20:23], 0 offset:808 ; 4-byte Folded Spill
	s_nop 0
	buffer_store_dword v5, off, s[20:23], 0 offset:812 ; 4-byte Folded Spill
	s_movk_i32 s0, 0x320
	s_add_i32 s1, s2, 0
	v_mad_u32_u24 v125, v1, s0, 0
	v_lshl_add_u32 v127, v1, 4, s1
	v_cmp_ne_u32_e64 s[2:3], 0, v0
	v_cmp_eq_u32_e64 s[0:1], 0, v0
	global_load_dwordx4 v[1:4], v[4:5], off
	s_waitcnt vmcnt(0)
	buffer_store_dword v1, off, s[20:23], 0 offset:416 ; 4-byte Folded Spill
	s_nop 0
	buffer_store_dword v2, off, s[20:23], 0 offset:420 ; 4-byte Folded Spill
	buffer_store_dword v3, off, s[20:23], 0 offset:424 ; 4-byte Folded Spill
	;; [unrolled: 1-line block ×4, first 2 shown]
	s_nop 0
	buffer_store_dword v66, off, s[20:23], 0 offset:820 ; 4-byte Folded Spill
	global_load_dwordx4 v[1:4], v[65:66], off
	s_waitcnt vmcnt(0)
	buffer_store_dword v1, off, s[20:23], 0 offset:400 ; 4-byte Folded Spill
	s_nop 0
	buffer_store_dword v2, off, s[20:23], 0 offset:404 ; 4-byte Folded Spill
	buffer_store_dword v3, off, s[20:23], 0 offset:408 ; 4-byte Folded Spill
	;; [unrolled: 1-line block ×3, first 2 shown]
	global_load_dwordx4 v[1:4], v[91:92], off
	s_waitcnt vmcnt(0)
	buffer_store_dword v1, off, s[20:23], 0 offset:384 ; 4-byte Folded Spill
	s_nop 0
	buffer_store_dword v2, off, s[20:23], 0 offset:388 ; 4-byte Folded Spill
	buffer_store_dword v3, off, s[20:23], 0 offset:392 ; 4-byte Folded Spill
	buffer_store_dword v4, off, s[20:23], 0 offset:396 ; 4-byte Folded Spill
	buffer_store_dword v61, off, s[20:23], 0 offset:800 ; 4-byte Folded Spill
	s_nop 0
	buffer_store_dword v62, off, s[20:23], 0 offset:804 ; 4-byte Folded Spill
	global_load_dwordx4 v[1:4], v[61:62], off
	s_waitcnt vmcnt(0)
	buffer_store_dword v1, off, s[20:23], 0 offset:368 ; 4-byte Folded Spill
	s_nop 0
	buffer_store_dword v2, off, s[20:23], 0 offset:372 ; 4-byte Folded Spill
	buffer_store_dword v3, off, s[20:23], 0 offset:376 ; 4-byte Folded Spill
	buffer_store_dword v4, off, s[20:23], 0 offset:380 ; 4-byte Folded Spill
	buffer_store_dword v63, off, s[20:23], 0 offset:792 ; 4-byte Folded Spill
	s_nop 0
	buffer_store_dword v64, off, s[20:23], 0 offset:796 ; 4-byte Folded Spill
	global_load_dwordx4 v[1:4], v[63:64], off
	s_waitcnt vmcnt(0)
	buffer_store_dword v1, off, s[20:23], 0 offset:352 ; 4-byte Folded Spill
	s_nop 0
	buffer_store_dword v2, off, s[20:23], 0 offset:356 ; 4-byte Folded Spill
	buffer_store_dword v3, off, s[20:23], 0 offset:360 ; 4-byte Folded Spill
	buffer_store_dword v4, off, s[20:23], 0 offset:364 ; 4-byte Folded Spill
	buffer_store_dword v7, off, s[20:23], 0 offset:448 ; 4-byte Folded Spill
	s_nop 0
	buffer_store_dword v8, off, s[20:23], 0 offset:452 ; 4-byte Folded Spill
	global_load_dwordx4 v[1:4], v[7:8], off
	s_waitcnt vmcnt(0)
	buffer_store_dword v1, off, s[20:23], 0 offset:336 ; 4-byte Folded Spill
	s_nop 0
	buffer_store_dword v2, off, s[20:23], 0 offset:340 ; 4-byte Folded Spill
	buffer_store_dword v3, off, s[20:23], 0 offset:344 ; 4-byte Folded Spill
	;; [unrolled: 1-line block ×3, first 2 shown]
	global_load_dwordx4 v[1:4], v[85:86], off
	s_waitcnt vmcnt(0)
	buffer_store_dword v1, off, s[20:23], 0 offset:320 ; 4-byte Folded Spill
	s_nop 0
	buffer_store_dword v2, off, s[20:23], 0 offset:324 ; 4-byte Folded Spill
	buffer_store_dword v3, off, s[20:23], 0 offset:328 ; 4-byte Folded Spill
	buffer_store_dword v4, off, s[20:23], 0 offset:332 ; 4-byte Folded Spill
	buffer_store_dword v9, off, s[20:23], 0 offset:456 ; 4-byte Folded Spill
	s_nop 0
	buffer_store_dword v10, off, s[20:23], 0 offset:460 ; 4-byte Folded Spill
	global_load_dwordx4 v[1:4], v[9:10], off
	s_waitcnt vmcnt(0)
	buffer_store_dword v1, off, s[20:23], 0 offset:304 ; 4-byte Folded Spill
	s_nop 0
	buffer_store_dword v2, off, s[20:23], 0 offset:308 ; 4-byte Folded Spill
	buffer_store_dword v3, off, s[20:23], 0 offset:312 ; 4-byte Folded Spill
	buffer_store_dword v4, off, s[20:23], 0 offset:316 ; 4-byte Folded Spill
	buffer_store_dword v11, off, s[20:23], 0 offset:464 ; 4-byte Folded Spill
	s_nop 0
	buffer_store_dword v12, off, s[20:23], 0 offset:468 ; 4-byte Folded Spill
	;; [unrolled: 10-line block ×17, first 2 shown]
	global_load_dwordx4 v[1:4], v[41:42], off
	s_waitcnt vmcnt(0)
	buffer_store_dword v1, off, s[20:23], 0 offset:48 ; 4-byte Folded Spill
	s_nop 0
	buffer_store_dword v2, off, s[20:23], 0 offset:52 ; 4-byte Folded Spill
	buffer_store_dword v3, off, s[20:23], 0 offset:56 ; 4-byte Folded Spill
	;; [unrolled: 1-line block ×3, first 2 shown]
	global_load_dwordx4 v[69:72], v[81:82], off
	s_nop 0
	buffer_store_dword v43, off, s[20:23], 0 offset:592 ; 4-byte Folded Spill
	s_nop 0
	buffer_store_dword v44, off, s[20:23], 0 offset:596 ; 4-byte Folded Spill
	global_load_dwordx4 v[117:120], v[43:44], off
	s_nop 0
	buffer_store_dword v45, off, s[20:23], 0 offset:600 ; 4-byte Folded Spill
	s_nop 0
	buffer_store_dword v46, off, s[20:23], 0 offset:604 ; 4-byte Folded Spill
	;; [unrolled: 5-line block ×5, first 2 shown]
	global_load_dwordx4 v[5:8], v[51:52], off
	s_waitcnt vmcnt(0)
	buffer_store_dword v5, off, s[20:23], 0 offset:32 ; 4-byte Folded Spill
	s_nop 0
	buffer_store_dword v6, off, s[20:23], 0 offset:36 ; 4-byte Folded Spill
	buffer_store_dword v7, off, s[20:23], 0 offset:40 ; 4-byte Folded Spill
	;; [unrolled: 1-line block ×4, first 2 shown]
	s_nop 0
	buffer_store_dword v54, off, s[20:23], 0 offset:636 ; 4-byte Folded Spill
	global_load_dwordx4 v[5:8], v[53:54], off
	s_waitcnt vmcnt(0)
	buffer_store_dword v5, off, s[20:23], 0 offset:16 ; 4-byte Folded Spill
	s_nop 0
	buffer_store_dword v6, off, s[20:23], 0 offset:20 ; 4-byte Folded Spill
	buffer_store_dword v7, off, s[20:23], 0 offset:24 ; 4-byte Folded Spill
	;; [unrolled: 1-line block ×4, first 2 shown]
	s_nop 0
	buffer_store_dword v56, off, s[20:23], 0 offset:644 ; 4-byte Folded Spill
	global_load_dwordx4 v[5:8], v[55:56], off
	s_waitcnt vmcnt(0)
	buffer_store_dword v5, off, s[20:23], 0 ; 4-byte Folded Spill
	s_nop 0
	buffer_store_dword v6, off, s[20:23], 0 offset:4 ; 4-byte Folded Spill
	buffer_store_dword v7, off, s[20:23], 0 offset:8 ; 4-byte Folded Spill
	buffer_store_dword v8, off, s[20:23], 0 offset:12 ; 4-byte Folded Spill
	buffer_store_dword v57, off, s[20:23], 0 offset:648 ; 4-byte Folded Spill
	s_nop 0
	buffer_store_dword v58, off, s[20:23], 0 offset:652 ; 4-byte Folded Spill
	global_load_dwordx4 v[65:68], v[57:58], off
	s_nop 0
	buffer_store_dword v59, off, s[20:23], 0 offset:656 ; 4-byte Folded Spill
	s_nop 0
	buffer_store_dword v60, off, s[20:23], 0 offset:660 ; 4-byte Folded Spill
	global_load_dwordx4 v[61:64], v[59:60], off
	s_nop 0
	buffer_store_dword v83, off, s[20:23], 0 offset:664 ; 4-byte Folded Spill
	;; [unrolled: 5-line block ×6, first 2 shown]
	s_nop 0
	buffer_store_dword v98, off, s[20:23], 0 offset:700 ; 4-byte Folded Spill
	v_mov_b32_e32 v96, v4
	v_mov_b32_e32 v95, v3
	;; [unrolled: 1-line block ×4, first 2 shown]
	global_load_dwordx4 v[41:44], v[97:98], off
	s_nop 0
	buffer_store_dword v99, off, s[20:23], 0 offset:704 ; 4-byte Folded Spill
	s_nop 0
	buffer_store_dword v100, off, s[20:23], 0 offset:708 ; 4-byte Folded Spill
	global_load_dwordx4 v[1:4], v[99:100], off
	s_nop 0
	buffer_store_dword v101, off, s[20:23], 0 offset:712 ; 4-byte Folded Spill
	s_nop 0
	buffer_store_dword v102, off, s[20:23], 0 offset:716 ; 4-byte Folded Spill
	;; [unrolled: 5-line block ×8, first 2 shown]
	v_mov_b32_e32 v112, v12
	v_mov_b32_e32 v111, v11
	;; [unrolled: 1-line block ×4, first 2 shown]
	global_load_dwordx4 v[9:12], v[113:114], off
	s_nop 0
	buffer_store_dword v115, off, s[20:23], 0 offset:768 ; 4-byte Folded Spill
	s_nop 0
	buffer_store_dword v116, off, s[20:23], 0 offset:772 ; 4-byte Folded Spill
	global_load_dwordx4 v[5:8], v[115:116], off
	s_nop 0
	buffer_store_dword v121, off, s[20:23], 0 offset:776 ; 4-byte Folded Spill
	s_nop 0
	buffer_store_dword v122, off, s[20:23], 0 offset:780 ; 4-byte Folded Spill
	v_mov_b32_e32 v116, v40
	v_mov_b32_e32 v115, v39
	v_mov_b32_e32 v114, v38
	v_mov_b32_e32 v113, v37
	s_waitcnt vmcnt(26)
	v_mov_b32_e32 v40, v4
	v_mov_b32_e32 v39, v3
	;; [unrolled: 1-line block ×4, first 2 shown]
	global_load_dwordx4 v[1:4], v[121:122], off
	s_nop 0
	buffer_store_dword v123, off, s[20:23], 0 offset:784 ; 4-byte Folded Spill
	s_nop 0
	buffer_store_dword v124, off, s[20:23], 0 offset:788 ; 4-byte Folded Spill
	global_load_dwordx4 v[73:76], v[123:124], off
	v_mov_b32_e32 v124, v72
	v_mov_b32_e32 v123, v71
	;; [unrolled: 1-line block ×4, first 2 shown]
	s_and_saveexec_b64 s[6:7], s[0:1]
	s_cbranch_execz .LBB99_8
; %bb.2:
	buffer_load_dword v69, off, s[20:23], 0 offset:416 ; 4-byte Folded Reload
	buffer_load_dword v70, off, s[20:23], 0 offset:420 ; 4-byte Folded Reload
	;; [unrolled: 1-line block ×4, first 2 shown]
	s_waitcnt vmcnt(0)
	ds_write2_b64 v127, v[69:70], v[71:72] offset1:1
	buffer_load_dword v69, off, s[20:23], 0 offset:400 ; 4-byte Folded Reload
	buffer_load_dword v70, off, s[20:23], 0 offset:404 ; 4-byte Folded Reload
	buffer_load_dword v71, off, s[20:23], 0 offset:408 ; 4-byte Folded Reload
	buffer_load_dword v72, off, s[20:23], 0 offset:412 ; 4-byte Folded Reload
	s_waitcnt vmcnt(0)
	ds_write2_b64 v125, v[69:70], v[71:72] offset0:2 offset1:3
	buffer_load_dword v69, off, s[20:23], 0 offset:384 ; 4-byte Folded Reload
	buffer_load_dword v70, off, s[20:23], 0 offset:388 ; 4-byte Folded Reload
	buffer_load_dword v71, off, s[20:23], 0 offset:392 ; 4-byte Folded Reload
	buffer_load_dword v72, off, s[20:23], 0 offset:396 ; 4-byte Folded Reload
	s_waitcnt vmcnt(0)
	ds_write2_b64 v125, v[69:70], v[71:72] offset0:4 offset1:5
	;; [unrolled: 6-line block ×23, first 2 shown]
	ds_write2_b64 v125, v[121:122], v[123:124] offset0:48 offset1:49
	ds_write2_b64 v125, v[117:118], v[119:120] offset0:50 offset1:51
	;; [unrolled: 1-line block ×5, first 2 shown]
	buffer_load_dword v77, off, s[20:23], 0 offset:32 ; 4-byte Folded Reload
	buffer_load_dword v78, off, s[20:23], 0 offset:36 ; 4-byte Folded Reload
	;; [unrolled: 1-line block ×4, first 2 shown]
	v_mov_b32_e32 v69, v73
	v_mov_b32_e32 v70, v74
	;; [unrolled: 1-line block ×4, first 2 shown]
	s_waitcnt vmcnt(0)
	ds_write2_b64 v125, v[77:78], v[79:80] offset0:58 offset1:59
	buffer_load_dword v73, off, s[20:23], 0 offset:16 ; 4-byte Folded Reload
	buffer_load_dword v74, off, s[20:23], 0 offset:20 ; 4-byte Folded Reload
	;; [unrolled: 1-line block ×4, first 2 shown]
	s_waitcnt vmcnt(0)
	ds_write2_b64 v125, v[73:74], v[75:76] offset0:60 offset1:61
	v_mov_b32_e32 v76, v72
	v_mov_b32_e32 v75, v71
	;; [unrolled: 1-line block ×4, first 2 shown]
	buffer_load_dword v69, off, s[20:23], 0 ; 4-byte Folded Reload
	buffer_load_dword v70, off, s[20:23], 0 offset:4 ; 4-byte Folded Reload
	buffer_load_dword v71, off, s[20:23], 0 offset:8 ; 4-byte Folded Reload
	;; [unrolled: 1-line block ×3, first 2 shown]
	s_waitcnt vmcnt(0)
	ds_write2_b64 v125, v[69:70], v[71:72] offset0:62 offset1:63
	ds_write2_b64 v125, v[65:66], v[67:68] offset0:64 offset1:65
	;; [unrolled: 1-line block ×19, first 2 shown]
	ds_read2_b64 v[97:100], v127 offset1:1
	s_waitcnt lgkmcnt(0)
	v_cmp_neq_f64_e32 vcc, 0, v[97:98]
	v_cmp_neq_f64_e64 s[4:5], 0, v[99:100]
	s_or_b64 s[4:5], vcc, s[4:5]
	s_and_b64 exec, exec, s[4:5]
	s_cbranch_execz .LBB99_8
; %bb.3:
	v_cmp_ngt_f64_e64 s[4:5], |v[97:98]|, |v[99:100]|
                                        ; implicit-def: $vgpr101_vgpr102
	s_and_saveexec_b64 s[8:9], s[4:5]
	s_xor_b64 s[4:5], exec, s[8:9]
                                        ; implicit-def: $vgpr103_vgpr104
	s_cbranch_execz .LBB99_5
; %bb.4:
	v_div_scale_f64 v[101:102], s[8:9], v[99:100], v[99:100], v[97:98]
	v_rcp_f64_e32 v[103:104], v[101:102]
	v_fma_f64 v[105:106], -v[101:102], v[103:104], 1.0
	v_fma_f64 v[103:104], v[103:104], v[105:106], v[103:104]
	v_div_scale_f64 v[105:106], vcc, v[97:98], v[99:100], v[97:98]
	v_fma_f64 v[107:108], -v[101:102], v[103:104], 1.0
	v_fma_f64 v[103:104], v[103:104], v[107:108], v[103:104]
	v_mul_f64 v[107:108], v[105:106], v[103:104]
	v_fma_f64 v[101:102], -v[101:102], v[107:108], v[105:106]
	v_div_fmas_f64 v[101:102], v[101:102], v[103:104], v[107:108]
	v_div_fixup_f64 v[101:102], v[101:102], v[99:100], v[97:98]
	v_fma_f64 v[97:98], v[97:98], v[101:102], v[99:100]
	v_div_scale_f64 v[99:100], s[8:9], v[97:98], v[97:98], 1.0
	v_div_scale_f64 v[107:108], vcc, 1.0, v[97:98], 1.0
	v_rcp_f64_e32 v[103:104], v[99:100]
	v_fma_f64 v[105:106], -v[99:100], v[103:104], 1.0
	v_fma_f64 v[103:104], v[103:104], v[105:106], v[103:104]
	v_fma_f64 v[105:106], -v[99:100], v[103:104], 1.0
	v_fma_f64 v[103:104], v[103:104], v[105:106], v[103:104]
	v_mul_f64 v[105:106], v[107:108], v[103:104]
	v_fma_f64 v[99:100], -v[99:100], v[105:106], v[107:108]
	v_div_fmas_f64 v[99:100], v[99:100], v[103:104], v[105:106]
	v_div_fixup_f64 v[103:104], v[99:100], v[97:98], 1.0
                                        ; implicit-def: $vgpr97_vgpr98
	v_mul_f64 v[101:102], v[101:102], v[103:104]
	v_xor_b32_e32 v104, 0x80000000, v104
.LBB99_5:
	s_andn2_saveexec_b64 s[4:5], s[4:5]
	s_cbranch_execz .LBB99_7
; %bb.6:
	v_div_scale_f64 v[101:102], s[8:9], v[97:98], v[97:98], v[99:100]
	v_rcp_f64_e32 v[103:104], v[101:102]
	v_fma_f64 v[105:106], -v[101:102], v[103:104], 1.0
	v_fma_f64 v[103:104], v[103:104], v[105:106], v[103:104]
	v_div_scale_f64 v[105:106], vcc, v[99:100], v[97:98], v[99:100]
	v_fma_f64 v[107:108], -v[101:102], v[103:104], 1.0
	v_fma_f64 v[103:104], v[103:104], v[107:108], v[103:104]
	v_mul_f64 v[107:108], v[105:106], v[103:104]
	v_fma_f64 v[101:102], -v[101:102], v[107:108], v[105:106]
	v_div_fmas_f64 v[101:102], v[101:102], v[103:104], v[107:108]
	v_div_fixup_f64 v[103:104], v[101:102], v[97:98], v[99:100]
	v_fma_f64 v[97:98], v[99:100], v[103:104], v[97:98]
	v_div_scale_f64 v[99:100], s[8:9], v[97:98], v[97:98], 1.0
	v_div_scale_f64 v[107:108], vcc, 1.0, v[97:98], 1.0
	v_rcp_f64_e32 v[101:102], v[99:100]
	v_fma_f64 v[105:106], -v[99:100], v[101:102], 1.0
	v_fma_f64 v[101:102], v[101:102], v[105:106], v[101:102]
	v_fma_f64 v[105:106], -v[99:100], v[101:102], 1.0
	v_fma_f64 v[101:102], v[101:102], v[105:106], v[101:102]
	v_mul_f64 v[105:106], v[107:108], v[101:102]
	v_fma_f64 v[99:100], -v[99:100], v[105:106], v[107:108]
	v_div_fmas_f64 v[99:100], v[99:100], v[101:102], v[105:106]
	v_div_fixup_f64 v[101:102], v[99:100], v[97:98], 1.0
	v_mul_f64 v[103:104], v[103:104], -v[101:102]
.LBB99_7:
	s_or_b64 exec, exec, s[4:5]
	ds_write2_b64 v127, v[101:102], v[103:104] offset1:1
.LBB99_8:
	s_or_b64 exec, exec, s[6:7]
	s_waitcnt vmcnt(0) lgkmcnt(0)
	s_barrier
	ds_read2_b64 v[69:72], v127 offset1:1
	s_waitcnt lgkmcnt(0)
	buffer_store_dword v69, off, s[20:23], 0 offset:824 ; 4-byte Folded Spill
	s_nop 0
	buffer_store_dword v70, off, s[20:23], 0 offset:828 ; 4-byte Folded Spill
	buffer_store_dword v71, off, s[20:23], 0 offset:832 ; 4-byte Folded Spill
	;; [unrolled: 1-line block ×3, first 2 shown]
	s_and_saveexec_b64 s[4:5], s[2:3]
	s_cbranch_execz .LBB99_10
; %bb.9:
	buffer_load_dword v103, off, s[20:23], 0 offset:416 ; 4-byte Folded Reload
	buffer_load_dword v104, off, s[20:23], 0 offset:420 ; 4-byte Folded Reload
	;; [unrolled: 1-line block ×8, first 2 shown]
	s_waitcnt vmcnt(2)
	v_mul_f64 v[99:100], v[69:70], v[105:106]
	s_waitcnt vmcnt(0)
	v_mul_f64 v[97:98], v[71:72], v[105:106]
	v_fma_f64 v[105:106], v[71:72], v[103:104], v[99:100]
	ds_read2_b64 v[99:102], v125 offset0:2 offset1:3
	v_fma_f64 v[97:98], v[69:70], v[103:104], -v[97:98]
	buffer_load_dword v69, off, s[20:23], 0 offset:400 ; 4-byte Folded Reload
	buffer_load_dword v70, off, s[20:23], 0 offset:404 ; 4-byte Folded Reload
	buffer_load_dword v71, off, s[20:23], 0 offset:408 ; 4-byte Folded Reload
	buffer_load_dword v72, off, s[20:23], 0 offset:412 ; 4-byte Folded Reload
	s_waitcnt lgkmcnt(0)
	v_mul_f64 v[103:104], v[101:102], v[105:106]
	v_fma_f64 v[103:104], v[99:100], v[97:98], -v[103:104]
	v_mul_f64 v[99:100], v[99:100], v[105:106]
	v_fma_f64 v[99:100], v[101:102], v[97:98], v[99:100]
	s_waitcnt vmcnt(2)
	v_add_f64 v[69:70], v[69:70], -v[103:104]
	s_waitcnt vmcnt(0)
	v_add_f64 v[71:72], v[71:72], -v[99:100]
	buffer_store_dword v69, off, s[20:23], 0 offset:400 ; 4-byte Folded Spill
	s_nop 0
	buffer_store_dword v70, off, s[20:23], 0 offset:404 ; 4-byte Folded Spill
	buffer_store_dword v71, off, s[20:23], 0 offset:408 ; 4-byte Folded Spill
	buffer_store_dword v72, off, s[20:23], 0 offset:412 ; 4-byte Folded Spill
	ds_read2_b64 v[99:102], v125 offset0:4 offset1:5
	buffer_load_dword v69, off, s[20:23], 0 offset:384 ; 4-byte Folded Reload
	buffer_load_dword v70, off, s[20:23], 0 offset:388 ; 4-byte Folded Reload
	buffer_load_dword v71, off, s[20:23], 0 offset:392 ; 4-byte Folded Reload
	buffer_load_dword v72, off, s[20:23], 0 offset:396 ; 4-byte Folded Reload
	s_waitcnt lgkmcnt(0)
	v_mul_f64 v[103:104], v[101:102], v[105:106]
	v_fma_f64 v[103:104], v[99:100], v[97:98], -v[103:104]
	v_mul_f64 v[99:100], v[99:100], v[105:106]
	v_fma_f64 v[99:100], v[101:102], v[97:98], v[99:100]
	s_waitcnt vmcnt(2)
	v_add_f64 v[69:70], v[69:70], -v[103:104]
	s_waitcnt vmcnt(0)
	v_add_f64 v[71:72], v[71:72], -v[99:100]
	buffer_store_dword v69, off, s[20:23], 0 offset:384 ; 4-byte Folded Spill
	s_nop 0
	buffer_store_dword v70, off, s[20:23], 0 offset:388 ; 4-byte Folded Spill
	buffer_store_dword v71, off, s[20:23], 0 offset:392 ; 4-byte Folded Spill
	buffer_store_dword v72, off, s[20:23], 0 offset:396 ; 4-byte Folded Spill
	ds_read2_b64 v[99:102], v125 offset0:6 offset1:7
	;; [unrolled: 19-line block ×23, first 2 shown]
	v_mov_b32_e32 v69, v73
	v_mov_b32_e32 v70, v74
	;; [unrolled: 1-line block ×4, first 2 shown]
	s_waitcnt lgkmcnt(0)
	v_mul_f64 v[103:104], v[101:102], v[105:106]
	v_fma_f64 v[103:104], v[99:100], v[97:98], -v[103:104]
	v_mul_f64 v[99:100], v[99:100], v[105:106]
	v_add_f64 v[121:122], v[121:122], -v[103:104]
	v_fma_f64 v[99:100], v[101:102], v[97:98], v[99:100]
	v_add_f64 v[123:124], v[123:124], -v[99:100]
	ds_read2_b64 v[99:102], v125 offset0:50 offset1:51
	s_waitcnt lgkmcnt(0)
	v_mul_f64 v[103:104], v[101:102], v[105:106]
	v_fma_f64 v[103:104], v[99:100], v[97:98], -v[103:104]
	v_mul_f64 v[99:100], v[99:100], v[105:106]
	v_add_f64 v[117:118], v[117:118], -v[103:104]
	v_fma_f64 v[99:100], v[101:102], v[97:98], v[99:100]
	v_add_f64 v[119:120], v[119:120], -v[99:100]
	ds_read2_b64 v[99:102], v125 offset0:52 offset1:53
	;; [unrolled: 8-line block ×5, first 2 shown]
	buffer_load_dword v77, off, s[20:23], 0 offset:32 ; 4-byte Folded Reload
	buffer_load_dword v78, off, s[20:23], 0 offset:36 ; 4-byte Folded Reload
	;; [unrolled: 1-line block ×4, first 2 shown]
	s_waitcnt lgkmcnt(0)
	v_mul_f64 v[103:104], v[101:102], v[105:106]
	v_fma_f64 v[103:104], v[99:100], v[97:98], -v[103:104]
	v_mul_f64 v[99:100], v[99:100], v[105:106]
	v_fma_f64 v[99:100], v[101:102], v[97:98], v[99:100]
	s_waitcnt vmcnt(2)
	v_add_f64 v[77:78], v[77:78], -v[103:104]
	s_waitcnt vmcnt(0)
	v_add_f64 v[79:80], v[79:80], -v[99:100]
	buffer_store_dword v77, off, s[20:23], 0 offset:32 ; 4-byte Folded Spill
	s_nop 0
	buffer_store_dword v78, off, s[20:23], 0 offset:36 ; 4-byte Folded Spill
	buffer_store_dword v79, off, s[20:23], 0 offset:40 ; 4-byte Folded Spill
	;; [unrolled: 1-line block ×3, first 2 shown]
	ds_read2_b64 v[99:102], v125 offset0:60 offset1:61
	buffer_load_dword v73, off, s[20:23], 0 offset:16 ; 4-byte Folded Reload
	buffer_load_dword v74, off, s[20:23], 0 offset:20 ; 4-byte Folded Reload
	;; [unrolled: 1-line block ×4, first 2 shown]
	s_waitcnt lgkmcnt(0)
	v_mul_f64 v[103:104], v[101:102], v[105:106]
	v_fma_f64 v[103:104], v[99:100], v[97:98], -v[103:104]
	v_mul_f64 v[99:100], v[99:100], v[105:106]
	v_fma_f64 v[99:100], v[101:102], v[97:98], v[99:100]
	s_waitcnt vmcnt(2)
	v_add_f64 v[73:74], v[73:74], -v[103:104]
	s_waitcnt vmcnt(0)
	v_add_f64 v[75:76], v[75:76], -v[99:100]
	buffer_store_dword v73, off, s[20:23], 0 offset:16 ; 4-byte Folded Spill
	s_nop 0
	buffer_store_dword v74, off, s[20:23], 0 offset:20 ; 4-byte Folded Spill
	buffer_store_dword v75, off, s[20:23], 0 offset:24 ; 4-byte Folded Spill
	;; [unrolled: 1-line block ×3, first 2 shown]
	v_mov_b32_e32 v76, v72
	v_mov_b32_e32 v75, v71
	v_mov_b32_e32 v74, v70
	v_mov_b32_e32 v73, v69
	ds_read2_b64 v[99:102], v125 offset0:62 offset1:63
	buffer_load_dword v69, off, s[20:23], 0 ; 4-byte Folded Reload
	buffer_load_dword v70, off, s[20:23], 0 offset:4 ; 4-byte Folded Reload
	buffer_load_dword v71, off, s[20:23], 0 offset:8 ; 4-byte Folded Reload
	;; [unrolled: 1-line block ×3, first 2 shown]
	s_waitcnt lgkmcnt(0)
	v_mul_f64 v[103:104], v[101:102], v[105:106]
	v_fma_f64 v[103:104], v[99:100], v[97:98], -v[103:104]
	v_mul_f64 v[99:100], v[99:100], v[105:106]
	v_fma_f64 v[99:100], v[101:102], v[97:98], v[99:100]
	s_waitcnt vmcnt(2)
	v_add_f64 v[69:70], v[69:70], -v[103:104]
	s_waitcnt vmcnt(0)
	v_add_f64 v[71:72], v[71:72], -v[99:100]
	buffer_store_dword v69, off, s[20:23], 0 ; 4-byte Folded Spill
	s_nop 0
	buffer_store_dword v70, off, s[20:23], 0 offset:4 ; 4-byte Folded Spill
	buffer_store_dword v71, off, s[20:23], 0 offset:8 ; 4-byte Folded Spill
	;; [unrolled: 1-line block ×3, first 2 shown]
	ds_read2_b64 v[99:102], v125 offset0:64 offset1:65
	s_waitcnt lgkmcnt(0)
	v_mul_f64 v[103:104], v[101:102], v[105:106]
	v_fma_f64 v[103:104], v[99:100], v[97:98], -v[103:104]
	v_mul_f64 v[99:100], v[99:100], v[105:106]
	v_add_f64 v[65:66], v[65:66], -v[103:104]
	v_fma_f64 v[99:100], v[101:102], v[97:98], v[99:100]
	v_add_f64 v[67:68], v[67:68], -v[99:100]
	ds_read2_b64 v[99:102], v125 offset0:66 offset1:67
	s_waitcnt lgkmcnt(0)
	v_mul_f64 v[103:104], v[101:102], v[105:106]
	v_fma_f64 v[103:104], v[99:100], v[97:98], -v[103:104]
	v_mul_f64 v[99:100], v[99:100], v[105:106]
	v_add_f64 v[61:62], v[61:62], -v[103:104]
	v_fma_f64 v[99:100], v[101:102], v[97:98], v[99:100]
	v_add_f64 v[63:64], v[63:64], -v[99:100]
	;; [unrolled: 8-line block ×16, first 2 shown]
	ds_read2_b64 v[99:102], v125 offset0:96 offset1:97
	s_waitcnt lgkmcnt(0)
	v_mul_f64 v[103:104], v[101:102], v[105:106]
	v_fma_f64 v[103:104], v[99:100], v[97:98], -v[103:104]
	v_mul_f64 v[99:100], v[99:100], v[105:106]
	v_add_f64 v[1:2], v[1:2], -v[103:104]
	v_fma_f64 v[99:100], v[101:102], v[97:98], v[99:100]
	ds_read2_b64 v[101:104], v125 offset0:98 offset1:99
	v_add_f64 v[3:4], v[3:4], -v[99:100]
	s_waitcnt lgkmcnt(0)
	v_mul_f64 v[99:100], v[103:104], v[105:106]
	v_fma_f64 v[99:100], v[101:102], v[97:98], -v[99:100]
	v_mul_f64 v[101:102], v[101:102], v[105:106]
	v_add_f64 v[73:74], v[73:74], -v[99:100]
	v_fma_f64 v[101:102], v[103:104], v[97:98], v[101:102]
	v_mov_b32_e32 v104, v98
	v_mov_b32_e32 v103, v97
	buffer_store_dword v103, off, s[20:23], 0 offset:416 ; 4-byte Folded Spill
	s_nop 0
	buffer_store_dword v104, off, s[20:23], 0 offset:420 ; 4-byte Folded Spill
	buffer_store_dword v105, off, s[20:23], 0 offset:424 ; 4-byte Folded Spill
	;; [unrolled: 1-line block ×3, first 2 shown]
	v_add_f64 v[75:76], v[75:76], -v[101:102]
.LBB99_10:
	s_or_b64 exec, exec, s[4:5]
	v_cmp_eq_u32_e32 vcc, 1, v0
	s_waitcnt vmcnt(0)
	s_barrier
	s_and_saveexec_b64 s[4:5], vcc
	s_cbranch_execz .LBB99_17
; %bb.11:
	buffer_load_dword v69, off, s[20:23], 0 offset:400 ; 4-byte Folded Reload
	buffer_load_dword v70, off, s[20:23], 0 offset:404 ; 4-byte Folded Reload
	;; [unrolled: 1-line block ×4, first 2 shown]
	s_waitcnt vmcnt(0)
	ds_write2_b64 v127, v[69:70], v[71:72] offset1:1
	buffer_load_dword v69, off, s[20:23], 0 offset:384 ; 4-byte Folded Reload
	buffer_load_dword v70, off, s[20:23], 0 offset:388 ; 4-byte Folded Reload
	buffer_load_dword v71, off, s[20:23], 0 offset:392 ; 4-byte Folded Reload
	buffer_load_dword v72, off, s[20:23], 0 offset:396 ; 4-byte Folded Reload
	s_waitcnt vmcnt(0)
	ds_write2_b64 v125, v[69:70], v[71:72] offset0:4 offset1:5
	buffer_load_dword v69, off, s[20:23], 0 offset:368 ; 4-byte Folded Reload
	buffer_load_dword v70, off, s[20:23], 0 offset:372 ; 4-byte Folded Reload
	buffer_load_dword v71, off, s[20:23], 0 offset:376 ; 4-byte Folded Reload
	buffer_load_dword v72, off, s[20:23], 0 offset:380 ; 4-byte Folded Reload
	s_waitcnt vmcnt(0)
	ds_write2_b64 v125, v[69:70], v[71:72] offset0:6 offset1:7
	;; [unrolled: 6-line block ×22, first 2 shown]
	ds_write2_b64 v125, v[121:122], v[123:124] offset0:48 offset1:49
	ds_write2_b64 v125, v[117:118], v[119:120] offset0:50 offset1:51
	;; [unrolled: 1-line block ×5, first 2 shown]
	buffer_load_dword v77, off, s[20:23], 0 offset:32 ; 4-byte Folded Reload
	buffer_load_dword v78, off, s[20:23], 0 offset:36 ; 4-byte Folded Reload
	;; [unrolled: 1-line block ×4, first 2 shown]
	v_mov_b32_e32 v69, v73
	v_mov_b32_e32 v70, v74
	;; [unrolled: 1-line block ×4, first 2 shown]
	s_waitcnt vmcnt(0)
	ds_write2_b64 v125, v[77:78], v[79:80] offset0:58 offset1:59
	buffer_load_dword v73, off, s[20:23], 0 offset:16 ; 4-byte Folded Reload
	buffer_load_dword v74, off, s[20:23], 0 offset:20 ; 4-byte Folded Reload
	;; [unrolled: 1-line block ×4, first 2 shown]
	s_waitcnt vmcnt(0)
	ds_write2_b64 v125, v[73:74], v[75:76] offset0:60 offset1:61
	v_mov_b32_e32 v76, v72
	v_mov_b32_e32 v75, v71
	;; [unrolled: 1-line block ×4, first 2 shown]
	buffer_load_dword v69, off, s[20:23], 0 ; 4-byte Folded Reload
	buffer_load_dword v70, off, s[20:23], 0 offset:4 ; 4-byte Folded Reload
	buffer_load_dword v71, off, s[20:23], 0 offset:8 ; 4-byte Folded Reload
	buffer_load_dword v72, off, s[20:23], 0 offset:12 ; 4-byte Folded Reload
	s_waitcnt vmcnt(0)
	ds_write2_b64 v125, v[69:70], v[71:72] offset0:62 offset1:63
	ds_write2_b64 v125, v[65:66], v[67:68] offset0:64 offset1:65
	;; [unrolled: 1-line block ×19, first 2 shown]
	ds_read2_b64 v[97:100], v127 offset1:1
	s_waitcnt lgkmcnt(0)
	v_cmp_neq_f64_e32 vcc, 0, v[97:98]
	v_cmp_neq_f64_e64 s[2:3], 0, v[99:100]
	s_or_b64 s[2:3], vcc, s[2:3]
	s_and_b64 exec, exec, s[2:3]
	s_cbranch_execz .LBB99_17
; %bb.12:
	v_cmp_ngt_f64_e64 s[2:3], |v[97:98]|, |v[99:100]|
                                        ; implicit-def: $vgpr101_vgpr102
	s_and_saveexec_b64 s[6:7], s[2:3]
	s_xor_b64 s[2:3], exec, s[6:7]
                                        ; implicit-def: $vgpr103_vgpr104
	s_cbranch_execz .LBB99_14
; %bb.13:
	v_div_scale_f64 v[101:102], s[6:7], v[99:100], v[99:100], v[97:98]
	v_rcp_f64_e32 v[103:104], v[101:102]
	v_fma_f64 v[105:106], -v[101:102], v[103:104], 1.0
	v_fma_f64 v[103:104], v[103:104], v[105:106], v[103:104]
	v_div_scale_f64 v[105:106], vcc, v[97:98], v[99:100], v[97:98]
	v_fma_f64 v[107:108], -v[101:102], v[103:104], 1.0
	v_fma_f64 v[103:104], v[103:104], v[107:108], v[103:104]
	v_mul_f64 v[107:108], v[105:106], v[103:104]
	v_fma_f64 v[101:102], -v[101:102], v[107:108], v[105:106]
	v_div_fmas_f64 v[101:102], v[101:102], v[103:104], v[107:108]
	v_div_fixup_f64 v[101:102], v[101:102], v[99:100], v[97:98]
	v_fma_f64 v[97:98], v[97:98], v[101:102], v[99:100]
	v_div_scale_f64 v[99:100], s[6:7], v[97:98], v[97:98], 1.0
	v_div_scale_f64 v[107:108], vcc, 1.0, v[97:98], 1.0
	v_rcp_f64_e32 v[103:104], v[99:100]
	v_fma_f64 v[105:106], -v[99:100], v[103:104], 1.0
	v_fma_f64 v[103:104], v[103:104], v[105:106], v[103:104]
	v_fma_f64 v[105:106], -v[99:100], v[103:104], 1.0
	v_fma_f64 v[103:104], v[103:104], v[105:106], v[103:104]
	v_mul_f64 v[105:106], v[107:108], v[103:104]
	v_fma_f64 v[99:100], -v[99:100], v[105:106], v[107:108]
	v_div_fmas_f64 v[99:100], v[99:100], v[103:104], v[105:106]
	v_div_fixup_f64 v[103:104], v[99:100], v[97:98], 1.0
                                        ; implicit-def: $vgpr97_vgpr98
	v_mul_f64 v[101:102], v[101:102], v[103:104]
	v_xor_b32_e32 v104, 0x80000000, v104
.LBB99_14:
	s_andn2_saveexec_b64 s[2:3], s[2:3]
	s_cbranch_execz .LBB99_16
; %bb.15:
	v_div_scale_f64 v[101:102], s[6:7], v[97:98], v[97:98], v[99:100]
	v_rcp_f64_e32 v[103:104], v[101:102]
	v_fma_f64 v[105:106], -v[101:102], v[103:104], 1.0
	v_fma_f64 v[103:104], v[103:104], v[105:106], v[103:104]
	v_div_scale_f64 v[105:106], vcc, v[99:100], v[97:98], v[99:100]
	v_fma_f64 v[107:108], -v[101:102], v[103:104], 1.0
	v_fma_f64 v[103:104], v[103:104], v[107:108], v[103:104]
	v_mul_f64 v[107:108], v[105:106], v[103:104]
	v_fma_f64 v[101:102], -v[101:102], v[107:108], v[105:106]
	v_div_fmas_f64 v[101:102], v[101:102], v[103:104], v[107:108]
	v_div_fixup_f64 v[103:104], v[101:102], v[97:98], v[99:100]
	v_fma_f64 v[97:98], v[99:100], v[103:104], v[97:98]
	v_div_scale_f64 v[99:100], s[6:7], v[97:98], v[97:98], 1.0
	v_div_scale_f64 v[107:108], vcc, 1.0, v[97:98], 1.0
	v_rcp_f64_e32 v[101:102], v[99:100]
	v_fma_f64 v[105:106], -v[99:100], v[101:102], 1.0
	v_fma_f64 v[101:102], v[101:102], v[105:106], v[101:102]
	v_fma_f64 v[105:106], -v[99:100], v[101:102], 1.0
	v_fma_f64 v[101:102], v[101:102], v[105:106], v[101:102]
	v_mul_f64 v[105:106], v[107:108], v[101:102]
	v_fma_f64 v[99:100], -v[99:100], v[105:106], v[107:108]
	v_div_fmas_f64 v[99:100], v[99:100], v[101:102], v[105:106]
	v_div_fixup_f64 v[101:102], v[99:100], v[97:98], 1.0
	v_mul_f64 v[103:104], v[103:104], -v[101:102]
.LBB99_16:
	s_or_b64 exec, exec, s[2:3]
	ds_write2_b64 v127, v[101:102], v[103:104] offset1:1
.LBB99_17:
	s_or_b64 exec, exec, s[4:5]
	s_waitcnt lgkmcnt(0)
	s_barrier
	ds_read2_b64 v[69:72], v127 offset1:1
	v_cmp_lt_u32_e32 vcc, 1, v0
	s_waitcnt lgkmcnt(0)
	buffer_store_dword v69, off, s[20:23], 0 offset:840 ; 4-byte Folded Spill
	s_nop 0
	buffer_store_dword v70, off, s[20:23], 0 offset:844 ; 4-byte Folded Spill
	buffer_store_dword v71, off, s[20:23], 0 offset:848 ; 4-byte Folded Spill
	;; [unrolled: 1-line block ×3, first 2 shown]
	s_and_saveexec_b64 s[2:3], vcc
	s_cbranch_execz .LBB99_19
; %bb.18:
	buffer_load_dword v103, off, s[20:23], 0 offset:400 ; 4-byte Folded Reload
	buffer_load_dword v104, off, s[20:23], 0 offset:404 ; 4-byte Folded Reload
	;; [unrolled: 1-line block ×8, first 2 shown]
	s_waitcnt vmcnt(2)
	v_mul_f64 v[99:100], v[69:70], v[105:106]
	s_waitcnt vmcnt(0)
	v_mul_f64 v[97:98], v[71:72], v[105:106]
	v_fma_f64 v[105:106], v[71:72], v[103:104], v[99:100]
	ds_read2_b64 v[99:102], v125 offset0:4 offset1:5
	v_fma_f64 v[97:98], v[69:70], v[103:104], -v[97:98]
	buffer_load_dword v69, off, s[20:23], 0 offset:384 ; 4-byte Folded Reload
	buffer_load_dword v70, off, s[20:23], 0 offset:388 ; 4-byte Folded Reload
	buffer_load_dword v71, off, s[20:23], 0 offset:392 ; 4-byte Folded Reload
	buffer_load_dword v72, off, s[20:23], 0 offset:396 ; 4-byte Folded Reload
	s_waitcnt lgkmcnt(0)
	v_mul_f64 v[103:104], v[101:102], v[105:106]
	v_fma_f64 v[103:104], v[99:100], v[97:98], -v[103:104]
	v_mul_f64 v[99:100], v[99:100], v[105:106]
	v_fma_f64 v[99:100], v[101:102], v[97:98], v[99:100]
	s_waitcnt vmcnt(2)
	v_add_f64 v[69:70], v[69:70], -v[103:104]
	s_waitcnt vmcnt(0)
	v_add_f64 v[71:72], v[71:72], -v[99:100]
	buffer_store_dword v69, off, s[20:23], 0 offset:384 ; 4-byte Folded Spill
	s_nop 0
	buffer_store_dword v70, off, s[20:23], 0 offset:388 ; 4-byte Folded Spill
	buffer_store_dword v71, off, s[20:23], 0 offset:392 ; 4-byte Folded Spill
	buffer_store_dword v72, off, s[20:23], 0 offset:396 ; 4-byte Folded Spill
	ds_read2_b64 v[99:102], v125 offset0:6 offset1:7
	buffer_load_dword v69, off, s[20:23], 0 offset:368 ; 4-byte Folded Reload
	buffer_load_dword v70, off, s[20:23], 0 offset:372 ; 4-byte Folded Reload
	buffer_load_dword v71, off, s[20:23], 0 offset:376 ; 4-byte Folded Reload
	buffer_load_dword v72, off, s[20:23], 0 offset:380 ; 4-byte Folded Reload
	s_waitcnt lgkmcnt(0)
	v_mul_f64 v[103:104], v[101:102], v[105:106]
	v_fma_f64 v[103:104], v[99:100], v[97:98], -v[103:104]
	v_mul_f64 v[99:100], v[99:100], v[105:106]
	v_fma_f64 v[99:100], v[101:102], v[97:98], v[99:100]
	s_waitcnt vmcnt(2)
	v_add_f64 v[69:70], v[69:70], -v[103:104]
	s_waitcnt vmcnt(0)
	v_add_f64 v[71:72], v[71:72], -v[99:100]
	buffer_store_dword v69, off, s[20:23], 0 offset:368 ; 4-byte Folded Spill
	s_nop 0
	buffer_store_dword v70, off, s[20:23], 0 offset:372 ; 4-byte Folded Spill
	buffer_store_dword v71, off, s[20:23], 0 offset:376 ; 4-byte Folded Spill
	buffer_store_dword v72, off, s[20:23], 0 offset:380 ; 4-byte Folded Spill
	ds_read2_b64 v[99:102], v125 offset0:8 offset1:9
	;; [unrolled: 19-line block ×22, first 2 shown]
	v_mov_b32_e32 v69, v73
	v_mov_b32_e32 v70, v74
	v_mov_b32_e32 v71, v75
	v_mov_b32_e32 v72, v76
	s_waitcnt lgkmcnt(0)
	v_mul_f64 v[103:104], v[101:102], v[105:106]
	v_fma_f64 v[103:104], v[99:100], v[97:98], -v[103:104]
	v_mul_f64 v[99:100], v[99:100], v[105:106]
	v_add_f64 v[121:122], v[121:122], -v[103:104]
	v_fma_f64 v[99:100], v[101:102], v[97:98], v[99:100]
	v_add_f64 v[123:124], v[123:124], -v[99:100]
	ds_read2_b64 v[99:102], v125 offset0:50 offset1:51
	s_waitcnt lgkmcnt(0)
	v_mul_f64 v[103:104], v[101:102], v[105:106]
	v_fma_f64 v[103:104], v[99:100], v[97:98], -v[103:104]
	v_mul_f64 v[99:100], v[99:100], v[105:106]
	v_add_f64 v[117:118], v[117:118], -v[103:104]
	v_fma_f64 v[99:100], v[101:102], v[97:98], v[99:100]
	v_add_f64 v[119:120], v[119:120], -v[99:100]
	ds_read2_b64 v[99:102], v125 offset0:52 offset1:53
	;; [unrolled: 8-line block ×5, first 2 shown]
	buffer_load_dword v77, off, s[20:23], 0 offset:32 ; 4-byte Folded Reload
	buffer_load_dword v78, off, s[20:23], 0 offset:36 ; 4-byte Folded Reload
	;; [unrolled: 1-line block ×4, first 2 shown]
	s_waitcnt lgkmcnt(0)
	v_mul_f64 v[103:104], v[101:102], v[105:106]
	v_fma_f64 v[103:104], v[99:100], v[97:98], -v[103:104]
	v_mul_f64 v[99:100], v[99:100], v[105:106]
	v_fma_f64 v[99:100], v[101:102], v[97:98], v[99:100]
	s_waitcnt vmcnt(2)
	v_add_f64 v[77:78], v[77:78], -v[103:104]
	s_waitcnt vmcnt(0)
	v_add_f64 v[79:80], v[79:80], -v[99:100]
	buffer_store_dword v77, off, s[20:23], 0 offset:32 ; 4-byte Folded Spill
	s_nop 0
	buffer_store_dword v78, off, s[20:23], 0 offset:36 ; 4-byte Folded Spill
	buffer_store_dword v79, off, s[20:23], 0 offset:40 ; 4-byte Folded Spill
	;; [unrolled: 1-line block ×3, first 2 shown]
	ds_read2_b64 v[99:102], v125 offset0:60 offset1:61
	buffer_load_dword v73, off, s[20:23], 0 offset:16 ; 4-byte Folded Reload
	buffer_load_dword v74, off, s[20:23], 0 offset:20 ; 4-byte Folded Reload
	;; [unrolled: 1-line block ×4, first 2 shown]
	s_waitcnt lgkmcnt(0)
	v_mul_f64 v[103:104], v[101:102], v[105:106]
	v_fma_f64 v[103:104], v[99:100], v[97:98], -v[103:104]
	v_mul_f64 v[99:100], v[99:100], v[105:106]
	v_fma_f64 v[99:100], v[101:102], v[97:98], v[99:100]
	s_waitcnt vmcnt(2)
	v_add_f64 v[73:74], v[73:74], -v[103:104]
	s_waitcnt vmcnt(0)
	v_add_f64 v[75:76], v[75:76], -v[99:100]
	buffer_store_dword v73, off, s[20:23], 0 offset:16 ; 4-byte Folded Spill
	s_nop 0
	buffer_store_dword v74, off, s[20:23], 0 offset:20 ; 4-byte Folded Spill
	buffer_store_dword v75, off, s[20:23], 0 offset:24 ; 4-byte Folded Spill
	;; [unrolled: 1-line block ×3, first 2 shown]
	v_mov_b32_e32 v76, v72
	v_mov_b32_e32 v75, v71
	;; [unrolled: 1-line block ×4, first 2 shown]
	ds_read2_b64 v[99:102], v125 offset0:62 offset1:63
	buffer_load_dword v69, off, s[20:23], 0 ; 4-byte Folded Reload
	buffer_load_dword v70, off, s[20:23], 0 offset:4 ; 4-byte Folded Reload
	buffer_load_dword v71, off, s[20:23], 0 offset:8 ; 4-byte Folded Reload
	;; [unrolled: 1-line block ×3, first 2 shown]
	s_waitcnt lgkmcnt(0)
	v_mul_f64 v[103:104], v[101:102], v[105:106]
	v_fma_f64 v[103:104], v[99:100], v[97:98], -v[103:104]
	v_mul_f64 v[99:100], v[99:100], v[105:106]
	v_fma_f64 v[99:100], v[101:102], v[97:98], v[99:100]
	s_waitcnt vmcnt(2)
	v_add_f64 v[69:70], v[69:70], -v[103:104]
	s_waitcnt vmcnt(0)
	v_add_f64 v[71:72], v[71:72], -v[99:100]
	buffer_store_dword v69, off, s[20:23], 0 ; 4-byte Folded Spill
	s_nop 0
	buffer_store_dword v70, off, s[20:23], 0 offset:4 ; 4-byte Folded Spill
	buffer_store_dword v71, off, s[20:23], 0 offset:8 ; 4-byte Folded Spill
	;; [unrolled: 1-line block ×3, first 2 shown]
	ds_read2_b64 v[99:102], v125 offset0:64 offset1:65
	s_waitcnt lgkmcnt(0)
	v_mul_f64 v[103:104], v[101:102], v[105:106]
	v_fma_f64 v[103:104], v[99:100], v[97:98], -v[103:104]
	v_mul_f64 v[99:100], v[99:100], v[105:106]
	v_add_f64 v[65:66], v[65:66], -v[103:104]
	v_fma_f64 v[99:100], v[101:102], v[97:98], v[99:100]
	v_add_f64 v[67:68], v[67:68], -v[99:100]
	ds_read2_b64 v[99:102], v125 offset0:66 offset1:67
	s_waitcnt lgkmcnt(0)
	v_mul_f64 v[103:104], v[101:102], v[105:106]
	v_fma_f64 v[103:104], v[99:100], v[97:98], -v[103:104]
	v_mul_f64 v[99:100], v[99:100], v[105:106]
	v_add_f64 v[61:62], v[61:62], -v[103:104]
	v_fma_f64 v[99:100], v[101:102], v[97:98], v[99:100]
	v_add_f64 v[63:64], v[63:64], -v[99:100]
	;; [unrolled: 8-line block ×16, first 2 shown]
	ds_read2_b64 v[99:102], v125 offset0:96 offset1:97
	s_waitcnt lgkmcnt(0)
	v_mul_f64 v[103:104], v[101:102], v[105:106]
	v_fma_f64 v[103:104], v[99:100], v[97:98], -v[103:104]
	v_mul_f64 v[99:100], v[99:100], v[105:106]
	v_add_f64 v[1:2], v[1:2], -v[103:104]
	v_fma_f64 v[99:100], v[101:102], v[97:98], v[99:100]
	ds_read2_b64 v[101:104], v125 offset0:98 offset1:99
	v_add_f64 v[3:4], v[3:4], -v[99:100]
	s_waitcnt lgkmcnt(0)
	v_mul_f64 v[99:100], v[103:104], v[105:106]
	v_fma_f64 v[99:100], v[101:102], v[97:98], -v[99:100]
	v_mul_f64 v[101:102], v[101:102], v[105:106]
	v_add_f64 v[73:74], v[73:74], -v[99:100]
	v_fma_f64 v[101:102], v[103:104], v[97:98], v[101:102]
	v_mov_b32_e32 v104, v98
	v_mov_b32_e32 v103, v97
	buffer_store_dword v103, off, s[20:23], 0 offset:400 ; 4-byte Folded Spill
	s_nop 0
	buffer_store_dword v104, off, s[20:23], 0 offset:404 ; 4-byte Folded Spill
	buffer_store_dword v105, off, s[20:23], 0 offset:408 ; 4-byte Folded Spill
	;; [unrolled: 1-line block ×3, first 2 shown]
	v_add_f64 v[75:76], v[75:76], -v[101:102]
.LBB99_19:
	s_or_b64 exec, exec, s[2:3]
	v_cmp_eq_u32_e32 vcc, 2, v0
	s_waitcnt vmcnt(0)
	s_barrier
	s_and_saveexec_b64 s[4:5], vcc
	s_cbranch_execz .LBB99_26
; %bb.20:
	buffer_load_dword v69, off, s[20:23], 0 offset:384 ; 4-byte Folded Reload
	buffer_load_dword v70, off, s[20:23], 0 offset:388 ; 4-byte Folded Reload
	;; [unrolled: 1-line block ×4, first 2 shown]
	s_waitcnt vmcnt(0)
	ds_write2_b64 v127, v[69:70], v[71:72] offset1:1
	buffer_load_dword v69, off, s[20:23], 0 offset:368 ; 4-byte Folded Reload
	buffer_load_dword v70, off, s[20:23], 0 offset:372 ; 4-byte Folded Reload
	buffer_load_dword v71, off, s[20:23], 0 offset:376 ; 4-byte Folded Reload
	buffer_load_dword v72, off, s[20:23], 0 offset:380 ; 4-byte Folded Reload
	s_waitcnt vmcnt(0)
	ds_write2_b64 v125, v[69:70], v[71:72] offset0:6 offset1:7
	buffer_load_dword v69, off, s[20:23], 0 offset:352 ; 4-byte Folded Reload
	buffer_load_dword v70, off, s[20:23], 0 offset:356 ; 4-byte Folded Reload
	buffer_load_dword v71, off, s[20:23], 0 offset:360 ; 4-byte Folded Reload
	buffer_load_dword v72, off, s[20:23], 0 offset:364 ; 4-byte Folded Reload
	s_waitcnt vmcnt(0)
	ds_write2_b64 v125, v[69:70], v[71:72] offset0:8 offset1:9
	buffer_load_dword v69, off, s[20:23], 0 offset:336 ; 4-byte Folded Reload
	buffer_load_dword v70, off, s[20:23], 0 offset:340 ; 4-byte Folded Reload
	buffer_load_dword v71, off, s[20:23], 0 offset:344 ; 4-byte Folded Reload
	buffer_load_dword v72, off, s[20:23], 0 offset:348 ; 4-byte Folded Reload
	s_waitcnt vmcnt(0)
	ds_write2_b64 v125, v[69:70], v[71:72] offset0:10 offset1:11
	buffer_load_dword v69, off, s[20:23], 0 offset:320 ; 4-byte Folded Reload
	buffer_load_dword v70, off, s[20:23], 0 offset:324 ; 4-byte Folded Reload
	buffer_load_dword v71, off, s[20:23], 0 offset:328 ; 4-byte Folded Reload
	buffer_load_dword v72, off, s[20:23], 0 offset:332 ; 4-byte Folded Reload
	s_waitcnt vmcnt(0)
	ds_write2_b64 v125, v[69:70], v[71:72] offset0:12 offset1:13
	buffer_load_dword v69, off, s[20:23], 0 offset:304 ; 4-byte Folded Reload
	buffer_load_dword v70, off, s[20:23], 0 offset:308 ; 4-byte Folded Reload
	buffer_load_dword v71, off, s[20:23], 0 offset:312 ; 4-byte Folded Reload
	buffer_load_dword v72, off, s[20:23], 0 offset:316 ; 4-byte Folded Reload
	s_waitcnt vmcnt(0)
	ds_write2_b64 v125, v[69:70], v[71:72] offset0:14 offset1:15
	buffer_load_dword v69, off, s[20:23], 0 offset:288 ; 4-byte Folded Reload
	buffer_load_dword v70, off, s[20:23], 0 offset:292 ; 4-byte Folded Reload
	buffer_load_dword v71, off, s[20:23], 0 offset:296 ; 4-byte Folded Reload
	buffer_load_dword v72, off, s[20:23], 0 offset:300 ; 4-byte Folded Reload
	s_waitcnt vmcnt(0)
	ds_write2_b64 v125, v[69:70], v[71:72] offset0:16 offset1:17
	buffer_load_dword v69, off, s[20:23], 0 offset:272 ; 4-byte Folded Reload
	buffer_load_dword v70, off, s[20:23], 0 offset:276 ; 4-byte Folded Reload
	buffer_load_dword v71, off, s[20:23], 0 offset:280 ; 4-byte Folded Reload
	buffer_load_dword v72, off, s[20:23], 0 offset:284 ; 4-byte Folded Reload
	s_waitcnt vmcnt(0)
	ds_write2_b64 v125, v[69:70], v[71:72] offset0:18 offset1:19
	buffer_load_dword v69, off, s[20:23], 0 offset:256 ; 4-byte Folded Reload
	buffer_load_dword v70, off, s[20:23], 0 offset:260 ; 4-byte Folded Reload
	buffer_load_dword v71, off, s[20:23], 0 offset:264 ; 4-byte Folded Reload
	buffer_load_dword v72, off, s[20:23], 0 offset:268 ; 4-byte Folded Reload
	s_waitcnt vmcnt(0)
	ds_write2_b64 v125, v[69:70], v[71:72] offset0:20 offset1:21
	buffer_load_dword v69, off, s[20:23], 0 offset:240 ; 4-byte Folded Reload
	buffer_load_dword v70, off, s[20:23], 0 offset:244 ; 4-byte Folded Reload
	buffer_load_dword v71, off, s[20:23], 0 offset:248 ; 4-byte Folded Reload
	buffer_load_dword v72, off, s[20:23], 0 offset:252 ; 4-byte Folded Reload
	s_waitcnt vmcnt(0)
	ds_write2_b64 v125, v[69:70], v[71:72] offset0:22 offset1:23
	buffer_load_dword v69, off, s[20:23], 0 offset:224 ; 4-byte Folded Reload
	buffer_load_dword v70, off, s[20:23], 0 offset:228 ; 4-byte Folded Reload
	buffer_load_dword v71, off, s[20:23], 0 offset:232 ; 4-byte Folded Reload
	buffer_load_dword v72, off, s[20:23], 0 offset:236 ; 4-byte Folded Reload
	s_waitcnt vmcnt(0)
	ds_write2_b64 v125, v[69:70], v[71:72] offset0:24 offset1:25
	buffer_load_dword v69, off, s[20:23], 0 offset:208 ; 4-byte Folded Reload
	buffer_load_dword v70, off, s[20:23], 0 offset:212 ; 4-byte Folded Reload
	buffer_load_dword v71, off, s[20:23], 0 offset:216 ; 4-byte Folded Reload
	buffer_load_dword v72, off, s[20:23], 0 offset:220 ; 4-byte Folded Reload
	s_waitcnt vmcnt(0)
	ds_write2_b64 v125, v[69:70], v[71:72] offset0:26 offset1:27
	buffer_load_dword v69, off, s[20:23], 0 offset:192 ; 4-byte Folded Reload
	buffer_load_dword v70, off, s[20:23], 0 offset:196 ; 4-byte Folded Reload
	buffer_load_dword v71, off, s[20:23], 0 offset:200 ; 4-byte Folded Reload
	buffer_load_dword v72, off, s[20:23], 0 offset:204 ; 4-byte Folded Reload
	s_waitcnt vmcnt(0)
	ds_write2_b64 v125, v[69:70], v[71:72] offset0:28 offset1:29
	buffer_load_dword v69, off, s[20:23], 0 offset:176 ; 4-byte Folded Reload
	buffer_load_dword v70, off, s[20:23], 0 offset:180 ; 4-byte Folded Reload
	buffer_load_dword v71, off, s[20:23], 0 offset:184 ; 4-byte Folded Reload
	buffer_load_dword v72, off, s[20:23], 0 offset:188 ; 4-byte Folded Reload
	s_waitcnt vmcnt(0)
	ds_write2_b64 v125, v[69:70], v[71:72] offset0:30 offset1:31
	buffer_load_dword v69, off, s[20:23], 0 offset:160 ; 4-byte Folded Reload
	buffer_load_dword v70, off, s[20:23], 0 offset:164 ; 4-byte Folded Reload
	buffer_load_dword v71, off, s[20:23], 0 offset:168 ; 4-byte Folded Reload
	buffer_load_dword v72, off, s[20:23], 0 offset:172 ; 4-byte Folded Reload
	s_waitcnt vmcnt(0)
	ds_write2_b64 v125, v[69:70], v[71:72] offset0:32 offset1:33
	buffer_load_dword v69, off, s[20:23], 0 offset:144 ; 4-byte Folded Reload
	buffer_load_dword v70, off, s[20:23], 0 offset:148 ; 4-byte Folded Reload
	buffer_load_dword v71, off, s[20:23], 0 offset:152 ; 4-byte Folded Reload
	buffer_load_dword v72, off, s[20:23], 0 offset:156 ; 4-byte Folded Reload
	s_waitcnt vmcnt(0)
	ds_write2_b64 v125, v[69:70], v[71:72] offset0:34 offset1:35
	buffer_load_dword v69, off, s[20:23], 0 offset:128 ; 4-byte Folded Reload
	buffer_load_dword v70, off, s[20:23], 0 offset:132 ; 4-byte Folded Reload
	buffer_load_dword v71, off, s[20:23], 0 offset:136 ; 4-byte Folded Reload
	buffer_load_dword v72, off, s[20:23], 0 offset:140 ; 4-byte Folded Reload
	s_waitcnt vmcnt(0)
	ds_write2_b64 v125, v[69:70], v[71:72] offset0:36 offset1:37
	buffer_load_dword v69, off, s[20:23], 0 offset:112 ; 4-byte Folded Reload
	buffer_load_dword v70, off, s[20:23], 0 offset:116 ; 4-byte Folded Reload
	buffer_load_dword v71, off, s[20:23], 0 offset:120 ; 4-byte Folded Reload
	buffer_load_dword v72, off, s[20:23], 0 offset:124 ; 4-byte Folded Reload
	s_waitcnt vmcnt(0)
	ds_write2_b64 v125, v[69:70], v[71:72] offset0:38 offset1:39
	buffer_load_dword v69, off, s[20:23], 0 offset:96 ; 4-byte Folded Reload
	buffer_load_dword v70, off, s[20:23], 0 offset:100 ; 4-byte Folded Reload
	buffer_load_dword v71, off, s[20:23], 0 offset:104 ; 4-byte Folded Reload
	buffer_load_dword v72, off, s[20:23], 0 offset:108 ; 4-byte Folded Reload
	s_waitcnt vmcnt(0)
	ds_write2_b64 v125, v[69:70], v[71:72] offset0:40 offset1:41
	buffer_load_dword v69, off, s[20:23], 0 offset:80 ; 4-byte Folded Reload
	buffer_load_dword v70, off, s[20:23], 0 offset:84 ; 4-byte Folded Reload
	buffer_load_dword v71, off, s[20:23], 0 offset:88 ; 4-byte Folded Reload
	buffer_load_dword v72, off, s[20:23], 0 offset:92 ; 4-byte Folded Reload
	s_waitcnt vmcnt(0)
	ds_write2_b64 v125, v[69:70], v[71:72] offset0:42 offset1:43
	buffer_load_dword v69, off, s[20:23], 0 offset:64 ; 4-byte Folded Reload
	buffer_load_dword v70, off, s[20:23], 0 offset:68 ; 4-byte Folded Reload
	buffer_load_dword v71, off, s[20:23], 0 offset:72 ; 4-byte Folded Reload
	buffer_load_dword v72, off, s[20:23], 0 offset:76 ; 4-byte Folded Reload
	s_waitcnt vmcnt(0)
	ds_write2_b64 v125, v[69:70], v[71:72] offset0:44 offset1:45
	buffer_load_dword v69, off, s[20:23], 0 offset:48 ; 4-byte Folded Reload
	buffer_load_dword v70, off, s[20:23], 0 offset:52 ; 4-byte Folded Reload
	buffer_load_dword v71, off, s[20:23], 0 offset:56 ; 4-byte Folded Reload
	buffer_load_dword v72, off, s[20:23], 0 offset:60 ; 4-byte Folded Reload
	s_waitcnt vmcnt(0)
	ds_write2_b64 v125, v[69:70], v[71:72] offset0:46 offset1:47
	ds_write2_b64 v125, v[121:122], v[123:124] offset0:48 offset1:49
	ds_write2_b64 v125, v[117:118], v[119:120] offset0:50 offset1:51
	;; [unrolled: 1-line block ×5, first 2 shown]
	buffer_load_dword v77, off, s[20:23], 0 offset:32 ; 4-byte Folded Reload
	buffer_load_dword v78, off, s[20:23], 0 offset:36 ; 4-byte Folded Reload
	;; [unrolled: 1-line block ×4, first 2 shown]
	v_mov_b32_e32 v69, v73
	v_mov_b32_e32 v70, v74
	;; [unrolled: 1-line block ×4, first 2 shown]
	s_waitcnt vmcnt(0)
	ds_write2_b64 v125, v[77:78], v[79:80] offset0:58 offset1:59
	buffer_load_dword v73, off, s[20:23], 0 offset:16 ; 4-byte Folded Reload
	buffer_load_dword v74, off, s[20:23], 0 offset:20 ; 4-byte Folded Reload
	;; [unrolled: 1-line block ×4, first 2 shown]
	s_waitcnt vmcnt(0)
	ds_write2_b64 v125, v[73:74], v[75:76] offset0:60 offset1:61
	v_mov_b32_e32 v76, v72
	v_mov_b32_e32 v75, v71
	;; [unrolled: 1-line block ×4, first 2 shown]
	buffer_load_dword v69, off, s[20:23], 0 ; 4-byte Folded Reload
	buffer_load_dword v70, off, s[20:23], 0 offset:4 ; 4-byte Folded Reload
	buffer_load_dword v71, off, s[20:23], 0 offset:8 ; 4-byte Folded Reload
	;; [unrolled: 1-line block ×3, first 2 shown]
	s_waitcnt vmcnt(0)
	ds_write2_b64 v125, v[69:70], v[71:72] offset0:62 offset1:63
	ds_write2_b64 v125, v[65:66], v[67:68] offset0:64 offset1:65
	;; [unrolled: 1-line block ×19, first 2 shown]
	ds_read2_b64 v[97:100], v127 offset1:1
	s_waitcnt lgkmcnt(0)
	v_cmp_neq_f64_e32 vcc, 0, v[97:98]
	v_cmp_neq_f64_e64 s[2:3], 0, v[99:100]
	s_or_b64 s[2:3], vcc, s[2:3]
	s_and_b64 exec, exec, s[2:3]
	s_cbranch_execz .LBB99_26
; %bb.21:
	v_cmp_ngt_f64_e64 s[2:3], |v[97:98]|, |v[99:100]|
                                        ; implicit-def: $vgpr101_vgpr102
	s_and_saveexec_b64 s[6:7], s[2:3]
	s_xor_b64 s[2:3], exec, s[6:7]
                                        ; implicit-def: $vgpr103_vgpr104
	s_cbranch_execz .LBB99_23
; %bb.22:
	v_div_scale_f64 v[101:102], s[6:7], v[99:100], v[99:100], v[97:98]
	v_rcp_f64_e32 v[103:104], v[101:102]
	v_fma_f64 v[105:106], -v[101:102], v[103:104], 1.0
	v_fma_f64 v[103:104], v[103:104], v[105:106], v[103:104]
	v_div_scale_f64 v[105:106], vcc, v[97:98], v[99:100], v[97:98]
	v_fma_f64 v[107:108], -v[101:102], v[103:104], 1.0
	v_fma_f64 v[103:104], v[103:104], v[107:108], v[103:104]
	v_mul_f64 v[107:108], v[105:106], v[103:104]
	v_fma_f64 v[101:102], -v[101:102], v[107:108], v[105:106]
	v_div_fmas_f64 v[101:102], v[101:102], v[103:104], v[107:108]
	v_div_fixup_f64 v[101:102], v[101:102], v[99:100], v[97:98]
	v_fma_f64 v[97:98], v[97:98], v[101:102], v[99:100]
	v_div_scale_f64 v[99:100], s[6:7], v[97:98], v[97:98], 1.0
	v_div_scale_f64 v[107:108], vcc, 1.0, v[97:98], 1.0
	v_rcp_f64_e32 v[103:104], v[99:100]
	v_fma_f64 v[105:106], -v[99:100], v[103:104], 1.0
	v_fma_f64 v[103:104], v[103:104], v[105:106], v[103:104]
	v_fma_f64 v[105:106], -v[99:100], v[103:104], 1.0
	v_fma_f64 v[103:104], v[103:104], v[105:106], v[103:104]
	v_mul_f64 v[105:106], v[107:108], v[103:104]
	v_fma_f64 v[99:100], -v[99:100], v[105:106], v[107:108]
	v_div_fmas_f64 v[99:100], v[99:100], v[103:104], v[105:106]
	v_div_fixup_f64 v[103:104], v[99:100], v[97:98], 1.0
                                        ; implicit-def: $vgpr97_vgpr98
	v_mul_f64 v[101:102], v[101:102], v[103:104]
	v_xor_b32_e32 v104, 0x80000000, v104
.LBB99_23:
	s_andn2_saveexec_b64 s[2:3], s[2:3]
	s_cbranch_execz .LBB99_25
; %bb.24:
	v_div_scale_f64 v[101:102], s[6:7], v[97:98], v[97:98], v[99:100]
	v_rcp_f64_e32 v[103:104], v[101:102]
	v_fma_f64 v[105:106], -v[101:102], v[103:104], 1.0
	v_fma_f64 v[103:104], v[103:104], v[105:106], v[103:104]
	v_div_scale_f64 v[105:106], vcc, v[99:100], v[97:98], v[99:100]
	v_fma_f64 v[107:108], -v[101:102], v[103:104], 1.0
	v_fma_f64 v[103:104], v[103:104], v[107:108], v[103:104]
	v_mul_f64 v[107:108], v[105:106], v[103:104]
	v_fma_f64 v[101:102], -v[101:102], v[107:108], v[105:106]
	v_div_fmas_f64 v[101:102], v[101:102], v[103:104], v[107:108]
	v_div_fixup_f64 v[103:104], v[101:102], v[97:98], v[99:100]
	v_fma_f64 v[97:98], v[99:100], v[103:104], v[97:98]
	v_div_scale_f64 v[99:100], s[6:7], v[97:98], v[97:98], 1.0
	v_div_scale_f64 v[107:108], vcc, 1.0, v[97:98], 1.0
	v_rcp_f64_e32 v[101:102], v[99:100]
	v_fma_f64 v[105:106], -v[99:100], v[101:102], 1.0
	v_fma_f64 v[101:102], v[101:102], v[105:106], v[101:102]
	v_fma_f64 v[105:106], -v[99:100], v[101:102], 1.0
	v_fma_f64 v[101:102], v[101:102], v[105:106], v[101:102]
	v_mul_f64 v[105:106], v[107:108], v[101:102]
	v_fma_f64 v[99:100], -v[99:100], v[105:106], v[107:108]
	v_div_fmas_f64 v[99:100], v[99:100], v[101:102], v[105:106]
	v_div_fixup_f64 v[101:102], v[99:100], v[97:98], 1.0
	v_mul_f64 v[103:104], v[103:104], -v[101:102]
.LBB99_25:
	s_or_b64 exec, exec, s[2:3]
	ds_write2_b64 v127, v[101:102], v[103:104] offset1:1
.LBB99_26:
	s_or_b64 exec, exec, s[4:5]
	s_waitcnt lgkmcnt(0)
	s_barrier
	ds_read2_b64 v[69:72], v127 offset1:1
	v_cmp_lt_u32_e32 vcc, 2, v0
	s_waitcnt lgkmcnt(0)
	buffer_store_dword v69, off, s[20:23], 0 offset:856 ; 4-byte Folded Spill
	s_nop 0
	buffer_store_dword v70, off, s[20:23], 0 offset:860 ; 4-byte Folded Spill
	buffer_store_dword v71, off, s[20:23], 0 offset:864 ; 4-byte Folded Spill
	;; [unrolled: 1-line block ×3, first 2 shown]
	s_and_saveexec_b64 s[2:3], vcc
	s_cbranch_execz .LBB99_28
; %bb.27:
	buffer_load_dword v103, off, s[20:23], 0 offset:384 ; 4-byte Folded Reload
	buffer_load_dword v104, off, s[20:23], 0 offset:388 ; 4-byte Folded Reload
	;; [unrolled: 1-line block ×8, first 2 shown]
	s_waitcnt vmcnt(2)
	v_mul_f64 v[99:100], v[69:70], v[105:106]
	s_waitcnt vmcnt(0)
	v_mul_f64 v[97:98], v[71:72], v[105:106]
	v_fma_f64 v[105:106], v[71:72], v[103:104], v[99:100]
	ds_read2_b64 v[99:102], v125 offset0:6 offset1:7
	v_fma_f64 v[97:98], v[69:70], v[103:104], -v[97:98]
	buffer_load_dword v69, off, s[20:23], 0 offset:368 ; 4-byte Folded Reload
	buffer_load_dword v70, off, s[20:23], 0 offset:372 ; 4-byte Folded Reload
	buffer_load_dword v71, off, s[20:23], 0 offset:376 ; 4-byte Folded Reload
	buffer_load_dword v72, off, s[20:23], 0 offset:380 ; 4-byte Folded Reload
	s_waitcnt lgkmcnt(0)
	v_mul_f64 v[103:104], v[101:102], v[105:106]
	v_fma_f64 v[103:104], v[99:100], v[97:98], -v[103:104]
	v_mul_f64 v[99:100], v[99:100], v[105:106]
	v_fma_f64 v[99:100], v[101:102], v[97:98], v[99:100]
	s_waitcnt vmcnt(2)
	v_add_f64 v[69:70], v[69:70], -v[103:104]
	s_waitcnt vmcnt(0)
	v_add_f64 v[71:72], v[71:72], -v[99:100]
	buffer_store_dword v69, off, s[20:23], 0 offset:368 ; 4-byte Folded Spill
	s_nop 0
	buffer_store_dword v70, off, s[20:23], 0 offset:372 ; 4-byte Folded Spill
	buffer_store_dword v71, off, s[20:23], 0 offset:376 ; 4-byte Folded Spill
	buffer_store_dword v72, off, s[20:23], 0 offset:380 ; 4-byte Folded Spill
	ds_read2_b64 v[99:102], v125 offset0:8 offset1:9
	buffer_load_dword v69, off, s[20:23], 0 offset:352 ; 4-byte Folded Reload
	buffer_load_dword v70, off, s[20:23], 0 offset:356 ; 4-byte Folded Reload
	buffer_load_dword v71, off, s[20:23], 0 offset:360 ; 4-byte Folded Reload
	buffer_load_dword v72, off, s[20:23], 0 offset:364 ; 4-byte Folded Reload
	s_waitcnt lgkmcnt(0)
	v_mul_f64 v[103:104], v[101:102], v[105:106]
	v_fma_f64 v[103:104], v[99:100], v[97:98], -v[103:104]
	v_mul_f64 v[99:100], v[99:100], v[105:106]
	v_fma_f64 v[99:100], v[101:102], v[97:98], v[99:100]
	s_waitcnt vmcnt(2)
	v_add_f64 v[69:70], v[69:70], -v[103:104]
	s_waitcnt vmcnt(0)
	v_add_f64 v[71:72], v[71:72], -v[99:100]
	buffer_store_dword v69, off, s[20:23], 0 offset:352 ; 4-byte Folded Spill
	s_nop 0
	buffer_store_dword v70, off, s[20:23], 0 offset:356 ; 4-byte Folded Spill
	buffer_store_dword v71, off, s[20:23], 0 offset:360 ; 4-byte Folded Spill
	buffer_store_dword v72, off, s[20:23], 0 offset:364 ; 4-byte Folded Spill
	ds_read2_b64 v[99:102], v125 offset0:10 offset1:11
	;; [unrolled: 19-line block ×21, first 2 shown]
	v_mov_b32_e32 v69, v73
	v_mov_b32_e32 v70, v74
	;; [unrolled: 1-line block ×4, first 2 shown]
	s_waitcnt lgkmcnt(0)
	v_mul_f64 v[103:104], v[101:102], v[105:106]
	v_fma_f64 v[103:104], v[99:100], v[97:98], -v[103:104]
	v_mul_f64 v[99:100], v[99:100], v[105:106]
	v_add_f64 v[121:122], v[121:122], -v[103:104]
	v_fma_f64 v[99:100], v[101:102], v[97:98], v[99:100]
	v_add_f64 v[123:124], v[123:124], -v[99:100]
	ds_read2_b64 v[99:102], v125 offset0:50 offset1:51
	s_waitcnt lgkmcnt(0)
	v_mul_f64 v[103:104], v[101:102], v[105:106]
	v_fma_f64 v[103:104], v[99:100], v[97:98], -v[103:104]
	v_mul_f64 v[99:100], v[99:100], v[105:106]
	v_add_f64 v[117:118], v[117:118], -v[103:104]
	v_fma_f64 v[99:100], v[101:102], v[97:98], v[99:100]
	v_add_f64 v[119:120], v[119:120], -v[99:100]
	ds_read2_b64 v[99:102], v125 offset0:52 offset1:53
	;; [unrolled: 8-line block ×5, first 2 shown]
	buffer_load_dword v77, off, s[20:23], 0 offset:32 ; 4-byte Folded Reload
	buffer_load_dword v78, off, s[20:23], 0 offset:36 ; 4-byte Folded Reload
	;; [unrolled: 1-line block ×4, first 2 shown]
	s_waitcnt lgkmcnt(0)
	v_mul_f64 v[103:104], v[101:102], v[105:106]
	v_fma_f64 v[103:104], v[99:100], v[97:98], -v[103:104]
	v_mul_f64 v[99:100], v[99:100], v[105:106]
	v_fma_f64 v[99:100], v[101:102], v[97:98], v[99:100]
	s_waitcnt vmcnt(2)
	v_add_f64 v[77:78], v[77:78], -v[103:104]
	s_waitcnt vmcnt(0)
	v_add_f64 v[79:80], v[79:80], -v[99:100]
	buffer_store_dword v77, off, s[20:23], 0 offset:32 ; 4-byte Folded Spill
	s_nop 0
	buffer_store_dword v78, off, s[20:23], 0 offset:36 ; 4-byte Folded Spill
	buffer_store_dword v79, off, s[20:23], 0 offset:40 ; 4-byte Folded Spill
	;; [unrolled: 1-line block ×3, first 2 shown]
	ds_read2_b64 v[99:102], v125 offset0:60 offset1:61
	buffer_load_dword v73, off, s[20:23], 0 offset:16 ; 4-byte Folded Reload
	buffer_load_dword v74, off, s[20:23], 0 offset:20 ; 4-byte Folded Reload
	;; [unrolled: 1-line block ×4, first 2 shown]
	s_waitcnt lgkmcnt(0)
	v_mul_f64 v[103:104], v[101:102], v[105:106]
	v_fma_f64 v[103:104], v[99:100], v[97:98], -v[103:104]
	v_mul_f64 v[99:100], v[99:100], v[105:106]
	v_fma_f64 v[99:100], v[101:102], v[97:98], v[99:100]
	s_waitcnt vmcnt(2)
	v_add_f64 v[73:74], v[73:74], -v[103:104]
	s_waitcnt vmcnt(0)
	v_add_f64 v[75:76], v[75:76], -v[99:100]
	buffer_store_dword v73, off, s[20:23], 0 offset:16 ; 4-byte Folded Spill
	s_nop 0
	buffer_store_dword v74, off, s[20:23], 0 offset:20 ; 4-byte Folded Spill
	buffer_store_dword v75, off, s[20:23], 0 offset:24 ; 4-byte Folded Spill
	buffer_store_dword v76, off, s[20:23], 0 offset:28 ; 4-byte Folded Spill
	v_mov_b32_e32 v76, v72
	v_mov_b32_e32 v75, v71
	;; [unrolled: 1-line block ×4, first 2 shown]
	ds_read2_b64 v[99:102], v125 offset0:62 offset1:63
	buffer_load_dword v69, off, s[20:23], 0 ; 4-byte Folded Reload
	buffer_load_dword v70, off, s[20:23], 0 offset:4 ; 4-byte Folded Reload
	buffer_load_dword v71, off, s[20:23], 0 offset:8 ; 4-byte Folded Reload
	;; [unrolled: 1-line block ×3, first 2 shown]
	s_waitcnt lgkmcnt(0)
	v_mul_f64 v[103:104], v[101:102], v[105:106]
	v_fma_f64 v[103:104], v[99:100], v[97:98], -v[103:104]
	v_mul_f64 v[99:100], v[99:100], v[105:106]
	v_fma_f64 v[99:100], v[101:102], v[97:98], v[99:100]
	s_waitcnt vmcnt(2)
	v_add_f64 v[69:70], v[69:70], -v[103:104]
	s_waitcnt vmcnt(0)
	v_add_f64 v[71:72], v[71:72], -v[99:100]
	buffer_store_dword v69, off, s[20:23], 0 ; 4-byte Folded Spill
	s_nop 0
	buffer_store_dword v70, off, s[20:23], 0 offset:4 ; 4-byte Folded Spill
	buffer_store_dword v71, off, s[20:23], 0 offset:8 ; 4-byte Folded Spill
	;; [unrolled: 1-line block ×3, first 2 shown]
	ds_read2_b64 v[99:102], v125 offset0:64 offset1:65
	s_waitcnt lgkmcnt(0)
	v_mul_f64 v[103:104], v[101:102], v[105:106]
	v_fma_f64 v[103:104], v[99:100], v[97:98], -v[103:104]
	v_mul_f64 v[99:100], v[99:100], v[105:106]
	v_add_f64 v[65:66], v[65:66], -v[103:104]
	v_fma_f64 v[99:100], v[101:102], v[97:98], v[99:100]
	v_add_f64 v[67:68], v[67:68], -v[99:100]
	ds_read2_b64 v[99:102], v125 offset0:66 offset1:67
	s_waitcnt lgkmcnt(0)
	v_mul_f64 v[103:104], v[101:102], v[105:106]
	v_fma_f64 v[103:104], v[99:100], v[97:98], -v[103:104]
	v_mul_f64 v[99:100], v[99:100], v[105:106]
	v_add_f64 v[61:62], v[61:62], -v[103:104]
	v_fma_f64 v[99:100], v[101:102], v[97:98], v[99:100]
	v_add_f64 v[63:64], v[63:64], -v[99:100]
	;; [unrolled: 8-line block ×16, first 2 shown]
	ds_read2_b64 v[99:102], v125 offset0:96 offset1:97
	s_waitcnt lgkmcnt(0)
	v_mul_f64 v[103:104], v[101:102], v[105:106]
	v_fma_f64 v[103:104], v[99:100], v[97:98], -v[103:104]
	v_mul_f64 v[99:100], v[99:100], v[105:106]
	v_add_f64 v[1:2], v[1:2], -v[103:104]
	v_fma_f64 v[99:100], v[101:102], v[97:98], v[99:100]
	ds_read2_b64 v[101:104], v125 offset0:98 offset1:99
	v_add_f64 v[3:4], v[3:4], -v[99:100]
	s_waitcnt lgkmcnt(0)
	v_mul_f64 v[99:100], v[103:104], v[105:106]
	v_fma_f64 v[99:100], v[101:102], v[97:98], -v[99:100]
	v_mul_f64 v[101:102], v[101:102], v[105:106]
	v_add_f64 v[73:74], v[73:74], -v[99:100]
	v_fma_f64 v[101:102], v[103:104], v[97:98], v[101:102]
	v_mov_b32_e32 v104, v98
	v_mov_b32_e32 v103, v97
	buffer_store_dword v103, off, s[20:23], 0 offset:384 ; 4-byte Folded Spill
	s_nop 0
	buffer_store_dword v104, off, s[20:23], 0 offset:388 ; 4-byte Folded Spill
	buffer_store_dword v105, off, s[20:23], 0 offset:392 ; 4-byte Folded Spill
	;; [unrolled: 1-line block ×3, first 2 shown]
	v_add_f64 v[75:76], v[75:76], -v[101:102]
.LBB99_28:
	s_or_b64 exec, exec, s[2:3]
	v_cmp_eq_u32_e32 vcc, 3, v0
	s_waitcnt vmcnt(0)
	s_barrier
	s_and_saveexec_b64 s[4:5], vcc
	s_cbranch_execz .LBB99_35
; %bb.29:
	buffer_load_dword v69, off, s[20:23], 0 offset:368 ; 4-byte Folded Reload
	buffer_load_dword v70, off, s[20:23], 0 offset:372 ; 4-byte Folded Reload
	;; [unrolled: 1-line block ×4, first 2 shown]
	s_waitcnt vmcnt(0)
	ds_write2_b64 v127, v[69:70], v[71:72] offset1:1
	buffer_load_dword v69, off, s[20:23], 0 offset:352 ; 4-byte Folded Reload
	buffer_load_dword v70, off, s[20:23], 0 offset:356 ; 4-byte Folded Reload
	buffer_load_dword v71, off, s[20:23], 0 offset:360 ; 4-byte Folded Reload
	buffer_load_dword v72, off, s[20:23], 0 offset:364 ; 4-byte Folded Reload
	s_waitcnt vmcnt(0)
	ds_write2_b64 v125, v[69:70], v[71:72] offset0:8 offset1:9
	buffer_load_dword v69, off, s[20:23], 0 offset:336 ; 4-byte Folded Reload
	buffer_load_dword v70, off, s[20:23], 0 offset:340 ; 4-byte Folded Reload
	buffer_load_dword v71, off, s[20:23], 0 offset:344 ; 4-byte Folded Reload
	buffer_load_dword v72, off, s[20:23], 0 offset:348 ; 4-byte Folded Reload
	s_waitcnt vmcnt(0)
	ds_write2_b64 v125, v[69:70], v[71:72] offset0:10 offset1:11
	;; [unrolled: 6-line block ×20, first 2 shown]
	ds_write2_b64 v125, v[121:122], v[123:124] offset0:48 offset1:49
	ds_write2_b64 v125, v[117:118], v[119:120] offset0:50 offset1:51
	;; [unrolled: 1-line block ×5, first 2 shown]
	buffer_load_dword v77, off, s[20:23], 0 offset:32 ; 4-byte Folded Reload
	buffer_load_dword v78, off, s[20:23], 0 offset:36 ; 4-byte Folded Reload
	;; [unrolled: 1-line block ×4, first 2 shown]
	v_mov_b32_e32 v69, v73
	v_mov_b32_e32 v70, v74
	;; [unrolled: 1-line block ×4, first 2 shown]
	s_waitcnt vmcnt(0)
	ds_write2_b64 v125, v[77:78], v[79:80] offset0:58 offset1:59
	buffer_load_dword v73, off, s[20:23], 0 offset:16 ; 4-byte Folded Reload
	buffer_load_dword v74, off, s[20:23], 0 offset:20 ; 4-byte Folded Reload
	;; [unrolled: 1-line block ×4, first 2 shown]
	s_waitcnt vmcnt(0)
	ds_write2_b64 v125, v[73:74], v[75:76] offset0:60 offset1:61
	v_mov_b32_e32 v76, v72
	v_mov_b32_e32 v75, v71
	;; [unrolled: 1-line block ×4, first 2 shown]
	buffer_load_dword v69, off, s[20:23], 0 ; 4-byte Folded Reload
	buffer_load_dword v70, off, s[20:23], 0 offset:4 ; 4-byte Folded Reload
	buffer_load_dword v71, off, s[20:23], 0 offset:8 ; 4-byte Folded Reload
	;; [unrolled: 1-line block ×3, first 2 shown]
	s_waitcnt vmcnt(0)
	ds_write2_b64 v125, v[69:70], v[71:72] offset0:62 offset1:63
	ds_write2_b64 v125, v[65:66], v[67:68] offset0:64 offset1:65
	;; [unrolled: 1-line block ×19, first 2 shown]
	ds_read2_b64 v[97:100], v127 offset1:1
	s_waitcnt lgkmcnt(0)
	v_cmp_neq_f64_e32 vcc, 0, v[97:98]
	v_cmp_neq_f64_e64 s[2:3], 0, v[99:100]
	s_or_b64 s[2:3], vcc, s[2:3]
	s_and_b64 exec, exec, s[2:3]
	s_cbranch_execz .LBB99_35
; %bb.30:
	v_cmp_ngt_f64_e64 s[2:3], |v[97:98]|, |v[99:100]|
                                        ; implicit-def: $vgpr101_vgpr102
	s_and_saveexec_b64 s[6:7], s[2:3]
	s_xor_b64 s[2:3], exec, s[6:7]
                                        ; implicit-def: $vgpr103_vgpr104
	s_cbranch_execz .LBB99_32
; %bb.31:
	v_div_scale_f64 v[101:102], s[6:7], v[99:100], v[99:100], v[97:98]
	v_rcp_f64_e32 v[103:104], v[101:102]
	v_fma_f64 v[105:106], -v[101:102], v[103:104], 1.0
	v_fma_f64 v[103:104], v[103:104], v[105:106], v[103:104]
	v_div_scale_f64 v[105:106], vcc, v[97:98], v[99:100], v[97:98]
	v_fma_f64 v[107:108], -v[101:102], v[103:104], 1.0
	v_fma_f64 v[103:104], v[103:104], v[107:108], v[103:104]
	v_mul_f64 v[107:108], v[105:106], v[103:104]
	v_fma_f64 v[101:102], -v[101:102], v[107:108], v[105:106]
	v_div_fmas_f64 v[101:102], v[101:102], v[103:104], v[107:108]
	v_div_fixup_f64 v[101:102], v[101:102], v[99:100], v[97:98]
	v_fma_f64 v[97:98], v[97:98], v[101:102], v[99:100]
	v_div_scale_f64 v[99:100], s[6:7], v[97:98], v[97:98], 1.0
	v_div_scale_f64 v[107:108], vcc, 1.0, v[97:98], 1.0
	v_rcp_f64_e32 v[103:104], v[99:100]
	v_fma_f64 v[105:106], -v[99:100], v[103:104], 1.0
	v_fma_f64 v[103:104], v[103:104], v[105:106], v[103:104]
	v_fma_f64 v[105:106], -v[99:100], v[103:104], 1.0
	v_fma_f64 v[103:104], v[103:104], v[105:106], v[103:104]
	v_mul_f64 v[105:106], v[107:108], v[103:104]
	v_fma_f64 v[99:100], -v[99:100], v[105:106], v[107:108]
	v_div_fmas_f64 v[99:100], v[99:100], v[103:104], v[105:106]
	v_div_fixup_f64 v[103:104], v[99:100], v[97:98], 1.0
                                        ; implicit-def: $vgpr97_vgpr98
	v_mul_f64 v[101:102], v[101:102], v[103:104]
	v_xor_b32_e32 v104, 0x80000000, v104
.LBB99_32:
	s_andn2_saveexec_b64 s[2:3], s[2:3]
	s_cbranch_execz .LBB99_34
; %bb.33:
	v_div_scale_f64 v[101:102], s[6:7], v[97:98], v[97:98], v[99:100]
	v_rcp_f64_e32 v[103:104], v[101:102]
	v_fma_f64 v[105:106], -v[101:102], v[103:104], 1.0
	v_fma_f64 v[103:104], v[103:104], v[105:106], v[103:104]
	v_div_scale_f64 v[105:106], vcc, v[99:100], v[97:98], v[99:100]
	v_fma_f64 v[107:108], -v[101:102], v[103:104], 1.0
	v_fma_f64 v[103:104], v[103:104], v[107:108], v[103:104]
	v_mul_f64 v[107:108], v[105:106], v[103:104]
	v_fma_f64 v[101:102], -v[101:102], v[107:108], v[105:106]
	v_div_fmas_f64 v[101:102], v[101:102], v[103:104], v[107:108]
	v_div_fixup_f64 v[103:104], v[101:102], v[97:98], v[99:100]
	v_fma_f64 v[97:98], v[99:100], v[103:104], v[97:98]
	v_div_scale_f64 v[99:100], s[6:7], v[97:98], v[97:98], 1.0
	v_div_scale_f64 v[107:108], vcc, 1.0, v[97:98], 1.0
	v_rcp_f64_e32 v[101:102], v[99:100]
	v_fma_f64 v[105:106], -v[99:100], v[101:102], 1.0
	v_fma_f64 v[101:102], v[101:102], v[105:106], v[101:102]
	v_fma_f64 v[105:106], -v[99:100], v[101:102], 1.0
	v_fma_f64 v[101:102], v[101:102], v[105:106], v[101:102]
	v_mul_f64 v[105:106], v[107:108], v[101:102]
	v_fma_f64 v[99:100], -v[99:100], v[105:106], v[107:108]
	v_div_fmas_f64 v[99:100], v[99:100], v[101:102], v[105:106]
	v_div_fixup_f64 v[101:102], v[99:100], v[97:98], 1.0
	v_mul_f64 v[103:104], v[103:104], -v[101:102]
.LBB99_34:
	s_or_b64 exec, exec, s[2:3]
	ds_write2_b64 v127, v[101:102], v[103:104] offset1:1
.LBB99_35:
	s_or_b64 exec, exec, s[4:5]
	s_waitcnt lgkmcnt(0)
	s_barrier
	ds_read2_b64 v[69:72], v127 offset1:1
	v_cmp_lt_u32_e32 vcc, 3, v0
	s_waitcnt lgkmcnt(0)
	buffer_store_dword v69, off, s[20:23], 0 offset:872 ; 4-byte Folded Spill
	s_nop 0
	buffer_store_dword v70, off, s[20:23], 0 offset:876 ; 4-byte Folded Spill
	buffer_store_dword v71, off, s[20:23], 0 offset:880 ; 4-byte Folded Spill
	;; [unrolled: 1-line block ×3, first 2 shown]
	s_and_saveexec_b64 s[2:3], vcc
	s_cbranch_execz .LBB99_37
; %bb.36:
	buffer_load_dword v103, off, s[20:23], 0 offset:368 ; 4-byte Folded Reload
	buffer_load_dword v104, off, s[20:23], 0 offset:372 ; 4-byte Folded Reload
	;; [unrolled: 1-line block ×8, first 2 shown]
	s_waitcnt vmcnt(2)
	v_mul_f64 v[99:100], v[69:70], v[105:106]
	s_waitcnt vmcnt(0)
	v_mul_f64 v[97:98], v[71:72], v[105:106]
	v_fma_f64 v[105:106], v[71:72], v[103:104], v[99:100]
	ds_read2_b64 v[99:102], v125 offset0:8 offset1:9
	v_fma_f64 v[97:98], v[69:70], v[103:104], -v[97:98]
	buffer_load_dword v69, off, s[20:23], 0 offset:352 ; 4-byte Folded Reload
	buffer_load_dword v70, off, s[20:23], 0 offset:356 ; 4-byte Folded Reload
	buffer_load_dword v71, off, s[20:23], 0 offset:360 ; 4-byte Folded Reload
	buffer_load_dword v72, off, s[20:23], 0 offset:364 ; 4-byte Folded Reload
	s_waitcnt lgkmcnt(0)
	v_mul_f64 v[103:104], v[101:102], v[105:106]
	v_fma_f64 v[103:104], v[99:100], v[97:98], -v[103:104]
	v_mul_f64 v[99:100], v[99:100], v[105:106]
	v_fma_f64 v[99:100], v[101:102], v[97:98], v[99:100]
	s_waitcnt vmcnt(2)
	v_add_f64 v[69:70], v[69:70], -v[103:104]
	s_waitcnt vmcnt(0)
	v_add_f64 v[71:72], v[71:72], -v[99:100]
	buffer_store_dword v69, off, s[20:23], 0 offset:352 ; 4-byte Folded Spill
	s_nop 0
	buffer_store_dword v70, off, s[20:23], 0 offset:356 ; 4-byte Folded Spill
	buffer_store_dword v71, off, s[20:23], 0 offset:360 ; 4-byte Folded Spill
	buffer_store_dword v72, off, s[20:23], 0 offset:364 ; 4-byte Folded Spill
	ds_read2_b64 v[99:102], v125 offset0:10 offset1:11
	buffer_load_dword v69, off, s[20:23], 0 offset:336 ; 4-byte Folded Reload
	buffer_load_dword v70, off, s[20:23], 0 offset:340 ; 4-byte Folded Reload
	buffer_load_dword v71, off, s[20:23], 0 offset:344 ; 4-byte Folded Reload
	buffer_load_dword v72, off, s[20:23], 0 offset:348 ; 4-byte Folded Reload
	s_waitcnt lgkmcnt(0)
	v_mul_f64 v[103:104], v[101:102], v[105:106]
	v_fma_f64 v[103:104], v[99:100], v[97:98], -v[103:104]
	v_mul_f64 v[99:100], v[99:100], v[105:106]
	v_fma_f64 v[99:100], v[101:102], v[97:98], v[99:100]
	s_waitcnt vmcnt(2)
	v_add_f64 v[69:70], v[69:70], -v[103:104]
	s_waitcnt vmcnt(0)
	v_add_f64 v[71:72], v[71:72], -v[99:100]
	buffer_store_dword v69, off, s[20:23], 0 offset:336 ; 4-byte Folded Spill
	s_nop 0
	buffer_store_dword v70, off, s[20:23], 0 offset:340 ; 4-byte Folded Spill
	buffer_store_dword v71, off, s[20:23], 0 offset:344 ; 4-byte Folded Spill
	buffer_store_dword v72, off, s[20:23], 0 offset:348 ; 4-byte Folded Spill
	ds_read2_b64 v[99:102], v125 offset0:12 offset1:13
	;; [unrolled: 19-line block ×20, first 2 shown]
	v_mov_b32_e32 v69, v73
	v_mov_b32_e32 v70, v74
	;; [unrolled: 1-line block ×4, first 2 shown]
	s_waitcnt lgkmcnt(0)
	v_mul_f64 v[103:104], v[101:102], v[105:106]
	v_fma_f64 v[103:104], v[99:100], v[97:98], -v[103:104]
	v_mul_f64 v[99:100], v[99:100], v[105:106]
	v_add_f64 v[121:122], v[121:122], -v[103:104]
	v_fma_f64 v[99:100], v[101:102], v[97:98], v[99:100]
	v_add_f64 v[123:124], v[123:124], -v[99:100]
	ds_read2_b64 v[99:102], v125 offset0:50 offset1:51
	s_waitcnt lgkmcnt(0)
	v_mul_f64 v[103:104], v[101:102], v[105:106]
	v_fma_f64 v[103:104], v[99:100], v[97:98], -v[103:104]
	v_mul_f64 v[99:100], v[99:100], v[105:106]
	v_add_f64 v[117:118], v[117:118], -v[103:104]
	v_fma_f64 v[99:100], v[101:102], v[97:98], v[99:100]
	v_add_f64 v[119:120], v[119:120], -v[99:100]
	ds_read2_b64 v[99:102], v125 offset0:52 offset1:53
	;; [unrolled: 8-line block ×5, first 2 shown]
	buffer_load_dword v77, off, s[20:23], 0 offset:32 ; 4-byte Folded Reload
	buffer_load_dword v78, off, s[20:23], 0 offset:36 ; 4-byte Folded Reload
	;; [unrolled: 1-line block ×4, first 2 shown]
	s_waitcnt lgkmcnt(0)
	v_mul_f64 v[103:104], v[101:102], v[105:106]
	v_fma_f64 v[103:104], v[99:100], v[97:98], -v[103:104]
	v_mul_f64 v[99:100], v[99:100], v[105:106]
	v_fma_f64 v[99:100], v[101:102], v[97:98], v[99:100]
	s_waitcnt vmcnt(2)
	v_add_f64 v[77:78], v[77:78], -v[103:104]
	s_waitcnt vmcnt(0)
	v_add_f64 v[79:80], v[79:80], -v[99:100]
	buffer_store_dword v77, off, s[20:23], 0 offset:32 ; 4-byte Folded Spill
	s_nop 0
	buffer_store_dword v78, off, s[20:23], 0 offset:36 ; 4-byte Folded Spill
	buffer_store_dword v79, off, s[20:23], 0 offset:40 ; 4-byte Folded Spill
	;; [unrolled: 1-line block ×3, first 2 shown]
	ds_read2_b64 v[99:102], v125 offset0:60 offset1:61
	buffer_load_dword v73, off, s[20:23], 0 offset:16 ; 4-byte Folded Reload
	buffer_load_dword v74, off, s[20:23], 0 offset:20 ; 4-byte Folded Reload
	;; [unrolled: 1-line block ×4, first 2 shown]
	s_waitcnt lgkmcnt(0)
	v_mul_f64 v[103:104], v[101:102], v[105:106]
	v_fma_f64 v[103:104], v[99:100], v[97:98], -v[103:104]
	v_mul_f64 v[99:100], v[99:100], v[105:106]
	v_fma_f64 v[99:100], v[101:102], v[97:98], v[99:100]
	s_waitcnt vmcnt(2)
	v_add_f64 v[73:74], v[73:74], -v[103:104]
	s_waitcnt vmcnt(0)
	v_add_f64 v[75:76], v[75:76], -v[99:100]
	buffer_store_dword v73, off, s[20:23], 0 offset:16 ; 4-byte Folded Spill
	s_nop 0
	buffer_store_dword v74, off, s[20:23], 0 offset:20 ; 4-byte Folded Spill
	buffer_store_dword v75, off, s[20:23], 0 offset:24 ; 4-byte Folded Spill
	;; [unrolled: 1-line block ×3, first 2 shown]
	v_mov_b32_e32 v76, v72
	v_mov_b32_e32 v75, v71
	;; [unrolled: 1-line block ×4, first 2 shown]
	ds_read2_b64 v[99:102], v125 offset0:62 offset1:63
	buffer_load_dword v69, off, s[20:23], 0 ; 4-byte Folded Reload
	buffer_load_dword v70, off, s[20:23], 0 offset:4 ; 4-byte Folded Reload
	buffer_load_dword v71, off, s[20:23], 0 offset:8 ; 4-byte Folded Reload
	;; [unrolled: 1-line block ×3, first 2 shown]
	s_waitcnt lgkmcnt(0)
	v_mul_f64 v[103:104], v[101:102], v[105:106]
	v_fma_f64 v[103:104], v[99:100], v[97:98], -v[103:104]
	v_mul_f64 v[99:100], v[99:100], v[105:106]
	v_fma_f64 v[99:100], v[101:102], v[97:98], v[99:100]
	s_waitcnt vmcnt(2)
	v_add_f64 v[69:70], v[69:70], -v[103:104]
	s_waitcnt vmcnt(0)
	v_add_f64 v[71:72], v[71:72], -v[99:100]
	buffer_store_dword v69, off, s[20:23], 0 ; 4-byte Folded Spill
	s_nop 0
	buffer_store_dword v70, off, s[20:23], 0 offset:4 ; 4-byte Folded Spill
	buffer_store_dword v71, off, s[20:23], 0 offset:8 ; 4-byte Folded Spill
	;; [unrolled: 1-line block ×3, first 2 shown]
	ds_read2_b64 v[99:102], v125 offset0:64 offset1:65
	s_waitcnt lgkmcnt(0)
	v_mul_f64 v[103:104], v[101:102], v[105:106]
	v_fma_f64 v[103:104], v[99:100], v[97:98], -v[103:104]
	v_mul_f64 v[99:100], v[99:100], v[105:106]
	v_add_f64 v[65:66], v[65:66], -v[103:104]
	v_fma_f64 v[99:100], v[101:102], v[97:98], v[99:100]
	v_add_f64 v[67:68], v[67:68], -v[99:100]
	ds_read2_b64 v[99:102], v125 offset0:66 offset1:67
	s_waitcnt lgkmcnt(0)
	v_mul_f64 v[103:104], v[101:102], v[105:106]
	v_fma_f64 v[103:104], v[99:100], v[97:98], -v[103:104]
	v_mul_f64 v[99:100], v[99:100], v[105:106]
	v_add_f64 v[61:62], v[61:62], -v[103:104]
	v_fma_f64 v[99:100], v[101:102], v[97:98], v[99:100]
	v_add_f64 v[63:64], v[63:64], -v[99:100]
	ds_read2_b64 v[99:102], v125 offset0:68 offset1:69
	s_waitcnt lgkmcnt(0)
	v_mul_f64 v[103:104], v[101:102], v[105:106]
	v_fma_f64 v[103:104], v[99:100], v[97:98], -v[103:104]
	v_mul_f64 v[99:100], v[99:100], v[105:106]
	v_add_f64 v[57:58], v[57:58], -v[103:104]
	v_fma_f64 v[99:100], v[101:102], v[97:98], v[99:100]
	v_add_f64 v[59:60], v[59:60], -v[99:100]
	ds_read2_b64 v[99:102], v125 offset0:70 offset1:71
	s_waitcnt lgkmcnt(0)
	v_mul_f64 v[103:104], v[101:102], v[105:106]
	v_fma_f64 v[103:104], v[99:100], v[97:98], -v[103:104]
	v_mul_f64 v[99:100], v[99:100], v[105:106]
	v_add_f64 v[53:54], v[53:54], -v[103:104]
	v_fma_f64 v[99:100], v[101:102], v[97:98], v[99:100]
	v_add_f64 v[55:56], v[55:56], -v[99:100]
	ds_read2_b64 v[99:102], v125 offset0:72 offset1:73
	s_waitcnt lgkmcnt(0)
	v_mul_f64 v[103:104], v[101:102], v[105:106]
	v_fma_f64 v[103:104], v[99:100], v[97:98], -v[103:104]
	v_mul_f64 v[99:100], v[99:100], v[105:106]
	v_add_f64 v[49:50], v[49:50], -v[103:104]
	v_fma_f64 v[99:100], v[101:102], v[97:98], v[99:100]
	v_add_f64 v[51:52], v[51:52], -v[99:100]
	ds_read2_b64 v[99:102], v125 offset0:74 offset1:75
	s_waitcnt lgkmcnt(0)
	v_mul_f64 v[103:104], v[101:102], v[105:106]
	v_fma_f64 v[103:104], v[99:100], v[97:98], -v[103:104]
	v_mul_f64 v[99:100], v[99:100], v[105:106]
	v_add_f64 v[45:46], v[45:46], -v[103:104]
	v_fma_f64 v[99:100], v[101:102], v[97:98], v[99:100]
	v_add_f64 v[47:48], v[47:48], -v[99:100]
	ds_read2_b64 v[99:102], v125 offset0:76 offset1:77
	s_waitcnt lgkmcnt(0)
	v_mul_f64 v[103:104], v[101:102], v[105:106]
	v_fma_f64 v[103:104], v[99:100], v[97:98], -v[103:104]
	v_mul_f64 v[99:100], v[99:100], v[105:106]
	v_add_f64 v[41:42], v[41:42], -v[103:104]
	v_fma_f64 v[99:100], v[101:102], v[97:98], v[99:100]
	v_add_f64 v[43:44], v[43:44], -v[99:100]
	ds_read2_b64 v[99:102], v125 offset0:78 offset1:79
	s_waitcnt lgkmcnt(0)
	v_mul_f64 v[103:104], v[101:102], v[105:106]
	v_fma_f64 v[103:104], v[99:100], v[97:98], -v[103:104]
	v_mul_f64 v[99:100], v[99:100], v[105:106]
	v_add_f64 v[37:38], v[37:38], -v[103:104]
	v_fma_f64 v[99:100], v[101:102], v[97:98], v[99:100]
	v_add_f64 v[39:40], v[39:40], -v[99:100]
	ds_read2_b64 v[99:102], v125 offset0:80 offset1:81
	s_waitcnt lgkmcnt(0)
	v_mul_f64 v[103:104], v[101:102], v[105:106]
	v_fma_f64 v[103:104], v[99:100], v[97:98], -v[103:104]
	v_mul_f64 v[99:100], v[99:100], v[105:106]
	v_add_f64 v[33:34], v[33:34], -v[103:104]
	v_fma_f64 v[99:100], v[101:102], v[97:98], v[99:100]
	v_add_f64 v[35:36], v[35:36], -v[99:100]
	ds_read2_b64 v[99:102], v125 offset0:82 offset1:83
	s_waitcnt lgkmcnt(0)
	v_mul_f64 v[103:104], v[101:102], v[105:106]
	v_fma_f64 v[103:104], v[99:100], v[97:98], -v[103:104]
	v_mul_f64 v[99:100], v[99:100], v[105:106]
	v_add_f64 v[29:30], v[29:30], -v[103:104]
	v_fma_f64 v[99:100], v[101:102], v[97:98], v[99:100]
	v_add_f64 v[31:32], v[31:32], -v[99:100]
	ds_read2_b64 v[99:102], v125 offset0:84 offset1:85
	s_waitcnt lgkmcnt(0)
	v_mul_f64 v[103:104], v[101:102], v[105:106]
	v_fma_f64 v[103:104], v[99:100], v[97:98], -v[103:104]
	v_mul_f64 v[99:100], v[99:100], v[105:106]
	v_add_f64 v[25:26], v[25:26], -v[103:104]
	v_fma_f64 v[99:100], v[101:102], v[97:98], v[99:100]
	v_add_f64 v[27:28], v[27:28], -v[99:100]
	ds_read2_b64 v[99:102], v125 offset0:86 offset1:87
	s_waitcnt lgkmcnt(0)
	v_mul_f64 v[103:104], v[101:102], v[105:106]
	v_fma_f64 v[103:104], v[99:100], v[97:98], -v[103:104]
	v_mul_f64 v[99:100], v[99:100], v[105:106]
	v_add_f64 v[21:22], v[21:22], -v[103:104]
	v_fma_f64 v[99:100], v[101:102], v[97:98], v[99:100]
	v_add_f64 v[23:24], v[23:24], -v[99:100]
	ds_read2_b64 v[99:102], v125 offset0:88 offset1:89
	s_waitcnt lgkmcnt(0)
	v_mul_f64 v[103:104], v[101:102], v[105:106]
	v_fma_f64 v[103:104], v[99:100], v[97:98], -v[103:104]
	v_mul_f64 v[99:100], v[99:100], v[105:106]
	v_add_f64 v[17:18], v[17:18], -v[103:104]
	v_fma_f64 v[99:100], v[101:102], v[97:98], v[99:100]
	v_add_f64 v[19:20], v[19:20], -v[99:100]
	ds_read2_b64 v[99:102], v125 offset0:90 offset1:91
	s_waitcnt lgkmcnt(0)
	v_mul_f64 v[103:104], v[101:102], v[105:106]
	v_fma_f64 v[103:104], v[99:100], v[97:98], -v[103:104]
	v_mul_f64 v[99:100], v[99:100], v[105:106]
	v_add_f64 v[13:14], v[13:14], -v[103:104]
	v_fma_f64 v[99:100], v[101:102], v[97:98], v[99:100]
	v_add_f64 v[15:16], v[15:16], -v[99:100]
	ds_read2_b64 v[99:102], v125 offset0:92 offset1:93
	s_waitcnt lgkmcnt(0)
	v_mul_f64 v[103:104], v[101:102], v[105:106]
	v_fma_f64 v[103:104], v[99:100], v[97:98], -v[103:104]
	v_mul_f64 v[99:100], v[99:100], v[105:106]
	v_add_f64 v[9:10], v[9:10], -v[103:104]
	v_fma_f64 v[99:100], v[101:102], v[97:98], v[99:100]
	v_add_f64 v[11:12], v[11:12], -v[99:100]
	ds_read2_b64 v[99:102], v125 offset0:94 offset1:95
	s_waitcnt lgkmcnt(0)
	v_mul_f64 v[103:104], v[101:102], v[105:106]
	v_fma_f64 v[103:104], v[99:100], v[97:98], -v[103:104]
	v_mul_f64 v[99:100], v[99:100], v[105:106]
	v_add_f64 v[5:6], v[5:6], -v[103:104]
	v_fma_f64 v[99:100], v[101:102], v[97:98], v[99:100]
	v_add_f64 v[7:8], v[7:8], -v[99:100]
	ds_read2_b64 v[99:102], v125 offset0:96 offset1:97
	s_waitcnt lgkmcnt(0)
	v_mul_f64 v[103:104], v[101:102], v[105:106]
	v_fma_f64 v[103:104], v[99:100], v[97:98], -v[103:104]
	v_mul_f64 v[99:100], v[99:100], v[105:106]
	v_add_f64 v[1:2], v[1:2], -v[103:104]
	v_fma_f64 v[99:100], v[101:102], v[97:98], v[99:100]
	ds_read2_b64 v[101:104], v125 offset0:98 offset1:99
	v_add_f64 v[3:4], v[3:4], -v[99:100]
	s_waitcnt lgkmcnt(0)
	v_mul_f64 v[99:100], v[103:104], v[105:106]
	v_fma_f64 v[99:100], v[101:102], v[97:98], -v[99:100]
	v_mul_f64 v[101:102], v[101:102], v[105:106]
	v_add_f64 v[73:74], v[73:74], -v[99:100]
	v_fma_f64 v[101:102], v[103:104], v[97:98], v[101:102]
	v_mov_b32_e32 v104, v98
	v_mov_b32_e32 v103, v97
	buffer_store_dword v103, off, s[20:23], 0 offset:368 ; 4-byte Folded Spill
	s_nop 0
	buffer_store_dword v104, off, s[20:23], 0 offset:372 ; 4-byte Folded Spill
	buffer_store_dword v105, off, s[20:23], 0 offset:376 ; 4-byte Folded Spill
	;; [unrolled: 1-line block ×3, first 2 shown]
	v_add_f64 v[75:76], v[75:76], -v[101:102]
.LBB99_37:
	s_or_b64 exec, exec, s[2:3]
	v_cmp_eq_u32_e32 vcc, 4, v0
	s_waitcnt vmcnt(0)
	s_barrier
	s_and_saveexec_b64 s[4:5], vcc
	s_cbranch_execz .LBB99_44
; %bb.38:
	buffer_load_dword v69, off, s[20:23], 0 offset:352 ; 4-byte Folded Reload
	buffer_load_dword v70, off, s[20:23], 0 offset:356 ; 4-byte Folded Reload
	;; [unrolled: 1-line block ×4, first 2 shown]
	s_waitcnt vmcnt(0)
	ds_write2_b64 v127, v[69:70], v[71:72] offset1:1
	buffer_load_dword v69, off, s[20:23], 0 offset:336 ; 4-byte Folded Reload
	buffer_load_dword v70, off, s[20:23], 0 offset:340 ; 4-byte Folded Reload
	buffer_load_dword v71, off, s[20:23], 0 offset:344 ; 4-byte Folded Reload
	buffer_load_dword v72, off, s[20:23], 0 offset:348 ; 4-byte Folded Reload
	s_waitcnt vmcnt(0)
	ds_write2_b64 v125, v[69:70], v[71:72] offset0:10 offset1:11
	buffer_load_dword v69, off, s[20:23], 0 offset:320 ; 4-byte Folded Reload
	buffer_load_dword v70, off, s[20:23], 0 offset:324 ; 4-byte Folded Reload
	buffer_load_dword v71, off, s[20:23], 0 offset:328 ; 4-byte Folded Reload
	buffer_load_dword v72, off, s[20:23], 0 offset:332 ; 4-byte Folded Reload
	s_waitcnt vmcnt(0)
	ds_write2_b64 v125, v[69:70], v[71:72] offset0:12 offset1:13
	;; [unrolled: 6-line block ×19, first 2 shown]
	ds_write2_b64 v125, v[121:122], v[123:124] offset0:48 offset1:49
	ds_write2_b64 v125, v[117:118], v[119:120] offset0:50 offset1:51
	;; [unrolled: 1-line block ×5, first 2 shown]
	buffer_load_dword v77, off, s[20:23], 0 offset:32 ; 4-byte Folded Reload
	buffer_load_dword v78, off, s[20:23], 0 offset:36 ; 4-byte Folded Reload
	;; [unrolled: 1-line block ×4, first 2 shown]
	v_mov_b32_e32 v69, v73
	v_mov_b32_e32 v70, v74
	;; [unrolled: 1-line block ×4, first 2 shown]
	s_waitcnt vmcnt(0)
	ds_write2_b64 v125, v[77:78], v[79:80] offset0:58 offset1:59
	buffer_load_dword v73, off, s[20:23], 0 offset:16 ; 4-byte Folded Reload
	buffer_load_dword v74, off, s[20:23], 0 offset:20 ; 4-byte Folded Reload
	;; [unrolled: 1-line block ×4, first 2 shown]
	s_waitcnt vmcnt(0)
	ds_write2_b64 v125, v[73:74], v[75:76] offset0:60 offset1:61
	v_mov_b32_e32 v76, v72
	v_mov_b32_e32 v75, v71
	;; [unrolled: 1-line block ×4, first 2 shown]
	buffer_load_dword v69, off, s[20:23], 0 ; 4-byte Folded Reload
	buffer_load_dword v70, off, s[20:23], 0 offset:4 ; 4-byte Folded Reload
	buffer_load_dword v71, off, s[20:23], 0 offset:8 ; 4-byte Folded Reload
	buffer_load_dword v72, off, s[20:23], 0 offset:12 ; 4-byte Folded Reload
	s_waitcnt vmcnt(0)
	ds_write2_b64 v125, v[69:70], v[71:72] offset0:62 offset1:63
	ds_write2_b64 v125, v[65:66], v[67:68] offset0:64 offset1:65
	;; [unrolled: 1-line block ×19, first 2 shown]
	ds_read2_b64 v[97:100], v127 offset1:1
	s_waitcnt lgkmcnt(0)
	v_cmp_neq_f64_e32 vcc, 0, v[97:98]
	v_cmp_neq_f64_e64 s[2:3], 0, v[99:100]
	s_or_b64 s[2:3], vcc, s[2:3]
	s_and_b64 exec, exec, s[2:3]
	s_cbranch_execz .LBB99_44
; %bb.39:
	v_cmp_ngt_f64_e64 s[2:3], |v[97:98]|, |v[99:100]|
                                        ; implicit-def: $vgpr101_vgpr102
	s_and_saveexec_b64 s[6:7], s[2:3]
	s_xor_b64 s[2:3], exec, s[6:7]
                                        ; implicit-def: $vgpr103_vgpr104
	s_cbranch_execz .LBB99_41
; %bb.40:
	v_div_scale_f64 v[101:102], s[6:7], v[99:100], v[99:100], v[97:98]
	v_rcp_f64_e32 v[103:104], v[101:102]
	v_fma_f64 v[105:106], -v[101:102], v[103:104], 1.0
	v_fma_f64 v[103:104], v[103:104], v[105:106], v[103:104]
	v_div_scale_f64 v[105:106], vcc, v[97:98], v[99:100], v[97:98]
	v_fma_f64 v[107:108], -v[101:102], v[103:104], 1.0
	v_fma_f64 v[103:104], v[103:104], v[107:108], v[103:104]
	v_mul_f64 v[107:108], v[105:106], v[103:104]
	v_fma_f64 v[101:102], -v[101:102], v[107:108], v[105:106]
	v_div_fmas_f64 v[101:102], v[101:102], v[103:104], v[107:108]
	v_div_fixup_f64 v[101:102], v[101:102], v[99:100], v[97:98]
	v_fma_f64 v[97:98], v[97:98], v[101:102], v[99:100]
	v_div_scale_f64 v[99:100], s[6:7], v[97:98], v[97:98], 1.0
	v_div_scale_f64 v[107:108], vcc, 1.0, v[97:98], 1.0
	v_rcp_f64_e32 v[103:104], v[99:100]
	v_fma_f64 v[105:106], -v[99:100], v[103:104], 1.0
	v_fma_f64 v[103:104], v[103:104], v[105:106], v[103:104]
	v_fma_f64 v[105:106], -v[99:100], v[103:104], 1.0
	v_fma_f64 v[103:104], v[103:104], v[105:106], v[103:104]
	v_mul_f64 v[105:106], v[107:108], v[103:104]
	v_fma_f64 v[99:100], -v[99:100], v[105:106], v[107:108]
	v_div_fmas_f64 v[99:100], v[99:100], v[103:104], v[105:106]
	v_div_fixup_f64 v[103:104], v[99:100], v[97:98], 1.0
                                        ; implicit-def: $vgpr97_vgpr98
	v_mul_f64 v[101:102], v[101:102], v[103:104]
	v_xor_b32_e32 v104, 0x80000000, v104
.LBB99_41:
	s_andn2_saveexec_b64 s[2:3], s[2:3]
	s_cbranch_execz .LBB99_43
; %bb.42:
	v_div_scale_f64 v[101:102], s[6:7], v[97:98], v[97:98], v[99:100]
	v_rcp_f64_e32 v[103:104], v[101:102]
	v_fma_f64 v[105:106], -v[101:102], v[103:104], 1.0
	v_fma_f64 v[103:104], v[103:104], v[105:106], v[103:104]
	v_div_scale_f64 v[105:106], vcc, v[99:100], v[97:98], v[99:100]
	v_fma_f64 v[107:108], -v[101:102], v[103:104], 1.0
	v_fma_f64 v[103:104], v[103:104], v[107:108], v[103:104]
	v_mul_f64 v[107:108], v[105:106], v[103:104]
	v_fma_f64 v[101:102], -v[101:102], v[107:108], v[105:106]
	v_div_fmas_f64 v[101:102], v[101:102], v[103:104], v[107:108]
	v_div_fixup_f64 v[103:104], v[101:102], v[97:98], v[99:100]
	v_fma_f64 v[97:98], v[99:100], v[103:104], v[97:98]
	v_div_scale_f64 v[99:100], s[6:7], v[97:98], v[97:98], 1.0
	v_div_scale_f64 v[107:108], vcc, 1.0, v[97:98], 1.0
	v_rcp_f64_e32 v[101:102], v[99:100]
	v_fma_f64 v[105:106], -v[99:100], v[101:102], 1.0
	v_fma_f64 v[101:102], v[101:102], v[105:106], v[101:102]
	v_fma_f64 v[105:106], -v[99:100], v[101:102], 1.0
	v_fma_f64 v[101:102], v[101:102], v[105:106], v[101:102]
	v_mul_f64 v[105:106], v[107:108], v[101:102]
	v_fma_f64 v[99:100], -v[99:100], v[105:106], v[107:108]
	v_div_fmas_f64 v[99:100], v[99:100], v[101:102], v[105:106]
	v_div_fixup_f64 v[101:102], v[99:100], v[97:98], 1.0
	v_mul_f64 v[103:104], v[103:104], -v[101:102]
.LBB99_43:
	s_or_b64 exec, exec, s[2:3]
	ds_write2_b64 v127, v[101:102], v[103:104] offset1:1
.LBB99_44:
	s_or_b64 exec, exec, s[4:5]
	s_waitcnt lgkmcnt(0)
	s_barrier
	ds_read2_b64 v[69:72], v127 offset1:1
	v_cmp_lt_u32_e32 vcc, 4, v0
	s_waitcnt lgkmcnt(0)
	buffer_store_dword v69, off, s[20:23], 0 offset:888 ; 4-byte Folded Spill
	s_nop 0
	buffer_store_dword v70, off, s[20:23], 0 offset:892 ; 4-byte Folded Spill
	buffer_store_dword v71, off, s[20:23], 0 offset:896 ; 4-byte Folded Spill
	;; [unrolled: 1-line block ×3, first 2 shown]
	s_and_saveexec_b64 s[2:3], vcc
	s_cbranch_execz .LBB99_46
; %bb.45:
	buffer_load_dword v103, off, s[20:23], 0 offset:352 ; 4-byte Folded Reload
	buffer_load_dword v104, off, s[20:23], 0 offset:356 ; 4-byte Folded Reload
	;; [unrolled: 1-line block ×8, first 2 shown]
	s_waitcnt vmcnt(2)
	v_mul_f64 v[99:100], v[69:70], v[105:106]
	s_waitcnt vmcnt(0)
	v_mul_f64 v[97:98], v[71:72], v[105:106]
	v_fma_f64 v[105:106], v[71:72], v[103:104], v[99:100]
	ds_read2_b64 v[99:102], v125 offset0:10 offset1:11
	v_fma_f64 v[97:98], v[69:70], v[103:104], -v[97:98]
	buffer_load_dword v69, off, s[20:23], 0 offset:336 ; 4-byte Folded Reload
	buffer_load_dword v70, off, s[20:23], 0 offset:340 ; 4-byte Folded Reload
	buffer_load_dword v71, off, s[20:23], 0 offset:344 ; 4-byte Folded Reload
	buffer_load_dword v72, off, s[20:23], 0 offset:348 ; 4-byte Folded Reload
	s_waitcnt lgkmcnt(0)
	v_mul_f64 v[103:104], v[101:102], v[105:106]
	v_fma_f64 v[103:104], v[99:100], v[97:98], -v[103:104]
	v_mul_f64 v[99:100], v[99:100], v[105:106]
	v_fma_f64 v[99:100], v[101:102], v[97:98], v[99:100]
	s_waitcnt vmcnt(2)
	v_add_f64 v[69:70], v[69:70], -v[103:104]
	s_waitcnt vmcnt(0)
	v_add_f64 v[71:72], v[71:72], -v[99:100]
	buffer_store_dword v69, off, s[20:23], 0 offset:336 ; 4-byte Folded Spill
	s_nop 0
	buffer_store_dword v70, off, s[20:23], 0 offset:340 ; 4-byte Folded Spill
	buffer_store_dword v71, off, s[20:23], 0 offset:344 ; 4-byte Folded Spill
	buffer_store_dword v72, off, s[20:23], 0 offset:348 ; 4-byte Folded Spill
	ds_read2_b64 v[99:102], v125 offset0:12 offset1:13
	buffer_load_dword v69, off, s[20:23], 0 offset:320 ; 4-byte Folded Reload
	buffer_load_dword v70, off, s[20:23], 0 offset:324 ; 4-byte Folded Reload
	buffer_load_dword v71, off, s[20:23], 0 offset:328 ; 4-byte Folded Reload
	buffer_load_dword v72, off, s[20:23], 0 offset:332 ; 4-byte Folded Reload
	s_waitcnt lgkmcnt(0)
	v_mul_f64 v[103:104], v[101:102], v[105:106]
	v_fma_f64 v[103:104], v[99:100], v[97:98], -v[103:104]
	v_mul_f64 v[99:100], v[99:100], v[105:106]
	v_fma_f64 v[99:100], v[101:102], v[97:98], v[99:100]
	s_waitcnt vmcnt(2)
	v_add_f64 v[69:70], v[69:70], -v[103:104]
	s_waitcnt vmcnt(0)
	v_add_f64 v[71:72], v[71:72], -v[99:100]
	buffer_store_dword v69, off, s[20:23], 0 offset:320 ; 4-byte Folded Spill
	s_nop 0
	buffer_store_dword v70, off, s[20:23], 0 offset:324 ; 4-byte Folded Spill
	buffer_store_dword v71, off, s[20:23], 0 offset:328 ; 4-byte Folded Spill
	buffer_store_dword v72, off, s[20:23], 0 offset:332 ; 4-byte Folded Spill
	ds_read2_b64 v[99:102], v125 offset0:14 offset1:15
	;; [unrolled: 19-line block ×19, first 2 shown]
	v_mov_b32_e32 v69, v73
	v_mov_b32_e32 v70, v74
	;; [unrolled: 1-line block ×4, first 2 shown]
	s_waitcnt lgkmcnt(0)
	v_mul_f64 v[103:104], v[101:102], v[105:106]
	v_fma_f64 v[103:104], v[99:100], v[97:98], -v[103:104]
	v_mul_f64 v[99:100], v[99:100], v[105:106]
	v_add_f64 v[121:122], v[121:122], -v[103:104]
	v_fma_f64 v[99:100], v[101:102], v[97:98], v[99:100]
	v_add_f64 v[123:124], v[123:124], -v[99:100]
	ds_read2_b64 v[99:102], v125 offset0:50 offset1:51
	s_waitcnt lgkmcnt(0)
	v_mul_f64 v[103:104], v[101:102], v[105:106]
	v_fma_f64 v[103:104], v[99:100], v[97:98], -v[103:104]
	v_mul_f64 v[99:100], v[99:100], v[105:106]
	v_add_f64 v[117:118], v[117:118], -v[103:104]
	v_fma_f64 v[99:100], v[101:102], v[97:98], v[99:100]
	v_add_f64 v[119:120], v[119:120], -v[99:100]
	ds_read2_b64 v[99:102], v125 offset0:52 offset1:53
	;; [unrolled: 8-line block ×5, first 2 shown]
	buffer_load_dword v77, off, s[20:23], 0 offset:32 ; 4-byte Folded Reload
	buffer_load_dword v78, off, s[20:23], 0 offset:36 ; 4-byte Folded Reload
	;; [unrolled: 1-line block ×4, first 2 shown]
	s_waitcnt lgkmcnt(0)
	v_mul_f64 v[103:104], v[101:102], v[105:106]
	v_fma_f64 v[103:104], v[99:100], v[97:98], -v[103:104]
	v_mul_f64 v[99:100], v[99:100], v[105:106]
	v_fma_f64 v[99:100], v[101:102], v[97:98], v[99:100]
	s_waitcnt vmcnt(2)
	v_add_f64 v[77:78], v[77:78], -v[103:104]
	s_waitcnt vmcnt(0)
	v_add_f64 v[79:80], v[79:80], -v[99:100]
	buffer_store_dword v77, off, s[20:23], 0 offset:32 ; 4-byte Folded Spill
	s_nop 0
	buffer_store_dword v78, off, s[20:23], 0 offset:36 ; 4-byte Folded Spill
	buffer_store_dword v79, off, s[20:23], 0 offset:40 ; 4-byte Folded Spill
	;; [unrolled: 1-line block ×3, first 2 shown]
	ds_read2_b64 v[99:102], v125 offset0:60 offset1:61
	buffer_load_dword v73, off, s[20:23], 0 offset:16 ; 4-byte Folded Reload
	buffer_load_dword v74, off, s[20:23], 0 offset:20 ; 4-byte Folded Reload
	;; [unrolled: 1-line block ×4, first 2 shown]
	s_waitcnt lgkmcnt(0)
	v_mul_f64 v[103:104], v[101:102], v[105:106]
	v_fma_f64 v[103:104], v[99:100], v[97:98], -v[103:104]
	v_mul_f64 v[99:100], v[99:100], v[105:106]
	v_fma_f64 v[99:100], v[101:102], v[97:98], v[99:100]
	s_waitcnt vmcnt(2)
	v_add_f64 v[73:74], v[73:74], -v[103:104]
	s_waitcnt vmcnt(0)
	v_add_f64 v[75:76], v[75:76], -v[99:100]
	buffer_store_dword v73, off, s[20:23], 0 offset:16 ; 4-byte Folded Spill
	s_nop 0
	buffer_store_dword v74, off, s[20:23], 0 offset:20 ; 4-byte Folded Spill
	buffer_store_dword v75, off, s[20:23], 0 offset:24 ; 4-byte Folded Spill
	;; [unrolled: 1-line block ×3, first 2 shown]
	v_mov_b32_e32 v76, v72
	v_mov_b32_e32 v75, v71
	;; [unrolled: 1-line block ×4, first 2 shown]
	ds_read2_b64 v[99:102], v125 offset0:62 offset1:63
	buffer_load_dword v69, off, s[20:23], 0 ; 4-byte Folded Reload
	buffer_load_dword v70, off, s[20:23], 0 offset:4 ; 4-byte Folded Reload
	buffer_load_dword v71, off, s[20:23], 0 offset:8 ; 4-byte Folded Reload
	;; [unrolled: 1-line block ×3, first 2 shown]
	s_waitcnt lgkmcnt(0)
	v_mul_f64 v[103:104], v[101:102], v[105:106]
	v_fma_f64 v[103:104], v[99:100], v[97:98], -v[103:104]
	v_mul_f64 v[99:100], v[99:100], v[105:106]
	v_fma_f64 v[99:100], v[101:102], v[97:98], v[99:100]
	s_waitcnt vmcnt(2)
	v_add_f64 v[69:70], v[69:70], -v[103:104]
	s_waitcnt vmcnt(0)
	v_add_f64 v[71:72], v[71:72], -v[99:100]
	buffer_store_dword v69, off, s[20:23], 0 ; 4-byte Folded Spill
	s_nop 0
	buffer_store_dword v70, off, s[20:23], 0 offset:4 ; 4-byte Folded Spill
	buffer_store_dword v71, off, s[20:23], 0 offset:8 ; 4-byte Folded Spill
	;; [unrolled: 1-line block ×3, first 2 shown]
	ds_read2_b64 v[99:102], v125 offset0:64 offset1:65
	s_waitcnt lgkmcnt(0)
	v_mul_f64 v[103:104], v[101:102], v[105:106]
	v_fma_f64 v[103:104], v[99:100], v[97:98], -v[103:104]
	v_mul_f64 v[99:100], v[99:100], v[105:106]
	v_add_f64 v[65:66], v[65:66], -v[103:104]
	v_fma_f64 v[99:100], v[101:102], v[97:98], v[99:100]
	v_add_f64 v[67:68], v[67:68], -v[99:100]
	ds_read2_b64 v[99:102], v125 offset0:66 offset1:67
	s_waitcnt lgkmcnt(0)
	v_mul_f64 v[103:104], v[101:102], v[105:106]
	v_fma_f64 v[103:104], v[99:100], v[97:98], -v[103:104]
	v_mul_f64 v[99:100], v[99:100], v[105:106]
	v_add_f64 v[61:62], v[61:62], -v[103:104]
	v_fma_f64 v[99:100], v[101:102], v[97:98], v[99:100]
	v_add_f64 v[63:64], v[63:64], -v[99:100]
	;; [unrolled: 8-line block ×16, first 2 shown]
	ds_read2_b64 v[99:102], v125 offset0:96 offset1:97
	s_waitcnt lgkmcnt(0)
	v_mul_f64 v[103:104], v[101:102], v[105:106]
	v_fma_f64 v[103:104], v[99:100], v[97:98], -v[103:104]
	v_mul_f64 v[99:100], v[99:100], v[105:106]
	v_add_f64 v[1:2], v[1:2], -v[103:104]
	v_fma_f64 v[99:100], v[101:102], v[97:98], v[99:100]
	ds_read2_b64 v[101:104], v125 offset0:98 offset1:99
	v_add_f64 v[3:4], v[3:4], -v[99:100]
	s_waitcnt lgkmcnt(0)
	v_mul_f64 v[99:100], v[103:104], v[105:106]
	v_fma_f64 v[99:100], v[101:102], v[97:98], -v[99:100]
	v_mul_f64 v[101:102], v[101:102], v[105:106]
	v_add_f64 v[73:74], v[73:74], -v[99:100]
	v_fma_f64 v[101:102], v[103:104], v[97:98], v[101:102]
	v_mov_b32_e32 v104, v98
	v_mov_b32_e32 v103, v97
	buffer_store_dword v103, off, s[20:23], 0 offset:352 ; 4-byte Folded Spill
	s_nop 0
	buffer_store_dword v104, off, s[20:23], 0 offset:356 ; 4-byte Folded Spill
	buffer_store_dword v105, off, s[20:23], 0 offset:360 ; 4-byte Folded Spill
	;; [unrolled: 1-line block ×3, first 2 shown]
	v_add_f64 v[75:76], v[75:76], -v[101:102]
.LBB99_46:
	s_or_b64 exec, exec, s[2:3]
	v_cmp_eq_u32_e32 vcc, 5, v0
	s_waitcnt vmcnt(0)
	s_barrier
	s_and_saveexec_b64 s[4:5], vcc
	s_cbranch_execz .LBB99_53
; %bb.47:
	buffer_load_dword v69, off, s[20:23], 0 offset:336 ; 4-byte Folded Reload
	buffer_load_dword v70, off, s[20:23], 0 offset:340 ; 4-byte Folded Reload
	;; [unrolled: 1-line block ×4, first 2 shown]
	s_waitcnt vmcnt(0)
	ds_write2_b64 v127, v[69:70], v[71:72] offset1:1
	buffer_load_dword v69, off, s[20:23], 0 offset:320 ; 4-byte Folded Reload
	buffer_load_dword v70, off, s[20:23], 0 offset:324 ; 4-byte Folded Reload
	buffer_load_dword v71, off, s[20:23], 0 offset:328 ; 4-byte Folded Reload
	buffer_load_dword v72, off, s[20:23], 0 offset:332 ; 4-byte Folded Reload
	s_waitcnt vmcnt(0)
	ds_write2_b64 v125, v[69:70], v[71:72] offset0:12 offset1:13
	buffer_load_dword v69, off, s[20:23], 0 offset:304 ; 4-byte Folded Reload
	buffer_load_dword v70, off, s[20:23], 0 offset:308 ; 4-byte Folded Reload
	buffer_load_dword v71, off, s[20:23], 0 offset:312 ; 4-byte Folded Reload
	buffer_load_dword v72, off, s[20:23], 0 offset:316 ; 4-byte Folded Reload
	s_waitcnt vmcnt(0)
	ds_write2_b64 v125, v[69:70], v[71:72] offset0:14 offset1:15
	;; [unrolled: 6-line block ×18, first 2 shown]
	ds_write2_b64 v125, v[121:122], v[123:124] offset0:48 offset1:49
	ds_write2_b64 v125, v[117:118], v[119:120] offset0:50 offset1:51
	;; [unrolled: 1-line block ×5, first 2 shown]
	buffer_load_dword v77, off, s[20:23], 0 offset:32 ; 4-byte Folded Reload
	buffer_load_dword v78, off, s[20:23], 0 offset:36 ; 4-byte Folded Reload
	;; [unrolled: 1-line block ×4, first 2 shown]
	v_mov_b32_e32 v69, v73
	v_mov_b32_e32 v70, v74
	;; [unrolled: 1-line block ×4, first 2 shown]
	s_waitcnt vmcnt(0)
	ds_write2_b64 v125, v[77:78], v[79:80] offset0:58 offset1:59
	buffer_load_dword v73, off, s[20:23], 0 offset:16 ; 4-byte Folded Reload
	buffer_load_dword v74, off, s[20:23], 0 offset:20 ; 4-byte Folded Reload
	;; [unrolled: 1-line block ×4, first 2 shown]
	s_waitcnt vmcnt(0)
	ds_write2_b64 v125, v[73:74], v[75:76] offset0:60 offset1:61
	v_mov_b32_e32 v76, v72
	v_mov_b32_e32 v75, v71
	;; [unrolled: 1-line block ×4, first 2 shown]
	buffer_load_dword v69, off, s[20:23], 0 ; 4-byte Folded Reload
	buffer_load_dword v70, off, s[20:23], 0 offset:4 ; 4-byte Folded Reload
	buffer_load_dword v71, off, s[20:23], 0 offset:8 ; 4-byte Folded Reload
	;; [unrolled: 1-line block ×3, first 2 shown]
	s_waitcnt vmcnt(0)
	ds_write2_b64 v125, v[69:70], v[71:72] offset0:62 offset1:63
	ds_write2_b64 v125, v[65:66], v[67:68] offset0:64 offset1:65
	;; [unrolled: 1-line block ×19, first 2 shown]
	ds_read2_b64 v[97:100], v127 offset1:1
	s_waitcnt lgkmcnt(0)
	v_cmp_neq_f64_e32 vcc, 0, v[97:98]
	v_cmp_neq_f64_e64 s[2:3], 0, v[99:100]
	s_or_b64 s[2:3], vcc, s[2:3]
	s_and_b64 exec, exec, s[2:3]
	s_cbranch_execz .LBB99_53
; %bb.48:
	v_cmp_ngt_f64_e64 s[2:3], |v[97:98]|, |v[99:100]|
                                        ; implicit-def: $vgpr101_vgpr102
	s_and_saveexec_b64 s[6:7], s[2:3]
	s_xor_b64 s[2:3], exec, s[6:7]
                                        ; implicit-def: $vgpr103_vgpr104
	s_cbranch_execz .LBB99_50
; %bb.49:
	v_div_scale_f64 v[101:102], s[6:7], v[99:100], v[99:100], v[97:98]
	v_rcp_f64_e32 v[103:104], v[101:102]
	v_fma_f64 v[105:106], -v[101:102], v[103:104], 1.0
	v_fma_f64 v[103:104], v[103:104], v[105:106], v[103:104]
	v_div_scale_f64 v[105:106], vcc, v[97:98], v[99:100], v[97:98]
	v_fma_f64 v[107:108], -v[101:102], v[103:104], 1.0
	v_fma_f64 v[103:104], v[103:104], v[107:108], v[103:104]
	v_mul_f64 v[107:108], v[105:106], v[103:104]
	v_fma_f64 v[101:102], -v[101:102], v[107:108], v[105:106]
	v_div_fmas_f64 v[101:102], v[101:102], v[103:104], v[107:108]
	v_div_fixup_f64 v[101:102], v[101:102], v[99:100], v[97:98]
	v_fma_f64 v[97:98], v[97:98], v[101:102], v[99:100]
	v_div_scale_f64 v[99:100], s[6:7], v[97:98], v[97:98], 1.0
	v_div_scale_f64 v[107:108], vcc, 1.0, v[97:98], 1.0
	v_rcp_f64_e32 v[103:104], v[99:100]
	v_fma_f64 v[105:106], -v[99:100], v[103:104], 1.0
	v_fma_f64 v[103:104], v[103:104], v[105:106], v[103:104]
	v_fma_f64 v[105:106], -v[99:100], v[103:104], 1.0
	v_fma_f64 v[103:104], v[103:104], v[105:106], v[103:104]
	v_mul_f64 v[105:106], v[107:108], v[103:104]
	v_fma_f64 v[99:100], -v[99:100], v[105:106], v[107:108]
	v_div_fmas_f64 v[99:100], v[99:100], v[103:104], v[105:106]
	v_div_fixup_f64 v[103:104], v[99:100], v[97:98], 1.0
                                        ; implicit-def: $vgpr97_vgpr98
	v_mul_f64 v[101:102], v[101:102], v[103:104]
	v_xor_b32_e32 v104, 0x80000000, v104
.LBB99_50:
	s_andn2_saveexec_b64 s[2:3], s[2:3]
	s_cbranch_execz .LBB99_52
; %bb.51:
	v_div_scale_f64 v[101:102], s[6:7], v[97:98], v[97:98], v[99:100]
	v_rcp_f64_e32 v[103:104], v[101:102]
	v_fma_f64 v[105:106], -v[101:102], v[103:104], 1.0
	v_fma_f64 v[103:104], v[103:104], v[105:106], v[103:104]
	v_div_scale_f64 v[105:106], vcc, v[99:100], v[97:98], v[99:100]
	v_fma_f64 v[107:108], -v[101:102], v[103:104], 1.0
	v_fma_f64 v[103:104], v[103:104], v[107:108], v[103:104]
	v_mul_f64 v[107:108], v[105:106], v[103:104]
	v_fma_f64 v[101:102], -v[101:102], v[107:108], v[105:106]
	v_div_fmas_f64 v[101:102], v[101:102], v[103:104], v[107:108]
	v_div_fixup_f64 v[103:104], v[101:102], v[97:98], v[99:100]
	v_fma_f64 v[97:98], v[99:100], v[103:104], v[97:98]
	v_div_scale_f64 v[99:100], s[6:7], v[97:98], v[97:98], 1.0
	v_div_scale_f64 v[107:108], vcc, 1.0, v[97:98], 1.0
	v_rcp_f64_e32 v[101:102], v[99:100]
	v_fma_f64 v[105:106], -v[99:100], v[101:102], 1.0
	v_fma_f64 v[101:102], v[101:102], v[105:106], v[101:102]
	v_fma_f64 v[105:106], -v[99:100], v[101:102], 1.0
	v_fma_f64 v[101:102], v[101:102], v[105:106], v[101:102]
	v_mul_f64 v[105:106], v[107:108], v[101:102]
	v_fma_f64 v[99:100], -v[99:100], v[105:106], v[107:108]
	v_div_fmas_f64 v[99:100], v[99:100], v[101:102], v[105:106]
	v_div_fixup_f64 v[101:102], v[99:100], v[97:98], 1.0
	v_mul_f64 v[103:104], v[103:104], -v[101:102]
.LBB99_52:
	s_or_b64 exec, exec, s[2:3]
	ds_write2_b64 v127, v[101:102], v[103:104] offset1:1
.LBB99_53:
	s_or_b64 exec, exec, s[4:5]
	s_waitcnt lgkmcnt(0)
	s_barrier
	ds_read2_b64 v[69:72], v127 offset1:1
	v_cmp_lt_u32_e32 vcc, 5, v0
	s_waitcnt lgkmcnt(0)
	buffer_store_dword v69, off, s[20:23], 0 offset:904 ; 4-byte Folded Spill
	s_nop 0
	buffer_store_dword v70, off, s[20:23], 0 offset:908 ; 4-byte Folded Spill
	buffer_store_dword v71, off, s[20:23], 0 offset:912 ; 4-byte Folded Spill
	;; [unrolled: 1-line block ×3, first 2 shown]
	s_and_saveexec_b64 s[2:3], vcc
	s_cbranch_execz .LBB99_55
; %bb.54:
	buffer_load_dword v103, off, s[20:23], 0 offset:336 ; 4-byte Folded Reload
	buffer_load_dword v104, off, s[20:23], 0 offset:340 ; 4-byte Folded Reload
	;; [unrolled: 1-line block ×8, first 2 shown]
	s_waitcnt vmcnt(2)
	v_mul_f64 v[99:100], v[69:70], v[105:106]
	s_waitcnt vmcnt(0)
	v_mul_f64 v[97:98], v[71:72], v[105:106]
	v_fma_f64 v[105:106], v[71:72], v[103:104], v[99:100]
	ds_read2_b64 v[99:102], v125 offset0:12 offset1:13
	v_fma_f64 v[97:98], v[69:70], v[103:104], -v[97:98]
	buffer_load_dword v69, off, s[20:23], 0 offset:320 ; 4-byte Folded Reload
	buffer_load_dword v70, off, s[20:23], 0 offset:324 ; 4-byte Folded Reload
	buffer_load_dword v71, off, s[20:23], 0 offset:328 ; 4-byte Folded Reload
	buffer_load_dword v72, off, s[20:23], 0 offset:332 ; 4-byte Folded Reload
	s_waitcnt lgkmcnt(0)
	v_mul_f64 v[103:104], v[101:102], v[105:106]
	v_fma_f64 v[103:104], v[99:100], v[97:98], -v[103:104]
	v_mul_f64 v[99:100], v[99:100], v[105:106]
	v_fma_f64 v[99:100], v[101:102], v[97:98], v[99:100]
	s_waitcnt vmcnt(2)
	v_add_f64 v[69:70], v[69:70], -v[103:104]
	s_waitcnt vmcnt(0)
	v_add_f64 v[71:72], v[71:72], -v[99:100]
	buffer_store_dword v69, off, s[20:23], 0 offset:320 ; 4-byte Folded Spill
	s_nop 0
	buffer_store_dword v70, off, s[20:23], 0 offset:324 ; 4-byte Folded Spill
	buffer_store_dword v71, off, s[20:23], 0 offset:328 ; 4-byte Folded Spill
	buffer_store_dword v72, off, s[20:23], 0 offset:332 ; 4-byte Folded Spill
	ds_read2_b64 v[99:102], v125 offset0:14 offset1:15
	buffer_load_dword v69, off, s[20:23], 0 offset:304 ; 4-byte Folded Reload
	buffer_load_dword v70, off, s[20:23], 0 offset:308 ; 4-byte Folded Reload
	buffer_load_dword v71, off, s[20:23], 0 offset:312 ; 4-byte Folded Reload
	buffer_load_dword v72, off, s[20:23], 0 offset:316 ; 4-byte Folded Reload
	s_waitcnt lgkmcnt(0)
	v_mul_f64 v[103:104], v[101:102], v[105:106]
	v_fma_f64 v[103:104], v[99:100], v[97:98], -v[103:104]
	v_mul_f64 v[99:100], v[99:100], v[105:106]
	v_fma_f64 v[99:100], v[101:102], v[97:98], v[99:100]
	s_waitcnt vmcnt(2)
	v_add_f64 v[69:70], v[69:70], -v[103:104]
	s_waitcnt vmcnt(0)
	v_add_f64 v[71:72], v[71:72], -v[99:100]
	buffer_store_dword v69, off, s[20:23], 0 offset:304 ; 4-byte Folded Spill
	s_nop 0
	buffer_store_dword v70, off, s[20:23], 0 offset:308 ; 4-byte Folded Spill
	buffer_store_dword v71, off, s[20:23], 0 offset:312 ; 4-byte Folded Spill
	buffer_store_dword v72, off, s[20:23], 0 offset:316 ; 4-byte Folded Spill
	ds_read2_b64 v[99:102], v125 offset0:16 offset1:17
	;; [unrolled: 19-line block ×18, first 2 shown]
	v_mov_b32_e32 v69, v73
	v_mov_b32_e32 v70, v74
	;; [unrolled: 1-line block ×4, first 2 shown]
	s_waitcnt lgkmcnt(0)
	v_mul_f64 v[103:104], v[101:102], v[105:106]
	v_fma_f64 v[103:104], v[99:100], v[97:98], -v[103:104]
	v_mul_f64 v[99:100], v[99:100], v[105:106]
	v_add_f64 v[121:122], v[121:122], -v[103:104]
	v_fma_f64 v[99:100], v[101:102], v[97:98], v[99:100]
	v_add_f64 v[123:124], v[123:124], -v[99:100]
	ds_read2_b64 v[99:102], v125 offset0:50 offset1:51
	s_waitcnt lgkmcnt(0)
	v_mul_f64 v[103:104], v[101:102], v[105:106]
	v_fma_f64 v[103:104], v[99:100], v[97:98], -v[103:104]
	v_mul_f64 v[99:100], v[99:100], v[105:106]
	v_add_f64 v[117:118], v[117:118], -v[103:104]
	v_fma_f64 v[99:100], v[101:102], v[97:98], v[99:100]
	v_add_f64 v[119:120], v[119:120], -v[99:100]
	ds_read2_b64 v[99:102], v125 offset0:52 offset1:53
	;; [unrolled: 8-line block ×5, first 2 shown]
	buffer_load_dword v77, off, s[20:23], 0 offset:32 ; 4-byte Folded Reload
	buffer_load_dword v78, off, s[20:23], 0 offset:36 ; 4-byte Folded Reload
	;; [unrolled: 1-line block ×4, first 2 shown]
	s_waitcnt lgkmcnt(0)
	v_mul_f64 v[103:104], v[101:102], v[105:106]
	v_fma_f64 v[103:104], v[99:100], v[97:98], -v[103:104]
	v_mul_f64 v[99:100], v[99:100], v[105:106]
	v_fma_f64 v[99:100], v[101:102], v[97:98], v[99:100]
	s_waitcnt vmcnt(2)
	v_add_f64 v[77:78], v[77:78], -v[103:104]
	s_waitcnt vmcnt(0)
	v_add_f64 v[79:80], v[79:80], -v[99:100]
	buffer_store_dword v77, off, s[20:23], 0 offset:32 ; 4-byte Folded Spill
	s_nop 0
	buffer_store_dword v78, off, s[20:23], 0 offset:36 ; 4-byte Folded Spill
	buffer_store_dword v79, off, s[20:23], 0 offset:40 ; 4-byte Folded Spill
	;; [unrolled: 1-line block ×3, first 2 shown]
	ds_read2_b64 v[99:102], v125 offset0:60 offset1:61
	buffer_load_dword v73, off, s[20:23], 0 offset:16 ; 4-byte Folded Reload
	buffer_load_dword v74, off, s[20:23], 0 offset:20 ; 4-byte Folded Reload
	;; [unrolled: 1-line block ×4, first 2 shown]
	s_waitcnt lgkmcnt(0)
	v_mul_f64 v[103:104], v[101:102], v[105:106]
	v_fma_f64 v[103:104], v[99:100], v[97:98], -v[103:104]
	v_mul_f64 v[99:100], v[99:100], v[105:106]
	v_fma_f64 v[99:100], v[101:102], v[97:98], v[99:100]
	s_waitcnt vmcnt(2)
	v_add_f64 v[73:74], v[73:74], -v[103:104]
	s_waitcnt vmcnt(0)
	v_add_f64 v[75:76], v[75:76], -v[99:100]
	buffer_store_dword v73, off, s[20:23], 0 offset:16 ; 4-byte Folded Spill
	s_nop 0
	buffer_store_dword v74, off, s[20:23], 0 offset:20 ; 4-byte Folded Spill
	buffer_store_dword v75, off, s[20:23], 0 offset:24 ; 4-byte Folded Spill
	;; [unrolled: 1-line block ×3, first 2 shown]
	v_mov_b32_e32 v76, v72
	v_mov_b32_e32 v75, v71
	;; [unrolled: 1-line block ×4, first 2 shown]
	ds_read2_b64 v[99:102], v125 offset0:62 offset1:63
	buffer_load_dword v69, off, s[20:23], 0 ; 4-byte Folded Reload
	buffer_load_dword v70, off, s[20:23], 0 offset:4 ; 4-byte Folded Reload
	buffer_load_dword v71, off, s[20:23], 0 offset:8 ; 4-byte Folded Reload
	;; [unrolled: 1-line block ×3, first 2 shown]
	s_waitcnt lgkmcnt(0)
	v_mul_f64 v[103:104], v[101:102], v[105:106]
	v_fma_f64 v[103:104], v[99:100], v[97:98], -v[103:104]
	v_mul_f64 v[99:100], v[99:100], v[105:106]
	v_fma_f64 v[99:100], v[101:102], v[97:98], v[99:100]
	s_waitcnt vmcnt(2)
	v_add_f64 v[69:70], v[69:70], -v[103:104]
	s_waitcnt vmcnt(0)
	v_add_f64 v[71:72], v[71:72], -v[99:100]
	buffer_store_dword v69, off, s[20:23], 0 ; 4-byte Folded Spill
	s_nop 0
	buffer_store_dword v70, off, s[20:23], 0 offset:4 ; 4-byte Folded Spill
	buffer_store_dword v71, off, s[20:23], 0 offset:8 ; 4-byte Folded Spill
	;; [unrolled: 1-line block ×3, first 2 shown]
	ds_read2_b64 v[99:102], v125 offset0:64 offset1:65
	s_waitcnt lgkmcnt(0)
	v_mul_f64 v[103:104], v[101:102], v[105:106]
	v_fma_f64 v[103:104], v[99:100], v[97:98], -v[103:104]
	v_mul_f64 v[99:100], v[99:100], v[105:106]
	v_add_f64 v[65:66], v[65:66], -v[103:104]
	v_fma_f64 v[99:100], v[101:102], v[97:98], v[99:100]
	v_add_f64 v[67:68], v[67:68], -v[99:100]
	ds_read2_b64 v[99:102], v125 offset0:66 offset1:67
	s_waitcnt lgkmcnt(0)
	v_mul_f64 v[103:104], v[101:102], v[105:106]
	v_fma_f64 v[103:104], v[99:100], v[97:98], -v[103:104]
	v_mul_f64 v[99:100], v[99:100], v[105:106]
	v_add_f64 v[61:62], v[61:62], -v[103:104]
	v_fma_f64 v[99:100], v[101:102], v[97:98], v[99:100]
	v_add_f64 v[63:64], v[63:64], -v[99:100]
	;; [unrolled: 8-line block ×16, first 2 shown]
	ds_read2_b64 v[99:102], v125 offset0:96 offset1:97
	s_waitcnt lgkmcnt(0)
	v_mul_f64 v[103:104], v[101:102], v[105:106]
	v_fma_f64 v[103:104], v[99:100], v[97:98], -v[103:104]
	v_mul_f64 v[99:100], v[99:100], v[105:106]
	v_add_f64 v[1:2], v[1:2], -v[103:104]
	v_fma_f64 v[99:100], v[101:102], v[97:98], v[99:100]
	ds_read2_b64 v[101:104], v125 offset0:98 offset1:99
	v_add_f64 v[3:4], v[3:4], -v[99:100]
	s_waitcnt lgkmcnt(0)
	v_mul_f64 v[99:100], v[103:104], v[105:106]
	v_fma_f64 v[99:100], v[101:102], v[97:98], -v[99:100]
	v_mul_f64 v[101:102], v[101:102], v[105:106]
	v_add_f64 v[73:74], v[73:74], -v[99:100]
	v_fma_f64 v[101:102], v[103:104], v[97:98], v[101:102]
	v_mov_b32_e32 v104, v98
	v_mov_b32_e32 v103, v97
	buffer_store_dword v103, off, s[20:23], 0 offset:336 ; 4-byte Folded Spill
	s_nop 0
	buffer_store_dword v104, off, s[20:23], 0 offset:340 ; 4-byte Folded Spill
	buffer_store_dword v105, off, s[20:23], 0 offset:344 ; 4-byte Folded Spill
	;; [unrolled: 1-line block ×3, first 2 shown]
	v_add_f64 v[75:76], v[75:76], -v[101:102]
.LBB99_55:
	s_or_b64 exec, exec, s[2:3]
	v_cmp_eq_u32_e32 vcc, 6, v0
	s_waitcnt vmcnt(0)
	s_barrier
	s_and_saveexec_b64 s[4:5], vcc
	s_cbranch_execz .LBB99_62
; %bb.56:
	buffer_load_dword v69, off, s[20:23], 0 offset:320 ; 4-byte Folded Reload
	buffer_load_dword v70, off, s[20:23], 0 offset:324 ; 4-byte Folded Reload
	;; [unrolled: 1-line block ×4, first 2 shown]
	s_waitcnt vmcnt(0)
	ds_write2_b64 v127, v[69:70], v[71:72] offset1:1
	buffer_load_dword v69, off, s[20:23], 0 offset:304 ; 4-byte Folded Reload
	buffer_load_dword v70, off, s[20:23], 0 offset:308 ; 4-byte Folded Reload
	buffer_load_dword v71, off, s[20:23], 0 offset:312 ; 4-byte Folded Reload
	buffer_load_dword v72, off, s[20:23], 0 offset:316 ; 4-byte Folded Reload
	s_waitcnt vmcnt(0)
	ds_write2_b64 v125, v[69:70], v[71:72] offset0:14 offset1:15
	buffer_load_dword v69, off, s[20:23], 0 offset:288 ; 4-byte Folded Reload
	buffer_load_dword v70, off, s[20:23], 0 offset:292 ; 4-byte Folded Reload
	buffer_load_dword v71, off, s[20:23], 0 offset:296 ; 4-byte Folded Reload
	buffer_load_dword v72, off, s[20:23], 0 offset:300 ; 4-byte Folded Reload
	s_waitcnt vmcnt(0)
	ds_write2_b64 v125, v[69:70], v[71:72] offset0:16 offset1:17
	;; [unrolled: 6-line block ×17, first 2 shown]
	ds_write2_b64 v125, v[121:122], v[123:124] offset0:48 offset1:49
	ds_write2_b64 v125, v[117:118], v[119:120] offset0:50 offset1:51
	;; [unrolled: 1-line block ×5, first 2 shown]
	buffer_load_dword v77, off, s[20:23], 0 offset:32 ; 4-byte Folded Reload
	buffer_load_dword v78, off, s[20:23], 0 offset:36 ; 4-byte Folded Reload
	;; [unrolled: 1-line block ×4, first 2 shown]
	v_mov_b32_e32 v69, v73
	v_mov_b32_e32 v70, v74
	;; [unrolled: 1-line block ×4, first 2 shown]
	s_waitcnt vmcnt(0)
	ds_write2_b64 v125, v[77:78], v[79:80] offset0:58 offset1:59
	buffer_load_dword v73, off, s[20:23], 0 offset:16 ; 4-byte Folded Reload
	buffer_load_dword v74, off, s[20:23], 0 offset:20 ; 4-byte Folded Reload
	;; [unrolled: 1-line block ×4, first 2 shown]
	s_waitcnt vmcnt(0)
	ds_write2_b64 v125, v[73:74], v[75:76] offset0:60 offset1:61
	v_mov_b32_e32 v76, v72
	v_mov_b32_e32 v75, v71
	;; [unrolled: 1-line block ×4, first 2 shown]
	buffer_load_dword v69, off, s[20:23], 0 ; 4-byte Folded Reload
	buffer_load_dword v70, off, s[20:23], 0 offset:4 ; 4-byte Folded Reload
	buffer_load_dword v71, off, s[20:23], 0 offset:8 ; 4-byte Folded Reload
	;; [unrolled: 1-line block ×3, first 2 shown]
	s_waitcnt vmcnt(0)
	ds_write2_b64 v125, v[69:70], v[71:72] offset0:62 offset1:63
	ds_write2_b64 v125, v[65:66], v[67:68] offset0:64 offset1:65
	;; [unrolled: 1-line block ×19, first 2 shown]
	ds_read2_b64 v[97:100], v127 offset1:1
	s_waitcnt lgkmcnt(0)
	v_cmp_neq_f64_e32 vcc, 0, v[97:98]
	v_cmp_neq_f64_e64 s[2:3], 0, v[99:100]
	s_or_b64 s[2:3], vcc, s[2:3]
	s_and_b64 exec, exec, s[2:3]
	s_cbranch_execz .LBB99_62
; %bb.57:
	v_cmp_ngt_f64_e64 s[2:3], |v[97:98]|, |v[99:100]|
                                        ; implicit-def: $vgpr101_vgpr102
	s_and_saveexec_b64 s[6:7], s[2:3]
	s_xor_b64 s[2:3], exec, s[6:7]
                                        ; implicit-def: $vgpr103_vgpr104
	s_cbranch_execz .LBB99_59
; %bb.58:
	v_div_scale_f64 v[101:102], s[6:7], v[99:100], v[99:100], v[97:98]
	v_rcp_f64_e32 v[103:104], v[101:102]
	v_fma_f64 v[105:106], -v[101:102], v[103:104], 1.0
	v_fma_f64 v[103:104], v[103:104], v[105:106], v[103:104]
	v_div_scale_f64 v[105:106], vcc, v[97:98], v[99:100], v[97:98]
	v_fma_f64 v[107:108], -v[101:102], v[103:104], 1.0
	v_fma_f64 v[103:104], v[103:104], v[107:108], v[103:104]
	v_mul_f64 v[107:108], v[105:106], v[103:104]
	v_fma_f64 v[101:102], -v[101:102], v[107:108], v[105:106]
	v_div_fmas_f64 v[101:102], v[101:102], v[103:104], v[107:108]
	v_div_fixup_f64 v[101:102], v[101:102], v[99:100], v[97:98]
	v_fma_f64 v[97:98], v[97:98], v[101:102], v[99:100]
	v_div_scale_f64 v[99:100], s[6:7], v[97:98], v[97:98], 1.0
	v_div_scale_f64 v[107:108], vcc, 1.0, v[97:98], 1.0
	v_rcp_f64_e32 v[103:104], v[99:100]
	v_fma_f64 v[105:106], -v[99:100], v[103:104], 1.0
	v_fma_f64 v[103:104], v[103:104], v[105:106], v[103:104]
	v_fma_f64 v[105:106], -v[99:100], v[103:104], 1.0
	v_fma_f64 v[103:104], v[103:104], v[105:106], v[103:104]
	v_mul_f64 v[105:106], v[107:108], v[103:104]
	v_fma_f64 v[99:100], -v[99:100], v[105:106], v[107:108]
	v_div_fmas_f64 v[99:100], v[99:100], v[103:104], v[105:106]
	v_div_fixup_f64 v[103:104], v[99:100], v[97:98], 1.0
                                        ; implicit-def: $vgpr97_vgpr98
	v_mul_f64 v[101:102], v[101:102], v[103:104]
	v_xor_b32_e32 v104, 0x80000000, v104
.LBB99_59:
	s_andn2_saveexec_b64 s[2:3], s[2:3]
	s_cbranch_execz .LBB99_61
; %bb.60:
	v_div_scale_f64 v[101:102], s[6:7], v[97:98], v[97:98], v[99:100]
	v_rcp_f64_e32 v[103:104], v[101:102]
	v_fma_f64 v[105:106], -v[101:102], v[103:104], 1.0
	v_fma_f64 v[103:104], v[103:104], v[105:106], v[103:104]
	v_div_scale_f64 v[105:106], vcc, v[99:100], v[97:98], v[99:100]
	v_fma_f64 v[107:108], -v[101:102], v[103:104], 1.0
	v_fma_f64 v[103:104], v[103:104], v[107:108], v[103:104]
	v_mul_f64 v[107:108], v[105:106], v[103:104]
	v_fma_f64 v[101:102], -v[101:102], v[107:108], v[105:106]
	v_div_fmas_f64 v[101:102], v[101:102], v[103:104], v[107:108]
	v_div_fixup_f64 v[103:104], v[101:102], v[97:98], v[99:100]
	v_fma_f64 v[97:98], v[99:100], v[103:104], v[97:98]
	v_div_scale_f64 v[99:100], s[6:7], v[97:98], v[97:98], 1.0
	v_div_scale_f64 v[107:108], vcc, 1.0, v[97:98], 1.0
	v_rcp_f64_e32 v[101:102], v[99:100]
	v_fma_f64 v[105:106], -v[99:100], v[101:102], 1.0
	v_fma_f64 v[101:102], v[101:102], v[105:106], v[101:102]
	v_fma_f64 v[105:106], -v[99:100], v[101:102], 1.0
	v_fma_f64 v[101:102], v[101:102], v[105:106], v[101:102]
	v_mul_f64 v[105:106], v[107:108], v[101:102]
	v_fma_f64 v[99:100], -v[99:100], v[105:106], v[107:108]
	v_div_fmas_f64 v[99:100], v[99:100], v[101:102], v[105:106]
	v_div_fixup_f64 v[101:102], v[99:100], v[97:98], 1.0
	v_mul_f64 v[103:104], v[103:104], -v[101:102]
.LBB99_61:
	s_or_b64 exec, exec, s[2:3]
	ds_write2_b64 v127, v[101:102], v[103:104] offset1:1
.LBB99_62:
	s_or_b64 exec, exec, s[4:5]
	s_waitcnt lgkmcnt(0)
	s_barrier
	ds_read2_b64 v[69:72], v127 offset1:1
	v_cmp_lt_u32_e32 vcc, 6, v0
	s_waitcnt lgkmcnt(0)
	buffer_store_dword v69, off, s[20:23], 0 offset:920 ; 4-byte Folded Spill
	s_nop 0
	buffer_store_dword v70, off, s[20:23], 0 offset:924 ; 4-byte Folded Spill
	buffer_store_dword v71, off, s[20:23], 0 offset:928 ; 4-byte Folded Spill
	;; [unrolled: 1-line block ×3, first 2 shown]
	s_and_saveexec_b64 s[2:3], vcc
	s_cbranch_execz .LBB99_64
; %bb.63:
	buffer_load_dword v103, off, s[20:23], 0 offset:320 ; 4-byte Folded Reload
	buffer_load_dword v104, off, s[20:23], 0 offset:324 ; 4-byte Folded Reload
	;; [unrolled: 1-line block ×8, first 2 shown]
	s_waitcnt vmcnt(2)
	v_mul_f64 v[99:100], v[69:70], v[105:106]
	s_waitcnt vmcnt(0)
	v_mul_f64 v[97:98], v[71:72], v[105:106]
	v_fma_f64 v[105:106], v[71:72], v[103:104], v[99:100]
	ds_read2_b64 v[99:102], v125 offset0:14 offset1:15
	v_fma_f64 v[97:98], v[69:70], v[103:104], -v[97:98]
	buffer_load_dword v69, off, s[20:23], 0 offset:304 ; 4-byte Folded Reload
	buffer_load_dword v70, off, s[20:23], 0 offset:308 ; 4-byte Folded Reload
	buffer_load_dword v71, off, s[20:23], 0 offset:312 ; 4-byte Folded Reload
	buffer_load_dword v72, off, s[20:23], 0 offset:316 ; 4-byte Folded Reload
	s_waitcnt lgkmcnt(0)
	v_mul_f64 v[103:104], v[101:102], v[105:106]
	v_fma_f64 v[103:104], v[99:100], v[97:98], -v[103:104]
	v_mul_f64 v[99:100], v[99:100], v[105:106]
	v_fma_f64 v[99:100], v[101:102], v[97:98], v[99:100]
	s_waitcnt vmcnt(2)
	v_add_f64 v[69:70], v[69:70], -v[103:104]
	s_waitcnt vmcnt(0)
	v_add_f64 v[71:72], v[71:72], -v[99:100]
	buffer_store_dword v69, off, s[20:23], 0 offset:304 ; 4-byte Folded Spill
	s_nop 0
	buffer_store_dword v70, off, s[20:23], 0 offset:308 ; 4-byte Folded Spill
	buffer_store_dword v71, off, s[20:23], 0 offset:312 ; 4-byte Folded Spill
	buffer_store_dword v72, off, s[20:23], 0 offset:316 ; 4-byte Folded Spill
	ds_read2_b64 v[99:102], v125 offset0:16 offset1:17
	buffer_load_dword v69, off, s[20:23], 0 offset:288 ; 4-byte Folded Reload
	buffer_load_dword v70, off, s[20:23], 0 offset:292 ; 4-byte Folded Reload
	buffer_load_dword v71, off, s[20:23], 0 offset:296 ; 4-byte Folded Reload
	buffer_load_dword v72, off, s[20:23], 0 offset:300 ; 4-byte Folded Reload
	s_waitcnt lgkmcnt(0)
	v_mul_f64 v[103:104], v[101:102], v[105:106]
	v_fma_f64 v[103:104], v[99:100], v[97:98], -v[103:104]
	v_mul_f64 v[99:100], v[99:100], v[105:106]
	v_fma_f64 v[99:100], v[101:102], v[97:98], v[99:100]
	s_waitcnt vmcnt(2)
	v_add_f64 v[69:70], v[69:70], -v[103:104]
	s_waitcnt vmcnt(0)
	v_add_f64 v[71:72], v[71:72], -v[99:100]
	buffer_store_dword v69, off, s[20:23], 0 offset:288 ; 4-byte Folded Spill
	s_nop 0
	buffer_store_dword v70, off, s[20:23], 0 offset:292 ; 4-byte Folded Spill
	buffer_store_dword v71, off, s[20:23], 0 offset:296 ; 4-byte Folded Spill
	buffer_store_dword v72, off, s[20:23], 0 offset:300 ; 4-byte Folded Spill
	ds_read2_b64 v[99:102], v125 offset0:18 offset1:19
	;; [unrolled: 19-line block ×17, first 2 shown]
	v_mov_b32_e32 v69, v73
	v_mov_b32_e32 v70, v74
	;; [unrolled: 1-line block ×4, first 2 shown]
	s_waitcnt lgkmcnt(0)
	v_mul_f64 v[103:104], v[101:102], v[105:106]
	v_fma_f64 v[103:104], v[99:100], v[97:98], -v[103:104]
	v_mul_f64 v[99:100], v[99:100], v[105:106]
	v_add_f64 v[121:122], v[121:122], -v[103:104]
	v_fma_f64 v[99:100], v[101:102], v[97:98], v[99:100]
	v_add_f64 v[123:124], v[123:124], -v[99:100]
	ds_read2_b64 v[99:102], v125 offset0:50 offset1:51
	s_waitcnt lgkmcnt(0)
	v_mul_f64 v[103:104], v[101:102], v[105:106]
	v_fma_f64 v[103:104], v[99:100], v[97:98], -v[103:104]
	v_mul_f64 v[99:100], v[99:100], v[105:106]
	v_add_f64 v[117:118], v[117:118], -v[103:104]
	v_fma_f64 v[99:100], v[101:102], v[97:98], v[99:100]
	v_add_f64 v[119:120], v[119:120], -v[99:100]
	ds_read2_b64 v[99:102], v125 offset0:52 offset1:53
	;; [unrolled: 8-line block ×5, first 2 shown]
	buffer_load_dword v77, off, s[20:23], 0 offset:32 ; 4-byte Folded Reload
	buffer_load_dword v78, off, s[20:23], 0 offset:36 ; 4-byte Folded Reload
	buffer_load_dword v79, off, s[20:23], 0 offset:40 ; 4-byte Folded Reload
	buffer_load_dword v80, off, s[20:23], 0 offset:44 ; 4-byte Folded Reload
	s_waitcnt lgkmcnt(0)
	v_mul_f64 v[103:104], v[101:102], v[105:106]
	v_fma_f64 v[103:104], v[99:100], v[97:98], -v[103:104]
	v_mul_f64 v[99:100], v[99:100], v[105:106]
	v_fma_f64 v[99:100], v[101:102], v[97:98], v[99:100]
	s_waitcnt vmcnt(2)
	v_add_f64 v[77:78], v[77:78], -v[103:104]
	s_waitcnt vmcnt(0)
	v_add_f64 v[79:80], v[79:80], -v[99:100]
	buffer_store_dword v77, off, s[20:23], 0 offset:32 ; 4-byte Folded Spill
	s_nop 0
	buffer_store_dword v78, off, s[20:23], 0 offset:36 ; 4-byte Folded Spill
	buffer_store_dword v79, off, s[20:23], 0 offset:40 ; 4-byte Folded Spill
	;; [unrolled: 1-line block ×3, first 2 shown]
	ds_read2_b64 v[99:102], v125 offset0:60 offset1:61
	buffer_load_dword v73, off, s[20:23], 0 offset:16 ; 4-byte Folded Reload
	buffer_load_dword v74, off, s[20:23], 0 offset:20 ; 4-byte Folded Reload
	;; [unrolled: 1-line block ×4, first 2 shown]
	s_waitcnt lgkmcnt(0)
	v_mul_f64 v[103:104], v[101:102], v[105:106]
	v_fma_f64 v[103:104], v[99:100], v[97:98], -v[103:104]
	v_mul_f64 v[99:100], v[99:100], v[105:106]
	v_fma_f64 v[99:100], v[101:102], v[97:98], v[99:100]
	s_waitcnt vmcnt(2)
	v_add_f64 v[73:74], v[73:74], -v[103:104]
	s_waitcnt vmcnt(0)
	v_add_f64 v[75:76], v[75:76], -v[99:100]
	buffer_store_dword v73, off, s[20:23], 0 offset:16 ; 4-byte Folded Spill
	s_nop 0
	buffer_store_dword v74, off, s[20:23], 0 offset:20 ; 4-byte Folded Spill
	buffer_store_dword v75, off, s[20:23], 0 offset:24 ; 4-byte Folded Spill
	;; [unrolled: 1-line block ×3, first 2 shown]
	v_mov_b32_e32 v76, v72
	v_mov_b32_e32 v75, v71
	;; [unrolled: 1-line block ×4, first 2 shown]
	ds_read2_b64 v[99:102], v125 offset0:62 offset1:63
	buffer_load_dword v69, off, s[20:23], 0 ; 4-byte Folded Reload
	buffer_load_dword v70, off, s[20:23], 0 offset:4 ; 4-byte Folded Reload
	buffer_load_dword v71, off, s[20:23], 0 offset:8 ; 4-byte Folded Reload
	;; [unrolled: 1-line block ×3, first 2 shown]
	s_waitcnt lgkmcnt(0)
	v_mul_f64 v[103:104], v[101:102], v[105:106]
	v_fma_f64 v[103:104], v[99:100], v[97:98], -v[103:104]
	v_mul_f64 v[99:100], v[99:100], v[105:106]
	v_fma_f64 v[99:100], v[101:102], v[97:98], v[99:100]
	s_waitcnt vmcnt(2)
	v_add_f64 v[69:70], v[69:70], -v[103:104]
	s_waitcnt vmcnt(0)
	v_add_f64 v[71:72], v[71:72], -v[99:100]
	buffer_store_dword v69, off, s[20:23], 0 ; 4-byte Folded Spill
	s_nop 0
	buffer_store_dword v70, off, s[20:23], 0 offset:4 ; 4-byte Folded Spill
	buffer_store_dword v71, off, s[20:23], 0 offset:8 ; 4-byte Folded Spill
	;; [unrolled: 1-line block ×3, first 2 shown]
	ds_read2_b64 v[99:102], v125 offset0:64 offset1:65
	s_waitcnt lgkmcnt(0)
	v_mul_f64 v[103:104], v[101:102], v[105:106]
	v_fma_f64 v[103:104], v[99:100], v[97:98], -v[103:104]
	v_mul_f64 v[99:100], v[99:100], v[105:106]
	v_add_f64 v[65:66], v[65:66], -v[103:104]
	v_fma_f64 v[99:100], v[101:102], v[97:98], v[99:100]
	v_add_f64 v[67:68], v[67:68], -v[99:100]
	ds_read2_b64 v[99:102], v125 offset0:66 offset1:67
	s_waitcnt lgkmcnt(0)
	v_mul_f64 v[103:104], v[101:102], v[105:106]
	v_fma_f64 v[103:104], v[99:100], v[97:98], -v[103:104]
	v_mul_f64 v[99:100], v[99:100], v[105:106]
	v_add_f64 v[61:62], v[61:62], -v[103:104]
	v_fma_f64 v[99:100], v[101:102], v[97:98], v[99:100]
	v_add_f64 v[63:64], v[63:64], -v[99:100]
	ds_read2_b64 v[99:102], v125 offset0:68 offset1:69
	s_waitcnt lgkmcnt(0)
	v_mul_f64 v[103:104], v[101:102], v[105:106]
	v_fma_f64 v[103:104], v[99:100], v[97:98], -v[103:104]
	v_mul_f64 v[99:100], v[99:100], v[105:106]
	v_add_f64 v[57:58], v[57:58], -v[103:104]
	v_fma_f64 v[99:100], v[101:102], v[97:98], v[99:100]
	v_add_f64 v[59:60], v[59:60], -v[99:100]
	ds_read2_b64 v[99:102], v125 offset0:70 offset1:71
	s_waitcnt lgkmcnt(0)
	v_mul_f64 v[103:104], v[101:102], v[105:106]
	v_fma_f64 v[103:104], v[99:100], v[97:98], -v[103:104]
	v_mul_f64 v[99:100], v[99:100], v[105:106]
	v_add_f64 v[53:54], v[53:54], -v[103:104]
	v_fma_f64 v[99:100], v[101:102], v[97:98], v[99:100]
	v_add_f64 v[55:56], v[55:56], -v[99:100]
	ds_read2_b64 v[99:102], v125 offset0:72 offset1:73
	s_waitcnt lgkmcnt(0)
	v_mul_f64 v[103:104], v[101:102], v[105:106]
	v_fma_f64 v[103:104], v[99:100], v[97:98], -v[103:104]
	v_mul_f64 v[99:100], v[99:100], v[105:106]
	v_add_f64 v[49:50], v[49:50], -v[103:104]
	v_fma_f64 v[99:100], v[101:102], v[97:98], v[99:100]
	v_add_f64 v[51:52], v[51:52], -v[99:100]
	ds_read2_b64 v[99:102], v125 offset0:74 offset1:75
	s_waitcnt lgkmcnt(0)
	v_mul_f64 v[103:104], v[101:102], v[105:106]
	v_fma_f64 v[103:104], v[99:100], v[97:98], -v[103:104]
	v_mul_f64 v[99:100], v[99:100], v[105:106]
	v_add_f64 v[45:46], v[45:46], -v[103:104]
	v_fma_f64 v[99:100], v[101:102], v[97:98], v[99:100]
	v_add_f64 v[47:48], v[47:48], -v[99:100]
	ds_read2_b64 v[99:102], v125 offset0:76 offset1:77
	s_waitcnt lgkmcnt(0)
	v_mul_f64 v[103:104], v[101:102], v[105:106]
	v_fma_f64 v[103:104], v[99:100], v[97:98], -v[103:104]
	v_mul_f64 v[99:100], v[99:100], v[105:106]
	v_add_f64 v[41:42], v[41:42], -v[103:104]
	v_fma_f64 v[99:100], v[101:102], v[97:98], v[99:100]
	v_add_f64 v[43:44], v[43:44], -v[99:100]
	ds_read2_b64 v[99:102], v125 offset0:78 offset1:79
	s_waitcnt lgkmcnt(0)
	v_mul_f64 v[103:104], v[101:102], v[105:106]
	v_fma_f64 v[103:104], v[99:100], v[97:98], -v[103:104]
	v_mul_f64 v[99:100], v[99:100], v[105:106]
	v_add_f64 v[37:38], v[37:38], -v[103:104]
	v_fma_f64 v[99:100], v[101:102], v[97:98], v[99:100]
	v_add_f64 v[39:40], v[39:40], -v[99:100]
	ds_read2_b64 v[99:102], v125 offset0:80 offset1:81
	s_waitcnt lgkmcnt(0)
	v_mul_f64 v[103:104], v[101:102], v[105:106]
	v_fma_f64 v[103:104], v[99:100], v[97:98], -v[103:104]
	v_mul_f64 v[99:100], v[99:100], v[105:106]
	v_add_f64 v[33:34], v[33:34], -v[103:104]
	v_fma_f64 v[99:100], v[101:102], v[97:98], v[99:100]
	v_add_f64 v[35:36], v[35:36], -v[99:100]
	ds_read2_b64 v[99:102], v125 offset0:82 offset1:83
	s_waitcnt lgkmcnt(0)
	v_mul_f64 v[103:104], v[101:102], v[105:106]
	v_fma_f64 v[103:104], v[99:100], v[97:98], -v[103:104]
	v_mul_f64 v[99:100], v[99:100], v[105:106]
	v_add_f64 v[29:30], v[29:30], -v[103:104]
	v_fma_f64 v[99:100], v[101:102], v[97:98], v[99:100]
	v_add_f64 v[31:32], v[31:32], -v[99:100]
	ds_read2_b64 v[99:102], v125 offset0:84 offset1:85
	s_waitcnt lgkmcnt(0)
	v_mul_f64 v[103:104], v[101:102], v[105:106]
	v_fma_f64 v[103:104], v[99:100], v[97:98], -v[103:104]
	v_mul_f64 v[99:100], v[99:100], v[105:106]
	v_add_f64 v[25:26], v[25:26], -v[103:104]
	v_fma_f64 v[99:100], v[101:102], v[97:98], v[99:100]
	v_add_f64 v[27:28], v[27:28], -v[99:100]
	ds_read2_b64 v[99:102], v125 offset0:86 offset1:87
	s_waitcnt lgkmcnt(0)
	v_mul_f64 v[103:104], v[101:102], v[105:106]
	v_fma_f64 v[103:104], v[99:100], v[97:98], -v[103:104]
	v_mul_f64 v[99:100], v[99:100], v[105:106]
	v_add_f64 v[21:22], v[21:22], -v[103:104]
	v_fma_f64 v[99:100], v[101:102], v[97:98], v[99:100]
	v_add_f64 v[23:24], v[23:24], -v[99:100]
	ds_read2_b64 v[99:102], v125 offset0:88 offset1:89
	s_waitcnt lgkmcnt(0)
	v_mul_f64 v[103:104], v[101:102], v[105:106]
	v_fma_f64 v[103:104], v[99:100], v[97:98], -v[103:104]
	v_mul_f64 v[99:100], v[99:100], v[105:106]
	v_add_f64 v[17:18], v[17:18], -v[103:104]
	v_fma_f64 v[99:100], v[101:102], v[97:98], v[99:100]
	v_add_f64 v[19:20], v[19:20], -v[99:100]
	ds_read2_b64 v[99:102], v125 offset0:90 offset1:91
	s_waitcnt lgkmcnt(0)
	v_mul_f64 v[103:104], v[101:102], v[105:106]
	v_fma_f64 v[103:104], v[99:100], v[97:98], -v[103:104]
	v_mul_f64 v[99:100], v[99:100], v[105:106]
	v_add_f64 v[13:14], v[13:14], -v[103:104]
	v_fma_f64 v[99:100], v[101:102], v[97:98], v[99:100]
	v_add_f64 v[15:16], v[15:16], -v[99:100]
	ds_read2_b64 v[99:102], v125 offset0:92 offset1:93
	s_waitcnt lgkmcnt(0)
	v_mul_f64 v[103:104], v[101:102], v[105:106]
	v_fma_f64 v[103:104], v[99:100], v[97:98], -v[103:104]
	v_mul_f64 v[99:100], v[99:100], v[105:106]
	v_add_f64 v[9:10], v[9:10], -v[103:104]
	v_fma_f64 v[99:100], v[101:102], v[97:98], v[99:100]
	v_add_f64 v[11:12], v[11:12], -v[99:100]
	ds_read2_b64 v[99:102], v125 offset0:94 offset1:95
	s_waitcnt lgkmcnt(0)
	v_mul_f64 v[103:104], v[101:102], v[105:106]
	v_fma_f64 v[103:104], v[99:100], v[97:98], -v[103:104]
	v_mul_f64 v[99:100], v[99:100], v[105:106]
	v_add_f64 v[5:6], v[5:6], -v[103:104]
	v_fma_f64 v[99:100], v[101:102], v[97:98], v[99:100]
	v_add_f64 v[7:8], v[7:8], -v[99:100]
	ds_read2_b64 v[99:102], v125 offset0:96 offset1:97
	s_waitcnt lgkmcnt(0)
	v_mul_f64 v[103:104], v[101:102], v[105:106]
	v_fma_f64 v[103:104], v[99:100], v[97:98], -v[103:104]
	v_mul_f64 v[99:100], v[99:100], v[105:106]
	v_add_f64 v[1:2], v[1:2], -v[103:104]
	v_fma_f64 v[99:100], v[101:102], v[97:98], v[99:100]
	ds_read2_b64 v[101:104], v125 offset0:98 offset1:99
	v_add_f64 v[3:4], v[3:4], -v[99:100]
	s_waitcnt lgkmcnt(0)
	v_mul_f64 v[99:100], v[103:104], v[105:106]
	v_fma_f64 v[99:100], v[101:102], v[97:98], -v[99:100]
	v_mul_f64 v[101:102], v[101:102], v[105:106]
	v_add_f64 v[73:74], v[73:74], -v[99:100]
	v_fma_f64 v[101:102], v[103:104], v[97:98], v[101:102]
	v_mov_b32_e32 v104, v98
	v_mov_b32_e32 v103, v97
	buffer_store_dword v103, off, s[20:23], 0 offset:320 ; 4-byte Folded Spill
	s_nop 0
	buffer_store_dword v104, off, s[20:23], 0 offset:324 ; 4-byte Folded Spill
	buffer_store_dword v105, off, s[20:23], 0 offset:328 ; 4-byte Folded Spill
	;; [unrolled: 1-line block ×3, first 2 shown]
	v_add_f64 v[75:76], v[75:76], -v[101:102]
.LBB99_64:
	s_or_b64 exec, exec, s[2:3]
	v_cmp_eq_u32_e32 vcc, 7, v0
	s_waitcnt vmcnt(0)
	s_barrier
	s_and_saveexec_b64 s[4:5], vcc
	s_cbranch_execz .LBB99_71
; %bb.65:
	buffer_load_dword v69, off, s[20:23], 0 offset:304 ; 4-byte Folded Reload
	buffer_load_dword v70, off, s[20:23], 0 offset:308 ; 4-byte Folded Reload
	;; [unrolled: 1-line block ×4, first 2 shown]
	s_waitcnt vmcnt(0)
	ds_write2_b64 v127, v[69:70], v[71:72] offset1:1
	buffer_load_dword v69, off, s[20:23], 0 offset:288 ; 4-byte Folded Reload
	buffer_load_dword v70, off, s[20:23], 0 offset:292 ; 4-byte Folded Reload
	buffer_load_dword v71, off, s[20:23], 0 offset:296 ; 4-byte Folded Reload
	buffer_load_dword v72, off, s[20:23], 0 offset:300 ; 4-byte Folded Reload
	s_waitcnt vmcnt(0)
	ds_write2_b64 v125, v[69:70], v[71:72] offset0:16 offset1:17
	buffer_load_dword v69, off, s[20:23], 0 offset:272 ; 4-byte Folded Reload
	buffer_load_dword v70, off, s[20:23], 0 offset:276 ; 4-byte Folded Reload
	buffer_load_dword v71, off, s[20:23], 0 offset:280 ; 4-byte Folded Reload
	buffer_load_dword v72, off, s[20:23], 0 offset:284 ; 4-byte Folded Reload
	s_waitcnt vmcnt(0)
	ds_write2_b64 v125, v[69:70], v[71:72] offset0:18 offset1:19
	;; [unrolled: 6-line block ×16, first 2 shown]
	ds_write2_b64 v125, v[121:122], v[123:124] offset0:48 offset1:49
	ds_write2_b64 v125, v[117:118], v[119:120] offset0:50 offset1:51
	;; [unrolled: 1-line block ×5, first 2 shown]
	buffer_load_dword v77, off, s[20:23], 0 offset:32 ; 4-byte Folded Reload
	buffer_load_dword v78, off, s[20:23], 0 offset:36 ; 4-byte Folded Reload
	;; [unrolled: 1-line block ×4, first 2 shown]
	v_mov_b32_e32 v69, v73
	v_mov_b32_e32 v70, v74
	;; [unrolled: 1-line block ×4, first 2 shown]
	s_waitcnt vmcnt(0)
	ds_write2_b64 v125, v[77:78], v[79:80] offset0:58 offset1:59
	buffer_load_dword v73, off, s[20:23], 0 offset:16 ; 4-byte Folded Reload
	buffer_load_dword v74, off, s[20:23], 0 offset:20 ; 4-byte Folded Reload
	;; [unrolled: 1-line block ×4, first 2 shown]
	s_waitcnt vmcnt(0)
	ds_write2_b64 v125, v[73:74], v[75:76] offset0:60 offset1:61
	v_mov_b32_e32 v76, v72
	v_mov_b32_e32 v75, v71
	;; [unrolled: 1-line block ×4, first 2 shown]
	buffer_load_dword v69, off, s[20:23], 0 ; 4-byte Folded Reload
	buffer_load_dword v70, off, s[20:23], 0 offset:4 ; 4-byte Folded Reload
	buffer_load_dword v71, off, s[20:23], 0 offset:8 ; 4-byte Folded Reload
	;; [unrolled: 1-line block ×3, first 2 shown]
	s_waitcnt vmcnt(0)
	ds_write2_b64 v125, v[69:70], v[71:72] offset0:62 offset1:63
	ds_write2_b64 v125, v[65:66], v[67:68] offset0:64 offset1:65
	;; [unrolled: 1-line block ×19, first 2 shown]
	ds_read2_b64 v[97:100], v127 offset1:1
	s_waitcnt lgkmcnt(0)
	v_cmp_neq_f64_e32 vcc, 0, v[97:98]
	v_cmp_neq_f64_e64 s[2:3], 0, v[99:100]
	s_or_b64 s[2:3], vcc, s[2:3]
	s_and_b64 exec, exec, s[2:3]
	s_cbranch_execz .LBB99_71
; %bb.66:
	v_cmp_ngt_f64_e64 s[2:3], |v[97:98]|, |v[99:100]|
                                        ; implicit-def: $vgpr101_vgpr102
	s_and_saveexec_b64 s[6:7], s[2:3]
	s_xor_b64 s[2:3], exec, s[6:7]
                                        ; implicit-def: $vgpr103_vgpr104
	s_cbranch_execz .LBB99_68
; %bb.67:
	v_div_scale_f64 v[101:102], s[6:7], v[99:100], v[99:100], v[97:98]
	v_rcp_f64_e32 v[103:104], v[101:102]
	v_fma_f64 v[105:106], -v[101:102], v[103:104], 1.0
	v_fma_f64 v[103:104], v[103:104], v[105:106], v[103:104]
	v_div_scale_f64 v[105:106], vcc, v[97:98], v[99:100], v[97:98]
	v_fma_f64 v[107:108], -v[101:102], v[103:104], 1.0
	v_fma_f64 v[103:104], v[103:104], v[107:108], v[103:104]
	v_mul_f64 v[107:108], v[105:106], v[103:104]
	v_fma_f64 v[101:102], -v[101:102], v[107:108], v[105:106]
	v_div_fmas_f64 v[101:102], v[101:102], v[103:104], v[107:108]
	v_div_fixup_f64 v[101:102], v[101:102], v[99:100], v[97:98]
	v_fma_f64 v[97:98], v[97:98], v[101:102], v[99:100]
	v_div_scale_f64 v[99:100], s[6:7], v[97:98], v[97:98], 1.0
	v_div_scale_f64 v[107:108], vcc, 1.0, v[97:98], 1.0
	v_rcp_f64_e32 v[103:104], v[99:100]
	v_fma_f64 v[105:106], -v[99:100], v[103:104], 1.0
	v_fma_f64 v[103:104], v[103:104], v[105:106], v[103:104]
	v_fma_f64 v[105:106], -v[99:100], v[103:104], 1.0
	v_fma_f64 v[103:104], v[103:104], v[105:106], v[103:104]
	v_mul_f64 v[105:106], v[107:108], v[103:104]
	v_fma_f64 v[99:100], -v[99:100], v[105:106], v[107:108]
	v_div_fmas_f64 v[99:100], v[99:100], v[103:104], v[105:106]
	v_div_fixup_f64 v[103:104], v[99:100], v[97:98], 1.0
                                        ; implicit-def: $vgpr97_vgpr98
	v_mul_f64 v[101:102], v[101:102], v[103:104]
	v_xor_b32_e32 v104, 0x80000000, v104
.LBB99_68:
	s_andn2_saveexec_b64 s[2:3], s[2:3]
	s_cbranch_execz .LBB99_70
; %bb.69:
	v_div_scale_f64 v[101:102], s[6:7], v[97:98], v[97:98], v[99:100]
	v_rcp_f64_e32 v[103:104], v[101:102]
	v_fma_f64 v[105:106], -v[101:102], v[103:104], 1.0
	v_fma_f64 v[103:104], v[103:104], v[105:106], v[103:104]
	v_div_scale_f64 v[105:106], vcc, v[99:100], v[97:98], v[99:100]
	v_fma_f64 v[107:108], -v[101:102], v[103:104], 1.0
	v_fma_f64 v[103:104], v[103:104], v[107:108], v[103:104]
	v_mul_f64 v[107:108], v[105:106], v[103:104]
	v_fma_f64 v[101:102], -v[101:102], v[107:108], v[105:106]
	v_div_fmas_f64 v[101:102], v[101:102], v[103:104], v[107:108]
	v_div_fixup_f64 v[103:104], v[101:102], v[97:98], v[99:100]
	v_fma_f64 v[97:98], v[99:100], v[103:104], v[97:98]
	v_div_scale_f64 v[99:100], s[6:7], v[97:98], v[97:98], 1.0
	v_div_scale_f64 v[107:108], vcc, 1.0, v[97:98], 1.0
	v_rcp_f64_e32 v[101:102], v[99:100]
	v_fma_f64 v[105:106], -v[99:100], v[101:102], 1.0
	v_fma_f64 v[101:102], v[101:102], v[105:106], v[101:102]
	v_fma_f64 v[105:106], -v[99:100], v[101:102], 1.0
	v_fma_f64 v[101:102], v[101:102], v[105:106], v[101:102]
	v_mul_f64 v[105:106], v[107:108], v[101:102]
	v_fma_f64 v[99:100], -v[99:100], v[105:106], v[107:108]
	v_div_fmas_f64 v[99:100], v[99:100], v[101:102], v[105:106]
	v_div_fixup_f64 v[101:102], v[99:100], v[97:98], 1.0
	v_mul_f64 v[103:104], v[103:104], -v[101:102]
.LBB99_70:
	s_or_b64 exec, exec, s[2:3]
	ds_write2_b64 v127, v[101:102], v[103:104] offset1:1
.LBB99_71:
	s_or_b64 exec, exec, s[4:5]
	s_waitcnt lgkmcnt(0)
	s_barrier
	ds_read2_b64 v[69:72], v127 offset1:1
	v_cmp_lt_u32_e32 vcc, 7, v0
	s_waitcnt lgkmcnt(0)
	buffer_store_dword v69, off, s[20:23], 0 offset:936 ; 4-byte Folded Spill
	s_nop 0
	buffer_store_dword v70, off, s[20:23], 0 offset:940 ; 4-byte Folded Spill
	buffer_store_dword v71, off, s[20:23], 0 offset:944 ; 4-byte Folded Spill
	;; [unrolled: 1-line block ×3, first 2 shown]
	s_and_saveexec_b64 s[2:3], vcc
	s_cbranch_execz .LBB99_73
; %bb.72:
	buffer_load_dword v103, off, s[20:23], 0 offset:304 ; 4-byte Folded Reload
	buffer_load_dword v104, off, s[20:23], 0 offset:308 ; 4-byte Folded Reload
	;; [unrolled: 1-line block ×8, first 2 shown]
	s_waitcnt vmcnt(2)
	v_mul_f64 v[99:100], v[69:70], v[105:106]
	s_waitcnt vmcnt(0)
	v_mul_f64 v[97:98], v[71:72], v[105:106]
	v_fma_f64 v[105:106], v[71:72], v[103:104], v[99:100]
	ds_read2_b64 v[99:102], v125 offset0:16 offset1:17
	v_fma_f64 v[97:98], v[69:70], v[103:104], -v[97:98]
	buffer_load_dword v69, off, s[20:23], 0 offset:288 ; 4-byte Folded Reload
	buffer_load_dword v70, off, s[20:23], 0 offset:292 ; 4-byte Folded Reload
	buffer_load_dword v71, off, s[20:23], 0 offset:296 ; 4-byte Folded Reload
	buffer_load_dword v72, off, s[20:23], 0 offset:300 ; 4-byte Folded Reload
	s_waitcnt lgkmcnt(0)
	v_mul_f64 v[103:104], v[101:102], v[105:106]
	v_fma_f64 v[103:104], v[99:100], v[97:98], -v[103:104]
	v_mul_f64 v[99:100], v[99:100], v[105:106]
	v_fma_f64 v[99:100], v[101:102], v[97:98], v[99:100]
	s_waitcnt vmcnt(2)
	v_add_f64 v[69:70], v[69:70], -v[103:104]
	s_waitcnt vmcnt(0)
	v_add_f64 v[71:72], v[71:72], -v[99:100]
	buffer_store_dword v69, off, s[20:23], 0 offset:288 ; 4-byte Folded Spill
	s_nop 0
	buffer_store_dword v70, off, s[20:23], 0 offset:292 ; 4-byte Folded Spill
	buffer_store_dword v71, off, s[20:23], 0 offset:296 ; 4-byte Folded Spill
	buffer_store_dword v72, off, s[20:23], 0 offset:300 ; 4-byte Folded Spill
	ds_read2_b64 v[99:102], v125 offset0:18 offset1:19
	buffer_load_dword v69, off, s[20:23], 0 offset:272 ; 4-byte Folded Reload
	buffer_load_dword v70, off, s[20:23], 0 offset:276 ; 4-byte Folded Reload
	buffer_load_dword v71, off, s[20:23], 0 offset:280 ; 4-byte Folded Reload
	buffer_load_dword v72, off, s[20:23], 0 offset:284 ; 4-byte Folded Reload
	s_waitcnt lgkmcnt(0)
	v_mul_f64 v[103:104], v[101:102], v[105:106]
	v_fma_f64 v[103:104], v[99:100], v[97:98], -v[103:104]
	v_mul_f64 v[99:100], v[99:100], v[105:106]
	v_fma_f64 v[99:100], v[101:102], v[97:98], v[99:100]
	s_waitcnt vmcnt(2)
	v_add_f64 v[69:70], v[69:70], -v[103:104]
	s_waitcnt vmcnt(0)
	v_add_f64 v[71:72], v[71:72], -v[99:100]
	buffer_store_dword v69, off, s[20:23], 0 offset:272 ; 4-byte Folded Spill
	s_nop 0
	buffer_store_dword v70, off, s[20:23], 0 offset:276 ; 4-byte Folded Spill
	buffer_store_dword v71, off, s[20:23], 0 offset:280 ; 4-byte Folded Spill
	buffer_store_dword v72, off, s[20:23], 0 offset:284 ; 4-byte Folded Spill
	ds_read2_b64 v[99:102], v125 offset0:20 offset1:21
	buffer_load_dword v69, off, s[20:23], 0 offset:256 ; 4-byte Folded Reload
	buffer_load_dword v70, off, s[20:23], 0 offset:260 ; 4-byte Folded Reload
	buffer_load_dword v71, off, s[20:23], 0 offset:264 ; 4-byte Folded Reload
	buffer_load_dword v72, off, s[20:23], 0 offset:268 ; 4-byte Folded Reload
	s_waitcnt lgkmcnt(0)
	v_mul_f64 v[103:104], v[101:102], v[105:106]
	v_fma_f64 v[103:104], v[99:100], v[97:98], -v[103:104]
	v_mul_f64 v[99:100], v[99:100], v[105:106]
	v_fma_f64 v[99:100], v[101:102], v[97:98], v[99:100]
	s_waitcnt vmcnt(2)
	v_add_f64 v[69:70], v[69:70], -v[103:104]
	s_waitcnt vmcnt(0)
	v_add_f64 v[71:72], v[71:72], -v[99:100]
	buffer_store_dword v69, off, s[20:23], 0 offset:256 ; 4-byte Folded Spill
	s_nop 0
	buffer_store_dword v70, off, s[20:23], 0 offset:260 ; 4-byte Folded Spill
	buffer_store_dword v71, off, s[20:23], 0 offset:264 ; 4-byte Folded Spill
	buffer_store_dword v72, off, s[20:23], 0 offset:268 ; 4-byte Folded Spill
	ds_read2_b64 v[99:102], v125 offset0:22 offset1:23
	buffer_load_dword v69, off, s[20:23], 0 offset:240 ; 4-byte Folded Reload
	buffer_load_dword v70, off, s[20:23], 0 offset:244 ; 4-byte Folded Reload
	buffer_load_dword v71, off, s[20:23], 0 offset:248 ; 4-byte Folded Reload
	buffer_load_dword v72, off, s[20:23], 0 offset:252 ; 4-byte Folded Reload
	s_waitcnt lgkmcnt(0)
	v_mul_f64 v[103:104], v[101:102], v[105:106]
	v_fma_f64 v[103:104], v[99:100], v[97:98], -v[103:104]
	v_mul_f64 v[99:100], v[99:100], v[105:106]
	v_fma_f64 v[99:100], v[101:102], v[97:98], v[99:100]
	s_waitcnt vmcnt(2)
	v_add_f64 v[69:70], v[69:70], -v[103:104]
	s_waitcnt vmcnt(0)
	v_add_f64 v[71:72], v[71:72], -v[99:100]
	buffer_store_dword v69, off, s[20:23], 0 offset:240 ; 4-byte Folded Spill
	s_nop 0
	buffer_store_dword v70, off, s[20:23], 0 offset:244 ; 4-byte Folded Spill
	buffer_store_dword v71, off, s[20:23], 0 offset:248 ; 4-byte Folded Spill
	buffer_store_dword v72, off, s[20:23], 0 offset:252 ; 4-byte Folded Spill
	ds_read2_b64 v[99:102], v125 offset0:24 offset1:25
	buffer_load_dword v69, off, s[20:23], 0 offset:224 ; 4-byte Folded Reload
	buffer_load_dword v70, off, s[20:23], 0 offset:228 ; 4-byte Folded Reload
	buffer_load_dword v71, off, s[20:23], 0 offset:232 ; 4-byte Folded Reload
	buffer_load_dword v72, off, s[20:23], 0 offset:236 ; 4-byte Folded Reload
	s_waitcnt lgkmcnt(0)
	v_mul_f64 v[103:104], v[101:102], v[105:106]
	v_fma_f64 v[103:104], v[99:100], v[97:98], -v[103:104]
	v_mul_f64 v[99:100], v[99:100], v[105:106]
	v_fma_f64 v[99:100], v[101:102], v[97:98], v[99:100]
	s_waitcnt vmcnt(2)
	v_add_f64 v[69:70], v[69:70], -v[103:104]
	s_waitcnt vmcnt(0)
	v_add_f64 v[71:72], v[71:72], -v[99:100]
	buffer_store_dword v69, off, s[20:23], 0 offset:224 ; 4-byte Folded Spill
	s_nop 0
	buffer_store_dword v70, off, s[20:23], 0 offset:228 ; 4-byte Folded Spill
	buffer_store_dword v71, off, s[20:23], 0 offset:232 ; 4-byte Folded Spill
	buffer_store_dword v72, off, s[20:23], 0 offset:236 ; 4-byte Folded Spill
	ds_read2_b64 v[99:102], v125 offset0:26 offset1:27
	buffer_load_dword v69, off, s[20:23], 0 offset:208 ; 4-byte Folded Reload
	buffer_load_dword v70, off, s[20:23], 0 offset:212 ; 4-byte Folded Reload
	buffer_load_dword v71, off, s[20:23], 0 offset:216 ; 4-byte Folded Reload
	buffer_load_dword v72, off, s[20:23], 0 offset:220 ; 4-byte Folded Reload
	s_waitcnt lgkmcnt(0)
	v_mul_f64 v[103:104], v[101:102], v[105:106]
	v_fma_f64 v[103:104], v[99:100], v[97:98], -v[103:104]
	v_mul_f64 v[99:100], v[99:100], v[105:106]
	v_fma_f64 v[99:100], v[101:102], v[97:98], v[99:100]
	s_waitcnt vmcnt(2)
	v_add_f64 v[69:70], v[69:70], -v[103:104]
	s_waitcnt vmcnt(0)
	v_add_f64 v[71:72], v[71:72], -v[99:100]
	buffer_store_dword v69, off, s[20:23], 0 offset:208 ; 4-byte Folded Spill
	s_nop 0
	buffer_store_dword v70, off, s[20:23], 0 offset:212 ; 4-byte Folded Spill
	buffer_store_dword v71, off, s[20:23], 0 offset:216 ; 4-byte Folded Spill
	buffer_store_dword v72, off, s[20:23], 0 offset:220 ; 4-byte Folded Spill
	ds_read2_b64 v[99:102], v125 offset0:28 offset1:29
	buffer_load_dword v69, off, s[20:23], 0 offset:192 ; 4-byte Folded Reload
	buffer_load_dword v70, off, s[20:23], 0 offset:196 ; 4-byte Folded Reload
	buffer_load_dword v71, off, s[20:23], 0 offset:200 ; 4-byte Folded Reload
	buffer_load_dword v72, off, s[20:23], 0 offset:204 ; 4-byte Folded Reload
	s_waitcnt lgkmcnt(0)
	v_mul_f64 v[103:104], v[101:102], v[105:106]
	v_fma_f64 v[103:104], v[99:100], v[97:98], -v[103:104]
	v_mul_f64 v[99:100], v[99:100], v[105:106]
	v_fma_f64 v[99:100], v[101:102], v[97:98], v[99:100]
	s_waitcnt vmcnt(2)
	v_add_f64 v[69:70], v[69:70], -v[103:104]
	s_waitcnt vmcnt(0)
	v_add_f64 v[71:72], v[71:72], -v[99:100]
	buffer_store_dword v69, off, s[20:23], 0 offset:192 ; 4-byte Folded Spill
	s_nop 0
	buffer_store_dword v70, off, s[20:23], 0 offset:196 ; 4-byte Folded Spill
	buffer_store_dword v71, off, s[20:23], 0 offset:200 ; 4-byte Folded Spill
	buffer_store_dword v72, off, s[20:23], 0 offset:204 ; 4-byte Folded Spill
	ds_read2_b64 v[99:102], v125 offset0:30 offset1:31
	buffer_load_dword v69, off, s[20:23], 0 offset:176 ; 4-byte Folded Reload
	buffer_load_dword v70, off, s[20:23], 0 offset:180 ; 4-byte Folded Reload
	buffer_load_dword v71, off, s[20:23], 0 offset:184 ; 4-byte Folded Reload
	buffer_load_dword v72, off, s[20:23], 0 offset:188 ; 4-byte Folded Reload
	s_waitcnt lgkmcnt(0)
	v_mul_f64 v[103:104], v[101:102], v[105:106]
	v_fma_f64 v[103:104], v[99:100], v[97:98], -v[103:104]
	v_mul_f64 v[99:100], v[99:100], v[105:106]
	v_fma_f64 v[99:100], v[101:102], v[97:98], v[99:100]
	s_waitcnt vmcnt(2)
	v_add_f64 v[69:70], v[69:70], -v[103:104]
	s_waitcnt vmcnt(0)
	v_add_f64 v[71:72], v[71:72], -v[99:100]
	buffer_store_dword v69, off, s[20:23], 0 offset:176 ; 4-byte Folded Spill
	s_nop 0
	buffer_store_dword v70, off, s[20:23], 0 offset:180 ; 4-byte Folded Spill
	buffer_store_dword v71, off, s[20:23], 0 offset:184 ; 4-byte Folded Spill
	buffer_store_dword v72, off, s[20:23], 0 offset:188 ; 4-byte Folded Spill
	ds_read2_b64 v[99:102], v125 offset0:32 offset1:33
	buffer_load_dword v69, off, s[20:23], 0 offset:160 ; 4-byte Folded Reload
	buffer_load_dword v70, off, s[20:23], 0 offset:164 ; 4-byte Folded Reload
	buffer_load_dword v71, off, s[20:23], 0 offset:168 ; 4-byte Folded Reload
	buffer_load_dword v72, off, s[20:23], 0 offset:172 ; 4-byte Folded Reload
	s_waitcnt lgkmcnt(0)
	v_mul_f64 v[103:104], v[101:102], v[105:106]
	v_fma_f64 v[103:104], v[99:100], v[97:98], -v[103:104]
	v_mul_f64 v[99:100], v[99:100], v[105:106]
	v_fma_f64 v[99:100], v[101:102], v[97:98], v[99:100]
	s_waitcnt vmcnt(2)
	v_add_f64 v[69:70], v[69:70], -v[103:104]
	s_waitcnt vmcnt(0)
	v_add_f64 v[71:72], v[71:72], -v[99:100]
	buffer_store_dword v69, off, s[20:23], 0 offset:160 ; 4-byte Folded Spill
	s_nop 0
	buffer_store_dword v70, off, s[20:23], 0 offset:164 ; 4-byte Folded Spill
	buffer_store_dword v71, off, s[20:23], 0 offset:168 ; 4-byte Folded Spill
	buffer_store_dword v72, off, s[20:23], 0 offset:172 ; 4-byte Folded Spill
	ds_read2_b64 v[99:102], v125 offset0:34 offset1:35
	buffer_load_dword v69, off, s[20:23], 0 offset:144 ; 4-byte Folded Reload
	buffer_load_dword v70, off, s[20:23], 0 offset:148 ; 4-byte Folded Reload
	buffer_load_dword v71, off, s[20:23], 0 offset:152 ; 4-byte Folded Reload
	buffer_load_dword v72, off, s[20:23], 0 offset:156 ; 4-byte Folded Reload
	s_waitcnt lgkmcnt(0)
	v_mul_f64 v[103:104], v[101:102], v[105:106]
	v_fma_f64 v[103:104], v[99:100], v[97:98], -v[103:104]
	v_mul_f64 v[99:100], v[99:100], v[105:106]
	v_fma_f64 v[99:100], v[101:102], v[97:98], v[99:100]
	s_waitcnt vmcnt(2)
	v_add_f64 v[69:70], v[69:70], -v[103:104]
	s_waitcnt vmcnt(0)
	v_add_f64 v[71:72], v[71:72], -v[99:100]
	buffer_store_dword v69, off, s[20:23], 0 offset:144 ; 4-byte Folded Spill
	s_nop 0
	buffer_store_dword v70, off, s[20:23], 0 offset:148 ; 4-byte Folded Spill
	buffer_store_dword v71, off, s[20:23], 0 offset:152 ; 4-byte Folded Spill
	buffer_store_dword v72, off, s[20:23], 0 offset:156 ; 4-byte Folded Spill
	ds_read2_b64 v[99:102], v125 offset0:36 offset1:37
	buffer_load_dword v69, off, s[20:23], 0 offset:128 ; 4-byte Folded Reload
	buffer_load_dword v70, off, s[20:23], 0 offset:132 ; 4-byte Folded Reload
	buffer_load_dword v71, off, s[20:23], 0 offset:136 ; 4-byte Folded Reload
	buffer_load_dword v72, off, s[20:23], 0 offset:140 ; 4-byte Folded Reload
	s_waitcnt lgkmcnt(0)
	v_mul_f64 v[103:104], v[101:102], v[105:106]
	v_fma_f64 v[103:104], v[99:100], v[97:98], -v[103:104]
	v_mul_f64 v[99:100], v[99:100], v[105:106]
	v_fma_f64 v[99:100], v[101:102], v[97:98], v[99:100]
	s_waitcnt vmcnt(2)
	v_add_f64 v[69:70], v[69:70], -v[103:104]
	s_waitcnt vmcnt(0)
	v_add_f64 v[71:72], v[71:72], -v[99:100]
	buffer_store_dword v69, off, s[20:23], 0 offset:128 ; 4-byte Folded Spill
	s_nop 0
	buffer_store_dword v70, off, s[20:23], 0 offset:132 ; 4-byte Folded Spill
	buffer_store_dword v71, off, s[20:23], 0 offset:136 ; 4-byte Folded Spill
	buffer_store_dword v72, off, s[20:23], 0 offset:140 ; 4-byte Folded Spill
	ds_read2_b64 v[99:102], v125 offset0:38 offset1:39
	buffer_load_dword v69, off, s[20:23], 0 offset:112 ; 4-byte Folded Reload
	buffer_load_dword v70, off, s[20:23], 0 offset:116 ; 4-byte Folded Reload
	buffer_load_dword v71, off, s[20:23], 0 offset:120 ; 4-byte Folded Reload
	buffer_load_dword v72, off, s[20:23], 0 offset:124 ; 4-byte Folded Reload
	s_waitcnt lgkmcnt(0)
	v_mul_f64 v[103:104], v[101:102], v[105:106]
	v_fma_f64 v[103:104], v[99:100], v[97:98], -v[103:104]
	v_mul_f64 v[99:100], v[99:100], v[105:106]
	v_fma_f64 v[99:100], v[101:102], v[97:98], v[99:100]
	s_waitcnt vmcnt(2)
	v_add_f64 v[69:70], v[69:70], -v[103:104]
	s_waitcnt vmcnt(0)
	v_add_f64 v[71:72], v[71:72], -v[99:100]
	buffer_store_dword v69, off, s[20:23], 0 offset:112 ; 4-byte Folded Spill
	s_nop 0
	buffer_store_dword v70, off, s[20:23], 0 offset:116 ; 4-byte Folded Spill
	buffer_store_dword v71, off, s[20:23], 0 offset:120 ; 4-byte Folded Spill
	buffer_store_dword v72, off, s[20:23], 0 offset:124 ; 4-byte Folded Spill
	ds_read2_b64 v[99:102], v125 offset0:40 offset1:41
	buffer_load_dword v69, off, s[20:23], 0 offset:96 ; 4-byte Folded Reload
	buffer_load_dword v70, off, s[20:23], 0 offset:100 ; 4-byte Folded Reload
	buffer_load_dword v71, off, s[20:23], 0 offset:104 ; 4-byte Folded Reload
	buffer_load_dword v72, off, s[20:23], 0 offset:108 ; 4-byte Folded Reload
	s_waitcnt lgkmcnt(0)
	v_mul_f64 v[103:104], v[101:102], v[105:106]
	v_fma_f64 v[103:104], v[99:100], v[97:98], -v[103:104]
	v_mul_f64 v[99:100], v[99:100], v[105:106]
	v_fma_f64 v[99:100], v[101:102], v[97:98], v[99:100]
	s_waitcnt vmcnt(2)
	v_add_f64 v[69:70], v[69:70], -v[103:104]
	s_waitcnt vmcnt(0)
	v_add_f64 v[71:72], v[71:72], -v[99:100]
	buffer_store_dword v69, off, s[20:23], 0 offset:96 ; 4-byte Folded Spill
	s_nop 0
	buffer_store_dword v70, off, s[20:23], 0 offset:100 ; 4-byte Folded Spill
	buffer_store_dword v71, off, s[20:23], 0 offset:104 ; 4-byte Folded Spill
	buffer_store_dword v72, off, s[20:23], 0 offset:108 ; 4-byte Folded Spill
	ds_read2_b64 v[99:102], v125 offset0:42 offset1:43
	buffer_load_dword v69, off, s[20:23], 0 offset:80 ; 4-byte Folded Reload
	buffer_load_dword v70, off, s[20:23], 0 offset:84 ; 4-byte Folded Reload
	buffer_load_dword v71, off, s[20:23], 0 offset:88 ; 4-byte Folded Reload
	buffer_load_dword v72, off, s[20:23], 0 offset:92 ; 4-byte Folded Reload
	s_waitcnt lgkmcnt(0)
	v_mul_f64 v[103:104], v[101:102], v[105:106]
	v_fma_f64 v[103:104], v[99:100], v[97:98], -v[103:104]
	v_mul_f64 v[99:100], v[99:100], v[105:106]
	v_fma_f64 v[99:100], v[101:102], v[97:98], v[99:100]
	s_waitcnt vmcnt(2)
	v_add_f64 v[69:70], v[69:70], -v[103:104]
	s_waitcnt vmcnt(0)
	v_add_f64 v[71:72], v[71:72], -v[99:100]
	buffer_store_dword v69, off, s[20:23], 0 offset:80 ; 4-byte Folded Spill
	s_nop 0
	buffer_store_dword v70, off, s[20:23], 0 offset:84 ; 4-byte Folded Spill
	buffer_store_dword v71, off, s[20:23], 0 offset:88 ; 4-byte Folded Spill
	buffer_store_dword v72, off, s[20:23], 0 offset:92 ; 4-byte Folded Spill
	ds_read2_b64 v[99:102], v125 offset0:44 offset1:45
	buffer_load_dword v69, off, s[20:23], 0 offset:64 ; 4-byte Folded Reload
	buffer_load_dword v70, off, s[20:23], 0 offset:68 ; 4-byte Folded Reload
	buffer_load_dword v71, off, s[20:23], 0 offset:72 ; 4-byte Folded Reload
	buffer_load_dword v72, off, s[20:23], 0 offset:76 ; 4-byte Folded Reload
	s_waitcnt lgkmcnt(0)
	v_mul_f64 v[103:104], v[101:102], v[105:106]
	v_fma_f64 v[103:104], v[99:100], v[97:98], -v[103:104]
	v_mul_f64 v[99:100], v[99:100], v[105:106]
	v_fma_f64 v[99:100], v[101:102], v[97:98], v[99:100]
	s_waitcnt vmcnt(2)
	v_add_f64 v[69:70], v[69:70], -v[103:104]
	s_waitcnt vmcnt(0)
	v_add_f64 v[71:72], v[71:72], -v[99:100]
	buffer_store_dword v69, off, s[20:23], 0 offset:64 ; 4-byte Folded Spill
	s_nop 0
	buffer_store_dword v70, off, s[20:23], 0 offset:68 ; 4-byte Folded Spill
	buffer_store_dword v71, off, s[20:23], 0 offset:72 ; 4-byte Folded Spill
	buffer_store_dword v72, off, s[20:23], 0 offset:76 ; 4-byte Folded Spill
	ds_read2_b64 v[99:102], v125 offset0:46 offset1:47
	buffer_load_dword v69, off, s[20:23], 0 offset:48 ; 4-byte Folded Reload
	buffer_load_dword v70, off, s[20:23], 0 offset:52 ; 4-byte Folded Reload
	buffer_load_dword v71, off, s[20:23], 0 offset:56 ; 4-byte Folded Reload
	buffer_load_dword v72, off, s[20:23], 0 offset:60 ; 4-byte Folded Reload
	s_waitcnt lgkmcnt(0)
	v_mul_f64 v[103:104], v[101:102], v[105:106]
	v_fma_f64 v[103:104], v[99:100], v[97:98], -v[103:104]
	v_mul_f64 v[99:100], v[99:100], v[105:106]
	v_fma_f64 v[99:100], v[101:102], v[97:98], v[99:100]
	s_waitcnt vmcnt(2)
	v_add_f64 v[69:70], v[69:70], -v[103:104]
	s_waitcnt vmcnt(0)
	v_add_f64 v[71:72], v[71:72], -v[99:100]
	buffer_store_dword v69, off, s[20:23], 0 offset:48 ; 4-byte Folded Spill
	s_nop 0
	buffer_store_dword v70, off, s[20:23], 0 offset:52 ; 4-byte Folded Spill
	buffer_store_dword v71, off, s[20:23], 0 offset:56 ; 4-byte Folded Spill
	buffer_store_dword v72, off, s[20:23], 0 offset:60 ; 4-byte Folded Spill
	ds_read2_b64 v[99:102], v125 offset0:48 offset1:49
	v_mov_b32_e32 v69, v73
	v_mov_b32_e32 v70, v74
	;; [unrolled: 1-line block ×4, first 2 shown]
	s_waitcnt lgkmcnt(0)
	v_mul_f64 v[103:104], v[101:102], v[105:106]
	v_fma_f64 v[103:104], v[99:100], v[97:98], -v[103:104]
	v_mul_f64 v[99:100], v[99:100], v[105:106]
	v_add_f64 v[121:122], v[121:122], -v[103:104]
	v_fma_f64 v[99:100], v[101:102], v[97:98], v[99:100]
	v_add_f64 v[123:124], v[123:124], -v[99:100]
	ds_read2_b64 v[99:102], v125 offset0:50 offset1:51
	s_waitcnt lgkmcnt(0)
	v_mul_f64 v[103:104], v[101:102], v[105:106]
	v_fma_f64 v[103:104], v[99:100], v[97:98], -v[103:104]
	v_mul_f64 v[99:100], v[99:100], v[105:106]
	v_add_f64 v[117:118], v[117:118], -v[103:104]
	v_fma_f64 v[99:100], v[101:102], v[97:98], v[99:100]
	v_add_f64 v[119:120], v[119:120], -v[99:100]
	ds_read2_b64 v[99:102], v125 offset0:52 offset1:53
	;; [unrolled: 8-line block ×5, first 2 shown]
	buffer_load_dword v77, off, s[20:23], 0 offset:32 ; 4-byte Folded Reload
	buffer_load_dword v78, off, s[20:23], 0 offset:36 ; 4-byte Folded Reload
	;; [unrolled: 1-line block ×4, first 2 shown]
	s_waitcnt lgkmcnt(0)
	v_mul_f64 v[103:104], v[101:102], v[105:106]
	v_fma_f64 v[103:104], v[99:100], v[97:98], -v[103:104]
	v_mul_f64 v[99:100], v[99:100], v[105:106]
	v_fma_f64 v[99:100], v[101:102], v[97:98], v[99:100]
	s_waitcnt vmcnt(2)
	v_add_f64 v[77:78], v[77:78], -v[103:104]
	s_waitcnt vmcnt(0)
	v_add_f64 v[79:80], v[79:80], -v[99:100]
	buffer_store_dword v77, off, s[20:23], 0 offset:32 ; 4-byte Folded Spill
	s_nop 0
	buffer_store_dword v78, off, s[20:23], 0 offset:36 ; 4-byte Folded Spill
	buffer_store_dword v79, off, s[20:23], 0 offset:40 ; 4-byte Folded Spill
	;; [unrolled: 1-line block ×3, first 2 shown]
	ds_read2_b64 v[99:102], v125 offset0:60 offset1:61
	buffer_load_dword v73, off, s[20:23], 0 offset:16 ; 4-byte Folded Reload
	buffer_load_dword v74, off, s[20:23], 0 offset:20 ; 4-byte Folded Reload
	buffer_load_dword v75, off, s[20:23], 0 offset:24 ; 4-byte Folded Reload
	buffer_load_dword v76, off, s[20:23], 0 offset:28 ; 4-byte Folded Reload
	s_waitcnt lgkmcnt(0)
	v_mul_f64 v[103:104], v[101:102], v[105:106]
	v_fma_f64 v[103:104], v[99:100], v[97:98], -v[103:104]
	v_mul_f64 v[99:100], v[99:100], v[105:106]
	v_fma_f64 v[99:100], v[101:102], v[97:98], v[99:100]
	s_waitcnt vmcnt(2)
	v_add_f64 v[73:74], v[73:74], -v[103:104]
	s_waitcnt vmcnt(0)
	v_add_f64 v[75:76], v[75:76], -v[99:100]
	buffer_store_dword v73, off, s[20:23], 0 offset:16 ; 4-byte Folded Spill
	s_nop 0
	buffer_store_dword v74, off, s[20:23], 0 offset:20 ; 4-byte Folded Spill
	buffer_store_dword v75, off, s[20:23], 0 offset:24 ; 4-byte Folded Spill
	;; [unrolled: 1-line block ×3, first 2 shown]
	v_mov_b32_e32 v76, v72
	v_mov_b32_e32 v75, v71
	;; [unrolled: 1-line block ×4, first 2 shown]
	ds_read2_b64 v[99:102], v125 offset0:62 offset1:63
	buffer_load_dword v69, off, s[20:23], 0 ; 4-byte Folded Reload
	buffer_load_dword v70, off, s[20:23], 0 offset:4 ; 4-byte Folded Reload
	buffer_load_dword v71, off, s[20:23], 0 offset:8 ; 4-byte Folded Reload
	;; [unrolled: 1-line block ×3, first 2 shown]
	s_waitcnt lgkmcnt(0)
	v_mul_f64 v[103:104], v[101:102], v[105:106]
	v_fma_f64 v[103:104], v[99:100], v[97:98], -v[103:104]
	v_mul_f64 v[99:100], v[99:100], v[105:106]
	v_fma_f64 v[99:100], v[101:102], v[97:98], v[99:100]
	s_waitcnt vmcnt(2)
	v_add_f64 v[69:70], v[69:70], -v[103:104]
	s_waitcnt vmcnt(0)
	v_add_f64 v[71:72], v[71:72], -v[99:100]
	buffer_store_dword v69, off, s[20:23], 0 ; 4-byte Folded Spill
	s_nop 0
	buffer_store_dword v70, off, s[20:23], 0 offset:4 ; 4-byte Folded Spill
	buffer_store_dword v71, off, s[20:23], 0 offset:8 ; 4-byte Folded Spill
	;; [unrolled: 1-line block ×3, first 2 shown]
	ds_read2_b64 v[99:102], v125 offset0:64 offset1:65
	s_waitcnt lgkmcnt(0)
	v_mul_f64 v[103:104], v[101:102], v[105:106]
	v_fma_f64 v[103:104], v[99:100], v[97:98], -v[103:104]
	v_mul_f64 v[99:100], v[99:100], v[105:106]
	v_add_f64 v[65:66], v[65:66], -v[103:104]
	v_fma_f64 v[99:100], v[101:102], v[97:98], v[99:100]
	v_add_f64 v[67:68], v[67:68], -v[99:100]
	ds_read2_b64 v[99:102], v125 offset0:66 offset1:67
	s_waitcnt lgkmcnt(0)
	v_mul_f64 v[103:104], v[101:102], v[105:106]
	v_fma_f64 v[103:104], v[99:100], v[97:98], -v[103:104]
	v_mul_f64 v[99:100], v[99:100], v[105:106]
	v_add_f64 v[61:62], v[61:62], -v[103:104]
	v_fma_f64 v[99:100], v[101:102], v[97:98], v[99:100]
	v_add_f64 v[63:64], v[63:64], -v[99:100]
	;; [unrolled: 8-line block ×17, first 2 shown]
	ds_read2_b64 v[99:102], v125 offset0:98 offset1:99
	s_waitcnt lgkmcnt(0)
	v_mul_f64 v[103:104], v[101:102], v[105:106]
	v_fma_f64 v[103:104], v[99:100], v[97:98], -v[103:104]
	v_mul_f64 v[99:100], v[99:100], v[105:106]
	v_add_f64 v[73:74], v[73:74], -v[103:104]
	v_fma_f64 v[99:100], v[101:102], v[97:98], v[99:100]
	v_mov_b32_e32 v104, v98
	v_mov_b32_e32 v103, v97
	buffer_store_dword v103, off, s[20:23], 0 offset:304 ; 4-byte Folded Spill
	s_nop 0
	buffer_store_dword v104, off, s[20:23], 0 offset:308 ; 4-byte Folded Spill
	buffer_store_dword v105, off, s[20:23], 0 offset:312 ; 4-byte Folded Spill
	;; [unrolled: 1-line block ×3, first 2 shown]
	v_add_f64 v[75:76], v[75:76], -v[99:100]
.LBB99_73:
	s_or_b64 exec, exec, s[2:3]
	v_cmp_eq_u32_e32 vcc, 8, v0
	s_waitcnt vmcnt(0)
	s_barrier
	s_and_saveexec_b64 s[4:5], vcc
	s_cbranch_execz .LBB99_80
; %bb.74:
	buffer_load_dword v69, off, s[20:23], 0 offset:288 ; 4-byte Folded Reload
	buffer_load_dword v70, off, s[20:23], 0 offset:292 ; 4-byte Folded Reload
	;; [unrolled: 1-line block ×4, first 2 shown]
	s_waitcnt vmcnt(0)
	ds_write2_b64 v127, v[69:70], v[71:72] offset1:1
	buffer_load_dword v69, off, s[20:23], 0 offset:272 ; 4-byte Folded Reload
	buffer_load_dword v70, off, s[20:23], 0 offset:276 ; 4-byte Folded Reload
	buffer_load_dword v71, off, s[20:23], 0 offset:280 ; 4-byte Folded Reload
	buffer_load_dword v72, off, s[20:23], 0 offset:284 ; 4-byte Folded Reload
	s_waitcnt vmcnt(0)
	ds_write2_b64 v125, v[69:70], v[71:72] offset0:18 offset1:19
	buffer_load_dword v69, off, s[20:23], 0 offset:256 ; 4-byte Folded Reload
	buffer_load_dword v70, off, s[20:23], 0 offset:260 ; 4-byte Folded Reload
	buffer_load_dword v71, off, s[20:23], 0 offset:264 ; 4-byte Folded Reload
	buffer_load_dword v72, off, s[20:23], 0 offset:268 ; 4-byte Folded Reload
	s_waitcnt vmcnt(0)
	ds_write2_b64 v125, v[69:70], v[71:72] offset0:20 offset1:21
	;; [unrolled: 6-line block ×15, first 2 shown]
	ds_write2_b64 v125, v[121:122], v[123:124] offset0:48 offset1:49
	ds_write2_b64 v125, v[117:118], v[119:120] offset0:50 offset1:51
	;; [unrolled: 1-line block ×5, first 2 shown]
	buffer_load_dword v77, off, s[20:23], 0 offset:32 ; 4-byte Folded Reload
	buffer_load_dword v78, off, s[20:23], 0 offset:36 ; 4-byte Folded Reload
	;; [unrolled: 1-line block ×4, first 2 shown]
	v_mov_b32_e32 v69, v73
	v_mov_b32_e32 v70, v74
	;; [unrolled: 1-line block ×4, first 2 shown]
	s_waitcnt vmcnt(0)
	ds_write2_b64 v125, v[77:78], v[79:80] offset0:58 offset1:59
	buffer_load_dword v73, off, s[20:23], 0 offset:16 ; 4-byte Folded Reload
	buffer_load_dword v74, off, s[20:23], 0 offset:20 ; 4-byte Folded Reload
	;; [unrolled: 1-line block ×4, first 2 shown]
	s_waitcnt vmcnt(0)
	ds_write2_b64 v125, v[73:74], v[75:76] offset0:60 offset1:61
	v_mov_b32_e32 v76, v72
	v_mov_b32_e32 v75, v71
	;; [unrolled: 1-line block ×4, first 2 shown]
	buffer_load_dword v69, off, s[20:23], 0 ; 4-byte Folded Reload
	buffer_load_dword v70, off, s[20:23], 0 offset:4 ; 4-byte Folded Reload
	buffer_load_dword v71, off, s[20:23], 0 offset:8 ; 4-byte Folded Reload
	;; [unrolled: 1-line block ×3, first 2 shown]
	s_waitcnt vmcnt(0)
	ds_write2_b64 v125, v[69:70], v[71:72] offset0:62 offset1:63
	ds_write2_b64 v125, v[65:66], v[67:68] offset0:64 offset1:65
	;; [unrolled: 1-line block ×19, first 2 shown]
	ds_read2_b64 v[97:100], v127 offset1:1
	s_waitcnt lgkmcnt(0)
	v_cmp_neq_f64_e32 vcc, 0, v[97:98]
	v_cmp_neq_f64_e64 s[2:3], 0, v[99:100]
	s_or_b64 s[2:3], vcc, s[2:3]
	s_and_b64 exec, exec, s[2:3]
	s_cbranch_execz .LBB99_80
; %bb.75:
	v_cmp_ngt_f64_e64 s[2:3], |v[97:98]|, |v[99:100]|
                                        ; implicit-def: $vgpr101_vgpr102
	s_and_saveexec_b64 s[6:7], s[2:3]
	s_xor_b64 s[2:3], exec, s[6:7]
                                        ; implicit-def: $vgpr103_vgpr104
	s_cbranch_execz .LBB99_77
; %bb.76:
	v_div_scale_f64 v[101:102], s[6:7], v[99:100], v[99:100], v[97:98]
	v_rcp_f64_e32 v[103:104], v[101:102]
	v_fma_f64 v[105:106], -v[101:102], v[103:104], 1.0
	v_fma_f64 v[103:104], v[103:104], v[105:106], v[103:104]
	v_div_scale_f64 v[105:106], vcc, v[97:98], v[99:100], v[97:98]
	v_fma_f64 v[107:108], -v[101:102], v[103:104], 1.0
	v_fma_f64 v[103:104], v[103:104], v[107:108], v[103:104]
	v_mul_f64 v[107:108], v[105:106], v[103:104]
	v_fma_f64 v[101:102], -v[101:102], v[107:108], v[105:106]
	v_div_fmas_f64 v[101:102], v[101:102], v[103:104], v[107:108]
	v_div_fixup_f64 v[101:102], v[101:102], v[99:100], v[97:98]
	v_fma_f64 v[97:98], v[97:98], v[101:102], v[99:100]
	v_div_scale_f64 v[99:100], s[6:7], v[97:98], v[97:98], 1.0
	v_div_scale_f64 v[107:108], vcc, 1.0, v[97:98], 1.0
	v_rcp_f64_e32 v[103:104], v[99:100]
	v_fma_f64 v[105:106], -v[99:100], v[103:104], 1.0
	v_fma_f64 v[103:104], v[103:104], v[105:106], v[103:104]
	v_fma_f64 v[105:106], -v[99:100], v[103:104], 1.0
	v_fma_f64 v[103:104], v[103:104], v[105:106], v[103:104]
	v_mul_f64 v[105:106], v[107:108], v[103:104]
	v_fma_f64 v[99:100], -v[99:100], v[105:106], v[107:108]
	v_div_fmas_f64 v[99:100], v[99:100], v[103:104], v[105:106]
	v_div_fixup_f64 v[103:104], v[99:100], v[97:98], 1.0
                                        ; implicit-def: $vgpr97_vgpr98
	v_mul_f64 v[101:102], v[101:102], v[103:104]
	v_xor_b32_e32 v104, 0x80000000, v104
.LBB99_77:
	s_andn2_saveexec_b64 s[2:3], s[2:3]
	s_cbranch_execz .LBB99_79
; %bb.78:
	v_div_scale_f64 v[101:102], s[6:7], v[97:98], v[97:98], v[99:100]
	v_rcp_f64_e32 v[103:104], v[101:102]
	v_fma_f64 v[105:106], -v[101:102], v[103:104], 1.0
	v_fma_f64 v[103:104], v[103:104], v[105:106], v[103:104]
	v_div_scale_f64 v[105:106], vcc, v[99:100], v[97:98], v[99:100]
	v_fma_f64 v[107:108], -v[101:102], v[103:104], 1.0
	v_fma_f64 v[103:104], v[103:104], v[107:108], v[103:104]
	v_mul_f64 v[107:108], v[105:106], v[103:104]
	v_fma_f64 v[101:102], -v[101:102], v[107:108], v[105:106]
	v_div_fmas_f64 v[101:102], v[101:102], v[103:104], v[107:108]
	v_div_fixup_f64 v[103:104], v[101:102], v[97:98], v[99:100]
	v_fma_f64 v[97:98], v[99:100], v[103:104], v[97:98]
	v_div_scale_f64 v[99:100], s[6:7], v[97:98], v[97:98], 1.0
	v_div_scale_f64 v[107:108], vcc, 1.0, v[97:98], 1.0
	v_rcp_f64_e32 v[101:102], v[99:100]
	v_fma_f64 v[105:106], -v[99:100], v[101:102], 1.0
	v_fma_f64 v[101:102], v[101:102], v[105:106], v[101:102]
	v_fma_f64 v[105:106], -v[99:100], v[101:102], 1.0
	v_fma_f64 v[101:102], v[101:102], v[105:106], v[101:102]
	v_mul_f64 v[105:106], v[107:108], v[101:102]
	v_fma_f64 v[99:100], -v[99:100], v[105:106], v[107:108]
	v_div_fmas_f64 v[99:100], v[99:100], v[101:102], v[105:106]
	v_div_fixup_f64 v[101:102], v[99:100], v[97:98], 1.0
	v_mul_f64 v[103:104], v[103:104], -v[101:102]
.LBB99_79:
	s_or_b64 exec, exec, s[2:3]
	ds_write2_b64 v127, v[101:102], v[103:104] offset1:1
.LBB99_80:
	s_or_b64 exec, exec, s[4:5]
	s_waitcnt lgkmcnt(0)
	s_barrier
	ds_read2_b64 v[69:72], v127 offset1:1
	v_cmp_lt_u32_e32 vcc, 8, v0
	s_waitcnt lgkmcnt(0)
	buffer_store_dword v69, off, s[20:23], 0 offset:952 ; 4-byte Folded Spill
	s_nop 0
	buffer_store_dword v70, off, s[20:23], 0 offset:956 ; 4-byte Folded Spill
	buffer_store_dword v71, off, s[20:23], 0 offset:960 ; 4-byte Folded Spill
	;; [unrolled: 1-line block ×3, first 2 shown]
	s_and_saveexec_b64 s[2:3], vcc
	s_cbranch_execz .LBB99_82
; %bb.81:
	buffer_load_dword v103, off, s[20:23], 0 offset:288 ; 4-byte Folded Reload
	buffer_load_dword v104, off, s[20:23], 0 offset:292 ; 4-byte Folded Reload
	;; [unrolled: 1-line block ×8, first 2 shown]
	s_waitcnt vmcnt(2)
	v_mul_f64 v[99:100], v[69:70], v[105:106]
	s_waitcnt vmcnt(0)
	v_mul_f64 v[97:98], v[71:72], v[105:106]
	v_fma_f64 v[105:106], v[71:72], v[103:104], v[99:100]
	ds_read2_b64 v[99:102], v125 offset0:18 offset1:19
	v_fma_f64 v[97:98], v[69:70], v[103:104], -v[97:98]
	buffer_load_dword v69, off, s[20:23], 0 offset:272 ; 4-byte Folded Reload
	buffer_load_dword v70, off, s[20:23], 0 offset:276 ; 4-byte Folded Reload
	buffer_load_dword v71, off, s[20:23], 0 offset:280 ; 4-byte Folded Reload
	buffer_load_dword v72, off, s[20:23], 0 offset:284 ; 4-byte Folded Reload
	s_waitcnt lgkmcnt(0)
	v_mul_f64 v[103:104], v[101:102], v[105:106]
	v_fma_f64 v[103:104], v[99:100], v[97:98], -v[103:104]
	v_mul_f64 v[99:100], v[99:100], v[105:106]
	v_fma_f64 v[99:100], v[101:102], v[97:98], v[99:100]
	s_waitcnt vmcnt(2)
	v_add_f64 v[69:70], v[69:70], -v[103:104]
	s_waitcnt vmcnt(0)
	v_add_f64 v[71:72], v[71:72], -v[99:100]
	buffer_store_dword v69, off, s[20:23], 0 offset:272 ; 4-byte Folded Spill
	s_nop 0
	buffer_store_dword v70, off, s[20:23], 0 offset:276 ; 4-byte Folded Spill
	buffer_store_dword v71, off, s[20:23], 0 offset:280 ; 4-byte Folded Spill
	buffer_store_dword v72, off, s[20:23], 0 offset:284 ; 4-byte Folded Spill
	ds_read2_b64 v[99:102], v125 offset0:20 offset1:21
	buffer_load_dword v69, off, s[20:23], 0 offset:256 ; 4-byte Folded Reload
	buffer_load_dword v70, off, s[20:23], 0 offset:260 ; 4-byte Folded Reload
	buffer_load_dword v71, off, s[20:23], 0 offset:264 ; 4-byte Folded Reload
	buffer_load_dword v72, off, s[20:23], 0 offset:268 ; 4-byte Folded Reload
	s_waitcnt lgkmcnt(0)
	v_mul_f64 v[103:104], v[101:102], v[105:106]
	v_fma_f64 v[103:104], v[99:100], v[97:98], -v[103:104]
	v_mul_f64 v[99:100], v[99:100], v[105:106]
	v_fma_f64 v[99:100], v[101:102], v[97:98], v[99:100]
	s_waitcnt vmcnt(2)
	v_add_f64 v[69:70], v[69:70], -v[103:104]
	s_waitcnt vmcnt(0)
	v_add_f64 v[71:72], v[71:72], -v[99:100]
	buffer_store_dword v69, off, s[20:23], 0 offset:256 ; 4-byte Folded Spill
	s_nop 0
	buffer_store_dword v70, off, s[20:23], 0 offset:260 ; 4-byte Folded Spill
	buffer_store_dword v71, off, s[20:23], 0 offset:264 ; 4-byte Folded Spill
	buffer_store_dword v72, off, s[20:23], 0 offset:268 ; 4-byte Folded Spill
	ds_read2_b64 v[99:102], v125 offset0:22 offset1:23
	;; [unrolled: 19-line block ×15, first 2 shown]
	v_mov_b32_e32 v69, v73
	v_mov_b32_e32 v70, v74
	;; [unrolled: 1-line block ×4, first 2 shown]
	s_waitcnt lgkmcnt(0)
	v_mul_f64 v[103:104], v[101:102], v[105:106]
	v_fma_f64 v[103:104], v[99:100], v[97:98], -v[103:104]
	v_mul_f64 v[99:100], v[99:100], v[105:106]
	v_add_f64 v[121:122], v[121:122], -v[103:104]
	v_fma_f64 v[99:100], v[101:102], v[97:98], v[99:100]
	v_add_f64 v[123:124], v[123:124], -v[99:100]
	ds_read2_b64 v[99:102], v125 offset0:50 offset1:51
	s_waitcnt lgkmcnt(0)
	v_mul_f64 v[103:104], v[101:102], v[105:106]
	v_fma_f64 v[103:104], v[99:100], v[97:98], -v[103:104]
	v_mul_f64 v[99:100], v[99:100], v[105:106]
	v_add_f64 v[117:118], v[117:118], -v[103:104]
	v_fma_f64 v[99:100], v[101:102], v[97:98], v[99:100]
	v_add_f64 v[119:120], v[119:120], -v[99:100]
	ds_read2_b64 v[99:102], v125 offset0:52 offset1:53
	;; [unrolled: 8-line block ×5, first 2 shown]
	buffer_load_dword v77, off, s[20:23], 0 offset:32 ; 4-byte Folded Reload
	buffer_load_dword v78, off, s[20:23], 0 offset:36 ; 4-byte Folded Reload
	;; [unrolled: 1-line block ×4, first 2 shown]
	s_waitcnt lgkmcnt(0)
	v_mul_f64 v[103:104], v[101:102], v[105:106]
	v_fma_f64 v[103:104], v[99:100], v[97:98], -v[103:104]
	v_mul_f64 v[99:100], v[99:100], v[105:106]
	v_fma_f64 v[99:100], v[101:102], v[97:98], v[99:100]
	s_waitcnt vmcnt(2)
	v_add_f64 v[77:78], v[77:78], -v[103:104]
	s_waitcnt vmcnt(0)
	v_add_f64 v[79:80], v[79:80], -v[99:100]
	buffer_store_dword v77, off, s[20:23], 0 offset:32 ; 4-byte Folded Spill
	s_nop 0
	buffer_store_dword v78, off, s[20:23], 0 offset:36 ; 4-byte Folded Spill
	buffer_store_dword v79, off, s[20:23], 0 offset:40 ; 4-byte Folded Spill
	;; [unrolled: 1-line block ×3, first 2 shown]
	ds_read2_b64 v[99:102], v125 offset0:60 offset1:61
	buffer_load_dword v73, off, s[20:23], 0 offset:16 ; 4-byte Folded Reload
	buffer_load_dword v74, off, s[20:23], 0 offset:20 ; 4-byte Folded Reload
	;; [unrolled: 1-line block ×4, first 2 shown]
	s_waitcnt lgkmcnt(0)
	v_mul_f64 v[103:104], v[101:102], v[105:106]
	v_fma_f64 v[103:104], v[99:100], v[97:98], -v[103:104]
	v_mul_f64 v[99:100], v[99:100], v[105:106]
	v_fma_f64 v[99:100], v[101:102], v[97:98], v[99:100]
	s_waitcnt vmcnt(2)
	v_add_f64 v[73:74], v[73:74], -v[103:104]
	s_waitcnt vmcnt(0)
	v_add_f64 v[75:76], v[75:76], -v[99:100]
	buffer_store_dword v73, off, s[20:23], 0 offset:16 ; 4-byte Folded Spill
	s_nop 0
	buffer_store_dword v74, off, s[20:23], 0 offset:20 ; 4-byte Folded Spill
	buffer_store_dword v75, off, s[20:23], 0 offset:24 ; 4-byte Folded Spill
	;; [unrolled: 1-line block ×3, first 2 shown]
	v_mov_b32_e32 v76, v72
	v_mov_b32_e32 v75, v71
	;; [unrolled: 1-line block ×4, first 2 shown]
	ds_read2_b64 v[99:102], v125 offset0:62 offset1:63
	buffer_load_dword v69, off, s[20:23], 0 ; 4-byte Folded Reload
	buffer_load_dword v70, off, s[20:23], 0 offset:4 ; 4-byte Folded Reload
	buffer_load_dword v71, off, s[20:23], 0 offset:8 ; 4-byte Folded Reload
	;; [unrolled: 1-line block ×3, first 2 shown]
	s_waitcnt lgkmcnt(0)
	v_mul_f64 v[103:104], v[101:102], v[105:106]
	v_fma_f64 v[103:104], v[99:100], v[97:98], -v[103:104]
	v_mul_f64 v[99:100], v[99:100], v[105:106]
	v_fma_f64 v[99:100], v[101:102], v[97:98], v[99:100]
	s_waitcnt vmcnt(2)
	v_add_f64 v[69:70], v[69:70], -v[103:104]
	s_waitcnt vmcnt(0)
	v_add_f64 v[71:72], v[71:72], -v[99:100]
	buffer_store_dword v69, off, s[20:23], 0 ; 4-byte Folded Spill
	s_nop 0
	buffer_store_dword v70, off, s[20:23], 0 offset:4 ; 4-byte Folded Spill
	buffer_store_dword v71, off, s[20:23], 0 offset:8 ; 4-byte Folded Spill
	;; [unrolled: 1-line block ×3, first 2 shown]
	ds_read2_b64 v[99:102], v125 offset0:64 offset1:65
	s_waitcnt lgkmcnt(0)
	v_mul_f64 v[103:104], v[101:102], v[105:106]
	v_fma_f64 v[103:104], v[99:100], v[97:98], -v[103:104]
	v_mul_f64 v[99:100], v[99:100], v[105:106]
	v_add_f64 v[65:66], v[65:66], -v[103:104]
	v_fma_f64 v[99:100], v[101:102], v[97:98], v[99:100]
	v_add_f64 v[67:68], v[67:68], -v[99:100]
	ds_read2_b64 v[99:102], v125 offset0:66 offset1:67
	s_waitcnt lgkmcnt(0)
	v_mul_f64 v[103:104], v[101:102], v[105:106]
	v_fma_f64 v[103:104], v[99:100], v[97:98], -v[103:104]
	v_mul_f64 v[99:100], v[99:100], v[105:106]
	v_add_f64 v[61:62], v[61:62], -v[103:104]
	v_fma_f64 v[99:100], v[101:102], v[97:98], v[99:100]
	v_add_f64 v[63:64], v[63:64], -v[99:100]
	;; [unrolled: 8-line block ×17, first 2 shown]
	ds_read2_b64 v[99:102], v125 offset0:98 offset1:99
	s_waitcnt lgkmcnt(0)
	v_mul_f64 v[103:104], v[101:102], v[105:106]
	v_fma_f64 v[103:104], v[99:100], v[97:98], -v[103:104]
	v_mul_f64 v[99:100], v[99:100], v[105:106]
	v_add_f64 v[73:74], v[73:74], -v[103:104]
	v_fma_f64 v[99:100], v[101:102], v[97:98], v[99:100]
	v_mov_b32_e32 v104, v98
	v_mov_b32_e32 v103, v97
	buffer_store_dword v103, off, s[20:23], 0 offset:288 ; 4-byte Folded Spill
	s_nop 0
	buffer_store_dword v104, off, s[20:23], 0 offset:292 ; 4-byte Folded Spill
	buffer_store_dword v105, off, s[20:23], 0 offset:296 ; 4-byte Folded Spill
	;; [unrolled: 1-line block ×3, first 2 shown]
	v_add_f64 v[75:76], v[75:76], -v[99:100]
.LBB99_82:
	s_or_b64 exec, exec, s[2:3]
	v_cmp_eq_u32_e32 vcc, 9, v0
	s_waitcnt vmcnt(0)
	s_barrier
	s_and_saveexec_b64 s[4:5], vcc
	s_cbranch_execz .LBB99_89
; %bb.83:
	buffer_load_dword v69, off, s[20:23], 0 offset:272 ; 4-byte Folded Reload
	buffer_load_dword v70, off, s[20:23], 0 offset:276 ; 4-byte Folded Reload
	;; [unrolled: 1-line block ×4, first 2 shown]
	s_waitcnt vmcnt(0)
	ds_write2_b64 v127, v[69:70], v[71:72] offset1:1
	buffer_load_dword v69, off, s[20:23], 0 offset:256 ; 4-byte Folded Reload
	buffer_load_dword v70, off, s[20:23], 0 offset:260 ; 4-byte Folded Reload
	buffer_load_dword v71, off, s[20:23], 0 offset:264 ; 4-byte Folded Reload
	buffer_load_dword v72, off, s[20:23], 0 offset:268 ; 4-byte Folded Reload
	s_waitcnt vmcnt(0)
	ds_write2_b64 v125, v[69:70], v[71:72] offset0:20 offset1:21
	buffer_load_dword v69, off, s[20:23], 0 offset:240 ; 4-byte Folded Reload
	buffer_load_dword v70, off, s[20:23], 0 offset:244 ; 4-byte Folded Reload
	buffer_load_dword v71, off, s[20:23], 0 offset:248 ; 4-byte Folded Reload
	buffer_load_dword v72, off, s[20:23], 0 offset:252 ; 4-byte Folded Reload
	s_waitcnt vmcnt(0)
	ds_write2_b64 v125, v[69:70], v[71:72] offset0:22 offset1:23
	;; [unrolled: 6-line block ×14, first 2 shown]
	ds_write2_b64 v125, v[121:122], v[123:124] offset0:48 offset1:49
	ds_write2_b64 v125, v[117:118], v[119:120] offset0:50 offset1:51
	;; [unrolled: 1-line block ×5, first 2 shown]
	buffer_load_dword v77, off, s[20:23], 0 offset:32 ; 4-byte Folded Reload
	buffer_load_dword v78, off, s[20:23], 0 offset:36 ; 4-byte Folded Reload
	;; [unrolled: 1-line block ×4, first 2 shown]
	v_mov_b32_e32 v69, v73
	v_mov_b32_e32 v70, v74
	;; [unrolled: 1-line block ×4, first 2 shown]
	s_waitcnt vmcnt(0)
	ds_write2_b64 v125, v[77:78], v[79:80] offset0:58 offset1:59
	buffer_load_dword v73, off, s[20:23], 0 offset:16 ; 4-byte Folded Reload
	buffer_load_dword v74, off, s[20:23], 0 offset:20 ; 4-byte Folded Reload
	;; [unrolled: 1-line block ×4, first 2 shown]
	s_waitcnt vmcnt(0)
	ds_write2_b64 v125, v[73:74], v[75:76] offset0:60 offset1:61
	v_mov_b32_e32 v76, v72
	v_mov_b32_e32 v75, v71
	;; [unrolled: 1-line block ×4, first 2 shown]
	buffer_load_dword v69, off, s[20:23], 0 ; 4-byte Folded Reload
	buffer_load_dword v70, off, s[20:23], 0 offset:4 ; 4-byte Folded Reload
	buffer_load_dword v71, off, s[20:23], 0 offset:8 ; 4-byte Folded Reload
	;; [unrolled: 1-line block ×3, first 2 shown]
	s_waitcnt vmcnt(0)
	ds_write2_b64 v125, v[69:70], v[71:72] offset0:62 offset1:63
	ds_write2_b64 v125, v[65:66], v[67:68] offset0:64 offset1:65
	;; [unrolled: 1-line block ×19, first 2 shown]
	ds_read2_b64 v[97:100], v127 offset1:1
	s_waitcnt lgkmcnt(0)
	v_cmp_neq_f64_e32 vcc, 0, v[97:98]
	v_cmp_neq_f64_e64 s[2:3], 0, v[99:100]
	s_or_b64 s[2:3], vcc, s[2:3]
	s_and_b64 exec, exec, s[2:3]
	s_cbranch_execz .LBB99_89
; %bb.84:
	v_cmp_ngt_f64_e64 s[2:3], |v[97:98]|, |v[99:100]|
                                        ; implicit-def: $vgpr101_vgpr102
	s_and_saveexec_b64 s[6:7], s[2:3]
	s_xor_b64 s[2:3], exec, s[6:7]
                                        ; implicit-def: $vgpr103_vgpr104
	s_cbranch_execz .LBB99_86
; %bb.85:
	v_div_scale_f64 v[101:102], s[6:7], v[99:100], v[99:100], v[97:98]
	v_rcp_f64_e32 v[103:104], v[101:102]
	v_fma_f64 v[105:106], -v[101:102], v[103:104], 1.0
	v_fma_f64 v[103:104], v[103:104], v[105:106], v[103:104]
	v_div_scale_f64 v[105:106], vcc, v[97:98], v[99:100], v[97:98]
	v_fma_f64 v[107:108], -v[101:102], v[103:104], 1.0
	v_fma_f64 v[103:104], v[103:104], v[107:108], v[103:104]
	v_mul_f64 v[107:108], v[105:106], v[103:104]
	v_fma_f64 v[101:102], -v[101:102], v[107:108], v[105:106]
	v_div_fmas_f64 v[101:102], v[101:102], v[103:104], v[107:108]
	v_div_fixup_f64 v[101:102], v[101:102], v[99:100], v[97:98]
	v_fma_f64 v[97:98], v[97:98], v[101:102], v[99:100]
	v_div_scale_f64 v[99:100], s[6:7], v[97:98], v[97:98], 1.0
	v_div_scale_f64 v[107:108], vcc, 1.0, v[97:98], 1.0
	v_rcp_f64_e32 v[103:104], v[99:100]
	v_fma_f64 v[105:106], -v[99:100], v[103:104], 1.0
	v_fma_f64 v[103:104], v[103:104], v[105:106], v[103:104]
	v_fma_f64 v[105:106], -v[99:100], v[103:104], 1.0
	v_fma_f64 v[103:104], v[103:104], v[105:106], v[103:104]
	v_mul_f64 v[105:106], v[107:108], v[103:104]
	v_fma_f64 v[99:100], -v[99:100], v[105:106], v[107:108]
	v_div_fmas_f64 v[99:100], v[99:100], v[103:104], v[105:106]
	v_div_fixup_f64 v[103:104], v[99:100], v[97:98], 1.0
                                        ; implicit-def: $vgpr97_vgpr98
	v_mul_f64 v[101:102], v[101:102], v[103:104]
	v_xor_b32_e32 v104, 0x80000000, v104
.LBB99_86:
	s_andn2_saveexec_b64 s[2:3], s[2:3]
	s_cbranch_execz .LBB99_88
; %bb.87:
	v_div_scale_f64 v[101:102], s[6:7], v[97:98], v[97:98], v[99:100]
	v_rcp_f64_e32 v[103:104], v[101:102]
	v_fma_f64 v[105:106], -v[101:102], v[103:104], 1.0
	v_fma_f64 v[103:104], v[103:104], v[105:106], v[103:104]
	v_div_scale_f64 v[105:106], vcc, v[99:100], v[97:98], v[99:100]
	v_fma_f64 v[107:108], -v[101:102], v[103:104], 1.0
	v_fma_f64 v[103:104], v[103:104], v[107:108], v[103:104]
	v_mul_f64 v[107:108], v[105:106], v[103:104]
	v_fma_f64 v[101:102], -v[101:102], v[107:108], v[105:106]
	v_div_fmas_f64 v[101:102], v[101:102], v[103:104], v[107:108]
	v_div_fixup_f64 v[103:104], v[101:102], v[97:98], v[99:100]
	v_fma_f64 v[97:98], v[99:100], v[103:104], v[97:98]
	v_div_scale_f64 v[99:100], s[6:7], v[97:98], v[97:98], 1.0
	v_div_scale_f64 v[107:108], vcc, 1.0, v[97:98], 1.0
	v_rcp_f64_e32 v[101:102], v[99:100]
	v_fma_f64 v[105:106], -v[99:100], v[101:102], 1.0
	v_fma_f64 v[101:102], v[101:102], v[105:106], v[101:102]
	v_fma_f64 v[105:106], -v[99:100], v[101:102], 1.0
	v_fma_f64 v[101:102], v[101:102], v[105:106], v[101:102]
	v_mul_f64 v[105:106], v[107:108], v[101:102]
	v_fma_f64 v[99:100], -v[99:100], v[105:106], v[107:108]
	v_div_fmas_f64 v[99:100], v[99:100], v[101:102], v[105:106]
	v_div_fixup_f64 v[101:102], v[99:100], v[97:98], 1.0
	v_mul_f64 v[103:104], v[103:104], -v[101:102]
.LBB99_88:
	s_or_b64 exec, exec, s[2:3]
	ds_write2_b64 v127, v[101:102], v[103:104] offset1:1
.LBB99_89:
	s_or_b64 exec, exec, s[4:5]
	s_waitcnt lgkmcnt(0)
	s_barrier
	ds_read2_b64 v[69:72], v127 offset1:1
	v_cmp_lt_u32_e32 vcc, 9, v0
	s_waitcnt lgkmcnt(0)
	buffer_store_dword v69, off, s[20:23], 0 offset:968 ; 4-byte Folded Spill
	s_nop 0
	buffer_store_dword v70, off, s[20:23], 0 offset:972 ; 4-byte Folded Spill
	buffer_store_dword v71, off, s[20:23], 0 offset:976 ; 4-byte Folded Spill
	;; [unrolled: 1-line block ×3, first 2 shown]
	s_and_saveexec_b64 s[2:3], vcc
	s_cbranch_execz .LBB99_91
; %bb.90:
	buffer_load_dword v103, off, s[20:23], 0 offset:272 ; 4-byte Folded Reload
	buffer_load_dword v104, off, s[20:23], 0 offset:276 ; 4-byte Folded Reload
	;; [unrolled: 1-line block ×8, first 2 shown]
	s_waitcnt vmcnt(2)
	v_mul_f64 v[99:100], v[69:70], v[105:106]
	s_waitcnt vmcnt(0)
	v_mul_f64 v[97:98], v[71:72], v[105:106]
	v_fma_f64 v[105:106], v[71:72], v[103:104], v[99:100]
	ds_read2_b64 v[99:102], v125 offset0:20 offset1:21
	v_fma_f64 v[97:98], v[69:70], v[103:104], -v[97:98]
	buffer_load_dword v69, off, s[20:23], 0 offset:256 ; 4-byte Folded Reload
	buffer_load_dword v70, off, s[20:23], 0 offset:260 ; 4-byte Folded Reload
	buffer_load_dword v71, off, s[20:23], 0 offset:264 ; 4-byte Folded Reload
	buffer_load_dword v72, off, s[20:23], 0 offset:268 ; 4-byte Folded Reload
	s_waitcnt lgkmcnt(0)
	v_mul_f64 v[103:104], v[101:102], v[105:106]
	v_fma_f64 v[103:104], v[99:100], v[97:98], -v[103:104]
	v_mul_f64 v[99:100], v[99:100], v[105:106]
	v_fma_f64 v[99:100], v[101:102], v[97:98], v[99:100]
	s_waitcnt vmcnt(2)
	v_add_f64 v[69:70], v[69:70], -v[103:104]
	s_waitcnt vmcnt(0)
	v_add_f64 v[71:72], v[71:72], -v[99:100]
	buffer_store_dword v69, off, s[20:23], 0 offset:256 ; 4-byte Folded Spill
	s_nop 0
	buffer_store_dword v70, off, s[20:23], 0 offset:260 ; 4-byte Folded Spill
	buffer_store_dword v71, off, s[20:23], 0 offset:264 ; 4-byte Folded Spill
	buffer_store_dword v72, off, s[20:23], 0 offset:268 ; 4-byte Folded Spill
	ds_read2_b64 v[99:102], v125 offset0:22 offset1:23
	buffer_load_dword v69, off, s[20:23], 0 offset:240 ; 4-byte Folded Reload
	buffer_load_dword v70, off, s[20:23], 0 offset:244 ; 4-byte Folded Reload
	buffer_load_dword v71, off, s[20:23], 0 offset:248 ; 4-byte Folded Reload
	buffer_load_dword v72, off, s[20:23], 0 offset:252 ; 4-byte Folded Reload
	s_waitcnt lgkmcnt(0)
	v_mul_f64 v[103:104], v[101:102], v[105:106]
	v_fma_f64 v[103:104], v[99:100], v[97:98], -v[103:104]
	v_mul_f64 v[99:100], v[99:100], v[105:106]
	v_fma_f64 v[99:100], v[101:102], v[97:98], v[99:100]
	s_waitcnt vmcnt(2)
	v_add_f64 v[69:70], v[69:70], -v[103:104]
	s_waitcnt vmcnt(0)
	v_add_f64 v[71:72], v[71:72], -v[99:100]
	buffer_store_dword v69, off, s[20:23], 0 offset:240 ; 4-byte Folded Spill
	s_nop 0
	buffer_store_dword v70, off, s[20:23], 0 offset:244 ; 4-byte Folded Spill
	buffer_store_dword v71, off, s[20:23], 0 offset:248 ; 4-byte Folded Spill
	buffer_store_dword v72, off, s[20:23], 0 offset:252 ; 4-byte Folded Spill
	ds_read2_b64 v[99:102], v125 offset0:24 offset1:25
	;; [unrolled: 19-line block ×14, first 2 shown]
	v_mov_b32_e32 v69, v73
	v_mov_b32_e32 v70, v74
	;; [unrolled: 1-line block ×4, first 2 shown]
	s_waitcnt lgkmcnt(0)
	v_mul_f64 v[103:104], v[101:102], v[105:106]
	v_fma_f64 v[103:104], v[99:100], v[97:98], -v[103:104]
	v_mul_f64 v[99:100], v[99:100], v[105:106]
	v_add_f64 v[121:122], v[121:122], -v[103:104]
	v_fma_f64 v[99:100], v[101:102], v[97:98], v[99:100]
	v_add_f64 v[123:124], v[123:124], -v[99:100]
	ds_read2_b64 v[99:102], v125 offset0:50 offset1:51
	s_waitcnt lgkmcnt(0)
	v_mul_f64 v[103:104], v[101:102], v[105:106]
	v_fma_f64 v[103:104], v[99:100], v[97:98], -v[103:104]
	v_mul_f64 v[99:100], v[99:100], v[105:106]
	v_add_f64 v[117:118], v[117:118], -v[103:104]
	v_fma_f64 v[99:100], v[101:102], v[97:98], v[99:100]
	v_add_f64 v[119:120], v[119:120], -v[99:100]
	ds_read2_b64 v[99:102], v125 offset0:52 offset1:53
	;; [unrolled: 8-line block ×5, first 2 shown]
	buffer_load_dword v77, off, s[20:23], 0 offset:32 ; 4-byte Folded Reload
	buffer_load_dword v78, off, s[20:23], 0 offset:36 ; 4-byte Folded Reload
	;; [unrolled: 1-line block ×4, first 2 shown]
	s_waitcnt lgkmcnt(0)
	v_mul_f64 v[103:104], v[101:102], v[105:106]
	v_fma_f64 v[103:104], v[99:100], v[97:98], -v[103:104]
	v_mul_f64 v[99:100], v[99:100], v[105:106]
	v_fma_f64 v[99:100], v[101:102], v[97:98], v[99:100]
	s_waitcnt vmcnt(2)
	v_add_f64 v[77:78], v[77:78], -v[103:104]
	s_waitcnt vmcnt(0)
	v_add_f64 v[79:80], v[79:80], -v[99:100]
	buffer_store_dword v77, off, s[20:23], 0 offset:32 ; 4-byte Folded Spill
	s_nop 0
	buffer_store_dword v78, off, s[20:23], 0 offset:36 ; 4-byte Folded Spill
	buffer_store_dword v79, off, s[20:23], 0 offset:40 ; 4-byte Folded Spill
	;; [unrolled: 1-line block ×3, first 2 shown]
	ds_read2_b64 v[99:102], v125 offset0:60 offset1:61
	buffer_load_dword v73, off, s[20:23], 0 offset:16 ; 4-byte Folded Reload
	buffer_load_dword v74, off, s[20:23], 0 offset:20 ; 4-byte Folded Reload
	;; [unrolled: 1-line block ×4, first 2 shown]
	s_waitcnt lgkmcnt(0)
	v_mul_f64 v[103:104], v[101:102], v[105:106]
	v_fma_f64 v[103:104], v[99:100], v[97:98], -v[103:104]
	v_mul_f64 v[99:100], v[99:100], v[105:106]
	v_fma_f64 v[99:100], v[101:102], v[97:98], v[99:100]
	s_waitcnt vmcnt(2)
	v_add_f64 v[73:74], v[73:74], -v[103:104]
	s_waitcnt vmcnt(0)
	v_add_f64 v[75:76], v[75:76], -v[99:100]
	buffer_store_dword v73, off, s[20:23], 0 offset:16 ; 4-byte Folded Spill
	s_nop 0
	buffer_store_dword v74, off, s[20:23], 0 offset:20 ; 4-byte Folded Spill
	buffer_store_dword v75, off, s[20:23], 0 offset:24 ; 4-byte Folded Spill
	;; [unrolled: 1-line block ×3, first 2 shown]
	v_mov_b32_e32 v76, v72
	v_mov_b32_e32 v75, v71
	;; [unrolled: 1-line block ×4, first 2 shown]
	ds_read2_b64 v[99:102], v125 offset0:62 offset1:63
	buffer_load_dword v69, off, s[20:23], 0 ; 4-byte Folded Reload
	buffer_load_dword v70, off, s[20:23], 0 offset:4 ; 4-byte Folded Reload
	buffer_load_dword v71, off, s[20:23], 0 offset:8 ; 4-byte Folded Reload
	buffer_load_dword v72, off, s[20:23], 0 offset:12 ; 4-byte Folded Reload
	s_waitcnt lgkmcnt(0)
	v_mul_f64 v[103:104], v[101:102], v[105:106]
	v_fma_f64 v[103:104], v[99:100], v[97:98], -v[103:104]
	v_mul_f64 v[99:100], v[99:100], v[105:106]
	v_fma_f64 v[99:100], v[101:102], v[97:98], v[99:100]
	s_waitcnt vmcnt(2)
	v_add_f64 v[69:70], v[69:70], -v[103:104]
	s_waitcnt vmcnt(0)
	v_add_f64 v[71:72], v[71:72], -v[99:100]
	buffer_store_dword v69, off, s[20:23], 0 ; 4-byte Folded Spill
	s_nop 0
	buffer_store_dword v70, off, s[20:23], 0 offset:4 ; 4-byte Folded Spill
	buffer_store_dword v71, off, s[20:23], 0 offset:8 ; 4-byte Folded Spill
	;; [unrolled: 1-line block ×3, first 2 shown]
	ds_read2_b64 v[99:102], v125 offset0:64 offset1:65
	s_waitcnt lgkmcnt(0)
	v_mul_f64 v[103:104], v[101:102], v[105:106]
	v_fma_f64 v[103:104], v[99:100], v[97:98], -v[103:104]
	v_mul_f64 v[99:100], v[99:100], v[105:106]
	v_add_f64 v[65:66], v[65:66], -v[103:104]
	v_fma_f64 v[99:100], v[101:102], v[97:98], v[99:100]
	v_add_f64 v[67:68], v[67:68], -v[99:100]
	ds_read2_b64 v[99:102], v125 offset0:66 offset1:67
	s_waitcnt lgkmcnt(0)
	v_mul_f64 v[103:104], v[101:102], v[105:106]
	v_fma_f64 v[103:104], v[99:100], v[97:98], -v[103:104]
	v_mul_f64 v[99:100], v[99:100], v[105:106]
	v_add_f64 v[61:62], v[61:62], -v[103:104]
	v_fma_f64 v[99:100], v[101:102], v[97:98], v[99:100]
	v_add_f64 v[63:64], v[63:64], -v[99:100]
	;; [unrolled: 8-line block ×17, first 2 shown]
	ds_read2_b64 v[99:102], v125 offset0:98 offset1:99
	s_waitcnt lgkmcnt(0)
	v_mul_f64 v[103:104], v[101:102], v[105:106]
	v_fma_f64 v[103:104], v[99:100], v[97:98], -v[103:104]
	v_mul_f64 v[99:100], v[99:100], v[105:106]
	v_add_f64 v[73:74], v[73:74], -v[103:104]
	v_fma_f64 v[99:100], v[101:102], v[97:98], v[99:100]
	v_mov_b32_e32 v104, v98
	v_mov_b32_e32 v103, v97
	buffer_store_dword v103, off, s[20:23], 0 offset:272 ; 4-byte Folded Spill
	s_nop 0
	buffer_store_dword v104, off, s[20:23], 0 offset:276 ; 4-byte Folded Spill
	buffer_store_dword v105, off, s[20:23], 0 offset:280 ; 4-byte Folded Spill
	;; [unrolled: 1-line block ×3, first 2 shown]
	v_add_f64 v[75:76], v[75:76], -v[99:100]
.LBB99_91:
	s_or_b64 exec, exec, s[2:3]
	v_cmp_eq_u32_e32 vcc, 10, v0
	s_waitcnt vmcnt(0)
	s_barrier
	s_and_saveexec_b64 s[4:5], vcc
	s_cbranch_execz .LBB99_98
; %bb.92:
	buffer_load_dword v69, off, s[20:23], 0 offset:256 ; 4-byte Folded Reload
	buffer_load_dword v70, off, s[20:23], 0 offset:260 ; 4-byte Folded Reload
	;; [unrolled: 1-line block ×4, first 2 shown]
	s_waitcnt vmcnt(0)
	ds_write2_b64 v127, v[69:70], v[71:72] offset1:1
	buffer_load_dword v69, off, s[20:23], 0 offset:240 ; 4-byte Folded Reload
	buffer_load_dword v70, off, s[20:23], 0 offset:244 ; 4-byte Folded Reload
	buffer_load_dword v71, off, s[20:23], 0 offset:248 ; 4-byte Folded Reload
	buffer_load_dword v72, off, s[20:23], 0 offset:252 ; 4-byte Folded Reload
	s_waitcnt vmcnt(0)
	ds_write2_b64 v125, v[69:70], v[71:72] offset0:22 offset1:23
	buffer_load_dword v69, off, s[20:23], 0 offset:224 ; 4-byte Folded Reload
	buffer_load_dword v70, off, s[20:23], 0 offset:228 ; 4-byte Folded Reload
	buffer_load_dword v71, off, s[20:23], 0 offset:232 ; 4-byte Folded Reload
	buffer_load_dword v72, off, s[20:23], 0 offset:236 ; 4-byte Folded Reload
	s_waitcnt vmcnt(0)
	ds_write2_b64 v125, v[69:70], v[71:72] offset0:24 offset1:25
	;; [unrolled: 6-line block ×13, first 2 shown]
	ds_write2_b64 v125, v[121:122], v[123:124] offset0:48 offset1:49
	ds_write2_b64 v125, v[117:118], v[119:120] offset0:50 offset1:51
	;; [unrolled: 1-line block ×5, first 2 shown]
	buffer_load_dword v77, off, s[20:23], 0 offset:32 ; 4-byte Folded Reload
	buffer_load_dword v78, off, s[20:23], 0 offset:36 ; 4-byte Folded Reload
	;; [unrolled: 1-line block ×4, first 2 shown]
	v_mov_b32_e32 v69, v73
	v_mov_b32_e32 v70, v74
	;; [unrolled: 1-line block ×4, first 2 shown]
	s_waitcnt vmcnt(0)
	ds_write2_b64 v125, v[77:78], v[79:80] offset0:58 offset1:59
	buffer_load_dword v73, off, s[20:23], 0 offset:16 ; 4-byte Folded Reload
	buffer_load_dword v74, off, s[20:23], 0 offset:20 ; 4-byte Folded Reload
	;; [unrolled: 1-line block ×4, first 2 shown]
	s_waitcnt vmcnt(0)
	ds_write2_b64 v125, v[73:74], v[75:76] offset0:60 offset1:61
	v_mov_b32_e32 v76, v72
	v_mov_b32_e32 v75, v71
	;; [unrolled: 1-line block ×4, first 2 shown]
	buffer_load_dword v69, off, s[20:23], 0 ; 4-byte Folded Reload
	buffer_load_dword v70, off, s[20:23], 0 offset:4 ; 4-byte Folded Reload
	buffer_load_dword v71, off, s[20:23], 0 offset:8 ; 4-byte Folded Reload
	;; [unrolled: 1-line block ×3, first 2 shown]
	s_waitcnt vmcnt(0)
	ds_write2_b64 v125, v[69:70], v[71:72] offset0:62 offset1:63
	ds_write2_b64 v125, v[65:66], v[67:68] offset0:64 offset1:65
	;; [unrolled: 1-line block ×19, first 2 shown]
	ds_read2_b64 v[97:100], v127 offset1:1
	s_waitcnt lgkmcnt(0)
	v_cmp_neq_f64_e32 vcc, 0, v[97:98]
	v_cmp_neq_f64_e64 s[2:3], 0, v[99:100]
	s_or_b64 s[2:3], vcc, s[2:3]
	s_and_b64 exec, exec, s[2:3]
	s_cbranch_execz .LBB99_98
; %bb.93:
	v_cmp_ngt_f64_e64 s[2:3], |v[97:98]|, |v[99:100]|
                                        ; implicit-def: $vgpr101_vgpr102
	s_and_saveexec_b64 s[6:7], s[2:3]
	s_xor_b64 s[2:3], exec, s[6:7]
                                        ; implicit-def: $vgpr103_vgpr104
	s_cbranch_execz .LBB99_95
; %bb.94:
	v_div_scale_f64 v[101:102], s[6:7], v[99:100], v[99:100], v[97:98]
	v_rcp_f64_e32 v[103:104], v[101:102]
	v_fma_f64 v[105:106], -v[101:102], v[103:104], 1.0
	v_fma_f64 v[103:104], v[103:104], v[105:106], v[103:104]
	v_div_scale_f64 v[105:106], vcc, v[97:98], v[99:100], v[97:98]
	v_fma_f64 v[107:108], -v[101:102], v[103:104], 1.0
	v_fma_f64 v[103:104], v[103:104], v[107:108], v[103:104]
	v_mul_f64 v[107:108], v[105:106], v[103:104]
	v_fma_f64 v[101:102], -v[101:102], v[107:108], v[105:106]
	v_div_fmas_f64 v[101:102], v[101:102], v[103:104], v[107:108]
	v_div_fixup_f64 v[101:102], v[101:102], v[99:100], v[97:98]
	v_fma_f64 v[97:98], v[97:98], v[101:102], v[99:100]
	v_div_scale_f64 v[99:100], s[6:7], v[97:98], v[97:98], 1.0
	v_div_scale_f64 v[107:108], vcc, 1.0, v[97:98], 1.0
	v_rcp_f64_e32 v[103:104], v[99:100]
	v_fma_f64 v[105:106], -v[99:100], v[103:104], 1.0
	v_fma_f64 v[103:104], v[103:104], v[105:106], v[103:104]
	v_fma_f64 v[105:106], -v[99:100], v[103:104], 1.0
	v_fma_f64 v[103:104], v[103:104], v[105:106], v[103:104]
	v_mul_f64 v[105:106], v[107:108], v[103:104]
	v_fma_f64 v[99:100], -v[99:100], v[105:106], v[107:108]
	v_div_fmas_f64 v[99:100], v[99:100], v[103:104], v[105:106]
	v_div_fixup_f64 v[103:104], v[99:100], v[97:98], 1.0
                                        ; implicit-def: $vgpr97_vgpr98
	v_mul_f64 v[101:102], v[101:102], v[103:104]
	v_xor_b32_e32 v104, 0x80000000, v104
.LBB99_95:
	s_andn2_saveexec_b64 s[2:3], s[2:3]
	s_cbranch_execz .LBB99_97
; %bb.96:
	v_div_scale_f64 v[101:102], s[6:7], v[97:98], v[97:98], v[99:100]
	v_rcp_f64_e32 v[103:104], v[101:102]
	v_fma_f64 v[105:106], -v[101:102], v[103:104], 1.0
	v_fma_f64 v[103:104], v[103:104], v[105:106], v[103:104]
	v_div_scale_f64 v[105:106], vcc, v[99:100], v[97:98], v[99:100]
	v_fma_f64 v[107:108], -v[101:102], v[103:104], 1.0
	v_fma_f64 v[103:104], v[103:104], v[107:108], v[103:104]
	v_mul_f64 v[107:108], v[105:106], v[103:104]
	v_fma_f64 v[101:102], -v[101:102], v[107:108], v[105:106]
	v_div_fmas_f64 v[101:102], v[101:102], v[103:104], v[107:108]
	v_div_fixup_f64 v[103:104], v[101:102], v[97:98], v[99:100]
	v_fma_f64 v[97:98], v[99:100], v[103:104], v[97:98]
	v_div_scale_f64 v[99:100], s[6:7], v[97:98], v[97:98], 1.0
	v_div_scale_f64 v[107:108], vcc, 1.0, v[97:98], 1.0
	v_rcp_f64_e32 v[101:102], v[99:100]
	v_fma_f64 v[105:106], -v[99:100], v[101:102], 1.0
	v_fma_f64 v[101:102], v[101:102], v[105:106], v[101:102]
	v_fma_f64 v[105:106], -v[99:100], v[101:102], 1.0
	v_fma_f64 v[101:102], v[101:102], v[105:106], v[101:102]
	v_mul_f64 v[105:106], v[107:108], v[101:102]
	v_fma_f64 v[99:100], -v[99:100], v[105:106], v[107:108]
	v_div_fmas_f64 v[99:100], v[99:100], v[101:102], v[105:106]
	v_div_fixup_f64 v[101:102], v[99:100], v[97:98], 1.0
	v_mul_f64 v[103:104], v[103:104], -v[101:102]
.LBB99_97:
	s_or_b64 exec, exec, s[2:3]
	ds_write2_b64 v127, v[101:102], v[103:104] offset1:1
.LBB99_98:
	s_or_b64 exec, exec, s[4:5]
	s_waitcnt lgkmcnt(0)
	s_barrier
	ds_read2_b64 v[69:72], v127 offset1:1
	v_cmp_lt_u32_e32 vcc, 10, v0
	s_waitcnt lgkmcnt(0)
	buffer_store_dword v69, off, s[20:23], 0 offset:984 ; 4-byte Folded Spill
	s_nop 0
	buffer_store_dword v70, off, s[20:23], 0 offset:988 ; 4-byte Folded Spill
	buffer_store_dword v71, off, s[20:23], 0 offset:992 ; 4-byte Folded Spill
	;; [unrolled: 1-line block ×3, first 2 shown]
	s_and_saveexec_b64 s[2:3], vcc
	s_cbranch_execz .LBB99_100
; %bb.99:
	buffer_load_dword v103, off, s[20:23], 0 offset:256 ; 4-byte Folded Reload
	buffer_load_dword v104, off, s[20:23], 0 offset:260 ; 4-byte Folded Reload
	;; [unrolled: 1-line block ×8, first 2 shown]
	s_waitcnt vmcnt(2)
	v_mul_f64 v[99:100], v[69:70], v[105:106]
	s_waitcnt vmcnt(0)
	v_mul_f64 v[97:98], v[71:72], v[105:106]
	v_fma_f64 v[105:106], v[71:72], v[103:104], v[99:100]
	ds_read2_b64 v[99:102], v125 offset0:22 offset1:23
	v_fma_f64 v[97:98], v[69:70], v[103:104], -v[97:98]
	buffer_load_dword v69, off, s[20:23], 0 offset:240 ; 4-byte Folded Reload
	buffer_load_dword v70, off, s[20:23], 0 offset:244 ; 4-byte Folded Reload
	buffer_load_dword v71, off, s[20:23], 0 offset:248 ; 4-byte Folded Reload
	buffer_load_dword v72, off, s[20:23], 0 offset:252 ; 4-byte Folded Reload
	s_waitcnt lgkmcnt(0)
	v_mul_f64 v[103:104], v[101:102], v[105:106]
	v_fma_f64 v[103:104], v[99:100], v[97:98], -v[103:104]
	v_mul_f64 v[99:100], v[99:100], v[105:106]
	v_fma_f64 v[99:100], v[101:102], v[97:98], v[99:100]
	s_waitcnt vmcnt(2)
	v_add_f64 v[69:70], v[69:70], -v[103:104]
	s_waitcnt vmcnt(0)
	v_add_f64 v[71:72], v[71:72], -v[99:100]
	buffer_store_dword v69, off, s[20:23], 0 offset:240 ; 4-byte Folded Spill
	s_nop 0
	buffer_store_dword v70, off, s[20:23], 0 offset:244 ; 4-byte Folded Spill
	buffer_store_dword v71, off, s[20:23], 0 offset:248 ; 4-byte Folded Spill
	buffer_store_dword v72, off, s[20:23], 0 offset:252 ; 4-byte Folded Spill
	ds_read2_b64 v[99:102], v125 offset0:24 offset1:25
	buffer_load_dword v69, off, s[20:23], 0 offset:224 ; 4-byte Folded Reload
	buffer_load_dword v70, off, s[20:23], 0 offset:228 ; 4-byte Folded Reload
	buffer_load_dword v71, off, s[20:23], 0 offset:232 ; 4-byte Folded Reload
	buffer_load_dword v72, off, s[20:23], 0 offset:236 ; 4-byte Folded Reload
	s_waitcnt lgkmcnt(0)
	v_mul_f64 v[103:104], v[101:102], v[105:106]
	v_fma_f64 v[103:104], v[99:100], v[97:98], -v[103:104]
	v_mul_f64 v[99:100], v[99:100], v[105:106]
	v_fma_f64 v[99:100], v[101:102], v[97:98], v[99:100]
	s_waitcnt vmcnt(2)
	v_add_f64 v[69:70], v[69:70], -v[103:104]
	s_waitcnt vmcnt(0)
	v_add_f64 v[71:72], v[71:72], -v[99:100]
	buffer_store_dword v69, off, s[20:23], 0 offset:224 ; 4-byte Folded Spill
	s_nop 0
	buffer_store_dword v70, off, s[20:23], 0 offset:228 ; 4-byte Folded Spill
	buffer_store_dword v71, off, s[20:23], 0 offset:232 ; 4-byte Folded Spill
	buffer_store_dword v72, off, s[20:23], 0 offset:236 ; 4-byte Folded Spill
	ds_read2_b64 v[99:102], v125 offset0:26 offset1:27
	;; [unrolled: 19-line block ×13, first 2 shown]
	v_mov_b32_e32 v69, v73
	v_mov_b32_e32 v70, v74
	;; [unrolled: 1-line block ×4, first 2 shown]
	s_waitcnt lgkmcnt(0)
	v_mul_f64 v[103:104], v[101:102], v[105:106]
	v_fma_f64 v[103:104], v[99:100], v[97:98], -v[103:104]
	v_mul_f64 v[99:100], v[99:100], v[105:106]
	v_add_f64 v[121:122], v[121:122], -v[103:104]
	v_fma_f64 v[99:100], v[101:102], v[97:98], v[99:100]
	v_add_f64 v[123:124], v[123:124], -v[99:100]
	ds_read2_b64 v[99:102], v125 offset0:50 offset1:51
	s_waitcnt lgkmcnt(0)
	v_mul_f64 v[103:104], v[101:102], v[105:106]
	v_fma_f64 v[103:104], v[99:100], v[97:98], -v[103:104]
	v_mul_f64 v[99:100], v[99:100], v[105:106]
	v_add_f64 v[117:118], v[117:118], -v[103:104]
	v_fma_f64 v[99:100], v[101:102], v[97:98], v[99:100]
	v_add_f64 v[119:120], v[119:120], -v[99:100]
	ds_read2_b64 v[99:102], v125 offset0:52 offset1:53
	;; [unrolled: 8-line block ×5, first 2 shown]
	buffer_load_dword v77, off, s[20:23], 0 offset:32 ; 4-byte Folded Reload
	buffer_load_dword v78, off, s[20:23], 0 offset:36 ; 4-byte Folded Reload
	;; [unrolled: 1-line block ×4, first 2 shown]
	s_waitcnt lgkmcnt(0)
	v_mul_f64 v[103:104], v[101:102], v[105:106]
	v_fma_f64 v[103:104], v[99:100], v[97:98], -v[103:104]
	v_mul_f64 v[99:100], v[99:100], v[105:106]
	v_fma_f64 v[99:100], v[101:102], v[97:98], v[99:100]
	s_waitcnt vmcnt(2)
	v_add_f64 v[77:78], v[77:78], -v[103:104]
	s_waitcnt vmcnt(0)
	v_add_f64 v[79:80], v[79:80], -v[99:100]
	buffer_store_dword v77, off, s[20:23], 0 offset:32 ; 4-byte Folded Spill
	s_nop 0
	buffer_store_dword v78, off, s[20:23], 0 offset:36 ; 4-byte Folded Spill
	buffer_store_dword v79, off, s[20:23], 0 offset:40 ; 4-byte Folded Spill
	;; [unrolled: 1-line block ×3, first 2 shown]
	ds_read2_b64 v[99:102], v125 offset0:60 offset1:61
	buffer_load_dword v73, off, s[20:23], 0 offset:16 ; 4-byte Folded Reload
	buffer_load_dword v74, off, s[20:23], 0 offset:20 ; 4-byte Folded Reload
	;; [unrolled: 1-line block ×4, first 2 shown]
	s_waitcnt lgkmcnt(0)
	v_mul_f64 v[103:104], v[101:102], v[105:106]
	v_fma_f64 v[103:104], v[99:100], v[97:98], -v[103:104]
	v_mul_f64 v[99:100], v[99:100], v[105:106]
	v_fma_f64 v[99:100], v[101:102], v[97:98], v[99:100]
	s_waitcnt vmcnt(2)
	v_add_f64 v[73:74], v[73:74], -v[103:104]
	s_waitcnt vmcnt(0)
	v_add_f64 v[75:76], v[75:76], -v[99:100]
	buffer_store_dword v73, off, s[20:23], 0 offset:16 ; 4-byte Folded Spill
	s_nop 0
	buffer_store_dword v74, off, s[20:23], 0 offset:20 ; 4-byte Folded Spill
	buffer_store_dword v75, off, s[20:23], 0 offset:24 ; 4-byte Folded Spill
	;; [unrolled: 1-line block ×3, first 2 shown]
	v_mov_b32_e32 v76, v72
	v_mov_b32_e32 v75, v71
	;; [unrolled: 1-line block ×4, first 2 shown]
	ds_read2_b64 v[99:102], v125 offset0:62 offset1:63
	buffer_load_dword v69, off, s[20:23], 0 ; 4-byte Folded Reload
	buffer_load_dword v70, off, s[20:23], 0 offset:4 ; 4-byte Folded Reload
	buffer_load_dword v71, off, s[20:23], 0 offset:8 ; 4-byte Folded Reload
	;; [unrolled: 1-line block ×3, first 2 shown]
	s_waitcnt lgkmcnt(0)
	v_mul_f64 v[103:104], v[101:102], v[105:106]
	v_fma_f64 v[103:104], v[99:100], v[97:98], -v[103:104]
	v_mul_f64 v[99:100], v[99:100], v[105:106]
	v_fma_f64 v[99:100], v[101:102], v[97:98], v[99:100]
	s_waitcnt vmcnt(2)
	v_add_f64 v[69:70], v[69:70], -v[103:104]
	s_waitcnt vmcnt(0)
	v_add_f64 v[71:72], v[71:72], -v[99:100]
	buffer_store_dword v69, off, s[20:23], 0 ; 4-byte Folded Spill
	s_nop 0
	buffer_store_dword v70, off, s[20:23], 0 offset:4 ; 4-byte Folded Spill
	buffer_store_dword v71, off, s[20:23], 0 offset:8 ; 4-byte Folded Spill
	;; [unrolled: 1-line block ×3, first 2 shown]
	ds_read2_b64 v[99:102], v125 offset0:64 offset1:65
	s_waitcnt lgkmcnt(0)
	v_mul_f64 v[103:104], v[101:102], v[105:106]
	v_fma_f64 v[103:104], v[99:100], v[97:98], -v[103:104]
	v_mul_f64 v[99:100], v[99:100], v[105:106]
	v_add_f64 v[65:66], v[65:66], -v[103:104]
	v_fma_f64 v[99:100], v[101:102], v[97:98], v[99:100]
	v_add_f64 v[67:68], v[67:68], -v[99:100]
	ds_read2_b64 v[99:102], v125 offset0:66 offset1:67
	s_waitcnt lgkmcnt(0)
	v_mul_f64 v[103:104], v[101:102], v[105:106]
	v_fma_f64 v[103:104], v[99:100], v[97:98], -v[103:104]
	v_mul_f64 v[99:100], v[99:100], v[105:106]
	v_add_f64 v[61:62], v[61:62], -v[103:104]
	v_fma_f64 v[99:100], v[101:102], v[97:98], v[99:100]
	v_add_f64 v[63:64], v[63:64], -v[99:100]
	;; [unrolled: 8-line block ×17, first 2 shown]
	ds_read2_b64 v[99:102], v125 offset0:98 offset1:99
	s_waitcnt lgkmcnt(0)
	v_mul_f64 v[103:104], v[101:102], v[105:106]
	v_fma_f64 v[103:104], v[99:100], v[97:98], -v[103:104]
	v_mul_f64 v[99:100], v[99:100], v[105:106]
	v_add_f64 v[73:74], v[73:74], -v[103:104]
	v_fma_f64 v[99:100], v[101:102], v[97:98], v[99:100]
	v_mov_b32_e32 v104, v98
	v_mov_b32_e32 v103, v97
	buffer_store_dword v103, off, s[20:23], 0 offset:256 ; 4-byte Folded Spill
	s_nop 0
	buffer_store_dword v104, off, s[20:23], 0 offset:260 ; 4-byte Folded Spill
	buffer_store_dword v105, off, s[20:23], 0 offset:264 ; 4-byte Folded Spill
	;; [unrolled: 1-line block ×3, first 2 shown]
	v_add_f64 v[75:76], v[75:76], -v[99:100]
.LBB99_100:
	s_or_b64 exec, exec, s[2:3]
	v_cmp_eq_u32_e32 vcc, 11, v0
	s_waitcnt vmcnt(0)
	s_barrier
	s_and_saveexec_b64 s[4:5], vcc
	s_cbranch_execz .LBB99_107
; %bb.101:
	buffer_load_dword v69, off, s[20:23], 0 offset:240 ; 4-byte Folded Reload
	buffer_load_dword v70, off, s[20:23], 0 offset:244 ; 4-byte Folded Reload
	;; [unrolled: 1-line block ×4, first 2 shown]
	s_waitcnt vmcnt(0)
	ds_write2_b64 v127, v[69:70], v[71:72] offset1:1
	buffer_load_dword v69, off, s[20:23], 0 offset:224 ; 4-byte Folded Reload
	buffer_load_dword v70, off, s[20:23], 0 offset:228 ; 4-byte Folded Reload
	buffer_load_dword v71, off, s[20:23], 0 offset:232 ; 4-byte Folded Reload
	buffer_load_dword v72, off, s[20:23], 0 offset:236 ; 4-byte Folded Reload
	s_waitcnt vmcnt(0)
	ds_write2_b64 v125, v[69:70], v[71:72] offset0:24 offset1:25
	buffer_load_dword v69, off, s[20:23], 0 offset:208 ; 4-byte Folded Reload
	buffer_load_dword v70, off, s[20:23], 0 offset:212 ; 4-byte Folded Reload
	buffer_load_dword v71, off, s[20:23], 0 offset:216 ; 4-byte Folded Reload
	buffer_load_dword v72, off, s[20:23], 0 offset:220 ; 4-byte Folded Reload
	s_waitcnt vmcnt(0)
	ds_write2_b64 v125, v[69:70], v[71:72] offset0:26 offset1:27
	;; [unrolled: 6-line block ×12, first 2 shown]
	ds_write2_b64 v125, v[121:122], v[123:124] offset0:48 offset1:49
	ds_write2_b64 v125, v[117:118], v[119:120] offset0:50 offset1:51
	ds_write2_b64 v125, v[109:110], v[111:112] offset0:52 offset1:53
	ds_write2_b64 v125, v[113:114], v[115:116] offset0:54 offset1:55
	ds_write2_b64 v125, v[93:94], v[95:96] offset0:56 offset1:57
	buffer_load_dword v77, off, s[20:23], 0 offset:32 ; 4-byte Folded Reload
	buffer_load_dword v78, off, s[20:23], 0 offset:36 ; 4-byte Folded Reload
	;; [unrolled: 1-line block ×4, first 2 shown]
	v_mov_b32_e32 v69, v73
	v_mov_b32_e32 v70, v74
	;; [unrolled: 1-line block ×4, first 2 shown]
	s_waitcnt vmcnt(0)
	ds_write2_b64 v125, v[77:78], v[79:80] offset0:58 offset1:59
	buffer_load_dword v73, off, s[20:23], 0 offset:16 ; 4-byte Folded Reload
	buffer_load_dword v74, off, s[20:23], 0 offset:20 ; 4-byte Folded Reload
	;; [unrolled: 1-line block ×4, first 2 shown]
	s_waitcnt vmcnt(0)
	ds_write2_b64 v125, v[73:74], v[75:76] offset0:60 offset1:61
	v_mov_b32_e32 v76, v72
	v_mov_b32_e32 v75, v71
	;; [unrolled: 1-line block ×4, first 2 shown]
	buffer_load_dword v69, off, s[20:23], 0 ; 4-byte Folded Reload
	buffer_load_dword v70, off, s[20:23], 0 offset:4 ; 4-byte Folded Reload
	buffer_load_dword v71, off, s[20:23], 0 offset:8 ; 4-byte Folded Reload
	buffer_load_dword v72, off, s[20:23], 0 offset:12 ; 4-byte Folded Reload
	s_waitcnt vmcnt(0)
	ds_write2_b64 v125, v[69:70], v[71:72] offset0:62 offset1:63
	ds_write2_b64 v125, v[65:66], v[67:68] offset0:64 offset1:65
	;; [unrolled: 1-line block ×19, first 2 shown]
	ds_read2_b64 v[97:100], v127 offset1:1
	s_waitcnt lgkmcnt(0)
	v_cmp_neq_f64_e32 vcc, 0, v[97:98]
	v_cmp_neq_f64_e64 s[2:3], 0, v[99:100]
	s_or_b64 s[2:3], vcc, s[2:3]
	s_and_b64 exec, exec, s[2:3]
	s_cbranch_execz .LBB99_107
; %bb.102:
	v_cmp_ngt_f64_e64 s[2:3], |v[97:98]|, |v[99:100]|
                                        ; implicit-def: $vgpr101_vgpr102
	s_and_saveexec_b64 s[6:7], s[2:3]
	s_xor_b64 s[2:3], exec, s[6:7]
                                        ; implicit-def: $vgpr103_vgpr104
	s_cbranch_execz .LBB99_104
; %bb.103:
	v_div_scale_f64 v[101:102], s[6:7], v[99:100], v[99:100], v[97:98]
	v_rcp_f64_e32 v[103:104], v[101:102]
	v_fma_f64 v[105:106], -v[101:102], v[103:104], 1.0
	v_fma_f64 v[103:104], v[103:104], v[105:106], v[103:104]
	v_div_scale_f64 v[105:106], vcc, v[97:98], v[99:100], v[97:98]
	v_fma_f64 v[107:108], -v[101:102], v[103:104], 1.0
	v_fma_f64 v[103:104], v[103:104], v[107:108], v[103:104]
	v_mul_f64 v[107:108], v[105:106], v[103:104]
	v_fma_f64 v[101:102], -v[101:102], v[107:108], v[105:106]
	v_div_fmas_f64 v[101:102], v[101:102], v[103:104], v[107:108]
	v_div_fixup_f64 v[101:102], v[101:102], v[99:100], v[97:98]
	v_fma_f64 v[97:98], v[97:98], v[101:102], v[99:100]
	v_div_scale_f64 v[99:100], s[6:7], v[97:98], v[97:98], 1.0
	v_div_scale_f64 v[107:108], vcc, 1.0, v[97:98], 1.0
	v_rcp_f64_e32 v[103:104], v[99:100]
	v_fma_f64 v[105:106], -v[99:100], v[103:104], 1.0
	v_fma_f64 v[103:104], v[103:104], v[105:106], v[103:104]
	v_fma_f64 v[105:106], -v[99:100], v[103:104], 1.0
	v_fma_f64 v[103:104], v[103:104], v[105:106], v[103:104]
	v_mul_f64 v[105:106], v[107:108], v[103:104]
	v_fma_f64 v[99:100], -v[99:100], v[105:106], v[107:108]
	v_div_fmas_f64 v[99:100], v[99:100], v[103:104], v[105:106]
	v_div_fixup_f64 v[103:104], v[99:100], v[97:98], 1.0
                                        ; implicit-def: $vgpr97_vgpr98
	v_mul_f64 v[101:102], v[101:102], v[103:104]
	v_xor_b32_e32 v104, 0x80000000, v104
.LBB99_104:
	s_andn2_saveexec_b64 s[2:3], s[2:3]
	s_cbranch_execz .LBB99_106
; %bb.105:
	v_div_scale_f64 v[101:102], s[6:7], v[97:98], v[97:98], v[99:100]
	v_rcp_f64_e32 v[103:104], v[101:102]
	v_fma_f64 v[105:106], -v[101:102], v[103:104], 1.0
	v_fma_f64 v[103:104], v[103:104], v[105:106], v[103:104]
	v_div_scale_f64 v[105:106], vcc, v[99:100], v[97:98], v[99:100]
	v_fma_f64 v[107:108], -v[101:102], v[103:104], 1.0
	v_fma_f64 v[103:104], v[103:104], v[107:108], v[103:104]
	v_mul_f64 v[107:108], v[105:106], v[103:104]
	v_fma_f64 v[101:102], -v[101:102], v[107:108], v[105:106]
	v_div_fmas_f64 v[101:102], v[101:102], v[103:104], v[107:108]
	v_div_fixup_f64 v[103:104], v[101:102], v[97:98], v[99:100]
	v_fma_f64 v[97:98], v[99:100], v[103:104], v[97:98]
	v_div_scale_f64 v[99:100], s[6:7], v[97:98], v[97:98], 1.0
	v_div_scale_f64 v[107:108], vcc, 1.0, v[97:98], 1.0
	v_rcp_f64_e32 v[101:102], v[99:100]
	v_fma_f64 v[105:106], -v[99:100], v[101:102], 1.0
	v_fma_f64 v[101:102], v[101:102], v[105:106], v[101:102]
	v_fma_f64 v[105:106], -v[99:100], v[101:102], 1.0
	v_fma_f64 v[101:102], v[101:102], v[105:106], v[101:102]
	v_mul_f64 v[105:106], v[107:108], v[101:102]
	v_fma_f64 v[99:100], -v[99:100], v[105:106], v[107:108]
	v_div_fmas_f64 v[99:100], v[99:100], v[101:102], v[105:106]
	v_div_fixup_f64 v[101:102], v[99:100], v[97:98], 1.0
	v_mul_f64 v[103:104], v[103:104], -v[101:102]
.LBB99_106:
	s_or_b64 exec, exec, s[2:3]
	ds_write2_b64 v127, v[101:102], v[103:104] offset1:1
.LBB99_107:
	s_or_b64 exec, exec, s[4:5]
	s_waitcnt lgkmcnt(0)
	s_barrier
	ds_read2_b64 v[69:72], v127 offset1:1
	v_cmp_lt_u32_e32 vcc, 11, v0
	s_waitcnt lgkmcnt(0)
	buffer_store_dword v69, off, s[20:23], 0 offset:1000 ; 4-byte Folded Spill
	s_nop 0
	buffer_store_dword v70, off, s[20:23], 0 offset:1004 ; 4-byte Folded Spill
	buffer_store_dword v71, off, s[20:23], 0 offset:1008 ; 4-byte Folded Spill
	;; [unrolled: 1-line block ×3, first 2 shown]
	s_and_saveexec_b64 s[2:3], vcc
	s_cbranch_execz .LBB99_109
; %bb.108:
	buffer_load_dword v103, off, s[20:23], 0 offset:240 ; 4-byte Folded Reload
	buffer_load_dword v104, off, s[20:23], 0 offset:244 ; 4-byte Folded Reload
	;; [unrolled: 1-line block ×8, first 2 shown]
	s_waitcnt vmcnt(2)
	v_mul_f64 v[99:100], v[69:70], v[105:106]
	s_waitcnt vmcnt(0)
	v_mul_f64 v[97:98], v[71:72], v[105:106]
	v_fma_f64 v[105:106], v[71:72], v[103:104], v[99:100]
	ds_read2_b64 v[99:102], v125 offset0:24 offset1:25
	v_fma_f64 v[97:98], v[69:70], v[103:104], -v[97:98]
	buffer_load_dword v69, off, s[20:23], 0 offset:224 ; 4-byte Folded Reload
	buffer_load_dword v70, off, s[20:23], 0 offset:228 ; 4-byte Folded Reload
	buffer_load_dword v71, off, s[20:23], 0 offset:232 ; 4-byte Folded Reload
	buffer_load_dword v72, off, s[20:23], 0 offset:236 ; 4-byte Folded Reload
	s_waitcnt lgkmcnt(0)
	v_mul_f64 v[103:104], v[101:102], v[105:106]
	v_fma_f64 v[103:104], v[99:100], v[97:98], -v[103:104]
	v_mul_f64 v[99:100], v[99:100], v[105:106]
	v_fma_f64 v[99:100], v[101:102], v[97:98], v[99:100]
	s_waitcnt vmcnt(2)
	v_add_f64 v[69:70], v[69:70], -v[103:104]
	s_waitcnt vmcnt(0)
	v_add_f64 v[71:72], v[71:72], -v[99:100]
	buffer_store_dword v69, off, s[20:23], 0 offset:224 ; 4-byte Folded Spill
	s_nop 0
	buffer_store_dword v70, off, s[20:23], 0 offset:228 ; 4-byte Folded Spill
	buffer_store_dword v71, off, s[20:23], 0 offset:232 ; 4-byte Folded Spill
	buffer_store_dword v72, off, s[20:23], 0 offset:236 ; 4-byte Folded Spill
	ds_read2_b64 v[99:102], v125 offset0:26 offset1:27
	buffer_load_dword v69, off, s[20:23], 0 offset:208 ; 4-byte Folded Reload
	buffer_load_dword v70, off, s[20:23], 0 offset:212 ; 4-byte Folded Reload
	buffer_load_dword v71, off, s[20:23], 0 offset:216 ; 4-byte Folded Reload
	buffer_load_dword v72, off, s[20:23], 0 offset:220 ; 4-byte Folded Reload
	s_waitcnt lgkmcnt(0)
	v_mul_f64 v[103:104], v[101:102], v[105:106]
	v_fma_f64 v[103:104], v[99:100], v[97:98], -v[103:104]
	v_mul_f64 v[99:100], v[99:100], v[105:106]
	v_fma_f64 v[99:100], v[101:102], v[97:98], v[99:100]
	s_waitcnt vmcnt(2)
	v_add_f64 v[69:70], v[69:70], -v[103:104]
	s_waitcnt vmcnt(0)
	v_add_f64 v[71:72], v[71:72], -v[99:100]
	buffer_store_dword v69, off, s[20:23], 0 offset:208 ; 4-byte Folded Spill
	s_nop 0
	buffer_store_dword v70, off, s[20:23], 0 offset:212 ; 4-byte Folded Spill
	buffer_store_dword v71, off, s[20:23], 0 offset:216 ; 4-byte Folded Spill
	buffer_store_dword v72, off, s[20:23], 0 offset:220 ; 4-byte Folded Spill
	ds_read2_b64 v[99:102], v125 offset0:28 offset1:29
	;; [unrolled: 19-line block ×12, first 2 shown]
	v_mov_b32_e32 v69, v73
	v_mov_b32_e32 v70, v74
	;; [unrolled: 1-line block ×4, first 2 shown]
	s_waitcnt lgkmcnt(0)
	v_mul_f64 v[103:104], v[101:102], v[105:106]
	v_fma_f64 v[103:104], v[99:100], v[97:98], -v[103:104]
	v_mul_f64 v[99:100], v[99:100], v[105:106]
	v_add_f64 v[121:122], v[121:122], -v[103:104]
	v_fma_f64 v[99:100], v[101:102], v[97:98], v[99:100]
	v_add_f64 v[123:124], v[123:124], -v[99:100]
	ds_read2_b64 v[99:102], v125 offset0:50 offset1:51
	s_waitcnt lgkmcnt(0)
	v_mul_f64 v[103:104], v[101:102], v[105:106]
	v_fma_f64 v[103:104], v[99:100], v[97:98], -v[103:104]
	v_mul_f64 v[99:100], v[99:100], v[105:106]
	v_add_f64 v[117:118], v[117:118], -v[103:104]
	v_fma_f64 v[99:100], v[101:102], v[97:98], v[99:100]
	v_add_f64 v[119:120], v[119:120], -v[99:100]
	ds_read2_b64 v[99:102], v125 offset0:52 offset1:53
	;; [unrolled: 8-line block ×5, first 2 shown]
	buffer_load_dword v77, off, s[20:23], 0 offset:32 ; 4-byte Folded Reload
	buffer_load_dword v78, off, s[20:23], 0 offset:36 ; 4-byte Folded Reload
	;; [unrolled: 1-line block ×4, first 2 shown]
	s_waitcnt lgkmcnt(0)
	v_mul_f64 v[103:104], v[101:102], v[105:106]
	v_fma_f64 v[103:104], v[99:100], v[97:98], -v[103:104]
	v_mul_f64 v[99:100], v[99:100], v[105:106]
	v_fma_f64 v[99:100], v[101:102], v[97:98], v[99:100]
	s_waitcnt vmcnt(2)
	v_add_f64 v[77:78], v[77:78], -v[103:104]
	s_waitcnt vmcnt(0)
	v_add_f64 v[79:80], v[79:80], -v[99:100]
	buffer_store_dword v77, off, s[20:23], 0 offset:32 ; 4-byte Folded Spill
	s_nop 0
	buffer_store_dword v78, off, s[20:23], 0 offset:36 ; 4-byte Folded Spill
	buffer_store_dword v79, off, s[20:23], 0 offset:40 ; 4-byte Folded Spill
	;; [unrolled: 1-line block ×3, first 2 shown]
	ds_read2_b64 v[99:102], v125 offset0:60 offset1:61
	buffer_load_dword v73, off, s[20:23], 0 offset:16 ; 4-byte Folded Reload
	buffer_load_dword v74, off, s[20:23], 0 offset:20 ; 4-byte Folded Reload
	;; [unrolled: 1-line block ×4, first 2 shown]
	s_waitcnt lgkmcnt(0)
	v_mul_f64 v[103:104], v[101:102], v[105:106]
	v_fma_f64 v[103:104], v[99:100], v[97:98], -v[103:104]
	v_mul_f64 v[99:100], v[99:100], v[105:106]
	v_fma_f64 v[99:100], v[101:102], v[97:98], v[99:100]
	s_waitcnt vmcnt(2)
	v_add_f64 v[73:74], v[73:74], -v[103:104]
	s_waitcnt vmcnt(0)
	v_add_f64 v[75:76], v[75:76], -v[99:100]
	buffer_store_dword v73, off, s[20:23], 0 offset:16 ; 4-byte Folded Spill
	s_nop 0
	buffer_store_dword v74, off, s[20:23], 0 offset:20 ; 4-byte Folded Spill
	buffer_store_dword v75, off, s[20:23], 0 offset:24 ; 4-byte Folded Spill
	;; [unrolled: 1-line block ×3, first 2 shown]
	v_mov_b32_e32 v76, v72
	v_mov_b32_e32 v75, v71
	;; [unrolled: 1-line block ×4, first 2 shown]
	ds_read2_b64 v[99:102], v125 offset0:62 offset1:63
	buffer_load_dword v69, off, s[20:23], 0 ; 4-byte Folded Reload
	buffer_load_dword v70, off, s[20:23], 0 offset:4 ; 4-byte Folded Reload
	buffer_load_dword v71, off, s[20:23], 0 offset:8 ; 4-byte Folded Reload
	buffer_load_dword v72, off, s[20:23], 0 offset:12 ; 4-byte Folded Reload
	s_waitcnt lgkmcnt(0)
	v_mul_f64 v[103:104], v[101:102], v[105:106]
	v_fma_f64 v[103:104], v[99:100], v[97:98], -v[103:104]
	v_mul_f64 v[99:100], v[99:100], v[105:106]
	v_fma_f64 v[99:100], v[101:102], v[97:98], v[99:100]
	s_waitcnt vmcnt(2)
	v_add_f64 v[69:70], v[69:70], -v[103:104]
	s_waitcnt vmcnt(0)
	v_add_f64 v[71:72], v[71:72], -v[99:100]
	buffer_store_dword v69, off, s[20:23], 0 ; 4-byte Folded Spill
	s_nop 0
	buffer_store_dword v70, off, s[20:23], 0 offset:4 ; 4-byte Folded Spill
	buffer_store_dword v71, off, s[20:23], 0 offset:8 ; 4-byte Folded Spill
	;; [unrolled: 1-line block ×3, first 2 shown]
	ds_read2_b64 v[99:102], v125 offset0:64 offset1:65
	s_waitcnt lgkmcnt(0)
	v_mul_f64 v[103:104], v[101:102], v[105:106]
	v_fma_f64 v[103:104], v[99:100], v[97:98], -v[103:104]
	v_mul_f64 v[99:100], v[99:100], v[105:106]
	v_add_f64 v[65:66], v[65:66], -v[103:104]
	v_fma_f64 v[99:100], v[101:102], v[97:98], v[99:100]
	v_add_f64 v[67:68], v[67:68], -v[99:100]
	ds_read2_b64 v[99:102], v125 offset0:66 offset1:67
	s_waitcnt lgkmcnt(0)
	v_mul_f64 v[103:104], v[101:102], v[105:106]
	v_fma_f64 v[103:104], v[99:100], v[97:98], -v[103:104]
	v_mul_f64 v[99:100], v[99:100], v[105:106]
	v_add_f64 v[61:62], v[61:62], -v[103:104]
	v_fma_f64 v[99:100], v[101:102], v[97:98], v[99:100]
	v_add_f64 v[63:64], v[63:64], -v[99:100]
	;; [unrolled: 8-line block ×17, first 2 shown]
	ds_read2_b64 v[99:102], v125 offset0:98 offset1:99
	s_waitcnt lgkmcnt(0)
	v_mul_f64 v[103:104], v[101:102], v[105:106]
	v_fma_f64 v[103:104], v[99:100], v[97:98], -v[103:104]
	v_mul_f64 v[99:100], v[99:100], v[105:106]
	v_add_f64 v[73:74], v[73:74], -v[103:104]
	v_fma_f64 v[99:100], v[101:102], v[97:98], v[99:100]
	v_mov_b32_e32 v104, v98
	v_mov_b32_e32 v103, v97
	buffer_store_dword v103, off, s[20:23], 0 offset:240 ; 4-byte Folded Spill
	s_nop 0
	buffer_store_dword v104, off, s[20:23], 0 offset:244 ; 4-byte Folded Spill
	buffer_store_dword v105, off, s[20:23], 0 offset:248 ; 4-byte Folded Spill
	;; [unrolled: 1-line block ×3, first 2 shown]
	v_add_f64 v[75:76], v[75:76], -v[99:100]
.LBB99_109:
	s_or_b64 exec, exec, s[2:3]
	v_cmp_eq_u32_e32 vcc, 12, v0
	s_waitcnt vmcnt(0)
	s_barrier
	s_and_saveexec_b64 s[4:5], vcc
	s_cbranch_execz .LBB99_116
; %bb.110:
	buffer_load_dword v69, off, s[20:23], 0 offset:224 ; 4-byte Folded Reload
	buffer_load_dword v70, off, s[20:23], 0 offset:228 ; 4-byte Folded Reload
	;; [unrolled: 1-line block ×4, first 2 shown]
	s_waitcnt vmcnt(0)
	ds_write2_b64 v127, v[69:70], v[71:72] offset1:1
	buffer_load_dword v69, off, s[20:23], 0 offset:208 ; 4-byte Folded Reload
	buffer_load_dword v70, off, s[20:23], 0 offset:212 ; 4-byte Folded Reload
	buffer_load_dword v71, off, s[20:23], 0 offset:216 ; 4-byte Folded Reload
	buffer_load_dword v72, off, s[20:23], 0 offset:220 ; 4-byte Folded Reload
	s_waitcnt vmcnt(0)
	ds_write2_b64 v125, v[69:70], v[71:72] offset0:26 offset1:27
	buffer_load_dword v69, off, s[20:23], 0 offset:192 ; 4-byte Folded Reload
	buffer_load_dword v70, off, s[20:23], 0 offset:196 ; 4-byte Folded Reload
	buffer_load_dword v71, off, s[20:23], 0 offset:200 ; 4-byte Folded Reload
	buffer_load_dword v72, off, s[20:23], 0 offset:204 ; 4-byte Folded Reload
	s_waitcnt vmcnt(0)
	ds_write2_b64 v125, v[69:70], v[71:72] offset0:28 offset1:29
	;; [unrolled: 6-line block ×11, first 2 shown]
	ds_write2_b64 v125, v[121:122], v[123:124] offset0:48 offset1:49
	ds_write2_b64 v125, v[117:118], v[119:120] offset0:50 offset1:51
	;; [unrolled: 1-line block ×5, first 2 shown]
	buffer_load_dword v77, off, s[20:23], 0 offset:32 ; 4-byte Folded Reload
	buffer_load_dword v78, off, s[20:23], 0 offset:36 ; 4-byte Folded Reload
	;; [unrolled: 1-line block ×4, first 2 shown]
	v_mov_b32_e32 v69, v73
	v_mov_b32_e32 v70, v74
	;; [unrolled: 1-line block ×4, first 2 shown]
	s_waitcnt vmcnt(0)
	ds_write2_b64 v125, v[77:78], v[79:80] offset0:58 offset1:59
	buffer_load_dword v73, off, s[20:23], 0 offset:16 ; 4-byte Folded Reload
	buffer_load_dword v74, off, s[20:23], 0 offset:20 ; 4-byte Folded Reload
	;; [unrolled: 1-line block ×4, first 2 shown]
	s_waitcnt vmcnt(0)
	ds_write2_b64 v125, v[73:74], v[75:76] offset0:60 offset1:61
	v_mov_b32_e32 v76, v72
	v_mov_b32_e32 v75, v71
	;; [unrolled: 1-line block ×4, first 2 shown]
	buffer_load_dword v69, off, s[20:23], 0 ; 4-byte Folded Reload
	buffer_load_dword v70, off, s[20:23], 0 offset:4 ; 4-byte Folded Reload
	buffer_load_dword v71, off, s[20:23], 0 offset:8 ; 4-byte Folded Reload
	;; [unrolled: 1-line block ×3, first 2 shown]
	s_waitcnt vmcnt(0)
	ds_write2_b64 v125, v[69:70], v[71:72] offset0:62 offset1:63
	ds_write2_b64 v125, v[65:66], v[67:68] offset0:64 offset1:65
	ds_write2_b64 v125, v[61:62], v[63:64] offset0:66 offset1:67
	ds_write2_b64 v125, v[57:58], v[59:60] offset0:68 offset1:69
	ds_write2_b64 v125, v[53:54], v[55:56] offset0:70 offset1:71
	ds_write2_b64 v125, v[49:50], v[51:52] offset0:72 offset1:73
	ds_write2_b64 v125, v[45:46], v[47:48] offset0:74 offset1:75
	ds_write2_b64 v125, v[41:42], v[43:44] offset0:76 offset1:77
	ds_write2_b64 v125, v[37:38], v[39:40] offset0:78 offset1:79
	ds_write2_b64 v125, v[33:34], v[35:36] offset0:80 offset1:81
	ds_write2_b64 v125, v[29:30], v[31:32] offset0:82 offset1:83
	ds_write2_b64 v125, v[25:26], v[27:28] offset0:84 offset1:85
	ds_write2_b64 v125, v[21:22], v[23:24] offset0:86 offset1:87
	ds_write2_b64 v125, v[17:18], v[19:20] offset0:88 offset1:89
	ds_write2_b64 v125, v[13:14], v[15:16] offset0:90 offset1:91
	ds_write2_b64 v125, v[9:10], v[11:12] offset0:92 offset1:93
	ds_write2_b64 v125, v[5:6], v[7:8] offset0:94 offset1:95
	ds_write2_b64 v125, v[1:2], v[3:4] offset0:96 offset1:97
	ds_write2_b64 v125, v[73:74], v[75:76] offset0:98 offset1:99
	ds_read2_b64 v[97:100], v127 offset1:1
	s_waitcnt lgkmcnt(0)
	v_cmp_neq_f64_e32 vcc, 0, v[97:98]
	v_cmp_neq_f64_e64 s[2:3], 0, v[99:100]
	s_or_b64 s[2:3], vcc, s[2:3]
	s_and_b64 exec, exec, s[2:3]
	s_cbranch_execz .LBB99_116
; %bb.111:
	v_cmp_ngt_f64_e64 s[2:3], |v[97:98]|, |v[99:100]|
                                        ; implicit-def: $vgpr101_vgpr102
	s_and_saveexec_b64 s[6:7], s[2:3]
	s_xor_b64 s[2:3], exec, s[6:7]
                                        ; implicit-def: $vgpr103_vgpr104
	s_cbranch_execz .LBB99_113
; %bb.112:
	v_div_scale_f64 v[101:102], s[6:7], v[99:100], v[99:100], v[97:98]
	v_rcp_f64_e32 v[103:104], v[101:102]
	v_fma_f64 v[105:106], -v[101:102], v[103:104], 1.0
	v_fma_f64 v[103:104], v[103:104], v[105:106], v[103:104]
	v_div_scale_f64 v[105:106], vcc, v[97:98], v[99:100], v[97:98]
	v_fma_f64 v[107:108], -v[101:102], v[103:104], 1.0
	v_fma_f64 v[103:104], v[103:104], v[107:108], v[103:104]
	v_mul_f64 v[107:108], v[105:106], v[103:104]
	v_fma_f64 v[101:102], -v[101:102], v[107:108], v[105:106]
	v_div_fmas_f64 v[101:102], v[101:102], v[103:104], v[107:108]
	v_div_fixup_f64 v[101:102], v[101:102], v[99:100], v[97:98]
	v_fma_f64 v[97:98], v[97:98], v[101:102], v[99:100]
	v_div_scale_f64 v[99:100], s[6:7], v[97:98], v[97:98], 1.0
	v_div_scale_f64 v[107:108], vcc, 1.0, v[97:98], 1.0
	v_rcp_f64_e32 v[103:104], v[99:100]
	v_fma_f64 v[105:106], -v[99:100], v[103:104], 1.0
	v_fma_f64 v[103:104], v[103:104], v[105:106], v[103:104]
	v_fma_f64 v[105:106], -v[99:100], v[103:104], 1.0
	v_fma_f64 v[103:104], v[103:104], v[105:106], v[103:104]
	v_mul_f64 v[105:106], v[107:108], v[103:104]
	v_fma_f64 v[99:100], -v[99:100], v[105:106], v[107:108]
	v_div_fmas_f64 v[99:100], v[99:100], v[103:104], v[105:106]
	v_div_fixup_f64 v[103:104], v[99:100], v[97:98], 1.0
                                        ; implicit-def: $vgpr97_vgpr98
	v_mul_f64 v[101:102], v[101:102], v[103:104]
	v_xor_b32_e32 v104, 0x80000000, v104
.LBB99_113:
	s_andn2_saveexec_b64 s[2:3], s[2:3]
	s_cbranch_execz .LBB99_115
; %bb.114:
	v_div_scale_f64 v[101:102], s[6:7], v[97:98], v[97:98], v[99:100]
	v_rcp_f64_e32 v[103:104], v[101:102]
	v_fma_f64 v[105:106], -v[101:102], v[103:104], 1.0
	v_fma_f64 v[103:104], v[103:104], v[105:106], v[103:104]
	v_div_scale_f64 v[105:106], vcc, v[99:100], v[97:98], v[99:100]
	v_fma_f64 v[107:108], -v[101:102], v[103:104], 1.0
	v_fma_f64 v[103:104], v[103:104], v[107:108], v[103:104]
	v_mul_f64 v[107:108], v[105:106], v[103:104]
	v_fma_f64 v[101:102], -v[101:102], v[107:108], v[105:106]
	v_div_fmas_f64 v[101:102], v[101:102], v[103:104], v[107:108]
	v_div_fixup_f64 v[103:104], v[101:102], v[97:98], v[99:100]
	v_fma_f64 v[97:98], v[99:100], v[103:104], v[97:98]
	v_div_scale_f64 v[99:100], s[6:7], v[97:98], v[97:98], 1.0
	v_div_scale_f64 v[107:108], vcc, 1.0, v[97:98], 1.0
	v_rcp_f64_e32 v[101:102], v[99:100]
	v_fma_f64 v[105:106], -v[99:100], v[101:102], 1.0
	v_fma_f64 v[101:102], v[101:102], v[105:106], v[101:102]
	v_fma_f64 v[105:106], -v[99:100], v[101:102], 1.0
	v_fma_f64 v[101:102], v[101:102], v[105:106], v[101:102]
	v_mul_f64 v[105:106], v[107:108], v[101:102]
	v_fma_f64 v[99:100], -v[99:100], v[105:106], v[107:108]
	v_div_fmas_f64 v[99:100], v[99:100], v[101:102], v[105:106]
	v_div_fixup_f64 v[101:102], v[99:100], v[97:98], 1.0
	v_mul_f64 v[103:104], v[103:104], -v[101:102]
.LBB99_115:
	s_or_b64 exec, exec, s[2:3]
	ds_write2_b64 v127, v[101:102], v[103:104] offset1:1
.LBB99_116:
	s_or_b64 exec, exec, s[4:5]
	s_waitcnt lgkmcnt(0)
	s_barrier
	ds_read2_b64 v[69:72], v127 offset1:1
	v_cmp_lt_u32_e32 vcc, 12, v0
	s_waitcnt lgkmcnt(0)
	buffer_store_dword v69, off, s[20:23], 0 offset:1016 ; 4-byte Folded Spill
	s_nop 0
	buffer_store_dword v70, off, s[20:23], 0 offset:1020 ; 4-byte Folded Spill
	buffer_store_dword v71, off, s[20:23], 0 offset:1024 ; 4-byte Folded Spill
	;; [unrolled: 1-line block ×3, first 2 shown]
	s_and_saveexec_b64 s[2:3], vcc
	s_cbranch_execz .LBB99_118
; %bb.117:
	buffer_load_dword v103, off, s[20:23], 0 offset:224 ; 4-byte Folded Reload
	buffer_load_dword v104, off, s[20:23], 0 offset:228 ; 4-byte Folded Reload
	;; [unrolled: 1-line block ×8, first 2 shown]
	s_waitcnt vmcnt(2)
	v_mul_f64 v[99:100], v[69:70], v[105:106]
	s_waitcnt vmcnt(0)
	v_mul_f64 v[97:98], v[71:72], v[105:106]
	v_fma_f64 v[105:106], v[71:72], v[103:104], v[99:100]
	ds_read2_b64 v[99:102], v125 offset0:26 offset1:27
	v_fma_f64 v[97:98], v[69:70], v[103:104], -v[97:98]
	buffer_load_dword v69, off, s[20:23], 0 offset:208 ; 4-byte Folded Reload
	buffer_load_dword v70, off, s[20:23], 0 offset:212 ; 4-byte Folded Reload
	buffer_load_dword v71, off, s[20:23], 0 offset:216 ; 4-byte Folded Reload
	buffer_load_dword v72, off, s[20:23], 0 offset:220 ; 4-byte Folded Reload
	s_waitcnt lgkmcnt(0)
	v_mul_f64 v[103:104], v[101:102], v[105:106]
	v_fma_f64 v[103:104], v[99:100], v[97:98], -v[103:104]
	v_mul_f64 v[99:100], v[99:100], v[105:106]
	v_fma_f64 v[99:100], v[101:102], v[97:98], v[99:100]
	s_waitcnt vmcnt(2)
	v_add_f64 v[69:70], v[69:70], -v[103:104]
	s_waitcnt vmcnt(0)
	v_add_f64 v[71:72], v[71:72], -v[99:100]
	buffer_store_dword v69, off, s[20:23], 0 offset:208 ; 4-byte Folded Spill
	s_nop 0
	buffer_store_dword v70, off, s[20:23], 0 offset:212 ; 4-byte Folded Spill
	buffer_store_dword v71, off, s[20:23], 0 offset:216 ; 4-byte Folded Spill
	buffer_store_dword v72, off, s[20:23], 0 offset:220 ; 4-byte Folded Spill
	ds_read2_b64 v[99:102], v125 offset0:28 offset1:29
	buffer_load_dword v69, off, s[20:23], 0 offset:192 ; 4-byte Folded Reload
	buffer_load_dword v70, off, s[20:23], 0 offset:196 ; 4-byte Folded Reload
	buffer_load_dword v71, off, s[20:23], 0 offset:200 ; 4-byte Folded Reload
	buffer_load_dword v72, off, s[20:23], 0 offset:204 ; 4-byte Folded Reload
	s_waitcnt lgkmcnt(0)
	v_mul_f64 v[103:104], v[101:102], v[105:106]
	v_fma_f64 v[103:104], v[99:100], v[97:98], -v[103:104]
	v_mul_f64 v[99:100], v[99:100], v[105:106]
	v_fma_f64 v[99:100], v[101:102], v[97:98], v[99:100]
	s_waitcnt vmcnt(2)
	v_add_f64 v[69:70], v[69:70], -v[103:104]
	s_waitcnt vmcnt(0)
	v_add_f64 v[71:72], v[71:72], -v[99:100]
	buffer_store_dword v69, off, s[20:23], 0 offset:192 ; 4-byte Folded Spill
	s_nop 0
	buffer_store_dword v70, off, s[20:23], 0 offset:196 ; 4-byte Folded Spill
	buffer_store_dword v71, off, s[20:23], 0 offset:200 ; 4-byte Folded Spill
	buffer_store_dword v72, off, s[20:23], 0 offset:204 ; 4-byte Folded Spill
	ds_read2_b64 v[99:102], v125 offset0:30 offset1:31
	;; [unrolled: 19-line block ×11, first 2 shown]
	v_mov_b32_e32 v69, v73
	v_mov_b32_e32 v70, v74
	;; [unrolled: 1-line block ×4, first 2 shown]
	s_waitcnt lgkmcnt(0)
	v_mul_f64 v[103:104], v[101:102], v[105:106]
	v_fma_f64 v[103:104], v[99:100], v[97:98], -v[103:104]
	v_mul_f64 v[99:100], v[99:100], v[105:106]
	v_add_f64 v[121:122], v[121:122], -v[103:104]
	v_fma_f64 v[99:100], v[101:102], v[97:98], v[99:100]
	v_add_f64 v[123:124], v[123:124], -v[99:100]
	ds_read2_b64 v[99:102], v125 offset0:50 offset1:51
	s_waitcnt lgkmcnt(0)
	v_mul_f64 v[103:104], v[101:102], v[105:106]
	v_fma_f64 v[103:104], v[99:100], v[97:98], -v[103:104]
	v_mul_f64 v[99:100], v[99:100], v[105:106]
	v_add_f64 v[117:118], v[117:118], -v[103:104]
	v_fma_f64 v[99:100], v[101:102], v[97:98], v[99:100]
	v_add_f64 v[119:120], v[119:120], -v[99:100]
	ds_read2_b64 v[99:102], v125 offset0:52 offset1:53
	;; [unrolled: 8-line block ×5, first 2 shown]
	buffer_load_dword v77, off, s[20:23], 0 offset:32 ; 4-byte Folded Reload
	buffer_load_dword v78, off, s[20:23], 0 offset:36 ; 4-byte Folded Reload
	;; [unrolled: 1-line block ×4, first 2 shown]
	s_waitcnt lgkmcnt(0)
	v_mul_f64 v[103:104], v[101:102], v[105:106]
	v_fma_f64 v[103:104], v[99:100], v[97:98], -v[103:104]
	v_mul_f64 v[99:100], v[99:100], v[105:106]
	v_fma_f64 v[99:100], v[101:102], v[97:98], v[99:100]
	s_waitcnt vmcnt(2)
	v_add_f64 v[77:78], v[77:78], -v[103:104]
	s_waitcnt vmcnt(0)
	v_add_f64 v[79:80], v[79:80], -v[99:100]
	buffer_store_dword v77, off, s[20:23], 0 offset:32 ; 4-byte Folded Spill
	s_nop 0
	buffer_store_dword v78, off, s[20:23], 0 offset:36 ; 4-byte Folded Spill
	buffer_store_dword v79, off, s[20:23], 0 offset:40 ; 4-byte Folded Spill
	;; [unrolled: 1-line block ×3, first 2 shown]
	ds_read2_b64 v[99:102], v125 offset0:60 offset1:61
	buffer_load_dword v73, off, s[20:23], 0 offset:16 ; 4-byte Folded Reload
	buffer_load_dword v74, off, s[20:23], 0 offset:20 ; 4-byte Folded Reload
	;; [unrolled: 1-line block ×4, first 2 shown]
	s_waitcnt lgkmcnt(0)
	v_mul_f64 v[103:104], v[101:102], v[105:106]
	v_fma_f64 v[103:104], v[99:100], v[97:98], -v[103:104]
	v_mul_f64 v[99:100], v[99:100], v[105:106]
	v_fma_f64 v[99:100], v[101:102], v[97:98], v[99:100]
	s_waitcnt vmcnt(2)
	v_add_f64 v[73:74], v[73:74], -v[103:104]
	s_waitcnt vmcnt(0)
	v_add_f64 v[75:76], v[75:76], -v[99:100]
	buffer_store_dword v73, off, s[20:23], 0 offset:16 ; 4-byte Folded Spill
	s_nop 0
	buffer_store_dword v74, off, s[20:23], 0 offset:20 ; 4-byte Folded Spill
	buffer_store_dword v75, off, s[20:23], 0 offset:24 ; 4-byte Folded Spill
	;; [unrolled: 1-line block ×3, first 2 shown]
	v_mov_b32_e32 v76, v72
	v_mov_b32_e32 v75, v71
	;; [unrolled: 1-line block ×4, first 2 shown]
	ds_read2_b64 v[99:102], v125 offset0:62 offset1:63
	buffer_load_dword v69, off, s[20:23], 0 ; 4-byte Folded Reload
	buffer_load_dword v70, off, s[20:23], 0 offset:4 ; 4-byte Folded Reload
	buffer_load_dword v71, off, s[20:23], 0 offset:8 ; 4-byte Folded Reload
	;; [unrolled: 1-line block ×3, first 2 shown]
	s_waitcnt lgkmcnt(0)
	v_mul_f64 v[103:104], v[101:102], v[105:106]
	v_fma_f64 v[103:104], v[99:100], v[97:98], -v[103:104]
	v_mul_f64 v[99:100], v[99:100], v[105:106]
	v_fma_f64 v[99:100], v[101:102], v[97:98], v[99:100]
	s_waitcnt vmcnt(2)
	v_add_f64 v[69:70], v[69:70], -v[103:104]
	s_waitcnt vmcnt(0)
	v_add_f64 v[71:72], v[71:72], -v[99:100]
	buffer_store_dword v69, off, s[20:23], 0 ; 4-byte Folded Spill
	s_nop 0
	buffer_store_dword v70, off, s[20:23], 0 offset:4 ; 4-byte Folded Spill
	buffer_store_dword v71, off, s[20:23], 0 offset:8 ; 4-byte Folded Spill
	;; [unrolled: 1-line block ×3, first 2 shown]
	ds_read2_b64 v[99:102], v125 offset0:64 offset1:65
	s_waitcnt lgkmcnt(0)
	v_mul_f64 v[103:104], v[101:102], v[105:106]
	v_fma_f64 v[103:104], v[99:100], v[97:98], -v[103:104]
	v_mul_f64 v[99:100], v[99:100], v[105:106]
	v_add_f64 v[65:66], v[65:66], -v[103:104]
	v_fma_f64 v[99:100], v[101:102], v[97:98], v[99:100]
	v_add_f64 v[67:68], v[67:68], -v[99:100]
	ds_read2_b64 v[99:102], v125 offset0:66 offset1:67
	s_waitcnt lgkmcnt(0)
	v_mul_f64 v[103:104], v[101:102], v[105:106]
	v_fma_f64 v[103:104], v[99:100], v[97:98], -v[103:104]
	v_mul_f64 v[99:100], v[99:100], v[105:106]
	v_add_f64 v[61:62], v[61:62], -v[103:104]
	v_fma_f64 v[99:100], v[101:102], v[97:98], v[99:100]
	v_add_f64 v[63:64], v[63:64], -v[99:100]
	ds_read2_b64 v[99:102], v125 offset0:68 offset1:69
	s_waitcnt lgkmcnt(0)
	v_mul_f64 v[103:104], v[101:102], v[105:106]
	v_fma_f64 v[103:104], v[99:100], v[97:98], -v[103:104]
	v_mul_f64 v[99:100], v[99:100], v[105:106]
	v_add_f64 v[57:58], v[57:58], -v[103:104]
	v_fma_f64 v[99:100], v[101:102], v[97:98], v[99:100]
	v_add_f64 v[59:60], v[59:60], -v[99:100]
	ds_read2_b64 v[99:102], v125 offset0:70 offset1:71
	s_waitcnt lgkmcnt(0)
	v_mul_f64 v[103:104], v[101:102], v[105:106]
	v_fma_f64 v[103:104], v[99:100], v[97:98], -v[103:104]
	v_mul_f64 v[99:100], v[99:100], v[105:106]
	v_add_f64 v[53:54], v[53:54], -v[103:104]
	v_fma_f64 v[99:100], v[101:102], v[97:98], v[99:100]
	v_add_f64 v[55:56], v[55:56], -v[99:100]
	ds_read2_b64 v[99:102], v125 offset0:72 offset1:73
	s_waitcnt lgkmcnt(0)
	v_mul_f64 v[103:104], v[101:102], v[105:106]
	v_fma_f64 v[103:104], v[99:100], v[97:98], -v[103:104]
	v_mul_f64 v[99:100], v[99:100], v[105:106]
	v_add_f64 v[49:50], v[49:50], -v[103:104]
	v_fma_f64 v[99:100], v[101:102], v[97:98], v[99:100]
	v_add_f64 v[51:52], v[51:52], -v[99:100]
	ds_read2_b64 v[99:102], v125 offset0:74 offset1:75
	s_waitcnt lgkmcnt(0)
	v_mul_f64 v[103:104], v[101:102], v[105:106]
	v_fma_f64 v[103:104], v[99:100], v[97:98], -v[103:104]
	v_mul_f64 v[99:100], v[99:100], v[105:106]
	v_add_f64 v[45:46], v[45:46], -v[103:104]
	v_fma_f64 v[99:100], v[101:102], v[97:98], v[99:100]
	v_add_f64 v[47:48], v[47:48], -v[99:100]
	ds_read2_b64 v[99:102], v125 offset0:76 offset1:77
	s_waitcnt lgkmcnt(0)
	v_mul_f64 v[103:104], v[101:102], v[105:106]
	v_fma_f64 v[103:104], v[99:100], v[97:98], -v[103:104]
	v_mul_f64 v[99:100], v[99:100], v[105:106]
	v_add_f64 v[41:42], v[41:42], -v[103:104]
	v_fma_f64 v[99:100], v[101:102], v[97:98], v[99:100]
	v_add_f64 v[43:44], v[43:44], -v[99:100]
	ds_read2_b64 v[99:102], v125 offset0:78 offset1:79
	s_waitcnt lgkmcnt(0)
	v_mul_f64 v[103:104], v[101:102], v[105:106]
	v_fma_f64 v[103:104], v[99:100], v[97:98], -v[103:104]
	v_mul_f64 v[99:100], v[99:100], v[105:106]
	v_add_f64 v[37:38], v[37:38], -v[103:104]
	v_fma_f64 v[99:100], v[101:102], v[97:98], v[99:100]
	v_add_f64 v[39:40], v[39:40], -v[99:100]
	ds_read2_b64 v[99:102], v125 offset0:80 offset1:81
	s_waitcnt lgkmcnt(0)
	v_mul_f64 v[103:104], v[101:102], v[105:106]
	v_fma_f64 v[103:104], v[99:100], v[97:98], -v[103:104]
	v_mul_f64 v[99:100], v[99:100], v[105:106]
	v_add_f64 v[33:34], v[33:34], -v[103:104]
	v_fma_f64 v[99:100], v[101:102], v[97:98], v[99:100]
	v_add_f64 v[35:36], v[35:36], -v[99:100]
	ds_read2_b64 v[99:102], v125 offset0:82 offset1:83
	s_waitcnt lgkmcnt(0)
	v_mul_f64 v[103:104], v[101:102], v[105:106]
	v_fma_f64 v[103:104], v[99:100], v[97:98], -v[103:104]
	v_mul_f64 v[99:100], v[99:100], v[105:106]
	v_add_f64 v[29:30], v[29:30], -v[103:104]
	v_fma_f64 v[99:100], v[101:102], v[97:98], v[99:100]
	v_add_f64 v[31:32], v[31:32], -v[99:100]
	ds_read2_b64 v[99:102], v125 offset0:84 offset1:85
	s_waitcnt lgkmcnt(0)
	v_mul_f64 v[103:104], v[101:102], v[105:106]
	v_fma_f64 v[103:104], v[99:100], v[97:98], -v[103:104]
	v_mul_f64 v[99:100], v[99:100], v[105:106]
	v_add_f64 v[25:26], v[25:26], -v[103:104]
	v_fma_f64 v[99:100], v[101:102], v[97:98], v[99:100]
	v_add_f64 v[27:28], v[27:28], -v[99:100]
	ds_read2_b64 v[99:102], v125 offset0:86 offset1:87
	s_waitcnt lgkmcnt(0)
	v_mul_f64 v[103:104], v[101:102], v[105:106]
	v_fma_f64 v[103:104], v[99:100], v[97:98], -v[103:104]
	v_mul_f64 v[99:100], v[99:100], v[105:106]
	v_add_f64 v[21:22], v[21:22], -v[103:104]
	v_fma_f64 v[99:100], v[101:102], v[97:98], v[99:100]
	v_add_f64 v[23:24], v[23:24], -v[99:100]
	ds_read2_b64 v[99:102], v125 offset0:88 offset1:89
	s_waitcnt lgkmcnt(0)
	v_mul_f64 v[103:104], v[101:102], v[105:106]
	v_fma_f64 v[103:104], v[99:100], v[97:98], -v[103:104]
	v_mul_f64 v[99:100], v[99:100], v[105:106]
	v_add_f64 v[17:18], v[17:18], -v[103:104]
	v_fma_f64 v[99:100], v[101:102], v[97:98], v[99:100]
	v_add_f64 v[19:20], v[19:20], -v[99:100]
	ds_read2_b64 v[99:102], v125 offset0:90 offset1:91
	s_waitcnt lgkmcnt(0)
	v_mul_f64 v[103:104], v[101:102], v[105:106]
	v_fma_f64 v[103:104], v[99:100], v[97:98], -v[103:104]
	v_mul_f64 v[99:100], v[99:100], v[105:106]
	v_add_f64 v[13:14], v[13:14], -v[103:104]
	v_fma_f64 v[99:100], v[101:102], v[97:98], v[99:100]
	v_add_f64 v[15:16], v[15:16], -v[99:100]
	ds_read2_b64 v[99:102], v125 offset0:92 offset1:93
	s_waitcnt lgkmcnt(0)
	v_mul_f64 v[103:104], v[101:102], v[105:106]
	v_fma_f64 v[103:104], v[99:100], v[97:98], -v[103:104]
	v_mul_f64 v[99:100], v[99:100], v[105:106]
	v_add_f64 v[9:10], v[9:10], -v[103:104]
	v_fma_f64 v[99:100], v[101:102], v[97:98], v[99:100]
	v_add_f64 v[11:12], v[11:12], -v[99:100]
	ds_read2_b64 v[99:102], v125 offset0:94 offset1:95
	s_waitcnt lgkmcnt(0)
	v_mul_f64 v[103:104], v[101:102], v[105:106]
	v_fma_f64 v[103:104], v[99:100], v[97:98], -v[103:104]
	v_mul_f64 v[99:100], v[99:100], v[105:106]
	v_add_f64 v[5:6], v[5:6], -v[103:104]
	v_fma_f64 v[99:100], v[101:102], v[97:98], v[99:100]
	v_add_f64 v[7:8], v[7:8], -v[99:100]
	ds_read2_b64 v[99:102], v125 offset0:96 offset1:97
	s_waitcnt lgkmcnt(0)
	v_mul_f64 v[103:104], v[101:102], v[105:106]
	v_fma_f64 v[103:104], v[99:100], v[97:98], -v[103:104]
	v_mul_f64 v[99:100], v[99:100], v[105:106]
	v_add_f64 v[1:2], v[1:2], -v[103:104]
	v_fma_f64 v[99:100], v[101:102], v[97:98], v[99:100]
	v_add_f64 v[3:4], v[3:4], -v[99:100]
	ds_read2_b64 v[99:102], v125 offset0:98 offset1:99
	s_waitcnt lgkmcnt(0)
	v_mul_f64 v[103:104], v[101:102], v[105:106]
	v_fma_f64 v[103:104], v[99:100], v[97:98], -v[103:104]
	v_mul_f64 v[99:100], v[99:100], v[105:106]
	v_add_f64 v[73:74], v[73:74], -v[103:104]
	v_fma_f64 v[99:100], v[101:102], v[97:98], v[99:100]
	v_mov_b32_e32 v104, v98
	v_mov_b32_e32 v103, v97
	buffer_store_dword v103, off, s[20:23], 0 offset:224 ; 4-byte Folded Spill
	s_nop 0
	buffer_store_dword v104, off, s[20:23], 0 offset:228 ; 4-byte Folded Spill
	buffer_store_dword v105, off, s[20:23], 0 offset:232 ; 4-byte Folded Spill
	;; [unrolled: 1-line block ×3, first 2 shown]
	v_add_f64 v[75:76], v[75:76], -v[99:100]
.LBB99_118:
	s_or_b64 exec, exec, s[2:3]
	v_cmp_eq_u32_e32 vcc, 13, v0
	s_waitcnt vmcnt(0)
	s_barrier
	s_and_saveexec_b64 s[4:5], vcc
	s_cbranch_execz .LBB99_125
; %bb.119:
	buffer_load_dword v69, off, s[20:23], 0 offset:208 ; 4-byte Folded Reload
	buffer_load_dword v70, off, s[20:23], 0 offset:212 ; 4-byte Folded Reload
	;; [unrolled: 1-line block ×4, first 2 shown]
	s_waitcnt vmcnt(0)
	ds_write2_b64 v127, v[69:70], v[71:72] offset1:1
	buffer_load_dword v69, off, s[20:23], 0 offset:192 ; 4-byte Folded Reload
	buffer_load_dword v70, off, s[20:23], 0 offset:196 ; 4-byte Folded Reload
	buffer_load_dword v71, off, s[20:23], 0 offset:200 ; 4-byte Folded Reload
	buffer_load_dword v72, off, s[20:23], 0 offset:204 ; 4-byte Folded Reload
	s_waitcnt vmcnt(0)
	ds_write2_b64 v125, v[69:70], v[71:72] offset0:28 offset1:29
	buffer_load_dword v69, off, s[20:23], 0 offset:176 ; 4-byte Folded Reload
	buffer_load_dword v70, off, s[20:23], 0 offset:180 ; 4-byte Folded Reload
	buffer_load_dword v71, off, s[20:23], 0 offset:184 ; 4-byte Folded Reload
	buffer_load_dword v72, off, s[20:23], 0 offset:188 ; 4-byte Folded Reload
	s_waitcnt vmcnt(0)
	ds_write2_b64 v125, v[69:70], v[71:72] offset0:30 offset1:31
	;; [unrolled: 6-line block ×10, first 2 shown]
	ds_write2_b64 v125, v[121:122], v[123:124] offset0:48 offset1:49
	ds_write2_b64 v125, v[117:118], v[119:120] offset0:50 offset1:51
	;; [unrolled: 1-line block ×5, first 2 shown]
	buffer_load_dword v77, off, s[20:23], 0 offset:32 ; 4-byte Folded Reload
	buffer_load_dword v78, off, s[20:23], 0 offset:36 ; 4-byte Folded Reload
	;; [unrolled: 1-line block ×4, first 2 shown]
	v_mov_b32_e32 v69, v73
	v_mov_b32_e32 v70, v74
	;; [unrolled: 1-line block ×4, first 2 shown]
	s_waitcnt vmcnt(0)
	ds_write2_b64 v125, v[77:78], v[79:80] offset0:58 offset1:59
	buffer_load_dword v73, off, s[20:23], 0 offset:16 ; 4-byte Folded Reload
	buffer_load_dword v74, off, s[20:23], 0 offset:20 ; 4-byte Folded Reload
	;; [unrolled: 1-line block ×4, first 2 shown]
	s_waitcnt vmcnt(0)
	ds_write2_b64 v125, v[73:74], v[75:76] offset0:60 offset1:61
	v_mov_b32_e32 v76, v72
	v_mov_b32_e32 v75, v71
	;; [unrolled: 1-line block ×4, first 2 shown]
	buffer_load_dword v69, off, s[20:23], 0 ; 4-byte Folded Reload
	buffer_load_dword v70, off, s[20:23], 0 offset:4 ; 4-byte Folded Reload
	buffer_load_dword v71, off, s[20:23], 0 offset:8 ; 4-byte Folded Reload
	;; [unrolled: 1-line block ×3, first 2 shown]
	s_waitcnt vmcnt(0)
	ds_write2_b64 v125, v[69:70], v[71:72] offset0:62 offset1:63
	ds_write2_b64 v125, v[65:66], v[67:68] offset0:64 offset1:65
	;; [unrolled: 1-line block ×19, first 2 shown]
	ds_read2_b64 v[97:100], v127 offset1:1
	s_waitcnt lgkmcnt(0)
	v_cmp_neq_f64_e32 vcc, 0, v[97:98]
	v_cmp_neq_f64_e64 s[2:3], 0, v[99:100]
	s_or_b64 s[2:3], vcc, s[2:3]
	s_and_b64 exec, exec, s[2:3]
	s_cbranch_execz .LBB99_125
; %bb.120:
	v_cmp_ngt_f64_e64 s[2:3], |v[97:98]|, |v[99:100]|
                                        ; implicit-def: $vgpr101_vgpr102
	s_and_saveexec_b64 s[6:7], s[2:3]
	s_xor_b64 s[2:3], exec, s[6:7]
                                        ; implicit-def: $vgpr103_vgpr104
	s_cbranch_execz .LBB99_122
; %bb.121:
	v_div_scale_f64 v[101:102], s[6:7], v[99:100], v[99:100], v[97:98]
	v_rcp_f64_e32 v[103:104], v[101:102]
	v_fma_f64 v[105:106], -v[101:102], v[103:104], 1.0
	v_fma_f64 v[103:104], v[103:104], v[105:106], v[103:104]
	v_div_scale_f64 v[105:106], vcc, v[97:98], v[99:100], v[97:98]
	v_fma_f64 v[107:108], -v[101:102], v[103:104], 1.0
	v_fma_f64 v[103:104], v[103:104], v[107:108], v[103:104]
	v_mul_f64 v[107:108], v[105:106], v[103:104]
	v_fma_f64 v[101:102], -v[101:102], v[107:108], v[105:106]
	v_div_fmas_f64 v[101:102], v[101:102], v[103:104], v[107:108]
	v_div_fixup_f64 v[101:102], v[101:102], v[99:100], v[97:98]
	v_fma_f64 v[97:98], v[97:98], v[101:102], v[99:100]
	v_div_scale_f64 v[99:100], s[6:7], v[97:98], v[97:98], 1.0
	v_div_scale_f64 v[107:108], vcc, 1.0, v[97:98], 1.0
	v_rcp_f64_e32 v[103:104], v[99:100]
	v_fma_f64 v[105:106], -v[99:100], v[103:104], 1.0
	v_fma_f64 v[103:104], v[103:104], v[105:106], v[103:104]
	v_fma_f64 v[105:106], -v[99:100], v[103:104], 1.0
	v_fma_f64 v[103:104], v[103:104], v[105:106], v[103:104]
	v_mul_f64 v[105:106], v[107:108], v[103:104]
	v_fma_f64 v[99:100], -v[99:100], v[105:106], v[107:108]
	v_div_fmas_f64 v[99:100], v[99:100], v[103:104], v[105:106]
	v_div_fixup_f64 v[103:104], v[99:100], v[97:98], 1.0
                                        ; implicit-def: $vgpr97_vgpr98
	v_mul_f64 v[101:102], v[101:102], v[103:104]
	v_xor_b32_e32 v104, 0x80000000, v104
.LBB99_122:
	s_andn2_saveexec_b64 s[2:3], s[2:3]
	s_cbranch_execz .LBB99_124
; %bb.123:
	v_div_scale_f64 v[101:102], s[6:7], v[97:98], v[97:98], v[99:100]
	v_rcp_f64_e32 v[103:104], v[101:102]
	v_fma_f64 v[105:106], -v[101:102], v[103:104], 1.0
	v_fma_f64 v[103:104], v[103:104], v[105:106], v[103:104]
	v_div_scale_f64 v[105:106], vcc, v[99:100], v[97:98], v[99:100]
	v_fma_f64 v[107:108], -v[101:102], v[103:104], 1.0
	v_fma_f64 v[103:104], v[103:104], v[107:108], v[103:104]
	v_mul_f64 v[107:108], v[105:106], v[103:104]
	v_fma_f64 v[101:102], -v[101:102], v[107:108], v[105:106]
	v_div_fmas_f64 v[101:102], v[101:102], v[103:104], v[107:108]
	v_div_fixup_f64 v[103:104], v[101:102], v[97:98], v[99:100]
	v_fma_f64 v[97:98], v[99:100], v[103:104], v[97:98]
	v_div_scale_f64 v[99:100], s[6:7], v[97:98], v[97:98], 1.0
	v_div_scale_f64 v[107:108], vcc, 1.0, v[97:98], 1.0
	v_rcp_f64_e32 v[101:102], v[99:100]
	v_fma_f64 v[105:106], -v[99:100], v[101:102], 1.0
	v_fma_f64 v[101:102], v[101:102], v[105:106], v[101:102]
	v_fma_f64 v[105:106], -v[99:100], v[101:102], 1.0
	v_fma_f64 v[101:102], v[101:102], v[105:106], v[101:102]
	v_mul_f64 v[105:106], v[107:108], v[101:102]
	v_fma_f64 v[99:100], -v[99:100], v[105:106], v[107:108]
	v_div_fmas_f64 v[99:100], v[99:100], v[101:102], v[105:106]
	v_div_fixup_f64 v[101:102], v[99:100], v[97:98], 1.0
	v_mul_f64 v[103:104], v[103:104], -v[101:102]
.LBB99_124:
	s_or_b64 exec, exec, s[2:3]
	ds_write2_b64 v127, v[101:102], v[103:104] offset1:1
.LBB99_125:
	s_or_b64 exec, exec, s[4:5]
	s_waitcnt lgkmcnt(0)
	s_barrier
	ds_read2_b64 v[69:72], v127 offset1:1
	v_cmp_lt_u32_e32 vcc, 13, v0
	s_waitcnt lgkmcnt(0)
	buffer_store_dword v69, off, s[20:23], 0 offset:1032 ; 4-byte Folded Spill
	s_nop 0
	buffer_store_dword v70, off, s[20:23], 0 offset:1036 ; 4-byte Folded Spill
	buffer_store_dword v71, off, s[20:23], 0 offset:1040 ; 4-byte Folded Spill
	;; [unrolled: 1-line block ×3, first 2 shown]
	s_and_saveexec_b64 s[2:3], vcc
	s_cbranch_execz .LBB99_127
; %bb.126:
	buffer_load_dword v103, off, s[20:23], 0 offset:208 ; 4-byte Folded Reload
	buffer_load_dword v104, off, s[20:23], 0 offset:212 ; 4-byte Folded Reload
	;; [unrolled: 1-line block ×8, first 2 shown]
	s_waitcnt vmcnt(2)
	v_mul_f64 v[99:100], v[69:70], v[105:106]
	s_waitcnt vmcnt(0)
	v_mul_f64 v[97:98], v[71:72], v[105:106]
	v_fma_f64 v[105:106], v[71:72], v[103:104], v[99:100]
	ds_read2_b64 v[99:102], v125 offset0:28 offset1:29
	v_fma_f64 v[97:98], v[69:70], v[103:104], -v[97:98]
	buffer_load_dword v69, off, s[20:23], 0 offset:192 ; 4-byte Folded Reload
	buffer_load_dword v70, off, s[20:23], 0 offset:196 ; 4-byte Folded Reload
	buffer_load_dword v71, off, s[20:23], 0 offset:200 ; 4-byte Folded Reload
	buffer_load_dword v72, off, s[20:23], 0 offset:204 ; 4-byte Folded Reload
	s_waitcnt lgkmcnt(0)
	v_mul_f64 v[103:104], v[101:102], v[105:106]
	v_fma_f64 v[103:104], v[99:100], v[97:98], -v[103:104]
	v_mul_f64 v[99:100], v[99:100], v[105:106]
	v_fma_f64 v[99:100], v[101:102], v[97:98], v[99:100]
	s_waitcnt vmcnt(2)
	v_add_f64 v[69:70], v[69:70], -v[103:104]
	s_waitcnt vmcnt(0)
	v_add_f64 v[71:72], v[71:72], -v[99:100]
	buffer_store_dword v69, off, s[20:23], 0 offset:192 ; 4-byte Folded Spill
	s_nop 0
	buffer_store_dword v70, off, s[20:23], 0 offset:196 ; 4-byte Folded Spill
	buffer_store_dword v71, off, s[20:23], 0 offset:200 ; 4-byte Folded Spill
	buffer_store_dword v72, off, s[20:23], 0 offset:204 ; 4-byte Folded Spill
	ds_read2_b64 v[99:102], v125 offset0:30 offset1:31
	buffer_load_dword v69, off, s[20:23], 0 offset:176 ; 4-byte Folded Reload
	buffer_load_dword v70, off, s[20:23], 0 offset:180 ; 4-byte Folded Reload
	buffer_load_dword v71, off, s[20:23], 0 offset:184 ; 4-byte Folded Reload
	buffer_load_dword v72, off, s[20:23], 0 offset:188 ; 4-byte Folded Reload
	s_waitcnt lgkmcnt(0)
	v_mul_f64 v[103:104], v[101:102], v[105:106]
	v_fma_f64 v[103:104], v[99:100], v[97:98], -v[103:104]
	v_mul_f64 v[99:100], v[99:100], v[105:106]
	v_fma_f64 v[99:100], v[101:102], v[97:98], v[99:100]
	s_waitcnt vmcnt(2)
	v_add_f64 v[69:70], v[69:70], -v[103:104]
	s_waitcnt vmcnt(0)
	v_add_f64 v[71:72], v[71:72], -v[99:100]
	buffer_store_dword v69, off, s[20:23], 0 offset:176 ; 4-byte Folded Spill
	s_nop 0
	buffer_store_dword v70, off, s[20:23], 0 offset:180 ; 4-byte Folded Spill
	buffer_store_dword v71, off, s[20:23], 0 offset:184 ; 4-byte Folded Spill
	buffer_store_dword v72, off, s[20:23], 0 offset:188 ; 4-byte Folded Spill
	ds_read2_b64 v[99:102], v125 offset0:32 offset1:33
	;; [unrolled: 19-line block ×10, first 2 shown]
	v_mov_b32_e32 v69, v73
	v_mov_b32_e32 v70, v74
	;; [unrolled: 1-line block ×4, first 2 shown]
	s_waitcnt lgkmcnt(0)
	v_mul_f64 v[103:104], v[101:102], v[105:106]
	v_fma_f64 v[103:104], v[99:100], v[97:98], -v[103:104]
	v_mul_f64 v[99:100], v[99:100], v[105:106]
	v_add_f64 v[121:122], v[121:122], -v[103:104]
	v_fma_f64 v[99:100], v[101:102], v[97:98], v[99:100]
	v_add_f64 v[123:124], v[123:124], -v[99:100]
	ds_read2_b64 v[99:102], v125 offset0:50 offset1:51
	s_waitcnt lgkmcnt(0)
	v_mul_f64 v[103:104], v[101:102], v[105:106]
	v_fma_f64 v[103:104], v[99:100], v[97:98], -v[103:104]
	v_mul_f64 v[99:100], v[99:100], v[105:106]
	v_add_f64 v[117:118], v[117:118], -v[103:104]
	v_fma_f64 v[99:100], v[101:102], v[97:98], v[99:100]
	v_add_f64 v[119:120], v[119:120], -v[99:100]
	ds_read2_b64 v[99:102], v125 offset0:52 offset1:53
	s_waitcnt lgkmcnt(0)
	v_mul_f64 v[103:104], v[101:102], v[105:106]
	v_fma_f64 v[103:104], v[99:100], v[97:98], -v[103:104]
	v_mul_f64 v[99:100], v[99:100], v[105:106]
	v_add_f64 v[109:110], v[109:110], -v[103:104]
	v_fma_f64 v[99:100], v[101:102], v[97:98], v[99:100]
	v_add_f64 v[111:112], v[111:112], -v[99:100]
	ds_read2_b64 v[99:102], v125 offset0:54 offset1:55
	s_waitcnt lgkmcnt(0)
	v_mul_f64 v[103:104], v[101:102], v[105:106]
	v_fma_f64 v[103:104], v[99:100], v[97:98], -v[103:104]
	v_mul_f64 v[99:100], v[99:100], v[105:106]
	v_add_f64 v[113:114], v[113:114], -v[103:104]
	v_fma_f64 v[99:100], v[101:102], v[97:98], v[99:100]
	v_add_f64 v[115:116], v[115:116], -v[99:100]
	ds_read2_b64 v[99:102], v125 offset0:56 offset1:57
	s_waitcnt lgkmcnt(0)
	v_mul_f64 v[103:104], v[101:102], v[105:106]
	v_fma_f64 v[103:104], v[99:100], v[97:98], -v[103:104]
	v_mul_f64 v[99:100], v[99:100], v[105:106]
	v_add_f64 v[93:94], v[93:94], -v[103:104]
	v_fma_f64 v[99:100], v[101:102], v[97:98], v[99:100]
	v_add_f64 v[95:96], v[95:96], -v[99:100]
	ds_read2_b64 v[99:102], v125 offset0:58 offset1:59
	buffer_load_dword v77, off, s[20:23], 0 offset:32 ; 4-byte Folded Reload
	buffer_load_dword v78, off, s[20:23], 0 offset:36 ; 4-byte Folded Reload
	;; [unrolled: 1-line block ×4, first 2 shown]
	s_waitcnt lgkmcnt(0)
	v_mul_f64 v[103:104], v[101:102], v[105:106]
	v_fma_f64 v[103:104], v[99:100], v[97:98], -v[103:104]
	v_mul_f64 v[99:100], v[99:100], v[105:106]
	v_fma_f64 v[99:100], v[101:102], v[97:98], v[99:100]
	s_waitcnt vmcnt(2)
	v_add_f64 v[77:78], v[77:78], -v[103:104]
	s_waitcnt vmcnt(0)
	v_add_f64 v[79:80], v[79:80], -v[99:100]
	buffer_store_dword v77, off, s[20:23], 0 offset:32 ; 4-byte Folded Spill
	s_nop 0
	buffer_store_dword v78, off, s[20:23], 0 offset:36 ; 4-byte Folded Spill
	buffer_store_dword v79, off, s[20:23], 0 offset:40 ; 4-byte Folded Spill
	;; [unrolled: 1-line block ×3, first 2 shown]
	ds_read2_b64 v[99:102], v125 offset0:60 offset1:61
	buffer_load_dword v73, off, s[20:23], 0 offset:16 ; 4-byte Folded Reload
	buffer_load_dword v74, off, s[20:23], 0 offset:20 ; 4-byte Folded Reload
	;; [unrolled: 1-line block ×4, first 2 shown]
	s_waitcnt lgkmcnt(0)
	v_mul_f64 v[103:104], v[101:102], v[105:106]
	v_fma_f64 v[103:104], v[99:100], v[97:98], -v[103:104]
	v_mul_f64 v[99:100], v[99:100], v[105:106]
	v_fma_f64 v[99:100], v[101:102], v[97:98], v[99:100]
	s_waitcnt vmcnt(2)
	v_add_f64 v[73:74], v[73:74], -v[103:104]
	s_waitcnt vmcnt(0)
	v_add_f64 v[75:76], v[75:76], -v[99:100]
	buffer_store_dword v73, off, s[20:23], 0 offset:16 ; 4-byte Folded Spill
	s_nop 0
	buffer_store_dword v74, off, s[20:23], 0 offset:20 ; 4-byte Folded Spill
	buffer_store_dword v75, off, s[20:23], 0 offset:24 ; 4-byte Folded Spill
	;; [unrolled: 1-line block ×3, first 2 shown]
	v_mov_b32_e32 v76, v72
	v_mov_b32_e32 v75, v71
	;; [unrolled: 1-line block ×4, first 2 shown]
	ds_read2_b64 v[99:102], v125 offset0:62 offset1:63
	buffer_load_dword v69, off, s[20:23], 0 ; 4-byte Folded Reload
	buffer_load_dword v70, off, s[20:23], 0 offset:4 ; 4-byte Folded Reload
	buffer_load_dword v71, off, s[20:23], 0 offset:8 ; 4-byte Folded Reload
	buffer_load_dword v72, off, s[20:23], 0 offset:12 ; 4-byte Folded Reload
	s_waitcnt lgkmcnt(0)
	v_mul_f64 v[103:104], v[101:102], v[105:106]
	v_fma_f64 v[103:104], v[99:100], v[97:98], -v[103:104]
	v_mul_f64 v[99:100], v[99:100], v[105:106]
	v_fma_f64 v[99:100], v[101:102], v[97:98], v[99:100]
	s_waitcnt vmcnt(2)
	v_add_f64 v[69:70], v[69:70], -v[103:104]
	s_waitcnt vmcnt(0)
	v_add_f64 v[71:72], v[71:72], -v[99:100]
	buffer_store_dword v69, off, s[20:23], 0 ; 4-byte Folded Spill
	s_nop 0
	buffer_store_dword v70, off, s[20:23], 0 offset:4 ; 4-byte Folded Spill
	buffer_store_dword v71, off, s[20:23], 0 offset:8 ; 4-byte Folded Spill
	;; [unrolled: 1-line block ×3, first 2 shown]
	ds_read2_b64 v[99:102], v125 offset0:64 offset1:65
	s_waitcnt lgkmcnt(0)
	v_mul_f64 v[103:104], v[101:102], v[105:106]
	v_fma_f64 v[103:104], v[99:100], v[97:98], -v[103:104]
	v_mul_f64 v[99:100], v[99:100], v[105:106]
	v_add_f64 v[65:66], v[65:66], -v[103:104]
	v_fma_f64 v[99:100], v[101:102], v[97:98], v[99:100]
	v_add_f64 v[67:68], v[67:68], -v[99:100]
	ds_read2_b64 v[99:102], v125 offset0:66 offset1:67
	s_waitcnt lgkmcnt(0)
	v_mul_f64 v[103:104], v[101:102], v[105:106]
	v_fma_f64 v[103:104], v[99:100], v[97:98], -v[103:104]
	v_mul_f64 v[99:100], v[99:100], v[105:106]
	v_add_f64 v[61:62], v[61:62], -v[103:104]
	v_fma_f64 v[99:100], v[101:102], v[97:98], v[99:100]
	v_add_f64 v[63:64], v[63:64], -v[99:100]
	;; [unrolled: 8-line block ×17, first 2 shown]
	ds_read2_b64 v[99:102], v125 offset0:98 offset1:99
	s_waitcnt lgkmcnt(0)
	v_mul_f64 v[103:104], v[101:102], v[105:106]
	v_fma_f64 v[103:104], v[99:100], v[97:98], -v[103:104]
	v_mul_f64 v[99:100], v[99:100], v[105:106]
	v_add_f64 v[73:74], v[73:74], -v[103:104]
	v_fma_f64 v[99:100], v[101:102], v[97:98], v[99:100]
	v_mov_b32_e32 v104, v98
	v_mov_b32_e32 v103, v97
	buffer_store_dword v103, off, s[20:23], 0 offset:208 ; 4-byte Folded Spill
	s_nop 0
	buffer_store_dword v104, off, s[20:23], 0 offset:212 ; 4-byte Folded Spill
	buffer_store_dword v105, off, s[20:23], 0 offset:216 ; 4-byte Folded Spill
	buffer_store_dword v106, off, s[20:23], 0 offset:220 ; 4-byte Folded Spill
	v_add_f64 v[75:76], v[75:76], -v[99:100]
.LBB99_127:
	s_or_b64 exec, exec, s[2:3]
	v_cmp_eq_u32_e32 vcc, 14, v0
	s_waitcnt vmcnt(0)
	s_barrier
	s_and_saveexec_b64 s[4:5], vcc
	s_cbranch_execz .LBB99_134
; %bb.128:
	buffer_load_dword v69, off, s[20:23], 0 offset:192 ; 4-byte Folded Reload
	buffer_load_dword v70, off, s[20:23], 0 offset:196 ; 4-byte Folded Reload
	buffer_load_dword v71, off, s[20:23], 0 offset:200 ; 4-byte Folded Reload
	buffer_load_dword v72, off, s[20:23], 0 offset:204 ; 4-byte Folded Reload
	s_waitcnt vmcnt(0)
	ds_write2_b64 v127, v[69:70], v[71:72] offset1:1
	buffer_load_dword v69, off, s[20:23], 0 offset:176 ; 4-byte Folded Reload
	buffer_load_dword v70, off, s[20:23], 0 offset:180 ; 4-byte Folded Reload
	buffer_load_dword v71, off, s[20:23], 0 offset:184 ; 4-byte Folded Reload
	buffer_load_dword v72, off, s[20:23], 0 offset:188 ; 4-byte Folded Reload
	s_waitcnt vmcnt(0)
	ds_write2_b64 v125, v[69:70], v[71:72] offset0:30 offset1:31
	buffer_load_dword v69, off, s[20:23], 0 offset:160 ; 4-byte Folded Reload
	buffer_load_dword v70, off, s[20:23], 0 offset:164 ; 4-byte Folded Reload
	buffer_load_dword v71, off, s[20:23], 0 offset:168 ; 4-byte Folded Reload
	buffer_load_dword v72, off, s[20:23], 0 offset:172 ; 4-byte Folded Reload
	s_waitcnt vmcnt(0)
	ds_write2_b64 v125, v[69:70], v[71:72] offset0:32 offset1:33
	;; [unrolled: 6-line block ×9, first 2 shown]
	ds_write2_b64 v125, v[121:122], v[123:124] offset0:48 offset1:49
	ds_write2_b64 v125, v[117:118], v[119:120] offset0:50 offset1:51
	;; [unrolled: 1-line block ×5, first 2 shown]
	buffer_load_dword v77, off, s[20:23], 0 offset:32 ; 4-byte Folded Reload
	buffer_load_dword v78, off, s[20:23], 0 offset:36 ; 4-byte Folded Reload
	;; [unrolled: 1-line block ×4, first 2 shown]
	v_mov_b32_e32 v69, v73
	v_mov_b32_e32 v70, v74
	;; [unrolled: 1-line block ×4, first 2 shown]
	s_waitcnt vmcnt(0)
	ds_write2_b64 v125, v[77:78], v[79:80] offset0:58 offset1:59
	buffer_load_dword v73, off, s[20:23], 0 offset:16 ; 4-byte Folded Reload
	buffer_load_dword v74, off, s[20:23], 0 offset:20 ; 4-byte Folded Reload
	;; [unrolled: 1-line block ×4, first 2 shown]
	s_waitcnt vmcnt(0)
	ds_write2_b64 v125, v[73:74], v[75:76] offset0:60 offset1:61
	v_mov_b32_e32 v76, v72
	v_mov_b32_e32 v75, v71
	;; [unrolled: 1-line block ×4, first 2 shown]
	buffer_load_dword v69, off, s[20:23], 0 ; 4-byte Folded Reload
	buffer_load_dword v70, off, s[20:23], 0 offset:4 ; 4-byte Folded Reload
	buffer_load_dword v71, off, s[20:23], 0 offset:8 ; 4-byte Folded Reload
	;; [unrolled: 1-line block ×3, first 2 shown]
	s_waitcnt vmcnt(0)
	ds_write2_b64 v125, v[69:70], v[71:72] offset0:62 offset1:63
	ds_write2_b64 v125, v[65:66], v[67:68] offset0:64 offset1:65
	ds_write2_b64 v125, v[61:62], v[63:64] offset0:66 offset1:67
	ds_write2_b64 v125, v[57:58], v[59:60] offset0:68 offset1:69
	ds_write2_b64 v125, v[53:54], v[55:56] offset0:70 offset1:71
	ds_write2_b64 v125, v[49:50], v[51:52] offset0:72 offset1:73
	ds_write2_b64 v125, v[45:46], v[47:48] offset0:74 offset1:75
	ds_write2_b64 v125, v[41:42], v[43:44] offset0:76 offset1:77
	ds_write2_b64 v125, v[37:38], v[39:40] offset0:78 offset1:79
	ds_write2_b64 v125, v[33:34], v[35:36] offset0:80 offset1:81
	ds_write2_b64 v125, v[29:30], v[31:32] offset0:82 offset1:83
	ds_write2_b64 v125, v[25:26], v[27:28] offset0:84 offset1:85
	ds_write2_b64 v125, v[21:22], v[23:24] offset0:86 offset1:87
	ds_write2_b64 v125, v[17:18], v[19:20] offset0:88 offset1:89
	ds_write2_b64 v125, v[13:14], v[15:16] offset0:90 offset1:91
	ds_write2_b64 v125, v[9:10], v[11:12] offset0:92 offset1:93
	ds_write2_b64 v125, v[5:6], v[7:8] offset0:94 offset1:95
	ds_write2_b64 v125, v[1:2], v[3:4] offset0:96 offset1:97
	ds_write2_b64 v125, v[73:74], v[75:76] offset0:98 offset1:99
	ds_read2_b64 v[97:100], v127 offset1:1
	s_waitcnt lgkmcnt(0)
	v_cmp_neq_f64_e32 vcc, 0, v[97:98]
	v_cmp_neq_f64_e64 s[2:3], 0, v[99:100]
	s_or_b64 s[2:3], vcc, s[2:3]
	s_and_b64 exec, exec, s[2:3]
	s_cbranch_execz .LBB99_134
; %bb.129:
	v_cmp_ngt_f64_e64 s[2:3], |v[97:98]|, |v[99:100]|
                                        ; implicit-def: $vgpr101_vgpr102
	s_and_saveexec_b64 s[6:7], s[2:3]
	s_xor_b64 s[2:3], exec, s[6:7]
                                        ; implicit-def: $vgpr103_vgpr104
	s_cbranch_execz .LBB99_131
; %bb.130:
	v_div_scale_f64 v[101:102], s[6:7], v[99:100], v[99:100], v[97:98]
	v_rcp_f64_e32 v[103:104], v[101:102]
	v_fma_f64 v[105:106], -v[101:102], v[103:104], 1.0
	v_fma_f64 v[103:104], v[103:104], v[105:106], v[103:104]
	v_div_scale_f64 v[105:106], vcc, v[97:98], v[99:100], v[97:98]
	v_fma_f64 v[107:108], -v[101:102], v[103:104], 1.0
	v_fma_f64 v[103:104], v[103:104], v[107:108], v[103:104]
	v_mul_f64 v[107:108], v[105:106], v[103:104]
	v_fma_f64 v[101:102], -v[101:102], v[107:108], v[105:106]
	v_div_fmas_f64 v[101:102], v[101:102], v[103:104], v[107:108]
	v_div_fixup_f64 v[101:102], v[101:102], v[99:100], v[97:98]
	v_fma_f64 v[97:98], v[97:98], v[101:102], v[99:100]
	v_div_scale_f64 v[99:100], s[6:7], v[97:98], v[97:98], 1.0
	v_div_scale_f64 v[107:108], vcc, 1.0, v[97:98], 1.0
	v_rcp_f64_e32 v[103:104], v[99:100]
	v_fma_f64 v[105:106], -v[99:100], v[103:104], 1.0
	v_fma_f64 v[103:104], v[103:104], v[105:106], v[103:104]
	v_fma_f64 v[105:106], -v[99:100], v[103:104], 1.0
	v_fma_f64 v[103:104], v[103:104], v[105:106], v[103:104]
	v_mul_f64 v[105:106], v[107:108], v[103:104]
	v_fma_f64 v[99:100], -v[99:100], v[105:106], v[107:108]
	v_div_fmas_f64 v[99:100], v[99:100], v[103:104], v[105:106]
	v_div_fixup_f64 v[103:104], v[99:100], v[97:98], 1.0
                                        ; implicit-def: $vgpr97_vgpr98
	v_mul_f64 v[101:102], v[101:102], v[103:104]
	v_xor_b32_e32 v104, 0x80000000, v104
.LBB99_131:
	s_andn2_saveexec_b64 s[2:3], s[2:3]
	s_cbranch_execz .LBB99_133
; %bb.132:
	v_div_scale_f64 v[101:102], s[6:7], v[97:98], v[97:98], v[99:100]
	v_rcp_f64_e32 v[103:104], v[101:102]
	v_fma_f64 v[105:106], -v[101:102], v[103:104], 1.0
	v_fma_f64 v[103:104], v[103:104], v[105:106], v[103:104]
	v_div_scale_f64 v[105:106], vcc, v[99:100], v[97:98], v[99:100]
	v_fma_f64 v[107:108], -v[101:102], v[103:104], 1.0
	v_fma_f64 v[103:104], v[103:104], v[107:108], v[103:104]
	v_mul_f64 v[107:108], v[105:106], v[103:104]
	v_fma_f64 v[101:102], -v[101:102], v[107:108], v[105:106]
	v_div_fmas_f64 v[101:102], v[101:102], v[103:104], v[107:108]
	v_div_fixup_f64 v[103:104], v[101:102], v[97:98], v[99:100]
	v_fma_f64 v[97:98], v[99:100], v[103:104], v[97:98]
	v_div_scale_f64 v[99:100], s[6:7], v[97:98], v[97:98], 1.0
	v_div_scale_f64 v[107:108], vcc, 1.0, v[97:98], 1.0
	v_rcp_f64_e32 v[101:102], v[99:100]
	v_fma_f64 v[105:106], -v[99:100], v[101:102], 1.0
	v_fma_f64 v[101:102], v[101:102], v[105:106], v[101:102]
	v_fma_f64 v[105:106], -v[99:100], v[101:102], 1.0
	v_fma_f64 v[101:102], v[101:102], v[105:106], v[101:102]
	v_mul_f64 v[105:106], v[107:108], v[101:102]
	v_fma_f64 v[99:100], -v[99:100], v[105:106], v[107:108]
	v_div_fmas_f64 v[99:100], v[99:100], v[101:102], v[105:106]
	v_div_fixup_f64 v[101:102], v[99:100], v[97:98], 1.0
	v_mul_f64 v[103:104], v[103:104], -v[101:102]
.LBB99_133:
	s_or_b64 exec, exec, s[2:3]
	ds_write2_b64 v127, v[101:102], v[103:104] offset1:1
.LBB99_134:
	s_or_b64 exec, exec, s[4:5]
	s_waitcnt lgkmcnt(0)
	s_barrier
	ds_read2_b64 v[69:72], v127 offset1:1
	v_cmp_lt_u32_e32 vcc, 14, v0
	s_waitcnt lgkmcnt(0)
	buffer_store_dword v69, off, s[20:23], 0 offset:1048 ; 4-byte Folded Spill
	s_nop 0
	buffer_store_dword v70, off, s[20:23], 0 offset:1052 ; 4-byte Folded Spill
	buffer_store_dword v71, off, s[20:23], 0 offset:1056 ; 4-byte Folded Spill
	buffer_store_dword v72, off, s[20:23], 0 offset:1060 ; 4-byte Folded Spill
	s_and_saveexec_b64 s[2:3], vcc
	s_cbranch_execz .LBB99_136
; %bb.135:
	buffer_load_dword v103, off, s[20:23], 0 offset:192 ; 4-byte Folded Reload
	buffer_load_dword v104, off, s[20:23], 0 offset:196 ; 4-byte Folded Reload
	buffer_load_dword v105, off, s[20:23], 0 offset:200 ; 4-byte Folded Reload
	buffer_load_dword v106, off, s[20:23], 0 offset:204 ; 4-byte Folded Reload
	buffer_load_dword v69, off, s[20:23], 0 offset:1048 ; 4-byte Folded Reload
	buffer_load_dword v70, off, s[20:23], 0 offset:1052 ; 4-byte Folded Reload
	buffer_load_dword v71, off, s[20:23], 0 offset:1056 ; 4-byte Folded Reload
	buffer_load_dword v72, off, s[20:23], 0 offset:1060 ; 4-byte Folded Reload
	s_waitcnt vmcnt(2)
	v_mul_f64 v[99:100], v[69:70], v[105:106]
	s_waitcnt vmcnt(0)
	v_mul_f64 v[97:98], v[71:72], v[105:106]
	v_fma_f64 v[105:106], v[71:72], v[103:104], v[99:100]
	ds_read2_b64 v[99:102], v125 offset0:30 offset1:31
	v_fma_f64 v[97:98], v[69:70], v[103:104], -v[97:98]
	buffer_load_dword v69, off, s[20:23], 0 offset:176 ; 4-byte Folded Reload
	buffer_load_dword v70, off, s[20:23], 0 offset:180 ; 4-byte Folded Reload
	buffer_load_dword v71, off, s[20:23], 0 offset:184 ; 4-byte Folded Reload
	buffer_load_dword v72, off, s[20:23], 0 offset:188 ; 4-byte Folded Reload
	s_waitcnt lgkmcnt(0)
	v_mul_f64 v[103:104], v[101:102], v[105:106]
	v_fma_f64 v[103:104], v[99:100], v[97:98], -v[103:104]
	v_mul_f64 v[99:100], v[99:100], v[105:106]
	v_fma_f64 v[99:100], v[101:102], v[97:98], v[99:100]
	s_waitcnt vmcnt(2)
	v_add_f64 v[69:70], v[69:70], -v[103:104]
	s_waitcnt vmcnt(0)
	v_add_f64 v[71:72], v[71:72], -v[99:100]
	buffer_store_dword v69, off, s[20:23], 0 offset:176 ; 4-byte Folded Spill
	s_nop 0
	buffer_store_dword v70, off, s[20:23], 0 offset:180 ; 4-byte Folded Spill
	buffer_store_dword v71, off, s[20:23], 0 offset:184 ; 4-byte Folded Spill
	buffer_store_dword v72, off, s[20:23], 0 offset:188 ; 4-byte Folded Spill
	ds_read2_b64 v[99:102], v125 offset0:32 offset1:33
	buffer_load_dword v69, off, s[20:23], 0 offset:160 ; 4-byte Folded Reload
	buffer_load_dword v70, off, s[20:23], 0 offset:164 ; 4-byte Folded Reload
	buffer_load_dword v71, off, s[20:23], 0 offset:168 ; 4-byte Folded Reload
	buffer_load_dword v72, off, s[20:23], 0 offset:172 ; 4-byte Folded Reload
	s_waitcnt lgkmcnt(0)
	v_mul_f64 v[103:104], v[101:102], v[105:106]
	v_fma_f64 v[103:104], v[99:100], v[97:98], -v[103:104]
	v_mul_f64 v[99:100], v[99:100], v[105:106]
	v_fma_f64 v[99:100], v[101:102], v[97:98], v[99:100]
	s_waitcnt vmcnt(2)
	v_add_f64 v[69:70], v[69:70], -v[103:104]
	s_waitcnt vmcnt(0)
	v_add_f64 v[71:72], v[71:72], -v[99:100]
	buffer_store_dword v69, off, s[20:23], 0 offset:160 ; 4-byte Folded Spill
	s_nop 0
	buffer_store_dword v70, off, s[20:23], 0 offset:164 ; 4-byte Folded Spill
	buffer_store_dword v71, off, s[20:23], 0 offset:168 ; 4-byte Folded Spill
	buffer_store_dword v72, off, s[20:23], 0 offset:172 ; 4-byte Folded Spill
	ds_read2_b64 v[99:102], v125 offset0:34 offset1:35
	buffer_load_dword v69, off, s[20:23], 0 offset:144 ; 4-byte Folded Reload
	buffer_load_dword v70, off, s[20:23], 0 offset:148 ; 4-byte Folded Reload
	buffer_load_dword v71, off, s[20:23], 0 offset:152 ; 4-byte Folded Reload
	buffer_load_dword v72, off, s[20:23], 0 offset:156 ; 4-byte Folded Reload
	s_waitcnt lgkmcnt(0)
	v_mul_f64 v[103:104], v[101:102], v[105:106]
	v_fma_f64 v[103:104], v[99:100], v[97:98], -v[103:104]
	v_mul_f64 v[99:100], v[99:100], v[105:106]
	v_fma_f64 v[99:100], v[101:102], v[97:98], v[99:100]
	s_waitcnt vmcnt(2)
	v_add_f64 v[69:70], v[69:70], -v[103:104]
	s_waitcnt vmcnt(0)
	v_add_f64 v[71:72], v[71:72], -v[99:100]
	buffer_store_dword v69, off, s[20:23], 0 offset:144 ; 4-byte Folded Spill
	s_nop 0
	buffer_store_dword v70, off, s[20:23], 0 offset:148 ; 4-byte Folded Spill
	buffer_store_dword v71, off, s[20:23], 0 offset:152 ; 4-byte Folded Spill
	buffer_store_dword v72, off, s[20:23], 0 offset:156 ; 4-byte Folded Spill
	ds_read2_b64 v[99:102], v125 offset0:36 offset1:37
	buffer_load_dword v69, off, s[20:23], 0 offset:128 ; 4-byte Folded Reload
	buffer_load_dword v70, off, s[20:23], 0 offset:132 ; 4-byte Folded Reload
	buffer_load_dword v71, off, s[20:23], 0 offset:136 ; 4-byte Folded Reload
	buffer_load_dword v72, off, s[20:23], 0 offset:140 ; 4-byte Folded Reload
	s_waitcnt lgkmcnt(0)
	v_mul_f64 v[103:104], v[101:102], v[105:106]
	v_fma_f64 v[103:104], v[99:100], v[97:98], -v[103:104]
	v_mul_f64 v[99:100], v[99:100], v[105:106]
	v_fma_f64 v[99:100], v[101:102], v[97:98], v[99:100]
	s_waitcnt vmcnt(2)
	v_add_f64 v[69:70], v[69:70], -v[103:104]
	s_waitcnt vmcnt(0)
	v_add_f64 v[71:72], v[71:72], -v[99:100]
	buffer_store_dword v69, off, s[20:23], 0 offset:128 ; 4-byte Folded Spill
	s_nop 0
	buffer_store_dword v70, off, s[20:23], 0 offset:132 ; 4-byte Folded Spill
	buffer_store_dword v71, off, s[20:23], 0 offset:136 ; 4-byte Folded Spill
	buffer_store_dword v72, off, s[20:23], 0 offset:140 ; 4-byte Folded Spill
	ds_read2_b64 v[99:102], v125 offset0:38 offset1:39
	buffer_load_dword v69, off, s[20:23], 0 offset:112 ; 4-byte Folded Reload
	buffer_load_dword v70, off, s[20:23], 0 offset:116 ; 4-byte Folded Reload
	buffer_load_dword v71, off, s[20:23], 0 offset:120 ; 4-byte Folded Reload
	buffer_load_dword v72, off, s[20:23], 0 offset:124 ; 4-byte Folded Reload
	s_waitcnt lgkmcnt(0)
	v_mul_f64 v[103:104], v[101:102], v[105:106]
	v_fma_f64 v[103:104], v[99:100], v[97:98], -v[103:104]
	v_mul_f64 v[99:100], v[99:100], v[105:106]
	v_fma_f64 v[99:100], v[101:102], v[97:98], v[99:100]
	s_waitcnt vmcnt(2)
	v_add_f64 v[69:70], v[69:70], -v[103:104]
	s_waitcnt vmcnt(0)
	v_add_f64 v[71:72], v[71:72], -v[99:100]
	buffer_store_dword v69, off, s[20:23], 0 offset:112 ; 4-byte Folded Spill
	s_nop 0
	buffer_store_dword v70, off, s[20:23], 0 offset:116 ; 4-byte Folded Spill
	buffer_store_dword v71, off, s[20:23], 0 offset:120 ; 4-byte Folded Spill
	buffer_store_dword v72, off, s[20:23], 0 offset:124 ; 4-byte Folded Spill
	ds_read2_b64 v[99:102], v125 offset0:40 offset1:41
	buffer_load_dword v69, off, s[20:23], 0 offset:96 ; 4-byte Folded Reload
	buffer_load_dword v70, off, s[20:23], 0 offset:100 ; 4-byte Folded Reload
	buffer_load_dword v71, off, s[20:23], 0 offset:104 ; 4-byte Folded Reload
	buffer_load_dword v72, off, s[20:23], 0 offset:108 ; 4-byte Folded Reload
	s_waitcnt lgkmcnt(0)
	v_mul_f64 v[103:104], v[101:102], v[105:106]
	v_fma_f64 v[103:104], v[99:100], v[97:98], -v[103:104]
	v_mul_f64 v[99:100], v[99:100], v[105:106]
	v_fma_f64 v[99:100], v[101:102], v[97:98], v[99:100]
	s_waitcnt vmcnt(2)
	v_add_f64 v[69:70], v[69:70], -v[103:104]
	s_waitcnt vmcnt(0)
	v_add_f64 v[71:72], v[71:72], -v[99:100]
	buffer_store_dword v69, off, s[20:23], 0 offset:96 ; 4-byte Folded Spill
	s_nop 0
	buffer_store_dword v70, off, s[20:23], 0 offset:100 ; 4-byte Folded Spill
	buffer_store_dword v71, off, s[20:23], 0 offset:104 ; 4-byte Folded Spill
	buffer_store_dword v72, off, s[20:23], 0 offset:108 ; 4-byte Folded Spill
	ds_read2_b64 v[99:102], v125 offset0:42 offset1:43
	buffer_load_dword v69, off, s[20:23], 0 offset:80 ; 4-byte Folded Reload
	buffer_load_dword v70, off, s[20:23], 0 offset:84 ; 4-byte Folded Reload
	buffer_load_dword v71, off, s[20:23], 0 offset:88 ; 4-byte Folded Reload
	buffer_load_dword v72, off, s[20:23], 0 offset:92 ; 4-byte Folded Reload
	s_waitcnt lgkmcnt(0)
	v_mul_f64 v[103:104], v[101:102], v[105:106]
	v_fma_f64 v[103:104], v[99:100], v[97:98], -v[103:104]
	v_mul_f64 v[99:100], v[99:100], v[105:106]
	v_fma_f64 v[99:100], v[101:102], v[97:98], v[99:100]
	s_waitcnt vmcnt(2)
	v_add_f64 v[69:70], v[69:70], -v[103:104]
	s_waitcnt vmcnt(0)
	v_add_f64 v[71:72], v[71:72], -v[99:100]
	buffer_store_dword v69, off, s[20:23], 0 offset:80 ; 4-byte Folded Spill
	s_nop 0
	buffer_store_dword v70, off, s[20:23], 0 offset:84 ; 4-byte Folded Spill
	buffer_store_dword v71, off, s[20:23], 0 offset:88 ; 4-byte Folded Spill
	buffer_store_dword v72, off, s[20:23], 0 offset:92 ; 4-byte Folded Spill
	ds_read2_b64 v[99:102], v125 offset0:44 offset1:45
	buffer_load_dword v69, off, s[20:23], 0 offset:64 ; 4-byte Folded Reload
	buffer_load_dword v70, off, s[20:23], 0 offset:68 ; 4-byte Folded Reload
	buffer_load_dword v71, off, s[20:23], 0 offset:72 ; 4-byte Folded Reload
	buffer_load_dword v72, off, s[20:23], 0 offset:76 ; 4-byte Folded Reload
	s_waitcnt lgkmcnt(0)
	v_mul_f64 v[103:104], v[101:102], v[105:106]
	v_fma_f64 v[103:104], v[99:100], v[97:98], -v[103:104]
	v_mul_f64 v[99:100], v[99:100], v[105:106]
	v_fma_f64 v[99:100], v[101:102], v[97:98], v[99:100]
	s_waitcnt vmcnt(2)
	v_add_f64 v[69:70], v[69:70], -v[103:104]
	s_waitcnt vmcnt(0)
	v_add_f64 v[71:72], v[71:72], -v[99:100]
	buffer_store_dword v69, off, s[20:23], 0 offset:64 ; 4-byte Folded Spill
	s_nop 0
	buffer_store_dword v70, off, s[20:23], 0 offset:68 ; 4-byte Folded Spill
	buffer_store_dword v71, off, s[20:23], 0 offset:72 ; 4-byte Folded Spill
	buffer_store_dword v72, off, s[20:23], 0 offset:76 ; 4-byte Folded Spill
	ds_read2_b64 v[99:102], v125 offset0:46 offset1:47
	buffer_load_dword v69, off, s[20:23], 0 offset:48 ; 4-byte Folded Reload
	buffer_load_dword v70, off, s[20:23], 0 offset:52 ; 4-byte Folded Reload
	buffer_load_dword v71, off, s[20:23], 0 offset:56 ; 4-byte Folded Reload
	buffer_load_dword v72, off, s[20:23], 0 offset:60 ; 4-byte Folded Reload
	s_waitcnt lgkmcnt(0)
	v_mul_f64 v[103:104], v[101:102], v[105:106]
	v_fma_f64 v[103:104], v[99:100], v[97:98], -v[103:104]
	v_mul_f64 v[99:100], v[99:100], v[105:106]
	v_fma_f64 v[99:100], v[101:102], v[97:98], v[99:100]
	s_waitcnt vmcnt(2)
	v_add_f64 v[69:70], v[69:70], -v[103:104]
	s_waitcnt vmcnt(0)
	v_add_f64 v[71:72], v[71:72], -v[99:100]
	buffer_store_dword v69, off, s[20:23], 0 offset:48 ; 4-byte Folded Spill
	s_nop 0
	buffer_store_dword v70, off, s[20:23], 0 offset:52 ; 4-byte Folded Spill
	buffer_store_dword v71, off, s[20:23], 0 offset:56 ; 4-byte Folded Spill
	buffer_store_dword v72, off, s[20:23], 0 offset:60 ; 4-byte Folded Spill
	ds_read2_b64 v[99:102], v125 offset0:48 offset1:49
	v_mov_b32_e32 v69, v73
	v_mov_b32_e32 v70, v74
	v_mov_b32_e32 v71, v75
	v_mov_b32_e32 v72, v76
	s_waitcnt lgkmcnt(0)
	v_mul_f64 v[103:104], v[101:102], v[105:106]
	v_fma_f64 v[103:104], v[99:100], v[97:98], -v[103:104]
	v_mul_f64 v[99:100], v[99:100], v[105:106]
	v_add_f64 v[121:122], v[121:122], -v[103:104]
	v_fma_f64 v[99:100], v[101:102], v[97:98], v[99:100]
	v_add_f64 v[123:124], v[123:124], -v[99:100]
	ds_read2_b64 v[99:102], v125 offset0:50 offset1:51
	s_waitcnt lgkmcnt(0)
	v_mul_f64 v[103:104], v[101:102], v[105:106]
	v_fma_f64 v[103:104], v[99:100], v[97:98], -v[103:104]
	v_mul_f64 v[99:100], v[99:100], v[105:106]
	v_add_f64 v[117:118], v[117:118], -v[103:104]
	v_fma_f64 v[99:100], v[101:102], v[97:98], v[99:100]
	v_add_f64 v[119:120], v[119:120], -v[99:100]
	ds_read2_b64 v[99:102], v125 offset0:52 offset1:53
	;; [unrolled: 8-line block ×5, first 2 shown]
	buffer_load_dword v77, off, s[20:23], 0 offset:32 ; 4-byte Folded Reload
	buffer_load_dword v78, off, s[20:23], 0 offset:36 ; 4-byte Folded Reload
	;; [unrolled: 1-line block ×4, first 2 shown]
	s_waitcnt lgkmcnt(0)
	v_mul_f64 v[103:104], v[101:102], v[105:106]
	v_fma_f64 v[103:104], v[99:100], v[97:98], -v[103:104]
	v_mul_f64 v[99:100], v[99:100], v[105:106]
	v_fma_f64 v[99:100], v[101:102], v[97:98], v[99:100]
	s_waitcnt vmcnt(2)
	v_add_f64 v[77:78], v[77:78], -v[103:104]
	s_waitcnt vmcnt(0)
	v_add_f64 v[79:80], v[79:80], -v[99:100]
	buffer_store_dword v77, off, s[20:23], 0 offset:32 ; 4-byte Folded Spill
	s_nop 0
	buffer_store_dword v78, off, s[20:23], 0 offset:36 ; 4-byte Folded Spill
	buffer_store_dword v79, off, s[20:23], 0 offset:40 ; 4-byte Folded Spill
	;; [unrolled: 1-line block ×3, first 2 shown]
	ds_read2_b64 v[99:102], v125 offset0:60 offset1:61
	buffer_load_dword v73, off, s[20:23], 0 offset:16 ; 4-byte Folded Reload
	buffer_load_dword v74, off, s[20:23], 0 offset:20 ; 4-byte Folded Reload
	;; [unrolled: 1-line block ×4, first 2 shown]
	s_waitcnt lgkmcnt(0)
	v_mul_f64 v[103:104], v[101:102], v[105:106]
	v_fma_f64 v[103:104], v[99:100], v[97:98], -v[103:104]
	v_mul_f64 v[99:100], v[99:100], v[105:106]
	v_fma_f64 v[99:100], v[101:102], v[97:98], v[99:100]
	s_waitcnt vmcnt(2)
	v_add_f64 v[73:74], v[73:74], -v[103:104]
	s_waitcnt vmcnt(0)
	v_add_f64 v[75:76], v[75:76], -v[99:100]
	buffer_store_dword v73, off, s[20:23], 0 offset:16 ; 4-byte Folded Spill
	s_nop 0
	buffer_store_dword v74, off, s[20:23], 0 offset:20 ; 4-byte Folded Spill
	buffer_store_dword v75, off, s[20:23], 0 offset:24 ; 4-byte Folded Spill
	;; [unrolled: 1-line block ×3, first 2 shown]
	v_mov_b32_e32 v76, v72
	v_mov_b32_e32 v75, v71
	;; [unrolled: 1-line block ×4, first 2 shown]
	ds_read2_b64 v[99:102], v125 offset0:62 offset1:63
	buffer_load_dword v69, off, s[20:23], 0 ; 4-byte Folded Reload
	buffer_load_dword v70, off, s[20:23], 0 offset:4 ; 4-byte Folded Reload
	buffer_load_dword v71, off, s[20:23], 0 offset:8 ; 4-byte Folded Reload
	;; [unrolled: 1-line block ×3, first 2 shown]
	s_waitcnt lgkmcnt(0)
	v_mul_f64 v[103:104], v[101:102], v[105:106]
	v_fma_f64 v[103:104], v[99:100], v[97:98], -v[103:104]
	v_mul_f64 v[99:100], v[99:100], v[105:106]
	v_fma_f64 v[99:100], v[101:102], v[97:98], v[99:100]
	s_waitcnt vmcnt(2)
	v_add_f64 v[69:70], v[69:70], -v[103:104]
	s_waitcnt vmcnt(0)
	v_add_f64 v[71:72], v[71:72], -v[99:100]
	buffer_store_dword v69, off, s[20:23], 0 ; 4-byte Folded Spill
	s_nop 0
	buffer_store_dword v70, off, s[20:23], 0 offset:4 ; 4-byte Folded Spill
	buffer_store_dword v71, off, s[20:23], 0 offset:8 ; 4-byte Folded Spill
	;; [unrolled: 1-line block ×3, first 2 shown]
	ds_read2_b64 v[99:102], v125 offset0:64 offset1:65
	s_waitcnt lgkmcnt(0)
	v_mul_f64 v[103:104], v[101:102], v[105:106]
	v_fma_f64 v[103:104], v[99:100], v[97:98], -v[103:104]
	v_mul_f64 v[99:100], v[99:100], v[105:106]
	v_add_f64 v[65:66], v[65:66], -v[103:104]
	v_fma_f64 v[99:100], v[101:102], v[97:98], v[99:100]
	v_add_f64 v[67:68], v[67:68], -v[99:100]
	ds_read2_b64 v[99:102], v125 offset0:66 offset1:67
	s_waitcnt lgkmcnt(0)
	v_mul_f64 v[103:104], v[101:102], v[105:106]
	v_fma_f64 v[103:104], v[99:100], v[97:98], -v[103:104]
	v_mul_f64 v[99:100], v[99:100], v[105:106]
	v_add_f64 v[61:62], v[61:62], -v[103:104]
	v_fma_f64 v[99:100], v[101:102], v[97:98], v[99:100]
	v_add_f64 v[63:64], v[63:64], -v[99:100]
	;; [unrolled: 8-line block ×17, first 2 shown]
	ds_read2_b64 v[99:102], v125 offset0:98 offset1:99
	s_waitcnt lgkmcnt(0)
	v_mul_f64 v[103:104], v[101:102], v[105:106]
	v_fma_f64 v[103:104], v[99:100], v[97:98], -v[103:104]
	v_mul_f64 v[99:100], v[99:100], v[105:106]
	v_add_f64 v[73:74], v[73:74], -v[103:104]
	v_fma_f64 v[99:100], v[101:102], v[97:98], v[99:100]
	v_mov_b32_e32 v104, v98
	v_mov_b32_e32 v103, v97
	buffer_store_dword v103, off, s[20:23], 0 offset:192 ; 4-byte Folded Spill
	s_nop 0
	buffer_store_dword v104, off, s[20:23], 0 offset:196 ; 4-byte Folded Spill
	buffer_store_dword v105, off, s[20:23], 0 offset:200 ; 4-byte Folded Spill
	;; [unrolled: 1-line block ×3, first 2 shown]
	v_add_f64 v[75:76], v[75:76], -v[99:100]
.LBB99_136:
	s_or_b64 exec, exec, s[2:3]
	v_cmp_eq_u32_e32 vcc, 15, v0
	s_waitcnt vmcnt(0)
	s_barrier
	s_and_saveexec_b64 s[4:5], vcc
	s_cbranch_execz .LBB99_143
; %bb.137:
	buffer_load_dword v69, off, s[20:23], 0 offset:176 ; 4-byte Folded Reload
	buffer_load_dword v70, off, s[20:23], 0 offset:180 ; 4-byte Folded Reload
	;; [unrolled: 1-line block ×4, first 2 shown]
	s_waitcnt vmcnt(0)
	ds_write2_b64 v127, v[69:70], v[71:72] offset1:1
	buffer_load_dword v69, off, s[20:23], 0 offset:160 ; 4-byte Folded Reload
	buffer_load_dword v70, off, s[20:23], 0 offset:164 ; 4-byte Folded Reload
	buffer_load_dword v71, off, s[20:23], 0 offset:168 ; 4-byte Folded Reload
	buffer_load_dword v72, off, s[20:23], 0 offset:172 ; 4-byte Folded Reload
	s_waitcnt vmcnt(0)
	ds_write2_b64 v125, v[69:70], v[71:72] offset0:32 offset1:33
	buffer_load_dword v69, off, s[20:23], 0 offset:144 ; 4-byte Folded Reload
	buffer_load_dword v70, off, s[20:23], 0 offset:148 ; 4-byte Folded Reload
	buffer_load_dword v71, off, s[20:23], 0 offset:152 ; 4-byte Folded Reload
	buffer_load_dword v72, off, s[20:23], 0 offset:156 ; 4-byte Folded Reload
	s_waitcnt vmcnt(0)
	ds_write2_b64 v125, v[69:70], v[71:72] offset0:34 offset1:35
	;; [unrolled: 6-line block ×8, first 2 shown]
	ds_write2_b64 v125, v[121:122], v[123:124] offset0:48 offset1:49
	ds_write2_b64 v125, v[117:118], v[119:120] offset0:50 offset1:51
	;; [unrolled: 1-line block ×5, first 2 shown]
	buffer_load_dword v77, off, s[20:23], 0 offset:32 ; 4-byte Folded Reload
	buffer_load_dword v78, off, s[20:23], 0 offset:36 ; 4-byte Folded Reload
	;; [unrolled: 1-line block ×4, first 2 shown]
	v_mov_b32_e32 v69, v73
	v_mov_b32_e32 v70, v74
	;; [unrolled: 1-line block ×4, first 2 shown]
	s_waitcnt vmcnt(0)
	ds_write2_b64 v125, v[77:78], v[79:80] offset0:58 offset1:59
	buffer_load_dword v73, off, s[20:23], 0 offset:16 ; 4-byte Folded Reload
	buffer_load_dword v74, off, s[20:23], 0 offset:20 ; 4-byte Folded Reload
	;; [unrolled: 1-line block ×4, first 2 shown]
	s_waitcnt vmcnt(0)
	ds_write2_b64 v125, v[73:74], v[75:76] offset0:60 offset1:61
	v_mov_b32_e32 v76, v72
	v_mov_b32_e32 v75, v71
	;; [unrolled: 1-line block ×4, first 2 shown]
	buffer_load_dword v69, off, s[20:23], 0 ; 4-byte Folded Reload
	buffer_load_dword v70, off, s[20:23], 0 offset:4 ; 4-byte Folded Reload
	buffer_load_dword v71, off, s[20:23], 0 offset:8 ; 4-byte Folded Reload
	;; [unrolled: 1-line block ×3, first 2 shown]
	s_waitcnt vmcnt(0)
	ds_write2_b64 v125, v[69:70], v[71:72] offset0:62 offset1:63
	ds_write2_b64 v125, v[65:66], v[67:68] offset0:64 offset1:65
	ds_write2_b64 v125, v[61:62], v[63:64] offset0:66 offset1:67
	ds_write2_b64 v125, v[57:58], v[59:60] offset0:68 offset1:69
	ds_write2_b64 v125, v[53:54], v[55:56] offset0:70 offset1:71
	ds_write2_b64 v125, v[49:50], v[51:52] offset0:72 offset1:73
	ds_write2_b64 v125, v[45:46], v[47:48] offset0:74 offset1:75
	ds_write2_b64 v125, v[41:42], v[43:44] offset0:76 offset1:77
	ds_write2_b64 v125, v[37:38], v[39:40] offset0:78 offset1:79
	ds_write2_b64 v125, v[33:34], v[35:36] offset0:80 offset1:81
	ds_write2_b64 v125, v[29:30], v[31:32] offset0:82 offset1:83
	ds_write2_b64 v125, v[25:26], v[27:28] offset0:84 offset1:85
	ds_write2_b64 v125, v[21:22], v[23:24] offset0:86 offset1:87
	ds_write2_b64 v125, v[17:18], v[19:20] offset0:88 offset1:89
	ds_write2_b64 v125, v[13:14], v[15:16] offset0:90 offset1:91
	ds_write2_b64 v125, v[9:10], v[11:12] offset0:92 offset1:93
	ds_write2_b64 v125, v[5:6], v[7:8] offset0:94 offset1:95
	ds_write2_b64 v125, v[1:2], v[3:4] offset0:96 offset1:97
	ds_write2_b64 v125, v[73:74], v[75:76] offset0:98 offset1:99
	ds_read2_b64 v[97:100], v127 offset1:1
	s_waitcnt lgkmcnt(0)
	v_cmp_neq_f64_e32 vcc, 0, v[97:98]
	v_cmp_neq_f64_e64 s[2:3], 0, v[99:100]
	s_or_b64 s[2:3], vcc, s[2:3]
	s_and_b64 exec, exec, s[2:3]
	s_cbranch_execz .LBB99_143
; %bb.138:
	v_cmp_ngt_f64_e64 s[2:3], |v[97:98]|, |v[99:100]|
                                        ; implicit-def: $vgpr101_vgpr102
	s_and_saveexec_b64 s[6:7], s[2:3]
	s_xor_b64 s[2:3], exec, s[6:7]
                                        ; implicit-def: $vgpr103_vgpr104
	s_cbranch_execz .LBB99_140
; %bb.139:
	v_div_scale_f64 v[101:102], s[6:7], v[99:100], v[99:100], v[97:98]
	v_rcp_f64_e32 v[103:104], v[101:102]
	v_fma_f64 v[105:106], -v[101:102], v[103:104], 1.0
	v_fma_f64 v[103:104], v[103:104], v[105:106], v[103:104]
	v_div_scale_f64 v[105:106], vcc, v[97:98], v[99:100], v[97:98]
	v_fma_f64 v[107:108], -v[101:102], v[103:104], 1.0
	v_fma_f64 v[103:104], v[103:104], v[107:108], v[103:104]
	v_mul_f64 v[107:108], v[105:106], v[103:104]
	v_fma_f64 v[101:102], -v[101:102], v[107:108], v[105:106]
	v_div_fmas_f64 v[101:102], v[101:102], v[103:104], v[107:108]
	v_div_fixup_f64 v[101:102], v[101:102], v[99:100], v[97:98]
	v_fma_f64 v[97:98], v[97:98], v[101:102], v[99:100]
	v_div_scale_f64 v[99:100], s[6:7], v[97:98], v[97:98], 1.0
	v_div_scale_f64 v[107:108], vcc, 1.0, v[97:98], 1.0
	v_rcp_f64_e32 v[103:104], v[99:100]
	v_fma_f64 v[105:106], -v[99:100], v[103:104], 1.0
	v_fma_f64 v[103:104], v[103:104], v[105:106], v[103:104]
	v_fma_f64 v[105:106], -v[99:100], v[103:104], 1.0
	v_fma_f64 v[103:104], v[103:104], v[105:106], v[103:104]
	v_mul_f64 v[105:106], v[107:108], v[103:104]
	v_fma_f64 v[99:100], -v[99:100], v[105:106], v[107:108]
	v_div_fmas_f64 v[99:100], v[99:100], v[103:104], v[105:106]
	v_div_fixup_f64 v[103:104], v[99:100], v[97:98], 1.0
                                        ; implicit-def: $vgpr97_vgpr98
	v_mul_f64 v[101:102], v[101:102], v[103:104]
	v_xor_b32_e32 v104, 0x80000000, v104
.LBB99_140:
	s_andn2_saveexec_b64 s[2:3], s[2:3]
	s_cbranch_execz .LBB99_142
; %bb.141:
	v_div_scale_f64 v[101:102], s[6:7], v[97:98], v[97:98], v[99:100]
	v_rcp_f64_e32 v[103:104], v[101:102]
	v_fma_f64 v[105:106], -v[101:102], v[103:104], 1.0
	v_fma_f64 v[103:104], v[103:104], v[105:106], v[103:104]
	v_div_scale_f64 v[105:106], vcc, v[99:100], v[97:98], v[99:100]
	v_fma_f64 v[107:108], -v[101:102], v[103:104], 1.0
	v_fma_f64 v[103:104], v[103:104], v[107:108], v[103:104]
	v_mul_f64 v[107:108], v[105:106], v[103:104]
	v_fma_f64 v[101:102], -v[101:102], v[107:108], v[105:106]
	v_div_fmas_f64 v[101:102], v[101:102], v[103:104], v[107:108]
	v_div_fixup_f64 v[103:104], v[101:102], v[97:98], v[99:100]
	v_fma_f64 v[97:98], v[99:100], v[103:104], v[97:98]
	v_div_scale_f64 v[99:100], s[6:7], v[97:98], v[97:98], 1.0
	v_div_scale_f64 v[107:108], vcc, 1.0, v[97:98], 1.0
	v_rcp_f64_e32 v[101:102], v[99:100]
	v_fma_f64 v[105:106], -v[99:100], v[101:102], 1.0
	v_fma_f64 v[101:102], v[101:102], v[105:106], v[101:102]
	v_fma_f64 v[105:106], -v[99:100], v[101:102], 1.0
	v_fma_f64 v[101:102], v[101:102], v[105:106], v[101:102]
	v_mul_f64 v[105:106], v[107:108], v[101:102]
	v_fma_f64 v[99:100], -v[99:100], v[105:106], v[107:108]
	v_div_fmas_f64 v[99:100], v[99:100], v[101:102], v[105:106]
	v_div_fixup_f64 v[101:102], v[99:100], v[97:98], 1.0
	v_mul_f64 v[103:104], v[103:104], -v[101:102]
.LBB99_142:
	s_or_b64 exec, exec, s[2:3]
	ds_write2_b64 v127, v[101:102], v[103:104] offset1:1
.LBB99_143:
	s_or_b64 exec, exec, s[4:5]
	s_waitcnt lgkmcnt(0)
	s_barrier
	ds_read2_b64 v[69:72], v127 offset1:1
	v_cmp_lt_u32_e32 vcc, 15, v0
	s_waitcnt lgkmcnt(0)
	buffer_store_dword v69, off, s[20:23], 0 offset:1064 ; 4-byte Folded Spill
	s_nop 0
	buffer_store_dword v70, off, s[20:23], 0 offset:1068 ; 4-byte Folded Spill
	buffer_store_dword v71, off, s[20:23], 0 offset:1072 ; 4-byte Folded Spill
	;; [unrolled: 1-line block ×3, first 2 shown]
	s_and_saveexec_b64 s[2:3], vcc
	s_cbranch_execz .LBB99_145
; %bb.144:
	buffer_load_dword v103, off, s[20:23], 0 offset:176 ; 4-byte Folded Reload
	buffer_load_dword v104, off, s[20:23], 0 offset:180 ; 4-byte Folded Reload
	;; [unrolled: 1-line block ×8, first 2 shown]
	s_waitcnt vmcnt(2)
	v_mul_f64 v[99:100], v[69:70], v[105:106]
	s_waitcnt vmcnt(0)
	v_mul_f64 v[97:98], v[71:72], v[105:106]
	v_fma_f64 v[105:106], v[71:72], v[103:104], v[99:100]
	ds_read2_b64 v[99:102], v125 offset0:32 offset1:33
	v_fma_f64 v[97:98], v[69:70], v[103:104], -v[97:98]
	buffer_load_dword v69, off, s[20:23], 0 offset:160 ; 4-byte Folded Reload
	buffer_load_dword v70, off, s[20:23], 0 offset:164 ; 4-byte Folded Reload
	buffer_load_dword v71, off, s[20:23], 0 offset:168 ; 4-byte Folded Reload
	buffer_load_dword v72, off, s[20:23], 0 offset:172 ; 4-byte Folded Reload
	s_waitcnt lgkmcnt(0)
	v_mul_f64 v[103:104], v[101:102], v[105:106]
	v_fma_f64 v[103:104], v[99:100], v[97:98], -v[103:104]
	v_mul_f64 v[99:100], v[99:100], v[105:106]
	v_fma_f64 v[99:100], v[101:102], v[97:98], v[99:100]
	s_waitcnt vmcnt(2)
	v_add_f64 v[69:70], v[69:70], -v[103:104]
	s_waitcnt vmcnt(0)
	v_add_f64 v[71:72], v[71:72], -v[99:100]
	buffer_store_dword v69, off, s[20:23], 0 offset:160 ; 4-byte Folded Spill
	s_nop 0
	buffer_store_dword v70, off, s[20:23], 0 offset:164 ; 4-byte Folded Spill
	buffer_store_dword v71, off, s[20:23], 0 offset:168 ; 4-byte Folded Spill
	buffer_store_dword v72, off, s[20:23], 0 offset:172 ; 4-byte Folded Spill
	ds_read2_b64 v[99:102], v125 offset0:34 offset1:35
	buffer_load_dword v69, off, s[20:23], 0 offset:144 ; 4-byte Folded Reload
	buffer_load_dword v70, off, s[20:23], 0 offset:148 ; 4-byte Folded Reload
	buffer_load_dword v71, off, s[20:23], 0 offset:152 ; 4-byte Folded Reload
	buffer_load_dword v72, off, s[20:23], 0 offset:156 ; 4-byte Folded Reload
	s_waitcnt lgkmcnt(0)
	v_mul_f64 v[103:104], v[101:102], v[105:106]
	v_fma_f64 v[103:104], v[99:100], v[97:98], -v[103:104]
	v_mul_f64 v[99:100], v[99:100], v[105:106]
	v_fma_f64 v[99:100], v[101:102], v[97:98], v[99:100]
	s_waitcnt vmcnt(2)
	v_add_f64 v[69:70], v[69:70], -v[103:104]
	s_waitcnt vmcnt(0)
	v_add_f64 v[71:72], v[71:72], -v[99:100]
	buffer_store_dword v69, off, s[20:23], 0 offset:144 ; 4-byte Folded Spill
	s_nop 0
	buffer_store_dword v70, off, s[20:23], 0 offset:148 ; 4-byte Folded Spill
	buffer_store_dword v71, off, s[20:23], 0 offset:152 ; 4-byte Folded Spill
	buffer_store_dword v72, off, s[20:23], 0 offset:156 ; 4-byte Folded Spill
	ds_read2_b64 v[99:102], v125 offset0:36 offset1:37
	;; [unrolled: 19-line block ×8, first 2 shown]
	v_mov_b32_e32 v69, v73
	v_mov_b32_e32 v70, v74
	;; [unrolled: 1-line block ×4, first 2 shown]
	s_waitcnt lgkmcnt(0)
	v_mul_f64 v[103:104], v[101:102], v[105:106]
	v_fma_f64 v[103:104], v[99:100], v[97:98], -v[103:104]
	v_mul_f64 v[99:100], v[99:100], v[105:106]
	v_add_f64 v[121:122], v[121:122], -v[103:104]
	v_fma_f64 v[99:100], v[101:102], v[97:98], v[99:100]
	v_add_f64 v[123:124], v[123:124], -v[99:100]
	ds_read2_b64 v[99:102], v125 offset0:50 offset1:51
	s_waitcnt lgkmcnt(0)
	v_mul_f64 v[103:104], v[101:102], v[105:106]
	v_fma_f64 v[103:104], v[99:100], v[97:98], -v[103:104]
	v_mul_f64 v[99:100], v[99:100], v[105:106]
	v_add_f64 v[117:118], v[117:118], -v[103:104]
	v_fma_f64 v[99:100], v[101:102], v[97:98], v[99:100]
	v_add_f64 v[119:120], v[119:120], -v[99:100]
	ds_read2_b64 v[99:102], v125 offset0:52 offset1:53
	;; [unrolled: 8-line block ×5, first 2 shown]
	buffer_load_dword v77, off, s[20:23], 0 offset:32 ; 4-byte Folded Reload
	buffer_load_dword v78, off, s[20:23], 0 offset:36 ; 4-byte Folded Reload
	;; [unrolled: 1-line block ×4, first 2 shown]
	s_waitcnt lgkmcnt(0)
	v_mul_f64 v[103:104], v[101:102], v[105:106]
	v_fma_f64 v[103:104], v[99:100], v[97:98], -v[103:104]
	v_mul_f64 v[99:100], v[99:100], v[105:106]
	v_fma_f64 v[99:100], v[101:102], v[97:98], v[99:100]
	s_waitcnt vmcnt(2)
	v_add_f64 v[77:78], v[77:78], -v[103:104]
	s_waitcnt vmcnt(0)
	v_add_f64 v[79:80], v[79:80], -v[99:100]
	buffer_store_dword v77, off, s[20:23], 0 offset:32 ; 4-byte Folded Spill
	s_nop 0
	buffer_store_dword v78, off, s[20:23], 0 offset:36 ; 4-byte Folded Spill
	buffer_store_dword v79, off, s[20:23], 0 offset:40 ; 4-byte Folded Spill
	;; [unrolled: 1-line block ×3, first 2 shown]
	ds_read2_b64 v[99:102], v125 offset0:60 offset1:61
	buffer_load_dword v73, off, s[20:23], 0 offset:16 ; 4-byte Folded Reload
	buffer_load_dword v74, off, s[20:23], 0 offset:20 ; 4-byte Folded Reload
	;; [unrolled: 1-line block ×4, first 2 shown]
	s_waitcnt lgkmcnt(0)
	v_mul_f64 v[103:104], v[101:102], v[105:106]
	v_fma_f64 v[103:104], v[99:100], v[97:98], -v[103:104]
	v_mul_f64 v[99:100], v[99:100], v[105:106]
	v_fma_f64 v[99:100], v[101:102], v[97:98], v[99:100]
	s_waitcnt vmcnt(2)
	v_add_f64 v[73:74], v[73:74], -v[103:104]
	s_waitcnt vmcnt(0)
	v_add_f64 v[75:76], v[75:76], -v[99:100]
	buffer_store_dword v73, off, s[20:23], 0 offset:16 ; 4-byte Folded Spill
	s_nop 0
	buffer_store_dword v74, off, s[20:23], 0 offset:20 ; 4-byte Folded Spill
	buffer_store_dword v75, off, s[20:23], 0 offset:24 ; 4-byte Folded Spill
	;; [unrolled: 1-line block ×3, first 2 shown]
	v_mov_b32_e32 v76, v72
	v_mov_b32_e32 v75, v71
	;; [unrolled: 1-line block ×4, first 2 shown]
	ds_read2_b64 v[99:102], v125 offset0:62 offset1:63
	buffer_load_dword v69, off, s[20:23], 0 ; 4-byte Folded Reload
	buffer_load_dword v70, off, s[20:23], 0 offset:4 ; 4-byte Folded Reload
	buffer_load_dword v71, off, s[20:23], 0 offset:8 ; 4-byte Folded Reload
	buffer_load_dword v72, off, s[20:23], 0 offset:12 ; 4-byte Folded Reload
	s_waitcnt lgkmcnt(0)
	v_mul_f64 v[103:104], v[101:102], v[105:106]
	v_fma_f64 v[103:104], v[99:100], v[97:98], -v[103:104]
	v_mul_f64 v[99:100], v[99:100], v[105:106]
	v_fma_f64 v[99:100], v[101:102], v[97:98], v[99:100]
	s_waitcnt vmcnt(2)
	v_add_f64 v[69:70], v[69:70], -v[103:104]
	s_waitcnt vmcnt(0)
	v_add_f64 v[71:72], v[71:72], -v[99:100]
	buffer_store_dword v69, off, s[20:23], 0 ; 4-byte Folded Spill
	s_nop 0
	buffer_store_dword v70, off, s[20:23], 0 offset:4 ; 4-byte Folded Spill
	buffer_store_dword v71, off, s[20:23], 0 offset:8 ; 4-byte Folded Spill
	;; [unrolled: 1-line block ×3, first 2 shown]
	ds_read2_b64 v[99:102], v125 offset0:64 offset1:65
	s_waitcnt lgkmcnt(0)
	v_mul_f64 v[103:104], v[101:102], v[105:106]
	v_fma_f64 v[103:104], v[99:100], v[97:98], -v[103:104]
	v_mul_f64 v[99:100], v[99:100], v[105:106]
	v_add_f64 v[65:66], v[65:66], -v[103:104]
	v_fma_f64 v[99:100], v[101:102], v[97:98], v[99:100]
	v_add_f64 v[67:68], v[67:68], -v[99:100]
	ds_read2_b64 v[99:102], v125 offset0:66 offset1:67
	s_waitcnt lgkmcnt(0)
	v_mul_f64 v[103:104], v[101:102], v[105:106]
	v_fma_f64 v[103:104], v[99:100], v[97:98], -v[103:104]
	v_mul_f64 v[99:100], v[99:100], v[105:106]
	v_add_f64 v[61:62], v[61:62], -v[103:104]
	v_fma_f64 v[99:100], v[101:102], v[97:98], v[99:100]
	v_add_f64 v[63:64], v[63:64], -v[99:100]
	;; [unrolled: 8-line block ×17, first 2 shown]
	ds_read2_b64 v[99:102], v125 offset0:98 offset1:99
	s_waitcnt lgkmcnt(0)
	v_mul_f64 v[103:104], v[101:102], v[105:106]
	v_fma_f64 v[103:104], v[99:100], v[97:98], -v[103:104]
	v_mul_f64 v[99:100], v[99:100], v[105:106]
	v_add_f64 v[73:74], v[73:74], -v[103:104]
	v_fma_f64 v[99:100], v[101:102], v[97:98], v[99:100]
	v_mov_b32_e32 v104, v98
	v_mov_b32_e32 v103, v97
	buffer_store_dword v103, off, s[20:23], 0 offset:176 ; 4-byte Folded Spill
	s_nop 0
	buffer_store_dword v104, off, s[20:23], 0 offset:180 ; 4-byte Folded Spill
	buffer_store_dword v105, off, s[20:23], 0 offset:184 ; 4-byte Folded Spill
	buffer_store_dword v106, off, s[20:23], 0 offset:188 ; 4-byte Folded Spill
	v_add_f64 v[75:76], v[75:76], -v[99:100]
.LBB99_145:
	s_or_b64 exec, exec, s[2:3]
	v_cmp_eq_u32_e32 vcc, 16, v0
	s_waitcnt vmcnt(0)
	s_barrier
	s_and_saveexec_b64 s[4:5], vcc
	s_cbranch_execz .LBB99_152
; %bb.146:
	buffer_load_dword v69, off, s[20:23], 0 offset:160 ; 4-byte Folded Reload
	buffer_load_dword v70, off, s[20:23], 0 offset:164 ; 4-byte Folded Reload
	;; [unrolled: 1-line block ×4, first 2 shown]
	s_waitcnt vmcnt(0)
	ds_write2_b64 v127, v[69:70], v[71:72] offset1:1
	buffer_load_dword v69, off, s[20:23], 0 offset:144 ; 4-byte Folded Reload
	buffer_load_dword v70, off, s[20:23], 0 offset:148 ; 4-byte Folded Reload
	buffer_load_dword v71, off, s[20:23], 0 offset:152 ; 4-byte Folded Reload
	buffer_load_dword v72, off, s[20:23], 0 offset:156 ; 4-byte Folded Reload
	s_waitcnt vmcnt(0)
	ds_write2_b64 v125, v[69:70], v[71:72] offset0:34 offset1:35
	buffer_load_dword v69, off, s[20:23], 0 offset:128 ; 4-byte Folded Reload
	buffer_load_dword v70, off, s[20:23], 0 offset:132 ; 4-byte Folded Reload
	buffer_load_dword v71, off, s[20:23], 0 offset:136 ; 4-byte Folded Reload
	buffer_load_dword v72, off, s[20:23], 0 offset:140 ; 4-byte Folded Reload
	s_waitcnt vmcnt(0)
	ds_write2_b64 v125, v[69:70], v[71:72] offset0:36 offset1:37
	buffer_load_dword v69, off, s[20:23], 0 offset:112 ; 4-byte Folded Reload
	buffer_load_dword v70, off, s[20:23], 0 offset:116 ; 4-byte Folded Reload
	buffer_load_dword v71, off, s[20:23], 0 offset:120 ; 4-byte Folded Reload
	buffer_load_dword v72, off, s[20:23], 0 offset:124 ; 4-byte Folded Reload
	s_waitcnt vmcnt(0)
	ds_write2_b64 v125, v[69:70], v[71:72] offset0:38 offset1:39
	buffer_load_dword v69, off, s[20:23], 0 offset:96 ; 4-byte Folded Reload
	buffer_load_dword v70, off, s[20:23], 0 offset:100 ; 4-byte Folded Reload
	buffer_load_dword v71, off, s[20:23], 0 offset:104 ; 4-byte Folded Reload
	buffer_load_dword v72, off, s[20:23], 0 offset:108 ; 4-byte Folded Reload
	s_waitcnt vmcnt(0)
	ds_write2_b64 v125, v[69:70], v[71:72] offset0:40 offset1:41
	buffer_load_dword v69, off, s[20:23], 0 offset:80 ; 4-byte Folded Reload
	buffer_load_dword v70, off, s[20:23], 0 offset:84 ; 4-byte Folded Reload
	buffer_load_dword v71, off, s[20:23], 0 offset:88 ; 4-byte Folded Reload
	buffer_load_dword v72, off, s[20:23], 0 offset:92 ; 4-byte Folded Reload
	s_waitcnt vmcnt(0)
	ds_write2_b64 v125, v[69:70], v[71:72] offset0:42 offset1:43
	buffer_load_dword v69, off, s[20:23], 0 offset:64 ; 4-byte Folded Reload
	buffer_load_dword v70, off, s[20:23], 0 offset:68 ; 4-byte Folded Reload
	buffer_load_dword v71, off, s[20:23], 0 offset:72 ; 4-byte Folded Reload
	buffer_load_dword v72, off, s[20:23], 0 offset:76 ; 4-byte Folded Reload
	s_waitcnt vmcnt(0)
	ds_write2_b64 v125, v[69:70], v[71:72] offset0:44 offset1:45
	buffer_load_dword v69, off, s[20:23], 0 offset:48 ; 4-byte Folded Reload
	buffer_load_dword v70, off, s[20:23], 0 offset:52 ; 4-byte Folded Reload
	buffer_load_dword v71, off, s[20:23], 0 offset:56 ; 4-byte Folded Reload
	buffer_load_dword v72, off, s[20:23], 0 offset:60 ; 4-byte Folded Reload
	s_waitcnt vmcnt(0)
	ds_write2_b64 v125, v[69:70], v[71:72] offset0:46 offset1:47
	ds_write2_b64 v125, v[121:122], v[123:124] offset0:48 offset1:49
	ds_write2_b64 v125, v[117:118], v[119:120] offset0:50 offset1:51
	;; [unrolled: 1-line block ×5, first 2 shown]
	buffer_load_dword v77, off, s[20:23], 0 offset:32 ; 4-byte Folded Reload
	buffer_load_dword v78, off, s[20:23], 0 offset:36 ; 4-byte Folded Reload
	;; [unrolled: 1-line block ×4, first 2 shown]
	v_mov_b32_e32 v69, v73
	v_mov_b32_e32 v70, v74
	v_mov_b32_e32 v71, v75
	v_mov_b32_e32 v72, v76
	s_waitcnt vmcnt(0)
	ds_write2_b64 v125, v[77:78], v[79:80] offset0:58 offset1:59
	buffer_load_dword v73, off, s[20:23], 0 offset:16 ; 4-byte Folded Reload
	buffer_load_dword v74, off, s[20:23], 0 offset:20 ; 4-byte Folded Reload
	;; [unrolled: 1-line block ×4, first 2 shown]
	s_waitcnt vmcnt(0)
	ds_write2_b64 v125, v[73:74], v[75:76] offset0:60 offset1:61
	v_mov_b32_e32 v76, v72
	v_mov_b32_e32 v75, v71
	;; [unrolled: 1-line block ×4, first 2 shown]
	buffer_load_dword v69, off, s[20:23], 0 ; 4-byte Folded Reload
	buffer_load_dword v70, off, s[20:23], 0 offset:4 ; 4-byte Folded Reload
	buffer_load_dword v71, off, s[20:23], 0 offset:8 ; 4-byte Folded Reload
	;; [unrolled: 1-line block ×3, first 2 shown]
	s_waitcnt vmcnt(0)
	ds_write2_b64 v125, v[69:70], v[71:72] offset0:62 offset1:63
	ds_write2_b64 v125, v[65:66], v[67:68] offset0:64 offset1:65
	;; [unrolled: 1-line block ×19, first 2 shown]
	ds_read2_b64 v[97:100], v127 offset1:1
	s_waitcnt lgkmcnt(0)
	v_cmp_neq_f64_e32 vcc, 0, v[97:98]
	v_cmp_neq_f64_e64 s[2:3], 0, v[99:100]
	s_or_b64 s[2:3], vcc, s[2:3]
	s_and_b64 exec, exec, s[2:3]
	s_cbranch_execz .LBB99_152
; %bb.147:
	v_cmp_ngt_f64_e64 s[2:3], |v[97:98]|, |v[99:100]|
                                        ; implicit-def: $vgpr101_vgpr102
	s_and_saveexec_b64 s[6:7], s[2:3]
	s_xor_b64 s[2:3], exec, s[6:7]
                                        ; implicit-def: $vgpr103_vgpr104
	s_cbranch_execz .LBB99_149
; %bb.148:
	v_div_scale_f64 v[101:102], s[6:7], v[99:100], v[99:100], v[97:98]
	v_rcp_f64_e32 v[103:104], v[101:102]
	v_fma_f64 v[105:106], -v[101:102], v[103:104], 1.0
	v_fma_f64 v[103:104], v[103:104], v[105:106], v[103:104]
	v_div_scale_f64 v[105:106], vcc, v[97:98], v[99:100], v[97:98]
	v_fma_f64 v[107:108], -v[101:102], v[103:104], 1.0
	v_fma_f64 v[103:104], v[103:104], v[107:108], v[103:104]
	v_mul_f64 v[107:108], v[105:106], v[103:104]
	v_fma_f64 v[101:102], -v[101:102], v[107:108], v[105:106]
	v_div_fmas_f64 v[101:102], v[101:102], v[103:104], v[107:108]
	v_div_fixup_f64 v[101:102], v[101:102], v[99:100], v[97:98]
	v_fma_f64 v[97:98], v[97:98], v[101:102], v[99:100]
	v_div_scale_f64 v[99:100], s[6:7], v[97:98], v[97:98], 1.0
	v_div_scale_f64 v[107:108], vcc, 1.0, v[97:98], 1.0
	v_rcp_f64_e32 v[103:104], v[99:100]
	v_fma_f64 v[105:106], -v[99:100], v[103:104], 1.0
	v_fma_f64 v[103:104], v[103:104], v[105:106], v[103:104]
	v_fma_f64 v[105:106], -v[99:100], v[103:104], 1.0
	v_fma_f64 v[103:104], v[103:104], v[105:106], v[103:104]
	v_mul_f64 v[105:106], v[107:108], v[103:104]
	v_fma_f64 v[99:100], -v[99:100], v[105:106], v[107:108]
	v_div_fmas_f64 v[99:100], v[99:100], v[103:104], v[105:106]
	v_div_fixup_f64 v[103:104], v[99:100], v[97:98], 1.0
                                        ; implicit-def: $vgpr97_vgpr98
	v_mul_f64 v[101:102], v[101:102], v[103:104]
	v_xor_b32_e32 v104, 0x80000000, v104
.LBB99_149:
	s_andn2_saveexec_b64 s[2:3], s[2:3]
	s_cbranch_execz .LBB99_151
; %bb.150:
	v_div_scale_f64 v[101:102], s[6:7], v[97:98], v[97:98], v[99:100]
	v_rcp_f64_e32 v[103:104], v[101:102]
	v_fma_f64 v[105:106], -v[101:102], v[103:104], 1.0
	v_fma_f64 v[103:104], v[103:104], v[105:106], v[103:104]
	v_div_scale_f64 v[105:106], vcc, v[99:100], v[97:98], v[99:100]
	v_fma_f64 v[107:108], -v[101:102], v[103:104], 1.0
	v_fma_f64 v[103:104], v[103:104], v[107:108], v[103:104]
	v_mul_f64 v[107:108], v[105:106], v[103:104]
	v_fma_f64 v[101:102], -v[101:102], v[107:108], v[105:106]
	v_div_fmas_f64 v[101:102], v[101:102], v[103:104], v[107:108]
	v_div_fixup_f64 v[103:104], v[101:102], v[97:98], v[99:100]
	v_fma_f64 v[97:98], v[99:100], v[103:104], v[97:98]
	v_div_scale_f64 v[99:100], s[6:7], v[97:98], v[97:98], 1.0
	v_div_scale_f64 v[107:108], vcc, 1.0, v[97:98], 1.0
	v_rcp_f64_e32 v[101:102], v[99:100]
	v_fma_f64 v[105:106], -v[99:100], v[101:102], 1.0
	v_fma_f64 v[101:102], v[101:102], v[105:106], v[101:102]
	v_fma_f64 v[105:106], -v[99:100], v[101:102], 1.0
	v_fma_f64 v[101:102], v[101:102], v[105:106], v[101:102]
	v_mul_f64 v[105:106], v[107:108], v[101:102]
	v_fma_f64 v[99:100], -v[99:100], v[105:106], v[107:108]
	v_div_fmas_f64 v[99:100], v[99:100], v[101:102], v[105:106]
	v_div_fixup_f64 v[101:102], v[99:100], v[97:98], 1.0
	v_mul_f64 v[103:104], v[103:104], -v[101:102]
.LBB99_151:
	s_or_b64 exec, exec, s[2:3]
	ds_write2_b64 v127, v[101:102], v[103:104] offset1:1
.LBB99_152:
	s_or_b64 exec, exec, s[4:5]
	s_waitcnt lgkmcnt(0)
	s_barrier
	ds_read2_b64 v[69:72], v127 offset1:1
	v_cmp_lt_u32_e32 vcc, 16, v0
	s_waitcnt lgkmcnt(0)
	buffer_store_dword v69, off, s[20:23], 0 offset:1080 ; 4-byte Folded Spill
	s_nop 0
	buffer_store_dword v70, off, s[20:23], 0 offset:1084 ; 4-byte Folded Spill
	buffer_store_dword v71, off, s[20:23], 0 offset:1088 ; 4-byte Folded Spill
	;; [unrolled: 1-line block ×3, first 2 shown]
	s_and_saveexec_b64 s[2:3], vcc
	s_cbranch_execz .LBB99_154
; %bb.153:
	buffer_load_dword v103, off, s[20:23], 0 offset:160 ; 4-byte Folded Reload
	buffer_load_dword v104, off, s[20:23], 0 offset:164 ; 4-byte Folded Reload
	;; [unrolled: 1-line block ×8, first 2 shown]
	s_waitcnt vmcnt(2)
	v_mul_f64 v[99:100], v[69:70], v[105:106]
	s_waitcnt vmcnt(0)
	v_mul_f64 v[97:98], v[71:72], v[105:106]
	v_fma_f64 v[105:106], v[71:72], v[103:104], v[99:100]
	ds_read2_b64 v[99:102], v125 offset0:34 offset1:35
	v_fma_f64 v[97:98], v[69:70], v[103:104], -v[97:98]
	buffer_load_dword v69, off, s[20:23], 0 offset:144 ; 4-byte Folded Reload
	buffer_load_dword v70, off, s[20:23], 0 offset:148 ; 4-byte Folded Reload
	buffer_load_dword v71, off, s[20:23], 0 offset:152 ; 4-byte Folded Reload
	buffer_load_dword v72, off, s[20:23], 0 offset:156 ; 4-byte Folded Reload
	s_waitcnt lgkmcnt(0)
	v_mul_f64 v[103:104], v[101:102], v[105:106]
	v_fma_f64 v[103:104], v[99:100], v[97:98], -v[103:104]
	v_mul_f64 v[99:100], v[99:100], v[105:106]
	v_fma_f64 v[99:100], v[101:102], v[97:98], v[99:100]
	s_waitcnt vmcnt(2)
	v_add_f64 v[69:70], v[69:70], -v[103:104]
	s_waitcnt vmcnt(0)
	v_add_f64 v[71:72], v[71:72], -v[99:100]
	buffer_store_dword v69, off, s[20:23], 0 offset:144 ; 4-byte Folded Spill
	s_nop 0
	buffer_store_dword v70, off, s[20:23], 0 offset:148 ; 4-byte Folded Spill
	buffer_store_dword v71, off, s[20:23], 0 offset:152 ; 4-byte Folded Spill
	buffer_store_dword v72, off, s[20:23], 0 offset:156 ; 4-byte Folded Spill
	ds_read2_b64 v[99:102], v125 offset0:36 offset1:37
	buffer_load_dword v69, off, s[20:23], 0 offset:128 ; 4-byte Folded Reload
	buffer_load_dword v70, off, s[20:23], 0 offset:132 ; 4-byte Folded Reload
	buffer_load_dword v71, off, s[20:23], 0 offset:136 ; 4-byte Folded Reload
	buffer_load_dword v72, off, s[20:23], 0 offset:140 ; 4-byte Folded Reload
	s_waitcnt lgkmcnt(0)
	v_mul_f64 v[103:104], v[101:102], v[105:106]
	v_fma_f64 v[103:104], v[99:100], v[97:98], -v[103:104]
	v_mul_f64 v[99:100], v[99:100], v[105:106]
	v_fma_f64 v[99:100], v[101:102], v[97:98], v[99:100]
	s_waitcnt vmcnt(2)
	v_add_f64 v[69:70], v[69:70], -v[103:104]
	s_waitcnt vmcnt(0)
	v_add_f64 v[71:72], v[71:72], -v[99:100]
	buffer_store_dword v69, off, s[20:23], 0 offset:128 ; 4-byte Folded Spill
	s_nop 0
	buffer_store_dword v70, off, s[20:23], 0 offset:132 ; 4-byte Folded Spill
	buffer_store_dword v71, off, s[20:23], 0 offset:136 ; 4-byte Folded Spill
	buffer_store_dword v72, off, s[20:23], 0 offset:140 ; 4-byte Folded Spill
	ds_read2_b64 v[99:102], v125 offset0:38 offset1:39
	;; [unrolled: 19-line block ×7, first 2 shown]
	v_mov_b32_e32 v69, v73
	v_mov_b32_e32 v70, v74
	v_mov_b32_e32 v71, v75
	v_mov_b32_e32 v72, v76
	s_waitcnt lgkmcnt(0)
	v_mul_f64 v[103:104], v[101:102], v[105:106]
	v_fma_f64 v[103:104], v[99:100], v[97:98], -v[103:104]
	v_mul_f64 v[99:100], v[99:100], v[105:106]
	v_add_f64 v[121:122], v[121:122], -v[103:104]
	v_fma_f64 v[99:100], v[101:102], v[97:98], v[99:100]
	v_add_f64 v[123:124], v[123:124], -v[99:100]
	ds_read2_b64 v[99:102], v125 offset0:50 offset1:51
	s_waitcnt lgkmcnt(0)
	v_mul_f64 v[103:104], v[101:102], v[105:106]
	v_fma_f64 v[103:104], v[99:100], v[97:98], -v[103:104]
	v_mul_f64 v[99:100], v[99:100], v[105:106]
	v_add_f64 v[117:118], v[117:118], -v[103:104]
	v_fma_f64 v[99:100], v[101:102], v[97:98], v[99:100]
	v_add_f64 v[119:120], v[119:120], -v[99:100]
	ds_read2_b64 v[99:102], v125 offset0:52 offset1:53
	;; [unrolled: 8-line block ×5, first 2 shown]
	buffer_load_dword v77, off, s[20:23], 0 offset:32 ; 4-byte Folded Reload
	buffer_load_dword v78, off, s[20:23], 0 offset:36 ; 4-byte Folded Reload
	;; [unrolled: 1-line block ×4, first 2 shown]
	s_waitcnt lgkmcnt(0)
	v_mul_f64 v[103:104], v[101:102], v[105:106]
	v_fma_f64 v[103:104], v[99:100], v[97:98], -v[103:104]
	v_mul_f64 v[99:100], v[99:100], v[105:106]
	v_fma_f64 v[99:100], v[101:102], v[97:98], v[99:100]
	s_waitcnt vmcnt(2)
	v_add_f64 v[77:78], v[77:78], -v[103:104]
	s_waitcnt vmcnt(0)
	v_add_f64 v[79:80], v[79:80], -v[99:100]
	buffer_store_dword v77, off, s[20:23], 0 offset:32 ; 4-byte Folded Spill
	s_nop 0
	buffer_store_dword v78, off, s[20:23], 0 offset:36 ; 4-byte Folded Spill
	buffer_store_dword v79, off, s[20:23], 0 offset:40 ; 4-byte Folded Spill
	;; [unrolled: 1-line block ×3, first 2 shown]
	ds_read2_b64 v[99:102], v125 offset0:60 offset1:61
	buffer_load_dword v73, off, s[20:23], 0 offset:16 ; 4-byte Folded Reload
	buffer_load_dword v74, off, s[20:23], 0 offset:20 ; 4-byte Folded Reload
	;; [unrolled: 1-line block ×4, first 2 shown]
	s_waitcnt lgkmcnt(0)
	v_mul_f64 v[103:104], v[101:102], v[105:106]
	v_fma_f64 v[103:104], v[99:100], v[97:98], -v[103:104]
	v_mul_f64 v[99:100], v[99:100], v[105:106]
	v_fma_f64 v[99:100], v[101:102], v[97:98], v[99:100]
	s_waitcnt vmcnt(2)
	v_add_f64 v[73:74], v[73:74], -v[103:104]
	s_waitcnt vmcnt(0)
	v_add_f64 v[75:76], v[75:76], -v[99:100]
	buffer_store_dword v73, off, s[20:23], 0 offset:16 ; 4-byte Folded Spill
	s_nop 0
	buffer_store_dword v74, off, s[20:23], 0 offset:20 ; 4-byte Folded Spill
	buffer_store_dword v75, off, s[20:23], 0 offset:24 ; 4-byte Folded Spill
	;; [unrolled: 1-line block ×3, first 2 shown]
	v_mov_b32_e32 v76, v72
	v_mov_b32_e32 v75, v71
	v_mov_b32_e32 v74, v70
	v_mov_b32_e32 v73, v69
	ds_read2_b64 v[99:102], v125 offset0:62 offset1:63
	buffer_load_dword v69, off, s[20:23], 0 ; 4-byte Folded Reload
	buffer_load_dword v70, off, s[20:23], 0 offset:4 ; 4-byte Folded Reload
	buffer_load_dword v71, off, s[20:23], 0 offset:8 ; 4-byte Folded Reload
	;; [unrolled: 1-line block ×3, first 2 shown]
	s_waitcnt lgkmcnt(0)
	v_mul_f64 v[103:104], v[101:102], v[105:106]
	v_fma_f64 v[103:104], v[99:100], v[97:98], -v[103:104]
	v_mul_f64 v[99:100], v[99:100], v[105:106]
	v_fma_f64 v[99:100], v[101:102], v[97:98], v[99:100]
	s_waitcnt vmcnt(2)
	v_add_f64 v[69:70], v[69:70], -v[103:104]
	s_waitcnt vmcnt(0)
	v_add_f64 v[71:72], v[71:72], -v[99:100]
	buffer_store_dword v69, off, s[20:23], 0 ; 4-byte Folded Spill
	s_nop 0
	buffer_store_dword v70, off, s[20:23], 0 offset:4 ; 4-byte Folded Spill
	buffer_store_dword v71, off, s[20:23], 0 offset:8 ; 4-byte Folded Spill
	;; [unrolled: 1-line block ×3, first 2 shown]
	ds_read2_b64 v[99:102], v125 offset0:64 offset1:65
	s_waitcnt lgkmcnt(0)
	v_mul_f64 v[103:104], v[101:102], v[105:106]
	v_fma_f64 v[103:104], v[99:100], v[97:98], -v[103:104]
	v_mul_f64 v[99:100], v[99:100], v[105:106]
	v_add_f64 v[65:66], v[65:66], -v[103:104]
	v_fma_f64 v[99:100], v[101:102], v[97:98], v[99:100]
	v_add_f64 v[67:68], v[67:68], -v[99:100]
	ds_read2_b64 v[99:102], v125 offset0:66 offset1:67
	s_waitcnt lgkmcnt(0)
	v_mul_f64 v[103:104], v[101:102], v[105:106]
	v_fma_f64 v[103:104], v[99:100], v[97:98], -v[103:104]
	v_mul_f64 v[99:100], v[99:100], v[105:106]
	v_add_f64 v[61:62], v[61:62], -v[103:104]
	v_fma_f64 v[99:100], v[101:102], v[97:98], v[99:100]
	v_add_f64 v[63:64], v[63:64], -v[99:100]
	ds_read2_b64 v[99:102], v125 offset0:68 offset1:69
	s_waitcnt lgkmcnt(0)
	v_mul_f64 v[103:104], v[101:102], v[105:106]
	v_fma_f64 v[103:104], v[99:100], v[97:98], -v[103:104]
	v_mul_f64 v[99:100], v[99:100], v[105:106]
	v_add_f64 v[57:58], v[57:58], -v[103:104]
	v_fma_f64 v[99:100], v[101:102], v[97:98], v[99:100]
	v_add_f64 v[59:60], v[59:60], -v[99:100]
	ds_read2_b64 v[99:102], v125 offset0:70 offset1:71
	s_waitcnt lgkmcnt(0)
	v_mul_f64 v[103:104], v[101:102], v[105:106]
	v_fma_f64 v[103:104], v[99:100], v[97:98], -v[103:104]
	v_mul_f64 v[99:100], v[99:100], v[105:106]
	v_add_f64 v[53:54], v[53:54], -v[103:104]
	v_fma_f64 v[99:100], v[101:102], v[97:98], v[99:100]
	v_add_f64 v[55:56], v[55:56], -v[99:100]
	ds_read2_b64 v[99:102], v125 offset0:72 offset1:73
	s_waitcnt lgkmcnt(0)
	v_mul_f64 v[103:104], v[101:102], v[105:106]
	v_fma_f64 v[103:104], v[99:100], v[97:98], -v[103:104]
	v_mul_f64 v[99:100], v[99:100], v[105:106]
	v_add_f64 v[49:50], v[49:50], -v[103:104]
	v_fma_f64 v[99:100], v[101:102], v[97:98], v[99:100]
	v_add_f64 v[51:52], v[51:52], -v[99:100]
	ds_read2_b64 v[99:102], v125 offset0:74 offset1:75
	s_waitcnt lgkmcnt(0)
	v_mul_f64 v[103:104], v[101:102], v[105:106]
	v_fma_f64 v[103:104], v[99:100], v[97:98], -v[103:104]
	v_mul_f64 v[99:100], v[99:100], v[105:106]
	v_add_f64 v[45:46], v[45:46], -v[103:104]
	v_fma_f64 v[99:100], v[101:102], v[97:98], v[99:100]
	v_add_f64 v[47:48], v[47:48], -v[99:100]
	ds_read2_b64 v[99:102], v125 offset0:76 offset1:77
	s_waitcnt lgkmcnt(0)
	v_mul_f64 v[103:104], v[101:102], v[105:106]
	v_fma_f64 v[103:104], v[99:100], v[97:98], -v[103:104]
	v_mul_f64 v[99:100], v[99:100], v[105:106]
	v_add_f64 v[41:42], v[41:42], -v[103:104]
	v_fma_f64 v[99:100], v[101:102], v[97:98], v[99:100]
	v_add_f64 v[43:44], v[43:44], -v[99:100]
	ds_read2_b64 v[99:102], v125 offset0:78 offset1:79
	s_waitcnt lgkmcnt(0)
	v_mul_f64 v[103:104], v[101:102], v[105:106]
	v_fma_f64 v[103:104], v[99:100], v[97:98], -v[103:104]
	v_mul_f64 v[99:100], v[99:100], v[105:106]
	v_add_f64 v[37:38], v[37:38], -v[103:104]
	v_fma_f64 v[99:100], v[101:102], v[97:98], v[99:100]
	v_add_f64 v[39:40], v[39:40], -v[99:100]
	ds_read2_b64 v[99:102], v125 offset0:80 offset1:81
	s_waitcnt lgkmcnt(0)
	v_mul_f64 v[103:104], v[101:102], v[105:106]
	v_fma_f64 v[103:104], v[99:100], v[97:98], -v[103:104]
	v_mul_f64 v[99:100], v[99:100], v[105:106]
	v_add_f64 v[33:34], v[33:34], -v[103:104]
	v_fma_f64 v[99:100], v[101:102], v[97:98], v[99:100]
	v_add_f64 v[35:36], v[35:36], -v[99:100]
	ds_read2_b64 v[99:102], v125 offset0:82 offset1:83
	s_waitcnt lgkmcnt(0)
	v_mul_f64 v[103:104], v[101:102], v[105:106]
	v_fma_f64 v[103:104], v[99:100], v[97:98], -v[103:104]
	v_mul_f64 v[99:100], v[99:100], v[105:106]
	v_add_f64 v[29:30], v[29:30], -v[103:104]
	v_fma_f64 v[99:100], v[101:102], v[97:98], v[99:100]
	v_add_f64 v[31:32], v[31:32], -v[99:100]
	ds_read2_b64 v[99:102], v125 offset0:84 offset1:85
	s_waitcnt lgkmcnt(0)
	v_mul_f64 v[103:104], v[101:102], v[105:106]
	v_fma_f64 v[103:104], v[99:100], v[97:98], -v[103:104]
	v_mul_f64 v[99:100], v[99:100], v[105:106]
	v_add_f64 v[25:26], v[25:26], -v[103:104]
	v_fma_f64 v[99:100], v[101:102], v[97:98], v[99:100]
	v_add_f64 v[27:28], v[27:28], -v[99:100]
	ds_read2_b64 v[99:102], v125 offset0:86 offset1:87
	s_waitcnt lgkmcnt(0)
	v_mul_f64 v[103:104], v[101:102], v[105:106]
	v_fma_f64 v[103:104], v[99:100], v[97:98], -v[103:104]
	v_mul_f64 v[99:100], v[99:100], v[105:106]
	v_add_f64 v[21:22], v[21:22], -v[103:104]
	v_fma_f64 v[99:100], v[101:102], v[97:98], v[99:100]
	v_add_f64 v[23:24], v[23:24], -v[99:100]
	ds_read2_b64 v[99:102], v125 offset0:88 offset1:89
	s_waitcnt lgkmcnt(0)
	v_mul_f64 v[103:104], v[101:102], v[105:106]
	v_fma_f64 v[103:104], v[99:100], v[97:98], -v[103:104]
	v_mul_f64 v[99:100], v[99:100], v[105:106]
	v_add_f64 v[17:18], v[17:18], -v[103:104]
	v_fma_f64 v[99:100], v[101:102], v[97:98], v[99:100]
	v_add_f64 v[19:20], v[19:20], -v[99:100]
	ds_read2_b64 v[99:102], v125 offset0:90 offset1:91
	s_waitcnt lgkmcnt(0)
	v_mul_f64 v[103:104], v[101:102], v[105:106]
	v_fma_f64 v[103:104], v[99:100], v[97:98], -v[103:104]
	v_mul_f64 v[99:100], v[99:100], v[105:106]
	v_add_f64 v[13:14], v[13:14], -v[103:104]
	v_fma_f64 v[99:100], v[101:102], v[97:98], v[99:100]
	v_add_f64 v[15:16], v[15:16], -v[99:100]
	ds_read2_b64 v[99:102], v125 offset0:92 offset1:93
	s_waitcnt lgkmcnt(0)
	v_mul_f64 v[103:104], v[101:102], v[105:106]
	v_fma_f64 v[103:104], v[99:100], v[97:98], -v[103:104]
	v_mul_f64 v[99:100], v[99:100], v[105:106]
	v_add_f64 v[9:10], v[9:10], -v[103:104]
	v_fma_f64 v[99:100], v[101:102], v[97:98], v[99:100]
	v_add_f64 v[11:12], v[11:12], -v[99:100]
	ds_read2_b64 v[99:102], v125 offset0:94 offset1:95
	s_waitcnt lgkmcnt(0)
	v_mul_f64 v[103:104], v[101:102], v[105:106]
	v_fma_f64 v[103:104], v[99:100], v[97:98], -v[103:104]
	v_mul_f64 v[99:100], v[99:100], v[105:106]
	v_add_f64 v[5:6], v[5:6], -v[103:104]
	v_fma_f64 v[99:100], v[101:102], v[97:98], v[99:100]
	v_add_f64 v[7:8], v[7:8], -v[99:100]
	ds_read2_b64 v[99:102], v125 offset0:96 offset1:97
	s_waitcnt lgkmcnt(0)
	v_mul_f64 v[103:104], v[101:102], v[105:106]
	v_fma_f64 v[103:104], v[99:100], v[97:98], -v[103:104]
	v_mul_f64 v[99:100], v[99:100], v[105:106]
	v_add_f64 v[1:2], v[1:2], -v[103:104]
	v_fma_f64 v[99:100], v[101:102], v[97:98], v[99:100]
	v_add_f64 v[3:4], v[3:4], -v[99:100]
	ds_read2_b64 v[99:102], v125 offset0:98 offset1:99
	s_waitcnt lgkmcnt(0)
	v_mul_f64 v[103:104], v[101:102], v[105:106]
	v_fma_f64 v[103:104], v[99:100], v[97:98], -v[103:104]
	v_mul_f64 v[99:100], v[99:100], v[105:106]
	v_add_f64 v[73:74], v[73:74], -v[103:104]
	v_fma_f64 v[99:100], v[101:102], v[97:98], v[99:100]
	v_mov_b32_e32 v104, v98
	v_mov_b32_e32 v103, v97
	buffer_store_dword v103, off, s[20:23], 0 offset:160 ; 4-byte Folded Spill
	s_nop 0
	buffer_store_dword v104, off, s[20:23], 0 offset:164 ; 4-byte Folded Spill
	buffer_store_dword v105, off, s[20:23], 0 offset:168 ; 4-byte Folded Spill
	;; [unrolled: 1-line block ×3, first 2 shown]
	v_add_f64 v[75:76], v[75:76], -v[99:100]
.LBB99_154:
	s_or_b64 exec, exec, s[2:3]
	v_cmp_eq_u32_e32 vcc, 17, v0
	s_waitcnt vmcnt(0)
	s_barrier
	s_and_saveexec_b64 s[4:5], vcc
	s_cbranch_execz .LBB99_161
; %bb.155:
	buffer_load_dword v69, off, s[20:23], 0 offset:144 ; 4-byte Folded Reload
	buffer_load_dword v70, off, s[20:23], 0 offset:148 ; 4-byte Folded Reload
	;; [unrolled: 1-line block ×4, first 2 shown]
	s_waitcnt vmcnt(0)
	ds_write2_b64 v127, v[69:70], v[71:72] offset1:1
	buffer_load_dword v69, off, s[20:23], 0 offset:128 ; 4-byte Folded Reload
	buffer_load_dword v70, off, s[20:23], 0 offset:132 ; 4-byte Folded Reload
	buffer_load_dword v71, off, s[20:23], 0 offset:136 ; 4-byte Folded Reload
	buffer_load_dword v72, off, s[20:23], 0 offset:140 ; 4-byte Folded Reload
	s_waitcnt vmcnt(0)
	ds_write2_b64 v125, v[69:70], v[71:72] offset0:36 offset1:37
	buffer_load_dword v69, off, s[20:23], 0 offset:112 ; 4-byte Folded Reload
	buffer_load_dword v70, off, s[20:23], 0 offset:116 ; 4-byte Folded Reload
	buffer_load_dword v71, off, s[20:23], 0 offset:120 ; 4-byte Folded Reload
	buffer_load_dword v72, off, s[20:23], 0 offset:124 ; 4-byte Folded Reload
	s_waitcnt vmcnt(0)
	ds_write2_b64 v125, v[69:70], v[71:72] offset0:38 offset1:39
	;; [unrolled: 6-line block ×6, first 2 shown]
	ds_write2_b64 v125, v[121:122], v[123:124] offset0:48 offset1:49
	ds_write2_b64 v125, v[117:118], v[119:120] offset0:50 offset1:51
	;; [unrolled: 1-line block ×5, first 2 shown]
	buffer_load_dword v77, off, s[20:23], 0 offset:32 ; 4-byte Folded Reload
	buffer_load_dword v78, off, s[20:23], 0 offset:36 ; 4-byte Folded Reload
	;; [unrolled: 1-line block ×4, first 2 shown]
	v_mov_b32_e32 v69, v73
	v_mov_b32_e32 v70, v74
	v_mov_b32_e32 v71, v75
	v_mov_b32_e32 v72, v76
	s_waitcnt vmcnt(0)
	ds_write2_b64 v125, v[77:78], v[79:80] offset0:58 offset1:59
	buffer_load_dword v73, off, s[20:23], 0 offset:16 ; 4-byte Folded Reload
	buffer_load_dword v74, off, s[20:23], 0 offset:20 ; 4-byte Folded Reload
	;; [unrolled: 1-line block ×4, first 2 shown]
	s_waitcnt vmcnt(0)
	ds_write2_b64 v125, v[73:74], v[75:76] offset0:60 offset1:61
	v_mov_b32_e32 v76, v72
	v_mov_b32_e32 v75, v71
	;; [unrolled: 1-line block ×4, first 2 shown]
	buffer_load_dword v69, off, s[20:23], 0 ; 4-byte Folded Reload
	buffer_load_dword v70, off, s[20:23], 0 offset:4 ; 4-byte Folded Reload
	buffer_load_dword v71, off, s[20:23], 0 offset:8 ; 4-byte Folded Reload
	;; [unrolled: 1-line block ×3, first 2 shown]
	s_waitcnt vmcnt(0)
	ds_write2_b64 v125, v[69:70], v[71:72] offset0:62 offset1:63
	ds_write2_b64 v125, v[65:66], v[67:68] offset0:64 offset1:65
	ds_write2_b64 v125, v[61:62], v[63:64] offset0:66 offset1:67
	ds_write2_b64 v125, v[57:58], v[59:60] offset0:68 offset1:69
	ds_write2_b64 v125, v[53:54], v[55:56] offset0:70 offset1:71
	ds_write2_b64 v125, v[49:50], v[51:52] offset0:72 offset1:73
	ds_write2_b64 v125, v[45:46], v[47:48] offset0:74 offset1:75
	ds_write2_b64 v125, v[41:42], v[43:44] offset0:76 offset1:77
	ds_write2_b64 v125, v[37:38], v[39:40] offset0:78 offset1:79
	ds_write2_b64 v125, v[33:34], v[35:36] offset0:80 offset1:81
	ds_write2_b64 v125, v[29:30], v[31:32] offset0:82 offset1:83
	ds_write2_b64 v125, v[25:26], v[27:28] offset0:84 offset1:85
	ds_write2_b64 v125, v[21:22], v[23:24] offset0:86 offset1:87
	ds_write2_b64 v125, v[17:18], v[19:20] offset0:88 offset1:89
	ds_write2_b64 v125, v[13:14], v[15:16] offset0:90 offset1:91
	ds_write2_b64 v125, v[9:10], v[11:12] offset0:92 offset1:93
	ds_write2_b64 v125, v[5:6], v[7:8] offset0:94 offset1:95
	ds_write2_b64 v125, v[1:2], v[3:4] offset0:96 offset1:97
	ds_write2_b64 v125, v[73:74], v[75:76] offset0:98 offset1:99
	ds_read2_b64 v[97:100], v127 offset1:1
	s_waitcnt lgkmcnt(0)
	v_cmp_neq_f64_e32 vcc, 0, v[97:98]
	v_cmp_neq_f64_e64 s[2:3], 0, v[99:100]
	s_or_b64 s[2:3], vcc, s[2:3]
	s_and_b64 exec, exec, s[2:3]
	s_cbranch_execz .LBB99_161
; %bb.156:
	v_cmp_ngt_f64_e64 s[2:3], |v[97:98]|, |v[99:100]|
                                        ; implicit-def: $vgpr101_vgpr102
	s_and_saveexec_b64 s[6:7], s[2:3]
	s_xor_b64 s[2:3], exec, s[6:7]
                                        ; implicit-def: $vgpr103_vgpr104
	s_cbranch_execz .LBB99_158
; %bb.157:
	v_div_scale_f64 v[101:102], s[6:7], v[99:100], v[99:100], v[97:98]
	v_rcp_f64_e32 v[103:104], v[101:102]
	v_fma_f64 v[105:106], -v[101:102], v[103:104], 1.0
	v_fma_f64 v[103:104], v[103:104], v[105:106], v[103:104]
	v_div_scale_f64 v[105:106], vcc, v[97:98], v[99:100], v[97:98]
	v_fma_f64 v[107:108], -v[101:102], v[103:104], 1.0
	v_fma_f64 v[103:104], v[103:104], v[107:108], v[103:104]
	v_mul_f64 v[107:108], v[105:106], v[103:104]
	v_fma_f64 v[101:102], -v[101:102], v[107:108], v[105:106]
	v_div_fmas_f64 v[101:102], v[101:102], v[103:104], v[107:108]
	v_div_fixup_f64 v[101:102], v[101:102], v[99:100], v[97:98]
	v_fma_f64 v[97:98], v[97:98], v[101:102], v[99:100]
	v_div_scale_f64 v[99:100], s[6:7], v[97:98], v[97:98], 1.0
	v_div_scale_f64 v[107:108], vcc, 1.0, v[97:98], 1.0
	v_rcp_f64_e32 v[103:104], v[99:100]
	v_fma_f64 v[105:106], -v[99:100], v[103:104], 1.0
	v_fma_f64 v[103:104], v[103:104], v[105:106], v[103:104]
	v_fma_f64 v[105:106], -v[99:100], v[103:104], 1.0
	v_fma_f64 v[103:104], v[103:104], v[105:106], v[103:104]
	v_mul_f64 v[105:106], v[107:108], v[103:104]
	v_fma_f64 v[99:100], -v[99:100], v[105:106], v[107:108]
	v_div_fmas_f64 v[99:100], v[99:100], v[103:104], v[105:106]
	v_div_fixup_f64 v[103:104], v[99:100], v[97:98], 1.0
                                        ; implicit-def: $vgpr97_vgpr98
	v_mul_f64 v[101:102], v[101:102], v[103:104]
	v_xor_b32_e32 v104, 0x80000000, v104
.LBB99_158:
	s_andn2_saveexec_b64 s[2:3], s[2:3]
	s_cbranch_execz .LBB99_160
; %bb.159:
	v_div_scale_f64 v[101:102], s[6:7], v[97:98], v[97:98], v[99:100]
	v_rcp_f64_e32 v[103:104], v[101:102]
	v_fma_f64 v[105:106], -v[101:102], v[103:104], 1.0
	v_fma_f64 v[103:104], v[103:104], v[105:106], v[103:104]
	v_div_scale_f64 v[105:106], vcc, v[99:100], v[97:98], v[99:100]
	v_fma_f64 v[107:108], -v[101:102], v[103:104], 1.0
	v_fma_f64 v[103:104], v[103:104], v[107:108], v[103:104]
	v_mul_f64 v[107:108], v[105:106], v[103:104]
	v_fma_f64 v[101:102], -v[101:102], v[107:108], v[105:106]
	v_div_fmas_f64 v[101:102], v[101:102], v[103:104], v[107:108]
	v_div_fixup_f64 v[103:104], v[101:102], v[97:98], v[99:100]
	v_fma_f64 v[97:98], v[99:100], v[103:104], v[97:98]
	v_div_scale_f64 v[99:100], s[6:7], v[97:98], v[97:98], 1.0
	v_div_scale_f64 v[107:108], vcc, 1.0, v[97:98], 1.0
	v_rcp_f64_e32 v[101:102], v[99:100]
	v_fma_f64 v[105:106], -v[99:100], v[101:102], 1.0
	v_fma_f64 v[101:102], v[101:102], v[105:106], v[101:102]
	v_fma_f64 v[105:106], -v[99:100], v[101:102], 1.0
	v_fma_f64 v[101:102], v[101:102], v[105:106], v[101:102]
	v_mul_f64 v[105:106], v[107:108], v[101:102]
	v_fma_f64 v[99:100], -v[99:100], v[105:106], v[107:108]
	v_div_fmas_f64 v[99:100], v[99:100], v[101:102], v[105:106]
	v_div_fixup_f64 v[101:102], v[99:100], v[97:98], 1.0
	v_mul_f64 v[103:104], v[103:104], -v[101:102]
.LBB99_160:
	s_or_b64 exec, exec, s[2:3]
	ds_write2_b64 v127, v[101:102], v[103:104] offset1:1
.LBB99_161:
	s_or_b64 exec, exec, s[4:5]
	s_waitcnt lgkmcnt(0)
	s_barrier
	ds_read2_b64 v[69:72], v127 offset1:1
	v_cmp_lt_u32_e32 vcc, 17, v0
	s_waitcnt lgkmcnt(0)
	buffer_store_dword v69, off, s[20:23], 0 offset:1096 ; 4-byte Folded Spill
	s_nop 0
	buffer_store_dword v70, off, s[20:23], 0 offset:1100 ; 4-byte Folded Spill
	buffer_store_dword v71, off, s[20:23], 0 offset:1104 ; 4-byte Folded Spill
	;; [unrolled: 1-line block ×3, first 2 shown]
	s_and_saveexec_b64 s[2:3], vcc
	s_cbranch_execz .LBB99_163
; %bb.162:
	buffer_load_dword v103, off, s[20:23], 0 offset:144 ; 4-byte Folded Reload
	buffer_load_dword v104, off, s[20:23], 0 offset:148 ; 4-byte Folded Reload
	;; [unrolled: 1-line block ×8, first 2 shown]
	s_waitcnt vmcnt(2)
	v_mul_f64 v[99:100], v[69:70], v[105:106]
	s_waitcnt vmcnt(0)
	v_mul_f64 v[97:98], v[71:72], v[105:106]
	v_fma_f64 v[105:106], v[71:72], v[103:104], v[99:100]
	ds_read2_b64 v[99:102], v125 offset0:36 offset1:37
	v_fma_f64 v[97:98], v[69:70], v[103:104], -v[97:98]
	buffer_load_dword v69, off, s[20:23], 0 offset:128 ; 4-byte Folded Reload
	buffer_load_dword v70, off, s[20:23], 0 offset:132 ; 4-byte Folded Reload
	buffer_load_dword v71, off, s[20:23], 0 offset:136 ; 4-byte Folded Reload
	buffer_load_dword v72, off, s[20:23], 0 offset:140 ; 4-byte Folded Reload
	s_waitcnt lgkmcnt(0)
	v_mul_f64 v[103:104], v[101:102], v[105:106]
	v_fma_f64 v[103:104], v[99:100], v[97:98], -v[103:104]
	v_mul_f64 v[99:100], v[99:100], v[105:106]
	v_fma_f64 v[99:100], v[101:102], v[97:98], v[99:100]
	s_waitcnt vmcnt(2)
	v_add_f64 v[69:70], v[69:70], -v[103:104]
	s_waitcnt vmcnt(0)
	v_add_f64 v[71:72], v[71:72], -v[99:100]
	buffer_store_dword v69, off, s[20:23], 0 offset:128 ; 4-byte Folded Spill
	s_nop 0
	buffer_store_dword v70, off, s[20:23], 0 offset:132 ; 4-byte Folded Spill
	buffer_store_dword v71, off, s[20:23], 0 offset:136 ; 4-byte Folded Spill
	buffer_store_dword v72, off, s[20:23], 0 offset:140 ; 4-byte Folded Spill
	ds_read2_b64 v[99:102], v125 offset0:38 offset1:39
	buffer_load_dword v69, off, s[20:23], 0 offset:112 ; 4-byte Folded Reload
	buffer_load_dword v70, off, s[20:23], 0 offset:116 ; 4-byte Folded Reload
	buffer_load_dword v71, off, s[20:23], 0 offset:120 ; 4-byte Folded Reload
	buffer_load_dword v72, off, s[20:23], 0 offset:124 ; 4-byte Folded Reload
	s_waitcnt lgkmcnt(0)
	v_mul_f64 v[103:104], v[101:102], v[105:106]
	v_fma_f64 v[103:104], v[99:100], v[97:98], -v[103:104]
	v_mul_f64 v[99:100], v[99:100], v[105:106]
	v_fma_f64 v[99:100], v[101:102], v[97:98], v[99:100]
	s_waitcnt vmcnt(2)
	v_add_f64 v[69:70], v[69:70], -v[103:104]
	s_waitcnt vmcnt(0)
	v_add_f64 v[71:72], v[71:72], -v[99:100]
	buffer_store_dword v69, off, s[20:23], 0 offset:112 ; 4-byte Folded Spill
	s_nop 0
	buffer_store_dword v70, off, s[20:23], 0 offset:116 ; 4-byte Folded Spill
	buffer_store_dword v71, off, s[20:23], 0 offset:120 ; 4-byte Folded Spill
	buffer_store_dword v72, off, s[20:23], 0 offset:124 ; 4-byte Folded Spill
	ds_read2_b64 v[99:102], v125 offset0:40 offset1:41
	;; [unrolled: 19-line block ×6, first 2 shown]
	v_mov_b32_e32 v69, v73
	v_mov_b32_e32 v70, v74
	;; [unrolled: 1-line block ×4, first 2 shown]
	s_waitcnt lgkmcnt(0)
	v_mul_f64 v[103:104], v[101:102], v[105:106]
	v_fma_f64 v[103:104], v[99:100], v[97:98], -v[103:104]
	v_mul_f64 v[99:100], v[99:100], v[105:106]
	v_add_f64 v[121:122], v[121:122], -v[103:104]
	v_fma_f64 v[99:100], v[101:102], v[97:98], v[99:100]
	v_add_f64 v[123:124], v[123:124], -v[99:100]
	ds_read2_b64 v[99:102], v125 offset0:50 offset1:51
	s_waitcnt lgkmcnt(0)
	v_mul_f64 v[103:104], v[101:102], v[105:106]
	v_fma_f64 v[103:104], v[99:100], v[97:98], -v[103:104]
	v_mul_f64 v[99:100], v[99:100], v[105:106]
	v_add_f64 v[117:118], v[117:118], -v[103:104]
	v_fma_f64 v[99:100], v[101:102], v[97:98], v[99:100]
	v_add_f64 v[119:120], v[119:120], -v[99:100]
	ds_read2_b64 v[99:102], v125 offset0:52 offset1:53
	;; [unrolled: 8-line block ×5, first 2 shown]
	buffer_load_dword v77, off, s[20:23], 0 offset:32 ; 4-byte Folded Reload
	buffer_load_dword v78, off, s[20:23], 0 offset:36 ; 4-byte Folded Reload
	;; [unrolled: 1-line block ×4, first 2 shown]
	s_waitcnt lgkmcnt(0)
	v_mul_f64 v[103:104], v[101:102], v[105:106]
	v_fma_f64 v[103:104], v[99:100], v[97:98], -v[103:104]
	v_mul_f64 v[99:100], v[99:100], v[105:106]
	v_fma_f64 v[99:100], v[101:102], v[97:98], v[99:100]
	s_waitcnt vmcnt(2)
	v_add_f64 v[77:78], v[77:78], -v[103:104]
	s_waitcnt vmcnt(0)
	v_add_f64 v[79:80], v[79:80], -v[99:100]
	buffer_store_dword v77, off, s[20:23], 0 offset:32 ; 4-byte Folded Spill
	s_nop 0
	buffer_store_dword v78, off, s[20:23], 0 offset:36 ; 4-byte Folded Spill
	buffer_store_dword v79, off, s[20:23], 0 offset:40 ; 4-byte Folded Spill
	;; [unrolled: 1-line block ×3, first 2 shown]
	ds_read2_b64 v[99:102], v125 offset0:60 offset1:61
	buffer_load_dword v73, off, s[20:23], 0 offset:16 ; 4-byte Folded Reload
	buffer_load_dword v74, off, s[20:23], 0 offset:20 ; 4-byte Folded Reload
	;; [unrolled: 1-line block ×4, first 2 shown]
	s_waitcnt lgkmcnt(0)
	v_mul_f64 v[103:104], v[101:102], v[105:106]
	v_fma_f64 v[103:104], v[99:100], v[97:98], -v[103:104]
	v_mul_f64 v[99:100], v[99:100], v[105:106]
	v_fma_f64 v[99:100], v[101:102], v[97:98], v[99:100]
	s_waitcnt vmcnt(2)
	v_add_f64 v[73:74], v[73:74], -v[103:104]
	s_waitcnt vmcnt(0)
	v_add_f64 v[75:76], v[75:76], -v[99:100]
	buffer_store_dword v73, off, s[20:23], 0 offset:16 ; 4-byte Folded Spill
	s_nop 0
	buffer_store_dword v74, off, s[20:23], 0 offset:20 ; 4-byte Folded Spill
	buffer_store_dword v75, off, s[20:23], 0 offset:24 ; 4-byte Folded Spill
	;; [unrolled: 1-line block ×3, first 2 shown]
	v_mov_b32_e32 v76, v72
	v_mov_b32_e32 v75, v71
	;; [unrolled: 1-line block ×4, first 2 shown]
	ds_read2_b64 v[99:102], v125 offset0:62 offset1:63
	buffer_load_dword v69, off, s[20:23], 0 ; 4-byte Folded Reload
	buffer_load_dword v70, off, s[20:23], 0 offset:4 ; 4-byte Folded Reload
	buffer_load_dword v71, off, s[20:23], 0 offset:8 ; 4-byte Folded Reload
	;; [unrolled: 1-line block ×3, first 2 shown]
	s_waitcnt lgkmcnt(0)
	v_mul_f64 v[103:104], v[101:102], v[105:106]
	v_fma_f64 v[103:104], v[99:100], v[97:98], -v[103:104]
	v_mul_f64 v[99:100], v[99:100], v[105:106]
	v_fma_f64 v[99:100], v[101:102], v[97:98], v[99:100]
	s_waitcnt vmcnt(2)
	v_add_f64 v[69:70], v[69:70], -v[103:104]
	s_waitcnt vmcnt(0)
	v_add_f64 v[71:72], v[71:72], -v[99:100]
	buffer_store_dword v69, off, s[20:23], 0 ; 4-byte Folded Spill
	s_nop 0
	buffer_store_dword v70, off, s[20:23], 0 offset:4 ; 4-byte Folded Spill
	buffer_store_dword v71, off, s[20:23], 0 offset:8 ; 4-byte Folded Spill
	;; [unrolled: 1-line block ×3, first 2 shown]
	ds_read2_b64 v[99:102], v125 offset0:64 offset1:65
	s_waitcnt lgkmcnt(0)
	v_mul_f64 v[103:104], v[101:102], v[105:106]
	v_fma_f64 v[103:104], v[99:100], v[97:98], -v[103:104]
	v_mul_f64 v[99:100], v[99:100], v[105:106]
	v_add_f64 v[65:66], v[65:66], -v[103:104]
	v_fma_f64 v[99:100], v[101:102], v[97:98], v[99:100]
	v_add_f64 v[67:68], v[67:68], -v[99:100]
	ds_read2_b64 v[99:102], v125 offset0:66 offset1:67
	s_waitcnt lgkmcnt(0)
	v_mul_f64 v[103:104], v[101:102], v[105:106]
	v_fma_f64 v[103:104], v[99:100], v[97:98], -v[103:104]
	v_mul_f64 v[99:100], v[99:100], v[105:106]
	v_add_f64 v[61:62], v[61:62], -v[103:104]
	v_fma_f64 v[99:100], v[101:102], v[97:98], v[99:100]
	v_add_f64 v[63:64], v[63:64], -v[99:100]
	;; [unrolled: 8-line block ×17, first 2 shown]
	ds_read2_b64 v[99:102], v125 offset0:98 offset1:99
	s_waitcnt lgkmcnt(0)
	v_mul_f64 v[103:104], v[101:102], v[105:106]
	v_fma_f64 v[103:104], v[99:100], v[97:98], -v[103:104]
	v_mul_f64 v[99:100], v[99:100], v[105:106]
	v_add_f64 v[73:74], v[73:74], -v[103:104]
	v_fma_f64 v[99:100], v[101:102], v[97:98], v[99:100]
	v_mov_b32_e32 v104, v98
	v_mov_b32_e32 v103, v97
	buffer_store_dword v103, off, s[20:23], 0 offset:144 ; 4-byte Folded Spill
	s_nop 0
	buffer_store_dword v104, off, s[20:23], 0 offset:148 ; 4-byte Folded Spill
	buffer_store_dword v105, off, s[20:23], 0 offset:152 ; 4-byte Folded Spill
	;; [unrolled: 1-line block ×3, first 2 shown]
	v_add_f64 v[75:76], v[75:76], -v[99:100]
.LBB99_163:
	s_or_b64 exec, exec, s[2:3]
	v_cmp_eq_u32_e32 vcc, 18, v0
	s_waitcnt vmcnt(0)
	s_barrier
	s_and_saveexec_b64 s[4:5], vcc
	s_cbranch_execz .LBB99_170
; %bb.164:
	buffer_load_dword v69, off, s[20:23], 0 offset:128 ; 4-byte Folded Reload
	buffer_load_dword v70, off, s[20:23], 0 offset:132 ; 4-byte Folded Reload
	;; [unrolled: 1-line block ×4, first 2 shown]
	s_waitcnt vmcnt(0)
	ds_write2_b64 v127, v[69:70], v[71:72] offset1:1
	buffer_load_dword v69, off, s[20:23], 0 offset:112 ; 4-byte Folded Reload
	buffer_load_dword v70, off, s[20:23], 0 offset:116 ; 4-byte Folded Reload
	buffer_load_dword v71, off, s[20:23], 0 offset:120 ; 4-byte Folded Reload
	buffer_load_dword v72, off, s[20:23], 0 offset:124 ; 4-byte Folded Reload
	s_waitcnt vmcnt(0)
	ds_write2_b64 v125, v[69:70], v[71:72] offset0:38 offset1:39
	buffer_load_dword v69, off, s[20:23], 0 offset:96 ; 4-byte Folded Reload
	buffer_load_dword v70, off, s[20:23], 0 offset:100 ; 4-byte Folded Reload
	buffer_load_dword v71, off, s[20:23], 0 offset:104 ; 4-byte Folded Reload
	buffer_load_dword v72, off, s[20:23], 0 offset:108 ; 4-byte Folded Reload
	s_waitcnt vmcnt(0)
	ds_write2_b64 v125, v[69:70], v[71:72] offset0:40 offset1:41
	;; [unrolled: 6-line block ×5, first 2 shown]
	ds_write2_b64 v125, v[121:122], v[123:124] offset0:48 offset1:49
	ds_write2_b64 v125, v[117:118], v[119:120] offset0:50 offset1:51
	;; [unrolled: 1-line block ×5, first 2 shown]
	buffer_load_dword v77, off, s[20:23], 0 offset:32 ; 4-byte Folded Reload
	buffer_load_dword v78, off, s[20:23], 0 offset:36 ; 4-byte Folded Reload
	;; [unrolled: 1-line block ×4, first 2 shown]
	v_mov_b32_e32 v69, v73
	v_mov_b32_e32 v70, v74
	;; [unrolled: 1-line block ×4, first 2 shown]
	s_waitcnt vmcnt(0)
	ds_write2_b64 v125, v[77:78], v[79:80] offset0:58 offset1:59
	buffer_load_dword v73, off, s[20:23], 0 offset:16 ; 4-byte Folded Reload
	buffer_load_dword v74, off, s[20:23], 0 offset:20 ; 4-byte Folded Reload
	;; [unrolled: 1-line block ×4, first 2 shown]
	s_waitcnt vmcnt(0)
	ds_write2_b64 v125, v[73:74], v[75:76] offset0:60 offset1:61
	v_mov_b32_e32 v76, v72
	v_mov_b32_e32 v75, v71
	;; [unrolled: 1-line block ×4, first 2 shown]
	buffer_load_dword v69, off, s[20:23], 0 ; 4-byte Folded Reload
	buffer_load_dword v70, off, s[20:23], 0 offset:4 ; 4-byte Folded Reload
	buffer_load_dword v71, off, s[20:23], 0 offset:8 ; 4-byte Folded Reload
	buffer_load_dword v72, off, s[20:23], 0 offset:12 ; 4-byte Folded Reload
	s_waitcnt vmcnt(0)
	ds_write2_b64 v125, v[69:70], v[71:72] offset0:62 offset1:63
	ds_write2_b64 v125, v[65:66], v[67:68] offset0:64 offset1:65
	;; [unrolled: 1-line block ×19, first 2 shown]
	ds_read2_b64 v[97:100], v127 offset1:1
	s_waitcnt lgkmcnt(0)
	v_cmp_neq_f64_e32 vcc, 0, v[97:98]
	v_cmp_neq_f64_e64 s[2:3], 0, v[99:100]
	s_or_b64 s[2:3], vcc, s[2:3]
	s_and_b64 exec, exec, s[2:3]
	s_cbranch_execz .LBB99_170
; %bb.165:
	v_cmp_ngt_f64_e64 s[2:3], |v[97:98]|, |v[99:100]|
                                        ; implicit-def: $vgpr101_vgpr102
	s_and_saveexec_b64 s[6:7], s[2:3]
	s_xor_b64 s[2:3], exec, s[6:7]
                                        ; implicit-def: $vgpr103_vgpr104
	s_cbranch_execz .LBB99_167
; %bb.166:
	v_div_scale_f64 v[101:102], s[6:7], v[99:100], v[99:100], v[97:98]
	v_rcp_f64_e32 v[103:104], v[101:102]
	v_fma_f64 v[105:106], -v[101:102], v[103:104], 1.0
	v_fma_f64 v[103:104], v[103:104], v[105:106], v[103:104]
	v_div_scale_f64 v[105:106], vcc, v[97:98], v[99:100], v[97:98]
	v_fma_f64 v[107:108], -v[101:102], v[103:104], 1.0
	v_fma_f64 v[103:104], v[103:104], v[107:108], v[103:104]
	v_mul_f64 v[107:108], v[105:106], v[103:104]
	v_fma_f64 v[101:102], -v[101:102], v[107:108], v[105:106]
	v_div_fmas_f64 v[101:102], v[101:102], v[103:104], v[107:108]
	v_div_fixup_f64 v[101:102], v[101:102], v[99:100], v[97:98]
	v_fma_f64 v[97:98], v[97:98], v[101:102], v[99:100]
	v_div_scale_f64 v[99:100], s[6:7], v[97:98], v[97:98], 1.0
	v_div_scale_f64 v[107:108], vcc, 1.0, v[97:98], 1.0
	v_rcp_f64_e32 v[103:104], v[99:100]
	v_fma_f64 v[105:106], -v[99:100], v[103:104], 1.0
	v_fma_f64 v[103:104], v[103:104], v[105:106], v[103:104]
	v_fma_f64 v[105:106], -v[99:100], v[103:104], 1.0
	v_fma_f64 v[103:104], v[103:104], v[105:106], v[103:104]
	v_mul_f64 v[105:106], v[107:108], v[103:104]
	v_fma_f64 v[99:100], -v[99:100], v[105:106], v[107:108]
	v_div_fmas_f64 v[99:100], v[99:100], v[103:104], v[105:106]
	v_div_fixup_f64 v[103:104], v[99:100], v[97:98], 1.0
                                        ; implicit-def: $vgpr97_vgpr98
	v_mul_f64 v[101:102], v[101:102], v[103:104]
	v_xor_b32_e32 v104, 0x80000000, v104
.LBB99_167:
	s_andn2_saveexec_b64 s[2:3], s[2:3]
	s_cbranch_execz .LBB99_169
; %bb.168:
	v_div_scale_f64 v[101:102], s[6:7], v[97:98], v[97:98], v[99:100]
	v_rcp_f64_e32 v[103:104], v[101:102]
	v_fma_f64 v[105:106], -v[101:102], v[103:104], 1.0
	v_fma_f64 v[103:104], v[103:104], v[105:106], v[103:104]
	v_div_scale_f64 v[105:106], vcc, v[99:100], v[97:98], v[99:100]
	v_fma_f64 v[107:108], -v[101:102], v[103:104], 1.0
	v_fma_f64 v[103:104], v[103:104], v[107:108], v[103:104]
	v_mul_f64 v[107:108], v[105:106], v[103:104]
	v_fma_f64 v[101:102], -v[101:102], v[107:108], v[105:106]
	v_div_fmas_f64 v[101:102], v[101:102], v[103:104], v[107:108]
	v_div_fixup_f64 v[103:104], v[101:102], v[97:98], v[99:100]
	v_fma_f64 v[97:98], v[99:100], v[103:104], v[97:98]
	v_div_scale_f64 v[99:100], s[6:7], v[97:98], v[97:98], 1.0
	v_div_scale_f64 v[107:108], vcc, 1.0, v[97:98], 1.0
	v_rcp_f64_e32 v[101:102], v[99:100]
	v_fma_f64 v[105:106], -v[99:100], v[101:102], 1.0
	v_fma_f64 v[101:102], v[101:102], v[105:106], v[101:102]
	v_fma_f64 v[105:106], -v[99:100], v[101:102], 1.0
	v_fma_f64 v[101:102], v[101:102], v[105:106], v[101:102]
	v_mul_f64 v[105:106], v[107:108], v[101:102]
	v_fma_f64 v[99:100], -v[99:100], v[105:106], v[107:108]
	v_div_fmas_f64 v[99:100], v[99:100], v[101:102], v[105:106]
	v_div_fixup_f64 v[101:102], v[99:100], v[97:98], 1.0
	v_mul_f64 v[103:104], v[103:104], -v[101:102]
.LBB99_169:
	s_or_b64 exec, exec, s[2:3]
	ds_write2_b64 v127, v[101:102], v[103:104] offset1:1
.LBB99_170:
	s_or_b64 exec, exec, s[4:5]
	s_waitcnt lgkmcnt(0)
	s_barrier
	ds_read2_b64 v[69:72], v127 offset1:1
	v_cmp_lt_u32_e32 vcc, 18, v0
	s_waitcnt lgkmcnt(0)
	buffer_store_dword v69, off, s[20:23], 0 offset:1112 ; 4-byte Folded Spill
	s_nop 0
	buffer_store_dword v70, off, s[20:23], 0 offset:1116 ; 4-byte Folded Spill
	buffer_store_dword v71, off, s[20:23], 0 offset:1120 ; 4-byte Folded Spill
	;; [unrolled: 1-line block ×3, first 2 shown]
	s_and_saveexec_b64 s[2:3], vcc
	s_cbranch_execz .LBB99_172
; %bb.171:
	buffer_load_dword v103, off, s[20:23], 0 offset:128 ; 4-byte Folded Reload
	buffer_load_dword v104, off, s[20:23], 0 offset:132 ; 4-byte Folded Reload
	;; [unrolled: 1-line block ×8, first 2 shown]
	s_waitcnt vmcnt(2)
	v_mul_f64 v[99:100], v[69:70], v[105:106]
	s_waitcnt vmcnt(0)
	v_mul_f64 v[97:98], v[71:72], v[105:106]
	v_fma_f64 v[105:106], v[71:72], v[103:104], v[99:100]
	ds_read2_b64 v[99:102], v125 offset0:38 offset1:39
	v_fma_f64 v[97:98], v[69:70], v[103:104], -v[97:98]
	buffer_load_dword v69, off, s[20:23], 0 offset:112 ; 4-byte Folded Reload
	buffer_load_dword v70, off, s[20:23], 0 offset:116 ; 4-byte Folded Reload
	buffer_load_dword v71, off, s[20:23], 0 offset:120 ; 4-byte Folded Reload
	buffer_load_dword v72, off, s[20:23], 0 offset:124 ; 4-byte Folded Reload
	s_waitcnt lgkmcnt(0)
	v_mul_f64 v[103:104], v[101:102], v[105:106]
	v_fma_f64 v[103:104], v[99:100], v[97:98], -v[103:104]
	v_mul_f64 v[99:100], v[99:100], v[105:106]
	v_fma_f64 v[99:100], v[101:102], v[97:98], v[99:100]
	s_waitcnt vmcnt(2)
	v_add_f64 v[69:70], v[69:70], -v[103:104]
	s_waitcnt vmcnt(0)
	v_add_f64 v[71:72], v[71:72], -v[99:100]
	buffer_store_dword v69, off, s[20:23], 0 offset:112 ; 4-byte Folded Spill
	s_nop 0
	buffer_store_dword v70, off, s[20:23], 0 offset:116 ; 4-byte Folded Spill
	buffer_store_dword v71, off, s[20:23], 0 offset:120 ; 4-byte Folded Spill
	buffer_store_dword v72, off, s[20:23], 0 offset:124 ; 4-byte Folded Spill
	ds_read2_b64 v[99:102], v125 offset0:40 offset1:41
	buffer_load_dword v69, off, s[20:23], 0 offset:96 ; 4-byte Folded Reload
	buffer_load_dword v70, off, s[20:23], 0 offset:100 ; 4-byte Folded Reload
	buffer_load_dword v71, off, s[20:23], 0 offset:104 ; 4-byte Folded Reload
	buffer_load_dword v72, off, s[20:23], 0 offset:108 ; 4-byte Folded Reload
	s_waitcnt lgkmcnt(0)
	v_mul_f64 v[103:104], v[101:102], v[105:106]
	v_fma_f64 v[103:104], v[99:100], v[97:98], -v[103:104]
	v_mul_f64 v[99:100], v[99:100], v[105:106]
	v_fma_f64 v[99:100], v[101:102], v[97:98], v[99:100]
	s_waitcnt vmcnt(2)
	v_add_f64 v[69:70], v[69:70], -v[103:104]
	s_waitcnt vmcnt(0)
	v_add_f64 v[71:72], v[71:72], -v[99:100]
	buffer_store_dword v69, off, s[20:23], 0 offset:96 ; 4-byte Folded Spill
	s_nop 0
	buffer_store_dword v70, off, s[20:23], 0 offset:100 ; 4-byte Folded Spill
	buffer_store_dword v71, off, s[20:23], 0 offset:104 ; 4-byte Folded Spill
	buffer_store_dword v72, off, s[20:23], 0 offset:108 ; 4-byte Folded Spill
	ds_read2_b64 v[99:102], v125 offset0:42 offset1:43
	;; [unrolled: 19-line block ×5, first 2 shown]
	v_mov_b32_e32 v69, v73
	v_mov_b32_e32 v70, v74
	;; [unrolled: 1-line block ×4, first 2 shown]
	s_waitcnt lgkmcnt(0)
	v_mul_f64 v[103:104], v[101:102], v[105:106]
	v_fma_f64 v[103:104], v[99:100], v[97:98], -v[103:104]
	v_mul_f64 v[99:100], v[99:100], v[105:106]
	v_add_f64 v[121:122], v[121:122], -v[103:104]
	v_fma_f64 v[99:100], v[101:102], v[97:98], v[99:100]
	v_add_f64 v[123:124], v[123:124], -v[99:100]
	ds_read2_b64 v[99:102], v125 offset0:50 offset1:51
	s_waitcnt lgkmcnt(0)
	v_mul_f64 v[103:104], v[101:102], v[105:106]
	v_fma_f64 v[103:104], v[99:100], v[97:98], -v[103:104]
	v_mul_f64 v[99:100], v[99:100], v[105:106]
	v_add_f64 v[117:118], v[117:118], -v[103:104]
	v_fma_f64 v[99:100], v[101:102], v[97:98], v[99:100]
	v_add_f64 v[119:120], v[119:120], -v[99:100]
	ds_read2_b64 v[99:102], v125 offset0:52 offset1:53
	;; [unrolled: 8-line block ×5, first 2 shown]
	buffer_load_dword v77, off, s[20:23], 0 offset:32 ; 4-byte Folded Reload
	buffer_load_dword v78, off, s[20:23], 0 offset:36 ; 4-byte Folded Reload
	buffer_load_dword v79, off, s[20:23], 0 offset:40 ; 4-byte Folded Reload
	buffer_load_dword v80, off, s[20:23], 0 offset:44 ; 4-byte Folded Reload
	s_waitcnt lgkmcnt(0)
	v_mul_f64 v[103:104], v[101:102], v[105:106]
	v_fma_f64 v[103:104], v[99:100], v[97:98], -v[103:104]
	v_mul_f64 v[99:100], v[99:100], v[105:106]
	v_fma_f64 v[99:100], v[101:102], v[97:98], v[99:100]
	s_waitcnt vmcnt(2)
	v_add_f64 v[77:78], v[77:78], -v[103:104]
	s_waitcnt vmcnt(0)
	v_add_f64 v[79:80], v[79:80], -v[99:100]
	buffer_store_dword v77, off, s[20:23], 0 offset:32 ; 4-byte Folded Spill
	s_nop 0
	buffer_store_dword v78, off, s[20:23], 0 offset:36 ; 4-byte Folded Spill
	buffer_store_dword v79, off, s[20:23], 0 offset:40 ; 4-byte Folded Spill
	;; [unrolled: 1-line block ×3, first 2 shown]
	ds_read2_b64 v[99:102], v125 offset0:60 offset1:61
	buffer_load_dword v73, off, s[20:23], 0 offset:16 ; 4-byte Folded Reload
	buffer_load_dword v74, off, s[20:23], 0 offset:20 ; 4-byte Folded Reload
	buffer_load_dword v75, off, s[20:23], 0 offset:24 ; 4-byte Folded Reload
	buffer_load_dword v76, off, s[20:23], 0 offset:28 ; 4-byte Folded Reload
	s_waitcnt lgkmcnt(0)
	v_mul_f64 v[103:104], v[101:102], v[105:106]
	v_fma_f64 v[103:104], v[99:100], v[97:98], -v[103:104]
	v_mul_f64 v[99:100], v[99:100], v[105:106]
	v_fma_f64 v[99:100], v[101:102], v[97:98], v[99:100]
	s_waitcnt vmcnt(2)
	v_add_f64 v[73:74], v[73:74], -v[103:104]
	s_waitcnt vmcnt(0)
	v_add_f64 v[75:76], v[75:76], -v[99:100]
	buffer_store_dword v73, off, s[20:23], 0 offset:16 ; 4-byte Folded Spill
	s_nop 0
	buffer_store_dword v74, off, s[20:23], 0 offset:20 ; 4-byte Folded Spill
	buffer_store_dword v75, off, s[20:23], 0 offset:24 ; 4-byte Folded Spill
	;; [unrolled: 1-line block ×3, first 2 shown]
	v_mov_b32_e32 v76, v72
	v_mov_b32_e32 v75, v71
	;; [unrolled: 1-line block ×4, first 2 shown]
	ds_read2_b64 v[99:102], v125 offset0:62 offset1:63
	buffer_load_dword v69, off, s[20:23], 0 ; 4-byte Folded Reload
	buffer_load_dword v70, off, s[20:23], 0 offset:4 ; 4-byte Folded Reload
	buffer_load_dword v71, off, s[20:23], 0 offset:8 ; 4-byte Folded Reload
	;; [unrolled: 1-line block ×3, first 2 shown]
	s_waitcnt lgkmcnt(0)
	v_mul_f64 v[103:104], v[101:102], v[105:106]
	v_fma_f64 v[103:104], v[99:100], v[97:98], -v[103:104]
	v_mul_f64 v[99:100], v[99:100], v[105:106]
	v_fma_f64 v[99:100], v[101:102], v[97:98], v[99:100]
	s_waitcnt vmcnt(2)
	v_add_f64 v[69:70], v[69:70], -v[103:104]
	s_waitcnt vmcnt(0)
	v_add_f64 v[71:72], v[71:72], -v[99:100]
	buffer_store_dword v69, off, s[20:23], 0 ; 4-byte Folded Spill
	s_nop 0
	buffer_store_dword v70, off, s[20:23], 0 offset:4 ; 4-byte Folded Spill
	buffer_store_dword v71, off, s[20:23], 0 offset:8 ; 4-byte Folded Spill
	;; [unrolled: 1-line block ×3, first 2 shown]
	ds_read2_b64 v[99:102], v125 offset0:64 offset1:65
	s_waitcnt lgkmcnt(0)
	v_mul_f64 v[103:104], v[101:102], v[105:106]
	v_fma_f64 v[103:104], v[99:100], v[97:98], -v[103:104]
	v_mul_f64 v[99:100], v[99:100], v[105:106]
	v_add_f64 v[65:66], v[65:66], -v[103:104]
	v_fma_f64 v[99:100], v[101:102], v[97:98], v[99:100]
	v_add_f64 v[67:68], v[67:68], -v[99:100]
	ds_read2_b64 v[99:102], v125 offset0:66 offset1:67
	s_waitcnt lgkmcnt(0)
	v_mul_f64 v[103:104], v[101:102], v[105:106]
	v_fma_f64 v[103:104], v[99:100], v[97:98], -v[103:104]
	v_mul_f64 v[99:100], v[99:100], v[105:106]
	v_add_f64 v[61:62], v[61:62], -v[103:104]
	v_fma_f64 v[99:100], v[101:102], v[97:98], v[99:100]
	v_add_f64 v[63:64], v[63:64], -v[99:100]
	;; [unrolled: 8-line block ×17, first 2 shown]
	ds_read2_b64 v[99:102], v125 offset0:98 offset1:99
	s_waitcnt lgkmcnt(0)
	v_mul_f64 v[103:104], v[101:102], v[105:106]
	v_fma_f64 v[103:104], v[99:100], v[97:98], -v[103:104]
	v_mul_f64 v[99:100], v[99:100], v[105:106]
	v_add_f64 v[73:74], v[73:74], -v[103:104]
	v_fma_f64 v[99:100], v[101:102], v[97:98], v[99:100]
	v_mov_b32_e32 v104, v98
	v_mov_b32_e32 v103, v97
	buffer_store_dword v103, off, s[20:23], 0 offset:128 ; 4-byte Folded Spill
	s_nop 0
	buffer_store_dword v104, off, s[20:23], 0 offset:132 ; 4-byte Folded Spill
	buffer_store_dword v105, off, s[20:23], 0 offset:136 ; 4-byte Folded Spill
	;; [unrolled: 1-line block ×3, first 2 shown]
	v_add_f64 v[75:76], v[75:76], -v[99:100]
.LBB99_172:
	s_or_b64 exec, exec, s[2:3]
	v_cmp_eq_u32_e32 vcc, 19, v0
	s_waitcnt vmcnt(0)
	s_barrier
	s_and_saveexec_b64 s[4:5], vcc
	s_cbranch_execz .LBB99_179
; %bb.173:
	buffer_load_dword v69, off, s[20:23], 0 offset:112 ; 4-byte Folded Reload
	buffer_load_dword v70, off, s[20:23], 0 offset:116 ; 4-byte Folded Reload
	;; [unrolled: 1-line block ×4, first 2 shown]
	s_waitcnt vmcnt(0)
	ds_write2_b64 v127, v[69:70], v[71:72] offset1:1
	buffer_load_dword v69, off, s[20:23], 0 offset:96 ; 4-byte Folded Reload
	buffer_load_dword v70, off, s[20:23], 0 offset:100 ; 4-byte Folded Reload
	buffer_load_dword v71, off, s[20:23], 0 offset:104 ; 4-byte Folded Reload
	buffer_load_dword v72, off, s[20:23], 0 offset:108 ; 4-byte Folded Reload
	s_waitcnt vmcnt(0)
	ds_write2_b64 v125, v[69:70], v[71:72] offset0:40 offset1:41
	buffer_load_dword v69, off, s[20:23], 0 offset:80 ; 4-byte Folded Reload
	buffer_load_dword v70, off, s[20:23], 0 offset:84 ; 4-byte Folded Reload
	buffer_load_dword v71, off, s[20:23], 0 offset:88 ; 4-byte Folded Reload
	buffer_load_dword v72, off, s[20:23], 0 offset:92 ; 4-byte Folded Reload
	s_waitcnt vmcnt(0)
	ds_write2_b64 v125, v[69:70], v[71:72] offset0:42 offset1:43
	;; [unrolled: 6-line block ×4, first 2 shown]
	ds_write2_b64 v125, v[121:122], v[123:124] offset0:48 offset1:49
	ds_write2_b64 v125, v[117:118], v[119:120] offset0:50 offset1:51
	;; [unrolled: 1-line block ×5, first 2 shown]
	buffer_load_dword v77, off, s[20:23], 0 offset:32 ; 4-byte Folded Reload
	buffer_load_dword v78, off, s[20:23], 0 offset:36 ; 4-byte Folded Reload
	;; [unrolled: 1-line block ×4, first 2 shown]
	v_mov_b32_e32 v69, v73
	v_mov_b32_e32 v70, v74
	;; [unrolled: 1-line block ×4, first 2 shown]
	s_waitcnt vmcnt(0)
	ds_write2_b64 v125, v[77:78], v[79:80] offset0:58 offset1:59
	buffer_load_dword v73, off, s[20:23], 0 offset:16 ; 4-byte Folded Reload
	buffer_load_dword v74, off, s[20:23], 0 offset:20 ; 4-byte Folded Reload
	;; [unrolled: 1-line block ×4, first 2 shown]
	s_waitcnt vmcnt(0)
	ds_write2_b64 v125, v[73:74], v[75:76] offset0:60 offset1:61
	v_mov_b32_e32 v76, v72
	v_mov_b32_e32 v75, v71
	;; [unrolled: 1-line block ×4, first 2 shown]
	buffer_load_dword v69, off, s[20:23], 0 ; 4-byte Folded Reload
	buffer_load_dword v70, off, s[20:23], 0 offset:4 ; 4-byte Folded Reload
	buffer_load_dword v71, off, s[20:23], 0 offset:8 ; 4-byte Folded Reload
	;; [unrolled: 1-line block ×3, first 2 shown]
	s_waitcnt vmcnt(0)
	ds_write2_b64 v125, v[69:70], v[71:72] offset0:62 offset1:63
	ds_write2_b64 v125, v[65:66], v[67:68] offset0:64 offset1:65
	ds_write2_b64 v125, v[61:62], v[63:64] offset0:66 offset1:67
	ds_write2_b64 v125, v[57:58], v[59:60] offset0:68 offset1:69
	ds_write2_b64 v125, v[53:54], v[55:56] offset0:70 offset1:71
	ds_write2_b64 v125, v[49:50], v[51:52] offset0:72 offset1:73
	ds_write2_b64 v125, v[45:46], v[47:48] offset0:74 offset1:75
	ds_write2_b64 v125, v[41:42], v[43:44] offset0:76 offset1:77
	ds_write2_b64 v125, v[37:38], v[39:40] offset0:78 offset1:79
	ds_write2_b64 v125, v[33:34], v[35:36] offset0:80 offset1:81
	ds_write2_b64 v125, v[29:30], v[31:32] offset0:82 offset1:83
	ds_write2_b64 v125, v[25:26], v[27:28] offset0:84 offset1:85
	ds_write2_b64 v125, v[21:22], v[23:24] offset0:86 offset1:87
	ds_write2_b64 v125, v[17:18], v[19:20] offset0:88 offset1:89
	ds_write2_b64 v125, v[13:14], v[15:16] offset0:90 offset1:91
	ds_write2_b64 v125, v[9:10], v[11:12] offset0:92 offset1:93
	ds_write2_b64 v125, v[5:6], v[7:8] offset0:94 offset1:95
	ds_write2_b64 v125, v[1:2], v[3:4] offset0:96 offset1:97
	ds_write2_b64 v125, v[73:74], v[75:76] offset0:98 offset1:99
	ds_read2_b64 v[97:100], v127 offset1:1
	s_waitcnt lgkmcnt(0)
	v_cmp_neq_f64_e32 vcc, 0, v[97:98]
	v_cmp_neq_f64_e64 s[2:3], 0, v[99:100]
	s_or_b64 s[2:3], vcc, s[2:3]
	s_and_b64 exec, exec, s[2:3]
	s_cbranch_execz .LBB99_179
; %bb.174:
	v_cmp_ngt_f64_e64 s[2:3], |v[97:98]|, |v[99:100]|
                                        ; implicit-def: $vgpr101_vgpr102
	s_and_saveexec_b64 s[6:7], s[2:3]
	s_xor_b64 s[2:3], exec, s[6:7]
                                        ; implicit-def: $vgpr103_vgpr104
	s_cbranch_execz .LBB99_176
; %bb.175:
	v_div_scale_f64 v[101:102], s[6:7], v[99:100], v[99:100], v[97:98]
	v_rcp_f64_e32 v[103:104], v[101:102]
	v_fma_f64 v[105:106], -v[101:102], v[103:104], 1.0
	v_fma_f64 v[103:104], v[103:104], v[105:106], v[103:104]
	v_div_scale_f64 v[105:106], vcc, v[97:98], v[99:100], v[97:98]
	v_fma_f64 v[107:108], -v[101:102], v[103:104], 1.0
	v_fma_f64 v[103:104], v[103:104], v[107:108], v[103:104]
	v_mul_f64 v[107:108], v[105:106], v[103:104]
	v_fma_f64 v[101:102], -v[101:102], v[107:108], v[105:106]
	v_div_fmas_f64 v[101:102], v[101:102], v[103:104], v[107:108]
	v_div_fixup_f64 v[101:102], v[101:102], v[99:100], v[97:98]
	v_fma_f64 v[97:98], v[97:98], v[101:102], v[99:100]
	v_div_scale_f64 v[99:100], s[6:7], v[97:98], v[97:98], 1.0
	v_div_scale_f64 v[107:108], vcc, 1.0, v[97:98], 1.0
	v_rcp_f64_e32 v[103:104], v[99:100]
	v_fma_f64 v[105:106], -v[99:100], v[103:104], 1.0
	v_fma_f64 v[103:104], v[103:104], v[105:106], v[103:104]
	v_fma_f64 v[105:106], -v[99:100], v[103:104], 1.0
	v_fma_f64 v[103:104], v[103:104], v[105:106], v[103:104]
	v_mul_f64 v[105:106], v[107:108], v[103:104]
	v_fma_f64 v[99:100], -v[99:100], v[105:106], v[107:108]
	v_div_fmas_f64 v[99:100], v[99:100], v[103:104], v[105:106]
	v_div_fixup_f64 v[103:104], v[99:100], v[97:98], 1.0
                                        ; implicit-def: $vgpr97_vgpr98
	v_mul_f64 v[101:102], v[101:102], v[103:104]
	v_xor_b32_e32 v104, 0x80000000, v104
.LBB99_176:
	s_andn2_saveexec_b64 s[2:3], s[2:3]
	s_cbranch_execz .LBB99_178
; %bb.177:
	v_div_scale_f64 v[101:102], s[6:7], v[97:98], v[97:98], v[99:100]
	v_rcp_f64_e32 v[103:104], v[101:102]
	v_fma_f64 v[105:106], -v[101:102], v[103:104], 1.0
	v_fma_f64 v[103:104], v[103:104], v[105:106], v[103:104]
	v_div_scale_f64 v[105:106], vcc, v[99:100], v[97:98], v[99:100]
	v_fma_f64 v[107:108], -v[101:102], v[103:104], 1.0
	v_fma_f64 v[103:104], v[103:104], v[107:108], v[103:104]
	v_mul_f64 v[107:108], v[105:106], v[103:104]
	v_fma_f64 v[101:102], -v[101:102], v[107:108], v[105:106]
	v_div_fmas_f64 v[101:102], v[101:102], v[103:104], v[107:108]
	v_div_fixup_f64 v[103:104], v[101:102], v[97:98], v[99:100]
	v_fma_f64 v[97:98], v[99:100], v[103:104], v[97:98]
	v_div_scale_f64 v[99:100], s[6:7], v[97:98], v[97:98], 1.0
	v_div_scale_f64 v[107:108], vcc, 1.0, v[97:98], 1.0
	v_rcp_f64_e32 v[101:102], v[99:100]
	v_fma_f64 v[105:106], -v[99:100], v[101:102], 1.0
	v_fma_f64 v[101:102], v[101:102], v[105:106], v[101:102]
	v_fma_f64 v[105:106], -v[99:100], v[101:102], 1.0
	v_fma_f64 v[101:102], v[101:102], v[105:106], v[101:102]
	v_mul_f64 v[105:106], v[107:108], v[101:102]
	v_fma_f64 v[99:100], -v[99:100], v[105:106], v[107:108]
	v_div_fmas_f64 v[99:100], v[99:100], v[101:102], v[105:106]
	v_div_fixup_f64 v[101:102], v[99:100], v[97:98], 1.0
	v_mul_f64 v[103:104], v[103:104], -v[101:102]
.LBB99_178:
	s_or_b64 exec, exec, s[2:3]
	ds_write2_b64 v127, v[101:102], v[103:104] offset1:1
.LBB99_179:
	s_or_b64 exec, exec, s[4:5]
	s_waitcnt lgkmcnt(0)
	s_barrier
	ds_read2_b64 v[69:72], v127 offset1:1
	v_cmp_lt_u32_e32 vcc, 19, v0
	s_waitcnt lgkmcnt(0)
	buffer_store_dword v69, off, s[20:23], 0 offset:1128 ; 4-byte Folded Spill
	s_nop 0
	buffer_store_dword v70, off, s[20:23], 0 offset:1132 ; 4-byte Folded Spill
	buffer_store_dword v71, off, s[20:23], 0 offset:1136 ; 4-byte Folded Spill
	;; [unrolled: 1-line block ×3, first 2 shown]
	s_and_saveexec_b64 s[2:3], vcc
	s_cbranch_execz .LBB99_181
; %bb.180:
	buffer_load_dword v103, off, s[20:23], 0 offset:112 ; 4-byte Folded Reload
	buffer_load_dword v104, off, s[20:23], 0 offset:116 ; 4-byte Folded Reload
	;; [unrolled: 1-line block ×8, first 2 shown]
	s_waitcnt vmcnt(2)
	v_mul_f64 v[99:100], v[69:70], v[105:106]
	s_waitcnt vmcnt(0)
	v_mul_f64 v[97:98], v[71:72], v[105:106]
	v_fma_f64 v[105:106], v[71:72], v[103:104], v[99:100]
	ds_read2_b64 v[99:102], v125 offset0:40 offset1:41
	v_fma_f64 v[97:98], v[69:70], v[103:104], -v[97:98]
	buffer_load_dword v69, off, s[20:23], 0 offset:96 ; 4-byte Folded Reload
	buffer_load_dword v70, off, s[20:23], 0 offset:100 ; 4-byte Folded Reload
	buffer_load_dword v71, off, s[20:23], 0 offset:104 ; 4-byte Folded Reload
	buffer_load_dword v72, off, s[20:23], 0 offset:108 ; 4-byte Folded Reload
	s_waitcnt lgkmcnt(0)
	v_mul_f64 v[103:104], v[101:102], v[105:106]
	v_fma_f64 v[103:104], v[99:100], v[97:98], -v[103:104]
	v_mul_f64 v[99:100], v[99:100], v[105:106]
	v_fma_f64 v[99:100], v[101:102], v[97:98], v[99:100]
	s_waitcnt vmcnt(2)
	v_add_f64 v[69:70], v[69:70], -v[103:104]
	s_waitcnt vmcnt(0)
	v_add_f64 v[71:72], v[71:72], -v[99:100]
	buffer_store_dword v69, off, s[20:23], 0 offset:96 ; 4-byte Folded Spill
	s_nop 0
	buffer_store_dword v70, off, s[20:23], 0 offset:100 ; 4-byte Folded Spill
	buffer_store_dword v71, off, s[20:23], 0 offset:104 ; 4-byte Folded Spill
	buffer_store_dword v72, off, s[20:23], 0 offset:108 ; 4-byte Folded Spill
	ds_read2_b64 v[99:102], v125 offset0:42 offset1:43
	buffer_load_dword v69, off, s[20:23], 0 offset:80 ; 4-byte Folded Reload
	buffer_load_dword v70, off, s[20:23], 0 offset:84 ; 4-byte Folded Reload
	buffer_load_dword v71, off, s[20:23], 0 offset:88 ; 4-byte Folded Reload
	buffer_load_dword v72, off, s[20:23], 0 offset:92 ; 4-byte Folded Reload
	s_waitcnt lgkmcnt(0)
	v_mul_f64 v[103:104], v[101:102], v[105:106]
	v_fma_f64 v[103:104], v[99:100], v[97:98], -v[103:104]
	v_mul_f64 v[99:100], v[99:100], v[105:106]
	v_fma_f64 v[99:100], v[101:102], v[97:98], v[99:100]
	s_waitcnt vmcnt(2)
	v_add_f64 v[69:70], v[69:70], -v[103:104]
	s_waitcnt vmcnt(0)
	v_add_f64 v[71:72], v[71:72], -v[99:100]
	buffer_store_dword v69, off, s[20:23], 0 offset:80 ; 4-byte Folded Spill
	s_nop 0
	buffer_store_dword v70, off, s[20:23], 0 offset:84 ; 4-byte Folded Spill
	buffer_store_dword v71, off, s[20:23], 0 offset:88 ; 4-byte Folded Spill
	buffer_store_dword v72, off, s[20:23], 0 offset:92 ; 4-byte Folded Spill
	ds_read2_b64 v[99:102], v125 offset0:44 offset1:45
	;; [unrolled: 19-line block ×4, first 2 shown]
	v_mov_b32_e32 v69, v73
	v_mov_b32_e32 v70, v74
	;; [unrolled: 1-line block ×4, first 2 shown]
	s_waitcnt lgkmcnt(0)
	v_mul_f64 v[103:104], v[101:102], v[105:106]
	v_fma_f64 v[103:104], v[99:100], v[97:98], -v[103:104]
	v_mul_f64 v[99:100], v[99:100], v[105:106]
	v_add_f64 v[121:122], v[121:122], -v[103:104]
	v_fma_f64 v[99:100], v[101:102], v[97:98], v[99:100]
	v_add_f64 v[123:124], v[123:124], -v[99:100]
	ds_read2_b64 v[99:102], v125 offset0:50 offset1:51
	s_waitcnt lgkmcnt(0)
	v_mul_f64 v[103:104], v[101:102], v[105:106]
	v_fma_f64 v[103:104], v[99:100], v[97:98], -v[103:104]
	v_mul_f64 v[99:100], v[99:100], v[105:106]
	v_add_f64 v[117:118], v[117:118], -v[103:104]
	v_fma_f64 v[99:100], v[101:102], v[97:98], v[99:100]
	v_add_f64 v[119:120], v[119:120], -v[99:100]
	ds_read2_b64 v[99:102], v125 offset0:52 offset1:53
	;; [unrolled: 8-line block ×5, first 2 shown]
	buffer_load_dword v77, off, s[20:23], 0 offset:32 ; 4-byte Folded Reload
	buffer_load_dword v78, off, s[20:23], 0 offset:36 ; 4-byte Folded Reload
	;; [unrolled: 1-line block ×4, first 2 shown]
	s_waitcnt lgkmcnt(0)
	v_mul_f64 v[103:104], v[101:102], v[105:106]
	v_fma_f64 v[103:104], v[99:100], v[97:98], -v[103:104]
	v_mul_f64 v[99:100], v[99:100], v[105:106]
	v_fma_f64 v[99:100], v[101:102], v[97:98], v[99:100]
	s_waitcnt vmcnt(2)
	v_add_f64 v[77:78], v[77:78], -v[103:104]
	s_waitcnt vmcnt(0)
	v_add_f64 v[79:80], v[79:80], -v[99:100]
	buffer_store_dword v77, off, s[20:23], 0 offset:32 ; 4-byte Folded Spill
	s_nop 0
	buffer_store_dword v78, off, s[20:23], 0 offset:36 ; 4-byte Folded Spill
	buffer_store_dword v79, off, s[20:23], 0 offset:40 ; 4-byte Folded Spill
	;; [unrolled: 1-line block ×3, first 2 shown]
	ds_read2_b64 v[99:102], v125 offset0:60 offset1:61
	buffer_load_dword v73, off, s[20:23], 0 offset:16 ; 4-byte Folded Reload
	buffer_load_dword v74, off, s[20:23], 0 offset:20 ; 4-byte Folded Reload
	;; [unrolled: 1-line block ×4, first 2 shown]
	s_waitcnt lgkmcnt(0)
	v_mul_f64 v[103:104], v[101:102], v[105:106]
	v_fma_f64 v[103:104], v[99:100], v[97:98], -v[103:104]
	v_mul_f64 v[99:100], v[99:100], v[105:106]
	v_fma_f64 v[99:100], v[101:102], v[97:98], v[99:100]
	s_waitcnt vmcnt(2)
	v_add_f64 v[73:74], v[73:74], -v[103:104]
	s_waitcnt vmcnt(0)
	v_add_f64 v[75:76], v[75:76], -v[99:100]
	buffer_store_dword v73, off, s[20:23], 0 offset:16 ; 4-byte Folded Spill
	s_nop 0
	buffer_store_dword v74, off, s[20:23], 0 offset:20 ; 4-byte Folded Spill
	buffer_store_dword v75, off, s[20:23], 0 offset:24 ; 4-byte Folded Spill
	;; [unrolled: 1-line block ×3, first 2 shown]
	v_mov_b32_e32 v76, v72
	v_mov_b32_e32 v75, v71
	;; [unrolled: 1-line block ×4, first 2 shown]
	ds_read2_b64 v[99:102], v125 offset0:62 offset1:63
	buffer_load_dword v69, off, s[20:23], 0 ; 4-byte Folded Reload
	buffer_load_dword v70, off, s[20:23], 0 offset:4 ; 4-byte Folded Reload
	buffer_load_dword v71, off, s[20:23], 0 offset:8 ; 4-byte Folded Reload
	;; [unrolled: 1-line block ×3, first 2 shown]
	s_waitcnt lgkmcnt(0)
	v_mul_f64 v[103:104], v[101:102], v[105:106]
	v_fma_f64 v[103:104], v[99:100], v[97:98], -v[103:104]
	v_mul_f64 v[99:100], v[99:100], v[105:106]
	v_fma_f64 v[99:100], v[101:102], v[97:98], v[99:100]
	s_waitcnt vmcnt(2)
	v_add_f64 v[69:70], v[69:70], -v[103:104]
	s_waitcnt vmcnt(0)
	v_add_f64 v[71:72], v[71:72], -v[99:100]
	buffer_store_dword v69, off, s[20:23], 0 ; 4-byte Folded Spill
	s_nop 0
	buffer_store_dword v70, off, s[20:23], 0 offset:4 ; 4-byte Folded Spill
	buffer_store_dword v71, off, s[20:23], 0 offset:8 ; 4-byte Folded Spill
	;; [unrolled: 1-line block ×3, first 2 shown]
	ds_read2_b64 v[99:102], v125 offset0:64 offset1:65
	s_waitcnt lgkmcnt(0)
	v_mul_f64 v[103:104], v[101:102], v[105:106]
	v_fma_f64 v[103:104], v[99:100], v[97:98], -v[103:104]
	v_mul_f64 v[99:100], v[99:100], v[105:106]
	v_add_f64 v[65:66], v[65:66], -v[103:104]
	v_fma_f64 v[99:100], v[101:102], v[97:98], v[99:100]
	v_add_f64 v[67:68], v[67:68], -v[99:100]
	ds_read2_b64 v[99:102], v125 offset0:66 offset1:67
	s_waitcnt lgkmcnt(0)
	v_mul_f64 v[103:104], v[101:102], v[105:106]
	v_fma_f64 v[103:104], v[99:100], v[97:98], -v[103:104]
	v_mul_f64 v[99:100], v[99:100], v[105:106]
	v_add_f64 v[61:62], v[61:62], -v[103:104]
	v_fma_f64 v[99:100], v[101:102], v[97:98], v[99:100]
	v_add_f64 v[63:64], v[63:64], -v[99:100]
	;; [unrolled: 8-line block ×17, first 2 shown]
	ds_read2_b64 v[99:102], v125 offset0:98 offset1:99
	s_waitcnt lgkmcnt(0)
	v_mul_f64 v[103:104], v[101:102], v[105:106]
	v_fma_f64 v[103:104], v[99:100], v[97:98], -v[103:104]
	v_mul_f64 v[99:100], v[99:100], v[105:106]
	v_add_f64 v[73:74], v[73:74], -v[103:104]
	v_fma_f64 v[99:100], v[101:102], v[97:98], v[99:100]
	v_mov_b32_e32 v104, v98
	v_mov_b32_e32 v103, v97
	buffer_store_dword v103, off, s[20:23], 0 offset:112 ; 4-byte Folded Spill
	s_nop 0
	buffer_store_dword v104, off, s[20:23], 0 offset:116 ; 4-byte Folded Spill
	buffer_store_dword v105, off, s[20:23], 0 offset:120 ; 4-byte Folded Spill
	buffer_store_dword v106, off, s[20:23], 0 offset:124 ; 4-byte Folded Spill
	v_add_f64 v[75:76], v[75:76], -v[99:100]
.LBB99_181:
	s_or_b64 exec, exec, s[2:3]
	v_cmp_eq_u32_e32 vcc, 20, v0
	s_waitcnt vmcnt(0)
	s_barrier
	s_and_saveexec_b64 s[4:5], vcc
	s_cbranch_execz .LBB99_188
; %bb.182:
	buffer_load_dword v69, off, s[20:23], 0 offset:96 ; 4-byte Folded Reload
	buffer_load_dword v70, off, s[20:23], 0 offset:100 ; 4-byte Folded Reload
	;; [unrolled: 1-line block ×4, first 2 shown]
	s_waitcnt vmcnt(0)
	ds_write2_b64 v127, v[69:70], v[71:72] offset1:1
	buffer_load_dword v69, off, s[20:23], 0 offset:80 ; 4-byte Folded Reload
	buffer_load_dword v70, off, s[20:23], 0 offset:84 ; 4-byte Folded Reload
	buffer_load_dword v71, off, s[20:23], 0 offset:88 ; 4-byte Folded Reload
	buffer_load_dword v72, off, s[20:23], 0 offset:92 ; 4-byte Folded Reload
	s_waitcnt vmcnt(0)
	ds_write2_b64 v125, v[69:70], v[71:72] offset0:42 offset1:43
	buffer_load_dword v69, off, s[20:23], 0 offset:64 ; 4-byte Folded Reload
	buffer_load_dword v70, off, s[20:23], 0 offset:68 ; 4-byte Folded Reload
	buffer_load_dword v71, off, s[20:23], 0 offset:72 ; 4-byte Folded Reload
	buffer_load_dword v72, off, s[20:23], 0 offset:76 ; 4-byte Folded Reload
	s_waitcnt vmcnt(0)
	ds_write2_b64 v125, v[69:70], v[71:72] offset0:44 offset1:45
	;; [unrolled: 6-line block ×3, first 2 shown]
	ds_write2_b64 v125, v[121:122], v[123:124] offset0:48 offset1:49
	ds_write2_b64 v125, v[117:118], v[119:120] offset0:50 offset1:51
	;; [unrolled: 1-line block ×5, first 2 shown]
	buffer_load_dword v77, off, s[20:23], 0 offset:32 ; 4-byte Folded Reload
	buffer_load_dword v78, off, s[20:23], 0 offset:36 ; 4-byte Folded Reload
	;; [unrolled: 1-line block ×4, first 2 shown]
	v_mov_b32_e32 v69, v73
	v_mov_b32_e32 v70, v74
	;; [unrolled: 1-line block ×4, first 2 shown]
	s_waitcnt vmcnt(0)
	ds_write2_b64 v125, v[77:78], v[79:80] offset0:58 offset1:59
	buffer_load_dword v73, off, s[20:23], 0 offset:16 ; 4-byte Folded Reload
	buffer_load_dword v74, off, s[20:23], 0 offset:20 ; 4-byte Folded Reload
	;; [unrolled: 1-line block ×4, first 2 shown]
	s_waitcnt vmcnt(0)
	ds_write2_b64 v125, v[73:74], v[75:76] offset0:60 offset1:61
	v_mov_b32_e32 v76, v72
	v_mov_b32_e32 v75, v71
	;; [unrolled: 1-line block ×4, first 2 shown]
	buffer_load_dword v69, off, s[20:23], 0 ; 4-byte Folded Reload
	buffer_load_dword v70, off, s[20:23], 0 offset:4 ; 4-byte Folded Reload
	buffer_load_dword v71, off, s[20:23], 0 offset:8 ; 4-byte Folded Reload
	;; [unrolled: 1-line block ×3, first 2 shown]
	s_waitcnt vmcnt(0)
	ds_write2_b64 v125, v[69:70], v[71:72] offset0:62 offset1:63
	ds_write2_b64 v125, v[65:66], v[67:68] offset0:64 offset1:65
	;; [unrolled: 1-line block ×19, first 2 shown]
	ds_read2_b64 v[97:100], v127 offset1:1
	s_waitcnt lgkmcnt(0)
	v_cmp_neq_f64_e32 vcc, 0, v[97:98]
	v_cmp_neq_f64_e64 s[2:3], 0, v[99:100]
	s_or_b64 s[2:3], vcc, s[2:3]
	s_and_b64 exec, exec, s[2:3]
	s_cbranch_execz .LBB99_188
; %bb.183:
	v_cmp_ngt_f64_e64 s[2:3], |v[97:98]|, |v[99:100]|
                                        ; implicit-def: $vgpr101_vgpr102
	s_and_saveexec_b64 s[6:7], s[2:3]
	s_xor_b64 s[2:3], exec, s[6:7]
                                        ; implicit-def: $vgpr103_vgpr104
	s_cbranch_execz .LBB99_185
; %bb.184:
	v_div_scale_f64 v[101:102], s[6:7], v[99:100], v[99:100], v[97:98]
	v_rcp_f64_e32 v[103:104], v[101:102]
	v_fma_f64 v[105:106], -v[101:102], v[103:104], 1.0
	v_fma_f64 v[103:104], v[103:104], v[105:106], v[103:104]
	v_div_scale_f64 v[105:106], vcc, v[97:98], v[99:100], v[97:98]
	v_fma_f64 v[107:108], -v[101:102], v[103:104], 1.0
	v_fma_f64 v[103:104], v[103:104], v[107:108], v[103:104]
	v_mul_f64 v[107:108], v[105:106], v[103:104]
	v_fma_f64 v[101:102], -v[101:102], v[107:108], v[105:106]
	v_div_fmas_f64 v[101:102], v[101:102], v[103:104], v[107:108]
	v_div_fixup_f64 v[101:102], v[101:102], v[99:100], v[97:98]
	v_fma_f64 v[97:98], v[97:98], v[101:102], v[99:100]
	v_div_scale_f64 v[99:100], s[6:7], v[97:98], v[97:98], 1.0
	v_div_scale_f64 v[107:108], vcc, 1.0, v[97:98], 1.0
	v_rcp_f64_e32 v[103:104], v[99:100]
	v_fma_f64 v[105:106], -v[99:100], v[103:104], 1.0
	v_fma_f64 v[103:104], v[103:104], v[105:106], v[103:104]
	v_fma_f64 v[105:106], -v[99:100], v[103:104], 1.0
	v_fma_f64 v[103:104], v[103:104], v[105:106], v[103:104]
	v_mul_f64 v[105:106], v[107:108], v[103:104]
	v_fma_f64 v[99:100], -v[99:100], v[105:106], v[107:108]
	v_div_fmas_f64 v[99:100], v[99:100], v[103:104], v[105:106]
	v_div_fixup_f64 v[103:104], v[99:100], v[97:98], 1.0
                                        ; implicit-def: $vgpr97_vgpr98
	v_mul_f64 v[101:102], v[101:102], v[103:104]
	v_xor_b32_e32 v104, 0x80000000, v104
.LBB99_185:
	s_andn2_saveexec_b64 s[2:3], s[2:3]
	s_cbranch_execz .LBB99_187
; %bb.186:
	v_div_scale_f64 v[101:102], s[6:7], v[97:98], v[97:98], v[99:100]
	v_rcp_f64_e32 v[103:104], v[101:102]
	v_fma_f64 v[105:106], -v[101:102], v[103:104], 1.0
	v_fma_f64 v[103:104], v[103:104], v[105:106], v[103:104]
	v_div_scale_f64 v[105:106], vcc, v[99:100], v[97:98], v[99:100]
	v_fma_f64 v[107:108], -v[101:102], v[103:104], 1.0
	v_fma_f64 v[103:104], v[103:104], v[107:108], v[103:104]
	v_mul_f64 v[107:108], v[105:106], v[103:104]
	v_fma_f64 v[101:102], -v[101:102], v[107:108], v[105:106]
	v_div_fmas_f64 v[101:102], v[101:102], v[103:104], v[107:108]
	v_div_fixup_f64 v[103:104], v[101:102], v[97:98], v[99:100]
	v_fma_f64 v[97:98], v[99:100], v[103:104], v[97:98]
	v_div_scale_f64 v[99:100], s[6:7], v[97:98], v[97:98], 1.0
	v_div_scale_f64 v[107:108], vcc, 1.0, v[97:98], 1.0
	v_rcp_f64_e32 v[101:102], v[99:100]
	v_fma_f64 v[105:106], -v[99:100], v[101:102], 1.0
	v_fma_f64 v[101:102], v[101:102], v[105:106], v[101:102]
	v_fma_f64 v[105:106], -v[99:100], v[101:102], 1.0
	v_fma_f64 v[101:102], v[101:102], v[105:106], v[101:102]
	v_mul_f64 v[105:106], v[107:108], v[101:102]
	v_fma_f64 v[99:100], -v[99:100], v[105:106], v[107:108]
	v_div_fmas_f64 v[99:100], v[99:100], v[101:102], v[105:106]
	v_div_fixup_f64 v[101:102], v[99:100], v[97:98], 1.0
	v_mul_f64 v[103:104], v[103:104], -v[101:102]
.LBB99_187:
	s_or_b64 exec, exec, s[2:3]
	ds_write2_b64 v127, v[101:102], v[103:104] offset1:1
.LBB99_188:
	s_or_b64 exec, exec, s[4:5]
	s_waitcnt lgkmcnt(0)
	s_barrier
	ds_read2_b64 v[69:72], v127 offset1:1
	v_cmp_lt_u32_e32 vcc, 20, v0
	s_waitcnt lgkmcnt(0)
	buffer_store_dword v69, off, s[20:23], 0 offset:1144 ; 4-byte Folded Spill
	s_nop 0
	buffer_store_dword v70, off, s[20:23], 0 offset:1148 ; 4-byte Folded Spill
	buffer_store_dword v71, off, s[20:23], 0 offset:1152 ; 4-byte Folded Spill
	;; [unrolled: 1-line block ×3, first 2 shown]
	s_and_saveexec_b64 s[2:3], vcc
	s_cbranch_execz .LBB99_190
; %bb.189:
	buffer_load_dword v103, off, s[20:23], 0 offset:96 ; 4-byte Folded Reload
	buffer_load_dword v104, off, s[20:23], 0 offset:100 ; 4-byte Folded Reload
	;; [unrolled: 1-line block ×8, first 2 shown]
	s_waitcnt vmcnt(2)
	v_mul_f64 v[99:100], v[69:70], v[105:106]
	s_waitcnt vmcnt(0)
	v_mul_f64 v[97:98], v[71:72], v[105:106]
	v_fma_f64 v[105:106], v[71:72], v[103:104], v[99:100]
	ds_read2_b64 v[99:102], v125 offset0:42 offset1:43
	v_fma_f64 v[97:98], v[69:70], v[103:104], -v[97:98]
	buffer_load_dword v69, off, s[20:23], 0 offset:80 ; 4-byte Folded Reload
	buffer_load_dword v70, off, s[20:23], 0 offset:84 ; 4-byte Folded Reload
	buffer_load_dword v71, off, s[20:23], 0 offset:88 ; 4-byte Folded Reload
	buffer_load_dword v72, off, s[20:23], 0 offset:92 ; 4-byte Folded Reload
	s_waitcnt lgkmcnt(0)
	v_mul_f64 v[103:104], v[101:102], v[105:106]
	v_fma_f64 v[103:104], v[99:100], v[97:98], -v[103:104]
	v_mul_f64 v[99:100], v[99:100], v[105:106]
	v_fma_f64 v[99:100], v[101:102], v[97:98], v[99:100]
	s_waitcnt vmcnt(2)
	v_add_f64 v[69:70], v[69:70], -v[103:104]
	s_waitcnt vmcnt(0)
	v_add_f64 v[71:72], v[71:72], -v[99:100]
	buffer_store_dword v69, off, s[20:23], 0 offset:80 ; 4-byte Folded Spill
	s_nop 0
	buffer_store_dword v70, off, s[20:23], 0 offset:84 ; 4-byte Folded Spill
	buffer_store_dword v71, off, s[20:23], 0 offset:88 ; 4-byte Folded Spill
	buffer_store_dword v72, off, s[20:23], 0 offset:92 ; 4-byte Folded Spill
	ds_read2_b64 v[99:102], v125 offset0:44 offset1:45
	buffer_load_dword v69, off, s[20:23], 0 offset:64 ; 4-byte Folded Reload
	buffer_load_dword v70, off, s[20:23], 0 offset:68 ; 4-byte Folded Reload
	buffer_load_dword v71, off, s[20:23], 0 offset:72 ; 4-byte Folded Reload
	buffer_load_dword v72, off, s[20:23], 0 offset:76 ; 4-byte Folded Reload
	s_waitcnt lgkmcnt(0)
	v_mul_f64 v[103:104], v[101:102], v[105:106]
	v_fma_f64 v[103:104], v[99:100], v[97:98], -v[103:104]
	v_mul_f64 v[99:100], v[99:100], v[105:106]
	v_fma_f64 v[99:100], v[101:102], v[97:98], v[99:100]
	s_waitcnt vmcnt(2)
	v_add_f64 v[69:70], v[69:70], -v[103:104]
	s_waitcnt vmcnt(0)
	v_add_f64 v[71:72], v[71:72], -v[99:100]
	buffer_store_dword v69, off, s[20:23], 0 offset:64 ; 4-byte Folded Spill
	s_nop 0
	buffer_store_dword v70, off, s[20:23], 0 offset:68 ; 4-byte Folded Spill
	buffer_store_dword v71, off, s[20:23], 0 offset:72 ; 4-byte Folded Spill
	buffer_store_dword v72, off, s[20:23], 0 offset:76 ; 4-byte Folded Spill
	ds_read2_b64 v[99:102], v125 offset0:46 offset1:47
	;; [unrolled: 19-line block ×3, first 2 shown]
	v_mov_b32_e32 v69, v73
	v_mov_b32_e32 v70, v74
	;; [unrolled: 1-line block ×4, first 2 shown]
	s_waitcnt lgkmcnt(0)
	v_mul_f64 v[103:104], v[101:102], v[105:106]
	v_fma_f64 v[103:104], v[99:100], v[97:98], -v[103:104]
	v_mul_f64 v[99:100], v[99:100], v[105:106]
	v_add_f64 v[121:122], v[121:122], -v[103:104]
	v_fma_f64 v[99:100], v[101:102], v[97:98], v[99:100]
	v_add_f64 v[123:124], v[123:124], -v[99:100]
	ds_read2_b64 v[99:102], v125 offset0:50 offset1:51
	s_waitcnt lgkmcnt(0)
	v_mul_f64 v[103:104], v[101:102], v[105:106]
	v_fma_f64 v[103:104], v[99:100], v[97:98], -v[103:104]
	v_mul_f64 v[99:100], v[99:100], v[105:106]
	v_add_f64 v[117:118], v[117:118], -v[103:104]
	v_fma_f64 v[99:100], v[101:102], v[97:98], v[99:100]
	v_add_f64 v[119:120], v[119:120], -v[99:100]
	ds_read2_b64 v[99:102], v125 offset0:52 offset1:53
	;; [unrolled: 8-line block ×5, first 2 shown]
	buffer_load_dword v77, off, s[20:23], 0 offset:32 ; 4-byte Folded Reload
	buffer_load_dword v78, off, s[20:23], 0 offset:36 ; 4-byte Folded Reload
	;; [unrolled: 1-line block ×4, first 2 shown]
	s_waitcnt lgkmcnt(0)
	v_mul_f64 v[103:104], v[101:102], v[105:106]
	v_fma_f64 v[103:104], v[99:100], v[97:98], -v[103:104]
	v_mul_f64 v[99:100], v[99:100], v[105:106]
	v_fma_f64 v[99:100], v[101:102], v[97:98], v[99:100]
	s_waitcnt vmcnt(2)
	v_add_f64 v[77:78], v[77:78], -v[103:104]
	s_waitcnt vmcnt(0)
	v_add_f64 v[79:80], v[79:80], -v[99:100]
	buffer_store_dword v77, off, s[20:23], 0 offset:32 ; 4-byte Folded Spill
	s_nop 0
	buffer_store_dword v78, off, s[20:23], 0 offset:36 ; 4-byte Folded Spill
	buffer_store_dword v79, off, s[20:23], 0 offset:40 ; 4-byte Folded Spill
	;; [unrolled: 1-line block ×3, first 2 shown]
	ds_read2_b64 v[99:102], v125 offset0:60 offset1:61
	buffer_load_dword v73, off, s[20:23], 0 offset:16 ; 4-byte Folded Reload
	buffer_load_dword v74, off, s[20:23], 0 offset:20 ; 4-byte Folded Reload
	;; [unrolled: 1-line block ×4, first 2 shown]
	s_waitcnt lgkmcnt(0)
	v_mul_f64 v[103:104], v[101:102], v[105:106]
	v_fma_f64 v[103:104], v[99:100], v[97:98], -v[103:104]
	v_mul_f64 v[99:100], v[99:100], v[105:106]
	v_fma_f64 v[99:100], v[101:102], v[97:98], v[99:100]
	s_waitcnt vmcnt(2)
	v_add_f64 v[73:74], v[73:74], -v[103:104]
	s_waitcnt vmcnt(0)
	v_add_f64 v[75:76], v[75:76], -v[99:100]
	buffer_store_dword v73, off, s[20:23], 0 offset:16 ; 4-byte Folded Spill
	s_nop 0
	buffer_store_dword v74, off, s[20:23], 0 offset:20 ; 4-byte Folded Spill
	buffer_store_dword v75, off, s[20:23], 0 offset:24 ; 4-byte Folded Spill
	;; [unrolled: 1-line block ×3, first 2 shown]
	v_mov_b32_e32 v76, v72
	v_mov_b32_e32 v75, v71
	;; [unrolled: 1-line block ×4, first 2 shown]
	ds_read2_b64 v[99:102], v125 offset0:62 offset1:63
	buffer_load_dword v69, off, s[20:23], 0 ; 4-byte Folded Reload
	buffer_load_dword v70, off, s[20:23], 0 offset:4 ; 4-byte Folded Reload
	buffer_load_dword v71, off, s[20:23], 0 offset:8 ; 4-byte Folded Reload
	;; [unrolled: 1-line block ×3, first 2 shown]
	s_waitcnt lgkmcnt(0)
	v_mul_f64 v[103:104], v[101:102], v[105:106]
	v_fma_f64 v[103:104], v[99:100], v[97:98], -v[103:104]
	v_mul_f64 v[99:100], v[99:100], v[105:106]
	v_fma_f64 v[99:100], v[101:102], v[97:98], v[99:100]
	s_waitcnt vmcnt(2)
	v_add_f64 v[69:70], v[69:70], -v[103:104]
	s_waitcnt vmcnt(0)
	v_add_f64 v[71:72], v[71:72], -v[99:100]
	buffer_store_dword v69, off, s[20:23], 0 ; 4-byte Folded Spill
	s_nop 0
	buffer_store_dword v70, off, s[20:23], 0 offset:4 ; 4-byte Folded Spill
	buffer_store_dword v71, off, s[20:23], 0 offset:8 ; 4-byte Folded Spill
	;; [unrolled: 1-line block ×3, first 2 shown]
	ds_read2_b64 v[99:102], v125 offset0:64 offset1:65
	s_waitcnt lgkmcnt(0)
	v_mul_f64 v[103:104], v[101:102], v[105:106]
	v_fma_f64 v[103:104], v[99:100], v[97:98], -v[103:104]
	v_mul_f64 v[99:100], v[99:100], v[105:106]
	v_add_f64 v[65:66], v[65:66], -v[103:104]
	v_fma_f64 v[99:100], v[101:102], v[97:98], v[99:100]
	v_add_f64 v[67:68], v[67:68], -v[99:100]
	ds_read2_b64 v[99:102], v125 offset0:66 offset1:67
	s_waitcnt lgkmcnt(0)
	v_mul_f64 v[103:104], v[101:102], v[105:106]
	v_fma_f64 v[103:104], v[99:100], v[97:98], -v[103:104]
	v_mul_f64 v[99:100], v[99:100], v[105:106]
	v_add_f64 v[61:62], v[61:62], -v[103:104]
	v_fma_f64 v[99:100], v[101:102], v[97:98], v[99:100]
	v_add_f64 v[63:64], v[63:64], -v[99:100]
	;; [unrolled: 8-line block ×17, first 2 shown]
	ds_read2_b64 v[99:102], v125 offset0:98 offset1:99
	s_waitcnt lgkmcnt(0)
	v_mul_f64 v[103:104], v[101:102], v[105:106]
	v_fma_f64 v[103:104], v[99:100], v[97:98], -v[103:104]
	v_mul_f64 v[99:100], v[99:100], v[105:106]
	v_add_f64 v[73:74], v[73:74], -v[103:104]
	v_fma_f64 v[99:100], v[101:102], v[97:98], v[99:100]
	v_mov_b32_e32 v104, v98
	v_mov_b32_e32 v103, v97
	buffer_store_dword v103, off, s[20:23], 0 offset:96 ; 4-byte Folded Spill
	s_nop 0
	buffer_store_dword v104, off, s[20:23], 0 offset:100 ; 4-byte Folded Spill
	buffer_store_dword v105, off, s[20:23], 0 offset:104 ; 4-byte Folded Spill
	;; [unrolled: 1-line block ×3, first 2 shown]
	v_add_f64 v[75:76], v[75:76], -v[99:100]
.LBB99_190:
	s_or_b64 exec, exec, s[2:3]
	v_cmp_eq_u32_e32 vcc, 21, v0
	s_waitcnt vmcnt(0)
	s_barrier
	s_and_saveexec_b64 s[4:5], vcc
	s_cbranch_execz .LBB99_197
; %bb.191:
	buffer_load_dword v69, off, s[20:23], 0 offset:80 ; 4-byte Folded Reload
	buffer_load_dword v70, off, s[20:23], 0 offset:84 ; 4-byte Folded Reload
	;; [unrolled: 1-line block ×4, first 2 shown]
	s_waitcnt vmcnt(0)
	ds_write2_b64 v127, v[69:70], v[71:72] offset1:1
	buffer_load_dword v69, off, s[20:23], 0 offset:64 ; 4-byte Folded Reload
	buffer_load_dword v70, off, s[20:23], 0 offset:68 ; 4-byte Folded Reload
	;; [unrolled: 1-line block ×4, first 2 shown]
	s_waitcnt vmcnt(0)
	ds_write2_b64 v125, v[69:70], v[71:72] offset0:44 offset1:45
	buffer_load_dword v69, off, s[20:23], 0 offset:48 ; 4-byte Folded Reload
	buffer_load_dword v70, off, s[20:23], 0 offset:52 ; 4-byte Folded Reload
	;; [unrolled: 1-line block ×4, first 2 shown]
	s_waitcnt vmcnt(0)
	ds_write2_b64 v125, v[69:70], v[71:72] offset0:46 offset1:47
	ds_write2_b64 v125, v[121:122], v[123:124] offset0:48 offset1:49
	ds_write2_b64 v125, v[117:118], v[119:120] offset0:50 offset1:51
	ds_write2_b64 v125, v[109:110], v[111:112] offset0:52 offset1:53
	ds_write2_b64 v125, v[113:114], v[115:116] offset0:54 offset1:55
	ds_write2_b64 v125, v[93:94], v[95:96] offset0:56 offset1:57
	buffer_load_dword v77, off, s[20:23], 0 offset:32 ; 4-byte Folded Reload
	buffer_load_dword v78, off, s[20:23], 0 offset:36 ; 4-byte Folded Reload
	;; [unrolled: 1-line block ×4, first 2 shown]
	v_mov_b32_e32 v69, v73
	v_mov_b32_e32 v70, v74
	;; [unrolled: 1-line block ×4, first 2 shown]
	s_waitcnt vmcnt(0)
	ds_write2_b64 v125, v[77:78], v[79:80] offset0:58 offset1:59
	buffer_load_dword v73, off, s[20:23], 0 offset:16 ; 4-byte Folded Reload
	buffer_load_dword v74, off, s[20:23], 0 offset:20 ; 4-byte Folded Reload
	;; [unrolled: 1-line block ×4, first 2 shown]
	s_waitcnt vmcnt(0)
	ds_write2_b64 v125, v[73:74], v[75:76] offset0:60 offset1:61
	v_mov_b32_e32 v76, v72
	v_mov_b32_e32 v75, v71
	;; [unrolled: 1-line block ×4, first 2 shown]
	buffer_load_dword v69, off, s[20:23], 0 ; 4-byte Folded Reload
	buffer_load_dword v70, off, s[20:23], 0 offset:4 ; 4-byte Folded Reload
	buffer_load_dword v71, off, s[20:23], 0 offset:8 ; 4-byte Folded Reload
	buffer_load_dword v72, off, s[20:23], 0 offset:12 ; 4-byte Folded Reload
	s_waitcnt vmcnt(0)
	ds_write2_b64 v125, v[69:70], v[71:72] offset0:62 offset1:63
	ds_write2_b64 v125, v[65:66], v[67:68] offset0:64 offset1:65
	;; [unrolled: 1-line block ×19, first 2 shown]
	ds_read2_b64 v[97:100], v127 offset1:1
	s_waitcnt lgkmcnt(0)
	v_cmp_neq_f64_e32 vcc, 0, v[97:98]
	v_cmp_neq_f64_e64 s[2:3], 0, v[99:100]
	s_or_b64 s[2:3], vcc, s[2:3]
	s_and_b64 exec, exec, s[2:3]
	s_cbranch_execz .LBB99_197
; %bb.192:
	v_cmp_ngt_f64_e64 s[2:3], |v[97:98]|, |v[99:100]|
                                        ; implicit-def: $vgpr101_vgpr102
	s_and_saveexec_b64 s[6:7], s[2:3]
	s_xor_b64 s[2:3], exec, s[6:7]
                                        ; implicit-def: $vgpr103_vgpr104
	s_cbranch_execz .LBB99_194
; %bb.193:
	v_div_scale_f64 v[101:102], s[6:7], v[99:100], v[99:100], v[97:98]
	v_rcp_f64_e32 v[103:104], v[101:102]
	v_fma_f64 v[105:106], -v[101:102], v[103:104], 1.0
	v_fma_f64 v[103:104], v[103:104], v[105:106], v[103:104]
	v_div_scale_f64 v[105:106], vcc, v[97:98], v[99:100], v[97:98]
	v_fma_f64 v[107:108], -v[101:102], v[103:104], 1.0
	v_fma_f64 v[103:104], v[103:104], v[107:108], v[103:104]
	v_mul_f64 v[107:108], v[105:106], v[103:104]
	v_fma_f64 v[101:102], -v[101:102], v[107:108], v[105:106]
	v_div_fmas_f64 v[101:102], v[101:102], v[103:104], v[107:108]
	v_div_fixup_f64 v[101:102], v[101:102], v[99:100], v[97:98]
	v_fma_f64 v[97:98], v[97:98], v[101:102], v[99:100]
	v_div_scale_f64 v[99:100], s[6:7], v[97:98], v[97:98], 1.0
	v_div_scale_f64 v[107:108], vcc, 1.0, v[97:98], 1.0
	v_rcp_f64_e32 v[103:104], v[99:100]
	v_fma_f64 v[105:106], -v[99:100], v[103:104], 1.0
	v_fma_f64 v[103:104], v[103:104], v[105:106], v[103:104]
	v_fma_f64 v[105:106], -v[99:100], v[103:104], 1.0
	v_fma_f64 v[103:104], v[103:104], v[105:106], v[103:104]
	v_mul_f64 v[105:106], v[107:108], v[103:104]
	v_fma_f64 v[99:100], -v[99:100], v[105:106], v[107:108]
	v_div_fmas_f64 v[99:100], v[99:100], v[103:104], v[105:106]
	v_div_fixup_f64 v[103:104], v[99:100], v[97:98], 1.0
                                        ; implicit-def: $vgpr97_vgpr98
	v_mul_f64 v[101:102], v[101:102], v[103:104]
	v_xor_b32_e32 v104, 0x80000000, v104
.LBB99_194:
	s_andn2_saveexec_b64 s[2:3], s[2:3]
	s_cbranch_execz .LBB99_196
; %bb.195:
	v_div_scale_f64 v[101:102], s[6:7], v[97:98], v[97:98], v[99:100]
	v_rcp_f64_e32 v[103:104], v[101:102]
	v_fma_f64 v[105:106], -v[101:102], v[103:104], 1.0
	v_fma_f64 v[103:104], v[103:104], v[105:106], v[103:104]
	v_div_scale_f64 v[105:106], vcc, v[99:100], v[97:98], v[99:100]
	v_fma_f64 v[107:108], -v[101:102], v[103:104], 1.0
	v_fma_f64 v[103:104], v[103:104], v[107:108], v[103:104]
	v_mul_f64 v[107:108], v[105:106], v[103:104]
	v_fma_f64 v[101:102], -v[101:102], v[107:108], v[105:106]
	v_div_fmas_f64 v[101:102], v[101:102], v[103:104], v[107:108]
	v_div_fixup_f64 v[103:104], v[101:102], v[97:98], v[99:100]
	v_fma_f64 v[97:98], v[99:100], v[103:104], v[97:98]
	v_div_scale_f64 v[99:100], s[6:7], v[97:98], v[97:98], 1.0
	v_div_scale_f64 v[107:108], vcc, 1.0, v[97:98], 1.0
	v_rcp_f64_e32 v[101:102], v[99:100]
	v_fma_f64 v[105:106], -v[99:100], v[101:102], 1.0
	v_fma_f64 v[101:102], v[101:102], v[105:106], v[101:102]
	v_fma_f64 v[105:106], -v[99:100], v[101:102], 1.0
	v_fma_f64 v[101:102], v[101:102], v[105:106], v[101:102]
	v_mul_f64 v[105:106], v[107:108], v[101:102]
	v_fma_f64 v[99:100], -v[99:100], v[105:106], v[107:108]
	v_div_fmas_f64 v[99:100], v[99:100], v[101:102], v[105:106]
	v_div_fixup_f64 v[101:102], v[99:100], v[97:98], 1.0
	v_mul_f64 v[103:104], v[103:104], -v[101:102]
.LBB99_196:
	s_or_b64 exec, exec, s[2:3]
	ds_write2_b64 v127, v[101:102], v[103:104] offset1:1
.LBB99_197:
	s_or_b64 exec, exec, s[4:5]
	s_waitcnt lgkmcnt(0)
	s_barrier
	ds_read2_b64 v[69:72], v127 offset1:1
	v_cmp_lt_u32_e32 vcc, 21, v0
	s_waitcnt lgkmcnt(0)
	buffer_store_dword v69, off, s[20:23], 0 offset:1160 ; 4-byte Folded Spill
	s_nop 0
	buffer_store_dword v70, off, s[20:23], 0 offset:1164 ; 4-byte Folded Spill
	buffer_store_dword v71, off, s[20:23], 0 offset:1168 ; 4-byte Folded Spill
	;; [unrolled: 1-line block ×3, first 2 shown]
	s_and_saveexec_b64 s[2:3], vcc
	s_cbranch_execz .LBB99_199
; %bb.198:
	buffer_load_dword v103, off, s[20:23], 0 offset:80 ; 4-byte Folded Reload
	buffer_load_dword v104, off, s[20:23], 0 offset:84 ; 4-byte Folded Reload
	buffer_load_dword v105, off, s[20:23], 0 offset:88 ; 4-byte Folded Reload
	buffer_load_dword v106, off, s[20:23], 0 offset:92 ; 4-byte Folded Reload
	buffer_load_dword v69, off, s[20:23], 0 offset:1160 ; 4-byte Folded Reload
	buffer_load_dword v70, off, s[20:23], 0 offset:1164 ; 4-byte Folded Reload
	buffer_load_dword v71, off, s[20:23], 0 offset:1168 ; 4-byte Folded Reload
	buffer_load_dword v72, off, s[20:23], 0 offset:1172 ; 4-byte Folded Reload
	s_waitcnt vmcnt(2)
	v_mul_f64 v[99:100], v[69:70], v[105:106]
	s_waitcnt vmcnt(0)
	v_mul_f64 v[97:98], v[71:72], v[105:106]
	v_fma_f64 v[105:106], v[71:72], v[103:104], v[99:100]
	ds_read2_b64 v[99:102], v125 offset0:44 offset1:45
	v_fma_f64 v[97:98], v[69:70], v[103:104], -v[97:98]
	buffer_load_dword v69, off, s[20:23], 0 offset:64 ; 4-byte Folded Reload
	buffer_load_dword v70, off, s[20:23], 0 offset:68 ; 4-byte Folded Reload
	buffer_load_dword v71, off, s[20:23], 0 offset:72 ; 4-byte Folded Reload
	buffer_load_dword v72, off, s[20:23], 0 offset:76 ; 4-byte Folded Reload
	s_waitcnt lgkmcnt(0)
	v_mul_f64 v[103:104], v[101:102], v[105:106]
	v_fma_f64 v[103:104], v[99:100], v[97:98], -v[103:104]
	v_mul_f64 v[99:100], v[99:100], v[105:106]
	v_fma_f64 v[99:100], v[101:102], v[97:98], v[99:100]
	s_waitcnt vmcnt(2)
	v_add_f64 v[69:70], v[69:70], -v[103:104]
	s_waitcnt vmcnt(0)
	v_add_f64 v[71:72], v[71:72], -v[99:100]
	buffer_store_dword v69, off, s[20:23], 0 offset:64 ; 4-byte Folded Spill
	s_nop 0
	buffer_store_dword v70, off, s[20:23], 0 offset:68 ; 4-byte Folded Spill
	buffer_store_dword v71, off, s[20:23], 0 offset:72 ; 4-byte Folded Spill
	;; [unrolled: 1-line block ×3, first 2 shown]
	ds_read2_b64 v[99:102], v125 offset0:46 offset1:47
	buffer_load_dword v69, off, s[20:23], 0 offset:48 ; 4-byte Folded Reload
	buffer_load_dword v70, off, s[20:23], 0 offset:52 ; 4-byte Folded Reload
	;; [unrolled: 1-line block ×4, first 2 shown]
	s_waitcnt lgkmcnt(0)
	v_mul_f64 v[103:104], v[101:102], v[105:106]
	v_fma_f64 v[103:104], v[99:100], v[97:98], -v[103:104]
	v_mul_f64 v[99:100], v[99:100], v[105:106]
	v_fma_f64 v[99:100], v[101:102], v[97:98], v[99:100]
	s_waitcnt vmcnt(2)
	v_add_f64 v[69:70], v[69:70], -v[103:104]
	s_waitcnt vmcnt(0)
	v_add_f64 v[71:72], v[71:72], -v[99:100]
	buffer_store_dword v69, off, s[20:23], 0 offset:48 ; 4-byte Folded Spill
	s_nop 0
	buffer_store_dword v70, off, s[20:23], 0 offset:52 ; 4-byte Folded Spill
	buffer_store_dword v71, off, s[20:23], 0 offset:56 ; 4-byte Folded Spill
	;; [unrolled: 1-line block ×3, first 2 shown]
	ds_read2_b64 v[99:102], v125 offset0:48 offset1:49
	v_mov_b32_e32 v69, v73
	v_mov_b32_e32 v70, v74
	;; [unrolled: 1-line block ×4, first 2 shown]
	s_waitcnt lgkmcnt(0)
	v_mul_f64 v[103:104], v[101:102], v[105:106]
	v_fma_f64 v[103:104], v[99:100], v[97:98], -v[103:104]
	v_mul_f64 v[99:100], v[99:100], v[105:106]
	v_add_f64 v[121:122], v[121:122], -v[103:104]
	v_fma_f64 v[99:100], v[101:102], v[97:98], v[99:100]
	v_add_f64 v[123:124], v[123:124], -v[99:100]
	ds_read2_b64 v[99:102], v125 offset0:50 offset1:51
	s_waitcnt lgkmcnt(0)
	v_mul_f64 v[103:104], v[101:102], v[105:106]
	v_fma_f64 v[103:104], v[99:100], v[97:98], -v[103:104]
	v_mul_f64 v[99:100], v[99:100], v[105:106]
	v_add_f64 v[117:118], v[117:118], -v[103:104]
	v_fma_f64 v[99:100], v[101:102], v[97:98], v[99:100]
	v_add_f64 v[119:120], v[119:120], -v[99:100]
	ds_read2_b64 v[99:102], v125 offset0:52 offset1:53
	;; [unrolled: 8-line block ×5, first 2 shown]
	buffer_load_dword v77, off, s[20:23], 0 offset:32 ; 4-byte Folded Reload
	buffer_load_dword v78, off, s[20:23], 0 offset:36 ; 4-byte Folded Reload
	;; [unrolled: 1-line block ×4, first 2 shown]
	s_waitcnt lgkmcnt(0)
	v_mul_f64 v[103:104], v[101:102], v[105:106]
	v_fma_f64 v[103:104], v[99:100], v[97:98], -v[103:104]
	v_mul_f64 v[99:100], v[99:100], v[105:106]
	v_fma_f64 v[99:100], v[101:102], v[97:98], v[99:100]
	s_waitcnt vmcnt(2)
	v_add_f64 v[77:78], v[77:78], -v[103:104]
	s_waitcnt vmcnt(0)
	v_add_f64 v[79:80], v[79:80], -v[99:100]
	buffer_store_dword v77, off, s[20:23], 0 offset:32 ; 4-byte Folded Spill
	s_nop 0
	buffer_store_dword v78, off, s[20:23], 0 offset:36 ; 4-byte Folded Spill
	buffer_store_dword v79, off, s[20:23], 0 offset:40 ; 4-byte Folded Spill
	;; [unrolled: 1-line block ×3, first 2 shown]
	ds_read2_b64 v[99:102], v125 offset0:60 offset1:61
	buffer_load_dword v73, off, s[20:23], 0 offset:16 ; 4-byte Folded Reload
	buffer_load_dword v74, off, s[20:23], 0 offset:20 ; 4-byte Folded Reload
	;; [unrolled: 1-line block ×4, first 2 shown]
	s_waitcnt lgkmcnt(0)
	v_mul_f64 v[103:104], v[101:102], v[105:106]
	v_fma_f64 v[103:104], v[99:100], v[97:98], -v[103:104]
	v_mul_f64 v[99:100], v[99:100], v[105:106]
	v_fma_f64 v[99:100], v[101:102], v[97:98], v[99:100]
	s_waitcnt vmcnt(2)
	v_add_f64 v[73:74], v[73:74], -v[103:104]
	s_waitcnt vmcnt(0)
	v_add_f64 v[75:76], v[75:76], -v[99:100]
	buffer_store_dword v73, off, s[20:23], 0 offset:16 ; 4-byte Folded Spill
	s_nop 0
	buffer_store_dword v74, off, s[20:23], 0 offset:20 ; 4-byte Folded Spill
	buffer_store_dword v75, off, s[20:23], 0 offset:24 ; 4-byte Folded Spill
	;; [unrolled: 1-line block ×3, first 2 shown]
	v_mov_b32_e32 v76, v72
	v_mov_b32_e32 v75, v71
	;; [unrolled: 1-line block ×4, first 2 shown]
	ds_read2_b64 v[99:102], v125 offset0:62 offset1:63
	buffer_load_dword v69, off, s[20:23], 0 ; 4-byte Folded Reload
	buffer_load_dword v70, off, s[20:23], 0 offset:4 ; 4-byte Folded Reload
	buffer_load_dword v71, off, s[20:23], 0 offset:8 ; 4-byte Folded Reload
	;; [unrolled: 1-line block ×3, first 2 shown]
	s_waitcnt lgkmcnt(0)
	v_mul_f64 v[103:104], v[101:102], v[105:106]
	v_fma_f64 v[103:104], v[99:100], v[97:98], -v[103:104]
	v_mul_f64 v[99:100], v[99:100], v[105:106]
	v_fma_f64 v[99:100], v[101:102], v[97:98], v[99:100]
	s_waitcnt vmcnt(2)
	v_add_f64 v[69:70], v[69:70], -v[103:104]
	s_waitcnt vmcnt(0)
	v_add_f64 v[71:72], v[71:72], -v[99:100]
	buffer_store_dword v69, off, s[20:23], 0 ; 4-byte Folded Spill
	s_nop 0
	buffer_store_dword v70, off, s[20:23], 0 offset:4 ; 4-byte Folded Spill
	buffer_store_dword v71, off, s[20:23], 0 offset:8 ; 4-byte Folded Spill
	;; [unrolled: 1-line block ×3, first 2 shown]
	ds_read2_b64 v[99:102], v125 offset0:64 offset1:65
	s_waitcnt lgkmcnt(0)
	v_mul_f64 v[103:104], v[101:102], v[105:106]
	v_fma_f64 v[103:104], v[99:100], v[97:98], -v[103:104]
	v_mul_f64 v[99:100], v[99:100], v[105:106]
	v_add_f64 v[65:66], v[65:66], -v[103:104]
	v_fma_f64 v[99:100], v[101:102], v[97:98], v[99:100]
	v_add_f64 v[67:68], v[67:68], -v[99:100]
	ds_read2_b64 v[99:102], v125 offset0:66 offset1:67
	s_waitcnt lgkmcnt(0)
	v_mul_f64 v[103:104], v[101:102], v[105:106]
	v_fma_f64 v[103:104], v[99:100], v[97:98], -v[103:104]
	v_mul_f64 v[99:100], v[99:100], v[105:106]
	v_add_f64 v[61:62], v[61:62], -v[103:104]
	v_fma_f64 v[99:100], v[101:102], v[97:98], v[99:100]
	v_add_f64 v[63:64], v[63:64], -v[99:100]
	;; [unrolled: 8-line block ×17, first 2 shown]
	ds_read2_b64 v[99:102], v125 offset0:98 offset1:99
	s_waitcnt lgkmcnt(0)
	v_mul_f64 v[103:104], v[101:102], v[105:106]
	v_fma_f64 v[103:104], v[99:100], v[97:98], -v[103:104]
	v_mul_f64 v[99:100], v[99:100], v[105:106]
	v_add_f64 v[73:74], v[73:74], -v[103:104]
	v_fma_f64 v[99:100], v[101:102], v[97:98], v[99:100]
	v_mov_b32_e32 v104, v98
	v_mov_b32_e32 v103, v97
	buffer_store_dword v103, off, s[20:23], 0 offset:80 ; 4-byte Folded Spill
	s_nop 0
	buffer_store_dword v104, off, s[20:23], 0 offset:84 ; 4-byte Folded Spill
	buffer_store_dword v105, off, s[20:23], 0 offset:88 ; 4-byte Folded Spill
	;; [unrolled: 1-line block ×3, first 2 shown]
	v_add_f64 v[75:76], v[75:76], -v[99:100]
.LBB99_199:
	s_or_b64 exec, exec, s[2:3]
	v_cmp_eq_u32_e32 vcc, 22, v0
	s_waitcnt vmcnt(0)
	s_barrier
	s_and_saveexec_b64 s[4:5], vcc
	s_cbranch_execz .LBB99_206
; %bb.200:
	buffer_load_dword v69, off, s[20:23], 0 offset:64 ; 4-byte Folded Reload
	buffer_load_dword v70, off, s[20:23], 0 offset:68 ; 4-byte Folded Reload
	;; [unrolled: 1-line block ×4, first 2 shown]
	s_waitcnt vmcnt(0)
	ds_write2_b64 v127, v[69:70], v[71:72] offset1:1
	buffer_load_dword v69, off, s[20:23], 0 offset:48 ; 4-byte Folded Reload
	buffer_load_dword v70, off, s[20:23], 0 offset:52 ; 4-byte Folded Reload
	;; [unrolled: 1-line block ×4, first 2 shown]
	s_waitcnt vmcnt(0)
	ds_write2_b64 v125, v[69:70], v[71:72] offset0:46 offset1:47
	ds_write2_b64 v125, v[121:122], v[123:124] offset0:48 offset1:49
	;; [unrolled: 1-line block ×6, first 2 shown]
	buffer_load_dword v77, off, s[20:23], 0 offset:32 ; 4-byte Folded Reload
	buffer_load_dword v78, off, s[20:23], 0 offset:36 ; 4-byte Folded Reload
	;; [unrolled: 1-line block ×4, first 2 shown]
	v_mov_b32_e32 v69, v73
	v_mov_b32_e32 v70, v74
	;; [unrolled: 1-line block ×4, first 2 shown]
	s_waitcnt vmcnt(0)
	ds_write2_b64 v125, v[77:78], v[79:80] offset0:58 offset1:59
	buffer_load_dword v73, off, s[20:23], 0 offset:16 ; 4-byte Folded Reload
	buffer_load_dword v74, off, s[20:23], 0 offset:20 ; 4-byte Folded Reload
	;; [unrolled: 1-line block ×4, first 2 shown]
	s_waitcnt vmcnt(0)
	ds_write2_b64 v125, v[73:74], v[75:76] offset0:60 offset1:61
	v_mov_b32_e32 v76, v72
	v_mov_b32_e32 v75, v71
	;; [unrolled: 1-line block ×4, first 2 shown]
	buffer_load_dword v69, off, s[20:23], 0 ; 4-byte Folded Reload
	buffer_load_dword v70, off, s[20:23], 0 offset:4 ; 4-byte Folded Reload
	buffer_load_dword v71, off, s[20:23], 0 offset:8 ; 4-byte Folded Reload
	;; [unrolled: 1-line block ×3, first 2 shown]
	s_waitcnt vmcnt(0)
	ds_write2_b64 v125, v[69:70], v[71:72] offset0:62 offset1:63
	ds_write2_b64 v125, v[65:66], v[67:68] offset0:64 offset1:65
	;; [unrolled: 1-line block ×19, first 2 shown]
	ds_read2_b64 v[97:100], v127 offset1:1
	s_waitcnt lgkmcnt(0)
	v_cmp_neq_f64_e32 vcc, 0, v[97:98]
	v_cmp_neq_f64_e64 s[2:3], 0, v[99:100]
	s_or_b64 s[2:3], vcc, s[2:3]
	s_and_b64 exec, exec, s[2:3]
	s_cbranch_execz .LBB99_206
; %bb.201:
	v_cmp_ngt_f64_e64 s[2:3], |v[97:98]|, |v[99:100]|
                                        ; implicit-def: $vgpr101_vgpr102
	s_and_saveexec_b64 s[6:7], s[2:3]
	s_xor_b64 s[2:3], exec, s[6:7]
                                        ; implicit-def: $vgpr103_vgpr104
	s_cbranch_execz .LBB99_203
; %bb.202:
	v_div_scale_f64 v[101:102], s[6:7], v[99:100], v[99:100], v[97:98]
	v_rcp_f64_e32 v[103:104], v[101:102]
	v_fma_f64 v[105:106], -v[101:102], v[103:104], 1.0
	v_fma_f64 v[103:104], v[103:104], v[105:106], v[103:104]
	v_div_scale_f64 v[105:106], vcc, v[97:98], v[99:100], v[97:98]
	v_fma_f64 v[107:108], -v[101:102], v[103:104], 1.0
	v_fma_f64 v[103:104], v[103:104], v[107:108], v[103:104]
	v_mul_f64 v[107:108], v[105:106], v[103:104]
	v_fma_f64 v[101:102], -v[101:102], v[107:108], v[105:106]
	v_div_fmas_f64 v[101:102], v[101:102], v[103:104], v[107:108]
	v_div_fixup_f64 v[101:102], v[101:102], v[99:100], v[97:98]
	v_fma_f64 v[97:98], v[97:98], v[101:102], v[99:100]
	v_div_scale_f64 v[99:100], s[6:7], v[97:98], v[97:98], 1.0
	v_div_scale_f64 v[107:108], vcc, 1.0, v[97:98], 1.0
	v_rcp_f64_e32 v[103:104], v[99:100]
	v_fma_f64 v[105:106], -v[99:100], v[103:104], 1.0
	v_fma_f64 v[103:104], v[103:104], v[105:106], v[103:104]
	v_fma_f64 v[105:106], -v[99:100], v[103:104], 1.0
	v_fma_f64 v[103:104], v[103:104], v[105:106], v[103:104]
	v_mul_f64 v[105:106], v[107:108], v[103:104]
	v_fma_f64 v[99:100], -v[99:100], v[105:106], v[107:108]
	v_div_fmas_f64 v[99:100], v[99:100], v[103:104], v[105:106]
	v_div_fixup_f64 v[103:104], v[99:100], v[97:98], 1.0
                                        ; implicit-def: $vgpr97_vgpr98
	v_mul_f64 v[101:102], v[101:102], v[103:104]
	v_xor_b32_e32 v104, 0x80000000, v104
.LBB99_203:
	s_andn2_saveexec_b64 s[2:3], s[2:3]
	s_cbranch_execz .LBB99_205
; %bb.204:
	v_div_scale_f64 v[101:102], s[6:7], v[97:98], v[97:98], v[99:100]
	v_rcp_f64_e32 v[103:104], v[101:102]
	v_fma_f64 v[105:106], -v[101:102], v[103:104], 1.0
	v_fma_f64 v[103:104], v[103:104], v[105:106], v[103:104]
	v_div_scale_f64 v[105:106], vcc, v[99:100], v[97:98], v[99:100]
	v_fma_f64 v[107:108], -v[101:102], v[103:104], 1.0
	v_fma_f64 v[103:104], v[103:104], v[107:108], v[103:104]
	v_mul_f64 v[107:108], v[105:106], v[103:104]
	v_fma_f64 v[101:102], -v[101:102], v[107:108], v[105:106]
	v_div_fmas_f64 v[101:102], v[101:102], v[103:104], v[107:108]
	v_div_fixup_f64 v[103:104], v[101:102], v[97:98], v[99:100]
	v_fma_f64 v[97:98], v[99:100], v[103:104], v[97:98]
	v_div_scale_f64 v[99:100], s[6:7], v[97:98], v[97:98], 1.0
	v_div_scale_f64 v[107:108], vcc, 1.0, v[97:98], 1.0
	v_rcp_f64_e32 v[101:102], v[99:100]
	v_fma_f64 v[105:106], -v[99:100], v[101:102], 1.0
	v_fma_f64 v[101:102], v[101:102], v[105:106], v[101:102]
	v_fma_f64 v[105:106], -v[99:100], v[101:102], 1.0
	v_fma_f64 v[101:102], v[101:102], v[105:106], v[101:102]
	v_mul_f64 v[105:106], v[107:108], v[101:102]
	v_fma_f64 v[99:100], -v[99:100], v[105:106], v[107:108]
	v_div_fmas_f64 v[99:100], v[99:100], v[101:102], v[105:106]
	v_div_fixup_f64 v[101:102], v[99:100], v[97:98], 1.0
	v_mul_f64 v[103:104], v[103:104], -v[101:102]
.LBB99_205:
	s_or_b64 exec, exec, s[2:3]
	ds_write2_b64 v127, v[101:102], v[103:104] offset1:1
.LBB99_206:
	s_or_b64 exec, exec, s[4:5]
	s_waitcnt lgkmcnt(0)
	s_barrier
	ds_read2_b64 v[69:72], v127 offset1:1
	v_cmp_lt_u32_e32 vcc, 22, v0
	s_waitcnt lgkmcnt(0)
	buffer_store_dword v69, off, s[20:23], 0 offset:1176 ; 4-byte Folded Spill
	s_nop 0
	buffer_store_dword v70, off, s[20:23], 0 offset:1180 ; 4-byte Folded Spill
	buffer_store_dword v71, off, s[20:23], 0 offset:1184 ; 4-byte Folded Spill
	;; [unrolled: 1-line block ×3, first 2 shown]
	s_and_saveexec_b64 s[2:3], vcc
	s_cbranch_execz .LBB99_208
; %bb.207:
	buffer_load_dword v103, off, s[20:23], 0 offset:64 ; 4-byte Folded Reload
	buffer_load_dword v104, off, s[20:23], 0 offset:68 ; 4-byte Folded Reload
	;; [unrolled: 1-line block ×8, first 2 shown]
	s_waitcnt vmcnt(2)
	v_mul_f64 v[99:100], v[69:70], v[105:106]
	s_waitcnt vmcnt(0)
	v_mul_f64 v[97:98], v[71:72], v[105:106]
	v_fma_f64 v[105:106], v[71:72], v[103:104], v[99:100]
	ds_read2_b64 v[99:102], v125 offset0:46 offset1:47
	v_fma_f64 v[97:98], v[69:70], v[103:104], -v[97:98]
	buffer_load_dword v69, off, s[20:23], 0 offset:48 ; 4-byte Folded Reload
	buffer_load_dword v70, off, s[20:23], 0 offset:52 ; 4-byte Folded Reload
	;; [unrolled: 1-line block ×4, first 2 shown]
	s_waitcnt lgkmcnt(0)
	v_mul_f64 v[103:104], v[101:102], v[105:106]
	v_fma_f64 v[103:104], v[99:100], v[97:98], -v[103:104]
	v_mul_f64 v[99:100], v[99:100], v[105:106]
	v_fma_f64 v[99:100], v[101:102], v[97:98], v[99:100]
	s_waitcnt vmcnt(2)
	v_add_f64 v[69:70], v[69:70], -v[103:104]
	s_waitcnt vmcnt(0)
	v_add_f64 v[71:72], v[71:72], -v[99:100]
	buffer_store_dword v69, off, s[20:23], 0 offset:48 ; 4-byte Folded Spill
	s_nop 0
	buffer_store_dword v70, off, s[20:23], 0 offset:52 ; 4-byte Folded Spill
	buffer_store_dword v71, off, s[20:23], 0 offset:56 ; 4-byte Folded Spill
	;; [unrolled: 1-line block ×3, first 2 shown]
	ds_read2_b64 v[99:102], v125 offset0:48 offset1:49
	v_mov_b32_e32 v69, v73
	v_mov_b32_e32 v70, v74
	;; [unrolled: 1-line block ×4, first 2 shown]
	s_waitcnt lgkmcnt(0)
	v_mul_f64 v[103:104], v[101:102], v[105:106]
	v_fma_f64 v[103:104], v[99:100], v[97:98], -v[103:104]
	v_mul_f64 v[99:100], v[99:100], v[105:106]
	v_add_f64 v[121:122], v[121:122], -v[103:104]
	v_fma_f64 v[99:100], v[101:102], v[97:98], v[99:100]
	v_add_f64 v[123:124], v[123:124], -v[99:100]
	ds_read2_b64 v[99:102], v125 offset0:50 offset1:51
	s_waitcnt lgkmcnt(0)
	v_mul_f64 v[103:104], v[101:102], v[105:106]
	v_fma_f64 v[103:104], v[99:100], v[97:98], -v[103:104]
	v_mul_f64 v[99:100], v[99:100], v[105:106]
	v_add_f64 v[117:118], v[117:118], -v[103:104]
	v_fma_f64 v[99:100], v[101:102], v[97:98], v[99:100]
	v_add_f64 v[119:120], v[119:120], -v[99:100]
	ds_read2_b64 v[99:102], v125 offset0:52 offset1:53
	;; [unrolled: 8-line block ×5, first 2 shown]
	buffer_load_dword v77, off, s[20:23], 0 offset:32 ; 4-byte Folded Reload
	buffer_load_dword v78, off, s[20:23], 0 offset:36 ; 4-byte Folded Reload
	buffer_load_dword v79, off, s[20:23], 0 offset:40 ; 4-byte Folded Reload
	buffer_load_dword v80, off, s[20:23], 0 offset:44 ; 4-byte Folded Reload
	s_waitcnt lgkmcnt(0)
	v_mul_f64 v[103:104], v[101:102], v[105:106]
	v_fma_f64 v[103:104], v[99:100], v[97:98], -v[103:104]
	v_mul_f64 v[99:100], v[99:100], v[105:106]
	v_fma_f64 v[99:100], v[101:102], v[97:98], v[99:100]
	s_waitcnt vmcnt(2)
	v_add_f64 v[77:78], v[77:78], -v[103:104]
	s_waitcnt vmcnt(0)
	v_add_f64 v[79:80], v[79:80], -v[99:100]
	buffer_store_dword v77, off, s[20:23], 0 offset:32 ; 4-byte Folded Spill
	s_nop 0
	buffer_store_dword v78, off, s[20:23], 0 offset:36 ; 4-byte Folded Spill
	buffer_store_dword v79, off, s[20:23], 0 offset:40 ; 4-byte Folded Spill
	;; [unrolled: 1-line block ×3, first 2 shown]
	ds_read2_b64 v[99:102], v125 offset0:60 offset1:61
	buffer_load_dword v73, off, s[20:23], 0 offset:16 ; 4-byte Folded Reload
	buffer_load_dword v74, off, s[20:23], 0 offset:20 ; 4-byte Folded Reload
	;; [unrolled: 1-line block ×4, first 2 shown]
	s_waitcnt lgkmcnt(0)
	v_mul_f64 v[103:104], v[101:102], v[105:106]
	v_fma_f64 v[103:104], v[99:100], v[97:98], -v[103:104]
	v_mul_f64 v[99:100], v[99:100], v[105:106]
	v_fma_f64 v[99:100], v[101:102], v[97:98], v[99:100]
	s_waitcnt vmcnt(2)
	v_add_f64 v[73:74], v[73:74], -v[103:104]
	s_waitcnt vmcnt(0)
	v_add_f64 v[75:76], v[75:76], -v[99:100]
	buffer_store_dword v73, off, s[20:23], 0 offset:16 ; 4-byte Folded Spill
	s_nop 0
	buffer_store_dword v74, off, s[20:23], 0 offset:20 ; 4-byte Folded Spill
	buffer_store_dword v75, off, s[20:23], 0 offset:24 ; 4-byte Folded Spill
	;; [unrolled: 1-line block ×3, first 2 shown]
	v_mov_b32_e32 v76, v72
	v_mov_b32_e32 v75, v71
	;; [unrolled: 1-line block ×4, first 2 shown]
	ds_read2_b64 v[99:102], v125 offset0:62 offset1:63
	buffer_load_dword v69, off, s[20:23], 0 ; 4-byte Folded Reload
	buffer_load_dword v70, off, s[20:23], 0 offset:4 ; 4-byte Folded Reload
	buffer_load_dword v71, off, s[20:23], 0 offset:8 ; 4-byte Folded Reload
	;; [unrolled: 1-line block ×3, first 2 shown]
	s_waitcnt lgkmcnt(0)
	v_mul_f64 v[103:104], v[101:102], v[105:106]
	v_fma_f64 v[103:104], v[99:100], v[97:98], -v[103:104]
	v_mul_f64 v[99:100], v[99:100], v[105:106]
	v_fma_f64 v[99:100], v[101:102], v[97:98], v[99:100]
	s_waitcnt vmcnt(2)
	v_add_f64 v[69:70], v[69:70], -v[103:104]
	s_waitcnt vmcnt(0)
	v_add_f64 v[71:72], v[71:72], -v[99:100]
	buffer_store_dword v69, off, s[20:23], 0 ; 4-byte Folded Spill
	s_nop 0
	buffer_store_dword v70, off, s[20:23], 0 offset:4 ; 4-byte Folded Spill
	buffer_store_dword v71, off, s[20:23], 0 offset:8 ; 4-byte Folded Spill
	;; [unrolled: 1-line block ×3, first 2 shown]
	ds_read2_b64 v[99:102], v125 offset0:64 offset1:65
	s_waitcnt lgkmcnt(0)
	v_mul_f64 v[103:104], v[101:102], v[105:106]
	v_fma_f64 v[103:104], v[99:100], v[97:98], -v[103:104]
	v_mul_f64 v[99:100], v[99:100], v[105:106]
	v_add_f64 v[65:66], v[65:66], -v[103:104]
	v_fma_f64 v[99:100], v[101:102], v[97:98], v[99:100]
	v_add_f64 v[67:68], v[67:68], -v[99:100]
	ds_read2_b64 v[99:102], v125 offset0:66 offset1:67
	s_waitcnt lgkmcnt(0)
	v_mul_f64 v[103:104], v[101:102], v[105:106]
	v_fma_f64 v[103:104], v[99:100], v[97:98], -v[103:104]
	v_mul_f64 v[99:100], v[99:100], v[105:106]
	v_add_f64 v[61:62], v[61:62], -v[103:104]
	v_fma_f64 v[99:100], v[101:102], v[97:98], v[99:100]
	v_add_f64 v[63:64], v[63:64], -v[99:100]
	;; [unrolled: 8-line block ×17, first 2 shown]
	ds_read2_b64 v[99:102], v125 offset0:98 offset1:99
	s_waitcnt lgkmcnt(0)
	v_mul_f64 v[103:104], v[101:102], v[105:106]
	v_fma_f64 v[103:104], v[99:100], v[97:98], -v[103:104]
	v_mul_f64 v[99:100], v[99:100], v[105:106]
	v_add_f64 v[73:74], v[73:74], -v[103:104]
	v_fma_f64 v[99:100], v[101:102], v[97:98], v[99:100]
	v_mov_b32_e32 v104, v98
	v_mov_b32_e32 v103, v97
	buffer_store_dword v103, off, s[20:23], 0 offset:64 ; 4-byte Folded Spill
	s_nop 0
	buffer_store_dword v104, off, s[20:23], 0 offset:68 ; 4-byte Folded Spill
	buffer_store_dword v105, off, s[20:23], 0 offset:72 ; 4-byte Folded Spill
	;; [unrolled: 1-line block ×3, first 2 shown]
	v_add_f64 v[75:76], v[75:76], -v[99:100]
.LBB99_208:
	s_or_b64 exec, exec, s[2:3]
	v_cmp_eq_u32_e32 vcc, 23, v0
	s_waitcnt vmcnt(0)
	s_barrier
	s_and_saveexec_b64 s[4:5], vcc
	s_cbranch_execz .LBB99_215
; %bb.209:
	buffer_load_dword v69, off, s[20:23], 0 offset:48 ; 4-byte Folded Reload
	buffer_load_dword v70, off, s[20:23], 0 offset:52 ; 4-byte Folded Reload
	;; [unrolled: 1-line block ×4, first 2 shown]
	s_waitcnt vmcnt(0)
	ds_write2_b64 v127, v[69:70], v[71:72] offset1:1
	ds_write2_b64 v125, v[121:122], v[123:124] offset0:48 offset1:49
	ds_write2_b64 v125, v[117:118], v[119:120] offset0:50 offset1:51
	;; [unrolled: 1-line block ×5, first 2 shown]
	buffer_load_dword v77, off, s[20:23], 0 offset:32 ; 4-byte Folded Reload
	buffer_load_dword v78, off, s[20:23], 0 offset:36 ; 4-byte Folded Reload
	;; [unrolled: 1-line block ×4, first 2 shown]
	v_mov_b32_e32 v69, v73
	v_mov_b32_e32 v70, v74
	;; [unrolled: 1-line block ×4, first 2 shown]
	s_waitcnt vmcnt(0)
	ds_write2_b64 v125, v[77:78], v[79:80] offset0:58 offset1:59
	buffer_load_dword v73, off, s[20:23], 0 offset:16 ; 4-byte Folded Reload
	buffer_load_dword v74, off, s[20:23], 0 offset:20 ; 4-byte Folded Reload
	;; [unrolled: 1-line block ×4, first 2 shown]
	s_waitcnt vmcnt(0)
	ds_write2_b64 v125, v[73:74], v[75:76] offset0:60 offset1:61
	v_mov_b32_e32 v76, v72
	v_mov_b32_e32 v75, v71
	;; [unrolled: 1-line block ×4, first 2 shown]
	buffer_load_dword v69, off, s[20:23], 0 ; 4-byte Folded Reload
	buffer_load_dword v70, off, s[20:23], 0 offset:4 ; 4-byte Folded Reload
	buffer_load_dword v71, off, s[20:23], 0 offset:8 ; 4-byte Folded Reload
	buffer_load_dword v72, off, s[20:23], 0 offset:12 ; 4-byte Folded Reload
	s_waitcnt vmcnt(0)
	ds_write2_b64 v125, v[69:70], v[71:72] offset0:62 offset1:63
	ds_write2_b64 v125, v[65:66], v[67:68] offset0:64 offset1:65
	ds_write2_b64 v125, v[61:62], v[63:64] offset0:66 offset1:67
	ds_write2_b64 v125, v[57:58], v[59:60] offset0:68 offset1:69
	ds_write2_b64 v125, v[53:54], v[55:56] offset0:70 offset1:71
	ds_write2_b64 v125, v[49:50], v[51:52] offset0:72 offset1:73
	ds_write2_b64 v125, v[45:46], v[47:48] offset0:74 offset1:75
	ds_write2_b64 v125, v[41:42], v[43:44] offset0:76 offset1:77
	ds_write2_b64 v125, v[37:38], v[39:40] offset0:78 offset1:79
	ds_write2_b64 v125, v[33:34], v[35:36] offset0:80 offset1:81
	ds_write2_b64 v125, v[29:30], v[31:32] offset0:82 offset1:83
	ds_write2_b64 v125, v[25:26], v[27:28] offset0:84 offset1:85
	ds_write2_b64 v125, v[21:22], v[23:24] offset0:86 offset1:87
	ds_write2_b64 v125, v[17:18], v[19:20] offset0:88 offset1:89
	ds_write2_b64 v125, v[13:14], v[15:16] offset0:90 offset1:91
	ds_write2_b64 v125, v[9:10], v[11:12] offset0:92 offset1:93
	ds_write2_b64 v125, v[5:6], v[7:8] offset0:94 offset1:95
	ds_write2_b64 v125, v[1:2], v[3:4] offset0:96 offset1:97
	ds_write2_b64 v125, v[73:74], v[75:76] offset0:98 offset1:99
	ds_read2_b64 v[97:100], v127 offset1:1
	s_waitcnt lgkmcnt(0)
	v_cmp_neq_f64_e32 vcc, 0, v[97:98]
	v_cmp_neq_f64_e64 s[2:3], 0, v[99:100]
	s_or_b64 s[2:3], vcc, s[2:3]
	s_and_b64 exec, exec, s[2:3]
	s_cbranch_execz .LBB99_215
; %bb.210:
	v_cmp_ngt_f64_e64 s[2:3], |v[97:98]|, |v[99:100]|
                                        ; implicit-def: $vgpr101_vgpr102
	s_and_saveexec_b64 s[6:7], s[2:3]
	s_xor_b64 s[2:3], exec, s[6:7]
                                        ; implicit-def: $vgpr103_vgpr104
	s_cbranch_execz .LBB99_212
; %bb.211:
	v_div_scale_f64 v[101:102], s[6:7], v[99:100], v[99:100], v[97:98]
	v_rcp_f64_e32 v[103:104], v[101:102]
	v_fma_f64 v[105:106], -v[101:102], v[103:104], 1.0
	v_fma_f64 v[103:104], v[103:104], v[105:106], v[103:104]
	v_div_scale_f64 v[105:106], vcc, v[97:98], v[99:100], v[97:98]
	v_fma_f64 v[107:108], -v[101:102], v[103:104], 1.0
	v_fma_f64 v[103:104], v[103:104], v[107:108], v[103:104]
	v_mul_f64 v[107:108], v[105:106], v[103:104]
	v_fma_f64 v[101:102], -v[101:102], v[107:108], v[105:106]
	v_div_fmas_f64 v[101:102], v[101:102], v[103:104], v[107:108]
	v_div_fixup_f64 v[101:102], v[101:102], v[99:100], v[97:98]
	v_fma_f64 v[97:98], v[97:98], v[101:102], v[99:100]
	v_div_scale_f64 v[99:100], s[6:7], v[97:98], v[97:98], 1.0
	v_div_scale_f64 v[107:108], vcc, 1.0, v[97:98], 1.0
	v_rcp_f64_e32 v[103:104], v[99:100]
	v_fma_f64 v[105:106], -v[99:100], v[103:104], 1.0
	v_fma_f64 v[103:104], v[103:104], v[105:106], v[103:104]
	v_fma_f64 v[105:106], -v[99:100], v[103:104], 1.0
	v_fma_f64 v[103:104], v[103:104], v[105:106], v[103:104]
	v_mul_f64 v[105:106], v[107:108], v[103:104]
	v_fma_f64 v[99:100], -v[99:100], v[105:106], v[107:108]
	v_div_fmas_f64 v[99:100], v[99:100], v[103:104], v[105:106]
	v_div_fixup_f64 v[103:104], v[99:100], v[97:98], 1.0
                                        ; implicit-def: $vgpr97_vgpr98
	v_mul_f64 v[101:102], v[101:102], v[103:104]
	v_xor_b32_e32 v104, 0x80000000, v104
.LBB99_212:
	s_andn2_saveexec_b64 s[2:3], s[2:3]
	s_cbranch_execz .LBB99_214
; %bb.213:
	v_div_scale_f64 v[101:102], s[6:7], v[97:98], v[97:98], v[99:100]
	v_rcp_f64_e32 v[103:104], v[101:102]
	v_fma_f64 v[105:106], -v[101:102], v[103:104], 1.0
	v_fma_f64 v[103:104], v[103:104], v[105:106], v[103:104]
	v_div_scale_f64 v[105:106], vcc, v[99:100], v[97:98], v[99:100]
	v_fma_f64 v[107:108], -v[101:102], v[103:104], 1.0
	v_fma_f64 v[103:104], v[103:104], v[107:108], v[103:104]
	v_mul_f64 v[107:108], v[105:106], v[103:104]
	v_fma_f64 v[101:102], -v[101:102], v[107:108], v[105:106]
	v_div_fmas_f64 v[101:102], v[101:102], v[103:104], v[107:108]
	v_div_fixup_f64 v[103:104], v[101:102], v[97:98], v[99:100]
	v_fma_f64 v[97:98], v[99:100], v[103:104], v[97:98]
	v_div_scale_f64 v[99:100], s[6:7], v[97:98], v[97:98], 1.0
	v_div_scale_f64 v[107:108], vcc, 1.0, v[97:98], 1.0
	v_rcp_f64_e32 v[101:102], v[99:100]
	v_fma_f64 v[105:106], -v[99:100], v[101:102], 1.0
	v_fma_f64 v[101:102], v[101:102], v[105:106], v[101:102]
	v_fma_f64 v[105:106], -v[99:100], v[101:102], 1.0
	v_fma_f64 v[101:102], v[101:102], v[105:106], v[101:102]
	v_mul_f64 v[105:106], v[107:108], v[101:102]
	v_fma_f64 v[99:100], -v[99:100], v[105:106], v[107:108]
	v_div_fmas_f64 v[99:100], v[99:100], v[101:102], v[105:106]
	v_div_fixup_f64 v[101:102], v[99:100], v[97:98], 1.0
	v_mul_f64 v[103:104], v[103:104], -v[101:102]
.LBB99_214:
	s_or_b64 exec, exec, s[2:3]
	ds_write2_b64 v127, v[101:102], v[103:104] offset1:1
.LBB99_215:
	s_or_b64 exec, exec, s[4:5]
	s_waitcnt lgkmcnt(0)
	s_barrier
	ds_read2_b64 v[69:72], v127 offset1:1
	v_cmp_lt_u32_e32 vcc, 23, v0
	s_waitcnt lgkmcnt(0)
	buffer_store_dword v69, off, s[20:23], 0 offset:1192 ; 4-byte Folded Spill
	s_nop 0
	buffer_store_dword v70, off, s[20:23], 0 offset:1196 ; 4-byte Folded Spill
	buffer_store_dword v71, off, s[20:23], 0 offset:1200 ; 4-byte Folded Spill
	;; [unrolled: 1-line block ×3, first 2 shown]
	s_and_saveexec_b64 s[2:3], vcc
	s_cbranch_execz .LBB99_217
; %bb.216:
	buffer_load_dword v103, off, s[20:23], 0 offset:48 ; 4-byte Folded Reload
	buffer_load_dword v104, off, s[20:23], 0 offset:52 ; 4-byte Folded Reload
	;; [unrolled: 1-line block ×8, first 2 shown]
	s_waitcnt vmcnt(2)
	v_mul_f64 v[99:100], v[69:70], v[105:106]
	s_waitcnt vmcnt(0)
	v_mul_f64 v[97:98], v[71:72], v[105:106]
	v_fma_f64 v[105:106], v[71:72], v[103:104], v[99:100]
	ds_read2_b64 v[99:102], v125 offset0:48 offset1:49
	v_fma_f64 v[97:98], v[69:70], v[103:104], -v[97:98]
	v_mov_b32_e32 v69, v73
	v_mov_b32_e32 v70, v74
	;; [unrolled: 1-line block ×4, first 2 shown]
	s_waitcnt lgkmcnt(0)
	v_mul_f64 v[103:104], v[101:102], v[105:106]
	v_fma_f64 v[103:104], v[99:100], v[97:98], -v[103:104]
	v_mul_f64 v[99:100], v[99:100], v[105:106]
	v_add_f64 v[121:122], v[121:122], -v[103:104]
	v_fma_f64 v[99:100], v[101:102], v[97:98], v[99:100]
	v_add_f64 v[123:124], v[123:124], -v[99:100]
	ds_read2_b64 v[99:102], v125 offset0:50 offset1:51
	s_waitcnt lgkmcnt(0)
	v_mul_f64 v[103:104], v[101:102], v[105:106]
	v_fma_f64 v[103:104], v[99:100], v[97:98], -v[103:104]
	v_mul_f64 v[99:100], v[99:100], v[105:106]
	v_add_f64 v[117:118], v[117:118], -v[103:104]
	v_fma_f64 v[99:100], v[101:102], v[97:98], v[99:100]
	v_add_f64 v[119:120], v[119:120], -v[99:100]
	ds_read2_b64 v[99:102], v125 offset0:52 offset1:53
	;; [unrolled: 8-line block ×5, first 2 shown]
	buffer_load_dword v77, off, s[20:23], 0 offset:32 ; 4-byte Folded Reload
	buffer_load_dword v78, off, s[20:23], 0 offset:36 ; 4-byte Folded Reload
	;; [unrolled: 1-line block ×4, first 2 shown]
	s_waitcnt lgkmcnt(0)
	v_mul_f64 v[103:104], v[101:102], v[105:106]
	v_fma_f64 v[103:104], v[99:100], v[97:98], -v[103:104]
	v_mul_f64 v[99:100], v[99:100], v[105:106]
	v_fma_f64 v[99:100], v[101:102], v[97:98], v[99:100]
	s_waitcnt vmcnt(2)
	v_add_f64 v[77:78], v[77:78], -v[103:104]
	s_waitcnt vmcnt(0)
	v_add_f64 v[79:80], v[79:80], -v[99:100]
	buffer_store_dword v77, off, s[20:23], 0 offset:32 ; 4-byte Folded Spill
	s_nop 0
	buffer_store_dword v78, off, s[20:23], 0 offset:36 ; 4-byte Folded Spill
	buffer_store_dword v79, off, s[20:23], 0 offset:40 ; 4-byte Folded Spill
	;; [unrolled: 1-line block ×3, first 2 shown]
	ds_read2_b64 v[99:102], v125 offset0:60 offset1:61
	buffer_load_dword v73, off, s[20:23], 0 offset:16 ; 4-byte Folded Reload
	buffer_load_dword v74, off, s[20:23], 0 offset:20 ; 4-byte Folded Reload
	;; [unrolled: 1-line block ×4, first 2 shown]
	s_waitcnt lgkmcnt(0)
	v_mul_f64 v[103:104], v[101:102], v[105:106]
	v_fma_f64 v[103:104], v[99:100], v[97:98], -v[103:104]
	v_mul_f64 v[99:100], v[99:100], v[105:106]
	v_fma_f64 v[99:100], v[101:102], v[97:98], v[99:100]
	s_waitcnt vmcnt(2)
	v_add_f64 v[73:74], v[73:74], -v[103:104]
	s_waitcnt vmcnt(0)
	v_add_f64 v[75:76], v[75:76], -v[99:100]
	buffer_store_dword v73, off, s[20:23], 0 offset:16 ; 4-byte Folded Spill
	s_nop 0
	buffer_store_dword v74, off, s[20:23], 0 offset:20 ; 4-byte Folded Spill
	buffer_store_dword v75, off, s[20:23], 0 offset:24 ; 4-byte Folded Spill
	;; [unrolled: 1-line block ×3, first 2 shown]
	v_mov_b32_e32 v76, v72
	v_mov_b32_e32 v75, v71
	;; [unrolled: 1-line block ×4, first 2 shown]
	ds_read2_b64 v[99:102], v125 offset0:62 offset1:63
	buffer_load_dword v69, off, s[20:23], 0 ; 4-byte Folded Reload
	buffer_load_dword v70, off, s[20:23], 0 offset:4 ; 4-byte Folded Reload
	buffer_load_dword v71, off, s[20:23], 0 offset:8 ; 4-byte Folded Reload
	;; [unrolled: 1-line block ×3, first 2 shown]
	s_waitcnt lgkmcnt(0)
	v_mul_f64 v[103:104], v[101:102], v[105:106]
	v_fma_f64 v[103:104], v[99:100], v[97:98], -v[103:104]
	v_mul_f64 v[99:100], v[99:100], v[105:106]
	v_fma_f64 v[99:100], v[101:102], v[97:98], v[99:100]
	s_waitcnt vmcnt(2)
	v_add_f64 v[69:70], v[69:70], -v[103:104]
	s_waitcnt vmcnt(0)
	v_add_f64 v[71:72], v[71:72], -v[99:100]
	buffer_store_dword v69, off, s[20:23], 0 ; 4-byte Folded Spill
	s_nop 0
	buffer_store_dword v70, off, s[20:23], 0 offset:4 ; 4-byte Folded Spill
	buffer_store_dword v71, off, s[20:23], 0 offset:8 ; 4-byte Folded Spill
	;; [unrolled: 1-line block ×3, first 2 shown]
	ds_read2_b64 v[99:102], v125 offset0:64 offset1:65
	s_waitcnt lgkmcnt(0)
	v_mul_f64 v[103:104], v[101:102], v[105:106]
	v_fma_f64 v[103:104], v[99:100], v[97:98], -v[103:104]
	v_mul_f64 v[99:100], v[99:100], v[105:106]
	v_add_f64 v[65:66], v[65:66], -v[103:104]
	v_fma_f64 v[99:100], v[101:102], v[97:98], v[99:100]
	v_add_f64 v[67:68], v[67:68], -v[99:100]
	ds_read2_b64 v[99:102], v125 offset0:66 offset1:67
	s_waitcnt lgkmcnt(0)
	v_mul_f64 v[103:104], v[101:102], v[105:106]
	v_fma_f64 v[103:104], v[99:100], v[97:98], -v[103:104]
	v_mul_f64 v[99:100], v[99:100], v[105:106]
	v_add_f64 v[61:62], v[61:62], -v[103:104]
	v_fma_f64 v[99:100], v[101:102], v[97:98], v[99:100]
	v_add_f64 v[63:64], v[63:64], -v[99:100]
	;; [unrolled: 8-line block ×17, first 2 shown]
	ds_read2_b64 v[99:102], v125 offset0:98 offset1:99
	s_waitcnt lgkmcnt(0)
	v_mul_f64 v[103:104], v[101:102], v[105:106]
	v_fma_f64 v[103:104], v[99:100], v[97:98], -v[103:104]
	v_mul_f64 v[99:100], v[99:100], v[105:106]
	v_add_f64 v[73:74], v[73:74], -v[103:104]
	v_fma_f64 v[99:100], v[101:102], v[97:98], v[99:100]
	v_mov_b32_e32 v104, v98
	v_mov_b32_e32 v103, v97
	buffer_store_dword v103, off, s[20:23], 0 offset:48 ; 4-byte Folded Spill
	s_nop 0
	buffer_store_dword v104, off, s[20:23], 0 offset:52 ; 4-byte Folded Spill
	buffer_store_dword v105, off, s[20:23], 0 offset:56 ; 4-byte Folded Spill
	;; [unrolled: 1-line block ×3, first 2 shown]
	v_add_f64 v[75:76], v[75:76], -v[99:100]
.LBB99_217:
	s_or_b64 exec, exec, s[2:3]
	v_cmp_eq_u32_e32 vcc, 24, v0
	s_waitcnt vmcnt(0)
	s_barrier
	s_and_saveexec_b64 s[4:5], vcc
	s_cbranch_execz .LBB99_224
; %bb.218:
	ds_write2_b64 v127, v[121:122], v[123:124] offset1:1
	ds_write2_b64 v125, v[117:118], v[119:120] offset0:50 offset1:51
	ds_write2_b64 v125, v[109:110], v[111:112] offset0:52 offset1:53
	;; [unrolled: 1-line block ×4, first 2 shown]
	buffer_load_dword v77, off, s[20:23], 0 offset:32 ; 4-byte Folded Reload
	buffer_load_dword v78, off, s[20:23], 0 offset:36 ; 4-byte Folded Reload
	;; [unrolled: 1-line block ×4, first 2 shown]
	v_mov_b32_e32 v69, v73
	v_mov_b32_e32 v70, v74
	;; [unrolled: 1-line block ×4, first 2 shown]
	s_waitcnt vmcnt(0)
	ds_write2_b64 v125, v[77:78], v[79:80] offset0:58 offset1:59
	buffer_load_dword v73, off, s[20:23], 0 offset:16 ; 4-byte Folded Reload
	buffer_load_dword v74, off, s[20:23], 0 offset:20 ; 4-byte Folded Reload
	;; [unrolled: 1-line block ×4, first 2 shown]
	s_waitcnt vmcnt(0)
	ds_write2_b64 v125, v[73:74], v[75:76] offset0:60 offset1:61
	v_mov_b32_e32 v76, v72
	v_mov_b32_e32 v75, v71
	v_mov_b32_e32 v74, v70
	v_mov_b32_e32 v73, v69
	buffer_load_dword v69, off, s[20:23], 0 ; 4-byte Folded Reload
	buffer_load_dword v70, off, s[20:23], 0 offset:4 ; 4-byte Folded Reload
	buffer_load_dword v71, off, s[20:23], 0 offset:8 ; 4-byte Folded Reload
	;; [unrolled: 1-line block ×3, first 2 shown]
	s_waitcnt vmcnt(0)
	ds_write2_b64 v125, v[69:70], v[71:72] offset0:62 offset1:63
	ds_write2_b64 v125, v[65:66], v[67:68] offset0:64 offset1:65
	;; [unrolled: 1-line block ×19, first 2 shown]
	ds_read2_b64 v[97:100], v127 offset1:1
	s_waitcnt lgkmcnt(0)
	v_cmp_neq_f64_e32 vcc, 0, v[97:98]
	v_cmp_neq_f64_e64 s[2:3], 0, v[99:100]
	s_or_b64 s[2:3], vcc, s[2:3]
	s_and_b64 exec, exec, s[2:3]
	s_cbranch_execz .LBB99_224
; %bb.219:
	v_cmp_ngt_f64_e64 s[2:3], |v[97:98]|, |v[99:100]|
                                        ; implicit-def: $vgpr101_vgpr102
	s_and_saveexec_b64 s[6:7], s[2:3]
	s_xor_b64 s[2:3], exec, s[6:7]
                                        ; implicit-def: $vgpr103_vgpr104
	s_cbranch_execz .LBB99_221
; %bb.220:
	v_div_scale_f64 v[101:102], s[6:7], v[99:100], v[99:100], v[97:98]
	v_rcp_f64_e32 v[103:104], v[101:102]
	v_fma_f64 v[105:106], -v[101:102], v[103:104], 1.0
	v_fma_f64 v[103:104], v[103:104], v[105:106], v[103:104]
	v_div_scale_f64 v[105:106], vcc, v[97:98], v[99:100], v[97:98]
	v_fma_f64 v[107:108], -v[101:102], v[103:104], 1.0
	v_fma_f64 v[103:104], v[103:104], v[107:108], v[103:104]
	v_mul_f64 v[107:108], v[105:106], v[103:104]
	v_fma_f64 v[101:102], -v[101:102], v[107:108], v[105:106]
	v_div_fmas_f64 v[101:102], v[101:102], v[103:104], v[107:108]
	v_div_fixup_f64 v[101:102], v[101:102], v[99:100], v[97:98]
	v_fma_f64 v[97:98], v[97:98], v[101:102], v[99:100]
	v_div_scale_f64 v[99:100], s[6:7], v[97:98], v[97:98], 1.0
	v_div_scale_f64 v[107:108], vcc, 1.0, v[97:98], 1.0
	v_rcp_f64_e32 v[103:104], v[99:100]
	v_fma_f64 v[105:106], -v[99:100], v[103:104], 1.0
	v_fma_f64 v[103:104], v[103:104], v[105:106], v[103:104]
	v_fma_f64 v[105:106], -v[99:100], v[103:104], 1.0
	v_fma_f64 v[103:104], v[103:104], v[105:106], v[103:104]
	v_mul_f64 v[105:106], v[107:108], v[103:104]
	v_fma_f64 v[99:100], -v[99:100], v[105:106], v[107:108]
	v_div_fmas_f64 v[99:100], v[99:100], v[103:104], v[105:106]
	v_div_fixup_f64 v[103:104], v[99:100], v[97:98], 1.0
                                        ; implicit-def: $vgpr97_vgpr98
	v_mul_f64 v[101:102], v[101:102], v[103:104]
	v_xor_b32_e32 v104, 0x80000000, v104
.LBB99_221:
	s_andn2_saveexec_b64 s[2:3], s[2:3]
	s_cbranch_execz .LBB99_223
; %bb.222:
	v_div_scale_f64 v[101:102], s[6:7], v[97:98], v[97:98], v[99:100]
	v_rcp_f64_e32 v[103:104], v[101:102]
	v_fma_f64 v[105:106], -v[101:102], v[103:104], 1.0
	v_fma_f64 v[103:104], v[103:104], v[105:106], v[103:104]
	v_div_scale_f64 v[105:106], vcc, v[99:100], v[97:98], v[99:100]
	v_fma_f64 v[107:108], -v[101:102], v[103:104], 1.0
	v_fma_f64 v[103:104], v[103:104], v[107:108], v[103:104]
	v_mul_f64 v[107:108], v[105:106], v[103:104]
	v_fma_f64 v[101:102], -v[101:102], v[107:108], v[105:106]
	v_div_fmas_f64 v[101:102], v[101:102], v[103:104], v[107:108]
	v_div_fixup_f64 v[103:104], v[101:102], v[97:98], v[99:100]
	v_fma_f64 v[97:98], v[99:100], v[103:104], v[97:98]
	v_div_scale_f64 v[99:100], s[6:7], v[97:98], v[97:98], 1.0
	v_div_scale_f64 v[107:108], vcc, 1.0, v[97:98], 1.0
	v_rcp_f64_e32 v[101:102], v[99:100]
	v_fma_f64 v[105:106], -v[99:100], v[101:102], 1.0
	v_fma_f64 v[101:102], v[101:102], v[105:106], v[101:102]
	v_fma_f64 v[105:106], -v[99:100], v[101:102], 1.0
	v_fma_f64 v[101:102], v[101:102], v[105:106], v[101:102]
	v_mul_f64 v[105:106], v[107:108], v[101:102]
	v_fma_f64 v[99:100], -v[99:100], v[105:106], v[107:108]
	v_div_fmas_f64 v[99:100], v[99:100], v[101:102], v[105:106]
	v_div_fixup_f64 v[101:102], v[99:100], v[97:98], 1.0
	v_mul_f64 v[103:104], v[103:104], -v[101:102]
.LBB99_223:
	s_or_b64 exec, exec, s[2:3]
	ds_write2_b64 v127, v[101:102], v[103:104] offset1:1
.LBB99_224:
	s_or_b64 exec, exec, s[4:5]
	s_waitcnt lgkmcnt(0)
	s_barrier
	ds_read2_b64 v[69:72], v127 offset1:1
	v_cmp_lt_u32_e32 vcc, 24, v0
	s_waitcnt lgkmcnt(0)
	buffer_store_dword v69, off, s[20:23], 0 offset:1208 ; 4-byte Folded Spill
	s_nop 0
	buffer_store_dword v70, off, s[20:23], 0 offset:1212 ; 4-byte Folded Spill
	buffer_store_dword v71, off, s[20:23], 0 offset:1216 ; 4-byte Folded Spill
	;; [unrolled: 1-line block ×3, first 2 shown]
	s_and_saveexec_b64 s[2:3], vcc
	s_cbranch_execz .LBB99_226
; %bb.225:
	buffer_load_dword v69, off, s[20:23], 0 offset:1208 ; 4-byte Folded Reload
	buffer_load_dword v70, off, s[20:23], 0 offset:1212 ; 4-byte Folded Reload
	;; [unrolled: 1-line block ×4, first 2 shown]
	s_waitcnt vmcnt(2)
	v_mul_f64 v[99:100], v[69:70], v[123:124]
	s_waitcnt vmcnt(0)
	v_mul_f64 v[97:98], v[71:72], v[123:124]
	v_fma_f64 v[123:124], v[71:72], v[121:122], v[99:100]
	ds_read2_b64 v[99:102], v125 offset0:50 offset1:51
	v_fma_f64 v[97:98], v[69:70], v[121:122], -v[97:98]
	v_mov_b32_e32 v69, v73
	v_mov_b32_e32 v70, v74
	;; [unrolled: 1-line block ×4, first 2 shown]
	s_waitcnt lgkmcnt(0)
	v_mul_f64 v[103:104], v[101:102], v[123:124]
	v_mov_b32_e32 v122, v98
	v_mov_b32_e32 v121, v97
	v_fma_f64 v[103:104], v[99:100], v[97:98], -v[103:104]
	v_mul_f64 v[99:100], v[99:100], v[123:124]
	v_add_f64 v[117:118], v[117:118], -v[103:104]
	v_fma_f64 v[99:100], v[101:102], v[97:98], v[99:100]
	v_add_f64 v[119:120], v[119:120], -v[99:100]
	ds_read2_b64 v[99:102], v125 offset0:52 offset1:53
	s_waitcnt lgkmcnt(0)
	v_mul_f64 v[103:104], v[101:102], v[123:124]
	v_fma_f64 v[103:104], v[99:100], v[97:98], -v[103:104]
	v_mul_f64 v[99:100], v[99:100], v[123:124]
	v_add_f64 v[109:110], v[109:110], -v[103:104]
	v_fma_f64 v[99:100], v[101:102], v[97:98], v[99:100]
	v_add_f64 v[111:112], v[111:112], -v[99:100]
	ds_read2_b64 v[99:102], v125 offset0:54 offset1:55
	s_waitcnt lgkmcnt(0)
	v_mul_f64 v[103:104], v[101:102], v[123:124]
	;; [unrolled: 8-line block ×3, first 2 shown]
	v_fma_f64 v[103:104], v[99:100], v[97:98], -v[103:104]
	v_mul_f64 v[99:100], v[99:100], v[123:124]
	v_add_f64 v[93:94], v[93:94], -v[103:104]
	v_fma_f64 v[99:100], v[101:102], v[97:98], v[99:100]
	v_add_f64 v[95:96], v[95:96], -v[99:100]
	ds_read2_b64 v[99:102], v125 offset0:58 offset1:59
	buffer_load_dword v77, off, s[20:23], 0 offset:32 ; 4-byte Folded Reload
	buffer_load_dword v78, off, s[20:23], 0 offset:36 ; 4-byte Folded Reload
	;; [unrolled: 1-line block ×4, first 2 shown]
	s_waitcnt lgkmcnt(0)
	v_mul_f64 v[103:104], v[101:102], v[123:124]
	v_fma_f64 v[103:104], v[99:100], v[97:98], -v[103:104]
	v_mul_f64 v[99:100], v[99:100], v[123:124]
	v_fma_f64 v[99:100], v[101:102], v[97:98], v[99:100]
	s_waitcnt vmcnt(2)
	v_add_f64 v[77:78], v[77:78], -v[103:104]
	s_waitcnt vmcnt(0)
	v_add_f64 v[79:80], v[79:80], -v[99:100]
	buffer_store_dword v77, off, s[20:23], 0 offset:32 ; 4-byte Folded Spill
	s_nop 0
	buffer_store_dword v78, off, s[20:23], 0 offset:36 ; 4-byte Folded Spill
	buffer_store_dword v79, off, s[20:23], 0 offset:40 ; 4-byte Folded Spill
	;; [unrolled: 1-line block ×3, first 2 shown]
	ds_read2_b64 v[99:102], v125 offset0:60 offset1:61
	buffer_load_dword v73, off, s[20:23], 0 offset:16 ; 4-byte Folded Reload
	buffer_load_dword v74, off, s[20:23], 0 offset:20 ; 4-byte Folded Reload
	;; [unrolled: 1-line block ×4, first 2 shown]
	s_waitcnt lgkmcnt(0)
	v_mul_f64 v[103:104], v[101:102], v[123:124]
	v_fma_f64 v[103:104], v[99:100], v[97:98], -v[103:104]
	v_mul_f64 v[99:100], v[99:100], v[123:124]
	v_fma_f64 v[99:100], v[101:102], v[97:98], v[99:100]
	s_waitcnt vmcnt(2)
	v_add_f64 v[73:74], v[73:74], -v[103:104]
	s_waitcnt vmcnt(0)
	v_add_f64 v[75:76], v[75:76], -v[99:100]
	buffer_store_dword v73, off, s[20:23], 0 offset:16 ; 4-byte Folded Spill
	s_nop 0
	buffer_store_dword v74, off, s[20:23], 0 offset:20 ; 4-byte Folded Spill
	buffer_store_dword v75, off, s[20:23], 0 offset:24 ; 4-byte Folded Spill
	;; [unrolled: 1-line block ×3, first 2 shown]
	v_mov_b32_e32 v76, v72
	v_mov_b32_e32 v75, v71
	;; [unrolled: 1-line block ×4, first 2 shown]
	ds_read2_b64 v[99:102], v125 offset0:62 offset1:63
	buffer_load_dword v69, off, s[20:23], 0 ; 4-byte Folded Reload
	buffer_load_dword v70, off, s[20:23], 0 offset:4 ; 4-byte Folded Reload
	buffer_load_dword v71, off, s[20:23], 0 offset:8 ; 4-byte Folded Reload
	;; [unrolled: 1-line block ×3, first 2 shown]
	s_waitcnt lgkmcnt(0)
	v_mul_f64 v[103:104], v[101:102], v[123:124]
	v_fma_f64 v[103:104], v[99:100], v[97:98], -v[103:104]
	v_mul_f64 v[99:100], v[99:100], v[123:124]
	v_fma_f64 v[99:100], v[101:102], v[97:98], v[99:100]
	s_waitcnt vmcnt(2)
	v_add_f64 v[69:70], v[69:70], -v[103:104]
	s_waitcnt vmcnt(0)
	v_add_f64 v[71:72], v[71:72], -v[99:100]
	buffer_store_dword v69, off, s[20:23], 0 ; 4-byte Folded Spill
	s_nop 0
	buffer_store_dword v70, off, s[20:23], 0 offset:4 ; 4-byte Folded Spill
	buffer_store_dword v71, off, s[20:23], 0 offset:8 ; 4-byte Folded Spill
	buffer_store_dword v72, off, s[20:23], 0 offset:12 ; 4-byte Folded Spill
	ds_read2_b64 v[99:102], v125 offset0:64 offset1:65
	s_waitcnt lgkmcnt(0)
	v_mul_f64 v[103:104], v[101:102], v[123:124]
	v_fma_f64 v[103:104], v[99:100], v[97:98], -v[103:104]
	v_mul_f64 v[99:100], v[99:100], v[123:124]
	v_add_f64 v[65:66], v[65:66], -v[103:104]
	v_fma_f64 v[99:100], v[101:102], v[97:98], v[99:100]
	v_add_f64 v[67:68], v[67:68], -v[99:100]
	ds_read2_b64 v[99:102], v125 offset0:66 offset1:67
	s_waitcnt lgkmcnt(0)
	v_mul_f64 v[103:104], v[101:102], v[123:124]
	v_fma_f64 v[103:104], v[99:100], v[97:98], -v[103:104]
	v_mul_f64 v[99:100], v[99:100], v[123:124]
	v_add_f64 v[61:62], v[61:62], -v[103:104]
	v_fma_f64 v[99:100], v[101:102], v[97:98], v[99:100]
	v_add_f64 v[63:64], v[63:64], -v[99:100]
	;; [unrolled: 8-line block ×18, first 2 shown]
.LBB99_226:
	s_or_b64 exec, exec, s[2:3]
	v_cmp_eq_u32_e32 vcc, 25, v0
	s_waitcnt vmcnt(0)
	s_barrier
	s_and_saveexec_b64 s[4:5], vcc
	s_cbranch_execz .LBB99_233
; %bb.227:
	ds_write2_b64 v127, v[117:118], v[119:120] offset1:1
	ds_write2_b64 v125, v[109:110], v[111:112] offset0:52 offset1:53
	ds_write2_b64 v125, v[113:114], v[115:116] offset0:54 offset1:55
	;; [unrolled: 1-line block ×3, first 2 shown]
	buffer_load_dword v77, off, s[20:23], 0 offset:32 ; 4-byte Folded Reload
	buffer_load_dword v78, off, s[20:23], 0 offset:36 ; 4-byte Folded Reload
	;; [unrolled: 1-line block ×4, first 2 shown]
	v_mov_b32_e32 v69, v73
	v_mov_b32_e32 v70, v74
	;; [unrolled: 1-line block ×4, first 2 shown]
	s_waitcnt vmcnt(0)
	ds_write2_b64 v125, v[77:78], v[79:80] offset0:58 offset1:59
	buffer_load_dword v73, off, s[20:23], 0 offset:16 ; 4-byte Folded Reload
	buffer_load_dword v74, off, s[20:23], 0 offset:20 ; 4-byte Folded Reload
	;; [unrolled: 1-line block ×4, first 2 shown]
	s_waitcnt vmcnt(0)
	ds_write2_b64 v125, v[73:74], v[75:76] offset0:60 offset1:61
	v_mov_b32_e32 v76, v72
	v_mov_b32_e32 v75, v71
	;; [unrolled: 1-line block ×4, first 2 shown]
	buffer_load_dword v69, off, s[20:23], 0 ; 4-byte Folded Reload
	buffer_load_dword v70, off, s[20:23], 0 offset:4 ; 4-byte Folded Reload
	buffer_load_dword v71, off, s[20:23], 0 offset:8 ; 4-byte Folded Reload
	;; [unrolled: 1-line block ×3, first 2 shown]
	s_waitcnt vmcnt(0)
	ds_write2_b64 v125, v[69:70], v[71:72] offset0:62 offset1:63
	ds_write2_b64 v125, v[65:66], v[67:68] offset0:64 offset1:65
	;; [unrolled: 1-line block ×19, first 2 shown]
	ds_read2_b64 v[97:100], v127 offset1:1
	s_waitcnt lgkmcnt(0)
	v_cmp_neq_f64_e32 vcc, 0, v[97:98]
	v_cmp_neq_f64_e64 s[2:3], 0, v[99:100]
	s_or_b64 s[2:3], vcc, s[2:3]
	s_and_b64 exec, exec, s[2:3]
	s_cbranch_execz .LBB99_233
; %bb.228:
	v_cmp_ngt_f64_e64 s[2:3], |v[97:98]|, |v[99:100]|
                                        ; implicit-def: $vgpr101_vgpr102
	s_and_saveexec_b64 s[6:7], s[2:3]
	s_xor_b64 s[2:3], exec, s[6:7]
                                        ; implicit-def: $vgpr103_vgpr104
	s_cbranch_execz .LBB99_230
; %bb.229:
	v_div_scale_f64 v[101:102], s[6:7], v[99:100], v[99:100], v[97:98]
	v_rcp_f64_e32 v[103:104], v[101:102]
	v_fma_f64 v[105:106], -v[101:102], v[103:104], 1.0
	v_fma_f64 v[103:104], v[103:104], v[105:106], v[103:104]
	v_div_scale_f64 v[105:106], vcc, v[97:98], v[99:100], v[97:98]
	v_fma_f64 v[107:108], -v[101:102], v[103:104], 1.0
	v_fma_f64 v[103:104], v[103:104], v[107:108], v[103:104]
	v_mul_f64 v[107:108], v[105:106], v[103:104]
	v_fma_f64 v[101:102], -v[101:102], v[107:108], v[105:106]
	v_div_fmas_f64 v[101:102], v[101:102], v[103:104], v[107:108]
	v_div_fixup_f64 v[101:102], v[101:102], v[99:100], v[97:98]
	v_fma_f64 v[97:98], v[97:98], v[101:102], v[99:100]
	v_div_scale_f64 v[99:100], s[6:7], v[97:98], v[97:98], 1.0
	v_div_scale_f64 v[107:108], vcc, 1.0, v[97:98], 1.0
	v_rcp_f64_e32 v[103:104], v[99:100]
	v_fma_f64 v[105:106], -v[99:100], v[103:104], 1.0
	v_fma_f64 v[103:104], v[103:104], v[105:106], v[103:104]
	v_fma_f64 v[105:106], -v[99:100], v[103:104], 1.0
	v_fma_f64 v[103:104], v[103:104], v[105:106], v[103:104]
	v_mul_f64 v[105:106], v[107:108], v[103:104]
	v_fma_f64 v[99:100], -v[99:100], v[105:106], v[107:108]
	v_div_fmas_f64 v[99:100], v[99:100], v[103:104], v[105:106]
	v_div_fixup_f64 v[103:104], v[99:100], v[97:98], 1.0
                                        ; implicit-def: $vgpr97_vgpr98
	v_mul_f64 v[101:102], v[101:102], v[103:104]
	v_xor_b32_e32 v104, 0x80000000, v104
.LBB99_230:
	s_andn2_saveexec_b64 s[2:3], s[2:3]
	s_cbranch_execz .LBB99_232
; %bb.231:
	v_div_scale_f64 v[101:102], s[6:7], v[97:98], v[97:98], v[99:100]
	v_rcp_f64_e32 v[103:104], v[101:102]
	v_fma_f64 v[105:106], -v[101:102], v[103:104], 1.0
	v_fma_f64 v[103:104], v[103:104], v[105:106], v[103:104]
	v_div_scale_f64 v[105:106], vcc, v[99:100], v[97:98], v[99:100]
	v_fma_f64 v[107:108], -v[101:102], v[103:104], 1.0
	v_fma_f64 v[103:104], v[103:104], v[107:108], v[103:104]
	v_mul_f64 v[107:108], v[105:106], v[103:104]
	v_fma_f64 v[101:102], -v[101:102], v[107:108], v[105:106]
	v_div_fmas_f64 v[101:102], v[101:102], v[103:104], v[107:108]
	v_div_fixup_f64 v[103:104], v[101:102], v[97:98], v[99:100]
	v_fma_f64 v[97:98], v[99:100], v[103:104], v[97:98]
	v_div_scale_f64 v[99:100], s[6:7], v[97:98], v[97:98], 1.0
	v_div_scale_f64 v[107:108], vcc, 1.0, v[97:98], 1.0
	v_rcp_f64_e32 v[101:102], v[99:100]
	v_fma_f64 v[105:106], -v[99:100], v[101:102], 1.0
	v_fma_f64 v[101:102], v[101:102], v[105:106], v[101:102]
	v_fma_f64 v[105:106], -v[99:100], v[101:102], 1.0
	v_fma_f64 v[101:102], v[101:102], v[105:106], v[101:102]
	v_mul_f64 v[105:106], v[107:108], v[101:102]
	v_fma_f64 v[99:100], -v[99:100], v[105:106], v[107:108]
	v_div_fmas_f64 v[99:100], v[99:100], v[101:102], v[105:106]
	v_div_fixup_f64 v[101:102], v[99:100], v[97:98], 1.0
	v_mul_f64 v[103:104], v[103:104], -v[101:102]
.LBB99_232:
	s_or_b64 exec, exec, s[2:3]
	ds_write2_b64 v127, v[101:102], v[103:104] offset1:1
.LBB99_233:
	s_or_b64 exec, exec, s[4:5]
	s_waitcnt lgkmcnt(0)
	s_barrier
	ds_read2_b64 v[69:72], v127 offset1:1
	v_cmp_lt_u32_e32 vcc, 25, v0
	s_waitcnt lgkmcnt(0)
	buffer_store_dword v69, off, s[20:23], 0 offset:1224 ; 4-byte Folded Spill
	s_nop 0
	buffer_store_dword v70, off, s[20:23], 0 offset:1228 ; 4-byte Folded Spill
	buffer_store_dword v71, off, s[20:23], 0 offset:1232 ; 4-byte Folded Spill
	;; [unrolled: 1-line block ×3, first 2 shown]
	s_and_saveexec_b64 s[2:3], vcc
	s_cbranch_execz .LBB99_235
; %bb.234:
	buffer_load_dword v69, off, s[20:23], 0 offset:1224 ; 4-byte Folded Reload
	buffer_load_dword v70, off, s[20:23], 0 offset:1228 ; 4-byte Folded Reload
	;; [unrolled: 1-line block ×4, first 2 shown]
	v_mov_b32_e32 v106, v96
	v_mov_b32_e32 v105, v95
	;; [unrolled: 1-line block ×4, first 2 shown]
	ds_read2_b64 v[99:102], v125 offset0:52 offset1:53
	s_waitcnt vmcnt(2)
	v_mul_f64 v[95:96], v[69:70], v[119:120]
	s_waitcnt vmcnt(0)
	v_mul_f64 v[97:98], v[71:72], v[119:120]
	v_fma_f64 v[119:120], v[71:72], v[117:118], v[95:96]
	v_fma_f64 v[97:98], v[69:70], v[117:118], -v[97:98]
	v_mov_b32_e32 v69, v73
	v_mov_b32_e32 v70, v74
	;; [unrolled: 1-line block ×4, first 2 shown]
	s_waitcnt lgkmcnt(0)
	v_mul_f64 v[93:94], v[101:102], v[119:120]
	v_mov_b32_e32 v118, v98
	v_mov_b32_e32 v117, v97
	v_fma_f64 v[93:94], v[99:100], v[97:98], -v[93:94]
	v_mul_f64 v[99:100], v[99:100], v[119:120]
	v_add_f64 v[109:110], v[109:110], -v[93:94]
	v_fma_f64 v[99:100], v[101:102], v[97:98], v[99:100]
	v_add_f64 v[111:112], v[111:112], -v[99:100]
	ds_read2_b64 v[99:102], v125 offset0:54 offset1:55
	s_waitcnt lgkmcnt(0)
	v_mul_f64 v[93:94], v[101:102], v[119:120]
	v_fma_f64 v[93:94], v[99:100], v[97:98], -v[93:94]
	v_mul_f64 v[99:100], v[99:100], v[119:120]
	v_add_f64 v[113:114], v[113:114], -v[93:94]
	v_fma_f64 v[99:100], v[101:102], v[97:98], v[99:100]
	v_add_f64 v[115:116], v[115:116], -v[99:100]
	ds_read2_b64 v[99:102], v125 offset0:56 offset1:57
	s_waitcnt lgkmcnt(0)
	v_mul_f64 v[93:94], v[101:102], v[119:120]
	v_fma_f64 v[93:94], v[99:100], v[97:98], -v[93:94]
	v_mul_f64 v[99:100], v[99:100], v[119:120]
	v_add_f64 v[103:104], v[103:104], -v[93:94]
	v_fma_f64 v[99:100], v[101:102], v[97:98], v[99:100]
	v_add_f64 v[105:106], v[105:106], -v[99:100]
	ds_read2_b64 v[99:102], v125 offset0:58 offset1:59
	buffer_load_dword v77, off, s[20:23], 0 offset:32 ; 4-byte Folded Reload
	buffer_load_dword v78, off, s[20:23], 0 offset:36 ; 4-byte Folded Reload
	;; [unrolled: 1-line block ×4, first 2 shown]
	s_waitcnt lgkmcnt(0)
	v_mul_f64 v[93:94], v[101:102], v[119:120]
	v_fma_f64 v[93:94], v[99:100], v[97:98], -v[93:94]
	v_mul_f64 v[99:100], v[99:100], v[119:120]
	v_fma_f64 v[99:100], v[101:102], v[97:98], v[99:100]
	s_waitcnt vmcnt(2)
	v_add_f64 v[77:78], v[77:78], -v[93:94]
	s_waitcnt vmcnt(0)
	v_add_f64 v[79:80], v[79:80], -v[99:100]
	buffer_store_dword v77, off, s[20:23], 0 offset:32 ; 4-byte Folded Spill
	s_nop 0
	buffer_store_dword v78, off, s[20:23], 0 offset:36 ; 4-byte Folded Spill
	buffer_store_dword v79, off, s[20:23], 0 offset:40 ; 4-byte Folded Spill
	;; [unrolled: 1-line block ×3, first 2 shown]
	ds_read2_b64 v[99:102], v125 offset0:60 offset1:61
	buffer_load_dword v73, off, s[20:23], 0 offset:16 ; 4-byte Folded Reload
	buffer_load_dword v74, off, s[20:23], 0 offset:20 ; 4-byte Folded Reload
	;; [unrolled: 1-line block ×4, first 2 shown]
	s_waitcnt lgkmcnt(0)
	v_mul_f64 v[93:94], v[101:102], v[119:120]
	v_fma_f64 v[93:94], v[99:100], v[97:98], -v[93:94]
	v_mul_f64 v[99:100], v[99:100], v[119:120]
	v_fma_f64 v[99:100], v[101:102], v[97:98], v[99:100]
	s_waitcnt vmcnt(2)
	v_add_f64 v[73:74], v[73:74], -v[93:94]
	s_waitcnt vmcnt(0)
	v_add_f64 v[75:76], v[75:76], -v[99:100]
	buffer_store_dword v73, off, s[20:23], 0 offset:16 ; 4-byte Folded Spill
	s_nop 0
	buffer_store_dword v74, off, s[20:23], 0 offset:20 ; 4-byte Folded Spill
	buffer_store_dword v75, off, s[20:23], 0 offset:24 ; 4-byte Folded Spill
	;; [unrolled: 1-line block ×3, first 2 shown]
	v_mov_b32_e32 v76, v72
	v_mov_b32_e32 v75, v71
	;; [unrolled: 1-line block ×4, first 2 shown]
	ds_read2_b64 v[99:102], v125 offset0:62 offset1:63
	buffer_load_dword v69, off, s[20:23], 0 ; 4-byte Folded Reload
	buffer_load_dword v70, off, s[20:23], 0 offset:4 ; 4-byte Folded Reload
	buffer_load_dword v71, off, s[20:23], 0 offset:8 ; 4-byte Folded Reload
	;; [unrolled: 1-line block ×3, first 2 shown]
	s_waitcnt lgkmcnt(0)
	v_mul_f64 v[93:94], v[101:102], v[119:120]
	v_fma_f64 v[93:94], v[99:100], v[97:98], -v[93:94]
	v_mul_f64 v[99:100], v[99:100], v[119:120]
	v_fma_f64 v[99:100], v[101:102], v[97:98], v[99:100]
	s_waitcnt vmcnt(2)
	v_add_f64 v[69:70], v[69:70], -v[93:94]
	s_waitcnt vmcnt(0)
	v_add_f64 v[71:72], v[71:72], -v[99:100]
	buffer_store_dword v69, off, s[20:23], 0 ; 4-byte Folded Spill
	s_nop 0
	buffer_store_dword v70, off, s[20:23], 0 offset:4 ; 4-byte Folded Spill
	buffer_store_dword v71, off, s[20:23], 0 offset:8 ; 4-byte Folded Spill
	;; [unrolled: 1-line block ×3, first 2 shown]
	ds_read2_b64 v[99:102], v125 offset0:64 offset1:65
	s_waitcnt lgkmcnt(0)
	v_mul_f64 v[93:94], v[101:102], v[119:120]
	v_fma_f64 v[93:94], v[99:100], v[97:98], -v[93:94]
	v_mul_f64 v[99:100], v[99:100], v[119:120]
	v_add_f64 v[65:66], v[65:66], -v[93:94]
	v_fma_f64 v[99:100], v[101:102], v[97:98], v[99:100]
	v_add_f64 v[67:68], v[67:68], -v[99:100]
	ds_read2_b64 v[99:102], v125 offset0:66 offset1:67
	s_waitcnt lgkmcnt(0)
	v_mul_f64 v[93:94], v[101:102], v[119:120]
	v_fma_f64 v[93:94], v[99:100], v[97:98], -v[93:94]
	v_mul_f64 v[99:100], v[99:100], v[119:120]
	v_add_f64 v[61:62], v[61:62], -v[93:94]
	v_fma_f64 v[99:100], v[101:102], v[97:98], v[99:100]
	v_add_f64 v[63:64], v[63:64], -v[99:100]
	;; [unrolled: 8-line block ×17, first 2 shown]
	ds_read2_b64 v[99:102], v125 offset0:98 offset1:99
	s_waitcnt lgkmcnt(0)
	v_mul_f64 v[93:94], v[101:102], v[119:120]
	v_fma_f64 v[93:94], v[99:100], v[97:98], -v[93:94]
	v_mul_f64 v[99:100], v[99:100], v[119:120]
	v_add_f64 v[73:74], v[73:74], -v[93:94]
	v_fma_f64 v[99:100], v[101:102], v[97:98], v[99:100]
	v_mov_b32_e32 v93, v103
	v_mov_b32_e32 v94, v104
	;; [unrolled: 1-line block ×4, first 2 shown]
	v_add_f64 v[75:76], v[75:76], -v[99:100]
.LBB99_235:
	s_or_b64 exec, exec, s[2:3]
	v_cmp_eq_u32_e32 vcc, 26, v0
	s_waitcnt vmcnt(0)
	s_barrier
	s_and_saveexec_b64 s[4:5], vcc
	s_cbranch_execz .LBB99_242
; %bb.236:
	ds_write2_b64 v127, v[109:110], v[111:112] offset1:1
	ds_write2_b64 v125, v[113:114], v[115:116] offset0:54 offset1:55
	ds_write2_b64 v125, v[93:94], v[95:96] offset0:56 offset1:57
	buffer_load_dword v77, off, s[20:23], 0 offset:32 ; 4-byte Folded Reload
	buffer_load_dword v78, off, s[20:23], 0 offset:36 ; 4-byte Folded Reload
	;; [unrolled: 1-line block ×4, first 2 shown]
	v_mov_b32_e32 v69, v73
	v_mov_b32_e32 v70, v74
	;; [unrolled: 1-line block ×4, first 2 shown]
	s_waitcnt vmcnt(0)
	ds_write2_b64 v125, v[77:78], v[79:80] offset0:58 offset1:59
	buffer_load_dword v73, off, s[20:23], 0 offset:16 ; 4-byte Folded Reload
	buffer_load_dword v74, off, s[20:23], 0 offset:20 ; 4-byte Folded Reload
	;; [unrolled: 1-line block ×4, first 2 shown]
	s_waitcnt vmcnt(0)
	ds_write2_b64 v125, v[73:74], v[75:76] offset0:60 offset1:61
	v_mov_b32_e32 v76, v72
	v_mov_b32_e32 v75, v71
	;; [unrolled: 1-line block ×4, first 2 shown]
	buffer_load_dword v69, off, s[20:23], 0 ; 4-byte Folded Reload
	buffer_load_dword v70, off, s[20:23], 0 offset:4 ; 4-byte Folded Reload
	buffer_load_dword v71, off, s[20:23], 0 offset:8 ; 4-byte Folded Reload
	;; [unrolled: 1-line block ×3, first 2 shown]
	s_waitcnt vmcnt(0)
	ds_write2_b64 v125, v[69:70], v[71:72] offset0:62 offset1:63
	ds_write2_b64 v125, v[65:66], v[67:68] offset0:64 offset1:65
	;; [unrolled: 1-line block ×19, first 2 shown]
	ds_read2_b64 v[97:100], v127 offset1:1
	s_waitcnt lgkmcnt(0)
	v_cmp_neq_f64_e32 vcc, 0, v[97:98]
	v_cmp_neq_f64_e64 s[2:3], 0, v[99:100]
	s_or_b64 s[2:3], vcc, s[2:3]
	s_and_b64 exec, exec, s[2:3]
	s_cbranch_execz .LBB99_242
; %bb.237:
	v_cmp_ngt_f64_e64 s[2:3], |v[97:98]|, |v[99:100]|
                                        ; implicit-def: $vgpr101_vgpr102
	s_and_saveexec_b64 s[6:7], s[2:3]
	s_xor_b64 s[2:3], exec, s[6:7]
                                        ; implicit-def: $vgpr103_vgpr104
	s_cbranch_execz .LBB99_239
; %bb.238:
	v_div_scale_f64 v[101:102], s[6:7], v[99:100], v[99:100], v[97:98]
	v_rcp_f64_e32 v[103:104], v[101:102]
	v_fma_f64 v[105:106], -v[101:102], v[103:104], 1.0
	v_fma_f64 v[103:104], v[103:104], v[105:106], v[103:104]
	v_div_scale_f64 v[105:106], vcc, v[97:98], v[99:100], v[97:98]
	v_fma_f64 v[107:108], -v[101:102], v[103:104], 1.0
	v_fma_f64 v[103:104], v[103:104], v[107:108], v[103:104]
	v_mul_f64 v[107:108], v[105:106], v[103:104]
	v_fma_f64 v[101:102], -v[101:102], v[107:108], v[105:106]
	v_div_fmas_f64 v[101:102], v[101:102], v[103:104], v[107:108]
	v_div_fixup_f64 v[101:102], v[101:102], v[99:100], v[97:98]
	v_fma_f64 v[97:98], v[97:98], v[101:102], v[99:100]
	v_div_scale_f64 v[99:100], s[6:7], v[97:98], v[97:98], 1.0
	v_div_scale_f64 v[107:108], vcc, 1.0, v[97:98], 1.0
	v_rcp_f64_e32 v[103:104], v[99:100]
	v_fma_f64 v[105:106], -v[99:100], v[103:104], 1.0
	v_fma_f64 v[103:104], v[103:104], v[105:106], v[103:104]
	v_fma_f64 v[105:106], -v[99:100], v[103:104], 1.0
	v_fma_f64 v[103:104], v[103:104], v[105:106], v[103:104]
	v_mul_f64 v[105:106], v[107:108], v[103:104]
	v_fma_f64 v[99:100], -v[99:100], v[105:106], v[107:108]
	v_div_fmas_f64 v[99:100], v[99:100], v[103:104], v[105:106]
	v_div_fixup_f64 v[103:104], v[99:100], v[97:98], 1.0
                                        ; implicit-def: $vgpr97_vgpr98
	v_mul_f64 v[101:102], v[101:102], v[103:104]
	v_xor_b32_e32 v104, 0x80000000, v104
.LBB99_239:
	s_andn2_saveexec_b64 s[2:3], s[2:3]
	s_cbranch_execz .LBB99_241
; %bb.240:
	v_div_scale_f64 v[101:102], s[6:7], v[97:98], v[97:98], v[99:100]
	v_rcp_f64_e32 v[103:104], v[101:102]
	v_fma_f64 v[105:106], -v[101:102], v[103:104], 1.0
	v_fma_f64 v[103:104], v[103:104], v[105:106], v[103:104]
	v_div_scale_f64 v[105:106], vcc, v[99:100], v[97:98], v[99:100]
	v_fma_f64 v[107:108], -v[101:102], v[103:104], 1.0
	v_fma_f64 v[103:104], v[103:104], v[107:108], v[103:104]
	v_mul_f64 v[107:108], v[105:106], v[103:104]
	v_fma_f64 v[101:102], -v[101:102], v[107:108], v[105:106]
	v_div_fmas_f64 v[101:102], v[101:102], v[103:104], v[107:108]
	v_div_fixup_f64 v[103:104], v[101:102], v[97:98], v[99:100]
	v_fma_f64 v[97:98], v[99:100], v[103:104], v[97:98]
	v_div_scale_f64 v[99:100], s[6:7], v[97:98], v[97:98], 1.0
	v_div_scale_f64 v[107:108], vcc, 1.0, v[97:98], 1.0
	v_rcp_f64_e32 v[101:102], v[99:100]
	v_fma_f64 v[105:106], -v[99:100], v[101:102], 1.0
	v_fma_f64 v[101:102], v[101:102], v[105:106], v[101:102]
	v_fma_f64 v[105:106], -v[99:100], v[101:102], 1.0
	v_fma_f64 v[101:102], v[101:102], v[105:106], v[101:102]
	v_mul_f64 v[105:106], v[107:108], v[101:102]
	v_fma_f64 v[99:100], -v[99:100], v[105:106], v[107:108]
	v_div_fmas_f64 v[99:100], v[99:100], v[101:102], v[105:106]
	v_div_fixup_f64 v[101:102], v[99:100], v[97:98], 1.0
	v_mul_f64 v[103:104], v[103:104], -v[101:102]
.LBB99_241:
	s_or_b64 exec, exec, s[2:3]
	ds_write2_b64 v127, v[101:102], v[103:104] offset1:1
.LBB99_242:
	s_or_b64 exec, exec, s[4:5]
	s_waitcnt lgkmcnt(0)
	s_barrier
	ds_read2_b64 v[69:72], v127 offset1:1
	v_cmp_lt_u32_e32 vcc, 26, v0
	s_waitcnt lgkmcnt(0)
	buffer_store_dword v69, off, s[20:23], 0 offset:1240 ; 4-byte Folded Spill
	s_nop 0
	buffer_store_dword v70, off, s[20:23], 0 offset:1244 ; 4-byte Folded Spill
	buffer_store_dword v71, off, s[20:23], 0 offset:1248 ; 4-byte Folded Spill
	;; [unrolled: 1-line block ×3, first 2 shown]
	s_and_saveexec_b64 s[2:3], vcc
	s_cbranch_execz .LBB99_244
; %bb.243:
	buffer_load_dword v69, off, s[20:23], 0 offset:1240 ; 4-byte Folded Reload
	buffer_load_dword v70, off, s[20:23], 0 offset:1244 ; 4-byte Folded Reload
	;; [unrolled: 1-line block ×4, first 2 shown]
	v_mov_b32_e32 v89, v91
	v_mov_b32_e32 v90, v92
	ds_read2_b64 v[99:102], v125 offset0:54 offset1:55
	s_waitcnt vmcnt(2)
	v_mul_f64 v[91:92], v[69:70], v[111:112]
	s_waitcnt vmcnt(0)
	v_mul_f64 v[97:98], v[71:72], v[111:112]
	v_fma_f64 v[111:112], v[71:72], v[109:110], v[91:92]
	v_mov_b32_e32 v92, v90
	v_fma_f64 v[97:98], v[69:70], v[109:110], -v[97:98]
	v_mov_b32_e32 v91, v89
	v_mov_b32_e32 v69, v73
	;; [unrolled: 1-line block ×5, first 2 shown]
	s_waitcnt lgkmcnt(0)
	v_mul_f64 v[89:90], v[101:102], v[111:112]
	v_mov_b32_e32 v110, v98
	v_mov_b32_e32 v109, v97
	v_fma_f64 v[89:90], v[99:100], v[97:98], -v[89:90]
	v_mul_f64 v[99:100], v[99:100], v[111:112]
	v_add_f64 v[113:114], v[113:114], -v[89:90]
	v_fma_f64 v[99:100], v[101:102], v[97:98], v[99:100]
	v_add_f64 v[115:116], v[115:116], -v[99:100]
	ds_read2_b64 v[99:102], v125 offset0:56 offset1:57
	s_waitcnt lgkmcnt(0)
	v_mul_f64 v[89:90], v[101:102], v[111:112]
	v_fma_f64 v[89:90], v[99:100], v[97:98], -v[89:90]
	v_mul_f64 v[99:100], v[99:100], v[111:112]
	v_add_f64 v[93:94], v[93:94], -v[89:90]
	v_fma_f64 v[99:100], v[101:102], v[97:98], v[99:100]
	v_add_f64 v[95:96], v[95:96], -v[99:100]
	ds_read2_b64 v[99:102], v125 offset0:58 offset1:59
	buffer_load_dword v77, off, s[20:23], 0 offset:32 ; 4-byte Folded Reload
	buffer_load_dword v78, off, s[20:23], 0 offset:36 ; 4-byte Folded Reload
	;; [unrolled: 1-line block ×4, first 2 shown]
	s_waitcnt lgkmcnt(0)
	v_mul_f64 v[89:90], v[101:102], v[111:112]
	v_fma_f64 v[89:90], v[99:100], v[97:98], -v[89:90]
	v_mul_f64 v[99:100], v[99:100], v[111:112]
	v_fma_f64 v[99:100], v[101:102], v[97:98], v[99:100]
	s_waitcnt vmcnt(2)
	v_add_f64 v[77:78], v[77:78], -v[89:90]
	s_waitcnt vmcnt(0)
	v_add_f64 v[79:80], v[79:80], -v[99:100]
	buffer_store_dword v77, off, s[20:23], 0 offset:32 ; 4-byte Folded Spill
	s_nop 0
	buffer_store_dword v78, off, s[20:23], 0 offset:36 ; 4-byte Folded Spill
	buffer_store_dword v79, off, s[20:23], 0 offset:40 ; 4-byte Folded Spill
	;; [unrolled: 1-line block ×3, first 2 shown]
	ds_read2_b64 v[99:102], v125 offset0:60 offset1:61
	buffer_load_dword v73, off, s[20:23], 0 offset:16 ; 4-byte Folded Reload
	buffer_load_dword v74, off, s[20:23], 0 offset:20 ; 4-byte Folded Reload
	;; [unrolled: 1-line block ×4, first 2 shown]
	s_waitcnt lgkmcnt(0)
	v_mul_f64 v[89:90], v[101:102], v[111:112]
	v_fma_f64 v[89:90], v[99:100], v[97:98], -v[89:90]
	v_mul_f64 v[99:100], v[99:100], v[111:112]
	v_fma_f64 v[99:100], v[101:102], v[97:98], v[99:100]
	s_waitcnt vmcnt(2)
	v_add_f64 v[73:74], v[73:74], -v[89:90]
	s_waitcnt vmcnt(0)
	v_add_f64 v[75:76], v[75:76], -v[99:100]
	buffer_store_dword v73, off, s[20:23], 0 offset:16 ; 4-byte Folded Spill
	s_nop 0
	buffer_store_dword v74, off, s[20:23], 0 offset:20 ; 4-byte Folded Spill
	buffer_store_dword v75, off, s[20:23], 0 offset:24 ; 4-byte Folded Spill
	buffer_store_dword v76, off, s[20:23], 0 offset:28 ; 4-byte Folded Spill
	v_mov_b32_e32 v76, v72
	v_mov_b32_e32 v75, v71
	;; [unrolled: 1-line block ×4, first 2 shown]
	ds_read2_b64 v[99:102], v125 offset0:62 offset1:63
	buffer_load_dword v69, off, s[20:23], 0 ; 4-byte Folded Reload
	buffer_load_dword v70, off, s[20:23], 0 offset:4 ; 4-byte Folded Reload
	buffer_load_dword v71, off, s[20:23], 0 offset:8 ; 4-byte Folded Reload
	;; [unrolled: 1-line block ×3, first 2 shown]
	s_waitcnt lgkmcnt(0)
	v_mul_f64 v[89:90], v[101:102], v[111:112]
	v_fma_f64 v[89:90], v[99:100], v[97:98], -v[89:90]
	v_mul_f64 v[99:100], v[99:100], v[111:112]
	v_fma_f64 v[99:100], v[101:102], v[97:98], v[99:100]
	s_waitcnt vmcnt(2)
	v_add_f64 v[69:70], v[69:70], -v[89:90]
	s_waitcnt vmcnt(0)
	v_add_f64 v[71:72], v[71:72], -v[99:100]
	buffer_store_dword v69, off, s[20:23], 0 ; 4-byte Folded Spill
	s_nop 0
	buffer_store_dword v70, off, s[20:23], 0 offset:4 ; 4-byte Folded Spill
	buffer_store_dword v71, off, s[20:23], 0 offset:8 ; 4-byte Folded Spill
	;; [unrolled: 1-line block ×3, first 2 shown]
	ds_read2_b64 v[99:102], v125 offset0:64 offset1:65
	s_waitcnt lgkmcnt(0)
	v_mul_f64 v[89:90], v[101:102], v[111:112]
	v_fma_f64 v[89:90], v[99:100], v[97:98], -v[89:90]
	v_mul_f64 v[99:100], v[99:100], v[111:112]
	v_add_f64 v[65:66], v[65:66], -v[89:90]
	v_fma_f64 v[99:100], v[101:102], v[97:98], v[99:100]
	v_add_f64 v[67:68], v[67:68], -v[99:100]
	ds_read2_b64 v[99:102], v125 offset0:66 offset1:67
	s_waitcnt lgkmcnt(0)
	v_mul_f64 v[89:90], v[101:102], v[111:112]
	v_fma_f64 v[89:90], v[99:100], v[97:98], -v[89:90]
	v_mul_f64 v[99:100], v[99:100], v[111:112]
	v_add_f64 v[61:62], v[61:62], -v[89:90]
	v_fma_f64 v[99:100], v[101:102], v[97:98], v[99:100]
	v_add_f64 v[63:64], v[63:64], -v[99:100]
	;; [unrolled: 8-line block ×18, first 2 shown]
.LBB99_244:
	s_or_b64 exec, exec, s[2:3]
	v_cmp_eq_u32_e32 vcc, 27, v0
	s_waitcnt vmcnt(0)
	s_barrier
	s_and_saveexec_b64 s[4:5], vcc
	s_cbranch_execz .LBB99_251
; %bb.245:
	ds_write2_b64 v127, v[113:114], v[115:116] offset1:1
	ds_write2_b64 v125, v[93:94], v[95:96] offset0:56 offset1:57
	buffer_load_dword v77, off, s[20:23], 0 offset:32 ; 4-byte Folded Reload
	buffer_load_dword v78, off, s[20:23], 0 offset:36 ; 4-byte Folded Reload
	;; [unrolled: 1-line block ×4, first 2 shown]
	v_mov_b32_e32 v69, v73
	v_mov_b32_e32 v70, v74
	;; [unrolled: 1-line block ×4, first 2 shown]
	s_waitcnt vmcnt(0)
	ds_write2_b64 v125, v[77:78], v[79:80] offset0:58 offset1:59
	buffer_load_dword v73, off, s[20:23], 0 offset:16 ; 4-byte Folded Reload
	buffer_load_dword v74, off, s[20:23], 0 offset:20 ; 4-byte Folded Reload
	;; [unrolled: 1-line block ×4, first 2 shown]
	s_waitcnt vmcnt(0)
	ds_write2_b64 v125, v[73:74], v[75:76] offset0:60 offset1:61
	v_mov_b32_e32 v76, v72
	v_mov_b32_e32 v75, v71
	;; [unrolled: 1-line block ×4, first 2 shown]
	buffer_load_dword v69, off, s[20:23], 0 ; 4-byte Folded Reload
	buffer_load_dword v70, off, s[20:23], 0 offset:4 ; 4-byte Folded Reload
	buffer_load_dword v71, off, s[20:23], 0 offset:8 ; 4-byte Folded Reload
	;; [unrolled: 1-line block ×3, first 2 shown]
	s_waitcnt vmcnt(0)
	ds_write2_b64 v125, v[69:70], v[71:72] offset0:62 offset1:63
	ds_write2_b64 v125, v[65:66], v[67:68] offset0:64 offset1:65
	;; [unrolled: 1-line block ×19, first 2 shown]
	ds_read2_b64 v[97:100], v127 offset1:1
	s_waitcnt lgkmcnt(0)
	v_cmp_neq_f64_e32 vcc, 0, v[97:98]
	v_cmp_neq_f64_e64 s[2:3], 0, v[99:100]
	s_or_b64 s[2:3], vcc, s[2:3]
	s_and_b64 exec, exec, s[2:3]
	s_cbranch_execz .LBB99_251
; %bb.246:
	v_cmp_ngt_f64_e64 s[2:3], |v[97:98]|, |v[99:100]|
                                        ; implicit-def: $vgpr101_vgpr102
	s_and_saveexec_b64 s[6:7], s[2:3]
	s_xor_b64 s[2:3], exec, s[6:7]
                                        ; implicit-def: $vgpr103_vgpr104
	s_cbranch_execz .LBB99_248
; %bb.247:
	v_div_scale_f64 v[101:102], s[6:7], v[99:100], v[99:100], v[97:98]
	v_rcp_f64_e32 v[103:104], v[101:102]
	v_fma_f64 v[105:106], -v[101:102], v[103:104], 1.0
	v_fma_f64 v[103:104], v[103:104], v[105:106], v[103:104]
	v_div_scale_f64 v[105:106], vcc, v[97:98], v[99:100], v[97:98]
	v_fma_f64 v[107:108], -v[101:102], v[103:104], 1.0
	v_fma_f64 v[103:104], v[103:104], v[107:108], v[103:104]
	v_mul_f64 v[107:108], v[105:106], v[103:104]
	v_fma_f64 v[101:102], -v[101:102], v[107:108], v[105:106]
	v_div_fmas_f64 v[101:102], v[101:102], v[103:104], v[107:108]
	v_div_fixup_f64 v[101:102], v[101:102], v[99:100], v[97:98]
	v_fma_f64 v[97:98], v[97:98], v[101:102], v[99:100]
	v_div_scale_f64 v[99:100], s[6:7], v[97:98], v[97:98], 1.0
	v_div_scale_f64 v[107:108], vcc, 1.0, v[97:98], 1.0
	v_rcp_f64_e32 v[103:104], v[99:100]
	v_fma_f64 v[105:106], -v[99:100], v[103:104], 1.0
	v_fma_f64 v[103:104], v[103:104], v[105:106], v[103:104]
	v_fma_f64 v[105:106], -v[99:100], v[103:104], 1.0
	v_fma_f64 v[103:104], v[103:104], v[105:106], v[103:104]
	v_mul_f64 v[105:106], v[107:108], v[103:104]
	v_fma_f64 v[99:100], -v[99:100], v[105:106], v[107:108]
	v_div_fmas_f64 v[99:100], v[99:100], v[103:104], v[105:106]
	v_div_fixup_f64 v[103:104], v[99:100], v[97:98], 1.0
                                        ; implicit-def: $vgpr97_vgpr98
	v_mul_f64 v[101:102], v[101:102], v[103:104]
	v_xor_b32_e32 v104, 0x80000000, v104
.LBB99_248:
	s_andn2_saveexec_b64 s[2:3], s[2:3]
	s_cbranch_execz .LBB99_250
; %bb.249:
	v_div_scale_f64 v[101:102], s[6:7], v[97:98], v[97:98], v[99:100]
	v_rcp_f64_e32 v[103:104], v[101:102]
	v_fma_f64 v[105:106], -v[101:102], v[103:104], 1.0
	v_fma_f64 v[103:104], v[103:104], v[105:106], v[103:104]
	v_div_scale_f64 v[105:106], vcc, v[99:100], v[97:98], v[99:100]
	v_fma_f64 v[107:108], -v[101:102], v[103:104], 1.0
	v_fma_f64 v[103:104], v[103:104], v[107:108], v[103:104]
	v_mul_f64 v[107:108], v[105:106], v[103:104]
	v_fma_f64 v[101:102], -v[101:102], v[107:108], v[105:106]
	v_div_fmas_f64 v[101:102], v[101:102], v[103:104], v[107:108]
	v_div_fixup_f64 v[103:104], v[101:102], v[97:98], v[99:100]
	v_fma_f64 v[97:98], v[99:100], v[103:104], v[97:98]
	v_div_scale_f64 v[99:100], s[6:7], v[97:98], v[97:98], 1.0
	v_div_scale_f64 v[107:108], vcc, 1.0, v[97:98], 1.0
	v_rcp_f64_e32 v[101:102], v[99:100]
	v_fma_f64 v[105:106], -v[99:100], v[101:102], 1.0
	v_fma_f64 v[101:102], v[101:102], v[105:106], v[101:102]
	v_fma_f64 v[105:106], -v[99:100], v[101:102], 1.0
	v_fma_f64 v[101:102], v[101:102], v[105:106], v[101:102]
	v_mul_f64 v[105:106], v[107:108], v[101:102]
	v_fma_f64 v[99:100], -v[99:100], v[105:106], v[107:108]
	v_div_fmas_f64 v[99:100], v[99:100], v[101:102], v[105:106]
	v_div_fixup_f64 v[101:102], v[99:100], v[97:98], 1.0
	v_mul_f64 v[103:104], v[103:104], -v[101:102]
.LBB99_250:
	s_or_b64 exec, exec, s[2:3]
	ds_write2_b64 v127, v[101:102], v[103:104] offset1:1
.LBB99_251:
	s_or_b64 exec, exec, s[4:5]
	s_waitcnt lgkmcnt(0)
	s_barrier
	ds_read2_b64 v[69:72], v127 offset1:1
	v_cmp_lt_u32_e32 vcc, 27, v0
	s_waitcnt lgkmcnt(0)
	buffer_store_dword v69, off, s[20:23], 0 offset:1256 ; 4-byte Folded Spill
	s_nop 0
	buffer_store_dword v70, off, s[20:23], 0 offset:1260 ; 4-byte Folded Spill
	buffer_store_dword v71, off, s[20:23], 0 offset:1264 ; 4-byte Folded Spill
	;; [unrolled: 1-line block ×3, first 2 shown]
	s_and_saveexec_b64 s[2:3], vcc
	s_cbranch_execz .LBB99_253
; %bb.252:
	buffer_load_dword v69, off, s[20:23], 0 offset:1256 ; 4-byte Folded Reload
	buffer_load_dword v70, off, s[20:23], 0 offset:1260 ; 4-byte Folded Reload
	;; [unrolled: 1-line block ×4, first 2 shown]
	v_mov_b32_e32 v90, v86
	v_mov_b32_e32 v89, v85
	;; [unrolled: 1-line block ×4, first 2 shown]
	ds_read2_b64 v[99:102], v125 offset0:56 offset1:57
	s_waitcnt vmcnt(2)
	v_mul_f64 v[87:88], v[69:70], v[115:116]
	s_waitcnt vmcnt(0)
	v_mul_f64 v[97:98], v[71:72], v[115:116]
	v_fma_f64 v[115:116], v[71:72], v[113:114], v[87:88]
	v_mov_b32_e32 v88, v86
	v_fma_f64 v[97:98], v[69:70], v[113:114], -v[97:98]
	v_mov_b32_e32 v87, v85
	v_mov_b32_e32 v69, v73
	;; [unrolled: 1-line block ×5, first 2 shown]
	s_waitcnt lgkmcnt(0)
	v_mul_f64 v[85:86], v[101:102], v[115:116]
	v_mov_b32_e32 v114, v98
	v_mov_b32_e32 v113, v97
	v_fma_f64 v[85:86], v[99:100], v[97:98], -v[85:86]
	v_mul_f64 v[99:100], v[99:100], v[115:116]
	v_add_f64 v[93:94], v[93:94], -v[85:86]
	v_fma_f64 v[99:100], v[101:102], v[97:98], v[99:100]
	v_add_f64 v[95:96], v[95:96], -v[99:100]
	ds_read2_b64 v[99:102], v125 offset0:58 offset1:59
	buffer_load_dword v77, off, s[20:23], 0 offset:32 ; 4-byte Folded Reload
	buffer_load_dword v78, off, s[20:23], 0 offset:36 ; 4-byte Folded Reload
	;; [unrolled: 1-line block ×4, first 2 shown]
	s_waitcnt lgkmcnt(0)
	v_mul_f64 v[85:86], v[101:102], v[115:116]
	v_fma_f64 v[85:86], v[99:100], v[97:98], -v[85:86]
	v_mul_f64 v[99:100], v[99:100], v[115:116]
	v_fma_f64 v[99:100], v[101:102], v[97:98], v[99:100]
	s_waitcnt vmcnt(2)
	v_add_f64 v[77:78], v[77:78], -v[85:86]
	s_waitcnt vmcnt(0)
	v_add_f64 v[79:80], v[79:80], -v[99:100]
	buffer_store_dword v77, off, s[20:23], 0 offset:32 ; 4-byte Folded Spill
	s_nop 0
	buffer_store_dword v78, off, s[20:23], 0 offset:36 ; 4-byte Folded Spill
	buffer_store_dword v79, off, s[20:23], 0 offset:40 ; 4-byte Folded Spill
	;; [unrolled: 1-line block ×3, first 2 shown]
	ds_read2_b64 v[99:102], v125 offset0:60 offset1:61
	buffer_load_dword v73, off, s[20:23], 0 offset:16 ; 4-byte Folded Reload
	buffer_load_dword v74, off, s[20:23], 0 offset:20 ; 4-byte Folded Reload
	;; [unrolled: 1-line block ×4, first 2 shown]
	s_waitcnt lgkmcnt(0)
	v_mul_f64 v[85:86], v[101:102], v[115:116]
	v_fma_f64 v[85:86], v[99:100], v[97:98], -v[85:86]
	v_mul_f64 v[99:100], v[99:100], v[115:116]
	v_fma_f64 v[99:100], v[101:102], v[97:98], v[99:100]
	s_waitcnt vmcnt(2)
	v_add_f64 v[73:74], v[73:74], -v[85:86]
	s_waitcnt vmcnt(0)
	v_add_f64 v[75:76], v[75:76], -v[99:100]
	buffer_store_dword v73, off, s[20:23], 0 offset:16 ; 4-byte Folded Spill
	s_nop 0
	buffer_store_dword v74, off, s[20:23], 0 offset:20 ; 4-byte Folded Spill
	buffer_store_dword v75, off, s[20:23], 0 offset:24 ; 4-byte Folded Spill
	;; [unrolled: 1-line block ×3, first 2 shown]
	v_mov_b32_e32 v76, v72
	v_mov_b32_e32 v75, v71
	;; [unrolled: 1-line block ×4, first 2 shown]
	ds_read2_b64 v[99:102], v125 offset0:62 offset1:63
	buffer_load_dword v69, off, s[20:23], 0 ; 4-byte Folded Reload
	buffer_load_dword v70, off, s[20:23], 0 offset:4 ; 4-byte Folded Reload
	buffer_load_dword v71, off, s[20:23], 0 offset:8 ; 4-byte Folded Reload
	;; [unrolled: 1-line block ×3, first 2 shown]
	s_waitcnt lgkmcnt(0)
	v_mul_f64 v[85:86], v[101:102], v[115:116]
	v_fma_f64 v[85:86], v[99:100], v[97:98], -v[85:86]
	v_mul_f64 v[99:100], v[99:100], v[115:116]
	v_fma_f64 v[99:100], v[101:102], v[97:98], v[99:100]
	s_waitcnt vmcnt(2)
	v_add_f64 v[69:70], v[69:70], -v[85:86]
	s_waitcnt vmcnt(0)
	v_add_f64 v[71:72], v[71:72], -v[99:100]
	buffer_store_dword v69, off, s[20:23], 0 ; 4-byte Folded Spill
	s_nop 0
	buffer_store_dword v70, off, s[20:23], 0 offset:4 ; 4-byte Folded Spill
	buffer_store_dword v71, off, s[20:23], 0 offset:8 ; 4-byte Folded Spill
	;; [unrolled: 1-line block ×3, first 2 shown]
	ds_read2_b64 v[99:102], v125 offset0:64 offset1:65
	s_waitcnt lgkmcnt(0)
	v_mul_f64 v[85:86], v[101:102], v[115:116]
	v_fma_f64 v[85:86], v[99:100], v[97:98], -v[85:86]
	v_mul_f64 v[99:100], v[99:100], v[115:116]
	v_add_f64 v[65:66], v[65:66], -v[85:86]
	v_fma_f64 v[99:100], v[101:102], v[97:98], v[99:100]
	v_add_f64 v[67:68], v[67:68], -v[99:100]
	ds_read2_b64 v[99:102], v125 offset0:66 offset1:67
	s_waitcnt lgkmcnt(0)
	v_mul_f64 v[85:86], v[101:102], v[115:116]
	v_fma_f64 v[85:86], v[99:100], v[97:98], -v[85:86]
	v_mul_f64 v[99:100], v[99:100], v[115:116]
	v_add_f64 v[61:62], v[61:62], -v[85:86]
	v_fma_f64 v[99:100], v[101:102], v[97:98], v[99:100]
	v_add_f64 v[63:64], v[63:64], -v[99:100]
	;; [unrolled: 8-line block ×17, first 2 shown]
	ds_read2_b64 v[99:102], v125 offset0:98 offset1:99
	s_waitcnt lgkmcnt(0)
	v_mul_f64 v[85:86], v[101:102], v[115:116]
	v_fma_f64 v[85:86], v[99:100], v[97:98], -v[85:86]
	v_mul_f64 v[99:100], v[99:100], v[115:116]
	v_add_f64 v[73:74], v[73:74], -v[85:86]
	v_fma_f64 v[99:100], v[101:102], v[97:98], v[99:100]
	v_mov_b32_e32 v85, v89
	v_mov_b32_e32 v86, v90
	v_add_f64 v[75:76], v[75:76], -v[99:100]
.LBB99_253:
	s_or_b64 exec, exec, s[2:3]
	v_cmp_eq_u32_e32 vcc, 28, v0
	s_waitcnt vmcnt(0)
	s_barrier
	s_and_saveexec_b64 s[4:5], vcc
	s_cbranch_execz .LBB99_260
; %bb.254:
	ds_write2_b64 v127, v[93:94], v[95:96] offset1:1
	buffer_load_dword v77, off, s[20:23], 0 offset:32 ; 4-byte Folded Reload
	buffer_load_dword v78, off, s[20:23], 0 offset:36 ; 4-byte Folded Reload
	;; [unrolled: 1-line block ×4, first 2 shown]
	v_mov_b32_e32 v69, v73
	v_mov_b32_e32 v70, v74
	;; [unrolled: 1-line block ×4, first 2 shown]
	s_waitcnt vmcnt(0)
	ds_write2_b64 v125, v[77:78], v[79:80] offset0:58 offset1:59
	buffer_load_dword v73, off, s[20:23], 0 offset:16 ; 4-byte Folded Reload
	buffer_load_dword v74, off, s[20:23], 0 offset:20 ; 4-byte Folded Reload
	;; [unrolled: 1-line block ×4, first 2 shown]
	s_waitcnt vmcnt(0)
	ds_write2_b64 v125, v[73:74], v[75:76] offset0:60 offset1:61
	v_mov_b32_e32 v76, v72
	v_mov_b32_e32 v75, v71
	;; [unrolled: 1-line block ×4, first 2 shown]
	buffer_load_dword v69, off, s[20:23], 0 ; 4-byte Folded Reload
	buffer_load_dword v70, off, s[20:23], 0 offset:4 ; 4-byte Folded Reload
	buffer_load_dword v71, off, s[20:23], 0 offset:8 ; 4-byte Folded Reload
	buffer_load_dword v72, off, s[20:23], 0 offset:12 ; 4-byte Folded Reload
	s_waitcnt vmcnt(0)
	ds_write2_b64 v125, v[69:70], v[71:72] offset0:62 offset1:63
	ds_write2_b64 v125, v[65:66], v[67:68] offset0:64 offset1:65
	;; [unrolled: 1-line block ×19, first 2 shown]
	ds_read2_b64 v[97:100], v127 offset1:1
	s_waitcnt lgkmcnt(0)
	v_cmp_neq_f64_e32 vcc, 0, v[97:98]
	v_cmp_neq_f64_e64 s[2:3], 0, v[99:100]
	s_or_b64 s[2:3], vcc, s[2:3]
	s_and_b64 exec, exec, s[2:3]
	s_cbranch_execz .LBB99_260
; %bb.255:
	v_cmp_ngt_f64_e64 s[2:3], |v[97:98]|, |v[99:100]|
                                        ; implicit-def: $vgpr101_vgpr102
	s_and_saveexec_b64 s[6:7], s[2:3]
	s_xor_b64 s[2:3], exec, s[6:7]
                                        ; implicit-def: $vgpr103_vgpr104
	s_cbranch_execz .LBB99_257
; %bb.256:
	v_div_scale_f64 v[101:102], s[6:7], v[99:100], v[99:100], v[97:98]
	v_rcp_f64_e32 v[103:104], v[101:102]
	v_fma_f64 v[105:106], -v[101:102], v[103:104], 1.0
	v_fma_f64 v[103:104], v[103:104], v[105:106], v[103:104]
	v_div_scale_f64 v[105:106], vcc, v[97:98], v[99:100], v[97:98]
	v_fma_f64 v[107:108], -v[101:102], v[103:104], 1.0
	v_fma_f64 v[103:104], v[103:104], v[107:108], v[103:104]
	v_mul_f64 v[107:108], v[105:106], v[103:104]
	v_fma_f64 v[101:102], -v[101:102], v[107:108], v[105:106]
	v_div_fmas_f64 v[101:102], v[101:102], v[103:104], v[107:108]
	v_div_fixup_f64 v[101:102], v[101:102], v[99:100], v[97:98]
	v_fma_f64 v[97:98], v[97:98], v[101:102], v[99:100]
	v_div_scale_f64 v[99:100], s[6:7], v[97:98], v[97:98], 1.0
	v_div_scale_f64 v[107:108], vcc, 1.0, v[97:98], 1.0
	v_rcp_f64_e32 v[103:104], v[99:100]
	v_fma_f64 v[105:106], -v[99:100], v[103:104], 1.0
	v_fma_f64 v[103:104], v[103:104], v[105:106], v[103:104]
	v_fma_f64 v[105:106], -v[99:100], v[103:104], 1.0
	v_fma_f64 v[103:104], v[103:104], v[105:106], v[103:104]
	v_mul_f64 v[105:106], v[107:108], v[103:104]
	v_fma_f64 v[99:100], -v[99:100], v[105:106], v[107:108]
	v_div_fmas_f64 v[99:100], v[99:100], v[103:104], v[105:106]
	v_div_fixup_f64 v[103:104], v[99:100], v[97:98], 1.0
                                        ; implicit-def: $vgpr97_vgpr98
	v_mul_f64 v[101:102], v[101:102], v[103:104]
	v_xor_b32_e32 v104, 0x80000000, v104
.LBB99_257:
	s_andn2_saveexec_b64 s[2:3], s[2:3]
	s_cbranch_execz .LBB99_259
; %bb.258:
	v_div_scale_f64 v[101:102], s[6:7], v[97:98], v[97:98], v[99:100]
	v_rcp_f64_e32 v[103:104], v[101:102]
	v_fma_f64 v[105:106], -v[101:102], v[103:104], 1.0
	v_fma_f64 v[103:104], v[103:104], v[105:106], v[103:104]
	v_div_scale_f64 v[105:106], vcc, v[99:100], v[97:98], v[99:100]
	v_fma_f64 v[107:108], -v[101:102], v[103:104], 1.0
	v_fma_f64 v[103:104], v[103:104], v[107:108], v[103:104]
	v_mul_f64 v[107:108], v[105:106], v[103:104]
	v_fma_f64 v[101:102], -v[101:102], v[107:108], v[105:106]
	v_div_fmas_f64 v[101:102], v[101:102], v[103:104], v[107:108]
	v_div_fixup_f64 v[103:104], v[101:102], v[97:98], v[99:100]
	v_fma_f64 v[97:98], v[99:100], v[103:104], v[97:98]
	v_div_scale_f64 v[99:100], s[6:7], v[97:98], v[97:98], 1.0
	v_div_scale_f64 v[107:108], vcc, 1.0, v[97:98], 1.0
	v_rcp_f64_e32 v[101:102], v[99:100]
	v_fma_f64 v[105:106], -v[99:100], v[101:102], 1.0
	v_fma_f64 v[101:102], v[101:102], v[105:106], v[101:102]
	v_fma_f64 v[105:106], -v[99:100], v[101:102], 1.0
	v_fma_f64 v[101:102], v[101:102], v[105:106], v[101:102]
	v_mul_f64 v[105:106], v[107:108], v[101:102]
	v_fma_f64 v[99:100], -v[99:100], v[105:106], v[107:108]
	v_div_fmas_f64 v[99:100], v[99:100], v[101:102], v[105:106]
	v_div_fixup_f64 v[101:102], v[99:100], v[97:98], 1.0
	v_mul_f64 v[103:104], v[103:104], -v[101:102]
.LBB99_259:
	s_or_b64 exec, exec, s[2:3]
	ds_write2_b64 v127, v[101:102], v[103:104] offset1:1
.LBB99_260:
	s_or_b64 exec, exec, s[4:5]
	s_waitcnt lgkmcnt(0)
	s_barrier
	ds_read2_b64 v[69:72], v127 offset1:1
	v_cmp_lt_u32_e32 vcc, 28, v0
	s_waitcnt lgkmcnt(0)
	buffer_store_dword v69, off, s[20:23], 0 offset:1272 ; 4-byte Folded Spill
	s_nop 0
	buffer_store_dword v70, off, s[20:23], 0 offset:1276 ; 4-byte Folded Spill
	buffer_store_dword v71, off, s[20:23], 0 offset:1280 ; 4-byte Folded Spill
	;; [unrolled: 1-line block ×3, first 2 shown]
	s_and_saveexec_b64 s[2:3], vcc
	s_cbranch_execz .LBB99_262
; %bb.261:
	buffer_load_dword v69, off, s[20:23], 0 offset:1272 ; 4-byte Folded Reload
	buffer_load_dword v70, off, s[20:23], 0 offset:1276 ; 4-byte Folded Reload
	;; [unrolled: 1-line block ×4, first 2 shown]
	ds_read2_b64 v[99:102], v125 offset0:58 offset1:59
	buffer_load_dword v77, off, s[20:23], 0 offset:32 ; 4-byte Folded Reload
	buffer_load_dword v78, off, s[20:23], 0 offset:36 ; 4-byte Folded Reload
	;; [unrolled: 1-line block ×4, first 2 shown]
	v_mov_b32_e32 v90, v82
	v_mov_b32_e32 v89, v81
	s_waitcnt vmcnt(6)
	v_mul_f64 v[83:84], v[69:70], v[95:96]
	s_waitcnt vmcnt(4)
	v_mul_f64 v[97:98], v[71:72], v[95:96]
	v_fma_f64 v[95:96], v[71:72], v[93:94], v[83:84]
	v_fma_f64 v[97:98], v[69:70], v[93:94], -v[97:98]
	v_mov_b32_e32 v69, v73
	v_mov_b32_e32 v70, v74
	;; [unrolled: 1-line block ×4, first 2 shown]
	s_waitcnt lgkmcnt(0)
	v_mul_f64 v[81:82], v[101:102], v[95:96]
	v_mov_b32_e32 v93, v97
	v_mov_b32_e32 v94, v98
	v_fma_f64 v[81:82], v[99:100], v[97:98], -v[81:82]
	v_mul_f64 v[99:100], v[99:100], v[95:96]
	s_waitcnt vmcnt(2)
	v_add_f64 v[77:78], v[77:78], -v[81:82]
	v_fma_f64 v[99:100], v[101:102], v[97:98], v[99:100]
	s_waitcnt vmcnt(0)
	v_add_f64 v[79:80], v[79:80], -v[99:100]
	buffer_store_dword v77, off, s[20:23], 0 offset:32 ; 4-byte Folded Spill
	s_nop 0
	buffer_store_dword v78, off, s[20:23], 0 offset:36 ; 4-byte Folded Spill
	buffer_store_dword v79, off, s[20:23], 0 offset:40 ; 4-byte Folded Spill
	;; [unrolled: 1-line block ×3, first 2 shown]
	ds_read2_b64 v[99:102], v125 offset0:60 offset1:61
	buffer_load_dword v73, off, s[20:23], 0 offset:16 ; 4-byte Folded Reload
	buffer_load_dword v74, off, s[20:23], 0 offset:20 ; 4-byte Folded Reload
	;; [unrolled: 1-line block ×4, first 2 shown]
	s_waitcnt lgkmcnt(0)
	v_mul_f64 v[81:82], v[101:102], v[95:96]
	v_fma_f64 v[81:82], v[99:100], v[97:98], -v[81:82]
	v_mul_f64 v[99:100], v[99:100], v[95:96]
	v_fma_f64 v[99:100], v[101:102], v[97:98], v[99:100]
	s_waitcnt vmcnt(2)
	v_add_f64 v[73:74], v[73:74], -v[81:82]
	s_waitcnt vmcnt(0)
	v_add_f64 v[75:76], v[75:76], -v[99:100]
	buffer_store_dword v73, off, s[20:23], 0 offset:16 ; 4-byte Folded Spill
	s_nop 0
	buffer_store_dword v74, off, s[20:23], 0 offset:20 ; 4-byte Folded Spill
	buffer_store_dword v75, off, s[20:23], 0 offset:24 ; 4-byte Folded Spill
	;; [unrolled: 1-line block ×3, first 2 shown]
	v_mov_b32_e32 v76, v72
	v_mov_b32_e32 v75, v71
	;; [unrolled: 1-line block ×4, first 2 shown]
	ds_read2_b64 v[99:102], v125 offset0:62 offset1:63
	buffer_load_dword v69, off, s[20:23], 0 ; 4-byte Folded Reload
	buffer_load_dword v70, off, s[20:23], 0 offset:4 ; 4-byte Folded Reload
	buffer_load_dword v71, off, s[20:23], 0 offset:8 ; 4-byte Folded Reload
	;; [unrolled: 1-line block ×3, first 2 shown]
	s_waitcnt lgkmcnt(0)
	v_mul_f64 v[81:82], v[101:102], v[95:96]
	v_fma_f64 v[81:82], v[99:100], v[97:98], -v[81:82]
	v_mul_f64 v[99:100], v[99:100], v[95:96]
	v_fma_f64 v[99:100], v[101:102], v[97:98], v[99:100]
	s_waitcnt vmcnt(2)
	v_add_f64 v[69:70], v[69:70], -v[81:82]
	s_waitcnt vmcnt(0)
	v_add_f64 v[71:72], v[71:72], -v[99:100]
	buffer_store_dword v69, off, s[20:23], 0 ; 4-byte Folded Spill
	s_nop 0
	buffer_store_dword v70, off, s[20:23], 0 offset:4 ; 4-byte Folded Spill
	buffer_store_dword v71, off, s[20:23], 0 offset:8 ; 4-byte Folded Spill
	;; [unrolled: 1-line block ×3, first 2 shown]
	ds_read2_b64 v[99:102], v125 offset0:64 offset1:65
	s_waitcnt lgkmcnt(0)
	v_mul_f64 v[81:82], v[101:102], v[95:96]
	v_fma_f64 v[81:82], v[99:100], v[97:98], -v[81:82]
	v_mul_f64 v[99:100], v[99:100], v[95:96]
	v_add_f64 v[65:66], v[65:66], -v[81:82]
	v_fma_f64 v[99:100], v[101:102], v[97:98], v[99:100]
	v_add_f64 v[67:68], v[67:68], -v[99:100]
	ds_read2_b64 v[99:102], v125 offset0:66 offset1:67
	s_waitcnt lgkmcnt(0)
	v_mul_f64 v[81:82], v[101:102], v[95:96]
	v_fma_f64 v[81:82], v[99:100], v[97:98], -v[81:82]
	v_mul_f64 v[99:100], v[99:100], v[95:96]
	v_add_f64 v[61:62], v[61:62], -v[81:82]
	v_fma_f64 v[99:100], v[101:102], v[97:98], v[99:100]
	v_add_f64 v[63:64], v[63:64], -v[99:100]
	;; [unrolled: 8-line block ×17, first 2 shown]
	ds_read2_b64 v[99:102], v125 offset0:98 offset1:99
	s_waitcnt lgkmcnt(0)
	v_mul_f64 v[81:82], v[101:102], v[95:96]
	v_fma_f64 v[81:82], v[99:100], v[97:98], -v[81:82]
	v_mul_f64 v[99:100], v[99:100], v[95:96]
	v_add_f64 v[73:74], v[73:74], -v[81:82]
	v_fma_f64 v[99:100], v[101:102], v[97:98], v[99:100]
	v_mov_b32_e32 v81, v89
	v_mov_b32_e32 v82, v90
	v_add_f64 v[75:76], v[75:76], -v[99:100]
.LBB99_262:
	s_or_b64 exec, exec, s[2:3]
	v_cmp_eq_u32_e32 vcc, 29, v0
	s_waitcnt vmcnt(0)
	s_barrier
	s_and_saveexec_b64 s[4:5], vcc
	s_cbranch_execz .LBB99_269
; %bb.263:
	buffer_load_dword v77, off, s[20:23], 0 offset:32 ; 4-byte Folded Reload
	buffer_load_dword v78, off, s[20:23], 0 offset:36 ; 4-byte Folded Reload
	;; [unrolled: 1-line block ×4, first 2 shown]
	v_mov_b32_e32 v69, v73
	v_mov_b32_e32 v70, v74
	;; [unrolled: 1-line block ×4, first 2 shown]
	s_waitcnt vmcnt(0)
	ds_write2_b64 v127, v[77:78], v[79:80] offset1:1
	buffer_load_dword v73, off, s[20:23], 0 offset:16 ; 4-byte Folded Reload
	buffer_load_dword v74, off, s[20:23], 0 offset:20 ; 4-byte Folded Reload
	;; [unrolled: 1-line block ×4, first 2 shown]
	s_waitcnt vmcnt(0)
	ds_write2_b64 v125, v[73:74], v[75:76] offset0:60 offset1:61
	v_mov_b32_e32 v76, v72
	v_mov_b32_e32 v75, v71
	;; [unrolled: 1-line block ×4, first 2 shown]
	buffer_load_dword v69, off, s[20:23], 0 ; 4-byte Folded Reload
	buffer_load_dword v70, off, s[20:23], 0 offset:4 ; 4-byte Folded Reload
	buffer_load_dword v71, off, s[20:23], 0 offset:8 ; 4-byte Folded Reload
	;; [unrolled: 1-line block ×3, first 2 shown]
	s_waitcnt vmcnt(0)
	ds_write2_b64 v125, v[69:70], v[71:72] offset0:62 offset1:63
	ds_write2_b64 v125, v[65:66], v[67:68] offset0:64 offset1:65
	;; [unrolled: 1-line block ×19, first 2 shown]
	ds_read2_b64 v[97:100], v127 offset1:1
	s_waitcnt lgkmcnt(0)
	v_cmp_neq_f64_e32 vcc, 0, v[97:98]
	v_cmp_neq_f64_e64 s[2:3], 0, v[99:100]
	s_or_b64 s[2:3], vcc, s[2:3]
	s_and_b64 exec, exec, s[2:3]
	s_cbranch_execz .LBB99_269
; %bb.264:
	v_cmp_ngt_f64_e64 s[2:3], |v[97:98]|, |v[99:100]|
                                        ; implicit-def: $vgpr101_vgpr102
	s_and_saveexec_b64 s[6:7], s[2:3]
	s_xor_b64 s[2:3], exec, s[6:7]
                                        ; implicit-def: $vgpr103_vgpr104
	s_cbranch_execz .LBB99_266
; %bb.265:
	v_div_scale_f64 v[101:102], s[6:7], v[99:100], v[99:100], v[97:98]
	v_rcp_f64_e32 v[103:104], v[101:102]
	v_fma_f64 v[105:106], -v[101:102], v[103:104], 1.0
	v_fma_f64 v[103:104], v[103:104], v[105:106], v[103:104]
	v_div_scale_f64 v[105:106], vcc, v[97:98], v[99:100], v[97:98]
	v_fma_f64 v[107:108], -v[101:102], v[103:104], 1.0
	v_fma_f64 v[103:104], v[103:104], v[107:108], v[103:104]
	v_mul_f64 v[107:108], v[105:106], v[103:104]
	v_fma_f64 v[101:102], -v[101:102], v[107:108], v[105:106]
	v_div_fmas_f64 v[101:102], v[101:102], v[103:104], v[107:108]
	v_div_fixup_f64 v[101:102], v[101:102], v[99:100], v[97:98]
	v_fma_f64 v[97:98], v[97:98], v[101:102], v[99:100]
	v_div_scale_f64 v[99:100], s[6:7], v[97:98], v[97:98], 1.0
	v_div_scale_f64 v[107:108], vcc, 1.0, v[97:98], 1.0
	v_rcp_f64_e32 v[103:104], v[99:100]
	v_fma_f64 v[105:106], -v[99:100], v[103:104], 1.0
	v_fma_f64 v[103:104], v[103:104], v[105:106], v[103:104]
	v_fma_f64 v[105:106], -v[99:100], v[103:104], 1.0
	v_fma_f64 v[103:104], v[103:104], v[105:106], v[103:104]
	v_mul_f64 v[105:106], v[107:108], v[103:104]
	v_fma_f64 v[99:100], -v[99:100], v[105:106], v[107:108]
	v_div_fmas_f64 v[99:100], v[99:100], v[103:104], v[105:106]
	v_div_fixup_f64 v[103:104], v[99:100], v[97:98], 1.0
                                        ; implicit-def: $vgpr97_vgpr98
	v_mul_f64 v[101:102], v[101:102], v[103:104]
	v_xor_b32_e32 v104, 0x80000000, v104
.LBB99_266:
	s_andn2_saveexec_b64 s[2:3], s[2:3]
	s_cbranch_execz .LBB99_268
; %bb.267:
	v_div_scale_f64 v[101:102], s[6:7], v[97:98], v[97:98], v[99:100]
	v_rcp_f64_e32 v[103:104], v[101:102]
	v_fma_f64 v[105:106], -v[101:102], v[103:104], 1.0
	v_fma_f64 v[103:104], v[103:104], v[105:106], v[103:104]
	v_div_scale_f64 v[105:106], vcc, v[99:100], v[97:98], v[99:100]
	v_fma_f64 v[107:108], -v[101:102], v[103:104], 1.0
	v_fma_f64 v[103:104], v[103:104], v[107:108], v[103:104]
	v_mul_f64 v[107:108], v[105:106], v[103:104]
	v_fma_f64 v[101:102], -v[101:102], v[107:108], v[105:106]
	v_div_fmas_f64 v[101:102], v[101:102], v[103:104], v[107:108]
	v_div_fixup_f64 v[103:104], v[101:102], v[97:98], v[99:100]
	v_fma_f64 v[97:98], v[99:100], v[103:104], v[97:98]
	v_div_scale_f64 v[99:100], s[6:7], v[97:98], v[97:98], 1.0
	v_div_scale_f64 v[107:108], vcc, 1.0, v[97:98], 1.0
	v_rcp_f64_e32 v[101:102], v[99:100]
	v_fma_f64 v[105:106], -v[99:100], v[101:102], 1.0
	v_fma_f64 v[101:102], v[101:102], v[105:106], v[101:102]
	v_fma_f64 v[105:106], -v[99:100], v[101:102], 1.0
	v_fma_f64 v[101:102], v[101:102], v[105:106], v[101:102]
	v_mul_f64 v[105:106], v[107:108], v[101:102]
	v_fma_f64 v[99:100], -v[99:100], v[105:106], v[107:108]
	v_div_fmas_f64 v[99:100], v[99:100], v[101:102], v[105:106]
	v_div_fixup_f64 v[101:102], v[99:100], v[97:98], 1.0
	v_mul_f64 v[103:104], v[103:104], -v[101:102]
.LBB99_268:
	s_or_b64 exec, exec, s[2:3]
	ds_write2_b64 v127, v[101:102], v[103:104] offset1:1
.LBB99_269:
	s_or_b64 exec, exec, s[4:5]
	s_waitcnt lgkmcnt(0)
	s_barrier
	ds_read2_b64 v[69:72], v127 offset1:1
	v_cmp_lt_u32_e32 vcc, 29, v0
	s_waitcnt lgkmcnt(0)
	buffer_store_dword v69, off, s[20:23], 0 offset:1288 ; 4-byte Folded Spill
	s_nop 0
	buffer_store_dword v70, off, s[20:23], 0 offset:1292 ; 4-byte Folded Spill
	buffer_store_dword v71, off, s[20:23], 0 offset:1296 ; 4-byte Folded Spill
	;; [unrolled: 1-line block ×3, first 2 shown]
	s_and_saveexec_b64 s[2:3], vcc
	s_cbranch_execz .LBB99_271
; %bb.270:
	buffer_load_dword v77, off, s[20:23], 0 offset:32 ; 4-byte Folded Reload
	buffer_load_dword v78, off, s[20:23], 0 offset:36 ; 4-byte Folded Reload
	;; [unrolled: 1-line block ×8, first 2 shown]
	ds_read2_b64 v[99:102], v125 offset0:60 offset1:61
	s_waitcnt vmcnt(0)
	v_mul_f64 v[97:98], v[71:72], v[79:80]
	v_mul_f64 v[79:80], v[69:70], v[79:80]
	v_fma_f64 v[97:98], v[69:70], v[77:78], -v[97:98]
	v_fma_f64 v[79:80], v[71:72], v[77:78], v[79:80]
	v_mov_b32_e32 v69, v73
	v_mov_b32_e32 v70, v74
	;; [unrolled: 1-line block ×4, first 2 shown]
	buffer_load_dword v73, off, s[20:23], 0 offset:16 ; 4-byte Folded Reload
	buffer_load_dword v74, off, s[20:23], 0 offset:20 ; 4-byte Folded Reload
	;; [unrolled: 1-line block ×4, first 2 shown]
	s_waitcnt lgkmcnt(0)
	v_mul_f64 v[77:78], v[101:102], v[79:80]
	v_fma_f64 v[77:78], v[99:100], v[97:98], -v[77:78]
	v_mul_f64 v[99:100], v[99:100], v[79:80]
	v_fma_f64 v[99:100], v[101:102], v[97:98], v[99:100]
	s_waitcnt vmcnt(2)
	v_add_f64 v[73:74], v[73:74], -v[77:78]
	s_waitcnt vmcnt(0)
	v_add_f64 v[75:76], v[75:76], -v[99:100]
	buffer_store_dword v73, off, s[20:23], 0 offset:16 ; 4-byte Folded Spill
	s_nop 0
	buffer_store_dword v74, off, s[20:23], 0 offset:20 ; 4-byte Folded Spill
	buffer_store_dword v75, off, s[20:23], 0 offset:24 ; 4-byte Folded Spill
	;; [unrolled: 1-line block ×3, first 2 shown]
	v_mov_b32_e32 v76, v72
	v_mov_b32_e32 v75, v71
	;; [unrolled: 1-line block ×4, first 2 shown]
	ds_read2_b64 v[99:102], v125 offset0:62 offset1:63
	buffer_load_dword v69, off, s[20:23], 0 ; 4-byte Folded Reload
	buffer_load_dword v70, off, s[20:23], 0 offset:4 ; 4-byte Folded Reload
	buffer_load_dword v71, off, s[20:23], 0 offset:8 ; 4-byte Folded Reload
	;; [unrolled: 1-line block ×3, first 2 shown]
	s_waitcnt lgkmcnt(0)
	v_mul_f64 v[77:78], v[101:102], v[79:80]
	v_fma_f64 v[77:78], v[99:100], v[97:98], -v[77:78]
	v_mul_f64 v[99:100], v[99:100], v[79:80]
	v_fma_f64 v[99:100], v[101:102], v[97:98], v[99:100]
	s_waitcnt vmcnt(2)
	v_add_f64 v[69:70], v[69:70], -v[77:78]
	s_waitcnt vmcnt(0)
	v_add_f64 v[71:72], v[71:72], -v[99:100]
	buffer_store_dword v69, off, s[20:23], 0 ; 4-byte Folded Spill
	s_nop 0
	buffer_store_dword v70, off, s[20:23], 0 offset:4 ; 4-byte Folded Spill
	buffer_store_dword v71, off, s[20:23], 0 offset:8 ; 4-byte Folded Spill
	;; [unrolled: 1-line block ×3, first 2 shown]
	ds_read2_b64 v[99:102], v125 offset0:64 offset1:65
	s_waitcnt lgkmcnt(0)
	v_mul_f64 v[77:78], v[101:102], v[79:80]
	v_fma_f64 v[77:78], v[99:100], v[97:98], -v[77:78]
	v_mul_f64 v[99:100], v[99:100], v[79:80]
	v_add_f64 v[65:66], v[65:66], -v[77:78]
	v_fma_f64 v[99:100], v[101:102], v[97:98], v[99:100]
	v_add_f64 v[67:68], v[67:68], -v[99:100]
	ds_read2_b64 v[99:102], v125 offset0:66 offset1:67
	s_waitcnt lgkmcnt(0)
	v_mul_f64 v[77:78], v[101:102], v[79:80]
	v_fma_f64 v[77:78], v[99:100], v[97:98], -v[77:78]
	v_mul_f64 v[99:100], v[99:100], v[79:80]
	v_add_f64 v[61:62], v[61:62], -v[77:78]
	v_fma_f64 v[99:100], v[101:102], v[97:98], v[99:100]
	v_add_f64 v[63:64], v[63:64], -v[99:100]
	;; [unrolled: 8-line block ×17, first 2 shown]
	ds_read2_b64 v[99:102], v125 offset0:98 offset1:99
	s_waitcnt lgkmcnt(0)
	v_mul_f64 v[77:78], v[101:102], v[79:80]
	v_fma_f64 v[77:78], v[99:100], v[97:98], -v[77:78]
	v_mul_f64 v[99:100], v[99:100], v[79:80]
	v_add_f64 v[73:74], v[73:74], -v[77:78]
	v_fma_f64 v[99:100], v[101:102], v[97:98], v[99:100]
	v_mov_b32_e32 v77, v97
	v_mov_b32_e32 v78, v98
	buffer_store_dword v77, off, s[20:23], 0 offset:32 ; 4-byte Folded Spill
	s_nop 0
	buffer_store_dword v78, off, s[20:23], 0 offset:36 ; 4-byte Folded Spill
	buffer_store_dword v79, off, s[20:23], 0 offset:40 ; 4-byte Folded Spill
	;; [unrolled: 1-line block ×3, first 2 shown]
	v_add_f64 v[75:76], v[75:76], -v[99:100]
.LBB99_271:
	s_or_b64 exec, exec, s[2:3]
	v_cmp_eq_u32_e32 vcc, 30, v0
	s_waitcnt vmcnt(0)
	s_barrier
	s_and_saveexec_b64 s[4:5], vcc
	s_cbranch_execz .LBB99_278
; %bb.272:
	v_mov_b32_e32 v69, v73
	v_mov_b32_e32 v70, v74
	;; [unrolled: 1-line block ×4, first 2 shown]
	buffer_load_dword v73, off, s[20:23], 0 offset:16 ; 4-byte Folded Reload
	buffer_load_dword v74, off, s[20:23], 0 offset:20 ; 4-byte Folded Reload
	;; [unrolled: 1-line block ×4, first 2 shown]
	s_waitcnt vmcnt(0)
	ds_write2_b64 v127, v[73:74], v[75:76] offset1:1
	v_mov_b32_e32 v76, v72
	v_mov_b32_e32 v75, v71
	;; [unrolled: 1-line block ×4, first 2 shown]
	buffer_load_dword v69, off, s[20:23], 0 ; 4-byte Folded Reload
	buffer_load_dword v70, off, s[20:23], 0 offset:4 ; 4-byte Folded Reload
	buffer_load_dword v71, off, s[20:23], 0 offset:8 ; 4-byte Folded Reload
	;; [unrolled: 1-line block ×3, first 2 shown]
	s_waitcnt vmcnt(0)
	ds_write2_b64 v125, v[69:70], v[71:72] offset0:62 offset1:63
	ds_write2_b64 v125, v[65:66], v[67:68] offset0:64 offset1:65
	;; [unrolled: 1-line block ×19, first 2 shown]
	ds_read2_b64 v[97:100], v127 offset1:1
	s_waitcnt lgkmcnt(0)
	v_cmp_neq_f64_e32 vcc, 0, v[97:98]
	v_cmp_neq_f64_e64 s[2:3], 0, v[99:100]
	s_or_b64 s[2:3], vcc, s[2:3]
	s_and_b64 exec, exec, s[2:3]
	s_cbranch_execz .LBB99_278
; %bb.273:
	v_cmp_ngt_f64_e64 s[2:3], |v[97:98]|, |v[99:100]|
                                        ; implicit-def: $vgpr101_vgpr102
	s_and_saveexec_b64 s[6:7], s[2:3]
	s_xor_b64 s[2:3], exec, s[6:7]
                                        ; implicit-def: $vgpr103_vgpr104
	s_cbranch_execz .LBB99_275
; %bb.274:
	v_div_scale_f64 v[101:102], s[6:7], v[99:100], v[99:100], v[97:98]
	v_rcp_f64_e32 v[103:104], v[101:102]
	v_fma_f64 v[105:106], -v[101:102], v[103:104], 1.0
	v_fma_f64 v[103:104], v[103:104], v[105:106], v[103:104]
	v_div_scale_f64 v[105:106], vcc, v[97:98], v[99:100], v[97:98]
	v_fma_f64 v[107:108], -v[101:102], v[103:104], 1.0
	v_fma_f64 v[103:104], v[103:104], v[107:108], v[103:104]
	v_mul_f64 v[107:108], v[105:106], v[103:104]
	v_fma_f64 v[101:102], -v[101:102], v[107:108], v[105:106]
	v_div_fmas_f64 v[101:102], v[101:102], v[103:104], v[107:108]
	v_div_fixup_f64 v[101:102], v[101:102], v[99:100], v[97:98]
	v_fma_f64 v[97:98], v[97:98], v[101:102], v[99:100]
	v_div_scale_f64 v[99:100], s[6:7], v[97:98], v[97:98], 1.0
	v_div_scale_f64 v[107:108], vcc, 1.0, v[97:98], 1.0
	v_rcp_f64_e32 v[103:104], v[99:100]
	v_fma_f64 v[105:106], -v[99:100], v[103:104], 1.0
	v_fma_f64 v[103:104], v[103:104], v[105:106], v[103:104]
	v_fma_f64 v[105:106], -v[99:100], v[103:104], 1.0
	v_fma_f64 v[103:104], v[103:104], v[105:106], v[103:104]
	v_mul_f64 v[105:106], v[107:108], v[103:104]
	v_fma_f64 v[99:100], -v[99:100], v[105:106], v[107:108]
	v_div_fmas_f64 v[99:100], v[99:100], v[103:104], v[105:106]
	v_div_fixup_f64 v[103:104], v[99:100], v[97:98], 1.0
                                        ; implicit-def: $vgpr97_vgpr98
	v_mul_f64 v[101:102], v[101:102], v[103:104]
	v_xor_b32_e32 v104, 0x80000000, v104
.LBB99_275:
	s_andn2_saveexec_b64 s[2:3], s[2:3]
	s_cbranch_execz .LBB99_277
; %bb.276:
	v_div_scale_f64 v[101:102], s[6:7], v[97:98], v[97:98], v[99:100]
	v_rcp_f64_e32 v[103:104], v[101:102]
	v_fma_f64 v[105:106], -v[101:102], v[103:104], 1.0
	v_fma_f64 v[103:104], v[103:104], v[105:106], v[103:104]
	v_div_scale_f64 v[105:106], vcc, v[99:100], v[97:98], v[99:100]
	v_fma_f64 v[107:108], -v[101:102], v[103:104], 1.0
	v_fma_f64 v[103:104], v[103:104], v[107:108], v[103:104]
	v_mul_f64 v[107:108], v[105:106], v[103:104]
	v_fma_f64 v[101:102], -v[101:102], v[107:108], v[105:106]
	v_div_fmas_f64 v[101:102], v[101:102], v[103:104], v[107:108]
	v_div_fixup_f64 v[103:104], v[101:102], v[97:98], v[99:100]
	v_fma_f64 v[97:98], v[99:100], v[103:104], v[97:98]
	v_div_scale_f64 v[99:100], s[6:7], v[97:98], v[97:98], 1.0
	v_div_scale_f64 v[107:108], vcc, 1.0, v[97:98], 1.0
	v_rcp_f64_e32 v[101:102], v[99:100]
	v_fma_f64 v[105:106], -v[99:100], v[101:102], 1.0
	v_fma_f64 v[101:102], v[101:102], v[105:106], v[101:102]
	v_fma_f64 v[105:106], -v[99:100], v[101:102], 1.0
	v_fma_f64 v[101:102], v[101:102], v[105:106], v[101:102]
	v_mul_f64 v[105:106], v[107:108], v[101:102]
	v_fma_f64 v[99:100], -v[99:100], v[105:106], v[107:108]
	v_div_fmas_f64 v[99:100], v[99:100], v[101:102], v[105:106]
	v_div_fixup_f64 v[101:102], v[99:100], v[97:98], 1.0
	v_mul_f64 v[103:104], v[103:104], -v[101:102]
.LBB99_277:
	s_or_b64 exec, exec, s[2:3]
	ds_write2_b64 v127, v[101:102], v[103:104] offset1:1
.LBB99_278:
	s_or_b64 exec, exec, s[4:5]
	s_waitcnt lgkmcnt(0)
	s_barrier
	ds_read2_b64 v[69:72], v127 offset1:1
	v_cmp_lt_u32_e32 vcc, 30, v0
	s_waitcnt lgkmcnt(0)
	buffer_store_dword v69, off, s[20:23], 0 offset:1304 ; 4-byte Folded Spill
	s_nop 0
	buffer_store_dword v70, off, s[20:23], 0 offset:1308 ; 4-byte Folded Spill
	buffer_store_dword v71, off, s[20:23], 0 offset:1312 ; 4-byte Folded Spill
	;; [unrolled: 1-line block ×3, first 2 shown]
	s_and_saveexec_b64 s[2:3], vcc
	s_cbranch_execz .LBB99_280
; %bb.279:
	v_mov_b32_e32 v80, v76
	v_mov_b32_e32 v79, v75
	;; [unrolled: 1-line block ×4, first 2 shown]
	buffer_load_dword v73, off, s[20:23], 0 offset:16 ; 4-byte Folded Reload
	buffer_load_dword v74, off, s[20:23], 0 offset:20 ; 4-byte Folded Reload
	;; [unrolled: 1-line block ×8, first 2 shown]
	ds_read2_b64 v[99:102], v125 offset0:62 offset1:63
	s_waitcnt vmcnt(0)
	v_mul_f64 v[97:98], v[71:72], v[75:76]
	v_mul_f64 v[75:76], v[69:70], v[75:76]
	v_fma_f64 v[97:98], v[69:70], v[73:74], -v[97:98]
	v_fma_f64 v[75:76], v[71:72], v[73:74], v[75:76]
	buffer_load_dword v69, off, s[20:23], 0 ; 4-byte Folded Reload
	buffer_load_dword v70, off, s[20:23], 0 offset:4 ; 4-byte Folded Reload
	buffer_load_dword v71, off, s[20:23], 0 offset:8 ; 4-byte Folded Reload
	;; [unrolled: 1-line block ×3, first 2 shown]
	s_waitcnt lgkmcnt(0)
	v_mul_f64 v[73:74], v[101:102], v[75:76]
	v_fma_f64 v[73:74], v[99:100], v[97:98], -v[73:74]
	v_mul_f64 v[99:100], v[99:100], v[75:76]
	v_fma_f64 v[99:100], v[101:102], v[97:98], v[99:100]
	s_waitcnt vmcnt(2)
	v_add_f64 v[69:70], v[69:70], -v[73:74]
	s_waitcnt vmcnt(0)
	v_add_f64 v[71:72], v[71:72], -v[99:100]
	buffer_store_dword v69, off, s[20:23], 0 ; 4-byte Folded Spill
	s_nop 0
	buffer_store_dword v70, off, s[20:23], 0 offset:4 ; 4-byte Folded Spill
	buffer_store_dword v71, off, s[20:23], 0 offset:8 ; 4-byte Folded Spill
	;; [unrolled: 1-line block ×3, first 2 shown]
	ds_read2_b64 v[99:102], v125 offset0:64 offset1:65
	s_waitcnt lgkmcnt(0)
	v_mul_f64 v[73:74], v[101:102], v[75:76]
	v_fma_f64 v[73:74], v[99:100], v[97:98], -v[73:74]
	v_mul_f64 v[99:100], v[99:100], v[75:76]
	v_add_f64 v[65:66], v[65:66], -v[73:74]
	v_fma_f64 v[99:100], v[101:102], v[97:98], v[99:100]
	v_add_f64 v[67:68], v[67:68], -v[99:100]
	ds_read2_b64 v[99:102], v125 offset0:66 offset1:67
	s_waitcnt lgkmcnt(0)
	v_mul_f64 v[73:74], v[101:102], v[75:76]
	v_fma_f64 v[73:74], v[99:100], v[97:98], -v[73:74]
	v_mul_f64 v[99:100], v[99:100], v[75:76]
	v_add_f64 v[61:62], v[61:62], -v[73:74]
	v_fma_f64 v[99:100], v[101:102], v[97:98], v[99:100]
	v_add_f64 v[63:64], v[63:64], -v[99:100]
	;; [unrolled: 8-line block ×17, first 2 shown]
	ds_read2_b64 v[99:102], v125 offset0:98 offset1:99
	s_waitcnt lgkmcnt(0)
	v_mul_f64 v[73:74], v[101:102], v[75:76]
	v_fma_f64 v[73:74], v[99:100], v[97:98], -v[73:74]
	v_mul_f64 v[99:100], v[99:100], v[75:76]
	v_add_f64 v[77:78], v[77:78], -v[73:74]
	v_fma_f64 v[99:100], v[101:102], v[97:98], v[99:100]
	v_mov_b32_e32 v73, v97
	v_mov_b32_e32 v74, v98
	buffer_store_dword v73, off, s[20:23], 0 offset:16 ; 4-byte Folded Spill
	s_nop 0
	buffer_store_dword v74, off, s[20:23], 0 offset:20 ; 4-byte Folded Spill
	buffer_store_dword v75, off, s[20:23], 0 offset:24 ; 4-byte Folded Spill
	;; [unrolled: 1-line block ×3, first 2 shown]
	v_add_f64 v[79:80], v[79:80], -v[99:100]
	v_mov_b32_e32 v73, v77
	v_mov_b32_e32 v74, v78
	;; [unrolled: 1-line block ×4, first 2 shown]
.LBB99_280:
	s_or_b64 exec, exec, s[2:3]
	v_cmp_eq_u32_e32 vcc, 31, v0
	s_waitcnt vmcnt(0)
	s_barrier
	s_and_saveexec_b64 s[4:5], vcc
	s_cbranch_execz .LBB99_287
; %bb.281:
	buffer_load_dword v69, off, s[20:23], 0 ; 4-byte Folded Reload
	buffer_load_dword v70, off, s[20:23], 0 offset:4 ; 4-byte Folded Reload
	buffer_load_dword v71, off, s[20:23], 0 offset:8 ; 4-byte Folded Reload
	;; [unrolled: 1-line block ×3, first 2 shown]
	s_waitcnt vmcnt(0)
	ds_write2_b64 v127, v[69:70], v[71:72] offset1:1
	ds_write2_b64 v125, v[65:66], v[67:68] offset0:64 offset1:65
	ds_write2_b64 v125, v[61:62], v[63:64] offset0:66 offset1:67
	;; [unrolled: 1-line block ×18, first 2 shown]
	ds_read2_b64 v[97:100], v127 offset1:1
	s_waitcnt lgkmcnt(0)
	v_cmp_neq_f64_e32 vcc, 0, v[97:98]
	v_cmp_neq_f64_e64 s[2:3], 0, v[99:100]
	s_or_b64 s[2:3], vcc, s[2:3]
	s_and_b64 exec, exec, s[2:3]
	s_cbranch_execz .LBB99_287
; %bb.282:
	v_cmp_ngt_f64_e64 s[2:3], |v[97:98]|, |v[99:100]|
                                        ; implicit-def: $vgpr101_vgpr102
	s_and_saveexec_b64 s[6:7], s[2:3]
	s_xor_b64 s[2:3], exec, s[6:7]
                                        ; implicit-def: $vgpr103_vgpr104
	s_cbranch_execz .LBB99_284
; %bb.283:
	v_div_scale_f64 v[101:102], s[6:7], v[99:100], v[99:100], v[97:98]
	v_rcp_f64_e32 v[103:104], v[101:102]
	v_fma_f64 v[105:106], -v[101:102], v[103:104], 1.0
	v_fma_f64 v[103:104], v[103:104], v[105:106], v[103:104]
	v_div_scale_f64 v[105:106], vcc, v[97:98], v[99:100], v[97:98]
	v_fma_f64 v[107:108], -v[101:102], v[103:104], 1.0
	v_fma_f64 v[103:104], v[103:104], v[107:108], v[103:104]
	v_mul_f64 v[107:108], v[105:106], v[103:104]
	v_fma_f64 v[101:102], -v[101:102], v[107:108], v[105:106]
	v_div_fmas_f64 v[101:102], v[101:102], v[103:104], v[107:108]
	v_div_fixup_f64 v[101:102], v[101:102], v[99:100], v[97:98]
	v_fma_f64 v[97:98], v[97:98], v[101:102], v[99:100]
	v_div_scale_f64 v[99:100], s[6:7], v[97:98], v[97:98], 1.0
	v_div_scale_f64 v[107:108], vcc, 1.0, v[97:98], 1.0
	v_rcp_f64_e32 v[103:104], v[99:100]
	v_fma_f64 v[105:106], -v[99:100], v[103:104], 1.0
	v_fma_f64 v[103:104], v[103:104], v[105:106], v[103:104]
	v_fma_f64 v[105:106], -v[99:100], v[103:104], 1.0
	v_fma_f64 v[103:104], v[103:104], v[105:106], v[103:104]
	v_mul_f64 v[105:106], v[107:108], v[103:104]
	v_fma_f64 v[99:100], -v[99:100], v[105:106], v[107:108]
	v_div_fmas_f64 v[99:100], v[99:100], v[103:104], v[105:106]
	v_div_fixup_f64 v[103:104], v[99:100], v[97:98], 1.0
                                        ; implicit-def: $vgpr97_vgpr98
	v_mul_f64 v[101:102], v[101:102], v[103:104]
	v_xor_b32_e32 v104, 0x80000000, v104
.LBB99_284:
	s_andn2_saveexec_b64 s[2:3], s[2:3]
	s_cbranch_execz .LBB99_286
; %bb.285:
	v_div_scale_f64 v[101:102], s[6:7], v[97:98], v[97:98], v[99:100]
	v_rcp_f64_e32 v[103:104], v[101:102]
	v_fma_f64 v[105:106], -v[101:102], v[103:104], 1.0
	v_fma_f64 v[103:104], v[103:104], v[105:106], v[103:104]
	v_div_scale_f64 v[105:106], vcc, v[99:100], v[97:98], v[99:100]
	v_fma_f64 v[107:108], -v[101:102], v[103:104], 1.0
	v_fma_f64 v[103:104], v[103:104], v[107:108], v[103:104]
	v_mul_f64 v[107:108], v[105:106], v[103:104]
	v_fma_f64 v[101:102], -v[101:102], v[107:108], v[105:106]
	v_div_fmas_f64 v[101:102], v[101:102], v[103:104], v[107:108]
	v_div_fixup_f64 v[103:104], v[101:102], v[97:98], v[99:100]
	v_fma_f64 v[97:98], v[99:100], v[103:104], v[97:98]
	v_div_scale_f64 v[99:100], s[6:7], v[97:98], v[97:98], 1.0
	v_div_scale_f64 v[107:108], vcc, 1.0, v[97:98], 1.0
	v_rcp_f64_e32 v[101:102], v[99:100]
	v_fma_f64 v[105:106], -v[99:100], v[101:102], 1.0
	v_fma_f64 v[101:102], v[101:102], v[105:106], v[101:102]
	v_fma_f64 v[105:106], -v[99:100], v[101:102], 1.0
	v_fma_f64 v[101:102], v[101:102], v[105:106], v[101:102]
	v_mul_f64 v[105:106], v[107:108], v[101:102]
	v_fma_f64 v[99:100], -v[99:100], v[105:106], v[107:108]
	v_div_fmas_f64 v[99:100], v[99:100], v[101:102], v[105:106]
	v_div_fixup_f64 v[101:102], v[99:100], v[97:98], 1.0
	v_mul_f64 v[103:104], v[103:104], -v[101:102]
.LBB99_286:
	s_or_b64 exec, exec, s[2:3]
	ds_write2_b64 v127, v[101:102], v[103:104] offset1:1
.LBB99_287:
	s_or_b64 exec, exec, s[4:5]
	s_waitcnt lgkmcnt(0)
	s_barrier
	ds_read2_b64 v[69:72], v127 offset1:1
	v_cmp_lt_u32_e32 vcc, 31, v0
	s_waitcnt lgkmcnt(0)
	buffer_store_dword v69, off, s[20:23], 0 offset:1320 ; 4-byte Folded Spill
	s_nop 0
	buffer_store_dword v70, off, s[20:23], 0 offset:1324 ; 4-byte Folded Spill
	buffer_store_dword v71, off, s[20:23], 0 offset:1328 ; 4-byte Folded Spill
	;; [unrolled: 1-line block ×3, first 2 shown]
	s_and_saveexec_b64 s[2:3], vcc
	s_cbranch_execz .LBB99_289
; %bb.288:
	buffer_load_dword v69, off, s[20:23], 0 ; 4-byte Folded Reload
	buffer_load_dword v70, off, s[20:23], 0 offset:4 ; 4-byte Folded Reload
	buffer_load_dword v71, off, s[20:23], 0 offset:8 ; 4-byte Folded Reload
	;; [unrolled: 1-line block ×7, first 2 shown]
	ds_read2_b64 v[99:102], v125 offset0:64 offset1:65
	s_waitcnt vmcnt(0)
	v_mul_f64 v[97:98], v[79:80], v[71:72]
	v_mul_f64 v[71:72], v[77:78], v[71:72]
	v_fma_f64 v[97:98], v[77:78], v[69:70], -v[97:98]
	v_fma_f64 v[71:72], v[79:80], v[69:70], v[71:72]
	s_waitcnt lgkmcnt(0)
	v_mul_f64 v[69:70], v[101:102], v[71:72]
	v_fma_f64 v[69:70], v[99:100], v[97:98], -v[69:70]
	v_mul_f64 v[99:100], v[99:100], v[71:72]
	v_add_f64 v[65:66], v[65:66], -v[69:70]
	v_fma_f64 v[99:100], v[101:102], v[97:98], v[99:100]
	v_add_f64 v[67:68], v[67:68], -v[99:100]
	ds_read2_b64 v[99:102], v125 offset0:66 offset1:67
	s_waitcnt lgkmcnt(0)
	v_mul_f64 v[69:70], v[101:102], v[71:72]
	v_fma_f64 v[69:70], v[99:100], v[97:98], -v[69:70]
	v_mul_f64 v[99:100], v[99:100], v[71:72]
	v_add_f64 v[61:62], v[61:62], -v[69:70]
	v_fma_f64 v[99:100], v[101:102], v[97:98], v[99:100]
	v_add_f64 v[63:64], v[63:64], -v[99:100]
	ds_read2_b64 v[99:102], v125 offset0:68 offset1:69
	;; [unrolled: 8-line block ×17, first 2 shown]
	s_waitcnt lgkmcnt(0)
	v_mul_f64 v[69:70], v[101:102], v[71:72]
	v_fma_f64 v[69:70], v[99:100], v[97:98], -v[69:70]
	v_mul_f64 v[99:100], v[99:100], v[71:72]
	v_add_f64 v[73:74], v[73:74], -v[69:70]
	v_fma_f64 v[99:100], v[101:102], v[97:98], v[99:100]
	v_mov_b32_e32 v69, v97
	v_mov_b32_e32 v70, v98
	buffer_store_dword v69, off, s[20:23], 0 ; 4-byte Folded Spill
	s_nop 0
	buffer_store_dword v70, off, s[20:23], 0 offset:4 ; 4-byte Folded Spill
	buffer_store_dword v71, off, s[20:23], 0 offset:8 ; 4-byte Folded Spill
	;; [unrolled: 1-line block ×3, first 2 shown]
	v_add_f64 v[75:76], v[75:76], -v[99:100]
.LBB99_289:
	s_or_b64 exec, exec, s[2:3]
	v_cmp_eq_u32_e32 vcc, 32, v0
	s_waitcnt vmcnt(0)
	s_barrier
	s_and_saveexec_b64 s[4:5], vcc
	s_cbranch_execz .LBB99_296
; %bb.290:
	ds_write2_b64 v127, v[65:66], v[67:68] offset1:1
	ds_write2_b64 v125, v[61:62], v[63:64] offset0:66 offset1:67
	ds_write2_b64 v125, v[57:58], v[59:60] offset0:68 offset1:69
	;; [unrolled: 1-line block ×17, first 2 shown]
	ds_read2_b64 v[97:100], v127 offset1:1
	s_waitcnt lgkmcnt(0)
	v_cmp_neq_f64_e32 vcc, 0, v[97:98]
	v_cmp_neq_f64_e64 s[2:3], 0, v[99:100]
	s_or_b64 s[2:3], vcc, s[2:3]
	s_and_b64 exec, exec, s[2:3]
	s_cbranch_execz .LBB99_296
; %bb.291:
	v_cmp_ngt_f64_e64 s[2:3], |v[97:98]|, |v[99:100]|
                                        ; implicit-def: $vgpr101_vgpr102
	s_and_saveexec_b64 s[6:7], s[2:3]
	s_xor_b64 s[2:3], exec, s[6:7]
                                        ; implicit-def: $vgpr103_vgpr104
	s_cbranch_execz .LBB99_293
; %bb.292:
	v_div_scale_f64 v[101:102], s[6:7], v[99:100], v[99:100], v[97:98]
	v_rcp_f64_e32 v[103:104], v[101:102]
	v_fma_f64 v[105:106], -v[101:102], v[103:104], 1.0
	v_fma_f64 v[103:104], v[103:104], v[105:106], v[103:104]
	v_div_scale_f64 v[105:106], vcc, v[97:98], v[99:100], v[97:98]
	v_fma_f64 v[107:108], -v[101:102], v[103:104], 1.0
	v_fma_f64 v[103:104], v[103:104], v[107:108], v[103:104]
	v_mul_f64 v[107:108], v[105:106], v[103:104]
	v_fma_f64 v[101:102], -v[101:102], v[107:108], v[105:106]
	v_div_fmas_f64 v[101:102], v[101:102], v[103:104], v[107:108]
	v_div_fixup_f64 v[101:102], v[101:102], v[99:100], v[97:98]
	v_fma_f64 v[97:98], v[97:98], v[101:102], v[99:100]
	v_div_scale_f64 v[99:100], s[6:7], v[97:98], v[97:98], 1.0
	v_div_scale_f64 v[107:108], vcc, 1.0, v[97:98], 1.0
	v_rcp_f64_e32 v[103:104], v[99:100]
	v_fma_f64 v[105:106], -v[99:100], v[103:104], 1.0
	v_fma_f64 v[103:104], v[103:104], v[105:106], v[103:104]
	v_fma_f64 v[105:106], -v[99:100], v[103:104], 1.0
	v_fma_f64 v[103:104], v[103:104], v[105:106], v[103:104]
	v_mul_f64 v[105:106], v[107:108], v[103:104]
	v_fma_f64 v[99:100], -v[99:100], v[105:106], v[107:108]
	v_div_fmas_f64 v[99:100], v[99:100], v[103:104], v[105:106]
	v_div_fixup_f64 v[103:104], v[99:100], v[97:98], 1.0
                                        ; implicit-def: $vgpr97_vgpr98
	v_mul_f64 v[101:102], v[101:102], v[103:104]
	v_xor_b32_e32 v104, 0x80000000, v104
.LBB99_293:
	s_andn2_saveexec_b64 s[2:3], s[2:3]
	s_cbranch_execz .LBB99_295
; %bb.294:
	v_div_scale_f64 v[101:102], s[6:7], v[97:98], v[97:98], v[99:100]
	v_rcp_f64_e32 v[103:104], v[101:102]
	v_fma_f64 v[105:106], -v[101:102], v[103:104], 1.0
	v_fma_f64 v[103:104], v[103:104], v[105:106], v[103:104]
	v_div_scale_f64 v[105:106], vcc, v[99:100], v[97:98], v[99:100]
	v_fma_f64 v[107:108], -v[101:102], v[103:104], 1.0
	v_fma_f64 v[103:104], v[103:104], v[107:108], v[103:104]
	v_mul_f64 v[107:108], v[105:106], v[103:104]
	v_fma_f64 v[101:102], -v[101:102], v[107:108], v[105:106]
	v_div_fmas_f64 v[101:102], v[101:102], v[103:104], v[107:108]
	v_div_fixup_f64 v[103:104], v[101:102], v[97:98], v[99:100]
	v_fma_f64 v[97:98], v[99:100], v[103:104], v[97:98]
	v_div_scale_f64 v[99:100], s[6:7], v[97:98], v[97:98], 1.0
	v_div_scale_f64 v[107:108], vcc, 1.0, v[97:98], 1.0
	v_rcp_f64_e32 v[101:102], v[99:100]
	v_fma_f64 v[105:106], -v[99:100], v[101:102], 1.0
	v_fma_f64 v[101:102], v[101:102], v[105:106], v[101:102]
	v_fma_f64 v[105:106], -v[99:100], v[101:102], 1.0
	v_fma_f64 v[101:102], v[101:102], v[105:106], v[101:102]
	v_mul_f64 v[105:106], v[107:108], v[101:102]
	v_fma_f64 v[99:100], -v[99:100], v[105:106], v[107:108]
	v_div_fmas_f64 v[99:100], v[99:100], v[101:102], v[105:106]
	v_div_fixup_f64 v[101:102], v[99:100], v[97:98], 1.0
	v_mul_f64 v[103:104], v[103:104], -v[101:102]
.LBB99_295:
	s_or_b64 exec, exec, s[2:3]
	ds_write2_b64 v127, v[101:102], v[103:104] offset1:1
.LBB99_296:
	s_or_b64 exec, exec, s[4:5]
	s_waitcnt lgkmcnt(0)
	s_barrier
	ds_read2_b64 v[69:72], v127 offset1:1
	v_cmp_lt_u32_e32 vcc, 32, v0
	s_waitcnt lgkmcnt(0)
	buffer_store_dword v69, off, s[20:23], 0 offset:1336 ; 4-byte Folded Spill
	s_nop 0
	buffer_store_dword v70, off, s[20:23], 0 offset:1340 ; 4-byte Folded Spill
	buffer_store_dword v71, off, s[20:23], 0 offset:1344 ; 4-byte Folded Spill
	;; [unrolled: 1-line block ×3, first 2 shown]
	s_and_saveexec_b64 s[2:3], vcc
	s_cbranch_execz .LBB99_298
; %bb.297:
	buffer_load_dword v69, off, s[20:23], 0 offset:1336 ; 4-byte Folded Reload
	buffer_load_dword v70, off, s[20:23], 0 offset:1340 ; 4-byte Folded Reload
	;; [unrolled: 1-line block ×4, first 2 shown]
	ds_read2_b64 v[99:102], v125 offset0:66 offset1:67
	s_waitcnt vmcnt(0)
	v_mul_f64 v[97:98], v[71:72], v[67:68]
	v_mul_f64 v[67:68], v[69:70], v[67:68]
	v_fma_f64 v[97:98], v[69:70], v[65:66], -v[97:98]
	v_fma_f64 v[67:68], v[71:72], v[65:66], v[67:68]
	s_waitcnt lgkmcnt(0)
	v_mul_f64 v[65:66], v[101:102], v[67:68]
	v_fma_f64 v[65:66], v[99:100], v[97:98], -v[65:66]
	v_mul_f64 v[99:100], v[99:100], v[67:68]
	v_add_f64 v[61:62], v[61:62], -v[65:66]
	v_fma_f64 v[99:100], v[101:102], v[97:98], v[99:100]
	v_add_f64 v[63:64], v[63:64], -v[99:100]
	ds_read2_b64 v[99:102], v125 offset0:68 offset1:69
	s_waitcnt lgkmcnt(0)
	v_mul_f64 v[65:66], v[101:102], v[67:68]
	v_fma_f64 v[65:66], v[99:100], v[97:98], -v[65:66]
	v_mul_f64 v[99:100], v[99:100], v[67:68]
	v_add_f64 v[57:58], v[57:58], -v[65:66]
	v_fma_f64 v[99:100], v[101:102], v[97:98], v[99:100]
	v_add_f64 v[59:60], v[59:60], -v[99:100]
	ds_read2_b64 v[99:102], v125 offset0:70 offset1:71
	;; [unrolled: 8-line block ×16, first 2 shown]
	s_waitcnt lgkmcnt(0)
	v_mul_f64 v[65:66], v[101:102], v[67:68]
	v_fma_f64 v[65:66], v[99:100], v[97:98], -v[65:66]
	v_mul_f64 v[99:100], v[99:100], v[67:68]
	v_add_f64 v[73:74], v[73:74], -v[65:66]
	v_fma_f64 v[99:100], v[101:102], v[97:98], v[99:100]
	v_mov_b32_e32 v65, v97
	v_mov_b32_e32 v66, v98
	v_add_f64 v[75:76], v[75:76], -v[99:100]
.LBB99_298:
	s_or_b64 exec, exec, s[2:3]
	v_cmp_eq_u32_e32 vcc, 33, v0
	s_waitcnt vmcnt(0)
	s_barrier
	s_and_saveexec_b64 s[4:5], vcc
	s_cbranch_execz .LBB99_305
; %bb.299:
	ds_write2_b64 v127, v[61:62], v[63:64] offset1:1
	ds_write2_b64 v125, v[57:58], v[59:60] offset0:68 offset1:69
	ds_write2_b64 v125, v[53:54], v[55:56] offset0:70 offset1:71
	;; [unrolled: 1-line block ×16, first 2 shown]
	ds_read2_b64 v[97:100], v127 offset1:1
	s_waitcnt lgkmcnt(0)
	v_cmp_neq_f64_e32 vcc, 0, v[97:98]
	v_cmp_neq_f64_e64 s[2:3], 0, v[99:100]
	s_or_b64 s[2:3], vcc, s[2:3]
	s_and_b64 exec, exec, s[2:3]
	s_cbranch_execz .LBB99_305
; %bb.300:
	v_cmp_ngt_f64_e64 s[2:3], |v[97:98]|, |v[99:100]|
                                        ; implicit-def: $vgpr101_vgpr102
	s_and_saveexec_b64 s[6:7], s[2:3]
	s_xor_b64 s[2:3], exec, s[6:7]
                                        ; implicit-def: $vgpr103_vgpr104
	s_cbranch_execz .LBB99_302
; %bb.301:
	v_div_scale_f64 v[101:102], s[6:7], v[99:100], v[99:100], v[97:98]
	v_rcp_f64_e32 v[103:104], v[101:102]
	v_fma_f64 v[105:106], -v[101:102], v[103:104], 1.0
	v_fma_f64 v[103:104], v[103:104], v[105:106], v[103:104]
	v_div_scale_f64 v[105:106], vcc, v[97:98], v[99:100], v[97:98]
	v_fma_f64 v[107:108], -v[101:102], v[103:104], 1.0
	v_fma_f64 v[103:104], v[103:104], v[107:108], v[103:104]
	v_mul_f64 v[107:108], v[105:106], v[103:104]
	v_fma_f64 v[101:102], -v[101:102], v[107:108], v[105:106]
	v_div_fmas_f64 v[101:102], v[101:102], v[103:104], v[107:108]
	v_div_fixup_f64 v[101:102], v[101:102], v[99:100], v[97:98]
	v_fma_f64 v[97:98], v[97:98], v[101:102], v[99:100]
	v_div_scale_f64 v[99:100], s[6:7], v[97:98], v[97:98], 1.0
	v_div_scale_f64 v[107:108], vcc, 1.0, v[97:98], 1.0
	v_rcp_f64_e32 v[103:104], v[99:100]
	v_fma_f64 v[105:106], -v[99:100], v[103:104], 1.0
	v_fma_f64 v[103:104], v[103:104], v[105:106], v[103:104]
	v_fma_f64 v[105:106], -v[99:100], v[103:104], 1.0
	v_fma_f64 v[103:104], v[103:104], v[105:106], v[103:104]
	v_mul_f64 v[105:106], v[107:108], v[103:104]
	v_fma_f64 v[99:100], -v[99:100], v[105:106], v[107:108]
	v_div_fmas_f64 v[99:100], v[99:100], v[103:104], v[105:106]
	v_div_fixup_f64 v[103:104], v[99:100], v[97:98], 1.0
                                        ; implicit-def: $vgpr97_vgpr98
	v_mul_f64 v[101:102], v[101:102], v[103:104]
	v_xor_b32_e32 v104, 0x80000000, v104
.LBB99_302:
	s_andn2_saveexec_b64 s[2:3], s[2:3]
	s_cbranch_execz .LBB99_304
; %bb.303:
	v_div_scale_f64 v[101:102], s[6:7], v[97:98], v[97:98], v[99:100]
	v_rcp_f64_e32 v[103:104], v[101:102]
	v_fma_f64 v[105:106], -v[101:102], v[103:104], 1.0
	v_fma_f64 v[103:104], v[103:104], v[105:106], v[103:104]
	v_div_scale_f64 v[105:106], vcc, v[99:100], v[97:98], v[99:100]
	v_fma_f64 v[107:108], -v[101:102], v[103:104], 1.0
	v_fma_f64 v[103:104], v[103:104], v[107:108], v[103:104]
	v_mul_f64 v[107:108], v[105:106], v[103:104]
	v_fma_f64 v[101:102], -v[101:102], v[107:108], v[105:106]
	v_div_fmas_f64 v[101:102], v[101:102], v[103:104], v[107:108]
	v_div_fixup_f64 v[103:104], v[101:102], v[97:98], v[99:100]
	v_fma_f64 v[97:98], v[99:100], v[103:104], v[97:98]
	v_div_scale_f64 v[99:100], s[6:7], v[97:98], v[97:98], 1.0
	v_div_scale_f64 v[107:108], vcc, 1.0, v[97:98], 1.0
	v_rcp_f64_e32 v[101:102], v[99:100]
	v_fma_f64 v[105:106], -v[99:100], v[101:102], 1.0
	v_fma_f64 v[101:102], v[101:102], v[105:106], v[101:102]
	v_fma_f64 v[105:106], -v[99:100], v[101:102], 1.0
	v_fma_f64 v[101:102], v[101:102], v[105:106], v[101:102]
	v_mul_f64 v[105:106], v[107:108], v[101:102]
	v_fma_f64 v[99:100], -v[99:100], v[105:106], v[107:108]
	v_div_fmas_f64 v[99:100], v[99:100], v[101:102], v[105:106]
	v_div_fixup_f64 v[101:102], v[99:100], v[97:98], 1.0
	v_mul_f64 v[103:104], v[103:104], -v[101:102]
.LBB99_304:
	s_or_b64 exec, exec, s[2:3]
	ds_write2_b64 v127, v[101:102], v[103:104] offset1:1
.LBB99_305:
	s_or_b64 exec, exec, s[4:5]
	s_waitcnt lgkmcnt(0)
	s_barrier
	ds_read2_b64 v[69:72], v127 offset1:1
	v_cmp_lt_u32_e32 vcc, 33, v0
	s_waitcnt lgkmcnt(0)
	buffer_store_dword v69, off, s[20:23], 0 offset:1352 ; 4-byte Folded Spill
	s_nop 0
	buffer_store_dword v70, off, s[20:23], 0 offset:1356 ; 4-byte Folded Spill
	buffer_store_dword v71, off, s[20:23], 0 offset:1360 ; 4-byte Folded Spill
	;; [unrolled: 1-line block ×3, first 2 shown]
	s_and_saveexec_b64 s[2:3], vcc
	s_cbranch_execz .LBB99_307
; %bb.306:
	buffer_load_dword v69, off, s[20:23], 0 offset:1352 ; 4-byte Folded Reload
	buffer_load_dword v70, off, s[20:23], 0 offset:1356 ; 4-byte Folded Reload
	;; [unrolled: 1-line block ×4, first 2 shown]
	ds_read2_b64 v[99:102], v125 offset0:68 offset1:69
	s_waitcnt vmcnt(2)
	v_mul_f64 v[97:98], v[69:70], v[63:64]
	s_waitcnt vmcnt(0)
	v_mul_f64 v[63:64], v[71:72], v[63:64]
	v_fma_f64 v[97:98], v[71:72], v[61:62], v[97:98]
	v_fma_f64 v[61:62], v[69:70], v[61:62], -v[63:64]
	s_waitcnt lgkmcnt(0)
	v_mul_f64 v[63:64], v[101:102], v[97:98]
	v_fma_f64 v[63:64], v[99:100], v[61:62], -v[63:64]
	v_mul_f64 v[99:100], v[99:100], v[97:98]
	v_add_f64 v[57:58], v[57:58], -v[63:64]
	v_fma_f64 v[99:100], v[101:102], v[61:62], v[99:100]
	v_add_f64 v[59:60], v[59:60], -v[99:100]
	ds_read2_b64 v[99:102], v125 offset0:70 offset1:71
	s_waitcnt lgkmcnt(0)
	v_mul_f64 v[63:64], v[101:102], v[97:98]
	v_fma_f64 v[63:64], v[99:100], v[61:62], -v[63:64]
	v_mul_f64 v[99:100], v[99:100], v[97:98]
	v_add_f64 v[53:54], v[53:54], -v[63:64]
	v_fma_f64 v[99:100], v[101:102], v[61:62], v[99:100]
	v_add_f64 v[55:56], v[55:56], -v[99:100]
	ds_read2_b64 v[99:102], v125 offset0:72 offset1:73
	;; [unrolled: 8-line block ×15, first 2 shown]
	s_waitcnt lgkmcnt(0)
	v_mul_f64 v[63:64], v[101:102], v[97:98]
	v_fma_f64 v[63:64], v[99:100], v[61:62], -v[63:64]
	v_mul_f64 v[99:100], v[99:100], v[97:98]
	v_add_f64 v[73:74], v[73:74], -v[63:64]
	v_fma_f64 v[99:100], v[101:102], v[61:62], v[99:100]
	v_mov_b32_e32 v63, v97
	v_mov_b32_e32 v64, v98
	v_add_f64 v[75:76], v[75:76], -v[99:100]
.LBB99_307:
	s_or_b64 exec, exec, s[2:3]
	v_cmp_eq_u32_e32 vcc, 34, v0
	s_waitcnt vmcnt(0)
	s_barrier
	s_and_saveexec_b64 s[4:5], vcc
	s_cbranch_execz .LBB99_314
; %bb.308:
	ds_write2_b64 v127, v[57:58], v[59:60] offset1:1
	ds_write2_b64 v125, v[53:54], v[55:56] offset0:70 offset1:71
	ds_write2_b64 v125, v[49:50], v[51:52] offset0:72 offset1:73
	;; [unrolled: 1-line block ×15, first 2 shown]
	ds_read2_b64 v[97:100], v127 offset1:1
	s_waitcnt lgkmcnt(0)
	v_cmp_neq_f64_e32 vcc, 0, v[97:98]
	v_cmp_neq_f64_e64 s[2:3], 0, v[99:100]
	s_or_b64 s[2:3], vcc, s[2:3]
	s_and_b64 exec, exec, s[2:3]
	s_cbranch_execz .LBB99_314
; %bb.309:
	v_cmp_ngt_f64_e64 s[2:3], |v[97:98]|, |v[99:100]|
                                        ; implicit-def: $vgpr101_vgpr102
	s_and_saveexec_b64 s[6:7], s[2:3]
	s_xor_b64 s[2:3], exec, s[6:7]
                                        ; implicit-def: $vgpr103_vgpr104
	s_cbranch_execz .LBB99_311
; %bb.310:
	v_div_scale_f64 v[101:102], s[6:7], v[99:100], v[99:100], v[97:98]
	v_rcp_f64_e32 v[103:104], v[101:102]
	v_fma_f64 v[105:106], -v[101:102], v[103:104], 1.0
	v_fma_f64 v[103:104], v[103:104], v[105:106], v[103:104]
	v_div_scale_f64 v[105:106], vcc, v[97:98], v[99:100], v[97:98]
	v_fma_f64 v[107:108], -v[101:102], v[103:104], 1.0
	v_fma_f64 v[103:104], v[103:104], v[107:108], v[103:104]
	v_mul_f64 v[107:108], v[105:106], v[103:104]
	v_fma_f64 v[101:102], -v[101:102], v[107:108], v[105:106]
	v_div_fmas_f64 v[101:102], v[101:102], v[103:104], v[107:108]
	v_div_fixup_f64 v[101:102], v[101:102], v[99:100], v[97:98]
	v_fma_f64 v[97:98], v[97:98], v[101:102], v[99:100]
	v_div_scale_f64 v[99:100], s[6:7], v[97:98], v[97:98], 1.0
	v_div_scale_f64 v[107:108], vcc, 1.0, v[97:98], 1.0
	v_rcp_f64_e32 v[103:104], v[99:100]
	v_fma_f64 v[105:106], -v[99:100], v[103:104], 1.0
	v_fma_f64 v[103:104], v[103:104], v[105:106], v[103:104]
	v_fma_f64 v[105:106], -v[99:100], v[103:104], 1.0
	v_fma_f64 v[103:104], v[103:104], v[105:106], v[103:104]
	v_mul_f64 v[105:106], v[107:108], v[103:104]
	v_fma_f64 v[99:100], -v[99:100], v[105:106], v[107:108]
	v_div_fmas_f64 v[99:100], v[99:100], v[103:104], v[105:106]
	v_div_fixup_f64 v[103:104], v[99:100], v[97:98], 1.0
                                        ; implicit-def: $vgpr97_vgpr98
	v_mul_f64 v[101:102], v[101:102], v[103:104]
	v_xor_b32_e32 v104, 0x80000000, v104
.LBB99_311:
	s_andn2_saveexec_b64 s[2:3], s[2:3]
	s_cbranch_execz .LBB99_313
; %bb.312:
	v_div_scale_f64 v[101:102], s[6:7], v[97:98], v[97:98], v[99:100]
	v_rcp_f64_e32 v[103:104], v[101:102]
	v_fma_f64 v[105:106], -v[101:102], v[103:104], 1.0
	v_fma_f64 v[103:104], v[103:104], v[105:106], v[103:104]
	v_div_scale_f64 v[105:106], vcc, v[99:100], v[97:98], v[99:100]
	v_fma_f64 v[107:108], -v[101:102], v[103:104], 1.0
	v_fma_f64 v[103:104], v[103:104], v[107:108], v[103:104]
	v_mul_f64 v[107:108], v[105:106], v[103:104]
	v_fma_f64 v[101:102], -v[101:102], v[107:108], v[105:106]
	v_div_fmas_f64 v[101:102], v[101:102], v[103:104], v[107:108]
	v_div_fixup_f64 v[103:104], v[101:102], v[97:98], v[99:100]
	v_fma_f64 v[97:98], v[99:100], v[103:104], v[97:98]
	v_div_scale_f64 v[99:100], s[6:7], v[97:98], v[97:98], 1.0
	v_div_scale_f64 v[107:108], vcc, 1.0, v[97:98], 1.0
	v_rcp_f64_e32 v[101:102], v[99:100]
	v_fma_f64 v[105:106], -v[99:100], v[101:102], 1.0
	v_fma_f64 v[101:102], v[101:102], v[105:106], v[101:102]
	v_fma_f64 v[105:106], -v[99:100], v[101:102], 1.0
	v_fma_f64 v[101:102], v[101:102], v[105:106], v[101:102]
	v_mul_f64 v[105:106], v[107:108], v[101:102]
	v_fma_f64 v[99:100], -v[99:100], v[105:106], v[107:108]
	v_div_fmas_f64 v[99:100], v[99:100], v[101:102], v[105:106]
	v_div_fixup_f64 v[101:102], v[99:100], v[97:98], 1.0
	v_mul_f64 v[103:104], v[103:104], -v[101:102]
.LBB99_313:
	s_or_b64 exec, exec, s[2:3]
	ds_write2_b64 v127, v[101:102], v[103:104] offset1:1
.LBB99_314:
	s_or_b64 exec, exec, s[4:5]
	s_waitcnt lgkmcnt(0)
	s_barrier
	ds_read2_b64 v[69:72], v127 offset1:1
	v_cmp_lt_u32_e32 vcc, 34, v0
	s_waitcnt lgkmcnt(0)
	buffer_store_dword v69, off, s[20:23], 0 offset:1368 ; 4-byte Folded Spill
	s_nop 0
	buffer_store_dword v70, off, s[20:23], 0 offset:1372 ; 4-byte Folded Spill
	buffer_store_dword v71, off, s[20:23], 0 offset:1376 ; 4-byte Folded Spill
	;; [unrolled: 1-line block ×3, first 2 shown]
	s_and_saveexec_b64 s[2:3], vcc
	s_cbranch_execz .LBB99_316
; %bb.315:
	buffer_load_dword v69, off, s[20:23], 0 offset:1368 ; 4-byte Folded Reload
	buffer_load_dword v70, off, s[20:23], 0 offset:1372 ; 4-byte Folded Reload
	;; [unrolled: 1-line block ×4, first 2 shown]
	ds_read2_b64 v[99:102], v125 offset0:70 offset1:71
	s_waitcnt vmcnt(2)
	v_mul_f64 v[97:98], v[69:70], v[59:60]
	s_waitcnt vmcnt(0)
	v_mul_f64 v[59:60], v[71:72], v[59:60]
	v_fma_f64 v[97:98], v[71:72], v[57:58], v[97:98]
	v_fma_f64 v[57:58], v[69:70], v[57:58], -v[59:60]
	s_waitcnt lgkmcnt(0)
	v_mul_f64 v[59:60], v[101:102], v[97:98]
	v_fma_f64 v[59:60], v[99:100], v[57:58], -v[59:60]
	v_mul_f64 v[99:100], v[99:100], v[97:98]
	v_add_f64 v[53:54], v[53:54], -v[59:60]
	v_fma_f64 v[99:100], v[101:102], v[57:58], v[99:100]
	v_add_f64 v[55:56], v[55:56], -v[99:100]
	ds_read2_b64 v[99:102], v125 offset0:72 offset1:73
	s_waitcnt lgkmcnt(0)
	v_mul_f64 v[59:60], v[101:102], v[97:98]
	v_fma_f64 v[59:60], v[99:100], v[57:58], -v[59:60]
	v_mul_f64 v[99:100], v[99:100], v[97:98]
	v_add_f64 v[49:50], v[49:50], -v[59:60]
	v_fma_f64 v[99:100], v[101:102], v[57:58], v[99:100]
	v_add_f64 v[51:52], v[51:52], -v[99:100]
	ds_read2_b64 v[99:102], v125 offset0:74 offset1:75
	;; [unrolled: 8-line block ×14, first 2 shown]
	s_waitcnt lgkmcnt(0)
	v_mul_f64 v[59:60], v[101:102], v[97:98]
	v_fma_f64 v[59:60], v[99:100], v[57:58], -v[59:60]
	v_mul_f64 v[99:100], v[99:100], v[97:98]
	v_add_f64 v[73:74], v[73:74], -v[59:60]
	v_fma_f64 v[99:100], v[101:102], v[57:58], v[99:100]
	v_mov_b32_e32 v59, v97
	v_mov_b32_e32 v60, v98
	v_add_f64 v[75:76], v[75:76], -v[99:100]
.LBB99_316:
	s_or_b64 exec, exec, s[2:3]
	v_cmp_eq_u32_e32 vcc, 35, v0
	s_waitcnt vmcnt(0)
	s_barrier
	s_and_saveexec_b64 s[4:5], vcc
	s_cbranch_execz .LBB99_323
; %bb.317:
	ds_write2_b64 v127, v[53:54], v[55:56] offset1:1
	ds_write2_b64 v125, v[49:50], v[51:52] offset0:72 offset1:73
	ds_write2_b64 v125, v[45:46], v[47:48] offset0:74 offset1:75
	;; [unrolled: 1-line block ×14, first 2 shown]
	ds_read2_b64 v[97:100], v127 offset1:1
	s_waitcnt lgkmcnt(0)
	v_cmp_neq_f64_e32 vcc, 0, v[97:98]
	v_cmp_neq_f64_e64 s[2:3], 0, v[99:100]
	s_or_b64 s[2:3], vcc, s[2:3]
	s_and_b64 exec, exec, s[2:3]
	s_cbranch_execz .LBB99_323
; %bb.318:
	v_cmp_ngt_f64_e64 s[2:3], |v[97:98]|, |v[99:100]|
                                        ; implicit-def: $vgpr101_vgpr102
	s_and_saveexec_b64 s[6:7], s[2:3]
	s_xor_b64 s[2:3], exec, s[6:7]
                                        ; implicit-def: $vgpr103_vgpr104
	s_cbranch_execz .LBB99_320
; %bb.319:
	v_div_scale_f64 v[101:102], s[6:7], v[99:100], v[99:100], v[97:98]
	v_rcp_f64_e32 v[103:104], v[101:102]
	v_fma_f64 v[105:106], -v[101:102], v[103:104], 1.0
	v_fma_f64 v[103:104], v[103:104], v[105:106], v[103:104]
	v_div_scale_f64 v[105:106], vcc, v[97:98], v[99:100], v[97:98]
	v_fma_f64 v[107:108], -v[101:102], v[103:104], 1.0
	v_fma_f64 v[103:104], v[103:104], v[107:108], v[103:104]
	v_mul_f64 v[107:108], v[105:106], v[103:104]
	v_fma_f64 v[101:102], -v[101:102], v[107:108], v[105:106]
	v_div_fmas_f64 v[101:102], v[101:102], v[103:104], v[107:108]
	v_div_fixup_f64 v[101:102], v[101:102], v[99:100], v[97:98]
	v_fma_f64 v[97:98], v[97:98], v[101:102], v[99:100]
	v_div_scale_f64 v[99:100], s[6:7], v[97:98], v[97:98], 1.0
	v_div_scale_f64 v[107:108], vcc, 1.0, v[97:98], 1.0
	v_rcp_f64_e32 v[103:104], v[99:100]
	v_fma_f64 v[105:106], -v[99:100], v[103:104], 1.0
	v_fma_f64 v[103:104], v[103:104], v[105:106], v[103:104]
	v_fma_f64 v[105:106], -v[99:100], v[103:104], 1.0
	v_fma_f64 v[103:104], v[103:104], v[105:106], v[103:104]
	v_mul_f64 v[105:106], v[107:108], v[103:104]
	v_fma_f64 v[99:100], -v[99:100], v[105:106], v[107:108]
	v_div_fmas_f64 v[99:100], v[99:100], v[103:104], v[105:106]
	v_div_fixup_f64 v[103:104], v[99:100], v[97:98], 1.0
                                        ; implicit-def: $vgpr97_vgpr98
	v_mul_f64 v[101:102], v[101:102], v[103:104]
	v_xor_b32_e32 v104, 0x80000000, v104
.LBB99_320:
	s_andn2_saveexec_b64 s[2:3], s[2:3]
	s_cbranch_execz .LBB99_322
; %bb.321:
	v_div_scale_f64 v[101:102], s[6:7], v[97:98], v[97:98], v[99:100]
	v_rcp_f64_e32 v[103:104], v[101:102]
	v_fma_f64 v[105:106], -v[101:102], v[103:104], 1.0
	v_fma_f64 v[103:104], v[103:104], v[105:106], v[103:104]
	v_div_scale_f64 v[105:106], vcc, v[99:100], v[97:98], v[99:100]
	v_fma_f64 v[107:108], -v[101:102], v[103:104], 1.0
	v_fma_f64 v[103:104], v[103:104], v[107:108], v[103:104]
	v_mul_f64 v[107:108], v[105:106], v[103:104]
	v_fma_f64 v[101:102], -v[101:102], v[107:108], v[105:106]
	v_div_fmas_f64 v[101:102], v[101:102], v[103:104], v[107:108]
	v_div_fixup_f64 v[103:104], v[101:102], v[97:98], v[99:100]
	v_fma_f64 v[97:98], v[99:100], v[103:104], v[97:98]
	v_div_scale_f64 v[99:100], s[6:7], v[97:98], v[97:98], 1.0
	v_div_scale_f64 v[107:108], vcc, 1.0, v[97:98], 1.0
	v_rcp_f64_e32 v[101:102], v[99:100]
	v_fma_f64 v[105:106], -v[99:100], v[101:102], 1.0
	v_fma_f64 v[101:102], v[101:102], v[105:106], v[101:102]
	v_fma_f64 v[105:106], -v[99:100], v[101:102], 1.0
	v_fma_f64 v[101:102], v[101:102], v[105:106], v[101:102]
	v_mul_f64 v[105:106], v[107:108], v[101:102]
	v_fma_f64 v[99:100], -v[99:100], v[105:106], v[107:108]
	v_div_fmas_f64 v[99:100], v[99:100], v[101:102], v[105:106]
	v_div_fixup_f64 v[101:102], v[99:100], v[97:98], 1.0
	v_mul_f64 v[103:104], v[103:104], -v[101:102]
.LBB99_322:
	s_or_b64 exec, exec, s[2:3]
	ds_write2_b64 v127, v[101:102], v[103:104] offset1:1
.LBB99_323:
	s_or_b64 exec, exec, s[4:5]
	s_waitcnt lgkmcnt(0)
	s_barrier
	ds_read2_b64 v[69:72], v127 offset1:1
	v_cmp_lt_u32_e32 vcc, 35, v0
	s_waitcnt lgkmcnt(0)
	buffer_store_dword v69, off, s[20:23], 0 offset:1384 ; 4-byte Folded Spill
	s_nop 0
	buffer_store_dword v70, off, s[20:23], 0 offset:1388 ; 4-byte Folded Spill
	buffer_store_dword v71, off, s[20:23], 0 offset:1392 ; 4-byte Folded Spill
	;; [unrolled: 1-line block ×3, first 2 shown]
	s_and_saveexec_b64 s[2:3], vcc
	s_cbranch_execz .LBB99_325
; %bb.324:
	buffer_load_dword v69, off, s[20:23], 0 offset:1384 ; 4-byte Folded Reload
	buffer_load_dword v70, off, s[20:23], 0 offset:1388 ; 4-byte Folded Reload
	;; [unrolled: 1-line block ×4, first 2 shown]
	ds_read2_b64 v[99:102], v125 offset0:72 offset1:73
	s_waitcnt vmcnt(2)
	v_mul_f64 v[97:98], v[69:70], v[55:56]
	s_waitcnt vmcnt(0)
	v_mul_f64 v[55:56], v[71:72], v[55:56]
	v_fma_f64 v[97:98], v[71:72], v[53:54], v[97:98]
	v_fma_f64 v[53:54], v[69:70], v[53:54], -v[55:56]
	s_waitcnt lgkmcnt(0)
	v_mul_f64 v[55:56], v[101:102], v[97:98]
	v_fma_f64 v[55:56], v[99:100], v[53:54], -v[55:56]
	v_mul_f64 v[99:100], v[99:100], v[97:98]
	v_add_f64 v[49:50], v[49:50], -v[55:56]
	v_fma_f64 v[99:100], v[101:102], v[53:54], v[99:100]
	v_add_f64 v[51:52], v[51:52], -v[99:100]
	ds_read2_b64 v[99:102], v125 offset0:74 offset1:75
	s_waitcnt lgkmcnt(0)
	v_mul_f64 v[55:56], v[101:102], v[97:98]
	v_fma_f64 v[55:56], v[99:100], v[53:54], -v[55:56]
	v_mul_f64 v[99:100], v[99:100], v[97:98]
	v_add_f64 v[45:46], v[45:46], -v[55:56]
	v_fma_f64 v[99:100], v[101:102], v[53:54], v[99:100]
	v_add_f64 v[47:48], v[47:48], -v[99:100]
	ds_read2_b64 v[99:102], v125 offset0:76 offset1:77
	s_waitcnt lgkmcnt(0)
	v_mul_f64 v[55:56], v[101:102], v[97:98]
	v_fma_f64 v[55:56], v[99:100], v[53:54], -v[55:56]
	v_mul_f64 v[99:100], v[99:100], v[97:98]
	v_add_f64 v[41:42], v[41:42], -v[55:56]
	v_fma_f64 v[99:100], v[101:102], v[53:54], v[99:100]
	v_add_f64 v[43:44], v[43:44], -v[99:100]
	ds_read2_b64 v[99:102], v125 offset0:78 offset1:79
	s_waitcnt lgkmcnt(0)
	v_mul_f64 v[55:56], v[101:102], v[97:98]
	v_fma_f64 v[55:56], v[99:100], v[53:54], -v[55:56]
	v_mul_f64 v[99:100], v[99:100], v[97:98]
	v_add_f64 v[37:38], v[37:38], -v[55:56]
	v_fma_f64 v[99:100], v[101:102], v[53:54], v[99:100]
	v_add_f64 v[39:40], v[39:40], -v[99:100]
	ds_read2_b64 v[99:102], v125 offset0:80 offset1:81
	s_waitcnt lgkmcnt(0)
	v_mul_f64 v[55:56], v[101:102], v[97:98]
	v_fma_f64 v[55:56], v[99:100], v[53:54], -v[55:56]
	v_mul_f64 v[99:100], v[99:100], v[97:98]
	v_add_f64 v[33:34], v[33:34], -v[55:56]
	v_fma_f64 v[99:100], v[101:102], v[53:54], v[99:100]
	v_add_f64 v[35:36], v[35:36], -v[99:100]
	ds_read2_b64 v[99:102], v125 offset0:82 offset1:83
	s_waitcnt lgkmcnt(0)
	v_mul_f64 v[55:56], v[101:102], v[97:98]
	v_fma_f64 v[55:56], v[99:100], v[53:54], -v[55:56]
	v_mul_f64 v[99:100], v[99:100], v[97:98]
	v_add_f64 v[29:30], v[29:30], -v[55:56]
	v_fma_f64 v[99:100], v[101:102], v[53:54], v[99:100]
	v_add_f64 v[31:32], v[31:32], -v[99:100]
	ds_read2_b64 v[99:102], v125 offset0:84 offset1:85
	s_waitcnt lgkmcnt(0)
	v_mul_f64 v[55:56], v[101:102], v[97:98]
	v_fma_f64 v[55:56], v[99:100], v[53:54], -v[55:56]
	v_mul_f64 v[99:100], v[99:100], v[97:98]
	v_add_f64 v[25:26], v[25:26], -v[55:56]
	v_fma_f64 v[99:100], v[101:102], v[53:54], v[99:100]
	v_add_f64 v[27:28], v[27:28], -v[99:100]
	ds_read2_b64 v[99:102], v125 offset0:86 offset1:87
	s_waitcnt lgkmcnt(0)
	v_mul_f64 v[55:56], v[101:102], v[97:98]
	v_fma_f64 v[55:56], v[99:100], v[53:54], -v[55:56]
	v_mul_f64 v[99:100], v[99:100], v[97:98]
	v_add_f64 v[21:22], v[21:22], -v[55:56]
	v_fma_f64 v[99:100], v[101:102], v[53:54], v[99:100]
	v_add_f64 v[23:24], v[23:24], -v[99:100]
	ds_read2_b64 v[99:102], v125 offset0:88 offset1:89
	s_waitcnt lgkmcnt(0)
	v_mul_f64 v[55:56], v[101:102], v[97:98]
	v_fma_f64 v[55:56], v[99:100], v[53:54], -v[55:56]
	v_mul_f64 v[99:100], v[99:100], v[97:98]
	v_add_f64 v[17:18], v[17:18], -v[55:56]
	v_fma_f64 v[99:100], v[101:102], v[53:54], v[99:100]
	v_add_f64 v[19:20], v[19:20], -v[99:100]
	ds_read2_b64 v[99:102], v125 offset0:90 offset1:91
	s_waitcnt lgkmcnt(0)
	v_mul_f64 v[55:56], v[101:102], v[97:98]
	v_fma_f64 v[55:56], v[99:100], v[53:54], -v[55:56]
	v_mul_f64 v[99:100], v[99:100], v[97:98]
	v_add_f64 v[13:14], v[13:14], -v[55:56]
	v_fma_f64 v[99:100], v[101:102], v[53:54], v[99:100]
	v_add_f64 v[15:16], v[15:16], -v[99:100]
	ds_read2_b64 v[99:102], v125 offset0:92 offset1:93
	s_waitcnt lgkmcnt(0)
	v_mul_f64 v[55:56], v[101:102], v[97:98]
	v_fma_f64 v[55:56], v[99:100], v[53:54], -v[55:56]
	v_mul_f64 v[99:100], v[99:100], v[97:98]
	v_add_f64 v[9:10], v[9:10], -v[55:56]
	v_fma_f64 v[99:100], v[101:102], v[53:54], v[99:100]
	v_add_f64 v[11:12], v[11:12], -v[99:100]
	ds_read2_b64 v[99:102], v125 offset0:94 offset1:95
	s_waitcnt lgkmcnt(0)
	v_mul_f64 v[55:56], v[101:102], v[97:98]
	v_fma_f64 v[55:56], v[99:100], v[53:54], -v[55:56]
	v_mul_f64 v[99:100], v[99:100], v[97:98]
	v_add_f64 v[5:6], v[5:6], -v[55:56]
	v_fma_f64 v[99:100], v[101:102], v[53:54], v[99:100]
	v_add_f64 v[7:8], v[7:8], -v[99:100]
	ds_read2_b64 v[99:102], v125 offset0:96 offset1:97
	s_waitcnt lgkmcnt(0)
	v_mul_f64 v[55:56], v[101:102], v[97:98]
	v_fma_f64 v[55:56], v[99:100], v[53:54], -v[55:56]
	v_mul_f64 v[99:100], v[99:100], v[97:98]
	v_add_f64 v[1:2], v[1:2], -v[55:56]
	v_fma_f64 v[99:100], v[101:102], v[53:54], v[99:100]
	v_add_f64 v[3:4], v[3:4], -v[99:100]
	ds_read2_b64 v[99:102], v125 offset0:98 offset1:99
	s_waitcnt lgkmcnt(0)
	v_mul_f64 v[55:56], v[101:102], v[97:98]
	v_fma_f64 v[55:56], v[99:100], v[53:54], -v[55:56]
	v_mul_f64 v[99:100], v[99:100], v[97:98]
	v_add_f64 v[73:74], v[73:74], -v[55:56]
	v_fma_f64 v[99:100], v[101:102], v[53:54], v[99:100]
	v_mov_b32_e32 v55, v97
	v_mov_b32_e32 v56, v98
	v_add_f64 v[75:76], v[75:76], -v[99:100]
.LBB99_325:
	s_or_b64 exec, exec, s[2:3]
	v_cmp_eq_u32_e32 vcc, 36, v0
	s_waitcnt vmcnt(0)
	s_barrier
	s_and_saveexec_b64 s[4:5], vcc
	s_cbranch_execz .LBB99_332
; %bb.326:
	ds_write2_b64 v127, v[49:50], v[51:52] offset1:1
	ds_write2_b64 v125, v[45:46], v[47:48] offset0:74 offset1:75
	ds_write2_b64 v125, v[41:42], v[43:44] offset0:76 offset1:77
	;; [unrolled: 1-line block ×13, first 2 shown]
	ds_read2_b64 v[97:100], v127 offset1:1
	s_waitcnt lgkmcnt(0)
	v_cmp_neq_f64_e32 vcc, 0, v[97:98]
	v_cmp_neq_f64_e64 s[2:3], 0, v[99:100]
	s_or_b64 s[2:3], vcc, s[2:3]
	s_and_b64 exec, exec, s[2:3]
	s_cbranch_execz .LBB99_332
; %bb.327:
	v_cmp_ngt_f64_e64 s[2:3], |v[97:98]|, |v[99:100]|
                                        ; implicit-def: $vgpr101_vgpr102
	s_and_saveexec_b64 s[6:7], s[2:3]
	s_xor_b64 s[2:3], exec, s[6:7]
                                        ; implicit-def: $vgpr103_vgpr104
	s_cbranch_execz .LBB99_329
; %bb.328:
	v_div_scale_f64 v[101:102], s[6:7], v[99:100], v[99:100], v[97:98]
	v_rcp_f64_e32 v[103:104], v[101:102]
	v_fma_f64 v[105:106], -v[101:102], v[103:104], 1.0
	v_fma_f64 v[103:104], v[103:104], v[105:106], v[103:104]
	v_div_scale_f64 v[105:106], vcc, v[97:98], v[99:100], v[97:98]
	v_fma_f64 v[107:108], -v[101:102], v[103:104], 1.0
	v_fma_f64 v[103:104], v[103:104], v[107:108], v[103:104]
	v_mul_f64 v[107:108], v[105:106], v[103:104]
	v_fma_f64 v[101:102], -v[101:102], v[107:108], v[105:106]
	v_div_fmas_f64 v[101:102], v[101:102], v[103:104], v[107:108]
	v_div_fixup_f64 v[101:102], v[101:102], v[99:100], v[97:98]
	v_fma_f64 v[97:98], v[97:98], v[101:102], v[99:100]
	v_div_scale_f64 v[99:100], s[6:7], v[97:98], v[97:98], 1.0
	v_div_scale_f64 v[107:108], vcc, 1.0, v[97:98], 1.0
	v_rcp_f64_e32 v[103:104], v[99:100]
	v_fma_f64 v[105:106], -v[99:100], v[103:104], 1.0
	v_fma_f64 v[103:104], v[103:104], v[105:106], v[103:104]
	v_fma_f64 v[105:106], -v[99:100], v[103:104], 1.0
	v_fma_f64 v[103:104], v[103:104], v[105:106], v[103:104]
	v_mul_f64 v[105:106], v[107:108], v[103:104]
	v_fma_f64 v[99:100], -v[99:100], v[105:106], v[107:108]
	v_div_fmas_f64 v[99:100], v[99:100], v[103:104], v[105:106]
	v_div_fixup_f64 v[103:104], v[99:100], v[97:98], 1.0
                                        ; implicit-def: $vgpr97_vgpr98
	v_mul_f64 v[101:102], v[101:102], v[103:104]
	v_xor_b32_e32 v104, 0x80000000, v104
.LBB99_329:
	s_andn2_saveexec_b64 s[2:3], s[2:3]
	s_cbranch_execz .LBB99_331
; %bb.330:
	v_div_scale_f64 v[101:102], s[6:7], v[97:98], v[97:98], v[99:100]
	v_rcp_f64_e32 v[103:104], v[101:102]
	v_fma_f64 v[105:106], -v[101:102], v[103:104], 1.0
	v_fma_f64 v[103:104], v[103:104], v[105:106], v[103:104]
	v_div_scale_f64 v[105:106], vcc, v[99:100], v[97:98], v[99:100]
	v_fma_f64 v[107:108], -v[101:102], v[103:104], 1.0
	v_fma_f64 v[103:104], v[103:104], v[107:108], v[103:104]
	v_mul_f64 v[107:108], v[105:106], v[103:104]
	v_fma_f64 v[101:102], -v[101:102], v[107:108], v[105:106]
	v_div_fmas_f64 v[101:102], v[101:102], v[103:104], v[107:108]
	v_div_fixup_f64 v[103:104], v[101:102], v[97:98], v[99:100]
	v_fma_f64 v[97:98], v[99:100], v[103:104], v[97:98]
	v_div_scale_f64 v[99:100], s[6:7], v[97:98], v[97:98], 1.0
	v_div_scale_f64 v[107:108], vcc, 1.0, v[97:98], 1.0
	v_rcp_f64_e32 v[101:102], v[99:100]
	v_fma_f64 v[105:106], -v[99:100], v[101:102], 1.0
	v_fma_f64 v[101:102], v[101:102], v[105:106], v[101:102]
	v_fma_f64 v[105:106], -v[99:100], v[101:102], 1.0
	v_fma_f64 v[101:102], v[101:102], v[105:106], v[101:102]
	v_mul_f64 v[105:106], v[107:108], v[101:102]
	v_fma_f64 v[99:100], -v[99:100], v[105:106], v[107:108]
	v_div_fmas_f64 v[99:100], v[99:100], v[101:102], v[105:106]
	v_div_fixup_f64 v[101:102], v[99:100], v[97:98], 1.0
	v_mul_f64 v[103:104], v[103:104], -v[101:102]
.LBB99_331:
	s_or_b64 exec, exec, s[2:3]
	ds_write2_b64 v127, v[101:102], v[103:104] offset1:1
.LBB99_332:
	s_or_b64 exec, exec, s[4:5]
	s_waitcnt lgkmcnt(0)
	s_barrier
	ds_read2_b64 v[69:72], v127 offset1:1
	v_cmp_lt_u32_e32 vcc, 36, v0
	s_waitcnt lgkmcnt(0)
	buffer_store_dword v69, off, s[20:23], 0 offset:1400 ; 4-byte Folded Spill
	s_nop 0
	buffer_store_dword v70, off, s[20:23], 0 offset:1404 ; 4-byte Folded Spill
	buffer_store_dword v71, off, s[20:23], 0 offset:1408 ; 4-byte Folded Spill
	;; [unrolled: 1-line block ×3, first 2 shown]
	s_and_saveexec_b64 s[2:3], vcc
	s_cbranch_execz .LBB99_334
; %bb.333:
	buffer_load_dword v69, off, s[20:23], 0 offset:1400 ; 4-byte Folded Reload
	buffer_load_dword v70, off, s[20:23], 0 offset:1404 ; 4-byte Folded Reload
	;; [unrolled: 1-line block ×4, first 2 shown]
	ds_read2_b64 v[99:102], v125 offset0:74 offset1:75
	s_waitcnt vmcnt(2)
	v_mul_f64 v[97:98], v[69:70], v[51:52]
	s_waitcnt vmcnt(0)
	v_mul_f64 v[51:52], v[71:72], v[51:52]
	v_fma_f64 v[97:98], v[71:72], v[49:50], v[97:98]
	v_fma_f64 v[49:50], v[69:70], v[49:50], -v[51:52]
	s_waitcnt lgkmcnt(0)
	v_mul_f64 v[51:52], v[101:102], v[97:98]
	v_fma_f64 v[51:52], v[99:100], v[49:50], -v[51:52]
	v_mul_f64 v[99:100], v[99:100], v[97:98]
	v_add_f64 v[45:46], v[45:46], -v[51:52]
	v_fma_f64 v[99:100], v[101:102], v[49:50], v[99:100]
	v_add_f64 v[47:48], v[47:48], -v[99:100]
	ds_read2_b64 v[99:102], v125 offset0:76 offset1:77
	s_waitcnt lgkmcnt(0)
	v_mul_f64 v[51:52], v[101:102], v[97:98]
	v_fma_f64 v[51:52], v[99:100], v[49:50], -v[51:52]
	v_mul_f64 v[99:100], v[99:100], v[97:98]
	v_add_f64 v[41:42], v[41:42], -v[51:52]
	v_fma_f64 v[99:100], v[101:102], v[49:50], v[99:100]
	v_add_f64 v[43:44], v[43:44], -v[99:100]
	ds_read2_b64 v[99:102], v125 offset0:78 offset1:79
	;; [unrolled: 8-line block ×12, first 2 shown]
	s_waitcnt lgkmcnt(0)
	v_mul_f64 v[51:52], v[101:102], v[97:98]
	v_fma_f64 v[51:52], v[99:100], v[49:50], -v[51:52]
	v_mul_f64 v[99:100], v[99:100], v[97:98]
	v_add_f64 v[73:74], v[73:74], -v[51:52]
	v_fma_f64 v[99:100], v[101:102], v[49:50], v[99:100]
	v_mov_b32_e32 v51, v97
	v_mov_b32_e32 v52, v98
	v_add_f64 v[75:76], v[75:76], -v[99:100]
.LBB99_334:
	s_or_b64 exec, exec, s[2:3]
	v_cmp_eq_u32_e32 vcc, 37, v0
	s_waitcnt vmcnt(0)
	s_barrier
	s_and_saveexec_b64 s[4:5], vcc
	s_cbranch_execz .LBB99_341
; %bb.335:
	ds_write2_b64 v127, v[45:46], v[47:48] offset1:1
	ds_write2_b64 v125, v[41:42], v[43:44] offset0:76 offset1:77
	ds_write2_b64 v125, v[37:38], v[39:40] offset0:78 offset1:79
	;; [unrolled: 1-line block ×12, first 2 shown]
	ds_read2_b64 v[97:100], v127 offset1:1
	s_waitcnt lgkmcnt(0)
	v_cmp_neq_f64_e32 vcc, 0, v[97:98]
	v_cmp_neq_f64_e64 s[2:3], 0, v[99:100]
	s_or_b64 s[2:3], vcc, s[2:3]
	s_and_b64 exec, exec, s[2:3]
	s_cbranch_execz .LBB99_341
; %bb.336:
	v_cmp_ngt_f64_e64 s[2:3], |v[97:98]|, |v[99:100]|
                                        ; implicit-def: $vgpr101_vgpr102
	s_and_saveexec_b64 s[6:7], s[2:3]
	s_xor_b64 s[2:3], exec, s[6:7]
                                        ; implicit-def: $vgpr103_vgpr104
	s_cbranch_execz .LBB99_338
; %bb.337:
	v_div_scale_f64 v[101:102], s[6:7], v[99:100], v[99:100], v[97:98]
	v_rcp_f64_e32 v[103:104], v[101:102]
	v_fma_f64 v[105:106], -v[101:102], v[103:104], 1.0
	v_fma_f64 v[103:104], v[103:104], v[105:106], v[103:104]
	v_div_scale_f64 v[105:106], vcc, v[97:98], v[99:100], v[97:98]
	v_fma_f64 v[107:108], -v[101:102], v[103:104], 1.0
	v_fma_f64 v[103:104], v[103:104], v[107:108], v[103:104]
	v_mul_f64 v[107:108], v[105:106], v[103:104]
	v_fma_f64 v[101:102], -v[101:102], v[107:108], v[105:106]
	v_div_fmas_f64 v[101:102], v[101:102], v[103:104], v[107:108]
	v_div_fixup_f64 v[101:102], v[101:102], v[99:100], v[97:98]
	v_fma_f64 v[97:98], v[97:98], v[101:102], v[99:100]
	v_div_scale_f64 v[99:100], s[6:7], v[97:98], v[97:98], 1.0
	v_div_scale_f64 v[107:108], vcc, 1.0, v[97:98], 1.0
	v_rcp_f64_e32 v[103:104], v[99:100]
	v_fma_f64 v[105:106], -v[99:100], v[103:104], 1.0
	v_fma_f64 v[103:104], v[103:104], v[105:106], v[103:104]
	v_fma_f64 v[105:106], -v[99:100], v[103:104], 1.0
	v_fma_f64 v[103:104], v[103:104], v[105:106], v[103:104]
	v_mul_f64 v[105:106], v[107:108], v[103:104]
	v_fma_f64 v[99:100], -v[99:100], v[105:106], v[107:108]
	v_div_fmas_f64 v[99:100], v[99:100], v[103:104], v[105:106]
	v_div_fixup_f64 v[103:104], v[99:100], v[97:98], 1.0
                                        ; implicit-def: $vgpr97_vgpr98
	v_mul_f64 v[101:102], v[101:102], v[103:104]
	v_xor_b32_e32 v104, 0x80000000, v104
.LBB99_338:
	s_andn2_saveexec_b64 s[2:3], s[2:3]
	s_cbranch_execz .LBB99_340
; %bb.339:
	v_div_scale_f64 v[101:102], s[6:7], v[97:98], v[97:98], v[99:100]
	v_rcp_f64_e32 v[103:104], v[101:102]
	v_fma_f64 v[105:106], -v[101:102], v[103:104], 1.0
	v_fma_f64 v[103:104], v[103:104], v[105:106], v[103:104]
	v_div_scale_f64 v[105:106], vcc, v[99:100], v[97:98], v[99:100]
	v_fma_f64 v[107:108], -v[101:102], v[103:104], 1.0
	v_fma_f64 v[103:104], v[103:104], v[107:108], v[103:104]
	v_mul_f64 v[107:108], v[105:106], v[103:104]
	v_fma_f64 v[101:102], -v[101:102], v[107:108], v[105:106]
	v_div_fmas_f64 v[101:102], v[101:102], v[103:104], v[107:108]
	v_div_fixup_f64 v[103:104], v[101:102], v[97:98], v[99:100]
	v_fma_f64 v[97:98], v[99:100], v[103:104], v[97:98]
	v_div_scale_f64 v[99:100], s[6:7], v[97:98], v[97:98], 1.0
	v_div_scale_f64 v[107:108], vcc, 1.0, v[97:98], 1.0
	v_rcp_f64_e32 v[101:102], v[99:100]
	v_fma_f64 v[105:106], -v[99:100], v[101:102], 1.0
	v_fma_f64 v[101:102], v[101:102], v[105:106], v[101:102]
	v_fma_f64 v[105:106], -v[99:100], v[101:102], 1.0
	v_fma_f64 v[101:102], v[101:102], v[105:106], v[101:102]
	v_mul_f64 v[105:106], v[107:108], v[101:102]
	v_fma_f64 v[99:100], -v[99:100], v[105:106], v[107:108]
	v_div_fmas_f64 v[99:100], v[99:100], v[101:102], v[105:106]
	v_div_fixup_f64 v[101:102], v[99:100], v[97:98], 1.0
	v_mul_f64 v[103:104], v[103:104], -v[101:102]
.LBB99_340:
	s_or_b64 exec, exec, s[2:3]
	ds_write2_b64 v127, v[101:102], v[103:104] offset1:1
.LBB99_341:
	s_or_b64 exec, exec, s[4:5]
	s_waitcnt lgkmcnt(0)
	s_barrier
	ds_read2_b64 v[69:72], v127 offset1:1
	v_cmp_lt_u32_e32 vcc, 37, v0
	s_waitcnt lgkmcnt(0)
	buffer_store_dword v69, off, s[20:23], 0 offset:1416 ; 4-byte Folded Spill
	s_nop 0
	buffer_store_dword v70, off, s[20:23], 0 offset:1420 ; 4-byte Folded Spill
	buffer_store_dword v71, off, s[20:23], 0 offset:1424 ; 4-byte Folded Spill
	buffer_store_dword v72, off, s[20:23], 0 offset:1428 ; 4-byte Folded Spill
	s_and_saveexec_b64 s[2:3], vcc
	s_cbranch_execz .LBB99_343
; %bb.342:
	buffer_load_dword v69, off, s[20:23], 0 offset:1416 ; 4-byte Folded Reload
	buffer_load_dword v70, off, s[20:23], 0 offset:1420 ; 4-byte Folded Reload
	;; [unrolled: 1-line block ×4, first 2 shown]
	ds_read2_b64 v[99:102], v125 offset0:76 offset1:77
	s_waitcnt vmcnt(2)
	v_mul_f64 v[97:98], v[69:70], v[47:48]
	s_waitcnt vmcnt(0)
	v_mul_f64 v[47:48], v[71:72], v[47:48]
	v_fma_f64 v[97:98], v[71:72], v[45:46], v[97:98]
	v_fma_f64 v[45:46], v[69:70], v[45:46], -v[47:48]
	s_waitcnt lgkmcnt(0)
	v_mul_f64 v[47:48], v[101:102], v[97:98]
	v_fma_f64 v[47:48], v[99:100], v[45:46], -v[47:48]
	v_mul_f64 v[99:100], v[99:100], v[97:98]
	v_add_f64 v[41:42], v[41:42], -v[47:48]
	v_fma_f64 v[99:100], v[101:102], v[45:46], v[99:100]
	v_add_f64 v[43:44], v[43:44], -v[99:100]
	ds_read2_b64 v[99:102], v125 offset0:78 offset1:79
	s_waitcnt lgkmcnt(0)
	v_mul_f64 v[47:48], v[101:102], v[97:98]
	v_fma_f64 v[47:48], v[99:100], v[45:46], -v[47:48]
	v_mul_f64 v[99:100], v[99:100], v[97:98]
	v_add_f64 v[37:38], v[37:38], -v[47:48]
	v_fma_f64 v[99:100], v[101:102], v[45:46], v[99:100]
	v_add_f64 v[39:40], v[39:40], -v[99:100]
	ds_read2_b64 v[99:102], v125 offset0:80 offset1:81
	;; [unrolled: 8-line block ×11, first 2 shown]
	s_waitcnt lgkmcnt(0)
	v_mul_f64 v[47:48], v[101:102], v[97:98]
	v_fma_f64 v[47:48], v[99:100], v[45:46], -v[47:48]
	v_mul_f64 v[99:100], v[99:100], v[97:98]
	v_add_f64 v[73:74], v[73:74], -v[47:48]
	v_fma_f64 v[99:100], v[101:102], v[45:46], v[99:100]
	v_mov_b32_e32 v47, v97
	v_mov_b32_e32 v48, v98
	v_add_f64 v[75:76], v[75:76], -v[99:100]
.LBB99_343:
	s_or_b64 exec, exec, s[2:3]
	v_cmp_eq_u32_e32 vcc, 38, v0
	s_waitcnt vmcnt(0)
	s_barrier
	s_and_saveexec_b64 s[4:5], vcc
	s_cbranch_execz .LBB99_350
; %bb.344:
	ds_write2_b64 v127, v[41:42], v[43:44] offset1:1
	ds_write2_b64 v125, v[37:38], v[39:40] offset0:78 offset1:79
	ds_write2_b64 v125, v[33:34], v[35:36] offset0:80 offset1:81
	;; [unrolled: 1-line block ×11, first 2 shown]
	ds_read2_b64 v[97:100], v127 offset1:1
	s_waitcnt lgkmcnt(0)
	v_cmp_neq_f64_e32 vcc, 0, v[97:98]
	v_cmp_neq_f64_e64 s[2:3], 0, v[99:100]
	s_or_b64 s[2:3], vcc, s[2:3]
	s_and_b64 exec, exec, s[2:3]
	s_cbranch_execz .LBB99_350
; %bb.345:
	v_cmp_ngt_f64_e64 s[2:3], |v[97:98]|, |v[99:100]|
                                        ; implicit-def: $vgpr101_vgpr102
	s_and_saveexec_b64 s[6:7], s[2:3]
	s_xor_b64 s[2:3], exec, s[6:7]
                                        ; implicit-def: $vgpr103_vgpr104
	s_cbranch_execz .LBB99_347
; %bb.346:
	v_div_scale_f64 v[101:102], s[6:7], v[99:100], v[99:100], v[97:98]
	v_rcp_f64_e32 v[103:104], v[101:102]
	v_fma_f64 v[105:106], -v[101:102], v[103:104], 1.0
	v_fma_f64 v[103:104], v[103:104], v[105:106], v[103:104]
	v_div_scale_f64 v[105:106], vcc, v[97:98], v[99:100], v[97:98]
	v_fma_f64 v[107:108], -v[101:102], v[103:104], 1.0
	v_fma_f64 v[103:104], v[103:104], v[107:108], v[103:104]
	v_mul_f64 v[107:108], v[105:106], v[103:104]
	v_fma_f64 v[101:102], -v[101:102], v[107:108], v[105:106]
	v_div_fmas_f64 v[101:102], v[101:102], v[103:104], v[107:108]
	v_div_fixup_f64 v[101:102], v[101:102], v[99:100], v[97:98]
	v_fma_f64 v[97:98], v[97:98], v[101:102], v[99:100]
	v_div_scale_f64 v[99:100], s[6:7], v[97:98], v[97:98], 1.0
	v_div_scale_f64 v[107:108], vcc, 1.0, v[97:98], 1.0
	v_rcp_f64_e32 v[103:104], v[99:100]
	v_fma_f64 v[105:106], -v[99:100], v[103:104], 1.0
	v_fma_f64 v[103:104], v[103:104], v[105:106], v[103:104]
	v_fma_f64 v[105:106], -v[99:100], v[103:104], 1.0
	v_fma_f64 v[103:104], v[103:104], v[105:106], v[103:104]
	v_mul_f64 v[105:106], v[107:108], v[103:104]
	v_fma_f64 v[99:100], -v[99:100], v[105:106], v[107:108]
	v_div_fmas_f64 v[99:100], v[99:100], v[103:104], v[105:106]
	v_div_fixup_f64 v[103:104], v[99:100], v[97:98], 1.0
                                        ; implicit-def: $vgpr97_vgpr98
	v_mul_f64 v[101:102], v[101:102], v[103:104]
	v_xor_b32_e32 v104, 0x80000000, v104
.LBB99_347:
	s_andn2_saveexec_b64 s[2:3], s[2:3]
	s_cbranch_execz .LBB99_349
; %bb.348:
	v_div_scale_f64 v[101:102], s[6:7], v[97:98], v[97:98], v[99:100]
	v_rcp_f64_e32 v[103:104], v[101:102]
	v_fma_f64 v[105:106], -v[101:102], v[103:104], 1.0
	v_fma_f64 v[103:104], v[103:104], v[105:106], v[103:104]
	v_div_scale_f64 v[105:106], vcc, v[99:100], v[97:98], v[99:100]
	v_fma_f64 v[107:108], -v[101:102], v[103:104], 1.0
	v_fma_f64 v[103:104], v[103:104], v[107:108], v[103:104]
	v_mul_f64 v[107:108], v[105:106], v[103:104]
	v_fma_f64 v[101:102], -v[101:102], v[107:108], v[105:106]
	v_div_fmas_f64 v[101:102], v[101:102], v[103:104], v[107:108]
	v_div_fixup_f64 v[103:104], v[101:102], v[97:98], v[99:100]
	v_fma_f64 v[97:98], v[99:100], v[103:104], v[97:98]
	v_div_scale_f64 v[99:100], s[6:7], v[97:98], v[97:98], 1.0
	v_div_scale_f64 v[107:108], vcc, 1.0, v[97:98], 1.0
	v_rcp_f64_e32 v[101:102], v[99:100]
	v_fma_f64 v[105:106], -v[99:100], v[101:102], 1.0
	v_fma_f64 v[101:102], v[101:102], v[105:106], v[101:102]
	v_fma_f64 v[105:106], -v[99:100], v[101:102], 1.0
	v_fma_f64 v[101:102], v[101:102], v[105:106], v[101:102]
	v_mul_f64 v[105:106], v[107:108], v[101:102]
	v_fma_f64 v[99:100], -v[99:100], v[105:106], v[107:108]
	v_div_fmas_f64 v[99:100], v[99:100], v[101:102], v[105:106]
	v_div_fixup_f64 v[101:102], v[99:100], v[97:98], 1.0
	v_mul_f64 v[103:104], v[103:104], -v[101:102]
.LBB99_349:
	s_or_b64 exec, exec, s[2:3]
	ds_write2_b64 v127, v[101:102], v[103:104] offset1:1
.LBB99_350:
	s_or_b64 exec, exec, s[4:5]
	s_waitcnt lgkmcnt(0)
	s_barrier
	ds_read2_b64 v[69:72], v127 offset1:1
	v_cmp_lt_u32_e32 vcc, 38, v0
	s_waitcnt lgkmcnt(0)
	buffer_store_dword v69, off, s[20:23], 0 offset:1432 ; 4-byte Folded Spill
	s_nop 0
	buffer_store_dword v70, off, s[20:23], 0 offset:1436 ; 4-byte Folded Spill
	buffer_store_dword v71, off, s[20:23], 0 offset:1440 ; 4-byte Folded Spill
	;; [unrolled: 1-line block ×3, first 2 shown]
	s_and_saveexec_b64 s[2:3], vcc
	s_cbranch_execz .LBB99_352
; %bb.351:
	buffer_load_dword v69, off, s[20:23], 0 offset:1432 ; 4-byte Folded Reload
	buffer_load_dword v70, off, s[20:23], 0 offset:1436 ; 4-byte Folded Reload
	;; [unrolled: 1-line block ×4, first 2 shown]
	ds_read2_b64 v[99:102], v125 offset0:78 offset1:79
	s_waitcnt vmcnt(2)
	v_mul_f64 v[97:98], v[69:70], v[43:44]
	s_waitcnt vmcnt(0)
	v_mul_f64 v[43:44], v[71:72], v[43:44]
	v_fma_f64 v[97:98], v[71:72], v[41:42], v[97:98]
	v_fma_f64 v[41:42], v[69:70], v[41:42], -v[43:44]
	s_waitcnt lgkmcnt(0)
	v_mul_f64 v[43:44], v[101:102], v[97:98]
	v_fma_f64 v[43:44], v[99:100], v[41:42], -v[43:44]
	v_mul_f64 v[99:100], v[99:100], v[97:98]
	v_add_f64 v[37:38], v[37:38], -v[43:44]
	v_fma_f64 v[99:100], v[101:102], v[41:42], v[99:100]
	v_add_f64 v[39:40], v[39:40], -v[99:100]
	ds_read2_b64 v[99:102], v125 offset0:80 offset1:81
	s_waitcnt lgkmcnt(0)
	v_mul_f64 v[43:44], v[101:102], v[97:98]
	v_fma_f64 v[43:44], v[99:100], v[41:42], -v[43:44]
	v_mul_f64 v[99:100], v[99:100], v[97:98]
	v_add_f64 v[33:34], v[33:34], -v[43:44]
	v_fma_f64 v[99:100], v[101:102], v[41:42], v[99:100]
	v_add_f64 v[35:36], v[35:36], -v[99:100]
	ds_read2_b64 v[99:102], v125 offset0:82 offset1:83
	;; [unrolled: 8-line block ×10, first 2 shown]
	s_waitcnt lgkmcnt(0)
	v_mul_f64 v[43:44], v[101:102], v[97:98]
	v_fma_f64 v[43:44], v[99:100], v[41:42], -v[43:44]
	v_mul_f64 v[99:100], v[99:100], v[97:98]
	v_add_f64 v[73:74], v[73:74], -v[43:44]
	v_fma_f64 v[99:100], v[101:102], v[41:42], v[99:100]
	v_mov_b32_e32 v43, v97
	v_mov_b32_e32 v44, v98
	v_add_f64 v[75:76], v[75:76], -v[99:100]
.LBB99_352:
	s_or_b64 exec, exec, s[2:3]
	v_cmp_eq_u32_e32 vcc, 39, v0
	s_waitcnt vmcnt(0)
	s_barrier
	s_and_saveexec_b64 s[4:5], vcc
	s_cbranch_execz .LBB99_359
; %bb.353:
	ds_write2_b64 v127, v[37:38], v[39:40] offset1:1
	ds_write2_b64 v125, v[33:34], v[35:36] offset0:80 offset1:81
	ds_write2_b64 v125, v[29:30], v[31:32] offset0:82 offset1:83
	;; [unrolled: 1-line block ×10, first 2 shown]
	ds_read2_b64 v[97:100], v127 offset1:1
	s_waitcnt lgkmcnt(0)
	v_cmp_neq_f64_e32 vcc, 0, v[97:98]
	v_cmp_neq_f64_e64 s[2:3], 0, v[99:100]
	s_or_b64 s[2:3], vcc, s[2:3]
	s_and_b64 exec, exec, s[2:3]
	s_cbranch_execz .LBB99_359
; %bb.354:
	v_cmp_ngt_f64_e64 s[2:3], |v[97:98]|, |v[99:100]|
                                        ; implicit-def: $vgpr101_vgpr102
	s_and_saveexec_b64 s[6:7], s[2:3]
	s_xor_b64 s[2:3], exec, s[6:7]
                                        ; implicit-def: $vgpr103_vgpr104
	s_cbranch_execz .LBB99_356
; %bb.355:
	v_div_scale_f64 v[101:102], s[6:7], v[99:100], v[99:100], v[97:98]
	v_rcp_f64_e32 v[103:104], v[101:102]
	v_fma_f64 v[105:106], -v[101:102], v[103:104], 1.0
	v_fma_f64 v[103:104], v[103:104], v[105:106], v[103:104]
	v_div_scale_f64 v[105:106], vcc, v[97:98], v[99:100], v[97:98]
	v_fma_f64 v[107:108], -v[101:102], v[103:104], 1.0
	v_fma_f64 v[103:104], v[103:104], v[107:108], v[103:104]
	v_mul_f64 v[107:108], v[105:106], v[103:104]
	v_fma_f64 v[101:102], -v[101:102], v[107:108], v[105:106]
	v_div_fmas_f64 v[101:102], v[101:102], v[103:104], v[107:108]
	v_div_fixup_f64 v[101:102], v[101:102], v[99:100], v[97:98]
	v_fma_f64 v[97:98], v[97:98], v[101:102], v[99:100]
	v_div_scale_f64 v[99:100], s[6:7], v[97:98], v[97:98], 1.0
	v_div_scale_f64 v[107:108], vcc, 1.0, v[97:98], 1.0
	v_rcp_f64_e32 v[103:104], v[99:100]
	v_fma_f64 v[105:106], -v[99:100], v[103:104], 1.0
	v_fma_f64 v[103:104], v[103:104], v[105:106], v[103:104]
	v_fma_f64 v[105:106], -v[99:100], v[103:104], 1.0
	v_fma_f64 v[103:104], v[103:104], v[105:106], v[103:104]
	v_mul_f64 v[105:106], v[107:108], v[103:104]
	v_fma_f64 v[99:100], -v[99:100], v[105:106], v[107:108]
	v_div_fmas_f64 v[99:100], v[99:100], v[103:104], v[105:106]
	v_div_fixup_f64 v[103:104], v[99:100], v[97:98], 1.0
                                        ; implicit-def: $vgpr97_vgpr98
	v_mul_f64 v[101:102], v[101:102], v[103:104]
	v_xor_b32_e32 v104, 0x80000000, v104
.LBB99_356:
	s_andn2_saveexec_b64 s[2:3], s[2:3]
	s_cbranch_execz .LBB99_358
; %bb.357:
	v_div_scale_f64 v[101:102], s[6:7], v[97:98], v[97:98], v[99:100]
	v_rcp_f64_e32 v[103:104], v[101:102]
	v_fma_f64 v[105:106], -v[101:102], v[103:104], 1.0
	v_fma_f64 v[103:104], v[103:104], v[105:106], v[103:104]
	v_div_scale_f64 v[105:106], vcc, v[99:100], v[97:98], v[99:100]
	v_fma_f64 v[107:108], -v[101:102], v[103:104], 1.0
	v_fma_f64 v[103:104], v[103:104], v[107:108], v[103:104]
	v_mul_f64 v[107:108], v[105:106], v[103:104]
	v_fma_f64 v[101:102], -v[101:102], v[107:108], v[105:106]
	v_div_fmas_f64 v[101:102], v[101:102], v[103:104], v[107:108]
	v_div_fixup_f64 v[103:104], v[101:102], v[97:98], v[99:100]
	v_fma_f64 v[97:98], v[99:100], v[103:104], v[97:98]
	v_div_scale_f64 v[99:100], s[6:7], v[97:98], v[97:98], 1.0
	v_div_scale_f64 v[107:108], vcc, 1.0, v[97:98], 1.0
	v_rcp_f64_e32 v[101:102], v[99:100]
	v_fma_f64 v[105:106], -v[99:100], v[101:102], 1.0
	v_fma_f64 v[101:102], v[101:102], v[105:106], v[101:102]
	v_fma_f64 v[105:106], -v[99:100], v[101:102], 1.0
	v_fma_f64 v[101:102], v[101:102], v[105:106], v[101:102]
	v_mul_f64 v[105:106], v[107:108], v[101:102]
	v_fma_f64 v[99:100], -v[99:100], v[105:106], v[107:108]
	v_div_fmas_f64 v[99:100], v[99:100], v[101:102], v[105:106]
	v_div_fixup_f64 v[101:102], v[99:100], v[97:98], 1.0
	v_mul_f64 v[103:104], v[103:104], -v[101:102]
.LBB99_358:
	s_or_b64 exec, exec, s[2:3]
	ds_write2_b64 v127, v[101:102], v[103:104] offset1:1
.LBB99_359:
	s_or_b64 exec, exec, s[4:5]
	s_waitcnt lgkmcnt(0)
	s_barrier
	ds_read2_b64 v[69:72], v127 offset1:1
	v_cmp_lt_u32_e32 vcc, 39, v0
	s_waitcnt lgkmcnt(0)
	buffer_store_dword v69, off, s[20:23], 0 offset:1448 ; 4-byte Folded Spill
	s_nop 0
	buffer_store_dword v70, off, s[20:23], 0 offset:1452 ; 4-byte Folded Spill
	buffer_store_dword v71, off, s[20:23], 0 offset:1456 ; 4-byte Folded Spill
	;; [unrolled: 1-line block ×3, first 2 shown]
	s_and_saveexec_b64 s[2:3], vcc
	s_cbranch_execz .LBB99_361
; %bb.360:
	buffer_load_dword v69, off, s[20:23], 0 offset:1448 ; 4-byte Folded Reload
	buffer_load_dword v70, off, s[20:23], 0 offset:1452 ; 4-byte Folded Reload
	;; [unrolled: 1-line block ×4, first 2 shown]
	ds_read2_b64 v[99:102], v125 offset0:80 offset1:81
	s_waitcnt vmcnt(2)
	v_mul_f64 v[97:98], v[69:70], v[39:40]
	s_waitcnt vmcnt(0)
	v_mul_f64 v[39:40], v[71:72], v[39:40]
	v_fma_f64 v[97:98], v[71:72], v[37:38], v[97:98]
	v_fma_f64 v[37:38], v[69:70], v[37:38], -v[39:40]
	s_waitcnt lgkmcnt(0)
	v_mul_f64 v[39:40], v[101:102], v[97:98]
	v_fma_f64 v[39:40], v[99:100], v[37:38], -v[39:40]
	v_mul_f64 v[99:100], v[99:100], v[97:98]
	v_add_f64 v[33:34], v[33:34], -v[39:40]
	v_fma_f64 v[99:100], v[101:102], v[37:38], v[99:100]
	v_add_f64 v[35:36], v[35:36], -v[99:100]
	ds_read2_b64 v[99:102], v125 offset0:82 offset1:83
	s_waitcnt lgkmcnt(0)
	v_mul_f64 v[39:40], v[101:102], v[97:98]
	v_fma_f64 v[39:40], v[99:100], v[37:38], -v[39:40]
	v_mul_f64 v[99:100], v[99:100], v[97:98]
	v_add_f64 v[29:30], v[29:30], -v[39:40]
	v_fma_f64 v[99:100], v[101:102], v[37:38], v[99:100]
	v_add_f64 v[31:32], v[31:32], -v[99:100]
	ds_read2_b64 v[99:102], v125 offset0:84 offset1:85
	;; [unrolled: 8-line block ×9, first 2 shown]
	s_waitcnt lgkmcnt(0)
	v_mul_f64 v[39:40], v[101:102], v[97:98]
	v_fma_f64 v[39:40], v[99:100], v[37:38], -v[39:40]
	v_mul_f64 v[99:100], v[99:100], v[97:98]
	v_add_f64 v[73:74], v[73:74], -v[39:40]
	v_fma_f64 v[99:100], v[101:102], v[37:38], v[99:100]
	v_mov_b32_e32 v39, v97
	v_mov_b32_e32 v40, v98
	v_add_f64 v[75:76], v[75:76], -v[99:100]
.LBB99_361:
	s_or_b64 exec, exec, s[2:3]
	v_cmp_eq_u32_e32 vcc, 40, v0
	s_waitcnt vmcnt(0)
	s_barrier
	s_and_saveexec_b64 s[4:5], vcc
	s_cbranch_execz .LBB99_368
; %bb.362:
	ds_write2_b64 v127, v[33:34], v[35:36] offset1:1
	ds_write2_b64 v125, v[29:30], v[31:32] offset0:82 offset1:83
	ds_write2_b64 v125, v[25:26], v[27:28] offset0:84 offset1:85
	;; [unrolled: 1-line block ×9, first 2 shown]
	ds_read2_b64 v[97:100], v127 offset1:1
	s_waitcnt lgkmcnt(0)
	v_cmp_neq_f64_e32 vcc, 0, v[97:98]
	v_cmp_neq_f64_e64 s[2:3], 0, v[99:100]
	s_or_b64 s[2:3], vcc, s[2:3]
	s_and_b64 exec, exec, s[2:3]
	s_cbranch_execz .LBB99_368
; %bb.363:
	v_cmp_ngt_f64_e64 s[2:3], |v[97:98]|, |v[99:100]|
                                        ; implicit-def: $vgpr101_vgpr102
	s_and_saveexec_b64 s[6:7], s[2:3]
	s_xor_b64 s[2:3], exec, s[6:7]
                                        ; implicit-def: $vgpr103_vgpr104
	s_cbranch_execz .LBB99_365
; %bb.364:
	v_div_scale_f64 v[101:102], s[6:7], v[99:100], v[99:100], v[97:98]
	v_rcp_f64_e32 v[103:104], v[101:102]
	v_fma_f64 v[105:106], -v[101:102], v[103:104], 1.0
	v_fma_f64 v[103:104], v[103:104], v[105:106], v[103:104]
	v_div_scale_f64 v[105:106], vcc, v[97:98], v[99:100], v[97:98]
	v_fma_f64 v[107:108], -v[101:102], v[103:104], 1.0
	v_fma_f64 v[103:104], v[103:104], v[107:108], v[103:104]
	v_mul_f64 v[107:108], v[105:106], v[103:104]
	v_fma_f64 v[101:102], -v[101:102], v[107:108], v[105:106]
	v_div_fmas_f64 v[101:102], v[101:102], v[103:104], v[107:108]
	v_div_fixup_f64 v[101:102], v[101:102], v[99:100], v[97:98]
	v_fma_f64 v[97:98], v[97:98], v[101:102], v[99:100]
	v_div_scale_f64 v[99:100], s[6:7], v[97:98], v[97:98], 1.0
	v_div_scale_f64 v[107:108], vcc, 1.0, v[97:98], 1.0
	v_rcp_f64_e32 v[103:104], v[99:100]
	v_fma_f64 v[105:106], -v[99:100], v[103:104], 1.0
	v_fma_f64 v[103:104], v[103:104], v[105:106], v[103:104]
	v_fma_f64 v[105:106], -v[99:100], v[103:104], 1.0
	v_fma_f64 v[103:104], v[103:104], v[105:106], v[103:104]
	v_mul_f64 v[105:106], v[107:108], v[103:104]
	v_fma_f64 v[99:100], -v[99:100], v[105:106], v[107:108]
	v_div_fmas_f64 v[99:100], v[99:100], v[103:104], v[105:106]
	v_div_fixup_f64 v[103:104], v[99:100], v[97:98], 1.0
                                        ; implicit-def: $vgpr97_vgpr98
	v_mul_f64 v[101:102], v[101:102], v[103:104]
	v_xor_b32_e32 v104, 0x80000000, v104
.LBB99_365:
	s_andn2_saveexec_b64 s[2:3], s[2:3]
	s_cbranch_execz .LBB99_367
; %bb.366:
	v_div_scale_f64 v[101:102], s[6:7], v[97:98], v[97:98], v[99:100]
	v_rcp_f64_e32 v[103:104], v[101:102]
	v_fma_f64 v[105:106], -v[101:102], v[103:104], 1.0
	v_fma_f64 v[103:104], v[103:104], v[105:106], v[103:104]
	v_div_scale_f64 v[105:106], vcc, v[99:100], v[97:98], v[99:100]
	v_fma_f64 v[107:108], -v[101:102], v[103:104], 1.0
	v_fma_f64 v[103:104], v[103:104], v[107:108], v[103:104]
	v_mul_f64 v[107:108], v[105:106], v[103:104]
	v_fma_f64 v[101:102], -v[101:102], v[107:108], v[105:106]
	v_div_fmas_f64 v[101:102], v[101:102], v[103:104], v[107:108]
	v_div_fixup_f64 v[103:104], v[101:102], v[97:98], v[99:100]
	v_fma_f64 v[97:98], v[99:100], v[103:104], v[97:98]
	v_div_scale_f64 v[99:100], s[6:7], v[97:98], v[97:98], 1.0
	v_div_scale_f64 v[107:108], vcc, 1.0, v[97:98], 1.0
	v_rcp_f64_e32 v[101:102], v[99:100]
	v_fma_f64 v[105:106], -v[99:100], v[101:102], 1.0
	v_fma_f64 v[101:102], v[101:102], v[105:106], v[101:102]
	v_fma_f64 v[105:106], -v[99:100], v[101:102], 1.0
	v_fma_f64 v[101:102], v[101:102], v[105:106], v[101:102]
	v_mul_f64 v[105:106], v[107:108], v[101:102]
	v_fma_f64 v[99:100], -v[99:100], v[105:106], v[107:108]
	v_div_fmas_f64 v[99:100], v[99:100], v[101:102], v[105:106]
	v_div_fixup_f64 v[101:102], v[99:100], v[97:98], 1.0
	v_mul_f64 v[103:104], v[103:104], -v[101:102]
.LBB99_367:
	s_or_b64 exec, exec, s[2:3]
	ds_write2_b64 v127, v[101:102], v[103:104] offset1:1
.LBB99_368:
	s_or_b64 exec, exec, s[4:5]
	s_waitcnt lgkmcnt(0)
	s_barrier
	ds_read2_b64 v[69:72], v127 offset1:1
	v_cmp_lt_u32_e32 vcc, 40, v0
	s_waitcnt lgkmcnt(0)
	buffer_store_dword v69, off, s[20:23], 0 offset:1464 ; 4-byte Folded Spill
	s_nop 0
	buffer_store_dword v70, off, s[20:23], 0 offset:1468 ; 4-byte Folded Spill
	buffer_store_dword v71, off, s[20:23], 0 offset:1472 ; 4-byte Folded Spill
	;; [unrolled: 1-line block ×3, first 2 shown]
	s_and_saveexec_b64 s[2:3], vcc
	s_cbranch_execz .LBB99_370
; %bb.369:
	buffer_load_dword v69, off, s[20:23], 0 offset:1464 ; 4-byte Folded Reload
	buffer_load_dword v70, off, s[20:23], 0 offset:1468 ; 4-byte Folded Reload
	;; [unrolled: 1-line block ×4, first 2 shown]
	ds_read2_b64 v[99:102], v125 offset0:82 offset1:83
	s_waitcnt vmcnt(2)
	v_mul_f64 v[97:98], v[69:70], v[35:36]
	s_waitcnt vmcnt(0)
	v_mul_f64 v[35:36], v[71:72], v[35:36]
	v_fma_f64 v[97:98], v[71:72], v[33:34], v[97:98]
	v_fma_f64 v[33:34], v[69:70], v[33:34], -v[35:36]
	s_waitcnt lgkmcnt(0)
	v_mul_f64 v[35:36], v[101:102], v[97:98]
	v_fma_f64 v[35:36], v[99:100], v[33:34], -v[35:36]
	v_mul_f64 v[99:100], v[99:100], v[97:98]
	v_add_f64 v[29:30], v[29:30], -v[35:36]
	v_fma_f64 v[99:100], v[101:102], v[33:34], v[99:100]
	v_add_f64 v[31:32], v[31:32], -v[99:100]
	ds_read2_b64 v[99:102], v125 offset0:84 offset1:85
	s_waitcnt lgkmcnt(0)
	v_mul_f64 v[35:36], v[101:102], v[97:98]
	v_fma_f64 v[35:36], v[99:100], v[33:34], -v[35:36]
	v_mul_f64 v[99:100], v[99:100], v[97:98]
	v_add_f64 v[25:26], v[25:26], -v[35:36]
	v_fma_f64 v[99:100], v[101:102], v[33:34], v[99:100]
	v_add_f64 v[27:28], v[27:28], -v[99:100]
	ds_read2_b64 v[99:102], v125 offset0:86 offset1:87
	;; [unrolled: 8-line block ×8, first 2 shown]
	s_waitcnt lgkmcnt(0)
	v_mul_f64 v[35:36], v[101:102], v[97:98]
	v_fma_f64 v[35:36], v[99:100], v[33:34], -v[35:36]
	v_mul_f64 v[99:100], v[99:100], v[97:98]
	v_add_f64 v[73:74], v[73:74], -v[35:36]
	v_fma_f64 v[99:100], v[101:102], v[33:34], v[99:100]
	v_mov_b32_e32 v35, v97
	v_mov_b32_e32 v36, v98
	v_add_f64 v[75:76], v[75:76], -v[99:100]
.LBB99_370:
	s_or_b64 exec, exec, s[2:3]
	v_cmp_eq_u32_e32 vcc, 41, v0
	s_waitcnt vmcnt(0)
	s_barrier
	s_and_saveexec_b64 s[4:5], vcc
	s_cbranch_execz .LBB99_377
; %bb.371:
	ds_write2_b64 v127, v[29:30], v[31:32] offset1:1
	ds_write2_b64 v125, v[25:26], v[27:28] offset0:84 offset1:85
	ds_write2_b64 v125, v[21:22], v[23:24] offset0:86 offset1:87
	;; [unrolled: 1-line block ×8, first 2 shown]
	ds_read2_b64 v[97:100], v127 offset1:1
	s_waitcnt lgkmcnt(0)
	v_cmp_neq_f64_e32 vcc, 0, v[97:98]
	v_cmp_neq_f64_e64 s[2:3], 0, v[99:100]
	s_or_b64 s[2:3], vcc, s[2:3]
	s_and_b64 exec, exec, s[2:3]
	s_cbranch_execz .LBB99_377
; %bb.372:
	v_cmp_ngt_f64_e64 s[2:3], |v[97:98]|, |v[99:100]|
                                        ; implicit-def: $vgpr101_vgpr102
	s_and_saveexec_b64 s[6:7], s[2:3]
	s_xor_b64 s[2:3], exec, s[6:7]
                                        ; implicit-def: $vgpr103_vgpr104
	s_cbranch_execz .LBB99_374
; %bb.373:
	v_div_scale_f64 v[101:102], s[6:7], v[99:100], v[99:100], v[97:98]
	v_rcp_f64_e32 v[103:104], v[101:102]
	v_fma_f64 v[105:106], -v[101:102], v[103:104], 1.0
	v_fma_f64 v[103:104], v[103:104], v[105:106], v[103:104]
	v_div_scale_f64 v[105:106], vcc, v[97:98], v[99:100], v[97:98]
	v_fma_f64 v[107:108], -v[101:102], v[103:104], 1.0
	v_fma_f64 v[103:104], v[103:104], v[107:108], v[103:104]
	v_mul_f64 v[107:108], v[105:106], v[103:104]
	v_fma_f64 v[101:102], -v[101:102], v[107:108], v[105:106]
	v_div_fmas_f64 v[101:102], v[101:102], v[103:104], v[107:108]
	v_div_fixup_f64 v[101:102], v[101:102], v[99:100], v[97:98]
	v_fma_f64 v[97:98], v[97:98], v[101:102], v[99:100]
	v_div_scale_f64 v[99:100], s[6:7], v[97:98], v[97:98], 1.0
	v_div_scale_f64 v[107:108], vcc, 1.0, v[97:98], 1.0
	v_rcp_f64_e32 v[103:104], v[99:100]
	v_fma_f64 v[105:106], -v[99:100], v[103:104], 1.0
	v_fma_f64 v[103:104], v[103:104], v[105:106], v[103:104]
	v_fma_f64 v[105:106], -v[99:100], v[103:104], 1.0
	v_fma_f64 v[103:104], v[103:104], v[105:106], v[103:104]
	v_mul_f64 v[105:106], v[107:108], v[103:104]
	v_fma_f64 v[99:100], -v[99:100], v[105:106], v[107:108]
	v_div_fmas_f64 v[99:100], v[99:100], v[103:104], v[105:106]
	v_div_fixup_f64 v[103:104], v[99:100], v[97:98], 1.0
                                        ; implicit-def: $vgpr97_vgpr98
	v_mul_f64 v[101:102], v[101:102], v[103:104]
	v_xor_b32_e32 v104, 0x80000000, v104
.LBB99_374:
	s_andn2_saveexec_b64 s[2:3], s[2:3]
	s_cbranch_execz .LBB99_376
; %bb.375:
	v_div_scale_f64 v[101:102], s[6:7], v[97:98], v[97:98], v[99:100]
	v_rcp_f64_e32 v[103:104], v[101:102]
	v_fma_f64 v[105:106], -v[101:102], v[103:104], 1.0
	v_fma_f64 v[103:104], v[103:104], v[105:106], v[103:104]
	v_div_scale_f64 v[105:106], vcc, v[99:100], v[97:98], v[99:100]
	v_fma_f64 v[107:108], -v[101:102], v[103:104], 1.0
	v_fma_f64 v[103:104], v[103:104], v[107:108], v[103:104]
	v_mul_f64 v[107:108], v[105:106], v[103:104]
	v_fma_f64 v[101:102], -v[101:102], v[107:108], v[105:106]
	v_div_fmas_f64 v[101:102], v[101:102], v[103:104], v[107:108]
	v_div_fixup_f64 v[103:104], v[101:102], v[97:98], v[99:100]
	v_fma_f64 v[97:98], v[99:100], v[103:104], v[97:98]
	v_div_scale_f64 v[99:100], s[6:7], v[97:98], v[97:98], 1.0
	v_div_scale_f64 v[107:108], vcc, 1.0, v[97:98], 1.0
	v_rcp_f64_e32 v[101:102], v[99:100]
	v_fma_f64 v[105:106], -v[99:100], v[101:102], 1.0
	v_fma_f64 v[101:102], v[101:102], v[105:106], v[101:102]
	v_fma_f64 v[105:106], -v[99:100], v[101:102], 1.0
	v_fma_f64 v[101:102], v[101:102], v[105:106], v[101:102]
	v_mul_f64 v[105:106], v[107:108], v[101:102]
	v_fma_f64 v[99:100], -v[99:100], v[105:106], v[107:108]
	v_div_fmas_f64 v[99:100], v[99:100], v[101:102], v[105:106]
	v_div_fixup_f64 v[101:102], v[99:100], v[97:98], 1.0
	v_mul_f64 v[103:104], v[103:104], -v[101:102]
.LBB99_376:
	s_or_b64 exec, exec, s[2:3]
	ds_write2_b64 v127, v[101:102], v[103:104] offset1:1
.LBB99_377:
	s_or_b64 exec, exec, s[4:5]
	s_waitcnt lgkmcnt(0)
	s_barrier
	ds_read2_b64 v[69:72], v127 offset1:1
	v_cmp_lt_u32_e32 vcc, 41, v0
	s_waitcnt lgkmcnt(0)
	buffer_store_dword v69, off, s[20:23], 0 offset:1480 ; 4-byte Folded Spill
	s_nop 0
	buffer_store_dword v70, off, s[20:23], 0 offset:1484 ; 4-byte Folded Spill
	buffer_store_dword v71, off, s[20:23], 0 offset:1488 ; 4-byte Folded Spill
	;; [unrolled: 1-line block ×3, first 2 shown]
	s_and_saveexec_b64 s[2:3], vcc
	s_cbranch_execz .LBB99_379
; %bb.378:
	buffer_load_dword v69, off, s[20:23], 0 offset:1480 ; 4-byte Folded Reload
	buffer_load_dword v70, off, s[20:23], 0 offset:1484 ; 4-byte Folded Reload
	;; [unrolled: 1-line block ×4, first 2 shown]
	ds_read2_b64 v[99:102], v125 offset0:84 offset1:85
	s_waitcnt vmcnt(2)
	v_mul_f64 v[97:98], v[69:70], v[31:32]
	s_waitcnt vmcnt(0)
	v_mul_f64 v[31:32], v[71:72], v[31:32]
	v_fma_f64 v[97:98], v[71:72], v[29:30], v[97:98]
	v_fma_f64 v[29:30], v[69:70], v[29:30], -v[31:32]
	s_waitcnt lgkmcnt(0)
	v_mul_f64 v[31:32], v[101:102], v[97:98]
	v_fma_f64 v[31:32], v[99:100], v[29:30], -v[31:32]
	v_mul_f64 v[99:100], v[99:100], v[97:98]
	v_add_f64 v[25:26], v[25:26], -v[31:32]
	v_fma_f64 v[99:100], v[101:102], v[29:30], v[99:100]
	v_add_f64 v[27:28], v[27:28], -v[99:100]
	ds_read2_b64 v[99:102], v125 offset0:86 offset1:87
	s_waitcnt lgkmcnt(0)
	v_mul_f64 v[31:32], v[101:102], v[97:98]
	v_fma_f64 v[31:32], v[99:100], v[29:30], -v[31:32]
	v_mul_f64 v[99:100], v[99:100], v[97:98]
	v_add_f64 v[21:22], v[21:22], -v[31:32]
	v_fma_f64 v[99:100], v[101:102], v[29:30], v[99:100]
	v_add_f64 v[23:24], v[23:24], -v[99:100]
	ds_read2_b64 v[99:102], v125 offset0:88 offset1:89
	;; [unrolled: 8-line block ×7, first 2 shown]
	s_waitcnt lgkmcnt(0)
	v_mul_f64 v[31:32], v[101:102], v[97:98]
	v_fma_f64 v[31:32], v[99:100], v[29:30], -v[31:32]
	v_mul_f64 v[99:100], v[99:100], v[97:98]
	v_add_f64 v[73:74], v[73:74], -v[31:32]
	v_fma_f64 v[99:100], v[101:102], v[29:30], v[99:100]
	v_mov_b32_e32 v31, v97
	v_mov_b32_e32 v32, v98
	v_add_f64 v[75:76], v[75:76], -v[99:100]
.LBB99_379:
	s_or_b64 exec, exec, s[2:3]
	v_cmp_eq_u32_e32 vcc, 42, v0
	s_waitcnt vmcnt(0)
	s_barrier
	s_and_saveexec_b64 s[4:5], vcc
	s_cbranch_execz .LBB99_386
; %bb.380:
	ds_write2_b64 v127, v[25:26], v[27:28] offset1:1
	ds_write2_b64 v125, v[21:22], v[23:24] offset0:86 offset1:87
	ds_write2_b64 v125, v[17:18], v[19:20] offset0:88 offset1:89
	;; [unrolled: 1-line block ×7, first 2 shown]
	ds_read2_b64 v[97:100], v127 offset1:1
	s_waitcnt lgkmcnt(0)
	v_cmp_neq_f64_e32 vcc, 0, v[97:98]
	v_cmp_neq_f64_e64 s[2:3], 0, v[99:100]
	s_or_b64 s[2:3], vcc, s[2:3]
	s_and_b64 exec, exec, s[2:3]
	s_cbranch_execz .LBB99_386
; %bb.381:
	v_cmp_ngt_f64_e64 s[2:3], |v[97:98]|, |v[99:100]|
                                        ; implicit-def: $vgpr101_vgpr102
	s_and_saveexec_b64 s[6:7], s[2:3]
	s_xor_b64 s[2:3], exec, s[6:7]
                                        ; implicit-def: $vgpr103_vgpr104
	s_cbranch_execz .LBB99_383
; %bb.382:
	v_div_scale_f64 v[101:102], s[6:7], v[99:100], v[99:100], v[97:98]
	v_rcp_f64_e32 v[103:104], v[101:102]
	v_fma_f64 v[105:106], -v[101:102], v[103:104], 1.0
	v_fma_f64 v[103:104], v[103:104], v[105:106], v[103:104]
	v_div_scale_f64 v[105:106], vcc, v[97:98], v[99:100], v[97:98]
	v_fma_f64 v[107:108], -v[101:102], v[103:104], 1.0
	v_fma_f64 v[103:104], v[103:104], v[107:108], v[103:104]
	v_mul_f64 v[107:108], v[105:106], v[103:104]
	v_fma_f64 v[101:102], -v[101:102], v[107:108], v[105:106]
	v_div_fmas_f64 v[101:102], v[101:102], v[103:104], v[107:108]
	v_div_fixup_f64 v[101:102], v[101:102], v[99:100], v[97:98]
	v_fma_f64 v[97:98], v[97:98], v[101:102], v[99:100]
	v_div_scale_f64 v[99:100], s[6:7], v[97:98], v[97:98], 1.0
	v_div_scale_f64 v[107:108], vcc, 1.0, v[97:98], 1.0
	v_rcp_f64_e32 v[103:104], v[99:100]
	v_fma_f64 v[105:106], -v[99:100], v[103:104], 1.0
	v_fma_f64 v[103:104], v[103:104], v[105:106], v[103:104]
	v_fma_f64 v[105:106], -v[99:100], v[103:104], 1.0
	v_fma_f64 v[103:104], v[103:104], v[105:106], v[103:104]
	v_mul_f64 v[105:106], v[107:108], v[103:104]
	v_fma_f64 v[99:100], -v[99:100], v[105:106], v[107:108]
	v_div_fmas_f64 v[99:100], v[99:100], v[103:104], v[105:106]
	v_div_fixup_f64 v[103:104], v[99:100], v[97:98], 1.0
                                        ; implicit-def: $vgpr97_vgpr98
	v_mul_f64 v[101:102], v[101:102], v[103:104]
	v_xor_b32_e32 v104, 0x80000000, v104
.LBB99_383:
	s_andn2_saveexec_b64 s[2:3], s[2:3]
	s_cbranch_execz .LBB99_385
; %bb.384:
	v_div_scale_f64 v[101:102], s[6:7], v[97:98], v[97:98], v[99:100]
	v_rcp_f64_e32 v[103:104], v[101:102]
	v_fma_f64 v[105:106], -v[101:102], v[103:104], 1.0
	v_fma_f64 v[103:104], v[103:104], v[105:106], v[103:104]
	v_div_scale_f64 v[105:106], vcc, v[99:100], v[97:98], v[99:100]
	v_fma_f64 v[107:108], -v[101:102], v[103:104], 1.0
	v_fma_f64 v[103:104], v[103:104], v[107:108], v[103:104]
	v_mul_f64 v[107:108], v[105:106], v[103:104]
	v_fma_f64 v[101:102], -v[101:102], v[107:108], v[105:106]
	v_div_fmas_f64 v[101:102], v[101:102], v[103:104], v[107:108]
	v_div_fixup_f64 v[103:104], v[101:102], v[97:98], v[99:100]
	v_fma_f64 v[97:98], v[99:100], v[103:104], v[97:98]
	v_div_scale_f64 v[99:100], s[6:7], v[97:98], v[97:98], 1.0
	v_div_scale_f64 v[107:108], vcc, 1.0, v[97:98], 1.0
	v_rcp_f64_e32 v[101:102], v[99:100]
	v_fma_f64 v[105:106], -v[99:100], v[101:102], 1.0
	v_fma_f64 v[101:102], v[101:102], v[105:106], v[101:102]
	v_fma_f64 v[105:106], -v[99:100], v[101:102], 1.0
	v_fma_f64 v[101:102], v[101:102], v[105:106], v[101:102]
	v_mul_f64 v[105:106], v[107:108], v[101:102]
	v_fma_f64 v[99:100], -v[99:100], v[105:106], v[107:108]
	v_div_fmas_f64 v[99:100], v[99:100], v[101:102], v[105:106]
	v_div_fixup_f64 v[101:102], v[99:100], v[97:98], 1.0
	v_mul_f64 v[103:104], v[103:104], -v[101:102]
.LBB99_385:
	s_or_b64 exec, exec, s[2:3]
	ds_write2_b64 v127, v[101:102], v[103:104] offset1:1
.LBB99_386:
	s_or_b64 exec, exec, s[4:5]
	s_waitcnt lgkmcnt(0)
	s_barrier
	ds_read2_b64 v[69:72], v127 offset1:1
	v_cmp_lt_u32_e32 vcc, 42, v0
	s_waitcnt lgkmcnt(0)
	buffer_store_dword v69, off, s[20:23], 0 offset:1496 ; 4-byte Folded Spill
	s_nop 0
	buffer_store_dword v70, off, s[20:23], 0 offset:1500 ; 4-byte Folded Spill
	buffer_store_dword v71, off, s[20:23], 0 offset:1504 ; 4-byte Folded Spill
	;; [unrolled: 1-line block ×3, first 2 shown]
	s_and_saveexec_b64 s[2:3], vcc
	s_cbranch_execz .LBB99_388
; %bb.387:
	buffer_load_dword v69, off, s[20:23], 0 offset:1496 ; 4-byte Folded Reload
	buffer_load_dword v70, off, s[20:23], 0 offset:1500 ; 4-byte Folded Reload
	;; [unrolled: 1-line block ×4, first 2 shown]
	ds_read2_b64 v[99:102], v125 offset0:86 offset1:87
	s_waitcnt vmcnt(2)
	v_mul_f64 v[97:98], v[69:70], v[27:28]
	s_waitcnt vmcnt(0)
	v_mul_f64 v[27:28], v[71:72], v[27:28]
	v_fma_f64 v[97:98], v[71:72], v[25:26], v[97:98]
	v_fma_f64 v[25:26], v[69:70], v[25:26], -v[27:28]
	s_waitcnt lgkmcnt(0)
	v_mul_f64 v[27:28], v[101:102], v[97:98]
	v_fma_f64 v[27:28], v[99:100], v[25:26], -v[27:28]
	v_mul_f64 v[99:100], v[99:100], v[97:98]
	v_add_f64 v[21:22], v[21:22], -v[27:28]
	v_fma_f64 v[99:100], v[101:102], v[25:26], v[99:100]
	v_add_f64 v[23:24], v[23:24], -v[99:100]
	ds_read2_b64 v[99:102], v125 offset0:88 offset1:89
	s_waitcnt lgkmcnt(0)
	v_mul_f64 v[27:28], v[101:102], v[97:98]
	v_fma_f64 v[27:28], v[99:100], v[25:26], -v[27:28]
	v_mul_f64 v[99:100], v[99:100], v[97:98]
	v_add_f64 v[17:18], v[17:18], -v[27:28]
	v_fma_f64 v[99:100], v[101:102], v[25:26], v[99:100]
	v_add_f64 v[19:20], v[19:20], -v[99:100]
	ds_read2_b64 v[99:102], v125 offset0:90 offset1:91
	;; [unrolled: 8-line block ×6, first 2 shown]
	s_waitcnt lgkmcnt(0)
	v_mul_f64 v[27:28], v[101:102], v[97:98]
	v_fma_f64 v[27:28], v[99:100], v[25:26], -v[27:28]
	v_mul_f64 v[99:100], v[99:100], v[97:98]
	v_add_f64 v[73:74], v[73:74], -v[27:28]
	v_fma_f64 v[99:100], v[101:102], v[25:26], v[99:100]
	v_mov_b32_e32 v27, v97
	v_mov_b32_e32 v28, v98
	v_add_f64 v[75:76], v[75:76], -v[99:100]
.LBB99_388:
	s_or_b64 exec, exec, s[2:3]
	v_cmp_eq_u32_e32 vcc, 43, v0
	s_waitcnt vmcnt(0)
	s_barrier
	s_and_saveexec_b64 s[4:5], vcc
	s_cbranch_execz .LBB99_395
; %bb.389:
	ds_write2_b64 v127, v[21:22], v[23:24] offset1:1
	ds_write2_b64 v125, v[17:18], v[19:20] offset0:88 offset1:89
	ds_write2_b64 v125, v[13:14], v[15:16] offset0:90 offset1:91
	;; [unrolled: 1-line block ×6, first 2 shown]
	ds_read2_b64 v[97:100], v127 offset1:1
	s_waitcnt lgkmcnt(0)
	v_cmp_neq_f64_e32 vcc, 0, v[97:98]
	v_cmp_neq_f64_e64 s[2:3], 0, v[99:100]
	s_or_b64 s[2:3], vcc, s[2:3]
	s_and_b64 exec, exec, s[2:3]
	s_cbranch_execz .LBB99_395
; %bb.390:
	v_cmp_ngt_f64_e64 s[2:3], |v[97:98]|, |v[99:100]|
                                        ; implicit-def: $vgpr101_vgpr102
	s_and_saveexec_b64 s[6:7], s[2:3]
	s_xor_b64 s[2:3], exec, s[6:7]
                                        ; implicit-def: $vgpr103_vgpr104
	s_cbranch_execz .LBB99_392
; %bb.391:
	v_div_scale_f64 v[101:102], s[6:7], v[99:100], v[99:100], v[97:98]
	v_rcp_f64_e32 v[103:104], v[101:102]
	v_fma_f64 v[105:106], -v[101:102], v[103:104], 1.0
	v_fma_f64 v[103:104], v[103:104], v[105:106], v[103:104]
	v_div_scale_f64 v[105:106], vcc, v[97:98], v[99:100], v[97:98]
	v_fma_f64 v[107:108], -v[101:102], v[103:104], 1.0
	v_fma_f64 v[103:104], v[103:104], v[107:108], v[103:104]
	v_mul_f64 v[107:108], v[105:106], v[103:104]
	v_fma_f64 v[101:102], -v[101:102], v[107:108], v[105:106]
	v_div_fmas_f64 v[101:102], v[101:102], v[103:104], v[107:108]
	v_div_fixup_f64 v[101:102], v[101:102], v[99:100], v[97:98]
	v_fma_f64 v[97:98], v[97:98], v[101:102], v[99:100]
	v_div_scale_f64 v[99:100], s[6:7], v[97:98], v[97:98], 1.0
	v_div_scale_f64 v[107:108], vcc, 1.0, v[97:98], 1.0
	v_rcp_f64_e32 v[103:104], v[99:100]
	v_fma_f64 v[105:106], -v[99:100], v[103:104], 1.0
	v_fma_f64 v[103:104], v[103:104], v[105:106], v[103:104]
	v_fma_f64 v[105:106], -v[99:100], v[103:104], 1.0
	v_fma_f64 v[103:104], v[103:104], v[105:106], v[103:104]
	v_mul_f64 v[105:106], v[107:108], v[103:104]
	v_fma_f64 v[99:100], -v[99:100], v[105:106], v[107:108]
	v_div_fmas_f64 v[99:100], v[99:100], v[103:104], v[105:106]
	v_div_fixup_f64 v[103:104], v[99:100], v[97:98], 1.0
                                        ; implicit-def: $vgpr97_vgpr98
	v_mul_f64 v[101:102], v[101:102], v[103:104]
	v_xor_b32_e32 v104, 0x80000000, v104
.LBB99_392:
	s_andn2_saveexec_b64 s[2:3], s[2:3]
	s_cbranch_execz .LBB99_394
; %bb.393:
	v_div_scale_f64 v[101:102], s[6:7], v[97:98], v[97:98], v[99:100]
	v_rcp_f64_e32 v[103:104], v[101:102]
	v_fma_f64 v[105:106], -v[101:102], v[103:104], 1.0
	v_fma_f64 v[103:104], v[103:104], v[105:106], v[103:104]
	v_div_scale_f64 v[105:106], vcc, v[99:100], v[97:98], v[99:100]
	v_fma_f64 v[107:108], -v[101:102], v[103:104], 1.0
	v_fma_f64 v[103:104], v[103:104], v[107:108], v[103:104]
	v_mul_f64 v[107:108], v[105:106], v[103:104]
	v_fma_f64 v[101:102], -v[101:102], v[107:108], v[105:106]
	v_div_fmas_f64 v[101:102], v[101:102], v[103:104], v[107:108]
	v_div_fixup_f64 v[103:104], v[101:102], v[97:98], v[99:100]
	v_fma_f64 v[97:98], v[99:100], v[103:104], v[97:98]
	v_div_scale_f64 v[99:100], s[6:7], v[97:98], v[97:98], 1.0
	v_div_scale_f64 v[107:108], vcc, 1.0, v[97:98], 1.0
	v_rcp_f64_e32 v[101:102], v[99:100]
	v_fma_f64 v[105:106], -v[99:100], v[101:102], 1.0
	v_fma_f64 v[101:102], v[101:102], v[105:106], v[101:102]
	v_fma_f64 v[105:106], -v[99:100], v[101:102], 1.0
	v_fma_f64 v[101:102], v[101:102], v[105:106], v[101:102]
	v_mul_f64 v[105:106], v[107:108], v[101:102]
	v_fma_f64 v[99:100], -v[99:100], v[105:106], v[107:108]
	v_div_fmas_f64 v[99:100], v[99:100], v[101:102], v[105:106]
	v_div_fixup_f64 v[101:102], v[99:100], v[97:98], 1.0
	v_mul_f64 v[103:104], v[103:104], -v[101:102]
.LBB99_394:
	s_or_b64 exec, exec, s[2:3]
	ds_write2_b64 v127, v[101:102], v[103:104] offset1:1
.LBB99_395:
	s_or_b64 exec, exec, s[4:5]
	s_waitcnt lgkmcnt(0)
	s_barrier
	ds_read2_b64 v[69:72], v127 offset1:1
	v_cmp_lt_u32_e32 vcc, 43, v0
	s_waitcnt lgkmcnt(0)
	buffer_store_dword v69, off, s[20:23], 0 offset:1512 ; 4-byte Folded Spill
	s_nop 0
	buffer_store_dword v70, off, s[20:23], 0 offset:1516 ; 4-byte Folded Spill
	buffer_store_dword v71, off, s[20:23], 0 offset:1520 ; 4-byte Folded Spill
	;; [unrolled: 1-line block ×3, first 2 shown]
	s_and_saveexec_b64 s[2:3], vcc
	s_cbranch_execz .LBB99_397
; %bb.396:
	buffer_load_dword v69, off, s[20:23], 0 offset:1512 ; 4-byte Folded Reload
	buffer_load_dword v70, off, s[20:23], 0 offset:1516 ; 4-byte Folded Reload
	buffer_load_dword v71, off, s[20:23], 0 offset:1520 ; 4-byte Folded Reload
	buffer_load_dword v72, off, s[20:23], 0 offset:1524 ; 4-byte Folded Reload
	ds_read2_b64 v[99:102], v125 offset0:88 offset1:89
	s_waitcnt vmcnt(2)
	v_mul_f64 v[97:98], v[69:70], v[23:24]
	s_waitcnt vmcnt(0)
	v_mul_f64 v[23:24], v[71:72], v[23:24]
	v_fma_f64 v[97:98], v[71:72], v[21:22], v[97:98]
	v_fma_f64 v[21:22], v[69:70], v[21:22], -v[23:24]
	s_waitcnt lgkmcnt(0)
	v_mul_f64 v[23:24], v[101:102], v[97:98]
	v_fma_f64 v[23:24], v[99:100], v[21:22], -v[23:24]
	v_mul_f64 v[99:100], v[99:100], v[97:98]
	v_add_f64 v[17:18], v[17:18], -v[23:24]
	v_fma_f64 v[99:100], v[101:102], v[21:22], v[99:100]
	v_add_f64 v[19:20], v[19:20], -v[99:100]
	ds_read2_b64 v[99:102], v125 offset0:90 offset1:91
	s_waitcnt lgkmcnt(0)
	v_mul_f64 v[23:24], v[101:102], v[97:98]
	v_fma_f64 v[23:24], v[99:100], v[21:22], -v[23:24]
	v_mul_f64 v[99:100], v[99:100], v[97:98]
	v_add_f64 v[13:14], v[13:14], -v[23:24]
	v_fma_f64 v[99:100], v[101:102], v[21:22], v[99:100]
	v_add_f64 v[15:16], v[15:16], -v[99:100]
	ds_read2_b64 v[99:102], v125 offset0:92 offset1:93
	;; [unrolled: 8-line block ×5, first 2 shown]
	s_waitcnt lgkmcnt(0)
	v_mul_f64 v[23:24], v[101:102], v[97:98]
	v_fma_f64 v[23:24], v[99:100], v[21:22], -v[23:24]
	v_mul_f64 v[99:100], v[99:100], v[97:98]
	v_add_f64 v[73:74], v[73:74], -v[23:24]
	v_fma_f64 v[99:100], v[101:102], v[21:22], v[99:100]
	v_mov_b32_e32 v23, v97
	v_mov_b32_e32 v24, v98
	v_add_f64 v[75:76], v[75:76], -v[99:100]
.LBB99_397:
	s_or_b64 exec, exec, s[2:3]
	v_cmp_eq_u32_e32 vcc, 44, v0
	s_waitcnt vmcnt(0)
	s_barrier
	s_and_saveexec_b64 s[4:5], vcc
	s_cbranch_execz .LBB99_404
; %bb.398:
	ds_write2_b64 v127, v[17:18], v[19:20] offset1:1
	ds_write2_b64 v125, v[13:14], v[15:16] offset0:90 offset1:91
	ds_write2_b64 v125, v[9:10], v[11:12] offset0:92 offset1:93
	;; [unrolled: 1-line block ×5, first 2 shown]
	ds_read2_b64 v[97:100], v127 offset1:1
	s_waitcnt lgkmcnt(0)
	v_cmp_neq_f64_e32 vcc, 0, v[97:98]
	v_cmp_neq_f64_e64 s[2:3], 0, v[99:100]
	s_or_b64 s[2:3], vcc, s[2:3]
	s_and_b64 exec, exec, s[2:3]
	s_cbranch_execz .LBB99_404
; %bb.399:
	v_cmp_ngt_f64_e64 s[2:3], |v[97:98]|, |v[99:100]|
                                        ; implicit-def: $vgpr101_vgpr102
	s_and_saveexec_b64 s[6:7], s[2:3]
	s_xor_b64 s[2:3], exec, s[6:7]
                                        ; implicit-def: $vgpr103_vgpr104
	s_cbranch_execz .LBB99_401
; %bb.400:
	v_div_scale_f64 v[101:102], s[6:7], v[99:100], v[99:100], v[97:98]
	v_rcp_f64_e32 v[103:104], v[101:102]
	v_fma_f64 v[105:106], -v[101:102], v[103:104], 1.0
	v_fma_f64 v[103:104], v[103:104], v[105:106], v[103:104]
	v_div_scale_f64 v[105:106], vcc, v[97:98], v[99:100], v[97:98]
	v_fma_f64 v[107:108], -v[101:102], v[103:104], 1.0
	v_fma_f64 v[103:104], v[103:104], v[107:108], v[103:104]
	v_mul_f64 v[107:108], v[105:106], v[103:104]
	v_fma_f64 v[101:102], -v[101:102], v[107:108], v[105:106]
	v_div_fmas_f64 v[101:102], v[101:102], v[103:104], v[107:108]
	v_div_fixup_f64 v[101:102], v[101:102], v[99:100], v[97:98]
	v_fma_f64 v[97:98], v[97:98], v[101:102], v[99:100]
	v_div_scale_f64 v[99:100], s[6:7], v[97:98], v[97:98], 1.0
	v_div_scale_f64 v[107:108], vcc, 1.0, v[97:98], 1.0
	v_rcp_f64_e32 v[103:104], v[99:100]
	v_fma_f64 v[105:106], -v[99:100], v[103:104], 1.0
	v_fma_f64 v[103:104], v[103:104], v[105:106], v[103:104]
	v_fma_f64 v[105:106], -v[99:100], v[103:104], 1.0
	v_fma_f64 v[103:104], v[103:104], v[105:106], v[103:104]
	v_mul_f64 v[105:106], v[107:108], v[103:104]
	v_fma_f64 v[99:100], -v[99:100], v[105:106], v[107:108]
	v_div_fmas_f64 v[99:100], v[99:100], v[103:104], v[105:106]
	v_div_fixup_f64 v[103:104], v[99:100], v[97:98], 1.0
                                        ; implicit-def: $vgpr97_vgpr98
	v_mul_f64 v[101:102], v[101:102], v[103:104]
	v_xor_b32_e32 v104, 0x80000000, v104
.LBB99_401:
	s_andn2_saveexec_b64 s[2:3], s[2:3]
	s_cbranch_execz .LBB99_403
; %bb.402:
	v_div_scale_f64 v[101:102], s[6:7], v[97:98], v[97:98], v[99:100]
	v_rcp_f64_e32 v[103:104], v[101:102]
	v_fma_f64 v[105:106], -v[101:102], v[103:104], 1.0
	v_fma_f64 v[103:104], v[103:104], v[105:106], v[103:104]
	v_div_scale_f64 v[105:106], vcc, v[99:100], v[97:98], v[99:100]
	v_fma_f64 v[107:108], -v[101:102], v[103:104], 1.0
	v_fma_f64 v[103:104], v[103:104], v[107:108], v[103:104]
	v_mul_f64 v[107:108], v[105:106], v[103:104]
	v_fma_f64 v[101:102], -v[101:102], v[107:108], v[105:106]
	v_div_fmas_f64 v[101:102], v[101:102], v[103:104], v[107:108]
	v_div_fixup_f64 v[103:104], v[101:102], v[97:98], v[99:100]
	v_fma_f64 v[97:98], v[99:100], v[103:104], v[97:98]
	v_div_scale_f64 v[99:100], s[6:7], v[97:98], v[97:98], 1.0
	v_div_scale_f64 v[107:108], vcc, 1.0, v[97:98], 1.0
	v_rcp_f64_e32 v[101:102], v[99:100]
	v_fma_f64 v[105:106], -v[99:100], v[101:102], 1.0
	v_fma_f64 v[101:102], v[101:102], v[105:106], v[101:102]
	v_fma_f64 v[105:106], -v[99:100], v[101:102], 1.0
	v_fma_f64 v[101:102], v[101:102], v[105:106], v[101:102]
	v_mul_f64 v[105:106], v[107:108], v[101:102]
	v_fma_f64 v[99:100], -v[99:100], v[105:106], v[107:108]
	v_div_fmas_f64 v[99:100], v[99:100], v[101:102], v[105:106]
	v_div_fixup_f64 v[101:102], v[99:100], v[97:98], 1.0
	v_mul_f64 v[103:104], v[103:104], -v[101:102]
.LBB99_403:
	s_or_b64 exec, exec, s[2:3]
	ds_write2_b64 v127, v[101:102], v[103:104] offset1:1
.LBB99_404:
	s_or_b64 exec, exec, s[4:5]
	s_waitcnt lgkmcnt(0)
	s_barrier
	ds_read2_b64 v[69:72], v127 offset1:1
	v_cmp_lt_u32_e32 vcc, 44, v0
	s_waitcnt lgkmcnt(0)
	buffer_store_dword v69, off, s[20:23], 0 offset:1528 ; 4-byte Folded Spill
	s_nop 0
	buffer_store_dword v70, off, s[20:23], 0 offset:1532 ; 4-byte Folded Spill
	buffer_store_dword v71, off, s[20:23], 0 offset:1536 ; 4-byte Folded Spill
	;; [unrolled: 1-line block ×3, first 2 shown]
	s_and_saveexec_b64 s[2:3], vcc
	s_cbranch_execz .LBB99_406
; %bb.405:
	buffer_load_dword v69, off, s[20:23], 0 offset:1528 ; 4-byte Folded Reload
	buffer_load_dword v70, off, s[20:23], 0 offset:1532 ; 4-byte Folded Reload
	;; [unrolled: 1-line block ×4, first 2 shown]
	s_waitcnt vmcnt(2)
	v_mul_f64 v[97:98], v[69:70], v[19:20]
	s_waitcnt vmcnt(0)
	v_mul_f64 v[19:20], v[71:72], v[19:20]
	v_fma_f64 v[101:102], v[71:72], v[17:18], v[97:98]
	ds_read2_b64 v[97:100], v125 offset0:90 offset1:91
	v_fma_f64 v[17:18], v[69:70], v[17:18], -v[19:20]
	s_waitcnt lgkmcnt(0)
	v_mul_f64 v[19:20], v[99:100], v[101:102]
	v_fma_f64 v[19:20], v[97:98], v[17:18], -v[19:20]
	v_mul_f64 v[97:98], v[97:98], v[101:102]
	v_add_f64 v[13:14], v[13:14], -v[19:20]
	v_fma_f64 v[97:98], v[99:100], v[17:18], v[97:98]
	v_add_f64 v[15:16], v[15:16], -v[97:98]
	ds_read2_b64 v[97:100], v125 offset0:92 offset1:93
	s_waitcnt lgkmcnt(0)
	v_mul_f64 v[19:20], v[99:100], v[101:102]
	v_fma_f64 v[19:20], v[97:98], v[17:18], -v[19:20]
	v_mul_f64 v[97:98], v[97:98], v[101:102]
	v_add_f64 v[9:10], v[9:10], -v[19:20]
	v_fma_f64 v[97:98], v[99:100], v[17:18], v[97:98]
	v_add_f64 v[11:12], v[11:12], -v[97:98]
	ds_read2_b64 v[97:100], v125 offset0:94 offset1:95
	;; [unrolled: 8-line block ×4, first 2 shown]
	s_waitcnt lgkmcnt(0)
	v_mul_f64 v[19:20], v[99:100], v[101:102]
	v_fma_f64 v[19:20], v[97:98], v[17:18], -v[19:20]
	v_mul_f64 v[97:98], v[97:98], v[101:102]
	v_add_f64 v[73:74], v[73:74], -v[19:20]
	v_fma_f64 v[97:98], v[99:100], v[17:18], v[97:98]
	v_mov_b32_e32 v19, v101
	v_mov_b32_e32 v20, v102
	v_add_f64 v[75:76], v[75:76], -v[97:98]
.LBB99_406:
	s_or_b64 exec, exec, s[2:3]
	v_cmp_eq_u32_e32 vcc, 45, v0
	s_waitcnt vmcnt(0)
	s_barrier
	s_and_saveexec_b64 s[4:5], vcc
	s_cbranch_execz .LBB99_413
; %bb.407:
	ds_write2_b64 v127, v[13:14], v[15:16] offset1:1
	ds_write2_b64 v125, v[9:10], v[11:12] offset0:92 offset1:93
	ds_write2_b64 v125, v[5:6], v[7:8] offset0:94 offset1:95
	;; [unrolled: 1-line block ×4, first 2 shown]
	ds_read2_b64 v[97:100], v127 offset1:1
	s_waitcnt lgkmcnt(0)
	v_cmp_neq_f64_e32 vcc, 0, v[97:98]
	v_cmp_neq_f64_e64 s[2:3], 0, v[99:100]
	s_or_b64 s[2:3], vcc, s[2:3]
	s_and_b64 exec, exec, s[2:3]
	s_cbranch_execz .LBB99_413
; %bb.408:
	v_cmp_ngt_f64_e64 s[2:3], |v[97:98]|, |v[99:100]|
                                        ; implicit-def: $vgpr101_vgpr102
	s_and_saveexec_b64 s[6:7], s[2:3]
	s_xor_b64 s[2:3], exec, s[6:7]
                                        ; implicit-def: $vgpr103_vgpr104
	s_cbranch_execz .LBB99_410
; %bb.409:
	v_div_scale_f64 v[101:102], s[6:7], v[99:100], v[99:100], v[97:98]
	v_rcp_f64_e32 v[103:104], v[101:102]
	v_fma_f64 v[105:106], -v[101:102], v[103:104], 1.0
	v_fma_f64 v[103:104], v[103:104], v[105:106], v[103:104]
	v_div_scale_f64 v[105:106], vcc, v[97:98], v[99:100], v[97:98]
	v_fma_f64 v[107:108], -v[101:102], v[103:104], 1.0
	v_fma_f64 v[103:104], v[103:104], v[107:108], v[103:104]
	v_mul_f64 v[107:108], v[105:106], v[103:104]
	v_fma_f64 v[101:102], -v[101:102], v[107:108], v[105:106]
	v_div_fmas_f64 v[101:102], v[101:102], v[103:104], v[107:108]
	v_div_fixup_f64 v[101:102], v[101:102], v[99:100], v[97:98]
	v_fma_f64 v[97:98], v[97:98], v[101:102], v[99:100]
	v_div_scale_f64 v[99:100], s[6:7], v[97:98], v[97:98], 1.0
	v_div_scale_f64 v[107:108], vcc, 1.0, v[97:98], 1.0
	v_rcp_f64_e32 v[103:104], v[99:100]
	v_fma_f64 v[105:106], -v[99:100], v[103:104], 1.0
	v_fma_f64 v[103:104], v[103:104], v[105:106], v[103:104]
	v_fma_f64 v[105:106], -v[99:100], v[103:104], 1.0
	v_fma_f64 v[103:104], v[103:104], v[105:106], v[103:104]
	v_mul_f64 v[105:106], v[107:108], v[103:104]
	v_fma_f64 v[99:100], -v[99:100], v[105:106], v[107:108]
	v_div_fmas_f64 v[99:100], v[99:100], v[103:104], v[105:106]
	v_div_fixup_f64 v[103:104], v[99:100], v[97:98], 1.0
                                        ; implicit-def: $vgpr97_vgpr98
	v_mul_f64 v[101:102], v[101:102], v[103:104]
	v_xor_b32_e32 v104, 0x80000000, v104
.LBB99_410:
	s_andn2_saveexec_b64 s[2:3], s[2:3]
	s_cbranch_execz .LBB99_412
; %bb.411:
	v_div_scale_f64 v[101:102], s[6:7], v[97:98], v[97:98], v[99:100]
	v_rcp_f64_e32 v[103:104], v[101:102]
	v_fma_f64 v[105:106], -v[101:102], v[103:104], 1.0
	v_fma_f64 v[103:104], v[103:104], v[105:106], v[103:104]
	v_div_scale_f64 v[105:106], vcc, v[99:100], v[97:98], v[99:100]
	v_fma_f64 v[107:108], -v[101:102], v[103:104], 1.0
	v_fma_f64 v[103:104], v[103:104], v[107:108], v[103:104]
	v_mul_f64 v[107:108], v[105:106], v[103:104]
	v_fma_f64 v[101:102], -v[101:102], v[107:108], v[105:106]
	v_div_fmas_f64 v[101:102], v[101:102], v[103:104], v[107:108]
	v_div_fixup_f64 v[103:104], v[101:102], v[97:98], v[99:100]
	v_fma_f64 v[97:98], v[99:100], v[103:104], v[97:98]
	v_div_scale_f64 v[99:100], s[6:7], v[97:98], v[97:98], 1.0
	v_div_scale_f64 v[107:108], vcc, 1.0, v[97:98], 1.0
	v_rcp_f64_e32 v[101:102], v[99:100]
	v_fma_f64 v[105:106], -v[99:100], v[101:102], 1.0
	v_fma_f64 v[101:102], v[101:102], v[105:106], v[101:102]
	v_fma_f64 v[105:106], -v[99:100], v[101:102], 1.0
	v_fma_f64 v[101:102], v[101:102], v[105:106], v[101:102]
	v_mul_f64 v[105:106], v[107:108], v[101:102]
	v_fma_f64 v[99:100], -v[99:100], v[105:106], v[107:108]
	v_div_fmas_f64 v[99:100], v[99:100], v[101:102], v[105:106]
	v_div_fixup_f64 v[101:102], v[99:100], v[97:98], 1.0
	v_mul_f64 v[103:104], v[103:104], -v[101:102]
.LBB99_412:
	s_or_b64 exec, exec, s[2:3]
	ds_write2_b64 v127, v[101:102], v[103:104] offset1:1
.LBB99_413:
	s_or_b64 exec, exec, s[4:5]
	s_waitcnt lgkmcnt(0)
	s_barrier
	ds_read2_b64 v[69:72], v127 offset1:1
	v_cmp_lt_u32_e32 vcc, 45, v0
	s_waitcnt lgkmcnt(0)
	buffer_store_dword v69, off, s[20:23], 0 offset:1544 ; 4-byte Folded Spill
	s_nop 0
	buffer_store_dword v70, off, s[20:23], 0 offset:1548 ; 4-byte Folded Spill
	buffer_store_dword v71, off, s[20:23], 0 offset:1552 ; 4-byte Folded Spill
	buffer_store_dword v72, off, s[20:23], 0 offset:1556 ; 4-byte Folded Spill
	s_and_saveexec_b64 s[2:3], vcc
	s_cbranch_execz .LBB99_415
; %bb.414:
	buffer_load_dword v69, off, s[20:23], 0 offset:1544 ; 4-byte Folded Reload
	buffer_load_dword v70, off, s[20:23], 0 offset:1548 ; 4-byte Folded Reload
	;; [unrolled: 1-line block ×4, first 2 shown]
	s_waitcnt vmcnt(2)
	v_mul_f64 v[97:98], v[69:70], v[15:16]
	s_waitcnt vmcnt(0)
	v_mul_f64 v[15:16], v[71:72], v[15:16]
	v_fma_f64 v[101:102], v[71:72], v[13:14], v[97:98]
	ds_read2_b64 v[97:100], v125 offset0:92 offset1:93
	v_fma_f64 v[13:14], v[69:70], v[13:14], -v[15:16]
	s_waitcnt lgkmcnt(0)
	v_mul_f64 v[15:16], v[99:100], v[101:102]
	v_fma_f64 v[15:16], v[97:98], v[13:14], -v[15:16]
	v_mul_f64 v[97:98], v[97:98], v[101:102]
	v_add_f64 v[9:10], v[9:10], -v[15:16]
	v_fma_f64 v[97:98], v[99:100], v[13:14], v[97:98]
	v_add_f64 v[11:12], v[11:12], -v[97:98]
	ds_read2_b64 v[97:100], v125 offset0:94 offset1:95
	s_waitcnt lgkmcnt(0)
	v_mul_f64 v[15:16], v[99:100], v[101:102]
	v_fma_f64 v[15:16], v[97:98], v[13:14], -v[15:16]
	v_mul_f64 v[97:98], v[97:98], v[101:102]
	v_add_f64 v[5:6], v[5:6], -v[15:16]
	v_fma_f64 v[97:98], v[99:100], v[13:14], v[97:98]
	v_add_f64 v[7:8], v[7:8], -v[97:98]
	ds_read2_b64 v[97:100], v125 offset0:96 offset1:97
	;; [unrolled: 8-line block ×3, first 2 shown]
	s_waitcnt lgkmcnt(0)
	v_mul_f64 v[15:16], v[99:100], v[101:102]
	v_fma_f64 v[15:16], v[97:98], v[13:14], -v[15:16]
	v_mul_f64 v[97:98], v[97:98], v[101:102]
	v_add_f64 v[73:74], v[73:74], -v[15:16]
	v_fma_f64 v[97:98], v[99:100], v[13:14], v[97:98]
	v_mov_b32_e32 v15, v101
	v_mov_b32_e32 v16, v102
	v_add_f64 v[75:76], v[75:76], -v[97:98]
.LBB99_415:
	s_or_b64 exec, exec, s[2:3]
	v_cmp_eq_u32_e32 vcc, 46, v0
	s_waitcnt vmcnt(0)
	s_barrier
	s_and_saveexec_b64 s[4:5], vcc
	s_cbranch_execz .LBB99_422
; %bb.416:
	ds_write2_b64 v127, v[9:10], v[11:12] offset1:1
	ds_write2_b64 v125, v[5:6], v[7:8] offset0:94 offset1:95
	ds_write2_b64 v125, v[1:2], v[3:4] offset0:96 offset1:97
	;; [unrolled: 1-line block ×3, first 2 shown]
	ds_read2_b64 v[97:100], v127 offset1:1
	s_waitcnt lgkmcnt(0)
	v_cmp_neq_f64_e32 vcc, 0, v[97:98]
	v_cmp_neq_f64_e64 s[2:3], 0, v[99:100]
	s_or_b64 s[2:3], vcc, s[2:3]
	s_and_b64 exec, exec, s[2:3]
	s_cbranch_execz .LBB99_422
; %bb.417:
	v_cmp_ngt_f64_e64 s[2:3], |v[97:98]|, |v[99:100]|
                                        ; implicit-def: $vgpr101_vgpr102
	s_and_saveexec_b64 s[6:7], s[2:3]
	s_xor_b64 s[2:3], exec, s[6:7]
                                        ; implicit-def: $vgpr103_vgpr104
	s_cbranch_execz .LBB99_419
; %bb.418:
	v_div_scale_f64 v[101:102], s[6:7], v[99:100], v[99:100], v[97:98]
	v_rcp_f64_e32 v[103:104], v[101:102]
	v_fma_f64 v[105:106], -v[101:102], v[103:104], 1.0
	v_fma_f64 v[103:104], v[103:104], v[105:106], v[103:104]
	v_div_scale_f64 v[105:106], vcc, v[97:98], v[99:100], v[97:98]
	v_fma_f64 v[107:108], -v[101:102], v[103:104], 1.0
	v_fma_f64 v[103:104], v[103:104], v[107:108], v[103:104]
	v_mul_f64 v[107:108], v[105:106], v[103:104]
	v_fma_f64 v[101:102], -v[101:102], v[107:108], v[105:106]
	v_div_fmas_f64 v[101:102], v[101:102], v[103:104], v[107:108]
	v_div_fixup_f64 v[101:102], v[101:102], v[99:100], v[97:98]
	v_fma_f64 v[97:98], v[97:98], v[101:102], v[99:100]
	v_div_scale_f64 v[99:100], s[6:7], v[97:98], v[97:98], 1.0
	v_div_scale_f64 v[107:108], vcc, 1.0, v[97:98], 1.0
	v_rcp_f64_e32 v[103:104], v[99:100]
	v_fma_f64 v[105:106], -v[99:100], v[103:104], 1.0
	v_fma_f64 v[103:104], v[103:104], v[105:106], v[103:104]
	v_fma_f64 v[105:106], -v[99:100], v[103:104], 1.0
	v_fma_f64 v[103:104], v[103:104], v[105:106], v[103:104]
	v_mul_f64 v[105:106], v[107:108], v[103:104]
	v_fma_f64 v[99:100], -v[99:100], v[105:106], v[107:108]
	v_div_fmas_f64 v[99:100], v[99:100], v[103:104], v[105:106]
	v_div_fixup_f64 v[103:104], v[99:100], v[97:98], 1.0
                                        ; implicit-def: $vgpr97_vgpr98
	v_mul_f64 v[101:102], v[101:102], v[103:104]
	v_xor_b32_e32 v104, 0x80000000, v104
.LBB99_419:
	s_andn2_saveexec_b64 s[2:3], s[2:3]
	s_cbranch_execz .LBB99_421
; %bb.420:
	v_div_scale_f64 v[101:102], s[6:7], v[97:98], v[97:98], v[99:100]
	v_rcp_f64_e32 v[103:104], v[101:102]
	v_fma_f64 v[105:106], -v[101:102], v[103:104], 1.0
	v_fma_f64 v[103:104], v[103:104], v[105:106], v[103:104]
	v_div_scale_f64 v[105:106], vcc, v[99:100], v[97:98], v[99:100]
	v_fma_f64 v[107:108], -v[101:102], v[103:104], 1.0
	v_fma_f64 v[103:104], v[103:104], v[107:108], v[103:104]
	v_mul_f64 v[107:108], v[105:106], v[103:104]
	v_fma_f64 v[101:102], -v[101:102], v[107:108], v[105:106]
	v_div_fmas_f64 v[101:102], v[101:102], v[103:104], v[107:108]
	v_div_fixup_f64 v[103:104], v[101:102], v[97:98], v[99:100]
	v_fma_f64 v[97:98], v[99:100], v[103:104], v[97:98]
	v_div_scale_f64 v[99:100], s[6:7], v[97:98], v[97:98], 1.0
	v_div_scale_f64 v[107:108], vcc, 1.0, v[97:98], 1.0
	v_rcp_f64_e32 v[101:102], v[99:100]
	v_fma_f64 v[105:106], -v[99:100], v[101:102], 1.0
	v_fma_f64 v[101:102], v[101:102], v[105:106], v[101:102]
	v_fma_f64 v[105:106], -v[99:100], v[101:102], 1.0
	v_fma_f64 v[101:102], v[101:102], v[105:106], v[101:102]
	v_mul_f64 v[105:106], v[107:108], v[101:102]
	v_fma_f64 v[99:100], -v[99:100], v[105:106], v[107:108]
	v_div_fmas_f64 v[99:100], v[99:100], v[101:102], v[105:106]
	v_div_fixup_f64 v[101:102], v[99:100], v[97:98], 1.0
	v_mul_f64 v[103:104], v[103:104], -v[101:102]
.LBB99_421:
	s_or_b64 exec, exec, s[2:3]
	ds_write2_b64 v127, v[101:102], v[103:104] offset1:1
.LBB99_422:
	s_or_b64 exec, exec, s[4:5]
	s_waitcnt lgkmcnt(0)
	s_barrier
	ds_read2_b64 v[69:72], v127 offset1:1
	v_cmp_lt_u32_e32 vcc, 46, v0
	s_waitcnt lgkmcnt(0)
	buffer_store_dword v69, off, s[20:23], 0 offset:1560 ; 4-byte Folded Spill
	s_nop 0
	buffer_store_dword v70, off, s[20:23], 0 offset:1564 ; 4-byte Folded Spill
	buffer_store_dword v71, off, s[20:23], 0 offset:1568 ; 4-byte Folded Spill
	;; [unrolled: 1-line block ×3, first 2 shown]
	s_and_saveexec_b64 s[2:3], vcc
	s_cbranch_execz .LBB99_424
; %bb.423:
	buffer_load_dword v69, off, s[20:23], 0 offset:1560 ; 4-byte Folded Reload
	buffer_load_dword v70, off, s[20:23], 0 offset:1564 ; 4-byte Folded Reload
	;; [unrolled: 1-line block ×4, first 2 shown]
	s_waitcnt vmcnt(2)
	v_mul_f64 v[97:98], v[69:70], v[11:12]
	s_waitcnt vmcnt(0)
	v_mul_f64 v[11:12], v[71:72], v[11:12]
	v_fma_f64 v[101:102], v[71:72], v[9:10], v[97:98]
	ds_read2_b64 v[97:100], v125 offset0:94 offset1:95
	v_fma_f64 v[9:10], v[69:70], v[9:10], -v[11:12]
	s_waitcnt lgkmcnt(0)
	v_mul_f64 v[11:12], v[99:100], v[101:102]
	v_fma_f64 v[11:12], v[97:98], v[9:10], -v[11:12]
	v_mul_f64 v[97:98], v[97:98], v[101:102]
	v_add_f64 v[5:6], v[5:6], -v[11:12]
	v_fma_f64 v[97:98], v[99:100], v[9:10], v[97:98]
	v_add_f64 v[7:8], v[7:8], -v[97:98]
	ds_read2_b64 v[97:100], v125 offset0:96 offset1:97
	s_waitcnt lgkmcnt(0)
	v_mul_f64 v[11:12], v[99:100], v[101:102]
	v_fma_f64 v[11:12], v[97:98], v[9:10], -v[11:12]
	v_mul_f64 v[97:98], v[97:98], v[101:102]
	v_add_f64 v[1:2], v[1:2], -v[11:12]
	v_fma_f64 v[97:98], v[99:100], v[9:10], v[97:98]
	v_add_f64 v[3:4], v[3:4], -v[97:98]
	ds_read2_b64 v[97:100], v125 offset0:98 offset1:99
	s_waitcnt lgkmcnt(0)
	v_mul_f64 v[11:12], v[99:100], v[101:102]
	v_fma_f64 v[11:12], v[97:98], v[9:10], -v[11:12]
	v_mul_f64 v[97:98], v[97:98], v[101:102]
	v_add_f64 v[73:74], v[73:74], -v[11:12]
	v_fma_f64 v[97:98], v[99:100], v[9:10], v[97:98]
	v_mov_b32_e32 v11, v101
	v_mov_b32_e32 v12, v102
	v_add_f64 v[75:76], v[75:76], -v[97:98]
.LBB99_424:
	s_or_b64 exec, exec, s[2:3]
	v_cmp_eq_u32_e32 vcc, 47, v0
	s_waitcnt vmcnt(0)
	s_barrier
	s_and_saveexec_b64 s[4:5], vcc
	s_cbranch_execz .LBB99_431
; %bb.425:
	ds_write2_b64 v127, v[5:6], v[7:8] offset1:1
	ds_write2_b64 v125, v[1:2], v[3:4] offset0:96 offset1:97
	ds_write2_b64 v125, v[73:74], v[75:76] offset0:98 offset1:99
	ds_read2_b64 v[97:100], v127 offset1:1
	s_waitcnt lgkmcnt(0)
	v_cmp_neq_f64_e32 vcc, 0, v[97:98]
	v_cmp_neq_f64_e64 s[2:3], 0, v[99:100]
	s_or_b64 s[2:3], vcc, s[2:3]
	s_and_b64 exec, exec, s[2:3]
	s_cbranch_execz .LBB99_431
; %bb.426:
	v_cmp_ngt_f64_e64 s[2:3], |v[97:98]|, |v[99:100]|
                                        ; implicit-def: $vgpr101_vgpr102
	s_and_saveexec_b64 s[6:7], s[2:3]
	s_xor_b64 s[2:3], exec, s[6:7]
                                        ; implicit-def: $vgpr103_vgpr104
	s_cbranch_execz .LBB99_428
; %bb.427:
	v_div_scale_f64 v[101:102], s[6:7], v[99:100], v[99:100], v[97:98]
	v_rcp_f64_e32 v[103:104], v[101:102]
	v_fma_f64 v[105:106], -v[101:102], v[103:104], 1.0
	v_fma_f64 v[103:104], v[103:104], v[105:106], v[103:104]
	v_div_scale_f64 v[105:106], vcc, v[97:98], v[99:100], v[97:98]
	v_fma_f64 v[107:108], -v[101:102], v[103:104], 1.0
	v_fma_f64 v[103:104], v[103:104], v[107:108], v[103:104]
	v_mul_f64 v[107:108], v[105:106], v[103:104]
	v_fma_f64 v[101:102], -v[101:102], v[107:108], v[105:106]
	v_div_fmas_f64 v[101:102], v[101:102], v[103:104], v[107:108]
	v_div_fixup_f64 v[101:102], v[101:102], v[99:100], v[97:98]
	v_fma_f64 v[97:98], v[97:98], v[101:102], v[99:100]
	v_div_scale_f64 v[99:100], s[6:7], v[97:98], v[97:98], 1.0
	v_div_scale_f64 v[107:108], vcc, 1.0, v[97:98], 1.0
	v_rcp_f64_e32 v[103:104], v[99:100]
	v_fma_f64 v[105:106], -v[99:100], v[103:104], 1.0
	v_fma_f64 v[103:104], v[103:104], v[105:106], v[103:104]
	v_fma_f64 v[105:106], -v[99:100], v[103:104], 1.0
	v_fma_f64 v[103:104], v[103:104], v[105:106], v[103:104]
	v_mul_f64 v[105:106], v[107:108], v[103:104]
	v_fma_f64 v[99:100], -v[99:100], v[105:106], v[107:108]
	v_div_fmas_f64 v[99:100], v[99:100], v[103:104], v[105:106]
	v_div_fixup_f64 v[103:104], v[99:100], v[97:98], 1.0
                                        ; implicit-def: $vgpr97_vgpr98
	v_mul_f64 v[101:102], v[101:102], v[103:104]
	v_xor_b32_e32 v104, 0x80000000, v104
.LBB99_428:
	s_andn2_saveexec_b64 s[2:3], s[2:3]
	s_cbranch_execz .LBB99_430
; %bb.429:
	v_div_scale_f64 v[101:102], s[6:7], v[97:98], v[97:98], v[99:100]
	v_rcp_f64_e32 v[103:104], v[101:102]
	v_fma_f64 v[105:106], -v[101:102], v[103:104], 1.0
	v_fma_f64 v[103:104], v[103:104], v[105:106], v[103:104]
	v_div_scale_f64 v[105:106], vcc, v[99:100], v[97:98], v[99:100]
	v_fma_f64 v[107:108], -v[101:102], v[103:104], 1.0
	v_fma_f64 v[103:104], v[103:104], v[107:108], v[103:104]
	v_mul_f64 v[107:108], v[105:106], v[103:104]
	v_fma_f64 v[101:102], -v[101:102], v[107:108], v[105:106]
	v_div_fmas_f64 v[101:102], v[101:102], v[103:104], v[107:108]
	v_div_fixup_f64 v[103:104], v[101:102], v[97:98], v[99:100]
	v_fma_f64 v[97:98], v[99:100], v[103:104], v[97:98]
	v_div_scale_f64 v[99:100], s[6:7], v[97:98], v[97:98], 1.0
	v_div_scale_f64 v[107:108], vcc, 1.0, v[97:98], 1.0
	v_rcp_f64_e32 v[101:102], v[99:100]
	v_fma_f64 v[105:106], -v[99:100], v[101:102], 1.0
	v_fma_f64 v[101:102], v[101:102], v[105:106], v[101:102]
	v_fma_f64 v[105:106], -v[99:100], v[101:102], 1.0
	v_fma_f64 v[101:102], v[101:102], v[105:106], v[101:102]
	v_mul_f64 v[105:106], v[107:108], v[101:102]
	v_fma_f64 v[99:100], -v[99:100], v[105:106], v[107:108]
	v_div_fmas_f64 v[99:100], v[99:100], v[101:102], v[105:106]
	v_div_fixup_f64 v[101:102], v[99:100], v[97:98], 1.0
	v_mul_f64 v[103:104], v[103:104], -v[101:102]
.LBB99_430:
	s_or_b64 exec, exec, s[2:3]
	ds_write2_b64 v127, v[101:102], v[103:104] offset1:1
.LBB99_431:
	s_or_b64 exec, exec, s[4:5]
	s_waitcnt lgkmcnt(0)
	s_barrier
	ds_read2_b64 v[69:72], v127 offset1:1
	v_cmp_lt_u32_e32 vcc, 47, v0
	s_and_saveexec_b64 s[2:3], vcc
	s_cbranch_execz .LBB99_433
; %bb.432:
	s_waitcnt lgkmcnt(0)
	v_mul_f64 v[97:98], v[69:70], v[7:8]
	v_mul_f64 v[7:8], v[71:72], v[7:8]
	v_fma_f64 v[105:106], v[71:72], v[5:6], v[97:98]
	ds_read2_b64 v[97:100], v125 offset0:96 offset1:97
	v_fma_f64 v[5:6], v[69:70], v[5:6], -v[7:8]
	s_waitcnt lgkmcnt(0)
	v_mul_f64 v[7:8], v[99:100], v[105:106]
	v_fma_f64 v[7:8], v[97:98], v[5:6], -v[7:8]
	v_mul_f64 v[97:98], v[97:98], v[105:106]
	v_add_f64 v[1:2], v[1:2], -v[7:8]
	v_fma_f64 v[97:98], v[99:100], v[5:6], v[97:98]
	v_add_f64 v[3:4], v[3:4], -v[97:98]
	ds_read2_b64 v[97:100], v125 offset0:98 offset1:99
	s_waitcnt lgkmcnt(0)
	v_mul_f64 v[7:8], v[99:100], v[105:106]
	v_fma_f64 v[7:8], v[97:98], v[5:6], -v[7:8]
	v_mul_f64 v[97:98], v[97:98], v[105:106]
	v_add_f64 v[73:74], v[73:74], -v[7:8]
	v_fma_f64 v[97:98], v[99:100], v[5:6], v[97:98]
	v_mov_b32_e32 v7, v105
	v_mov_b32_e32 v8, v106
	v_add_f64 v[75:76], v[75:76], -v[97:98]
.LBB99_433:
	s_or_b64 exec, exec, s[2:3]
	v_cmp_eq_u32_e32 vcc, 48, v0
	s_waitcnt lgkmcnt(0)
	s_barrier
	s_and_saveexec_b64 s[4:5], vcc
	s_cbranch_execz .LBB99_440
; %bb.434:
	ds_write2_b64 v127, v[1:2], v[3:4] offset1:1
	ds_write2_b64 v125, v[73:74], v[75:76] offset0:98 offset1:99
	ds_read2_b64 v[97:100], v127 offset1:1
	s_waitcnt lgkmcnt(0)
	v_cmp_neq_f64_e32 vcc, 0, v[97:98]
	v_cmp_neq_f64_e64 s[2:3], 0, v[99:100]
	s_or_b64 s[2:3], vcc, s[2:3]
	s_and_b64 exec, exec, s[2:3]
	s_cbranch_execz .LBB99_440
; %bb.435:
	v_cmp_ngt_f64_e64 s[2:3], |v[97:98]|, |v[99:100]|
                                        ; implicit-def: $vgpr105_vgpr106
	s_and_saveexec_b64 s[6:7], s[2:3]
	s_xor_b64 s[2:3], exec, s[6:7]
                                        ; implicit-def: $vgpr107_vgpr108
	s_cbranch_execz .LBB99_437
; %bb.436:
	v_div_scale_f64 v[105:106], s[6:7], v[99:100], v[99:100], v[97:98]
	v_mov_b32_e32 v77, v93
	v_mov_b32_e32 v78, v94
	;; [unrolled: 1-line block ×4, first 2 shown]
	v_div_scale_f64 v[95:96], vcc, v[97:98], v[99:100], v[97:98]
	v_rcp_f64_e32 v[107:108], v[105:106]
	v_fma_f64 v[93:94], -v[105:106], v[107:108], 1.0
	v_fma_f64 v[93:94], v[107:108], v[93:94], v[107:108]
	v_fma_f64 v[107:108], -v[105:106], v[93:94], 1.0
	v_fma_f64 v[93:94], v[93:94], v[107:108], v[93:94]
	v_mul_f64 v[107:108], v[95:96], v[93:94]
	v_fma_f64 v[95:96], -v[105:106], v[107:108], v[95:96]
	v_div_fmas_f64 v[93:94], v[95:96], v[93:94], v[107:108]
	v_div_fixup_f64 v[93:94], v[93:94], v[99:100], v[97:98]
	v_fma_f64 v[95:96], v[97:98], v[93:94], v[99:100]
	v_div_scale_f64 v[97:98], s[6:7], v[95:96], v[95:96], 1.0
	v_div_scale_f64 v[107:108], vcc, 1.0, v[95:96], 1.0
	v_rcp_f64_e32 v[99:100], v[97:98]
	v_fma_f64 v[105:106], -v[97:98], v[99:100], 1.0
	v_fma_f64 v[99:100], v[99:100], v[105:106], v[99:100]
	v_fma_f64 v[105:106], -v[97:98], v[99:100], 1.0
	v_fma_f64 v[99:100], v[99:100], v[105:106], v[99:100]
	v_mul_f64 v[105:106], v[107:108], v[99:100]
	v_fma_f64 v[97:98], -v[97:98], v[105:106], v[107:108]
	v_div_fmas_f64 v[97:98], v[97:98], v[99:100], v[105:106]
	v_div_fixup_f64 v[107:108], v[97:98], v[95:96], 1.0
                                        ; implicit-def: $vgpr97_vgpr98
	v_mul_f64 v[105:106], v[93:94], v[107:108]
	v_mov_b32_e32 v96, v80
	v_mov_b32_e32 v95, v79
	;; [unrolled: 1-line block ×4, first 2 shown]
	v_xor_b32_e32 v108, 0x80000000, v108
.LBB99_437:
	s_andn2_saveexec_b64 s[2:3], s[2:3]
	s_cbranch_execz .LBB99_439
; %bb.438:
	v_mov_b32_e32 v77, v117
	v_mov_b32_e32 v78, v118
	v_mov_b32_e32 v79, v119
	v_mov_b32_e32 v80, v120
	v_mov_b32_e32 v120, v96
	v_mov_b32_e32 v119, v95
	v_mov_b32_e32 v118, v94
	v_mov_b32_e32 v117, v93
	v_div_scale_f64 v[93:94], s[6:7], v[97:98], v[97:98], v[99:100]
	v_rcp_f64_e32 v[95:96], v[93:94]
	v_fma_f64 v[105:106], -v[93:94], v[95:96], 1.0
	v_fma_f64 v[95:96], v[95:96], v[105:106], v[95:96]
	v_div_scale_f64 v[105:106], vcc, v[99:100], v[97:98], v[99:100]
	v_fma_f64 v[107:108], -v[93:94], v[95:96], 1.0
	v_fma_f64 v[95:96], v[95:96], v[107:108], v[95:96]
	v_mul_f64 v[107:108], v[105:106], v[95:96]
	v_fma_f64 v[93:94], -v[93:94], v[107:108], v[105:106]
	v_div_fmas_f64 v[93:94], v[93:94], v[95:96], v[107:108]
	v_div_fixup_f64 v[93:94], v[93:94], v[97:98], v[99:100]
	v_fma_f64 v[95:96], v[99:100], v[93:94], v[97:98]
	v_div_scale_f64 v[97:98], s[6:7], v[95:96], v[95:96], 1.0
	v_div_scale_f64 v[107:108], vcc, 1.0, v[95:96], 1.0
	v_rcp_f64_e32 v[99:100], v[97:98]
	v_fma_f64 v[105:106], -v[97:98], v[99:100], 1.0
	v_fma_f64 v[99:100], v[99:100], v[105:106], v[99:100]
	v_fma_f64 v[105:106], -v[97:98], v[99:100], 1.0
	v_fma_f64 v[99:100], v[99:100], v[105:106], v[99:100]
	v_mul_f64 v[105:106], v[107:108], v[99:100]
	v_fma_f64 v[97:98], -v[97:98], v[105:106], v[107:108]
	v_div_fmas_f64 v[97:98], v[97:98], v[99:100], v[105:106]
	v_div_fixup_f64 v[105:106], v[97:98], v[95:96], 1.0
	v_mul_f64 v[107:108], v[93:94], -v[105:106]
	v_mov_b32_e32 v93, v117
	v_mov_b32_e32 v94, v118
	;; [unrolled: 1-line block ×8, first 2 shown]
.LBB99_439:
	s_or_b64 exec, exec, s[2:3]
	ds_write2_b64 v127, v[105:106], v[107:108] offset1:1
.LBB99_440:
	s_or_b64 exec, exec, s[4:5]
	s_waitcnt lgkmcnt(0)
	s_barrier
	ds_read2_b64 v[97:100], v127 offset1:1
	v_cmp_lt_u32_e32 vcc, 48, v0
	s_and_saveexec_b64 s[2:3], vcc
	s_cbranch_execz .LBB99_442
; %bb.441:
	v_mov_b32_e32 v77, v117
	v_mov_b32_e32 v78, v118
	;; [unrolled: 1-line block ×8, first 2 shown]
	s_waitcnt lgkmcnt(0)
	v_mul_f64 v[93:94], v[97:98], v[3:4]
	v_mul_f64 v[3:4], v[99:100], v[3:4]
	ds_read2_b64 v[105:108], v125 offset0:98 offset1:99
	v_fma_f64 v[93:94], v[99:100], v[1:2], v[93:94]
	v_fma_f64 v[1:2], v[97:98], v[1:2], -v[3:4]
	s_waitcnt lgkmcnt(0)
	v_mul_f64 v[3:4], v[107:108], v[93:94]
	v_mul_f64 v[95:96], v[105:106], v[93:94]
	v_fma_f64 v[3:4], v[105:106], v[1:2], -v[3:4]
	v_fma_f64 v[95:96], v[107:108], v[1:2], v[95:96]
	v_add_f64 v[73:74], v[73:74], -v[3:4]
	v_add_f64 v[75:76], v[75:76], -v[95:96]
	v_mov_b32_e32 v3, v93
	v_mov_b32_e32 v4, v94
	;; [unrolled: 1-line block ×10, first 2 shown]
.LBB99_442:
	s_or_b64 exec, exec, s[2:3]
	s_waitcnt lgkmcnt(0)
	s_barrier
	v_cmp_eq_u32_e32 vcc, 49, v0
	s_mov_b64 s[4:5], exec
	s_and_b64 s[2:3], s[4:5], vcc
	buffer_store_dword v73, off, s[20:23], 0 offset:432 ; 4-byte Folded Spill
	s_nop 0
	buffer_store_dword v74, off, s[20:23], 0 offset:436 ; 4-byte Folded Spill
	buffer_store_dword v75, off, s[20:23], 0 offset:440 ; 4-byte Folded Spill
	;; [unrolled: 1-line block ×3, first 2 shown]
	s_mov_b64 exec, s[2:3]
	s_cbranch_execz .LBB99_449
; %bb.443:
	v_cmp_neq_f64_e32 vcc, 0, v[73:74]
	v_cmp_neq_f64_e64 s[2:3], 0, v[75:76]
	ds_write2_b64 v127, v[73:74], v[75:76] offset1:1
	s_or_b64 s[2:3], vcc, s[2:3]
	s_and_b64 exec, exec, s[2:3]
	s_cbranch_execz .LBB99_449
; %bb.444:
	v_cmp_ngt_f64_e64 s[2:3], |v[73:74]|, |v[75:76]|
                                        ; implicit-def: $vgpr105_vgpr106
	s_and_saveexec_b64 s[6:7], s[2:3]
	s_xor_b64 s[2:3], exec, s[6:7]
                                        ; implicit-def: $vgpr107_vgpr108
	s_cbranch_execz .LBB99_446
; %bb.445:
	v_mov_b32_e32 v77, v93
	v_mov_b32_e32 v78, v94
	;; [unrolled: 1-line block ×4, first 2 shown]
	v_div_scale_f64 v[93:94], s[6:7], v[75:76], v[75:76], v[73:74]
	v_mov_b32_e32 v101, v117
	v_mov_b32_e32 v102, v118
	v_mov_b32_e32 v103, v119
	v_mov_b32_e32 v104, v120
	v_mov_b32_e32 v118, v92
	v_mov_b32_e32 v117, v91
	v_mov_b32_e32 v84, v82
	v_mov_b32_e32 v83, v81
	v_mov_b32_e32 v81, v83
	v_mov_b32_e32 v82, v84
	v_rcp_f64_e32 v[95:96], v[93:94]
	v_fma_f64 v[105:106], -v[93:94], v[95:96], 1.0
	v_fma_f64 v[95:96], v[95:96], v[105:106], v[95:96]
	v_div_scale_f64 v[105:106], vcc, v[73:74], v[75:76], v[73:74]
	v_fma_f64 v[107:108], -v[93:94], v[95:96], 1.0
	v_fma_f64 v[95:96], v[95:96], v[107:108], v[95:96]
	v_mul_f64 v[107:108], v[105:106], v[95:96]
	v_fma_f64 v[93:94], -v[93:94], v[107:108], v[105:106]
	v_div_fmas_f64 v[93:94], v[93:94], v[95:96], v[107:108]
	v_div_fixup_f64 v[93:94], v[93:94], v[75:76], v[73:74]
	v_fma_f64 v[95:96], v[73:74], v[93:94], v[75:76]
	v_mov_b32_e32 v73, v121
	v_mov_b32_e32 v74, v122
	v_mov_b32_e32 v75, v123
	v_mov_b32_e32 v76, v124
	v_mov_b32_e32 v122, v112
	v_mov_b32_e32 v121, v111
	v_mov_b32_e32 v120, v110
	v_mov_b32_e32 v119, v109
	v_mov_b32_e32 v112, v4
	v_mov_b32_e32 v111, v3
	v_mov_b32_e32 v110, v2
	v_mov_b32_e32 v109, v1
	v_mov_b32_e32 v1, v5
	v_mov_b32_e32 v2, v6
	v_mov_b32_e32 v3, v7
	v_mov_b32_e32 v4, v8
	v_mov_b32_e32 v5, v9
	v_mov_b32_e32 v6, v10
	v_mov_b32_e32 v7, v11
	v_mov_b32_e32 v8, v12
	v_mov_b32_e32 v9, v13
	v_mov_b32_e32 v10, v14
	v_mov_b32_e32 v11, v15
	v_mov_b32_e32 v12, v16
	v_mov_b32_e32 v13, v17
	v_div_scale_f64 v[105:106], s[6:7], v[95:96], v[95:96], 1.0
	v_mov_b32_e32 v14, v18
	v_mov_b32_e32 v15, v19
	;; [unrolled: 1-line block ×60, first 2 shown]
	v_rcp_f64_e32 v[107:108], v[105:106]
	v_mov_b32_e32 v47, v43
	v_mov_b32_e32 v46, v42
	;; [unrolled: 1-line block ×59, first 2 shown]
	buffer_load_dword v73, off, s[20:23], 0 offset:432 ; 4-byte Folded Reload
	buffer_load_dword v74, off, s[20:23], 0 offset:436 ; 4-byte Folded Reload
	;; [unrolled: 1-line block ×4, first 2 shown]
	v_fma_f64 v[125:126], -v[105:106], v[107:108], 1.0
	v_div_scale_f64 v[89:90], vcc, 1.0, v[95:96], 1.0
	v_fma_f64 v[107:108], v[107:108], v[125:126], v[107:108]
	v_fma_f64 v[125:126], -v[105:106], v[107:108], 1.0
	v_fma_f64 v[91:92], v[107:108], v[125:126], v[107:108]
	v_mul_f64 v[107:108], v[89:90], v[91:92]
	v_fma_f64 v[89:90], -v[105:106], v[107:108], v[89:90]
	v_div_fmas_f64 v[89:90], v[89:90], v[91:92], v[107:108]
	v_mov_b32_e32 v91, v117
	v_mov_b32_e32 v92, v118
	;; [unrolled: 1-line block ×6, first 2 shown]
	v_div_fixup_f64 v[107:108], v[89:90], v[95:96], 1.0
	v_mul_f64 v[105:106], v[93:94], v[107:108]
	v_mov_b32_e32 v96, v80
	v_mov_b32_e32 v95, v79
	;; [unrolled: 1-line block ×4, first 2 shown]
	v_xor_b32_e32 v108, 0x80000000, v108
.LBB99_446:
	s_andn2_saveexec_b64 s[2:3], s[2:3]
	s_cbranch_execz .LBB99_448
; %bb.447:
	s_waitcnt vmcnt(0)
	v_div_scale_f64 v[89:90], s[6:7], v[73:74], v[73:74], v[75:76]
	v_mov_b32_e32 v126, v92
	v_mov_b32_e32 v125, v91
	v_mov_b32_e32 v77, v93
	v_mov_b32_e32 v78, v94
	v_mov_b32_e32 v79, v95
	v_mov_b32_e32 v80, v96
	v_rcp_f64_e32 v[91:92], v[89:90]
	v_fma_f64 v[93:94], -v[89:90], v[91:92], 1.0
	v_fma_f64 v[91:92], v[91:92], v[93:94], v[91:92]
	v_div_scale_f64 v[93:94], vcc, v[75:76], v[73:74], v[75:76]
	v_fma_f64 v[95:96], -v[89:90], v[91:92], 1.0
	v_fma_f64 v[91:92], v[91:92], v[95:96], v[91:92]
	v_mul_f64 v[95:96], v[93:94], v[91:92]
	v_fma_f64 v[89:90], -v[89:90], v[95:96], v[93:94]
	v_div_fmas_f64 v[89:90], v[89:90], v[91:92], v[95:96]
	v_div_fixup_f64 v[89:90], v[89:90], v[73:74], v[75:76]
	v_fma_f64 v[91:92], v[75:76], v[89:90], v[73:74]
	v_div_scale_f64 v[93:94], s[6:7], v[91:92], v[91:92], 1.0
	v_div_scale_f64 v[107:108], vcc, 1.0, v[91:92], 1.0
	v_rcp_f64_e32 v[95:96], v[93:94]
	v_fma_f64 v[105:106], -v[93:94], v[95:96], 1.0
	v_fma_f64 v[95:96], v[95:96], v[105:106], v[95:96]
	v_fma_f64 v[105:106], -v[93:94], v[95:96], 1.0
	v_fma_f64 v[95:96], v[95:96], v[105:106], v[95:96]
	v_mul_f64 v[105:106], v[107:108], v[95:96]
	v_fma_f64 v[93:94], -v[93:94], v[105:106], v[107:108]
	v_div_fmas_f64 v[93:94], v[93:94], v[95:96], v[105:106]
	v_div_fixup_f64 v[105:106], v[93:94], v[91:92], 1.0
	v_mov_b32_e32 v96, v80
	v_mov_b32_e32 v91, v125
	v_mov_b32_e32 v95, v79
	v_mov_b32_e32 v94, v78
	v_mov_b32_e32 v93, v77
	v_mov_b32_e32 v92, v126
	v_mul_f64 v[107:108], v[89:90], -v[105:106]
.LBB99_448:
	s_or_b64 exec, exec, s[2:3]
	ds_write2_b64 v127, v[105:106], v[107:108] offset1:1
.LBB99_449:
	s_or_b64 exec, exec, s[4:5]
	s_waitcnt vmcnt(0) lgkmcnt(0)
	s_barrier
	ds_read2_b64 v[105:108], v127 offset1:1
	s_waitcnt lgkmcnt(0)
	s_barrier
	s_and_saveexec_b64 s[2:3], s[0:1]
	s_cbranch_execz .LBB99_452
; %bb.450:
	buffer_load_dword v73, off, s[20:23], 0 offset:824 ; 4-byte Folded Reload
	buffer_load_dword v74, off, s[20:23], 0 offset:828 ; 4-byte Folded Reload
	;; [unrolled: 1-line block ×4, first 2 shown]
	s_waitcnt vmcnt(2)
	v_cmp_eq_f64_e32 vcc, 0, v[73:74]
	s_waitcnt vmcnt(0)
	v_cmp_eq_f64_e64 s[0:1], 0, v[75:76]
	buffer_load_dword v73, off, s[20:23], 0 offset:840 ; 4-byte Folded Reload
	buffer_load_dword v74, off, s[20:23], 0 offset:844 ; 4-byte Folded Reload
	;; [unrolled: 1-line block ×4, first 2 shown]
	s_and_b64 s[4:5], vcc, s[0:1]
	v_cndmask_b32_e64 v89, 0, 1, s[4:5]
	s_waitcnt vmcnt(2)
	v_cmp_neq_f64_e32 vcc, 0, v[73:74]
	s_waitcnt vmcnt(0)
	v_cmp_neq_f64_e64 s[0:1], 0, v[75:76]
	buffer_load_dword v73, off, s[20:23], 0 offset:856 ; 4-byte Folded Reload
	buffer_load_dword v74, off, s[20:23], 0 offset:860 ; 4-byte Folded Reload
	;; [unrolled: 1-line block ×4, first 2 shown]
	s_or_b64 s[0:1], vcc, s[0:1]
	s_or_b64 vcc, s[0:1], s[4:5]
	v_cndmask_b32_e32 v89, 2, v89, vcc
	s_waitcnt vmcnt(2)
	v_cmp_eq_f64_e32 vcc, 0, v[73:74]
	s_waitcnt vmcnt(0)
	v_cmp_eq_f64_e64 s[0:1], 0, v[75:76]
	buffer_load_dword v73, off, s[20:23], 0 offset:872 ; 4-byte Folded Reload
	buffer_load_dword v74, off, s[20:23], 0 offset:876 ; 4-byte Folded Reload
	buffer_load_dword v75, off, s[20:23], 0 offset:880 ; 4-byte Folded Reload
	buffer_load_dword v76, off, s[20:23], 0 offset:884 ; 4-byte Folded Reload
	s_and_b64 s[0:1], vcc, s[0:1]
	v_cmp_eq_u32_e32 vcc, 0, v89
	s_and_b64 s[0:1], s[0:1], vcc
	v_cndmask_b32_e64 v89, v89, 3, s[0:1]
	s_waitcnt vmcnt(2)
	v_cmp_eq_f64_e32 vcc, 0, v[73:74]
	s_waitcnt vmcnt(0)
	v_cmp_eq_f64_e64 s[0:1], 0, v[75:76]
	buffer_load_dword v73, off, s[20:23], 0 offset:888 ; 4-byte Folded Reload
	buffer_load_dword v74, off, s[20:23], 0 offset:892 ; 4-byte Folded Reload
	buffer_load_dword v75, off, s[20:23], 0 offset:896 ; 4-byte Folded Reload
	buffer_load_dword v76, off, s[20:23], 0 offset:900 ; 4-byte Folded Reload
	s_and_b64 s[0:1], vcc, s[0:1]
	v_cmp_eq_u32_e32 vcc, 0, v89
	s_and_b64 s[0:1], s[0:1], vcc
	v_cndmask_b32_e64 v89, v89, 4, s[0:1]
	;; [unrolled: 12-line block ×44, first 2 shown]
	s_waitcnt vmcnt(2)
	v_cmp_eq_f64_e32 vcc, 0, v[73:74]
	s_waitcnt vmcnt(0)
	v_cmp_eq_f64_e64 s[0:1], 0, v[75:76]
	s_and_b64 s[0:1], vcc, s[0:1]
	v_cmp_eq_u32_e32 vcc, 0, v89
	s_and_b64 s[0:1], s[0:1], vcc
	v_cndmask_b32_e64 v89, v89, 47, s[0:1]
	v_cmp_eq_f64_e32 vcc, 0, v[69:70]
	v_cmp_eq_f64_e64 s[0:1], 0, v[71:72]
	s_and_b64 s[0:1], vcc, s[0:1]
	v_cmp_eq_u32_e32 vcc, 0, v89
	s_and_b64 s[0:1], s[0:1], vcc
	v_cndmask_b32_e64 v89, v89, 48, s[0:1]
	v_cmp_eq_f64_e32 vcc, 0, v[97:98]
	;; [unrolled: 6-line block ×3, first 2 shown]
	v_cmp_eq_f64_e64 s[0:1], 0, v[107:108]
	s_and_b64 s[0:1], vcc, s[0:1]
	v_cmp_eq_u32_e32 vcc, 0, v89
	s_and_b64 s[0:1], s[0:1], vcc
	v_cndmask_b32_e64 v99, v89, 50, s[0:1]
	v_lshlrev_b64 v[89:90], 2, v[87:88]
	v_cmp_ne_u32_e64 s[0:1], 0, v99
	v_add_co_u32_e32 v97, vcc, s10, v89
	v_mov_b32_e32 v89, s11
	v_addc_co_u32_e32 v98, vcc, v89, v90, vcc
	global_load_dword v89, v[97:98], off
	s_waitcnt vmcnt(0)
	v_cmp_eq_u32_e32 vcc, 0, v89
	s_and_b64 s[0:1], vcc, s[0:1]
	s_and_b64 exec, exec, s[0:1]
	s_cbranch_execz .LBB99_452
; %bb.451:
	v_add_u32_e32 v89, s13, v99
	global_store_dword v[97:98], v89, off
.LBB99_452:
	s_or_b64 exec, exec, s[2:3]
	buffer_load_dword v69, off, s[20:23], 0 offset:808 ; 4-byte Folded Reload
	buffer_load_dword v70, off, s[20:23], 0 offset:812 ; 4-byte Folded Reload
	;; [unrolled: 1-line block ×6, first 2 shown]
	v_cmp_lt_u32_e32 vcc, 49, v0
	s_waitcnt vmcnt(0)
	global_store_dwordx4 v[69:70], v[71:74], off
	buffer_load_dword v69, off, s[20:23], 0 offset:816 ; 4-byte Folded Reload
	s_nop 0
	buffer_load_dword v70, off, s[20:23], 0 offset:820 ; 4-byte Folded Reload
	buffer_load_dword v71, off, s[20:23], 0 offset:400 ; 4-byte Folded Reload
	buffer_load_dword v72, off, s[20:23], 0 offset:404 ; 4-byte Folded Reload
	buffer_load_dword v73, off, s[20:23], 0 offset:408 ; 4-byte Folded Reload
	buffer_load_dword v74, off, s[20:23], 0 offset:412 ; 4-byte Folded Reload
	s_waitcnt vmcnt(0)
	global_store_dwordx4 v[69:70], v[71:74], off
	buffer_load_dword v69, off, s[20:23], 0 offset:384 ; 4-byte Folded Reload
	s_nop 0
	buffer_load_dword v70, off, s[20:23], 0 offset:388 ; 4-byte Folded Reload
	buffer_load_dword v71, off, s[20:23], 0 offset:392 ; 4-byte Folded Reload
	;; [unrolled: 1-line block ×3, first 2 shown]
	s_waitcnt vmcnt(0)
	global_store_dwordx4 v[91:92], v[69:72], off
	buffer_load_dword v77, off, s[20:23], 0 offset:800 ; 4-byte Folded Reload
	buffer_load_dword v78, off, s[20:23], 0 offset:804 ; 4-byte Folded Reload
	s_nop 0
	buffer_load_dword v69, off, s[20:23], 0 offset:368 ; 4-byte Folded Reload
	buffer_load_dword v70, off, s[20:23], 0 offset:372 ; 4-byte Folded Reload
	;; [unrolled: 1-line block ×4, first 2 shown]
	s_waitcnt vmcnt(0)
	global_store_dwordx4 v[77:78], v[69:72], off
	buffer_load_dword v77, off, s[20:23], 0 offset:792 ; 4-byte Folded Reload
	s_nop 0
	buffer_load_dword v78, off, s[20:23], 0 offset:796 ; 4-byte Folded Reload
	buffer_load_dword v69, off, s[20:23], 0 offset:352 ; 4-byte Folded Reload
	;; [unrolled: 1-line block ×5, first 2 shown]
	s_waitcnt vmcnt(0)
	global_store_dwordx4 v[77:78], v[69:72], off
	buffer_load_dword v87, off, s[20:23], 0 offset:448 ; 4-byte Folded Reload
	buffer_load_dword v88, off, s[20:23], 0 offset:452 ; 4-byte Folded Reload
	s_nop 0
	buffer_load_dword v69, off, s[20:23], 0 offset:336 ; 4-byte Folded Reload
	buffer_load_dword v70, off, s[20:23], 0 offset:340 ; 4-byte Folded Reload
	;; [unrolled: 1-line block ×4, first 2 shown]
	s_waitcnt vmcnt(0)
	global_store_dwordx4 v[87:88], v[69:72], off
	buffer_load_dword v69, off, s[20:23], 0 offset:320 ; 4-byte Folded Reload
	s_nop 0
	buffer_load_dword v70, off, s[20:23], 0 offset:324 ; 4-byte Folded Reload
	buffer_load_dword v71, off, s[20:23], 0 offset:328 ; 4-byte Folded Reload
	;; [unrolled: 1-line block ×3, first 2 shown]
	s_waitcnt vmcnt(0)
	global_store_dwordx4 v[85:86], v[69:72], off
	buffer_load_dword v85, off, s[20:23], 0 offset:456 ; 4-byte Folded Reload
	s_nop 0
	buffer_load_dword v86, off, s[20:23], 0 offset:460 ; 4-byte Folded Reload
	buffer_load_dword v69, off, s[20:23], 0 offset:304 ; 4-byte Folded Reload
	;; [unrolled: 1-line block ×5, first 2 shown]
	s_waitcnt vmcnt(0)
	global_store_dwordx4 v[85:86], v[69:72], off
	buffer_load_dword v69, off, s[20:23], 0 offset:432 ; 4-byte Folded Reload
	s_nop 0
	buffer_load_dword v70, off, s[20:23], 0 offset:436 ; 4-byte Folded Reload
	buffer_load_dword v71, off, s[20:23], 0 offset:440 ; 4-byte Folded Reload
	;; [unrolled: 1-line block ×3, first 2 shown]
	s_waitcnt vmcnt(0)
	v_mul_f64 v[89:90], v[105:106], v[71:72]
	v_mul_f64 v[91:92], v[107:108], v[71:72]
	v_fma_f64 v[89:90], v[107:108], v[69:70], v[89:90]
	v_fma_f64 v[91:92], v[105:106], v[69:70], -v[91:92]
	v_cndmask_b32_e32 v100, v72, v90, vcc
	v_cndmask_b32_e32 v99, v71, v89, vcc
	;; [unrolled: 1-line block ×4, first 2 shown]
	buffer_load_dword v85, off, s[20:23], 0 offset:464 ; 4-byte Folded Reload
	buffer_load_dword v86, off, s[20:23], 0 offset:468 ; 4-byte Folded Reload
	buffer_load_dword v69, off, s[20:23], 0 offset:288 ; 4-byte Folded Reload
	buffer_load_dword v70, off, s[20:23], 0 offset:292 ; 4-byte Folded Reload
	buffer_load_dword v71, off, s[20:23], 0 offset:296 ; 4-byte Folded Reload
	buffer_load_dword v72, off, s[20:23], 0 offset:300 ; 4-byte Folded Reload
	s_waitcnt vmcnt(0)
	global_store_dwordx4 v[85:86], v[69:72], off
	buffer_load_dword v85, off, s[20:23], 0 offset:472 ; 4-byte Folded Reload
	s_nop 0
	buffer_load_dword v86, off, s[20:23], 0 offset:476 ; 4-byte Folded Reload
	buffer_load_dword v69, off, s[20:23], 0 offset:272 ; 4-byte Folded Reload
	buffer_load_dword v70, off, s[20:23], 0 offset:276 ; 4-byte Folded Reload
	buffer_load_dword v71, off, s[20:23], 0 offset:280 ; 4-byte Folded Reload
	buffer_load_dword v72, off, s[20:23], 0 offset:284 ; 4-byte Folded Reload
	s_waitcnt vmcnt(0)
	global_store_dwordx4 v[85:86], v[69:72], off
	buffer_load_dword v85, off, s[20:23], 0 offset:480 ; 4-byte Folded Reload
	s_nop 0
	buffer_load_dword v86, off, s[20:23], 0 offset:484 ; 4-byte Folded Reload
	buffer_load_dword v69, off, s[20:23], 0 offset:256 ; 4-byte Folded Reload
	buffer_load_dword v70, off, s[20:23], 0 offset:260 ; 4-byte Folded Reload
	buffer_load_dword v71, off, s[20:23], 0 offset:264 ; 4-byte Folded Reload
	buffer_load_dword v72, off, s[20:23], 0 offset:268 ; 4-byte Folded Reload
	;; [unrolled: 9-line block ×14, first 2 shown]
	s_waitcnt vmcnt(0)
	global_store_dwordx4 v[85:86], v[69:72], off
	buffer_load_dword v83, off, s[20:23], 0 offset:584 ; 4-byte Folded Reload
	buffer_load_dword v84, off, s[20:23], 0 offset:588 ; 4-byte Folded Reload
	s_nop 0
	buffer_load_dword v69, off, s[20:23], 0 offset:48 ; 4-byte Folded Reload
	buffer_load_dword v70, off, s[20:23], 0 offset:52 ; 4-byte Folded Reload
	buffer_load_dword v71, off, s[20:23], 0 offset:56 ; 4-byte Folded Reload
	buffer_load_dword v72, off, s[20:23], 0 offset:60 ; 4-byte Folded Reload
	s_waitcnt vmcnt(0)
	global_store_dwordx4 v[83:84], v[69:72], off
	global_store_dwordx4 v[81:82], v[121:124], off
	buffer_load_dword v81, off, s[20:23], 0 offset:592 ; 4-byte Folded Reload
	s_nop 0
	buffer_load_dword v82, off, s[20:23], 0 offset:596 ; 4-byte Folded Reload
	s_waitcnt vmcnt(0)
	global_store_dwordx4 v[81:82], v[117:120], off
	buffer_load_dword v81, off, s[20:23], 0 offset:600 ; 4-byte Folded Reload
	s_nop 0
	buffer_load_dword v82, off, s[20:23], 0 offset:604 ; 4-byte Folded Reload
	s_waitcnt vmcnt(0)
	;; [unrolled: 5-line block ×4, first 2 shown]
	global_store_dwordx4 v[81:82], v[93:96], off
	buffer_load_dword v81, off, s[20:23], 0 offset:624 ; 4-byte Folded Reload
	s_nop 0
	buffer_load_dword v82, off, s[20:23], 0 offset:628 ; 4-byte Folded Reload
	buffer_load_dword v77, off, s[20:23], 0 offset:32 ; 4-byte Folded Reload
	;; [unrolled: 1-line block ×5, first 2 shown]
	s_waitcnt vmcnt(0)
	global_store_dwordx4 v[81:82], v[77:80], off
	buffer_load_dword v77, off, s[20:23], 0 offset:632 ; 4-byte Folded Reload
	s_nop 0
	buffer_load_dword v78, off, s[20:23], 0 offset:636 ; 4-byte Folded Reload
	buffer_load_dword v73, off, s[20:23], 0 offset:16 ; 4-byte Folded Reload
	;; [unrolled: 1-line block ×5, first 2 shown]
	s_waitcnt vmcnt(0)
	global_store_dwordx4 v[77:78], v[73:76], off
	buffer_load_dword v73, off, s[20:23], 0 offset:640 ; 4-byte Folded Reload
	s_nop 0
	buffer_load_dword v74, off, s[20:23], 0 offset:644 ; 4-byte Folded Reload
	buffer_load_dword v69, off, s[20:23], 0 ; 4-byte Folded Reload
	buffer_load_dword v70, off, s[20:23], 0 offset:4 ; 4-byte Folded Reload
	buffer_load_dword v71, off, s[20:23], 0 offset:8 ; 4-byte Folded Reload
	;; [unrolled: 1-line block ×3, first 2 shown]
	s_waitcnt vmcnt(0)
	global_store_dwordx4 v[73:74], v[69:72], off
	buffer_load_dword v69, off, s[20:23], 0 offset:648 ; 4-byte Folded Reload
	s_nop 0
	buffer_load_dword v70, off, s[20:23], 0 offset:652 ; 4-byte Folded Reload
	s_waitcnt vmcnt(0)
	global_store_dwordx4 v[69:70], v[65:68], off
	buffer_load_dword v65, off, s[20:23], 0 offset:656 ; 4-byte Folded Reload
	s_nop 0
	buffer_load_dword v66, off, s[20:23], 0 offset:660 ; 4-byte Folded Reload
	;; [unrolled: 5-line block ×18, first 2 shown]
	s_waitcnt vmcnt(0)
	global_store_dwordx4 v[0:1], v[97:100], off
.LBB99_453:
	s_endpgm
	.section	.rodata,"a",@progbits
	.p2align	6, 0x0
	.amdhsa_kernel _ZN9rocsolver6v33100L23getf2_npvt_small_kernelILi50E19rocblas_complex_numIdEiiPS3_EEvT1_T3_lS5_lPT2_S5_S5_
		.amdhsa_group_segment_fixed_size 0
		.amdhsa_private_segment_fixed_size 1580
		.amdhsa_kernarg_size 312
		.amdhsa_user_sgpr_count 6
		.amdhsa_user_sgpr_private_segment_buffer 1
		.amdhsa_user_sgpr_dispatch_ptr 0
		.amdhsa_user_sgpr_queue_ptr 0
		.amdhsa_user_sgpr_kernarg_segment_ptr 1
		.amdhsa_user_sgpr_dispatch_id 0
		.amdhsa_user_sgpr_flat_scratch_init 0
		.amdhsa_user_sgpr_private_segment_size 0
		.amdhsa_uses_dynamic_stack 0
		.amdhsa_system_sgpr_private_segment_wavefront_offset 1
		.amdhsa_system_sgpr_workgroup_id_x 1
		.amdhsa_system_sgpr_workgroup_id_y 1
		.amdhsa_system_sgpr_workgroup_id_z 0
		.amdhsa_system_sgpr_workgroup_info 0
		.amdhsa_system_vgpr_workitem_id 1
		.amdhsa_next_free_vgpr 128
		.amdhsa_next_free_sgpr 24
		.amdhsa_reserve_vcc 1
		.amdhsa_reserve_flat_scratch 0
		.amdhsa_float_round_mode_32 0
		.amdhsa_float_round_mode_16_64 0
		.amdhsa_float_denorm_mode_32 3
		.amdhsa_float_denorm_mode_16_64 3
		.amdhsa_dx10_clamp 1
		.amdhsa_ieee_mode 1
		.amdhsa_fp16_overflow 0
		.amdhsa_exception_fp_ieee_invalid_op 0
		.amdhsa_exception_fp_denorm_src 0
		.amdhsa_exception_fp_ieee_div_zero 0
		.amdhsa_exception_fp_ieee_overflow 0
		.amdhsa_exception_fp_ieee_underflow 0
		.amdhsa_exception_fp_ieee_inexact 0
		.amdhsa_exception_int_div_zero 0
	.end_amdhsa_kernel
	.section	.text._ZN9rocsolver6v33100L23getf2_npvt_small_kernelILi50E19rocblas_complex_numIdEiiPS3_EEvT1_T3_lS5_lPT2_S5_S5_,"axG",@progbits,_ZN9rocsolver6v33100L23getf2_npvt_small_kernelILi50E19rocblas_complex_numIdEiiPS3_EEvT1_T3_lS5_lPT2_S5_S5_,comdat
.Lfunc_end99:
	.size	_ZN9rocsolver6v33100L23getf2_npvt_small_kernelILi50E19rocblas_complex_numIdEiiPS3_EEvT1_T3_lS5_lPT2_S5_S5_, .Lfunc_end99-_ZN9rocsolver6v33100L23getf2_npvt_small_kernelILi50E19rocblas_complex_numIdEiiPS3_EEvT1_T3_lS5_lPT2_S5_S5_
                                        ; -- End function
	.set _ZN9rocsolver6v33100L23getf2_npvt_small_kernelILi50E19rocblas_complex_numIdEiiPS3_EEvT1_T3_lS5_lPT2_S5_S5_.num_vgpr, 128
	.set _ZN9rocsolver6v33100L23getf2_npvt_small_kernelILi50E19rocblas_complex_numIdEiiPS3_EEvT1_T3_lS5_lPT2_S5_S5_.num_agpr, 0
	.set _ZN9rocsolver6v33100L23getf2_npvt_small_kernelILi50E19rocblas_complex_numIdEiiPS3_EEvT1_T3_lS5_lPT2_S5_S5_.numbered_sgpr, 24
	.set _ZN9rocsolver6v33100L23getf2_npvt_small_kernelILi50E19rocblas_complex_numIdEiiPS3_EEvT1_T3_lS5_lPT2_S5_S5_.num_named_barrier, 0
	.set _ZN9rocsolver6v33100L23getf2_npvt_small_kernelILi50E19rocblas_complex_numIdEiiPS3_EEvT1_T3_lS5_lPT2_S5_S5_.private_seg_size, 1580
	.set _ZN9rocsolver6v33100L23getf2_npvt_small_kernelILi50E19rocblas_complex_numIdEiiPS3_EEvT1_T3_lS5_lPT2_S5_S5_.uses_vcc, 1
	.set _ZN9rocsolver6v33100L23getf2_npvt_small_kernelILi50E19rocblas_complex_numIdEiiPS3_EEvT1_T3_lS5_lPT2_S5_S5_.uses_flat_scratch, 0
	.set _ZN9rocsolver6v33100L23getf2_npvt_small_kernelILi50E19rocblas_complex_numIdEiiPS3_EEvT1_T3_lS5_lPT2_S5_S5_.has_dyn_sized_stack, 0
	.set _ZN9rocsolver6v33100L23getf2_npvt_small_kernelILi50E19rocblas_complex_numIdEiiPS3_EEvT1_T3_lS5_lPT2_S5_S5_.has_recursion, 0
	.set _ZN9rocsolver6v33100L23getf2_npvt_small_kernelILi50E19rocblas_complex_numIdEiiPS3_EEvT1_T3_lS5_lPT2_S5_S5_.has_indirect_call, 0
	.section	.AMDGPU.csdata,"",@progbits
; Kernel info:
; codeLenInByte = 171668
; TotalNumSgprs: 28
; NumVgprs: 128
; ScratchSize: 1580
; MemoryBound: 1
; FloatMode: 240
; IeeeMode: 1
; LDSByteSize: 0 bytes/workgroup (compile time only)
; SGPRBlocks: 3
; VGPRBlocks: 31
; NumSGPRsForWavesPerEU: 28
; NumVGPRsForWavesPerEU: 128
; Occupancy: 2
; WaveLimiterHint : 0
; COMPUTE_PGM_RSRC2:SCRATCH_EN: 1
; COMPUTE_PGM_RSRC2:USER_SGPR: 6
; COMPUTE_PGM_RSRC2:TRAP_HANDLER: 0
; COMPUTE_PGM_RSRC2:TGID_X_EN: 1
; COMPUTE_PGM_RSRC2:TGID_Y_EN: 1
; COMPUTE_PGM_RSRC2:TGID_Z_EN: 0
; COMPUTE_PGM_RSRC2:TIDIG_COMP_CNT: 1
	.section	.text._ZN9rocsolver6v33100L18getf2_small_kernelILi51E19rocblas_complex_numIdEiiPS3_EEvT1_T3_lS5_lPS5_llPT2_S5_S5_S7_l,"axG",@progbits,_ZN9rocsolver6v33100L18getf2_small_kernelILi51E19rocblas_complex_numIdEiiPS3_EEvT1_T3_lS5_lPS5_llPT2_S5_S5_S7_l,comdat
	.globl	_ZN9rocsolver6v33100L18getf2_small_kernelILi51E19rocblas_complex_numIdEiiPS3_EEvT1_T3_lS5_lPS5_llPT2_S5_S5_S7_l ; -- Begin function _ZN9rocsolver6v33100L18getf2_small_kernelILi51E19rocblas_complex_numIdEiiPS3_EEvT1_T3_lS5_lPS5_llPT2_S5_S5_S7_l
	.p2align	8
	.type	_ZN9rocsolver6v33100L18getf2_small_kernelILi51E19rocblas_complex_numIdEiiPS3_EEvT1_T3_lS5_lPS5_llPT2_S5_S5_S7_l,@function
_ZN9rocsolver6v33100L18getf2_small_kernelILi51E19rocblas_complex_numIdEiiPS3_EEvT1_T3_lS5_lPS5_llPT2_S5_S5_S7_l: ; @_ZN9rocsolver6v33100L18getf2_small_kernelILi51E19rocblas_complex_numIdEiiPS3_EEvT1_T3_lS5_lPS5_llPT2_S5_S5_S7_l
; %bb.0:
	s_mov_b64 s[26:27], s[2:3]
	s_mov_b64 s[24:25], s[0:1]
	s_load_dword s0, s[4:5], 0x6c
	s_load_dwordx2 s[16:17], s[4:5], 0x48
	s_add_u32 s24, s24, s8
	s_addc_u32 s25, s25, 0
	s_waitcnt lgkmcnt(0)
	s_lshr_b32 s0, s0, 16
	s_mul_i32 s7, s7, s0
	v_add_u32_e32 v6, s7, v1
	v_cmp_gt_i32_e32 vcc, s16, v6
	s_and_saveexec_b64 s[0:1], vcc
	s_cbranch_execnz .LBB100_1
; %bb.1073:
	s_getpc_b64 s[28:29]
.Lpost_getpc14:
	s_add_u32 s28, s28, (.LBB100_1072-.Lpost_getpc14)&4294967295
	s_addc_u32 s29, s29, (.LBB100_1072-.Lpost_getpc14)>>32
	s_setpc_b64 s[28:29]
.LBB100_1:
	s_load_dwordx4 s[0:3], s[4:5], 0x50
	v_mov_b32_e32 v2, 0
	v_ashrrev_i32_e32 v7, 31, v6
	v_mov_b32_e32 v3, 0
	buffer_store_dword v2, off, s[24:27], 0 offset:400 ; 4-byte Folded Spill
	s_nop 0
	buffer_store_dword v3, off, s[24:27], 0 offset:404 ; 4-byte Folded Spill
	s_waitcnt lgkmcnt(0)
	s_cmp_eq_u64 s[0:1], 0
	s_cselect_b64 s[6:7], -1, 0
	s_and_b64 vcc, exec, s[6:7]
	s_cbranch_vccnz .LBB100_3
; %bb.2:
	v_mul_lo_u32 v4, s3, v6
	v_mul_lo_u32 v5, s2, v7
	v_mad_u64_u32 v[2:3], s[2:3], s2, v6, 0
	v_add3_u32 v3, v3, v5, v4
	v_lshlrev_b64 v[2:3], 2, v[2:3]
	v_mov_b32_e32 v4, s1
	v_add_co_u32_e32 v2, vcc, s0, v2
	v_addc_co_u32_e32 v3, vcc, v4, v3, vcc
	buffer_store_dword v2, off, s[24:27], 0 offset:400 ; 4-byte Folded Spill
	s_nop 0
	buffer_store_dword v3, off, s[24:27], 0 offset:404 ; 4-byte Folded Spill
.LBB100_3:
	s_load_dwordx8 s[8:15], s[4:5], 0x20
	s_load_dwordx4 s[20:23], s[4:5], 0x8
	s_load_dword s2, s[4:5], 0x18
	v_lshlrev_b32_e32 v70, 4, v0
	s_waitcnt lgkmcnt(0)
	v_mul_lo_u32 v4, s9, v6
	v_mul_lo_u32 v5, s8, v7
	buffer_store_dword v6, off, s[24:27], 0 offset:456 ; 4-byte Folded Spill
	s_nop 0
	buffer_store_dword v7, off, s[24:27], 0 offset:460 ; 4-byte Folded Spill
	s_add_i32 s16, s2, s2
	s_ashr_i32 s3, s2, 31
	v_mad_u64_u32 v[2:3], s[0:1], s8, v6, 0
	v_mov_b32_e32 v6, s21
	s_lshl_b64 s[0:1], s[22:23], 4
	v_add3_u32 v3, v3, v5, v4
	v_lshlrev_b64 v[2:3], 4, v[2:3]
	v_mov_b32_e32 v4, s1
	v_add_co_u32_e32 v2, vcc, s20, v2
	v_addc_co_u32_e32 v3, vcc, v6, v3, vcc
	v_add_co_u32_e32 v127, vcc, s0, v2
	v_addc_co_u32_e32 v89, vcc, v3, v4, vcc
	v_add_u32_e32 v4, s16, v0
	v_ashrrev_i32_e32 v5, 31, v4
	v_lshlrev_b64 v[2:3], 4, v[4:5]
	v_add_u32_e32 v6, s2, v4
	v_ashrrev_i32_e32 v7, 31, v6
	v_add_co_u32_e32 v2, vcc, v127, v2
	v_lshlrev_b64 v[4:5], 4, v[6:7]
	v_add_u32_e32 v8, s2, v6
	v_addc_co_u32_e32 v3, vcc, v89, v3, vcc
	v_ashrrev_i32_e32 v9, 31, v8
	v_add_co_u32_e32 v4, vcc, v127, v4
	v_lshlrev_b64 v[6:7], 4, v[8:9]
	v_add_u32_e32 v10, s2, v8
	v_addc_co_u32_e32 v5, vcc, v89, v5, vcc
	;; [unrolled: 5-line block ×31, first 2 shown]
	v_ashrrev_i32_e32 v67, 31, v66
	v_add_co_u32_e32 v64, vcc, v127, v64
	v_lshlrev_b64 v[67:68], 4, v[66:67]
	v_addc_co_u32_e32 v65, vcc, v89, v65, vcc
	v_add_u32_e32 v66, s2, v66
	v_add_co_u32_e32 v117, vcc, v127, v67
	v_ashrrev_i32_e32 v67, 31, v66
	v_addc_co_u32_e32 v118, vcc, v89, v68, vcc
	v_lshlrev_b64 v[67:68], 4, v[66:67]
	v_add_u32_e32 v66, s2, v66
	v_add_co_u32_e32 v119, vcc, v127, v67
	v_ashrrev_i32_e32 v67, 31, v66
	v_addc_co_u32_e32 v120, vcc, v89, v68, vcc
	v_lshlrev_b64 v[67:68], 4, v[66:67]
	;; [unrolled: 5-line block ×14, first 2 shown]
	v_add_u32_e32 v66, s2, v66
	v_add_co_u32_e32 v99, vcc, v127, v67
	v_ashrrev_i32_e32 v67, 31, v66
	s_lshl_b64 s[8:9], s[2:3], 4
	s_load_dword s3, s[4:5], 0x0
	v_addc_co_u32_e32 v100, vcc, v89, v68, vcc
	v_lshlrev_b64 v[67:68], 4, v[66:67]
	v_add_u32_e32 v66, s2, v66
	v_add_co_u32_e32 v93, vcc, v127, v67
	v_ashrrev_i32_e32 v67, 31, v66
	v_lshlrev_b64 v[66:67], 4, v[66:67]
	v_addc_co_u32_e32 v94, vcc, v89, v68, vcc
	s_waitcnt lgkmcnt(0)
	s_max_i32 s0, s3, 51
	v_add_co_u32_e32 v95, vcc, v127, v66
	v_mul_lo_u32 v91, s0, v1
	v_addc_co_u32_e32 v96, vcc, v89, v67, vcc
	v_add_co_u32_e32 v68, vcc, v127, v70
	v_addc_co_u32_e32 v69, vcc, 0, v89, vcc
	v_mov_b32_e32 v67, s9
	v_add_co_u32_e32 v66, vcc, s8, v68
	v_lshl_add_u32 v90, v91, 4, 0
	v_addc_co_u32_e32 v67, vcc, v69, v67, vcc
	v_add_u32_e32 v1, v90, v70
	global_load_dwordx4 v[68:71], v[68:69], off
	s_nop 0
	global_load_dwordx4 v[72:75], v[66:67], off
	s_waitcnt vmcnt(0)
	buffer_store_dword v72, off, s[24:27], 0 offset:424 ; 4-byte Folded Spill
	s_nop 0
	buffer_store_dword v73, off, s[24:27], 0 offset:428 ; 4-byte Folded Spill
	buffer_store_dword v74, off, s[24:27], 0 offset:432 ; 4-byte Folded Spill
	;; [unrolled: 1-line block ×4, first 2 shown]
	s_nop 0
	buffer_store_dword v69, off, s[24:27], 0 offset:444 ; 4-byte Folded Spill
	buffer_store_dword v70, off, s[24:27], 0 offset:448 ; 4-byte Folded Spill
	;; [unrolled: 1-line block ×3, first 2 shown]
	s_load_dwordx2 s[4:5], s[4:5], 0x40
	s_cmp_lt_i32 s3, 2
	ds_write2_b64 v1, v[68:69], v[70:71] offset1:1
	global_load_dwordx4 v[66:69], v[2:3], off
	s_waitcnt vmcnt(0)
	buffer_store_dword v66, off, s[24:27], 0 offset:408 ; 4-byte Folded Spill
	s_nop 0
	buffer_store_dword v67, off, s[24:27], 0 offset:412 ; 4-byte Folded Spill
	buffer_store_dword v68, off, s[24:27], 0 offset:416 ; 4-byte Folded Spill
	buffer_store_dword v69, off, s[24:27], 0 offset:420 ; 4-byte Folded Spill
	global_load_dwordx4 v[1:4], v[4:5], off
	s_waitcnt vmcnt(0)
	buffer_store_dword v1, off, s[24:27], 0 offset:384 ; 4-byte Folded Spill
	s_nop 0
	buffer_store_dword v2, off, s[24:27], 0 offset:388 ; 4-byte Folded Spill
	buffer_store_dword v3, off, s[24:27], 0 offset:392 ; 4-byte Folded Spill
	buffer_store_dword v4, off, s[24:27], 0 offset:396 ; 4-byte Folded Spill
	;; [unrolled: 7-line block ×25, first 2 shown]
	global_load_dwordx4 v[1:4], v[52:53], off
	s_waitcnt vmcnt(0)
	buffer_store_dword v1, off, s[24:27], 0 ; 4-byte Folded Spill
	s_nop 0
	buffer_store_dword v2, off, s[24:27], 0 offset:4 ; 4-byte Folded Spill
	buffer_store_dword v3, off, s[24:27], 0 offset:8 ; 4-byte Folded Spill
	buffer_store_dword v4, off, s[24:27], 0 offset:12 ; 4-byte Folded Spill
	global_load_dwordx4 v[111:114], v[54:55], off
	global_load_dwordx4 v[85:88], v[56:57], off
	global_load_dwordx4 v[77:80], v[58:59], off
	global_load_dwordx4 v[73:76], v[60:61], off
	global_load_dwordx4 v[69:72], v[62:63], off
	s_nop 0
	global_load_dwordx4 v[65:68], v[64:65], off
	s_nop 0
	global_load_dwordx4 v[61:64], v[117:118], off
	global_load_dwordx4 v[57:60], v[119:120], off
	;; [unrolled: 1-line block ×17, first 2 shown]
	s_waitcnt vmcnt(0) lgkmcnt(0)
	s_barrier
	ds_read2_b64 v[117:120], v90 offset1:1
	v_lshlrev_b32_e32 v97, 4, v91
	v_mov_b32_e32 v93, 0
	s_cbranch_scc1 .LBB100_6
; %bb.4:
	v_add3_u32 v91, v97, 0, 16
	s_mov_b32 s0, 1
	v_mov_b32_e32 v93, 0
.LBB100_5:                              ; =>This Inner Loop Header: Depth=1
	s_waitcnt lgkmcnt(0)
	v_cmp_gt_f64_e32 vcc, 0, v[117:118]
	v_xor_b32_e32 v92, 0x80000000, v118
	ds_read2_b64 v[98:101], v91 offset1:1
	v_mov_b32_e32 v94, v117
	v_mov_b32_e32 v102, v119
	v_add_u32_e32 v91, 16, v91
	s_waitcnt lgkmcnt(0)
	v_mov_b32_e32 v104, v100
	v_cndmask_b32_e32 v95, v118, v92, vcc
	v_cmp_gt_f64_e32 vcc, 0, v[119:120]
	v_xor_b32_e32 v92, 0x80000000, v120
	v_cndmask_b32_e32 v103, v120, v92, vcc
	v_cmp_gt_f64_e32 vcc, 0, v[98:99]
	v_xor_b32_e32 v92, 0x80000000, v99
	v_add_f64 v[94:95], v[94:95], v[102:103]
	v_mov_b32_e32 v102, v98
	v_cndmask_b32_e32 v103, v99, v92, vcc
	v_cmp_gt_f64_e32 vcc, 0, v[100:101]
	v_xor_b32_e32 v92, 0x80000000, v101
	v_cndmask_b32_e32 v105, v101, v92, vcc
	v_add_f64 v[102:103], v[102:103], v[104:105]
	v_mov_b32_e32 v92, s0
	s_add_i32 s0, s0, 1
	s_cmp_eq_u32 s3, s0
	v_cmp_lt_f64_e32 vcc, v[94:95], v[102:103]
	v_cndmask_b32_e32 v118, v118, v99, vcc
	v_cndmask_b32_e32 v117, v117, v98, vcc
	;; [unrolled: 1-line block ×5, first 2 shown]
	s_cbranch_scc0 .LBB100_5
.LBB100_6:
	buffer_load_dword v109, off, s[24:27], 0 offset:456 ; 4-byte Folded Reload
	buffer_load_dword v110, off, s[24:27], 0 offset:460 ; 4-byte Folded Reload
	s_waitcnt lgkmcnt(0)
	v_cmp_neq_f64_e32 vcc, 0, v[117:118]
	v_cmp_neq_f64_e64 s[0:1], 0, v[119:120]
	v_mov_b32_e32 v91, 1
	v_mov_b32_e32 v98, 1
	s_or_b64 s[18:19], vcc, s[0:1]
	s_and_saveexec_b64 s[0:1], s[18:19]
	s_cbranch_execz .LBB100_12
; %bb.7:
	v_cmp_ngt_f64_e64 s[18:19], |v[117:118]|, |v[119:120]|
	s_and_saveexec_b64 s[20:21], s[18:19]
	s_xor_b64 s[18:19], exec, s[20:21]
	s_cbranch_execz .LBB100_9
; %bb.8:
	v_div_scale_f64 v[91:92], s[20:21], v[119:120], v[119:120], v[117:118]
	v_rcp_f64_e32 v[94:95], v[91:92]
	v_fma_f64 v[98:99], -v[91:92], v[94:95], 1.0
	v_fma_f64 v[94:95], v[94:95], v[98:99], v[94:95]
	v_div_scale_f64 v[98:99], vcc, v[117:118], v[119:120], v[117:118]
	v_fma_f64 v[100:101], -v[91:92], v[94:95], 1.0
	v_fma_f64 v[94:95], v[94:95], v[100:101], v[94:95]
	v_mul_f64 v[100:101], v[98:99], v[94:95]
	v_fma_f64 v[91:92], -v[91:92], v[100:101], v[98:99]
	v_div_fmas_f64 v[91:92], v[91:92], v[94:95], v[100:101]
	v_div_fixup_f64 v[91:92], v[91:92], v[119:120], v[117:118]
	v_fma_f64 v[94:95], v[117:118], v[91:92], v[119:120]
	v_div_scale_f64 v[98:99], s[20:21], v[94:95], v[94:95], 1.0
	v_div_scale_f64 v[104:105], vcc, 1.0, v[94:95], 1.0
	v_rcp_f64_e32 v[100:101], v[98:99]
	v_fma_f64 v[102:103], -v[98:99], v[100:101], 1.0
	v_fma_f64 v[100:101], v[100:101], v[102:103], v[100:101]
	v_fma_f64 v[102:103], -v[98:99], v[100:101], 1.0
	v_fma_f64 v[100:101], v[100:101], v[102:103], v[100:101]
	v_mul_f64 v[102:103], v[104:105], v[100:101]
	v_fma_f64 v[98:99], -v[98:99], v[102:103], v[104:105]
	v_div_fmas_f64 v[98:99], v[98:99], v[100:101], v[102:103]
	v_div_fixup_f64 v[119:120], v[98:99], v[94:95], 1.0
	v_mul_f64 v[117:118], v[91:92], v[119:120]
	v_xor_b32_e32 v120, 0x80000000, v120
.LBB100_9:
	s_andn2_saveexec_b64 s[18:19], s[18:19]
	s_cbranch_execz .LBB100_11
; %bb.10:
	v_div_scale_f64 v[91:92], s[20:21], v[117:118], v[117:118], v[119:120]
	v_rcp_f64_e32 v[94:95], v[91:92]
	v_fma_f64 v[98:99], -v[91:92], v[94:95], 1.0
	v_fma_f64 v[94:95], v[94:95], v[98:99], v[94:95]
	v_div_scale_f64 v[98:99], vcc, v[119:120], v[117:118], v[119:120]
	v_fma_f64 v[100:101], -v[91:92], v[94:95], 1.0
	v_fma_f64 v[94:95], v[94:95], v[100:101], v[94:95]
	v_mul_f64 v[100:101], v[98:99], v[94:95]
	v_fma_f64 v[91:92], -v[91:92], v[100:101], v[98:99]
	v_div_fmas_f64 v[91:92], v[91:92], v[94:95], v[100:101]
	v_div_fixup_f64 v[91:92], v[91:92], v[117:118], v[119:120]
	v_fma_f64 v[94:95], v[119:120], v[91:92], v[117:118]
	v_div_scale_f64 v[98:99], s[20:21], v[94:95], v[94:95], 1.0
	v_div_scale_f64 v[104:105], vcc, 1.0, v[94:95], 1.0
	v_rcp_f64_e32 v[100:101], v[98:99]
	v_fma_f64 v[102:103], -v[98:99], v[100:101], 1.0
	v_fma_f64 v[100:101], v[100:101], v[102:103], v[100:101]
	v_fma_f64 v[102:103], -v[98:99], v[100:101], 1.0
	v_fma_f64 v[100:101], v[100:101], v[102:103], v[100:101]
	v_mul_f64 v[102:103], v[104:105], v[100:101]
	v_fma_f64 v[98:99], -v[98:99], v[102:103], v[104:105]
	v_div_fmas_f64 v[98:99], v[98:99], v[100:101], v[102:103]
	v_div_fixup_f64 v[117:118], v[98:99], v[94:95], 1.0
	v_mul_f64 v[119:120], v[91:92], -v[117:118]
.LBB100_11:
	s_or_b64 exec, exec, s[18:19]
	v_mov_b32_e32 v98, 0
	v_mov_b32_e32 v91, 2
.LBB100_12:
	s_or_b64 exec, exec, s[0:1]
	v_cmp_ne_u32_e32 vcc, v0, v93
	s_and_saveexec_b64 s[0:1], vcc
	s_xor_b64 s[0:1], exec, s[0:1]
	s_cbranch_execz .LBB100_18
; %bb.13:
	v_cmp_eq_u32_e32 vcc, 0, v0
	s_and_saveexec_b64 s[18:19], vcc
	s_cbranch_execz .LBB100_17
; %bb.14:
	v_cmp_ne_u32_e32 vcc, 0, v93
	s_xor_b64 s[20:21], s[6:7], -1
	s_and_b64 s[22:23], s[20:21], vcc
	s_and_saveexec_b64 s[20:21], s[22:23]
	s_cbranch_execz .LBB100_16
; %bb.15:
	buffer_load_dword v81, off, s[24:27], 0 offset:400 ; 4-byte Folded Reload
	buffer_load_dword v82, off, s[24:27], 0 offset:404 ; 4-byte Folded Reload
	v_ashrrev_i32_e32 v94, 31, v93
	v_lshlrev_b64 v[94:95], 2, v[93:94]
	s_waitcnt vmcnt(1)
	v_add_co_u32_e32 v94, vcc, v81, v94
	s_waitcnt vmcnt(0)
	v_addc_co_u32_e32 v95, vcc, v82, v95, vcc
	global_load_dword v0, v[94:95], off
	global_load_dword v92, v[81:82], off
	s_waitcnt vmcnt(1)
	global_store_dword v[81:82], v0, off
	s_waitcnt vmcnt(1)
	global_store_dword v[94:95], v92, off
.LBB100_16:
	s_or_b64 exec, exec, s[20:21]
	v_mov_b32_e32 v0, v93
.LBB100_17:
	s_or_b64 exec, exec, s[18:19]
.LBB100_18:
	s_or_saveexec_b64 s[0:1], s[0:1]
	v_mov_b32_e32 v92, v0
	s_xor_b64 exec, exec, s[0:1]
	s_cbranch_execz .LBB100_20
; %bb.19:
	buffer_load_dword v81, off, s[24:27], 0 offset:424 ; 4-byte Folded Reload
	buffer_load_dword v82, off, s[24:27], 0 offset:428 ; 4-byte Folded Reload
	buffer_load_dword v83, off, s[24:27], 0 offset:432 ; 4-byte Folded Reload
	buffer_load_dword v84, off, s[24:27], 0 offset:436 ; 4-byte Folded Reload
	v_mov_b32_e32 v92, 0
	s_waitcnt vmcnt(0)
	ds_write2_b64 v90, v[81:82], v[83:84] offset0:2 offset1:3
	buffer_load_dword v81, off, s[24:27], 0 offset:408 ; 4-byte Folded Reload
	buffer_load_dword v82, off, s[24:27], 0 offset:412 ; 4-byte Folded Reload
	buffer_load_dword v83, off, s[24:27], 0 offset:416 ; 4-byte Folded Reload
	buffer_load_dword v84, off, s[24:27], 0 offset:420 ; 4-byte Folded Reload
	s_waitcnt vmcnt(0)
	ds_write2_b64 v90, v[81:82], v[83:84] offset0:4 offset1:5
	buffer_load_dword v81, off, s[24:27], 0 offset:384 ; 4-byte Folded Reload
	buffer_load_dword v82, off, s[24:27], 0 offset:388 ; 4-byte Folded Reload
	buffer_load_dword v83, off, s[24:27], 0 offset:392 ; 4-byte Folded Reload
	buffer_load_dword v84, off, s[24:27], 0 offset:396 ; 4-byte Folded Reload
	;; [unrolled: 6-line block ×25, first 2 shown]
	s_waitcnt vmcnt(0)
	ds_write2_b64 v90, v[81:82], v[83:84] offset0:52 offset1:53
	buffer_load_dword v81, off, s[24:27], 0 ; 4-byte Folded Reload
	buffer_load_dword v82, off, s[24:27], 0 offset:4 ; 4-byte Folded Reload
	buffer_load_dword v83, off, s[24:27], 0 offset:8 ; 4-byte Folded Reload
	;; [unrolled: 1-line block ×3, first 2 shown]
	s_waitcnt vmcnt(0)
	ds_write2_b64 v90, v[81:82], v[83:84] offset0:54 offset1:55
	ds_write2_b64 v90, v[111:112], v[113:114] offset0:56 offset1:57
	ds_write2_b64 v90, v[85:86], v[87:88] offset0:58 offset1:59
	ds_write2_b64 v90, v[77:78], v[79:80] offset0:60 offset1:61
	ds_write2_b64 v90, v[73:74], v[75:76] offset0:62 offset1:63
	ds_write2_b64 v90, v[69:70], v[71:72] offset0:64 offset1:65
	ds_write2_b64 v90, v[65:66], v[67:68] offset0:66 offset1:67
	ds_write2_b64 v90, v[61:62], v[63:64] offset0:68 offset1:69
	ds_write2_b64 v90, v[57:58], v[59:60] offset0:70 offset1:71
	ds_write2_b64 v90, v[53:54], v[55:56] offset0:72 offset1:73
	ds_write2_b64 v90, v[49:50], v[51:52] offset0:74 offset1:75
	ds_write2_b64 v90, v[45:46], v[47:48] offset0:76 offset1:77
	ds_write2_b64 v90, v[41:42], v[43:44] offset0:78 offset1:79
	ds_write2_b64 v90, v[37:38], v[39:40] offset0:80 offset1:81
	ds_write2_b64 v90, v[33:34], v[35:36] offset0:82 offset1:83
	ds_write2_b64 v90, v[29:30], v[31:32] offset0:84 offset1:85
	ds_write2_b64 v90, v[25:26], v[27:28] offset0:86 offset1:87
	ds_write2_b64 v90, v[21:22], v[23:24] offset0:88 offset1:89
	ds_write2_b64 v90, v[17:18], v[19:20] offset0:90 offset1:91
	ds_write2_b64 v90, v[13:14], v[15:16] offset0:92 offset1:93
	ds_write2_b64 v90, v[9:10], v[11:12] offset0:94 offset1:95
	ds_write2_b64 v90, v[5:6], v[7:8] offset0:96 offset1:97
	ds_write2_b64 v90, v[1:2], v[3:4] offset0:98 offset1:99
	ds_write2_b64 v90, v[121:122], v[123:124] offset0:100 offset1:101
.LBB100_20:
	s_or_b64 exec, exec, s[0:1]
	v_cmp_lt_i32_e32 vcc, 0, v92
	s_waitcnt vmcnt(0) lgkmcnt(0)
	s_barrier
	s_and_saveexec_b64 s[0:1], vcc
	s_cbranch_execz .LBB100_22
; %bb.21:
	buffer_load_dword v101, off, s[24:27], 0 offset:440 ; 4-byte Folded Reload
	buffer_load_dword v102, off, s[24:27], 0 offset:444 ; 4-byte Folded Reload
	;; [unrolled: 1-line block ×4, first 2 shown]
	s_waitcnt vmcnt(0)
	v_mul_f64 v[93:94], v[119:120], v[103:104]
	v_fma_f64 v[125:126], v[117:118], v[101:102], -v[93:94]
	v_mul_f64 v[93:94], v[117:118], v[103:104]
	v_fma_f64 v[103:104], v[119:120], v[101:102], v[93:94]
	ds_read2_b64 v[93:96], v90 offset0:2 offset1:3
	buffer_load_dword v81, off, s[24:27], 0 offset:424 ; 4-byte Folded Reload
	buffer_load_dword v82, off, s[24:27], 0 offset:428 ; 4-byte Folded Reload
	buffer_load_dword v83, off, s[24:27], 0 offset:432 ; 4-byte Folded Reload
	buffer_load_dword v84, off, s[24:27], 0 offset:436 ; 4-byte Folded Reload
	s_waitcnt lgkmcnt(0)
	v_mul_f64 v[99:100], v[95:96], v[103:104]
	v_fma_f64 v[99:100], v[93:94], v[125:126], -v[99:100]
	v_mul_f64 v[93:94], v[93:94], v[103:104]
	v_fma_f64 v[93:94], v[95:96], v[125:126], v[93:94]
	s_waitcnt vmcnt(2)
	v_add_f64 v[81:82], v[81:82], -v[99:100]
	s_waitcnt vmcnt(0)
	v_add_f64 v[83:84], v[83:84], -v[93:94]
	buffer_store_dword v81, off, s[24:27], 0 offset:424 ; 4-byte Folded Spill
	s_nop 0
	buffer_store_dword v82, off, s[24:27], 0 offset:428 ; 4-byte Folded Spill
	buffer_store_dword v83, off, s[24:27], 0 offset:432 ; 4-byte Folded Spill
	buffer_store_dword v84, off, s[24:27], 0 offset:436 ; 4-byte Folded Spill
	ds_read2_b64 v[93:96], v90 offset0:4 offset1:5
	buffer_load_dword v81, off, s[24:27], 0 offset:408 ; 4-byte Folded Reload
	buffer_load_dword v82, off, s[24:27], 0 offset:412 ; 4-byte Folded Reload
	buffer_load_dword v83, off, s[24:27], 0 offset:416 ; 4-byte Folded Reload
	buffer_load_dword v84, off, s[24:27], 0 offset:420 ; 4-byte Folded Reload
	s_waitcnt lgkmcnt(0)
	v_mul_f64 v[99:100], v[95:96], v[103:104]
	v_fma_f64 v[99:100], v[93:94], v[125:126], -v[99:100]
	v_mul_f64 v[93:94], v[93:94], v[103:104]
	v_fma_f64 v[93:94], v[95:96], v[125:126], v[93:94]
	s_waitcnt vmcnt(2)
	v_add_f64 v[81:82], v[81:82], -v[99:100]
	s_waitcnt vmcnt(0)
	v_add_f64 v[83:84], v[83:84], -v[93:94]
	buffer_store_dword v81, off, s[24:27], 0 offset:408 ; 4-byte Folded Spill
	s_nop 0
	buffer_store_dword v82, off, s[24:27], 0 offset:412 ; 4-byte Folded Spill
	buffer_store_dword v83, off, s[24:27], 0 offset:416 ; 4-byte Folded Spill
	buffer_store_dword v84, off, s[24:27], 0 offset:420 ; 4-byte Folded Spill
	;; [unrolled: 19-line block ×26, first 2 shown]
	ds_read2_b64 v[93:96], v90 offset0:54 offset1:55
	buffer_load_dword v81, off, s[24:27], 0 ; 4-byte Folded Reload
	buffer_load_dword v82, off, s[24:27], 0 offset:4 ; 4-byte Folded Reload
	buffer_load_dword v83, off, s[24:27], 0 offset:8 ; 4-byte Folded Reload
	;; [unrolled: 1-line block ×3, first 2 shown]
	s_waitcnt lgkmcnt(0)
	v_mul_f64 v[99:100], v[95:96], v[103:104]
	v_fma_f64 v[99:100], v[93:94], v[125:126], -v[99:100]
	v_mul_f64 v[93:94], v[93:94], v[103:104]
	v_fma_f64 v[93:94], v[95:96], v[125:126], v[93:94]
	s_waitcnt vmcnt(2)
	v_add_f64 v[81:82], v[81:82], -v[99:100]
	s_waitcnt vmcnt(0)
	v_add_f64 v[83:84], v[83:84], -v[93:94]
	buffer_store_dword v81, off, s[24:27], 0 ; 4-byte Folded Spill
	s_nop 0
	buffer_store_dword v82, off, s[24:27], 0 offset:4 ; 4-byte Folded Spill
	buffer_store_dword v83, off, s[24:27], 0 offset:8 ; 4-byte Folded Spill
	;; [unrolled: 1-line block ×3, first 2 shown]
	ds_read2_b64 v[93:96], v90 offset0:56 offset1:57
	s_waitcnt lgkmcnt(0)
	v_mul_f64 v[99:100], v[95:96], v[103:104]
	v_fma_f64 v[99:100], v[93:94], v[125:126], -v[99:100]
	v_mul_f64 v[93:94], v[93:94], v[103:104]
	v_add_f64 v[111:112], v[111:112], -v[99:100]
	v_fma_f64 v[93:94], v[95:96], v[125:126], v[93:94]
	v_add_f64 v[113:114], v[113:114], -v[93:94]
	ds_read2_b64 v[93:96], v90 offset0:58 offset1:59
	s_waitcnt lgkmcnt(0)
	v_mul_f64 v[99:100], v[95:96], v[103:104]
	v_fma_f64 v[99:100], v[93:94], v[125:126], -v[99:100]
	v_mul_f64 v[93:94], v[93:94], v[103:104]
	v_add_f64 v[85:86], v[85:86], -v[99:100]
	v_fma_f64 v[93:94], v[95:96], v[125:126], v[93:94]
	v_add_f64 v[87:88], v[87:88], -v[93:94]
	;; [unrolled: 8-line block ×21, first 2 shown]
	ds_read2_b64 v[93:96], v90 offset0:98 offset1:99
	s_waitcnt lgkmcnt(0)
	v_mul_f64 v[99:100], v[95:96], v[103:104]
	v_fma_f64 v[99:100], v[93:94], v[125:126], -v[99:100]
	v_mul_f64 v[93:94], v[93:94], v[103:104]
	v_add_f64 v[1:2], v[1:2], -v[99:100]
	v_fma_f64 v[93:94], v[95:96], v[125:126], v[93:94]
	ds_read2_b64 v[99:102], v90 offset0:100 offset1:101
	s_waitcnt lgkmcnt(0)
	v_mul_f64 v[95:96], v[99:100], v[103:104]
	v_add_f64 v[3:4], v[3:4], -v[93:94]
	v_mul_f64 v[93:94], v[101:102], v[103:104]
	v_fma_f64 v[95:96], v[101:102], v[125:126], v[95:96]
	v_mov_b32_e32 v101, v125
	v_mov_b32_e32 v102, v126
	v_fma_f64 v[93:94], v[99:100], v[125:126], -v[93:94]
	buffer_store_dword v101, off, s[24:27], 0 offset:440 ; 4-byte Folded Spill
	s_nop 0
	buffer_store_dword v102, off, s[24:27], 0 offset:444 ; 4-byte Folded Spill
	buffer_store_dword v103, off, s[24:27], 0 offset:448 ; 4-byte Folded Spill
	;; [unrolled: 1-line block ×3, first 2 shown]
	v_add_f64 v[123:124], v[123:124], -v[95:96]
	v_add_f64 v[121:122], v[121:122], -v[93:94]
.LBB100_22:
	s_or_b64 exec, exec, s[0:1]
	s_waitcnt vmcnt(0)
	s_barrier
	buffer_load_dword v81, off, s[24:27], 0 offset:424 ; 4-byte Folded Reload
	buffer_load_dword v82, off, s[24:27], 0 offset:428 ; 4-byte Folded Reload
	;; [unrolled: 1-line block ×4, first 2 shown]
	v_lshl_add_u32 v93, v92, 4, v90
	s_cmp_lt_i32 s3, 3
	s_waitcnt vmcnt(0)
	ds_write2_b64 v93, v[81:82], v[83:84] offset1:1
	s_waitcnt lgkmcnt(0)
	s_barrier
	ds_read2_b64 v[117:120], v90 offset0:2 offset1:3
	v_mov_b32_e32 v93, 1
	s_cbranch_scc1 .LBB100_25
; %bb.23:
	v_add3_u32 v94, v97, 0, 32
	s_mov_b32 s0, 2
	v_mov_b32_e32 v93, 1
.LBB100_24:                             ; =>This Inner Loop Header: Depth=1
	s_waitcnt lgkmcnt(0)
	v_cmp_gt_f64_e32 vcc, 0, v[117:118]
	v_xor_b32_e32 v95, 0x80000000, v118
	ds_read2_b64 v[99:102], v94 offset1:1
	v_xor_b32_e32 v103, 0x80000000, v120
	v_add_u32_e32 v94, 16, v94
	s_waitcnt lgkmcnt(0)
	v_xor_b32_e32 v105, 0x80000000, v102
	v_cndmask_b32_e32 v96, v118, v95, vcc
	v_cmp_gt_f64_e32 vcc, 0, v[119:120]
	v_mov_b32_e32 v95, v117
	v_cndmask_b32_e32 v104, v120, v103, vcc
	v_cmp_gt_f64_e32 vcc, 0, v[99:100]
	v_mov_b32_e32 v103, v119
	v_add_f64 v[95:96], v[95:96], v[103:104]
	v_xor_b32_e32 v103, 0x80000000, v100
	v_cndmask_b32_e32 v104, v100, v103, vcc
	v_cmp_gt_f64_e32 vcc, 0, v[101:102]
	v_mov_b32_e32 v103, v99
	v_cndmask_b32_e32 v106, v102, v105, vcc
	v_mov_b32_e32 v105, v101
	v_add_f64 v[103:104], v[103:104], v[105:106]
	v_cmp_lt_f64_e32 vcc, v[95:96], v[103:104]
	v_mov_b32_e32 v95, s0
	s_add_i32 s0, s0, 1
	s_cmp_lg_u32 s3, s0
	v_cndmask_b32_e32 v118, v118, v100, vcc
	v_cndmask_b32_e32 v117, v117, v99, vcc
	;; [unrolled: 1-line block ×5, first 2 shown]
	s_cbranch_scc1 .LBB100_24
.LBB100_25:
	s_waitcnt lgkmcnt(0)
	v_cmp_neq_f64_e32 vcc, 0, v[117:118]
	v_cmp_neq_f64_e64 s[0:1], 0, v[119:120]
	s_or_b64 s[18:19], vcc, s[0:1]
	s_and_saveexec_b64 s[0:1], s[18:19]
	s_cbranch_execz .LBB100_31
; %bb.26:
	v_cmp_ngt_f64_e64 s[18:19], |v[117:118]|, |v[119:120]|
	s_and_saveexec_b64 s[20:21], s[18:19]
	s_xor_b64 s[18:19], exec, s[20:21]
	s_cbranch_execz .LBB100_28
; %bb.27:
	v_div_scale_f64 v[94:95], s[20:21], v[119:120], v[119:120], v[117:118]
	v_rcp_f64_e32 v[99:100], v[94:95]
	v_fma_f64 v[101:102], -v[94:95], v[99:100], 1.0
	v_fma_f64 v[99:100], v[99:100], v[101:102], v[99:100]
	v_div_scale_f64 v[101:102], vcc, v[117:118], v[119:120], v[117:118]
	v_fma_f64 v[103:104], -v[94:95], v[99:100], 1.0
	v_fma_f64 v[99:100], v[99:100], v[103:104], v[99:100]
	v_mul_f64 v[103:104], v[101:102], v[99:100]
	v_fma_f64 v[94:95], -v[94:95], v[103:104], v[101:102]
	v_div_fmas_f64 v[94:95], v[94:95], v[99:100], v[103:104]
	v_div_fixup_f64 v[94:95], v[94:95], v[119:120], v[117:118]
	v_fma_f64 v[99:100], v[117:118], v[94:95], v[119:120]
	v_div_scale_f64 v[101:102], s[20:21], v[99:100], v[99:100], 1.0
	v_div_scale_f64 v[107:108], vcc, 1.0, v[99:100], 1.0
	v_rcp_f64_e32 v[103:104], v[101:102]
	v_fma_f64 v[105:106], -v[101:102], v[103:104], 1.0
	v_fma_f64 v[103:104], v[103:104], v[105:106], v[103:104]
	v_fma_f64 v[105:106], -v[101:102], v[103:104], 1.0
	v_fma_f64 v[103:104], v[103:104], v[105:106], v[103:104]
	v_mul_f64 v[105:106], v[107:108], v[103:104]
	v_fma_f64 v[101:102], -v[101:102], v[105:106], v[107:108]
	v_div_fmas_f64 v[101:102], v[101:102], v[103:104], v[105:106]
	v_div_fixup_f64 v[119:120], v[101:102], v[99:100], 1.0
	v_mul_f64 v[117:118], v[94:95], v[119:120]
	v_xor_b32_e32 v120, 0x80000000, v120
.LBB100_28:
	s_andn2_saveexec_b64 s[18:19], s[18:19]
	s_cbranch_execz .LBB100_30
; %bb.29:
	v_div_scale_f64 v[94:95], s[20:21], v[117:118], v[117:118], v[119:120]
	v_rcp_f64_e32 v[99:100], v[94:95]
	v_fma_f64 v[101:102], -v[94:95], v[99:100], 1.0
	v_fma_f64 v[99:100], v[99:100], v[101:102], v[99:100]
	v_div_scale_f64 v[101:102], vcc, v[119:120], v[117:118], v[119:120]
	v_fma_f64 v[103:104], -v[94:95], v[99:100], 1.0
	v_fma_f64 v[99:100], v[99:100], v[103:104], v[99:100]
	v_mul_f64 v[103:104], v[101:102], v[99:100]
	v_fma_f64 v[94:95], -v[94:95], v[103:104], v[101:102]
	v_div_fmas_f64 v[94:95], v[94:95], v[99:100], v[103:104]
	v_div_fixup_f64 v[94:95], v[94:95], v[117:118], v[119:120]
	v_fma_f64 v[99:100], v[119:120], v[94:95], v[117:118]
	v_div_scale_f64 v[101:102], s[20:21], v[99:100], v[99:100], 1.0
	v_div_scale_f64 v[107:108], vcc, 1.0, v[99:100], 1.0
	v_rcp_f64_e32 v[103:104], v[101:102]
	v_fma_f64 v[105:106], -v[101:102], v[103:104], 1.0
	v_fma_f64 v[103:104], v[103:104], v[105:106], v[103:104]
	v_fma_f64 v[105:106], -v[101:102], v[103:104], 1.0
	v_fma_f64 v[103:104], v[103:104], v[105:106], v[103:104]
	v_mul_f64 v[105:106], v[107:108], v[103:104]
	v_fma_f64 v[101:102], -v[101:102], v[105:106], v[107:108]
	v_div_fmas_f64 v[101:102], v[101:102], v[103:104], v[105:106]
	v_div_fixup_f64 v[117:118], v[101:102], v[99:100], 1.0
	v_mul_f64 v[119:120], v[94:95], -v[117:118]
.LBB100_30:
	s_or_b64 exec, exec, s[18:19]
	v_mov_b32_e32 v91, v98
.LBB100_31:
	s_or_b64 exec, exec, s[0:1]
	v_cmp_ne_u32_e32 vcc, v92, v93
	s_and_saveexec_b64 s[0:1], vcc
	s_xor_b64 s[0:1], exec, s[0:1]
	s_cbranch_execz .LBB100_37
; %bb.32:
	v_cmp_eq_u32_e32 vcc, 1, v92
	s_and_saveexec_b64 s[18:19], vcc
	s_cbranch_execz .LBB100_36
; %bb.33:
	v_cmp_ne_u32_e32 vcc, 1, v93
	s_xor_b64 s[20:21], s[6:7], -1
	s_and_b64 s[22:23], s[20:21], vcc
	s_and_saveexec_b64 s[20:21], s[22:23]
	s_cbranch_execz .LBB100_35
; %bb.34:
	buffer_load_dword v81, off, s[24:27], 0 offset:400 ; 4-byte Folded Reload
	buffer_load_dword v82, off, s[24:27], 0 offset:404 ; 4-byte Folded Reload
	v_ashrrev_i32_e32 v94, 31, v93
	v_lshlrev_b64 v[94:95], 2, v[93:94]
	s_waitcnt vmcnt(1)
	v_add_co_u32_e32 v94, vcc, v81, v94
	s_waitcnt vmcnt(0)
	v_addc_co_u32_e32 v95, vcc, v82, v95, vcc
	global_load_dword v0, v[94:95], off
	global_load_dword v92, v[81:82], off offset:4
	s_waitcnt vmcnt(1)
	global_store_dword v[81:82], v0, off offset:4
	s_waitcnt vmcnt(1)
	global_store_dword v[94:95], v92, off
.LBB100_35:
	s_or_b64 exec, exec, s[20:21]
	v_mov_b32_e32 v92, v93
	v_mov_b32_e32 v0, v93
.LBB100_36:
	s_or_b64 exec, exec, s[18:19]
.LBB100_37:
	s_andn2_saveexec_b64 s[0:1], s[0:1]
	s_cbranch_execz .LBB100_39
; %bb.38:
	buffer_load_dword v81, off, s[24:27], 0 offset:408 ; 4-byte Folded Reload
	buffer_load_dword v82, off, s[24:27], 0 offset:412 ; 4-byte Folded Reload
	buffer_load_dword v83, off, s[24:27], 0 offset:416 ; 4-byte Folded Reload
	buffer_load_dword v84, off, s[24:27], 0 offset:420 ; 4-byte Folded Reload
	v_mov_b32_e32 v92, 1
	s_waitcnt vmcnt(0)
	ds_write2_b64 v90, v[81:82], v[83:84] offset0:4 offset1:5
	buffer_load_dword v81, off, s[24:27], 0 offset:384 ; 4-byte Folded Reload
	buffer_load_dword v82, off, s[24:27], 0 offset:388 ; 4-byte Folded Reload
	buffer_load_dword v83, off, s[24:27], 0 offset:392 ; 4-byte Folded Reload
	buffer_load_dword v84, off, s[24:27], 0 offset:396 ; 4-byte Folded Reload
	s_waitcnt vmcnt(0)
	ds_write2_b64 v90, v[81:82], v[83:84] offset0:6 offset1:7
	buffer_load_dword v81, off, s[24:27], 0 offset:368 ; 4-byte Folded Reload
	buffer_load_dword v82, off, s[24:27], 0 offset:372 ; 4-byte Folded Reload
	buffer_load_dword v83, off, s[24:27], 0 offset:376 ; 4-byte Folded Reload
	buffer_load_dword v84, off, s[24:27], 0 offset:380 ; 4-byte Folded Reload
	;; [unrolled: 6-line block ×24, first 2 shown]
	s_waitcnt vmcnt(0)
	ds_write2_b64 v90, v[81:82], v[83:84] offset0:52 offset1:53
	buffer_load_dword v81, off, s[24:27], 0 ; 4-byte Folded Reload
	buffer_load_dword v82, off, s[24:27], 0 offset:4 ; 4-byte Folded Reload
	buffer_load_dword v83, off, s[24:27], 0 offset:8 ; 4-byte Folded Reload
	buffer_load_dword v84, off, s[24:27], 0 offset:12 ; 4-byte Folded Reload
	s_waitcnt vmcnt(0)
	ds_write2_b64 v90, v[81:82], v[83:84] offset0:54 offset1:55
	ds_write2_b64 v90, v[111:112], v[113:114] offset0:56 offset1:57
	;; [unrolled: 1-line block ×24, first 2 shown]
.LBB100_39:
	s_or_b64 exec, exec, s[0:1]
	v_cmp_lt_i32_e32 vcc, 1, v92
	s_waitcnt vmcnt(0) lgkmcnt(0)
	s_barrier
	s_and_saveexec_b64 s[0:1], vcc
	s_cbranch_execz .LBB100_41
; %bb.40:
	buffer_load_dword v100, off, s[24:27], 0 offset:424 ; 4-byte Folded Reload
	buffer_load_dword v101, off, s[24:27], 0 offset:428 ; 4-byte Folded Reload
	;; [unrolled: 1-line block ×4, first 2 shown]
	s_waitcnt vmcnt(0)
	v_mul_f64 v[93:94], v[119:120], v[102:103]
	v_fma_f64 v[125:126], v[117:118], v[100:101], -v[93:94]
	v_mul_f64 v[93:94], v[117:118], v[102:103]
	v_fma_f64 v[102:103], v[119:120], v[100:101], v[93:94]
	ds_read2_b64 v[93:96], v90 offset0:4 offset1:5
	buffer_load_dword v81, off, s[24:27], 0 offset:408 ; 4-byte Folded Reload
	buffer_load_dword v82, off, s[24:27], 0 offset:412 ; 4-byte Folded Reload
	buffer_load_dword v83, off, s[24:27], 0 offset:416 ; 4-byte Folded Reload
	buffer_load_dword v84, off, s[24:27], 0 offset:420 ; 4-byte Folded Reload
	s_waitcnt lgkmcnt(0)
	v_mul_f64 v[98:99], v[95:96], v[102:103]
	v_fma_f64 v[98:99], v[93:94], v[125:126], -v[98:99]
	v_mul_f64 v[93:94], v[93:94], v[102:103]
	v_fma_f64 v[93:94], v[95:96], v[125:126], v[93:94]
	s_waitcnt vmcnt(2)
	v_add_f64 v[81:82], v[81:82], -v[98:99]
	s_waitcnt vmcnt(0)
	v_add_f64 v[83:84], v[83:84], -v[93:94]
	buffer_store_dword v81, off, s[24:27], 0 offset:408 ; 4-byte Folded Spill
	s_nop 0
	buffer_store_dword v82, off, s[24:27], 0 offset:412 ; 4-byte Folded Spill
	buffer_store_dword v83, off, s[24:27], 0 offset:416 ; 4-byte Folded Spill
	buffer_store_dword v84, off, s[24:27], 0 offset:420 ; 4-byte Folded Spill
	ds_read2_b64 v[93:96], v90 offset0:6 offset1:7
	buffer_load_dword v81, off, s[24:27], 0 offset:384 ; 4-byte Folded Reload
	buffer_load_dword v82, off, s[24:27], 0 offset:388 ; 4-byte Folded Reload
	buffer_load_dword v83, off, s[24:27], 0 offset:392 ; 4-byte Folded Reload
	buffer_load_dword v84, off, s[24:27], 0 offset:396 ; 4-byte Folded Reload
	s_waitcnt lgkmcnt(0)
	v_mul_f64 v[98:99], v[95:96], v[102:103]
	v_fma_f64 v[98:99], v[93:94], v[125:126], -v[98:99]
	v_mul_f64 v[93:94], v[93:94], v[102:103]
	v_fma_f64 v[93:94], v[95:96], v[125:126], v[93:94]
	s_waitcnt vmcnt(2)
	v_add_f64 v[81:82], v[81:82], -v[98:99]
	s_waitcnt vmcnt(0)
	v_add_f64 v[83:84], v[83:84], -v[93:94]
	buffer_store_dword v81, off, s[24:27], 0 offset:384 ; 4-byte Folded Spill
	s_nop 0
	buffer_store_dword v82, off, s[24:27], 0 offset:388 ; 4-byte Folded Spill
	buffer_store_dword v83, off, s[24:27], 0 offset:392 ; 4-byte Folded Spill
	buffer_store_dword v84, off, s[24:27], 0 offset:396 ; 4-byte Folded Spill
	;; [unrolled: 19-line block ×25, first 2 shown]
	ds_read2_b64 v[93:96], v90 offset0:54 offset1:55
	buffer_load_dword v81, off, s[24:27], 0 ; 4-byte Folded Reload
	buffer_load_dword v82, off, s[24:27], 0 offset:4 ; 4-byte Folded Reload
	buffer_load_dword v83, off, s[24:27], 0 offset:8 ; 4-byte Folded Reload
	;; [unrolled: 1-line block ×3, first 2 shown]
	s_waitcnt lgkmcnt(0)
	v_mul_f64 v[98:99], v[95:96], v[102:103]
	v_fma_f64 v[98:99], v[93:94], v[125:126], -v[98:99]
	v_mul_f64 v[93:94], v[93:94], v[102:103]
	v_fma_f64 v[93:94], v[95:96], v[125:126], v[93:94]
	s_waitcnt vmcnt(2)
	v_add_f64 v[81:82], v[81:82], -v[98:99]
	s_waitcnt vmcnt(0)
	v_add_f64 v[83:84], v[83:84], -v[93:94]
	buffer_store_dword v81, off, s[24:27], 0 ; 4-byte Folded Spill
	s_nop 0
	buffer_store_dword v82, off, s[24:27], 0 offset:4 ; 4-byte Folded Spill
	buffer_store_dword v83, off, s[24:27], 0 offset:8 ; 4-byte Folded Spill
	;; [unrolled: 1-line block ×3, first 2 shown]
	ds_read2_b64 v[93:96], v90 offset0:56 offset1:57
	s_waitcnt lgkmcnt(0)
	v_mul_f64 v[98:99], v[95:96], v[102:103]
	v_fma_f64 v[98:99], v[93:94], v[125:126], -v[98:99]
	v_mul_f64 v[93:94], v[93:94], v[102:103]
	v_add_f64 v[111:112], v[111:112], -v[98:99]
	v_fma_f64 v[93:94], v[95:96], v[125:126], v[93:94]
	v_add_f64 v[113:114], v[113:114], -v[93:94]
	ds_read2_b64 v[93:96], v90 offset0:58 offset1:59
	s_waitcnt lgkmcnt(0)
	v_mul_f64 v[98:99], v[95:96], v[102:103]
	v_fma_f64 v[98:99], v[93:94], v[125:126], -v[98:99]
	v_mul_f64 v[93:94], v[93:94], v[102:103]
	v_add_f64 v[85:86], v[85:86], -v[98:99]
	v_fma_f64 v[93:94], v[95:96], v[125:126], v[93:94]
	v_add_f64 v[87:88], v[87:88], -v[93:94]
	;; [unrolled: 8-line block ×21, first 2 shown]
	ds_read2_b64 v[93:96], v90 offset0:98 offset1:99
	s_waitcnt lgkmcnt(0)
	v_mul_f64 v[98:99], v[95:96], v[102:103]
	v_fma_f64 v[98:99], v[93:94], v[125:126], -v[98:99]
	v_mul_f64 v[93:94], v[93:94], v[102:103]
	v_add_f64 v[1:2], v[1:2], -v[98:99]
	v_fma_f64 v[93:94], v[95:96], v[125:126], v[93:94]
	ds_read2_b64 v[98:101], v90 offset0:100 offset1:101
	s_waitcnt lgkmcnt(0)
	v_mul_f64 v[95:96], v[98:99], v[102:103]
	v_add_f64 v[3:4], v[3:4], -v[93:94]
	v_mul_f64 v[93:94], v[100:101], v[102:103]
	v_fma_f64 v[95:96], v[100:101], v[125:126], v[95:96]
	v_mov_b32_e32 v100, v125
	v_mov_b32_e32 v101, v126
	v_fma_f64 v[93:94], v[98:99], v[125:126], -v[93:94]
	buffer_store_dword v100, off, s[24:27], 0 offset:424 ; 4-byte Folded Spill
	s_nop 0
	buffer_store_dword v101, off, s[24:27], 0 offset:428 ; 4-byte Folded Spill
	buffer_store_dword v102, off, s[24:27], 0 offset:432 ; 4-byte Folded Spill
	;; [unrolled: 1-line block ×3, first 2 shown]
	v_add_f64 v[123:124], v[123:124], -v[95:96]
	v_add_f64 v[121:122], v[121:122], -v[93:94]
.LBB100_41:
	s_or_b64 exec, exec, s[0:1]
	s_waitcnt vmcnt(0)
	s_barrier
	buffer_load_dword v81, off, s[24:27], 0 offset:408 ; 4-byte Folded Reload
	buffer_load_dword v82, off, s[24:27], 0 offset:412 ; 4-byte Folded Reload
	;; [unrolled: 1-line block ×4, first 2 shown]
	v_lshl_add_u32 v93, v92, 4, v90
	s_cmp_lt_i32 s3, 4
	s_waitcnt vmcnt(0)
	ds_write2_b64 v93, v[81:82], v[83:84] offset1:1
	s_waitcnt lgkmcnt(0)
	s_barrier
	ds_read2_b64 v[117:120], v90 offset0:4 offset1:5
	v_mov_b32_e32 v93, 2
	s_cbranch_scc1 .LBB100_44
; %bb.42:
	v_add3_u32 v94, v97, 0, 48
	s_mov_b32 s0, 3
	v_mov_b32_e32 v93, 2
.LBB100_43:                             ; =>This Inner Loop Header: Depth=1
	s_waitcnt lgkmcnt(0)
	v_cmp_gt_f64_e32 vcc, 0, v[117:118]
	v_xor_b32_e32 v95, 0x80000000, v118
	ds_read2_b64 v[98:101], v94 offset1:1
	v_xor_b32_e32 v102, 0x80000000, v120
	v_add_u32_e32 v94, 16, v94
	s_waitcnt lgkmcnt(0)
	v_xor_b32_e32 v104, 0x80000000, v101
	v_cndmask_b32_e32 v96, v118, v95, vcc
	v_cmp_gt_f64_e32 vcc, 0, v[119:120]
	v_mov_b32_e32 v95, v117
	v_cndmask_b32_e32 v103, v120, v102, vcc
	v_cmp_gt_f64_e32 vcc, 0, v[98:99]
	v_mov_b32_e32 v102, v119
	v_add_f64 v[95:96], v[95:96], v[102:103]
	v_xor_b32_e32 v102, 0x80000000, v99
	v_cndmask_b32_e32 v103, v99, v102, vcc
	v_cmp_gt_f64_e32 vcc, 0, v[100:101]
	v_mov_b32_e32 v102, v98
	v_cndmask_b32_e32 v105, v101, v104, vcc
	v_mov_b32_e32 v104, v100
	v_add_f64 v[102:103], v[102:103], v[104:105]
	v_cmp_lt_f64_e32 vcc, v[95:96], v[102:103]
	v_mov_b32_e32 v95, s0
	s_add_i32 s0, s0, 1
	s_cmp_lg_u32 s3, s0
	v_cndmask_b32_e32 v118, v118, v99, vcc
	v_cndmask_b32_e32 v117, v117, v98, vcc
	;; [unrolled: 1-line block ×5, first 2 shown]
	s_cbranch_scc1 .LBB100_43
.LBB100_44:
	s_waitcnt lgkmcnt(0)
	v_cmp_eq_f64_e32 vcc, 0, v[117:118]
	v_cmp_eq_f64_e64 s[0:1], 0, v[119:120]
	s_and_b64 s[0:1], vcc, s[0:1]
	s_and_saveexec_b64 s[18:19], s[0:1]
	s_xor_b64 s[0:1], exec, s[18:19]
; %bb.45:
	v_cmp_ne_u32_e32 vcc, 0, v91
	v_cndmask_b32_e32 v91, 3, v91, vcc
; %bb.46:
	s_andn2_saveexec_b64 s[0:1], s[0:1]
	s_cbranch_execz .LBB100_52
; %bb.47:
	v_cmp_ngt_f64_e64 s[18:19], |v[117:118]|, |v[119:120]|
	s_and_saveexec_b64 s[20:21], s[18:19]
	s_xor_b64 s[18:19], exec, s[20:21]
	s_cbranch_execz .LBB100_49
; %bb.48:
	v_div_scale_f64 v[94:95], s[20:21], v[119:120], v[119:120], v[117:118]
	v_rcp_f64_e32 v[98:99], v[94:95]
	v_fma_f64 v[100:101], -v[94:95], v[98:99], 1.0
	v_fma_f64 v[98:99], v[98:99], v[100:101], v[98:99]
	v_div_scale_f64 v[100:101], vcc, v[117:118], v[119:120], v[117:118]
	v_fma_f64 v[102:103], -v[94:95], v[98:99], 1.0
	v_fma_f64 v[98:99], v[98:99], v[102:103], v[98:99]
	v_mul_f64 v[102:103], v[100:101], v[98:99]
	v_fma_f64 v[94:95], -v[94:95], v[102:103], v[100:101]
	v_div_fmas_f64 v[94:95], v[94:95], v[98:99], v[102:103]
	v_div_fixup_f64 v[94:95], v[94:95], v[119:120], v[117:118]
	v_fma_f64 v[98:99], v[117:118], v[94:95], v[119:120]
	v_div_scale_f64 v[100:101], s[20:21], v[98:99], v[98:99], 1.0
	v_div_scale_f64 v[106:107], vcc, 1.0, v[98:99], 1.0
	v_rcp_f64_e32 v[102:103], v[100:101]
	v_fma_f64 v[104:105], -v[100:101], v[102:103], 1.0
	v_fma_f64 v[102:103], v[102:103], v[104:105], v[102:103]
	v_fma_f64 v[104:105], -v[100:101], v[102:103], 1.0
	v_fma_f64 v[102:103], v[102:103], v[104:105], v[102:103]
	v_mul_f64 v[104:105], v[106:107], v[102:103]
	v_fma_f64 v[100:101], -v[100:101], v[104:105], v[106:107]
	v_div_fmas_f64 v[100:101], v[100:101], v[102:103], v[104:105]
	v_div_fixup_f64 v[119:120], v[100:101], v[98:99], 1.0
	v_mul_f64 v[117:118], v[94:95], v[119:120]
	v_xor_b32_e32 v120, 0x80000000, v120
.LBB100_49:
	s_andn2_saveexec_b64 s[18:19], s[18:19]
	s_cbranch_execz .LBB100_51
; %bb.50:
	v_div_scale_f64 v[94:95], s[20:21], v[117:118], v[117:118], v[119:120]
	v_rcp_f64_e32 v[98:99], v[94:95]
	v_fma_f64 v[100:101], -v[94:95], v[98:99], 1.0
	v_fma_f64 v[98:99], v[98:99], v[100:101], v[98:99]
	v_div_scale_f64 v[100:101], vcc, v[119:120], v[117:118], v[119:120]
	v_fma_f64 v[102:103], -v[94:95], v[98:99], 1.0
	v_fma_f64 v[98:99], v[98:99], v[102:103], v[98:99]
	v_mul_f64 v[102:103], v[100:101], v[98:99]
	v_fma_f64 v[94:95], -v[94:95], v[102:103], v[100:101]
	v_div_fmas_f64 v[94:95], v[94:95], v[98:99], v[102:103]
	v_div_fixup_f64 v[94:95], v[94:95], v[117:118], v[119:120]
	v_fma_f64 v[98:99], v[119:120], v[94:95], v[117:118]
	v_div_scale_f64 v[100:101], s[20:21], v[98:99], v[98:99], 1.0
	v_div_scale_f64 v[106:107], vcc, 1.0, v[98:99], 1.0
	v_rcp_f64_e32 v[102:103], v[100:101]
	v_fma_f64 v[104:105], -v[100:101], v[102:103], 1.0
	v_fma_f64 v[102:103], v[102:103], v[104:105], v[102:103]
	v_fma_f64 v[104:105], -v[100:101], v[102:103], 1.0
	v_fma_f64 v[102:103], v[102:103], v[104:105], v[102:103]
	v_mul_f64 v[104:105], v[106:107], v[102:103]
	v_fma_f64 v[100:101], -v[100:101], v[104:105], v[106:107]
	v_div_fmas_f64 v[100:101], v[100:101], v[102:103], v[104:105]
	v_div_fixup_f64 v[117:118], v[100:101], v[98:99], 1.0
	v_mul_f64 v[119:120], v[94:95], -v[117:118]
.LBB100_51:
	s_or_b64 exec, exec, s[18:19]
.LBB100_52:
	s_or_b64 exec, exec, s[0:1]
	v_cmp_ne_u32_e32 vcc, v92, v93
	s_and_saveexec_b64 s[0:1], vcc
	s_xor_b64 s[0:1], exec, s[0:1]
	s_cbranch_execz .LBB100_58
; %bb.53:
	v_cmp_eq_u32_e32 vcc, 2, v92
	s_and_saveexec_b64 s[18:19], vcc
	s_cbranch_execz .LBB100_57
; %bb.54:
	v_cmp_ne_u32_e32 vcc, 2, v93
	s_xor_b64 s[20:21], s[6:7], -1
	s_and_b64 s[22:23], s[20:21], vcc
	s_and_saveexec_b64 s[20:21], s[22:23]
	s_cbranch_execz .LBB100_56
; %bb.55:
	buffer_load_dword v81, off, s[24:27], 0 offset:400 ; 4-byte Folded Reload
	buffer_load_dword v82, off, s[24:27], 0 offset:404 ; 4-byte Folded Reload
	v_ashrrev_i32_e32 v94, 31, v93
	v_lshlrev_b64 v[94:95], 2, v[93:94]
	s_waitcnt vmcnt(1)
	v_add_co_u32_e32 v94, vcc, v81, v94
	s_waitcnt vmcnt(0)
	v_addc_co_u32_e32 v95, vcc, v82, v95, vcc
	global_load_dword v0, v[94:95], off
	global_load_dword v92, v[81:82], off offset:8
	s_waitcnt vmcnt(1)
	global_store_dword v[81:82], v0, off offset:8
	s_waitcnt vmcnt(1)
	global_store_dword v[94:95], v92, off
.LBB100_56:
	s_or_b64 exec, exec, s[20:21]
	v_mov_b32_e32 v92, v93
	v_mov_b32_e32 v0, v93
.LBB100_57:
	s_or_b64 exec, exec, s[18:19]
.LBB100_58:
	s_andn2_saveexec_b64 s[0:1], s[0:1]
	s_cbranch_execz .LBB100_60
; %bb.59:
	buffer_load_dword v81, off, s[24:27], 0 offset:384 ; 4-byte Folded Reload
	buffer_load_dword v82, off, s[24:27], 0 offset:388 ; 4-byte Folded Reload
	;; [unrolled: 1-line block ×4, first 2 shown]
	v_mov_b32_e32 v92, 2
	s_waitcnt vmcnt(0)
	ds_write2_b64 v90, v[81:82], v[83:84] offset0:6 offset1:7
	buffer_load_dword v81, off, s[24:27], 0 offset:368 ; 4-byte Folded Reload
	buffer_load_dword v82, off, s[24:27], 0 offset:372 ; 4-byte Folded Reload
	buffer_load_dword v83, off, s[24:27], 0 offset:376 ; 4-byte Folded Reload
	buffer_load_dword v84, off, s[24:27], 0 offset:380 ; 4-byte Folded Reload
	s_waitcnt vmcnt(0)
	ds_write2_b64 v90, v[81:82], v[83:84] offset0:8 offset1:9
	buffer_load_dword v81, off, s[24:27], 0 offset:352 ; 4-byte Folded Reload
	buffer_load_dword v82, off, s[24:27], 0 offset:356 ; 4-byte Folded Reload
	buffer_load_dword v83, off, s[24:27], 0 offset:360 ; 4-byte Folded Reload
	buffer_load_dword v84, off, s[24:27], 0 offset:364 ; 4-byte Folded Reload
	;; [unrolled: 6-line block ×23, first 2 shown]
	s_waitcnt vmcnt(0)
	ds_write2_b64 v90, v[81:82], v[83:84] offset0:52 offset1:53
	buffer_load_dword v81, off, s[24:27], 0 ; 4-byte Folded Reload
	buffer_load_dword v82, off, s[24:27], 0 offset:4 ; 4-byte Folded Reload
	buffer_load_dword v83, off, s[24:27], 0 offset:8 ; 4-byte Folded Reload
	;; [unrolled: 1-line block ×3, first 2 shown]
	s_waitcnt vmcnt(0)
	ds_write2_b64 v90, v[81:82], v[83:84] offset0:54 offset1:55
	ds_write2_b64 v90, v[111:112], v[113:114] offset0:56 offset1:57
	ds_write2_b64 v90, v[85:86], v[87:88] offset0:58 offset1:59
	ds_write2_b64 v90, v[77:78], v[79:80] offset0:60 offset1:61
	ds_write2_b64 v90, v[73:74], v[75:76] offset0:62 offset1:63
	ds_write2_b64 v90, v[69:70], v[71:72] offset0:64 offset1:65
	ds_write2_b64 v90, v[65:66], v[67:68] offset0:66 offset1:67
	ds_write2_b64 v90, v[61:62], v[63:64] offset0:68 offset1:69
	ds_write2_b64 v90, v[57:58], v[59:60] offset0:70 offset1:71
	ds_write2_b64 v90, v[53:54], v[55:56] offset0:72 offset1:73
	ds_write2_b64 v90, v[49:50], v[51:52] offset0:74 offset1:75
	ds_write2_b64 v90, v[45:46], v[47:48] offset0:76 offset1:77
	ds_write2_b64 v90, v[41:42], v[43:44] offset0:78 offset1:79
	ds_write2_b64 v90, v[37:38], v[39:40] offset0:80 offset1:81
	ds_write2_b64 v90, v[33:34], v[35:36] offset0:82 offset1:83
	ds_write2_b64 v90, v[29:30], v[31:32] offset0:84 offset1:85
	ds_write2_b64 v90, v[25:26], v[27:28] offset0:86 offset1:87
	ds_write2_b64 v90, v[21:22], v[23:24] offset0:88 offset1:89
	ds_write2_b64 v90, v[17:18], v[19:20] offset0:90 offset1:91
	ds_write2_b64 v90, v[13:14], v[15:16] offset0:92 offset1:93
	ds_write2_b64 v90, v[9:10], v[11:12] offset0:94 offset1:95
	ds_write2_b64 v90, v[5:6], v[7:8] offset0:96 offset1:97
	ds_write2_b64 v90, v[1:2], v[3:4] offset0:98 offset1:99
	ds_write2_b64 v90, v[121:122], v[123:124] offset0:100 offset1:101
.LBB100_60:
	s_or_b64 exec, exec, s[0:1]
	v_cmp_lt_i32_e32 vcc, 2, v92
	s_waitcnt vmcnt(0) lgkmcnt(0)
	s_barrier
	s_and_saveexec_b64 s[0:1], vcc
	s_cbranch_execz .LBB100_62
; %bb.61:
	buffer_load_dword v100, off, s[24:27], 0 offset:408 ; 4-byte Folded Reload
	buffer_load_dword v101, off, s[24:27], 0 offset:412 ; 4-byte Folded Reload
	;; [unrolled: 1-line block ×4, first 2 shown]
	s_waitcnt vmcnt(0)
	v_mul_f64 v[93:94], v[119:120], v[102:103]
	v_fma_f64 v[125:126], v[117:118], v[100:101], -v[93:94]
	v_mul_f64 v[93:94], v[117:118], v[102:103]
	v_fma_f64 v[102:103], v[119:120], v[100:101], v[93:94]
	ds_read2_b64 v[93:96], v90 offset0:6 offset1:7
	buffer_load_dword v81, off, s[24:27], 0 offset:384 ; 4-byte Folded Reload
	buffer_load_dword v82, off, s[24:27], 0 offset:388 ; 4-byte Folded Reload
	buffer_load_dword v83, off, s[24:27], 0 offset:392 ; 4-byte Folded Reload
	buffer_load_dword v84, off, s[24:27], 0 offset:396 ; 4-byte Folded Reload
	s_waitcnt lgkmcnt(0)
	v_mul_f64 v[98:99], v[95:96], v[102:103]
	v_fma_f64 v[98:99], v[93:94], v[125:126], -v[98:99]
	v_mul_f64 v[93:94], v[93:94], v[102:103]
	v_fma_f64 v[93:94], v[95:96], v[125:126], v[93:94]
	s_waitcnt vmcnt(2)
	v_add_f64 v[81:82], v[81:82], -v[98:99]
	s_waitcnt vmcnt(0)
	v_add_f64 v[83:84], v[83:84], -v[93:94]
	buffer_store_dword v81, off, s[24:27], 0 offset:384 ; 4-byte Folded Spill
	s_nop 0
	buffer_store_dword v82, off, s[24:27], 0 offset:388 ; 4-byte Folded Spill
	buffer_store_dword v83, off, s[24:27], 0 offset:392 ; 4-byte Folded Spill
	buffer_store_dword v84, off, s[24:27], 0 offset:396 ; 4-byte Folded Spill
	ds_read2_b64 v[93:96], v90 offset0:8 offset1:9
	buffer_load_dword v81, off, s[24:27], 0 offset:368 ; 4-byte Folded Reload
	buffer_load_dword v82, off, s[24:27], 0 offset:372 ; 4-byte Folded Reload
	buffer_load_dword v83, off, s[24:27], 0 offset:376 ; 4-byte Folded Reload
	buffer_load_dword v84, off, s[24:27], 0 offset:380 ; 4-byte Folded Reload
	s_waitcnt lgkmcnt(0)
	v_mul_f64 v[98:99], v[95:96], v[102:103]
	v_fma_f64 v[98:99], v[93:94], v[125:126], -v[98:99]
	v_mul_f64 v[93:94], v[93:94], v[102:103]
	v_fma_f64 v[93:94], v[95:96], v[125:126], v[93:94]
	s_waitcnt vmcnt(2)
	v_add_f64 v[81:82], v[81:82], -v[98:99]
	s_waitcnt vmcnt(0)
	v_add_f64 v[83:84], v[83:84], -v[93:94]
	buffer_store_dword v81, off, s[24:27], 0 offset:368 ; 4-byte Folded Spill
	s_nop 0
	buffer_store_dword v82, off, s[24:27], 0 offset:372 ; 4-byte Folded Spill
	buffer_store_dword v83, off, s[24:27], 0 offset:376 ; 4-byte Folded Spill
	buffer_store_dword v84, off, s[24:27], 0 offset:380 ; 4-byte Folded Spill
	ds_read2_b64 v[93:96], v90 offset0:10 offset1:11
	buffer_load_dword v81, off, s[24:27], 0 offset:352 ; 4-byte Folded Reload
	buffer_load_dword v82, off, s[24:27], 0 offset:356 ; 4-byte Folded Reload
	buffer_load_dword v83, off, s[24:27], 0 offset:360 ; 4-byte Folded Reload
	buffer_load_dword v84, off, s[24:27], 0 offset:364 ; 4-byte Folded Reload
	s_waitcnt lgkmcnt(0)
	v_mul_f64 v[98:99], v[95:96], v[102:103]
	v_fma_f64 v[98:99], v[93:94], v[125:126], -v[98:99]
	v_mul_f64 v[93:94], v[93:94], v[102:103]
	v_fma_f64 v[93:94], v[95:96], v[125:126], v[93:94]
	s_waitcnt vmcnt(2)
	v_add_f64 v[81:82], v[81:82], -v[98:99]
	s_waitcnt vmcnt(0)
	v_add_f64 v[83:84], v[83:84], -v[93:94]
	buffer_store_dword v81, off, s[24:27], 0 offset:352 ; 4-byte Folded Spill
	s_nop 0
	buffer_store_dword v82, off, s[24:27], 0 offset:356 ; 4-byte Folded Spill
	buffer_store_dword v83, off, s[24:27], 0 offset:360 ; 4-byte Folded Spill
	buffer_store_dword v84, off, s[24:27], 0 offset:364 ; 4-byte Folded Spill
	ds_read2_b64 v[93:96], v90 offset0:12 offset1:13
	buffer_load_dword v81, off, s[24:27], 0 offset:336 ; 4-byte Folded Reload
	buffer_load_dword v82, off, s[24:27], 0 offset:340 ; 4-byte Folded Reload
	buffer_load_dword v83, off, s[24:27], 0 offset:344 ; 4-byte Folded Reload
	buffer_load_dword v84, off, s[24:27], 0 offset:348 ; 4-byte Folded Reload
	s_waitcnt lgkmcnt(0)
	v_mul_f64 v[98:99], v[95:96], v[102:103]
	v_fma_f64 v[98:99], v[93:94], v[125:126], -v[98:99]
	v_mul_f64 v[93:94], v[93:94], v[102:103]
	v_fma_f64 v[93:94], v[95:96], v[125:126], v[93:94]
	s_waitcnt vmcnt(2)
	v_add_f64 v[81:82], v[81:82], -v[98:99]
	s_waitcnt vmcnt(0)
	v_add_f64 v[83:84], v[83:84], -v[93:94]
	buffer_store_dword v81, off, s[24:27], 0 offset:336 ; 4-byte Folded Spill
	s_nop 0
	buffer_store_dword v82, off, s[24:27], 0 offset:340 ; 4-byte Folded Spill
	buffer_store_dword v83, off, s[24:27], 0 offset:344 ; 4-byte Folded Spill
	buffer_store_dword v84, off, s[24:27], 0 offset:348 ; 4-byte Folded Spill
	ds_read2_b64 v[93:96], v90 offset0:14 offset1:15
	buffer_load_dword v81, off, s[24:27], 0 offset:320 ; 4-byte Folded Reload
	buffer_load_dword v82, off, s[24:27], 0 offset:324 ; 4-byte Folded Reload
	buffer_load_dword v83, off, s[24:27], 0 offset:328 ; 4-byte Folded Reload
	buffer_load_dword v84, off, s[24:27], 0 offset:332 ; 4-byte Folded Reload
	s_waitcnt lgkmcnt(0)
	v_mul_f64 v[98:99], v[95:96], v[102:103]
	v_fma_f64 v[98:99], v[93:94], v[125:126], -v[98:99]
	v_mul_f64 v[93:94], v[93:94], v[102:103]
	v_fma_f64 v[93:94], v[95:96], v[125:126], v[93:94]
	s_waitcnt vmcnt(2)
	v_add_f64 v[81:82], v[81:82], -v[98:99]
	s_waitcnt vmcnt(0)
	v_add_f64 v[83:84], v[83:84], -v[93:94]
	buffer_store_dword v81, off, s[24:27], 0 offset:320 ; 4-byte Folded Spill
	s_nop 0
	buffer_store_dword v82, off, s[24:27], 0 offset:324 ; 4-byte Folded Spill
	buffer_store_dword v83, off, s[24:27], 0 offset:328 ; 4-byte Folded Spill
	buffer_store_dword v84, off, s[24:27], 0 offset:332 ; 4-byte Folded Spill
	ds_read2_b64 v[93:96], v90 offset0:16 offset1:17
	buffer_load_dword v81, off, s[24:27], 0 offset:304 ; 4-byte Folded Reload
	buffer_load_dword v82, off, s[24:27], 0 offset:308 ; 4-byte Folded Reload
	buffer_load_dword v83, off, s[24:27], 0 offset:312 ; 4-byte Folded Reload
	buffer_load_dword v84, off, s[24:27], 0 offset:316 ; 4-byte Folded Reload
	s_waitcnt lgkmcnt(0)
	v_mul_f64 v[98:99], v[95:96], v[102:103]
	v_fma_f64 v[98:99], v[93:94], v[125:126], -v[98:99]
	v_mul_f64 v[93:94], v[93:94], v[102:103]
	v_fma_f64 v[93:94], v[95:96], v[125:126], v[93:94]
	s_waitcnt vmcnt(2)
	v_add_f64 v[81:82], v[81:82], -v[98:99]
	s_waitcnt vmcnt(0)
	v_add_f64 v[83:84], v[83:84], -v[93:94]
	buffer_store_dword v81, off, s[24:27], 0 offset:304 ; 4-byte Folded Spill
	s_nop 0
	buffer_store_dword v82, off, s[24:27], 0 offset:308 ; 4-byte Folded Spill
	buffer_store_dword v83, off, s[24:27], 0 offset:312 ; 4-byte Folded Spill
	buffer_store_dword v84, off, s[24:27], 0 offset:316 ; 4-byte Folded Spill
	ds_read2_b64 v[93:96], v90 offset0:18 offset1:19
	buffer_load_dword v81, off, s[24:27], 0 offset:288 ; 4-byte Folded Reload
	buffer_load_dword v82, off, s[24:27], 0 offset:292 ; 4-byte Folded Reload
	buffer_load_dword v83, off, s[24:27], 0 offset:296 ; 4-byte Folded Reload
	buffer_load_dword v84, off, s[24:27], 0 offset:300 ; 4-byte Folded Reload
	s_waitcnt lgkmcnt(0)
	v_mul_f64 v[98:99], v[95:96], v[102:103]
	v_fma_f64 v[98:99], v[93:94], v[125:126], -v[98:99]
	v_mul_f64 v[93:94], v[93:94], v[102:103]
	v_fma_f64 v[93:94], v[95:96], v[125:126], v[93:94]
	s_waitcnt vmcnt(2)
	v_add_f64 v[81:82], v[81:82], -v[98:99]
	s_waitcnt vmcnt(0)
	v_add_f64 v[83:84], v[83:84], -v[93:94]
	buffer_store_dword v81, off, s[24:27], 0 offset:288 ; 4-byte Folded Spill
	s_nop 0
	buffer_store_dword v82, off, s[24:27], 0 offset:292 ; 4-byte Folded Spill
	buffer_store_dword v83, off, s[24:27], 0 offset:296 ; 4-byte Folded Spill
	buffer_store_dword v84, off, s[24:27], 0 offset:300 ; 4-byte Folded Spill
	ds_read2_b64 v[93:96], v90 offset0:20 offset1:21
	buffer_load_dword v81, off, s[24:27], 0 offset:272 ; 4-byte Folded Reload
	buffer_load_dword v82, off, s[24:27], 0 offset:276 ; 4-byte Folded Reload
	buffer_load_dword v83, off, s[24:27], 0 offset:280 ; 4-byte Folded Reload
	buffer_load_dword v84, off, s[24:27], 0 offset:284 ; 4-byte Folded Reload
	s_waitcnt lgkmcnt(0)
	v_mul_f64 v[98:99], v[95:96], v[102:103]
	v_fma_f64 v[98:99], v[93:94], v[125:126], -v[98:99]
	v_mul_f64 v[93:94], v[93:94], v[102:103]
	v_fma_f64 v[93:94], v[95:96], v[125:126], v[93:94]
	s_waitcnt vmcnt(2)
	v_add_f64 v[81:82], v[81:82], -v[98:99]
	s_waitcnt vmcnt(0)
	v_add_f64 v[83:84], v[83:84], -v[93:94]
	buffer_store_dword v81, off, s[24:27], 0 offset:272 ; 4-byte Folded Spill
	s_nop 0
	buffer_store_dword v82, off, s[24:27], 0 offset:276 ; 4-byte Folded Spill
	buffer_store_dword v83, off, s[24:27], 0 offset:280 ; 4-byte Folded Spill
	buffer_store_dword v84, off, s[24:27], 0 offset:284 ; 4-byte Folded Spill
	ds_read2_b64 v[93:96], v90 offset0:22 offset1:23
	buffer_load_dword v81, off, s[24:27], 0 offset:256 ; 4-byte Folded Reload
	buffer_load_dword v82, off, s[24:27], 0 offset:260 ; 4-byte Folded Reload
	buffer_load_dword v83, off, s[24:27], 0 offset:264 ; 4-byte Folded Reload
	buffer_load_dword v84, off, s[24:27], 0 offset:268 ; 4-byte Folded Reload
	s_waitcnt lgkmcnt(0)
	v_mul_f64 v[98:99], v[95:96], v[102:103]
	v_fma_f64 v[98:99], v[93:94], v[125:126], -v[98:99]
	v_mul_f64 v[93:94], v[93:94], v[102:103]
	v_fma_f64 v[93:94], v[95:96], v[125:126], v[93:94]
	s_waitcnt vmcnt(2)
	v_add_f64 v[81:82], v[81:82], -v[98:99]
	s_waitcnt vmcnt(0)
	v_add_f64 v[83:84], v[83:84], -v[93:94]
	buffer_store_dword v81, off, s[24:27], 0 offset:256 ; 4-byte Folded Spill
	s_nop 0
	buffer_store_dword v82, off, s[24:27], 0 offset:260 ; 4-byte Folded Spill
	buffer_store_dword v83, off, s[24:27], 0 offset:264 ; 4-byte Folded Spill
	buffer_store_dword v84, off, s[24:27], 0 offset:268 ; 4-byte Folded Spill
	ds_read2_b64 v[93:96], v90 offset0:24 offset1:25
	buffer_load_dword v81, off, s[24:27], 0 offset:240 ; 4-byte Folded Reload
	buffer_load_dword v82, off, s[24:27], 0 offset:244 ; 4-byte Folded Reload
	buffer_load_dword v83, off, s[24:27], 0 offset:248 ; 4-byte Folded Reload
	buffer_load_dword v84, off, s[24:27], 0 offset:252 ; 4-byte Folded Reload
	s_waitcnt lgkmcnt(0)
	v_mul_f64 v[98:99], v[95:96], v[102:103]
	v_fma_f64 v[98:99], v[93:94], v[125:126], -v[98:99]
	v_mul_f64 v[93:94], v[93:94], v[102:103]
	v_fma_f64 v[93:94], v[95:96], v[125:126], v[93:94]
	s_waitcnt vmcnt(2)
	v_add_f64 v[81:82], v[81:82], -v[98:99]
	s_waitcnt vmcnt(0)
	v_add_f64 v[83:84], v[83:84], -v[93:94]
	buffer_store_dword v81, off, s[24:27], 0 offset:240 ; 4-byte Folded Spill
	s_nop 0
	buffer_store_dword v82, off, s[24:27], 0 offset:244 ; 4-byte Folded Spill
	buffer_store_dword v83, off, s[24:27], 0 offset:248 ; 4-byte Folded Spill
	buffer_store_dword v84, off, s[24:27], 0 offset:252 ; 4-byte Folded Spill
	ds_read2_b64 v[93:96], v90 offset0:26 offset1:27
	buffer_load_dword v81, off, s[24:27], 0 offset:224 ; 4-byte Folded Reload
	buffer_load_dword v82, off, s[24:27], 0 offset:228 ; 4-byte Folded Reload
	buffer_load_dword v83, off, s[24:27], 0 offset:232 ; 4-byte Folded Reload
	buffer_load_dword v84, off, s[24:27], 0 offset:236 ; 4-byte Folded Reload
	s_waitcnt lgkmcnt(0)
	v_mul_f64 v[98:99], v[95:96], v[102:103]
	v_fma_f64 v[98:99], v[93:94], v[125:126], -v[98:99]
	v_mul_f64 v[93:94], v[93:94], v[102:103]
	v_fma_f64 v[93:94], v[95:96], v[125:126], v[93:94]
	s_waitcnt vmcnt(2)
	v_add_f64 v[81:82], v[81:82], -v[98:99]
	s_waitcnt vmcnt(0)
	v_add_f64 v[83:84], v[83:84], -v[93:94]
	buffer_store_dword v81, off, s[24:27], 0 offset:224 ; 4-byte Folded Spill
	s_nop 0
	buffer_store_dword v82, off, s[24:27], 0 offset:228 ; 4-byte Folded Spill
	buffer_store_dword v83, off, s[24:27], 0 offset:232 ; 4-byte Folded Spill
	buffer_store_dword v84, off, s[24:27], 0 offset:236 ; 4-byte Folded Spill
	ds_read2_b64 v[93:96], v90 offset0:28 offset1:29
	buffer_load_dword v81, off, s[24:27], 0 offset:208 ; 4-byte Folded Reload
	buffer_load_dword v82, off, s[24:27], 0 offset:212 ; 4-byte Folded Reload
	buffer_load_dword v83, off, s[24:27], 0 offset:216 ; 4-byte Folded Reload
	buffer_load_dword v84, off, s[24:27], 0 offset:220 ; 4-byte Folded Reload
	s_waitcnt lgkmcnt(0)
	v_mul_f64 v[98:99], v[95:96], v[102:103]
	v_fma_f64 v[98:99], v[93:94], v[125:126], -v[98:99]
	v_mul_f64 v[93:94], v[93:94], v[102:103]
	v_fma_f64 v[93:94], v[95:96], v[125:126], v[93:94]
	s_waitcnt vmcnt(2)
	v_add_f64 v[81:82], v[81:82], -v[98:99]
	s_waitcnt vmcnt(0)
	v_add_f64 v[83:84], v[83:84], -v[93:94]
	buffer_store_dword v81, off, s[24:27], 0 offset:208 ; 4-byte Folded Spill
	s_nop 0
	buffer_store_dword v82, off, s[24:27], 0 offset:212 ; 4-byte Folded Spill
	buffer_store_dword v83, off, s[24:27], 0 offset:216 ; 4-byte Folded Spill
	buffer_store_dword v84, off, s[24:27], 0 offset:220 ; 4-byte Folded Spill
	ds_read2_b64 v[93:96], v90 offset0:30 offset1:31
	buffer_load_dword v81, off, s[24:27], 0 offset:192 ; 4-byte Folded Reload
	buffer_load_dword v82, off, s[24:27], 0 offset:196 ; 4-byte Folded Reload
	buffer_load_dword v83, off, s[24:27], 0 offset:200 ; 4-byte Folded Reload
	buffer_load_dword v84, off, s[24:27], 0 offset:204 ; 4-byte Folded Reload
	s_waitcnt lgkmcnt(0)
	v_mul_f64 v[98:99], v[95:96], v[102:103]
	v_fma_f64 v[98:99], v[93:94], v[125:126], -v[98:99]
	v_mul_f64 v[93:94], v[93:94], v[102:103]
	v_fma_f64 v[93:94], v[95:96], v[125:126], v[93:94]
	s_waitcnt vmcnt(2)
	v_add_f64 v[81:82], v[81:82], -v[98:99]
	s_waitcnt vmcnt(0)
	v_add_f64 v[83:84], v[83:84], -v[93:94]
	buffer_store_dword v81, off, s[24:27], 0 offset:192 ; 4-byte Folded Spill
	s_nop 0
	buffer_store_dword v82, off, s[24:27], 0 offset:196 ; 4-byte Folded Spill
	buffer_store_dword v83, off, s[24:27], 0 offset:200 ; 4-byte Folded Spill
	buffer_store_dword v84, off, s[24:27], 0 offset:204 ; 4-byte Folded Spill
	ds_read2_b64 v[93:96], v90 offset0:32 offset1:33
	buffer_load_dword v81, off, s[24:27], 0 offset:176 ; 4-byte Folded Reload
	buffer_load_dword v82, off, s[24:27], 0 offset:180 ; 4-byte Folded Reload
	buffer_load_dword v83, off, s[24:27], 0 offset:184 ; 4-byte Folded Reload
	buffer_load_dword v84, off, s[24:27], 0 offset:188 ; 4-byte Folded Reload
	s_waitcnt lgkmcnt(0)
	v_mul_f64 v[98:99], v[95:96], v[102:103]
	v_fma_f64 v[98:99], v[93:94], v[125:126], -v[98:99]
	v_mul_f64 v[93:94], v[93:94], v[102:103]
	v_fma_f64 v[93:94], v[95:96], v[125:126], v[93:94]
	s_waitcnt vmcnt(2)
	v_add_f64 v[81:82], v[81:82], -v[98:99]
	s_waitcnt vmcnt(0)
	v_add_f64 v[83:84], v[83:84], -v[93:94]
	buffer_store_dword v81, off, s[24:27], 0 offset:176 ; 4-byte Folded Spill
	s_nop 0
	buffer_store_dword v82, off, s[24:27], 0 offset:180 ; 4-byte Folded Spill
	buffer_store_dword v83, off, s[24:27], 0 offset:184 ; 4-byte Folded Spill
	buffer_store_dword v84, off, s[24:27], 0 offset:188 ; 4-byte Folded Spill
	ds_read2_b64 v[93:96], v90 offset0:34 offset1:35
	buffer_load_dword v81, off, s[24:27], 0 offset:160 ; 4-byte Folded Reload
	buffer_load_dword v82, off, s[24:27], 0 offset:164 ; 4-byte Folded Reload
	buffer_load_dword v83, off, s[24:27], 0 offset:168 ; 4-byte Folded Reload
	buffer_load_dword v84, off, s[24:27], 0 offset:172 ; 4-byte Folded Reload
	s_waitcnt lgkmcnt(0)
	v_mul_f64 v[98:99], v[95:96], v[102:103]
	v_fma_f64 v[98:99], v[93:94], v[125:126], -v[98:99]
	v_mul_f64 v[93:94], v[93:94], v[102:103]
	v_fma_f64 v[93:94], v[95:96], v[125:126], v[93:94]
	s_waitcnt vmcnt(2)
	v_add_f64 v[81:82], v[81:82], -v[98:99]
	s_waitcnt vmcnt(0)
	v_add_f64 v[83:84], v[83:84], -v[93:94]
	buffer_store_dword v81, off, s[24:27], 0 offset:160 ; 4-byte Folded Spill
	s_nop 0
	buffer_store_dword v82, off, s[24:27], 0 offset:164 ; 4-byte Folded Spill
	buffer_store_dword v83, off, s[24:27], 0 offset:168 ; 4-byte Folded Spill
	buffer_store_dword v84, off, s[24:27], 0 offset:172 ; 4-byte Folded Spill
	ds_read2_b64 v[93:96], v90 offset0:36 offset1:37
	buffer_load_dword v81, off, s[24:27], 0 offset:144 ; 4-byte Folded Reload
	buffer_load_dword v82, off, s[24:27], 0 offset:148 ; 4-byte Folded Reload
	buffer_load_dword v83, off, s[24:27], 0 offset:152 ; 4-byte Folded Reload
	buffer_load_dword v84, off, s[24:27], 0 offset:156 ; 4-byte Folded Reload
	s_waitcnt lgkmcnt(0)
	v_mul_f64 v[98:99], v[95:96], v[102:103]
	v_fma_f64 v[98:99], v[93:94], v[125:126], -v[98:99]
	v_mul_f64 v[93:94], v[93:94], v[102:103]
	v_fma_f64 v[93:94], v[95:96], v[125:126], v[93:94]
	s_waitcnt vmcnt(2)
	v_add_f64 v[81:82], v[81:82], -v[98:99]
	s_waitcnt vmcnt(0)
	v_add_f64 v[83:84], v[83:84], -v[93:94]
	buffer_store_dword v81, off, s[24:27], 0 offset:144 ; 4-byte Folded Spill
	s_nop 0
	buffer_store_dword v82, off, s[24:27], 0 offset:148 ; 4-byte Folded Spill
	buffer_store_dword v83, off, s[24:27], 0 offset:152 ; 4-byte Folded Spill
	buffer_store_dword v84, off, s[24:27], 0 offset:156 ; 4-byte Folded Spill
	ds_read2_b64 v[93:96], v90 offset0:38 offset1:39
	buffer_load_dword v81, off, s[24:27], 0 offset:128 ; 4-byte Folded Reload
	buffer_load_dword v82, off, s[24:27], 0 offset:132 ; 4-byte Folded Reload
	buffer_load_dword v83, off, s[24:27], 0 offset:136 ; 4-byte Folded Reload
	buffer_load_dword v84, off, s[24:27], 0 offset:140 ; 4-byte Folded Reload
	s_waitcnt lgkmcnt(0)
	v_mul_f64 v[98:99], v[95:96], v[102:103]
	v_fma_f64 v[98:99], v[93:94], v[125:126], -v[98:99]
	v_mul_f64 v[93:94], v[93:94], v[102:103]
	v_fma_f64 v[93:94], v[95:96], v[125:126], v[93:94]
	s_waitcnt vmcnt(2)
	v_add_f64 v[81:82], v[81:82], -v[98:99]
	s_waitcnt vmcnt(0)
	v_add_f64 v[83:84], v[83:84], -v[93:94]
	buffer_store_dword v81, off, s[24:27], 0 offset:128 ; 4-byte Folded Spill
	s_nop 0
	buffer_store_dword v82, off, s[24:27], 0 offset:132 ; 4-byte Folded Spill
	buffer_store_dword v83, off, s[24:27], 0 offset:136 ; 4-byte Folded Spill
	buffer_store_dword v84, off, s[24:27], 0 offset:140 ; 4-byte Folded Spill
	ds_read2_b64 v[93:96], v90 offset0:40 offset1:41
	buffer_load_dword v81, off, s[24:27], 0 offset:112 ; 4-byte Folded Reload
	buffer_load_dword v82, off, s[24:27], 0 offset:116 ; 4-byte Folded Reload
	buffer_load_dword v83, off, s[24:27], 0 offset:120 ; 4-byte Folded Reload
	buffer_load_dword v84, off, s[24:27], 0 offset:124 ; 4-byte Folded Reload
	s_waitcnt lgkmcnt(0)
	v_mul_f64 v[98:99], v[95:96], v[102:103]
	v_fma_f64 v[98:99], v[93:94], v[125:126], -v[98:99]
	v_mul_f64 v[93:94], v[93:94], v[102:103]
	v_fma_f64 v[93:94], v[95:96], v[125:126], v[93:94]
	s_waitcnt vmcnt(2)
	v_add_f64 v[81:82], v[81:82], -v[98:99]
	s_waitcnt vmcnt(0)
	v_add_f64 v[83:84], v[83:84], -v[93:94]
	buffer_store_dword v81, off, s[24:27], 0 offset:112 ; 4-byte Folded Spill
	s_nop 0
	buffer_store_dword v82, off, s[24:27], 0 offset:116 ; 4-byte Folded Spill
	buffer_store_dword v83, off, s[24:27], 0 offset:120 ; 4-byte Folded Spill
	buffer_store_dword v84, off, s[24:27], 0 offset:124 ; 4-byte Folded Spill
	ds_read2_b64 v[93:96], v90 offset0:42 offset1:43
	buffer_load_dword v81, off, s[24:27], 0 offset:96 ; 4-byte Folded Reload
	buffer_load_dword v82, off, s[24:27], 0 offset:100 ; 4-byte Folded Reload
	buffer_load_dword v83, off, s[24:27], 0 offset:104 ; 4-byte Folded Reload
	buffer_load_dword v84, off, s[24:27], 0 offset:108 ; 4-byte Folded Reload
	s_waitcnt lgkmcnt(0)
	v_mul_f64 v[98:99], v[95:96], v[102:103]
	v_fma_f64 v[98:99], v[93:94], v[125:126], -v[98:99]
	v_mul_f64 v[93:94], v[93:94], v[102:103]
	v_fma_f64 v[93:94], v[95:96], v[125:126], v[93:94]
	s_waitcnt vmcnt(2)
	v_add_f64 v[81:82], v[81:82], -v[98:99]
	s_waitcnt vmcnt(0)
	v_add_f64 v[83:84], v[83:84], -v[93:94]
	buffer_store_dword v81, off, s[24:27], 0 offset:96 ; 4-byte Folded Spill
	s_nop 0
	buffer_store_dword v82, off, s[24:27], 0 offset:100 ; 4-byte Folded Spill
	buffer_store_dword v83, off, s[24:27], 0 offset:104 ; 4-byte Folded Spill
	buffer_store_dword v84, off, s[24:27], 0 offset:108 ; 4-byte Folded Spill
	ds_read2_b64 v[93:96], v90 offset0:44 offset1:45
	buffer_load_dword v81, off, s[24:27], 0 offset:80 ; 4-byte Folded Reload
	buffer_load_dword v82, off, s[24:27], 0 offset:84 ; 4-byte Folded Reload
	buffer_load_dword v83, off, s[24:27], 0 offset:88 ; 4-byte Folded Reload
	buffer_load_dword v84, off, s[24:27], 0 offset:92 ; 4-byte Folded Reload
	s_waitcnt lgkmcnt(0)
	v_mul_f64 v[98:99], v[95:96], v[102:103]
	v_fma_f64 v[98:99], v[93:94], v[125:126], -v[98:99]
	v_mul_f64 v[93:94], v[93:94], v[102:103]
	v_fma_f64 v[93:94], v[95:96], v[125:126], v[93:94]
	s_waitcnt vmcnt(2)
	v_add_f64 v[81:82], v[81:82], -v[98:99]
	s_waitcnt vmcnt(0)
	v_add_f64 v[83:84], v[83:84], -v[93:94]
	buffer_store_dword v81, off, s[24:27], 0 offset:80 ; 4-byte Folded Spill
	s_nop 0
	buffer_store_dword v82, off, s[24:27], 0 offset:84 ; 4-byte Folded Spill
	buffer_store_dword v83, off, s[24:27], 0 offset:88 ; 4-byte Folded Spill
	buffer_store_dword v84, off, s[24:27], 0 offset:92 ; 4-byte Folded Spill
	ds_read2_b64 v[93:96], v90 offset0:46 offset1:47
	buffer_load_dword v81, off, s[24:27], 0 offset:64 ; 4-byte Folded Reload
	buffer_load_dword v82, off, s[24:27], 0 offset:68 ; 4-byte Folded Reload
	buffer_load_dword v83, off, s[24:27], 0 offset:72 ; 4-byte Folded Reload
	buffer_load_dword v84, off, s[24:27], 0 offset:76 ; 4-byte Folded Reload
	s_waitcnt lgkmcnt(0)
	v_mul_f64 v[98:99], v[95:96], v[102:103]
	v_fma_f64 v[98:99], v[93:94], v[125:126], -v[98:99]
	v_mul_f64 v[93:94], v[93:94], v[102:103]
	v_fma_f64 v[93:94], v[95:96], v[125:126], v[93:94]
	s_waitcnt vmcnt(2)
	v_add_f64 v[81:82], v[81:82], -v[98:99]
	s_waitcnt vmcnt(0)
	v_add_f64 v[83:84], v[83:84], -v[93:94]
	buffer_store_dword v81, off, s[24:27], 0 offset:64 ; 4-byte Folded Spill
	s_nop 0
	buffer_store_dword v82, off, s[24:27], 0 offset:68 ; 4-byte Folded Spill
	buffer_store_dword v83, off, s[24:27], 0 offset:72 ; 4-byte Folded Spill
	buffer_store_dword v84, off, s[24:27], 0 offset:76 ; 4-byte Folded Spill
	ds_read2_b64 v[93:96], v90 offset0:48 offset1:49
	buffer_load_dword v81, off, s[24:27], 0 offset:48 ; 4-byte Folded Reload
	buffer_load_dword v82, off, s[24:27], 0 offset:52 ; 4-byte Folded Reload
	buffer_load_dword v83, off, s[24:27], 0 offset:56 ; 4-byte Folded Reload
	buffer_load_dword v84, off, s[24:27], 0 offset:60 ; 4-byte Folded Reload
	s_waitcnt lgkmcnt(0)
	v_mul_f64 v[98:99], v[95:96], v[102:103]
	v_fma_f64 v[98:99], v[93:94], v[125:126], -v[98:99]
	v_mul_f64 v[93:94], v[93:94], v[102:103]
	v_fma_f64 v[93:94], v[95:96], v[125:126], v[93:94]
	s_waitcnt vmcnt(2)
	v_add_f64 v[81:82], v[81:82], -v[98:99]
	s_waitcnt vmcnt(0)
	v_add_f64 v[83:84], v[83:84], -v[93:94]
	buffer_store_dword v81, off, s[24:27], 0 offset:48 ; 4-byte Folded Spill
	s_nop 0
	buffer_store_dword v82, off, s[24:27], 0 offset:52 ; 4-byte Folded Spill
	buffer_store_dword v83, off, s[24:27], 0 offset:56 ; 4-byte Folded Spill
	buffer_store_dword v84, off, s[24:27], 0 offset:60 ; 4-byte Folded Spill
	ds_read2_b64 v[93:96], v90 offset0:50 offset1:51
	buffer_load_dword v81, off, s[24:27], 0 offset:32 ; 4-byte Folded Reload
	buffer_load_dword v82, off, s[24:27], 0 offset:36 ; 4-byte Folded Reload
	buffer_load_dword v83, off, s[24:27], 0 offset:40 ; 4-byte Folded Reload
	buffer_load_dword v84, off, s[24:27], 0 offset:44 ; 4-byte Folded Reload
	s_waitcnt lgkmcnt(0)
	v_mul_f64 v[98:99], v[95:96], v[102:103]
	v_fma_f64 v[98:99], v[93:94], v[125:126], -v[98:99]
	v_mul_f64 v[93:94], v[93:94], v[102:103]
	v_fma_f64 v[93:94], v[95:96], v[125:126], v[93:94]
	s_waitcnt vmcnt(2)
	v_add_f64 v[81:82], v[81:82], -v[98:99]
	s_waitcnt vmcnt(0)
	v_add_f64 v[83:84], v[83:84], -v[93:94]
	buffer_store_dword v81, off, s[24:27], 0 offset:32 ; 4-byte Folded Spill
	s_nop 0
	buffer_store_dword v82, off, s[24:27], 0 offset:36 ; 4-byte Folded Spill
	buffer_store_dword v83, off, s[24:27], 0 offset:40 ; 4-byte Folded Spill
	buffer_store_dword v84, off, s[24:27], 0 offset:44 ; 4-byte Folded Spill
	ds_read2_b64 v[93:96], v90 offset0:52 offset1:53
	buffer_load_dword v81, off, s[24:27], 0 offset:16 ; 4-byte Folded Reload
	buffer_load_dword v82, off, s[24:27], 0 offset:20 ; 4-byte Folded Reload
	buffer_load_dword v83, off, s[24:27], 0 offset:24 ; 4-byte Folded Reload
	buffer_load_dword v84, off, s[24:27], 0 offset:28 ; 4-byte Folded Reload
	s_waitcnt lgkmcnt(0)
	v_mul_f64 v[98:99], v[95:96], v[102:103]
	v_fma_f64 v[98:99], v[93:94], v[125:126], -v[98:99]
	v_mul_f64 v[93:94], v[93:94], v[102:103]
	v_fma_f64 v[93:94], v[95:96], v[125:126], v[93:94]
	s_waitcnt vmcnt(2)
	v_add_f64 v[81:82], v[81:82], -v[98:99]
	s_waitcnt vmcnt(0)
	v_add_f64 v[83:84], v[83:84], -v[93:94]
	buffer_store_dword v81, off, s[24:27], 0 offset:16 ; 4-byte Folded Spill
	s_nop 0
	buffer_store_dword v82, off, s[24:27], 0 offset:20 ; 4-byte Folded Spill
	buffer_store_dword v83, off, s[24:27], 0 offset:24 ; 4-byte Folded Spill
	buffer_store_dword v84, off, s[24:27], 0 offset:28 ; 4-byte Folded Spill
	ds_read2_b64 v[93:96], v90 offset0:54 offset1:55
	buffer_load_dword v81, off, s[24:27], 0 ; 4-byte Folded Reload
	buffer_load_dword v82, off, s[24:27], 0 offset:4 ; 4-byte Folded Reload
	buffer_load_dword v83, off, s[24:27], 0 offset:8 ; 4-byte Folded Reload
	;; [unrolled: 1-line block ×3, first 2 shown]
	s_waitcnt lgkmcnt(0)
	v_mul_f64 v[98:99], v[95:96], v[102:103]
	v_fma_f64 v[98:99], v[93:94], v[125:126], -v[98:99]
	v_mul_f64 v[93:94], v[93:94], v[102:103]
	v_fma_f64 v[93:94], v[95:96], v[125:126], v[93:94]
	s_waitcnt vmcnt(2)
	v_add_f64 v[81:82], v[81:82], -v[98:99]
	s_waitcnt vmcnt(0)
	v_add_f64 v[83:84], v[83:84], -v[93:94]
	buffer_store_dword v81, off, s[24:27], 0 ; 4-byte Folded Spill
	s_nop 0
	buffer_store_dword v82, off, s[24:27], 0 offset:4 ; 4-byte Folded Spill
	buffer_store_dword v83, off, s[24:27], 0 offset:8 ; 4-byte Folded Spill
	;; [unrolled: 1-line block ×3, first 2 shown]
	ds_read2_b64 v[93:96], v90 offset0:56 offset1:57
	s_waitcnt lgkmcnt(0)
	v_mul_f64 v[98:99], v[95:96], v[102:103]
	v_fma_f64 v[98:99], v[93:94], v[125:126], -v[98:99]
	v_mul_f64 v[93:94], v[93:94], v[102:103]
	v_add_f64 v[111:112], v[111:112], -v[98:99]
	v_fma_f64 v[93:94], v[95:96], v[125:126], v[93:94]
	v_add_f64 v[113:114], v[113:114], -v[93:94]
	ds_read2_b64 v[93:96], v90 offset0:58 offset1:59
	s_waitcnt lgkmcnt(0)
	v_mul_f64 v[98:99], v[95:96], v[102:103]
	v_fma_f64 v[98:99], v[93:94], v[125:126], -v[98:99]
	v_mul_f64 v[93:94], v[93:94], v[102:103]
	v_add_f64 v[85:86], v[85:86], -v[98:99]
	v_fma_f64 v[93:94], v[95:96], v[125:126], v[93:94]
	v_add_f64 v[87:88], v[87:88], -v[93:94]
	;; [unrolled: 8-line block ×21, first 2 shown]
	ds_read2_b64 v[93:96], v90 offset0:98 offset1:99
	s_waitcnt lgkmcnt(0)
	v_mul_f64 v[98:99], v[95:96], v[102:103]
	v_fma_f64 v[98:99], v[93:94], v[125:126], -v[98:99]
	v_mul_f64 v[93:94], v[93:94], v[102:103]
	v_add_f64 v[1:2], v[1:2], -v[98:99]
	v_fma_f64 v[93:94], v[95:96], v[125:126], v[93:94]
	ds_read2_b64 v[98:101], v90 offset0:100 offset1:101
	s_waitcnt lgkmcnt(0)
	v_mul_f64 v[95:96], v[98:99], v[102:103]
	v_add_f64 v[3:4], v[3:4], -v[93:94]
	v_mul_f64 v[93:94], v[100:101], v[102:103]
	v_fma_f64 v[95:96], v[100:101], v[125:126], v[95:96]
	v_mov_b32_e32 v100, v125
	v_mov_b32_e32 v101, v126
	v_fma_f64 v[93:94], v[98:99], v[125:126], -v[93:94]
	buffer_store_dword v100, off, s[24:27], 0 offset:408 ; 4-byte Folded Spill
	s_nop 0
	buffer_store_dword v101, off, s[24:27], 0 offset:412 ; 4-byte Folded Spill
	buffer_store_dword v102, off, s[24:27], 0 offset:416 ; 4-byte Folded Spill
	;; [unrolled: 1-line block ×3, first 2 shown]
	v_add_f64 v[123:124], v[123:124], -v[95:96]
	v_add_f64 v[121:122], v[121:122], -v[93:94]
.LBB100_62:
	s_or_b64 exec, exec, s[0:1]
	s_waitcnt vmcnt(0)
	s_barrier
	buffer_load_dword v81, off, s[24:27], 0 offset:384 ; 4-byte Folded Reload
	buffer_load_dword v82, off, s[24:27], 0 offset:388 ; 4-byte Folded Reload
	;; [unrolled: 1-line block ×4, first 2 shown]
	v_lshl_add_u32 v93, v92, 4, v90
	s_mov_b32 s0, 4
	s_cmp_lt_i32 s3, 5
	s_waitcnt vmcnt(0)
	ds_write2_b64 v93, v[81:82], v[83:84] offset1:1
	s_waitcnt lgkmcnt(0)
	s_barrier
	ds_read2_b64 v[117:120], v90 offset0:6 offset1:7
	v_mov_b32_e32 v93, 3
	s_cbranch_scc1 .LBB100_65
; %bb.63:
	v_add3_u32 v94, v97, 0, 64
	v_mov_b32_e32 v93, 3
.LBB100_64:                             ; =>This Inner Loop Header: Depth=1
	s_waitcnt lgkmcnt(0)
	v_cmp_gt_f64_e32 vcc, 0, v[117:118]
	v_xor_b32_e32 v99, 0x80000000, v118
	ds_read2_b64 v[95:98], v94 offset1:1
	v_xor_b32_e32 v101, 0x80000000, v120
	v_add_u32_e32 v94, 16, v94
	s_waitcnt lgkmcnt(0)
	v_xor_b32_e32 v103, 0x80000000, v98
	v_cndmask_b32_e32 v100, v118, v99, vcc
	v_cmp_gt_f64_e32 vcc, 0, v[119:120]
	v_mov_b32_e32 v99, v117
	v_cndmask_b32_e32 v102, v120, v101, vcc
	v_cmp_gt_f64_e32 vcc, 0, v[95:96]
	v_mov_b32_e32 v101, v119
	v_add_f64 v[99:100], v[99:100], v[101:102]
	v_xor_b32_e32 v101, 0x80000000, v96
	v_cndmask_b32_e32 v102, v96, v101, vcc
	v_cmp_gt_f64_e32 vcc, 0, v[97:98]
	v_mov_b32_e32 v101, v95
	v_cndmask_b32_e32 v104, v98, v103, vcc
	v_mov_b32_e32 v103, v97
	v_add_f64 v[101:102], v[101:102], v[103:104]
	v_cmp_lt_f64_e32 vcc, v[99:100], v[101:102]
	v_cndmask_b32_e32 v117, v117, v95, vcc
	v_mov_b32_e32 v95, s0
	s_add_i32 s0, s0, 1
	v_cndmask_b32_e32 v118, v118, v96, vcc
	v_cndmask_b32_e32 v120, v120, v98, vcc
	v_cndmask_b32_e32 v119, v119, v97, vcc
	v_cndmask_b32_e32 v93, v93, v95, vcc
	s_cmp_lg_u32 s3, s0
	s_cbranch_scc1 .LBB100_64
.LBB100_65:
	s_waitcnt lgkmcnt(0)
	v_cmp_eq_f64_e32 vcc, 0, v[117:118]
	v_cmp_eq_f64_e64 s[0:1], 0, v[119:120]
	s_and_b64 s[0:1], vcc, s[0:1]
	s_and_saveexec_b64 s[18:19], s[0:1]
	s_xor_b64 s[0:1], exec, s[18:19]
; %bb.66:
	v_cmp_ne_u32_e32 vcc, 0, v91
	v_cndmask_b32_e32 v91, 4, v91, vcc
; %bb.67:
	s_andn2_saveexec_b64 s[0:1], s[0:1]
	s_cbranch_execz .LBB100_73
; %bb.68:
	v_cmp_ngt_f64_e64 s[18:19], |v[117:118]|, |v[119:120]|
	s_and_saveexec_b64 s[20:21], s[18:19]
	s_xor_b64 s[18:19], exec, s[20:21]
	s_cbranch_execz .LBB100_70
; %bb.69:
	v_div_scale_f64 v[94:95], s[20:21], v[119:120], v[119:120], v[117:118]
	v_rcp_f64_e32 v[96:97], v[94:95]
	v_fma_f64 v[98:99], -v[94:95], v[96:97], 1.0
	v_fma_f64 v[96:97], v[96:97], v[98:99], v[96:97]
	v_div_scale_f64 v[98:99], vcc, v[117:118], v[119:120], v[117:118]
	v_fma_f64 v[100:101], -v[94:95], v[96:97], 1.0
	v_fma_f64 v[96:97], v[96:97], v[100:101], v[96:97]
	v_mul_f64 v[100:101], v[98:99], v[96:97]
	v_fma_f64 v[94:95], -v[94:95], v[100:101], v[98:99]
	v_div_fmas_f64 v[94:95], v[94:95], v[96:97], v[100:101]
	v_div_fixup_f64 v[94:95], v[94:95], v[119:120], v[117:118]
	v_fma_f64 v[96:97], v[117:118], v[94:95], v[119:120]
	v_div_scale_f64 v[98:99], s[20:21], v[96:97], v[96:97], 1.0
	v_div_scale_f64 v[104:105], vcc, 1.0, v[96:97], 1.0
	v_rcp_f64_e32 v[100:101], v[98:99]
	v_fma_f64 v[102:103], -v[98:99], v[100:101], 1.0
	v_fma_f64 v[100:101], v[100:101], v[102:103], v[100:101]
	v_fma_f64 v[102:103], -v[98:99], v[100:101], 1.0
	v_fma_f64 v[100:101], v[100:101], v[102:103], v[100:101]
	v_mul_f64 v[102:103], v[104:105], v[100:101]
	v_fma_f64 v[98:99], -v[98:99], v[102:103], v[104:105]
	v_div_fmas_f64 v[98:99], v[98:99], v[100:101], v[102:103]
	v_div_fixup_f64 v[119:120], v[98:99], v[96:97], 1.0
	v_mul_f64 v[117:118], v[94:95], v[119:120]
	v_xor_b32_e32 v120, 0x80000000, v120
.LBB100_70:
	s_andn2_saveexec_b64 s[18:19], s[18:19]
	s_cbranch_execz .LBB100_72
; %bb.71:
	v_div_scale_f64 v[94:95], s[20:21], v[117:118], v[117:118], v[119:120]
	v_rcp_f64_e32 v[96:97], v[94:95]
	v_fma_f64 v[98:99], -v[94:95], v[96:97], 1.0
	v_fma_f64 v[96:97], v[96:97], v[98:99], v[96:97]
	v_div_scale_f64 v[98:99], vcc, v[119:120], v[117:118], v[119:120]
	v_fma_f64 v[100:101], -v[94:95], v[96:97], 1.0
	v_fma_f64 v[96:97], v[96:97], v[100:101], v[96:97]
	v_mul_f64 v[100:101], v[98:99], v[96:97]
	v_fma_f64 v[94:95], -v[94:95], v[100:101], v[98:99]
	v_div_fmas_f64 v[94:95], v[94:95], v[96:97], v[100:101]
	v_div_fixup_f64 v[94:95], v[94:95], v[117:118], v[119:120]
	v_fma_f64 v[96:97], v[119:120], v[94:95], v[117:118]
	v_div_scale_f64 v[98:99], s[20:21], v[96:97], v[96:97], 1.0
	v_div_scale_f64 v[104:105], vcc, 1.0, v[96:97], 1.0
	v_rcp_f64_e32 v[100:101], v[98:99]
	v_fma_f64 v[102:103], -v[98:99], v[100:101], 1.0
	v_fma_f64 v[100:101], v[100:101], v[102:103], v[100:101]
	v_fma_f64 v[102:103], -v[98:99], v[100:101], 1.0
	v_fma_f64 v[100:101], v[100:101], v[102:103], v[100:101]
	v_mul_f64 v[102:103], v[104:105], v[100:101]
	v_fma_f64 v[98:99], -v[98:99], v[102:103], v[104:105]
	v_div_fmas_f64 v[98:99], v[98:99], v[100:101], v[102:103]
	v_div_fixup_f64 v[117:118], v[98:99], v[96:97], 1.0
	v_mul_f64 v[119:120], v[94:95], -v[117:118]
.LBB100_72:
	s_or_b64 exec, exec, s[18:19]
.LBB100_73:
	s_or_b64 exec, exec, s[0:1]
	v_cmp_ne_u32_e32 vcc, v92, v93
	s_and_saveexec_b64 s[0:1], vcc
	s_xor_b64 s[0:1], exec, s[0:1]
	s_cbranch_execz .LBB100_79
; %bb.74:
	v_cmp_eq_u32_e32 vcc, 3, v92
	s_and_saveexec_b64 s[18:19], vcc
	s_cbranch_execz .LBB100_78
; %bb.75:
	v_cmp_ne_u32_e32 vcc, 3, v93
	s_xor_b64 s[20:21], s[6:7], -1
	s_and_b64 s[22:23], s[20:21], vcc
	s_and_saveexec_b64 s[20:21], s[22:23]
	s_cbranch_execz .LBB100_77
; %bb.76:
	buffer_load_dword v81, off, s[24:27], 0 offset:400 ; 4-byte Folded Reload
	buffer_load_dword v82, off, s[24:27], 0 offset:404 ; 4-byte Folded Reload
	v_ashrrev_i32_e32 v94, 31, v93
	v_lshlrev_b64 v[94:95], 2, v[93:94]
	s_waitcnt vmcnt(1)
	v_add_co_u32_e32 v94, vcc, v81, v94
	s_waitcnt vmcnt(0)
	v_addc_co_u32_e32 v95, vcc, v82, v95, vcc
	global_load_dword v0, v[94:95], off
	global_load_dword v92, v[81:82], off offset:12
	s_waitcnt vmcnt(1)
	global_store_dword v[81:82], v0, off offset:12
	s_waitcnt vmcnt(1)
	global_store_dword v[94:95], v92, off
.LBB100_77:
	s_or_b64 exec, exec, s[20:21]
	v_mov_b32_e32 v92, v93
	v_mov_b32_e32 v0, v93
.LBB100_78:
	s_or_b64 exec, exec, s[18:19]
.LBB100_79:
	s_andn2_saveexec_b64 s[0:1], s[0:1]
	s_cbranch_execz .LBB100_81
; %bb.80:
	buffer_load_dword v81, off, s[24:27], 0 offset:368 ; 4-byte Folded Reload
	buffer_load_dword v82, off, s[24:27], 0 offset:372 ; 4-byte Folded Reload
	;; [unrolled: 1-line block ×4, first 2 shown]
	v_mov_b32_e32 v92, 3
	s_waitcnt vmcnt(0)
	ds_write2_b64 v90, v[81:82], v[83:84] offset0:8 offset1:9
	buffer_load_dword v81, off, s[24:27], 0 offset:352 ; 4-byte Folded Reload
	buffer_load_dword v82, off, s[24:27], 0 offset:356 ; 4-byte Folded Reload
	buffer_load_dword v83, off, s[24:27], 0 offset:360 ; 4-byte Folded Reload
	buffer_load_dword v84, off, s[24:27], 0 offset:364 ; 4-byte Folded Reload
	s_waitcnt vmcnt(0)
	ds_write2_b64 v90, v[81:82], v[83:84] offset0:10 offset1:11
	buffer_load_dword v81, off, s[24:27], 0 offset:336 ; 4-byte Folded Reload
	buffer_load_dword v82, off, s[24:27], 0 offset:340 ; 4-byte Folded Reload
	buffer_load_dword v83, off, s[24:27], 0 offset:344 ; 4-byte Folded Reload
	buffer_load_dword v84, off, s[24:27], 0 offset:348 ; 4-byte Folded Reload
	;; [unrolled: 6-line block ×22, first 2 shown]
	s_waitcnt vmcnt(0)
	ds_write2_b64 v90, v[81:82], v[83:84] offset0:52 offset1:53
	buffer_load_dword v81, off, s[24:27], 0 ; 4-byte Folded Reload
	buffer_load_dword v82, off, s[24:27], 0 offset:4 ; 4-byte Folded Reload
	buffer_load_dword v83, off, s[24:27], 0 offset:8 ; 4-byte Folded Reload
	buffer_load_dword v84, off, s[24:27], 0 offset:12 ; 4-byte Folded Reload
	s_waitcnt vmcnt(0)
	ds_write2_b64 v90, v[81:82], v[83:84] offset0:54 offset1:55
	ds_write2_b64 v90, v[111:112], v[113:114] offset0:56 offset1:57
	;; [unrolled: 1-line block ×24, first 2 shown]
.LBB100_81:
	s_or_b64 exec, exec, s[0:1]
	v_cmp_lt_i32_e32 vcc, 3, v92
	s_waitcnt vmcnt(0) lgkmcnt(0)
	s_barrier
	s_and_saveexec_b64 s[0:1], vcc
	s_cbranch_execz .LBB100_83
; %bb.82:
	buffer_load_dword v97, off, s[24:27], 0 offset:384 ; 4-byte Folded Reload
	buffer_load_dword v98, off, s[24:27], 0 offset:388 ; 4-byte Folded Reload
	;; [unrolled: 1-line block ×4, first 2 shown]
	s_waitcnt vmcnt(0)
	v_mul_f64 v[93:94], v[119:120], v[99:100]
	v_fma_f64 v[125:126], v[117:118], v[97:98], -v[93:94]
	v_mul_f64 v[93:94], v[117:118], v[99:100]
	v_fma_f64 v[99:100], v[119:120], v[97:98], v[93:94]
	ds_read2_b64 v[93:96], v90 offset0:8 offset1:9
	buffer_load_dword v81, off, s[24:27], 0 offset:368 ; 4-byte Folded Reload
	buffer_load_dword v82, off, s[24:27], 0 offset:372 ; 4-byte Folded Reload
	buffer_load_dword v83, off, s[24:27], 0 offset:376 ; 4-byte Folded Reload
	buffer_load_dword v84, off, s[24:27], 0 offset:380 ; 4-byte Folded Reload
	s_waitcnt lgkmcnt(0)
	v_mul_f64 v[97:98], v[95:96], v[99:100]
	v_fma_f64 v[97:98], v[93:94], v[125:126], -v[97:98]
	v_mul_f64 v[93:94], v[93:94], v[99:100]
	v_fma_f64 v[93:94], v[95:96], v[125:126], v[93:94]
	s_waitcnt vmcnt(2)
	v_add_f64 v[81:82], v[81:82], -v[97:98]
	s_waitcnt vmcnt(0)
	v_add_f64 v[83:84], v[83:84], -v[93:94]
	buffer_store_dword v81, off, s[24:27], 0 offset:368 ; 4-byte Folded Spill
	s_nop 0
	buffer_store_dword v82, off, s[24:27], 0 offset:372 ; 4-byte Folded Spill
	buffer_store_dword v83, off, s[24:27], 0 offset:376 ; 4-byte Folded Spill
	buffer_store_dword v84, off, s[24:27], 0 offset:380 ; 4-byte Folded Spill
	ds_read2_b64 v[93:96], v90 offset0:10 offset1:11
	buffer_load_dword v81, off, s[24:27], 0 offset:352 ; 4-byte Folded Reload
	buffer_load_dword v82, off, s[24:27], 0 offset:356 ; 4-byte Folded Reload
	buffer_load_dword v83, off, s[24:27], 0 offset:360 ; 4-byte Folded Reload
	buffer_load_dword v84, off, s[24:27], 0 offset:364 ; 4-byte Folded Reload
	s_waitcnt lgkmcnt(0)
	v_mul_f64 v[97:98], v[95:96], v[99:100]
	v_fma_f64 v[97:98], v[93:94], v[125:126], -v[97:98]
	v_mul_f64 v[93:94], v[93:94], v[99:100]
	v_fma_f64 v[93:94], v[95:96], v[125:126], v[93:94]
	s_waitcnt vmcnt(2)
	v_add_f64 v[81:82], v[81:82], -v[97:98]
	s_waitcnt vmcnt(0)
	v_add_f64 v[83:84], v[83:84], -v[93:94]
	buffer_store_dword v81, off, s[24:27], 0 offset:352 ; 4-byte Folded Spill
	s_nop 0
	buffer_store_dword v82, off, s[24:27], 0 offset:356 ; 4-byte Folded Spill
	buffer_store_dword v83, off, s[24:27], 0 offset:360 ; 4-byte Folded Spill
	buffer_store_dword v84, off, s[24:27], 0 offset:364 ; 4-byte Folded Spill
	;; [unrolled: 19-line block ×23, first 2 shown]
	ds_read2_b64 v[93:96], v90 offset0:54 offset1:55
	buffer_load_dword v81, off, s[24:27], 0 ; 4-byte Folded Reload
	buffer_load_dword v82, off, s[24:27], 0 offset:4 ; 4-byte Folded Reload
	buffer_load_dword v83, off, s[24:27], 0 offset:8 ; 4-byte Folded Reload
	;; [unrolled: 1-line block ×3, first 2 shown]
	s_waitcnt lgkmcnt(0)
	v_mul_f64 v[97:98], v[95:96], v[99:100]
	v_fma_f64 v[97:98], v[93:94], v[125:126], -v[97:98]
	v_mul_f64 v[93:94], v[93:94], v[99:100]
	v_fma_f64 v[93:94], v[95:96], v[125:126], v[93:94]
	s_waitcnt vmcnt(2)
	v_add_f64 v[81:82], v[81:82], -v[97:98]
	s_waitcnt vmcnt(0)
	v_add_f64 v[83:84], v[83:84], -v[93:94]
	buffer_store_dword v81, off, s[24:27], 0 ; 4-byte Folded Spill
	s_nop 0
	buffer_store_dword v82, off, s[24:27], 0 offset:4 ; 4-byte Folded Spill
	buffer_store_dword v83, off, s[24:27], 0 offset:8 ; 4-byte Folded Spill
	;; [unrolled: 1-line block ×3, first 2 shown]
	ds_read2_b64 v[93:96], v90 offset0:56 offset1:57
	s_waitcnt lgkmcnt(0)
	v_mul_f64 v[97:98], v[95:96], v[99:100]
	v_fma_f64 v[97:98], v[93:94], v[125:126], -v[97:98]
	v_mul_f64 v[93:94], v[93:94], v[99:100]
	v_add_f64 v[111:112], v[111:112], -v[97:98]
	v_fma_f64 v[93:94], v[95:96], v[125:126], v[93:94]
	v_add_f64 v[113:114], v[113:114], -v[93:94]
	ds_read2_b64 v[93:96], v90 offset0:58 offset1:59
	s_waitcnt lgkmcnt(0)
	v_mul_f64 v[97:98], v[95:96], v[99:100]
	v_fma_f64 v[97:98], v[93:94], v[125:126], -v[97:98]
	v_mul_f64 v[93:94], v[93:94], v[99:100]
	v_add_f64 v[85:86], v[85:86], -v[97:98]
	v_fma_f64 v[93:94], v[95:96], v[125:126], v[93:94]
	v_add_f64 v[87:88], v[87:88], -v[93:94]
	ds_read2_b64 v[93:96], v90 offset0:60 offset1:61
	s_waitcnt lgkmcnt(0)
	v_mul_f64 v[97:98], v[95:96], v[99:100]
	v_fma_f64 v[97:98], v[93:94], v[125:126], -v[97:98]
	v_mul_f64 v[93:94], v[93:94], v[99:100]
	v_add_f64 v[77:78], v[77:78], -v[97:98]
	v_fma_f64 v[93:94], v[95:96], v[125:126], v[93:94]
	v_add_f64 v[79:80], v[79:80], -v[93:94]
	ds_read2_b64 v[93:96], v90 offset0:62 offset1:63
	s_waitcnt lgkmcnt(0)
	v_mul_f64 v[97:98], v[95:96], v[99:100]
	v_fma_f64 v[97:98], v[93:94], v[125:126], -v[97:98]
	v_mul_f64 v[93:94], v[93:94], v[99:100]
	v_add_f64 v[73:74], v[73:74], -v[97:98]
	v_fma_f64 v[93:94], v[95:96], v[125:126], v[93:94]
	v_add_f64 v[75:76], v[75:76], -v[93:94]
	ds_read2_b64 v[93:96], v90 offset0:64 offset1:65
	s_waitcnt lgkmcnt(0)
	v_mul_f64 v[97:98], v[95:96], v[99:100]
	v_fma_f64 v[97:98], v[93:94], v[125:126], -v[97:98]
	v_mul_f64 v[93:94], v[93:94], v[99:100]
	v_add_f64 v[69:70], v[69:70], -v[97:98]
	v_fma_f64 v[93:94], v[95:96], v[125:126], v[93:94]
	v_add_f64 v[71:72], v[71:72], -v[93:94]
	ds_read2_b64 v[93:96], v90 offset0:66 offset1:67
	s_waitcnt lgkmcnt(0)
	v_mul_f64 v[97:98], v[95:96], v[99:100]
	v_fma_f64 v[97:98], v[93:94], v[125:126], -v[97:98]
	v_mul_f64 v[93:94], v[93:94], v[99:100]
	v_add_f64 v[65:66], v[65:66], -v[97:98]
	v_fma_f64 v[93:94], v[95:96], v[125:126], v[93:94]
	v_add_f64 v[67:68], v[67:68], -v[93:94]
	ds_read2_b64 v[93:96], v90 offset0:68 offset1:69
	s_waitcnt lgkmcnt(0)
	v_mul_f64 v[97:98], v[95:96], v[99:100]
	v_fma_f64 v[97:98], v[93:94], v[125:126], -v[97:98]
	v_mul_f64 v[93:94], v[93:94], v[99:100]
	v_add_f64 v[61:62], v[61:62], -v[97:98]
	v_fma_f64 v[93:94], v[95:96], v[125:126], v[93:94]
	v_add_f64 v[63:64], v[63:64], -v[93:94]
	ds_read2_b64 v[93:96], v90 offset0:70 offset1:71
	s_waitcnt lgkmcnt(0)
	v_mul_f64 v[97:98], v[95:96], v[99:100]
	v_fma_f64 v[97:98], v[93:94], v[125:126], -v[97:98]
	v_mul_f64 v[93:94], v[93:94], v[99:100]
	v_add_f64 v[57:58], v[57:58], -v[97:98]
	v_fma_f64 v[93:94], v[95:96], v[125:126], v[93:94]
	v_add_f64 v[59:60], v[59:60], -v[93:94]
	ds_read2_b64 v[93:96], v90 offset0:72 offset1:73
	s_waitcnt lgkmcnt(0)
	v_mul_f64 v[97:98], v[95:96], v[99:100]
	v_fma_f64 v[97:98], v[93:94], v[125:126], -v[97:98]
	v_mul_f64 v[93:94], v[93:94], v[99:100]
	v_add_f64 v[53:54], v[53:54], -v[97:98]
	v_fma_f64 v[93:94], v[95:96], v[125:126], v[93:94]
	v_add_f64 v[55:56], v[55:56], -v[93:94]
	ds_read2_b64 v[93:96], v90 offset0:74 offset1:75
	s_waitcnt lgkmcnt(0)
	v_mul_f64 v[97:98], v[95:96], v[99:100]
	v_fma_f64 v[97:98], v[93:94], v[125:126], -v[97:98]
	v_mul_f64 v[93:94], v[93:94], v[99:100]
	v_add_f64 v[49:50], v[49:50], -v[97:98]
	v_fma_f64 v[93:94], v[95:96], v[125:126], v[93:94]
	v_add_f64 v[51:52], v[51:52], -v[93:94]
	ds_read2_b64 v[93:96], v90 offset0:76 offset1:77
	s_waitcnt lgkmcnt(0)
	v_mul_f64 v[97:98], v[95:96], v[99:100]
	v_fma_f64 v[97:98], v[93:94], v[125:126], -v[97:98]
	v_mul_f64 v[93:94], v[93:94], v[99:100]
	v_add_f64 v[45:46], v[45:46], -v[97:98]
	v_fma_f64 v[93:94], v[95:96], v[125:126], v[93:94]
	v_add_f64 v[47:48], v[47:48], -v[93:94]
	ds_read2_b64 v[93:96], v90 offset0:78 offset1:79
	s_waitcnt lgkmcnt(0)
	v_mul_f64 v[97:98], v[95:96], v[99:100]
	v_fma_f64 v[97:98], v[93:94], v[125:126], -v[97:98]
	v_mul_f64 v[93:94], v[93:94], v[99:100]
	v_add_f64 v[41:42], v[41:42], -v[97:98]
	v_fma_f64 v[93:94], v[95:96], v[125:126], v[93:94]
	v_add_f64 v[43:44], v[43:44], -v[93:94]
	ds_read2_b64 v[93:96], v90 offset0:80 offset1:81
	s_waitcnt lgkmcnt(0)
	v_mul_f64 v[97:98], v[95:96], v[99:100]
	v_fma_f64 v[97:98], v[93:94], v[125:126], -v[97:98]
	v_mul_f64 v[93:94], v[93:94], v[99:100]
	v_add_f64 v[37:38], v[37:38], -v[97:98]
	v_fma_f64 v[93:94], v[95:96], v[125:126], v[93:94]
	v_add_f64 v[39:40], v[39:40], -v[93:94]
	ds_read2_b64 v[93:96], v90 offset0:82 offset1:83
	s_waitcnt lgkmcnt(0)
	v_mul_f64 v[97:98], v[95:96], v[99:100]
	v_fma_f64 v[97:98], v[93:94], v[125:126], -v[97:98]
	v_mul_f64 v[93:94], v[93:94], v[99:100]
	v_add_f64 v[33:34], v[33:34], -v[97:98]
	v_fma_f64 v[93:94], v[95:96], v[125:126], v[93:94]
	v_add_f64 v[35:36], v[35:36], -v[93:94]
	ds_read2_b64 v[93:96], v90 offset0:84 offset1:85
	s_waitcnt lgkmcnt(0)
	v_mul_f64 v[97:98], v[95:96], v[99:100]
	v_fma_f64 v[97:98], v[93:94], v[125:126], -v[97:98]
	v_mul_f64 v[93:94], v[93:94], v[99:100]
	v_add_f64 v[29:30], v[29:30], -v[97:98]
	v_fma_f64 v[93:94], v[95:96], v[125:126], v[93:94]
	v_add_f64 v[31:32], v[31:32], -v[93:94]
	ds_read2_b64 v[93:96], v90 offset0:86 offset1:87
	s_waitcnt lgkmcnt(0)
	v_mul_f64 v[97:98], v[95:96], v[99:100]
	v_fma_f64 v[97:98], v[93:94], v[125:126], -v[97:98]
	v_mul_f64 v[93:94], v[93:94], v[99:100]
	v_add_f64 v[25:26], v[25:26], -v[97:98]
	v_fma_f64 v[93:94], v[95:96], v[125:126], v[93:94]
	v_add_f64 v[27:28], v[27:28], -v[93:94]
	ds_read2_b64 v[93:96], v90 offset0:88 offset1:89
	s_waitcnt lgkmcnt(0)
	v_mul_f64 v[97:98], v[95:96], v[99:100]
	v_fma_f64 v[97:98], v[93:94], v[125:126], -v[97:98]
	v_mul_f64 v[93:94], v[93:94], v[99:100]
	v_add_f64 v[21:22], v[21:22], -v[97:98]
	v_fma_f64 v[93:94], v[95:96], v[125:126], v[93:94]
	v_add_f64 v[23:24], v[23:24], -v[93:94]
	ds_read2_b64 v[93:96], v90 offset0:90 offset1:91
	s_waitcnt lgkmcnt(0)
	v_mul_f64 v[97:98], v[95:96], v[99:100]
	v_fma_f64 v[97:98], v[93:94], v[125:126], -v[97:98]
	v_mul_f64 v[93:94], v[93:94], v[99:100]
	v_add_f64 v[17:18], v[17:18], -v[97:98]
	v_fma_f64 v[93:94], v[95:96], v[125:126], v[93:94]
	v_add_f64 v[19:20], v[19:20], -v[93:94]
	ds_read2_b64 v[93:96], v90 offset0:92 offset1:93
	s_waitcnt lgkmcnt(0)
	v_mul_f64 v[97:98], v[95:96], v[99:100]
	v_fma_f64 v[97:98], v[93:94], v[125:126], -v[97:98]
	v_mul_f64 v[93:94], v[93:94], v[99:100]
	v_add_f64 v[13:14], v[13:14], -v[97:98]
	v_fma_f64 v[93:94], v[95:96], v[125:126], v[93:94]
	v_add_f64 v[15:16], v[15:16], -v[93:94]
	ds_read2_b64 v[93:96], v90 offset0:94 offset1:95
	s_waitcnt lgkmcnt(0)
	v_mul_f64 v[97:98], v[95:96], v[99:100]
	v_fma_f64 v[97:98], v[93:94], v[125:126], -v[97:98]
	v_mul_f64 v[93:94], v[93:94], v[99:100]
	v_add_f64 v[9:10], v[9:10], -v[97:98]
	v_fma_f64 v[93:94], v[95:96], v[125:126], v[93:94]
	v_add_f64 v[11:12], v[11:12], -v[93:94]
	ds_read2_b64 v[93:96], v90 offset0:96 offset1:97
	s_waitcnt lgkmcnt(0)
	v_mul_f64 v[97:98], v[95:96], v[99:100]
	v_fma_f64 v[97:98], v[93:94], v[125:126], -v[97:98]
	v_mul_f64 v[93:94], v[93:94], v[99:100]
	v_add_f64 v[5:6], v[5:6], -v[97:98]
	v_fma_f64 v[93:94], v[95:96], v[125:126], v[93:94]
	v_add_f64 v[7:8], v[7:8], -v[93:94]
	ds_read2_b64 v[93:96], v90 offset0:98 offset1:99
	s_waitcnt lgkmcnt(0)
	v_mul_f64 v[97:98], v[95:96], v[99:100]
	v_fma_f64 v[97:98], v[93:94], v[125:126], -v[97:98]
	v_mul_f64 v[93:94], v[93:94], v[99:100]
	v_add_f64 v[1:2], v[1:2], -v[97:98]
	v_fma_f64 v[93:94], v[95:96], v[125:126], v[93:94]
	ds_read2_b64 v[95:98], v90 offset0:100 offset1:101
	v_add_f64 v[3:4], v[3:4], -v[93:94]
	s_waitcnt lgkmcnt(0)
	v_mul_f64 v[93:94], v[97:98], v[99:100]
	v_fma_f64 v[93:94], v[95:96], v[125:126], -v[93:94]
	v_mul_f64 v[95:96], v[95:96], v[99:100]
	v_add_f64 v[121:122], v[121:122], -v[93:94]
	v_fma_f64 v[95:96], v[97:98], v[125:126], v[95:96]
	v_mov_b32_e32 v97, v125
	v_mov_b32_e32 v98, v126
	buffer_store_dword v97, off, s[24:27], 0 offset:384 ; 4-byte Folded Spill
	s_nop 0
	buffer_store_dword v98, off, s[24:27], 0 offset:388 ; 4-byte Folded Spill
	buffer_store_dword v99, off, s[24:27], 0 offset:392 ; 4-byte Folded Spill
	;; [unrolled: 1-line block ×3, first 2 shown]
	v_add_f64 v[123:124], v[123:124], -v[95:96]
.LBB100_83:
	s_or_b64 exec, exec, s[0:1]
	s_waitcnt vmcnt(0)
	s_barrier
	buffer_load_dword v81, off, s[24:27], 0 offset:368 ; 4-byte Folded Reload
	buffer_load_dword v82, off, s[24:27], 0 offset:372 ; 4-byte Folded Reload
	;; [unrolled: 1-line block ×4, first 2 shown]
	v_lshl_add_u32 v93, v92, 4, v90
	s_cmp_lt_i32 s3, 6
	s_waitcnt vmcnt(0)
	ds_write2_b64 v93, v[81:82], v[83:84] offset1:1
	s_waitcnt lgkmcnt(0)
	s_barrier
	ds_read2_b64 v[117:120], v90 offset0:8 offset1:9
	v_mov_b32_e32 v93, 4
	s_cbranch_scc1 .LBB100_86
; %bb.84:
	v_mov_b32_e32 v93, 4
	v_add_u32_e32 v94, 0x50, v90
	s_mov_b32 s0, 5
.LBB100_85:                             ; =>This Inner Loop Header: Depth=1
	s_waitcnt lgkmcnt(0)
	v_cmp_gt_f64_e32 vcc, 0, v[117:118]
	v_xor_b32_e32 v99, 0x80000000, v118
	ds_read2_b64 v[95:98], v94 offset1:1
	v_xor_b32_e32 v101, 0x80000000, v120
	v_add_u32_e32 v94, 16, v94
	s_waitcnt lgkmcnt(0)
	v_xor_b32_e32 v103, 0x80000000, v98
	v_cndmask_b32_e32 v100, v118, v99, vcc
	v_cmp_gt_f64_e32 vcc, 0, v[119:120]
	v_mov_b32_e32 v99, v117
	v_cndmask_b32_e32 v102, v120, v101, vcc
	v_cmp_gt_f64_e32 vcc, 0, v[95:96]
	v_mov_b32_e32 v101, v119
	v_add_f64 v[99:100], v[99:100], v[101:102]
	v_xor_b32_e32 v101, 0x80000000, v96
	v_cndmask_b32_e32 v102, v96, v101, vcc
	v_cmp_gt_f64_e32 vcc, 0, v[97:98]
	v_mov_b32_e32 v101, v95
	v_cndmask_b32_e32 v104, v98, v103, vcc
	v_mov_b32_e32 v103, v97
	v_add_f64 v[101:102], v[101:102], v[103:104]
	v_cmp_lt_f64_e32 vcc, v[99:100], v[101:102]
	v_cndmask_b32_e32 v117, v117, v95, vcc
	v_mov_b32_e32 v95, s0
	s_add_i32 s0, s0, 1
	v_cndmask_b32_e32 v118, v118, v96, vcc
	v_cndmask_b32_e32 v120, v120, v98, vcc
	;; [unrolled: 1-line block ×4, first 2 shown]
	s_cmp_lg_u32 s3, s0
	s_cbranch_scc1 .LBB100_85
.LBB100_86:
	s_waitcnt lgkmcnt(0)
	v_cmp_eq_f64_e32 vcc, 0, v[117:118]
	v_cmp_eq_f64_e64 s[0:1], 0, v[119:120]
	s_and_b64 s[0:1], vcc, s[0:1]
	s_and_saveexec_b64 s[18:19], s[0:1]
	s_xor_b64 s[0:1], exec, s[18:19]
; %bb.87:
	v_cmp_ne_u32_e32 vcc, 0, v91
	v_cndmask_b32_e32 v91, 5, v91, vcc
; %bb.88:
	s_andn2_saveexec_b64 s[0:1], s[0:1]
	s_cbranch_execz .LBB100_94
; %bb.89:
	v_cmp_ngt_f64_e64 s[18:19], |v[117:118]|, |v[119:120]|
	s_and_saveexec_b64 s[20:21], s[18:19]
	s_xor_b64 s[18:19], exec, s[20:21]
	s_cbranch_execz .LBB100_91
; %bb.90:
	v_div_scale_f64 v[94:95], s[20:21], v[119:120], v[119:120], v[117:118]
	v_rcp_f64_e32 v[96:97], v[94:95]
	v_fma_f64 v[98:99], -v[94:95], v[96:97], 1.0
	v_fma_f64 v[96:97], v[96:97], v[98:99], v[96:97]
	v_div_scale_f64 v[98:99], vcc, v[117:118], v[119:120], v[117:118]
	v_fma_f64 v[100:101], -v[94:95], v[96:97], 1.0
	v_fma_f64 v[96:97], v[96:97], v[100:101], v[96:97]
	v_mul_f64 v[100:101], v[98:99], v[96:97]
	v_fma_f64 v[94:95], -v[94:95], v[100:101], v[98:99]
	v_div_fmas_f64 v[94:95], v[94:95], v[96:97], v[100:101]
	v_div_fixup_f64 v[94:95], v[94:95], v[119:120], v[117:118]
	v_fma_f64 v[96:97], v[117:118], v[94:95], v[119:120]
	v_div_scale_f64 v[98:99], s[20:21], v[96:97], v[96:97], 1.0
	v_div_scale_f64 v[104:105], vcc, 1.0, v[96:97], 1.0
	v_rcp_f64_e32 v[100:101], v[98:99]
	v_fma_f64 v[102:103], -v[98:99], v[100:101], 1.0
	v_fma_f64 v[100:101], v[100:101], v[102:103], v[100:101]
	v_fma_f64 v[102:103], -v[98:99], v[100:101], 1.0
	v_fma_f64 v[100:101], v[100:101], v[102:103], v[100:101]
	v_mul_f64 v[102:103], v[104:105], v[100:101]
	v_fma_f64 v[98:99], -v[98:99], v[102:103], v[104:105]
	v_div_fmas_f64 v[98:99], v[98:99], v[100:101], v[102:103]
	v_div_fixup_f64 v[119:120], v[98:99], v[96:97], 1.0
	v_mul_f64 v[117:118], v[94:95], v[119:120]
	v_xor_b32_e32 v120, 0x80000000, v120
.LBB100_91:
	s_andn2_saveexec_b64 s[18:19], s[18:19]
	s_cbranch_execz .LBB100_93
; %bb.92:
	v_div_scale_f64 v[94:95], s[20:21], v[117:118], v[117:118], v[119:120]
	v_rcp_f64_e32 v[96:97], v[94:95]
	v_fma_f64 v[98:99], -v[94:95], v[96:97], 1.0
	v_fma_f64 v[96:97], v[96:97], v[98:99], v[96:97]
	v_div_scale_f64 v[98:99], vcc, v[119:120], v[117:118], v[119:120]
	v_fma_f64 v[100:101], -v[94:95], v[96:97], 1.0
	v_fma_f64 v[96:97], v[96:97], v[100:101], v[96:97]
	v_mul_f64 v[100:101], v[98:99], v[96:97]
	v_fma_f64 v[94:95], -v[94:95], v[100:101], v[98:99]
	v_div_fmas_f64 v[94:95], v[94:95], v[96:97], v[100:101]
	v_div_fixup_f64 v[94:95], v[94:95], v[117:118], v[119:120]
	v_fma_f64 v[96:97], v[119:120], v[94:95], v[117:118]
	v_div_scale_f64 v[98:99], s[20:21], v[96:97], v[96:97], 1.0
	v_div_scale_f64 v[104:105], vcc, 1.0, v[96:97], 1.0
	v_rcp_f64_e32 v[100:101], v[98:99]
	v_fma_f64 v[102:103], -v[98:99], v[100:101], 1.0
	v_fma_f64 v[100:101], v[100:101], v[102:103], v[100:101]
	v_fma_f64 v[102:103], -v[98:99], v[100:101], 1.0
	v_fma_f64 v[100:101], v[100:101], v[102:103], v[100:101]
	v_mul_f64 v[102:103], v[104:105], v[100:101]
	v_fma_f64 v[98:99], -v[98:99], v[102:103], v[104:105]
	v_div_fmas_f64 v[98:99], v[98:99], v[100:101], v[102:103]
	v_div_fixup_f64 v[117:118], v[98:99], v[96:97], 1.0
	v_mul_f64 v[119:120], v[94:95], -v[117:118]
.LBB100_93:
	s_or_b64 exec, exec, s[18:19]
.LBB100_94:
	s_or_b64 exec, exec, s[0:1]
	v_cmp_ne_u32_e32 vcc, v92, v93
	s_and_saveexec_b64 s[0:1], vcc
	s_xor_b64 s[0:1], exec, s[0:1]
	s_cbranch_execz .LBB100_100
; %bb.95:
	v_cmp_eq_u32_e32 vcc, 4, v92
	s_and_saveexec_b64 s[18:19], vcc
	s_cbranch_execz .LBB100_99
; %bb.96:
	v_cmp_ne_u32_e32 vcc, 4, v93
	s_xor_b64 s[20:21], s[6:7], -1
	s_and_b64 s[22:23], s[20:21], vcc
	s_and_saveexec_b64 s[20:21], s[22:23]
	s_cbranch_execz .LBB100_98
; %bb.97:
	buffer_load_dword v81, off, s[24:27], 0 offset:400 ; 4-byte Folded Reload
	buffer_load_dword v82, off, s[24:27], 0 offset:404 ; 4-byte Folded Reload
	v_ashrrev_i32_e32 v94, 31, v93
	v_lshlrev_b64 v[94:95], 2, v[93:94]
	s_waitcnt vmcnt(1)
	v_add_co_u32_e32 v94, vcc, v81, v94
	s_waitcnt vmcnt(0)
	v_addc_co_u32_e32 v95, vcc, v82, v95, vcc
	global_load_dword v0, v[94:95], off
	global_load_dword v92, v[81:82], off offset:16
	s_waitcnt vmcnt(1)
	global_store_dword v[81:82], v0, off offset:16
	s_waitcnt vmcnt(1)
	global_store_dword v[94:95], v92, off
.LBB100_98:
	s_or_b64 exec, exec, s[20:21]
	v_mov_b32_e32 v92, v93
	v_mov_b32_e32 v0, v93
.LBB100_99:
	s_or_b64 exec, exec, s[18:19]
.LBB100_100:
	s_andn2_saveexec_b64 s[0:1], s[0:1]
	s_cbranch_execz .LBB100_102
; %bb.101:
	buffer_load_dword v81, off, s[24:27], 0 offset:352 ; 4-byte Folded Reload
	buffer_load_dword v82, off, s[24:27], 0 offset:356 ; 4-byte Folded Reload
	;; [unrolled: 1-line block ×4, first 2 shown]
	v_mov_b32_e32 v92, 4
	s_waitcnt vmcnt(0)
	ds_write2_b64 v90, v[81:82], v[83:84] offset0:10 offset1:11
	buffer_load_dword v81, off, s[24:27], 0 offset:336 ; 4-byte Folded Reload
	buffer_load_dword v82, off, s[24:27], 0 offset:340 ; 4-byte Folded Reload
	buffer_load_dword v83, off, s[24:27], 0 offset:344 ; 4-byte Folded Reload
	buffer_load_dword v84, off, s[24:27], 0 offset:348 ; 4-byte Folded Reload
	s_waitcnt vmcnt(0)
	ds_write2_b64 v90, v[81:82], v[83:84] offset0:12 offset1:13
	buffer_load_dword v81, off, s[24:27], 0 offset:320 ; 4-byte Folded Reload
	buffer_load_dword v82, off, s[24:27], 0 offset:324 ; 4-byte Folded Reload
	buffer_load_dword v83, off, s[24:27], 0 offset:328 ; 4-byte Folded Reload
	buffer_load_dword v84, off, s[24:27], 0 offset:332 ; 4-byte Folded Reload
	;; [unrolled: 6-line block ×21, first 2 shown]
	s_waitcnt vmcnt(0)
	ds_write2_b64 v90, v[81:82], v[83:84] offset0:52 offset1:53
	buffer_load_dword v81, off, s[24:27], 0 ; 4-byte Folded Reload
	buffer_load_dword v82, off, s[24:27], 0 offset:4 ; 4-byte Folded Reload
	buffer_load_dword v83, off, s[24:27], 0 offset:8 ; 4-byte Folded Reload
	;; [unrolled: 1-line block ×3, first 2 shown]
	s_waitcnt vmcnt(0)
	ds_write2_b64 v90, v[81:82], v[83:84] offset0:54 offset1:55
	ds_write2_b64 v90, v[111:112], v[113:114] offset0:56 offset1:57
	;; [unrolled: 1-line block ×24, first 2 shown]
.LBB100_102:
	s_or_b64 exec, exec, s[0:1]
	v_cmp_lt_i32_e32 vcc, 4, v92
	s_waitcnt vmcnt(0) lgkmcnt(0)
	s_barrier
	s_and_saveexec_b64 s[0:1], vcc
	s_cbranch_execz .LBB100_104
; %bb.103:
	buffer_load_dword v97, off, s[24:27], 0 offset:368 ; 4-byte Folded Reload
	buffer_load_dword v98, off, s[24:27], 0 offset:372 ; 4-byte Folded Reload
	;; [unrolled: 1-line block ×4, first 2 shown]
	s_waitcnt vmcnt(0)
	v_mul_f64 v[93:94], v[119:120], v[99:100]
	v_fma_f64 v[125:126], v[117:118], v[97:98], -v[93:94]
	v_mul_f64 v[93:94], v[117:118], v[99:100]
	v_fma_f64 v[99:100], v[119:120], v[97:98], v[93:94]
	ds_read2_b64 v[93:96], v90 offset0:10 offset1:11
	buffer_load_dword v81, off, s[24:27], 0 offset:352 ; 4-byte Folded Reload
	buffer_load_dword v82, off, s[24:27], 0 offset:356 ; 4-byte Folded Reload
	buffer_load_dword v83, off, s[24:27], 0 offset:360 ; 4-byte Folded Reload
	buffer_load_dword v84, off, s[24:27], 0 offset:364 ; 4-byte Folded Reload
	s_waitcnt lgkmcnt(0)
	v_mul_f64 v[97:98], v[95:96], v[99:100]
	v_fma_f64 v[97:98], v[93:94], v[125:126], -v[97:98]
	v_mul_f64 v[93:94], v[93:94], v[99:100]
	v_fma_f64 v[93:94], v[95:96], v[125:126], v[93:94]
	s_waitcnt vmcnt(2)
	v_add_f64 v[81:82], v[81:82], -v[97:98]
	s_waitcnt vmcnt(0)
	v_add_f64 v[83:84], v[83:84], -v[93:94]
	buffer_store_dword v81, off, s[24:27], 0 offset:352 ; 4-byte Folded Spill
	s_nop 0
	buffer_store_dword v82, off, s[24:27], 0 offset:356 ; 4-byte Folded Spill
	buffer_store_dword v83, off, s[24:27], 0 offset:360 ; 4-byte Folded Spill
	buffer_store_dword v84, off, s[24:27], 0 offset:364 ; 4-byte Folded Spill
	ds_read2_b64 v[93:96], v90 offset0:12 offset1:13
	buffer_load_dword v81, off, s[24:27], 0 offset:336 ; 4-byte Folded Reload
	buffer_load_dword v82, off, s[24:27], 0 offset:340 ; 4-byte Folded Reload
	buffer_load_dword v83, off, s[24:27], 0 offset:344 ; 4-byte Folded Reload
	buffer_load_dword v84, off, s[24:27], 0 offset:348 ; 4-byte Folded Reload
	s_waitcnt lgkmcnt(0)
	v_mul_f64 v[97:98], v[95:96], v[99:100]
	v_fma_f64 v[97:98], v[93:94], v[125:126], -v[97:98]
	v_mul_f64 v[93:94], v[93:94], v[99:100]
	v_fma_f64 v[93:94], v[95:96], v[125:126], v[93:94]
	s_waitcnt vmcnt(2)
	v_add_f64 v[81:82], v[81:82], -v[97:98]
	s_waitcnt vmcnt(0)
	v_add_f64 v[83:84], v[83:84], -v[93:94]
	buffer_store_dword v81, off, s[24:27], 0 offset:336 ; 4-byte Folded Spill
	s_nop 0
	buffer_store_dword v82, off, s[24:27], 0 offset:340 ; 4-byte Folded Spill
	buffer_store_dword v83, off, s[24:27], 0 offset:344 ; 4-byte Folded Spill
	buffer_store_dword v84, off, s[24:27], 0 offset:348 ; 4-byte Folded Spill
	;; [unrolled: 19-line block ×22, first 2 shown]
	ds_read2_b64 v[93:96], v90 offset0:54 offset1:55
	buffer_load_dword v81, off, s[24:27], 0 ; 4-byte Folded Reload
	buffer_load_dword v82, off, s[24:27], 0 offset:4 ; 4-byte Folded Reload
	buffer_load_dword v83, off, s[24:27], 0 offset:8 ; 4-byte Folded Reload
	;; [unrolled: 1-line block ×3, first 2 shown]
	s_waitcnt lgkmcnt(0)
	v_mul_f64 v[97:98], v[95:96], v[99:100]
	v_fma_f64 v[97:98], v[93:94], v[125:126], -v[97:98]
	v_mul_f64 v[93:94], v[93:94], v[99:100]
	v_fma_f64 v[93:94], v[95:96], v[125:126], v[93:94]
	s_waitcnt vmcnt(2)
	v_add_f64 v[81:82], v[81:82], -v[97:98]
	s_waitcnt vmcnt(0)
	v_add_f64 v[83:84], v[83:84], -v[93:94]
	buffer_store_dword v81, off, s[24:27], 0 ; 4-byte Folded Spill
	s_nop 0
	buffer_store_dword v82, off, s[24:27], 0 offset:4 ; 4-byte Folded Spill
	buffer_store_dword v83, off, s[24:27], 0 offset:8 ; 4-byte Folded Spill
	;; [unrolled: 1-line block ×3, first 2 shown]
	ds_read2_b64 v[93:96], v90 offset0:56 offset1:57
	s_waitcnt lgkmcnt(0)
	v_mul_f64 v[97:98], v[95:96], v[99:100]
	v_fma_f64 v[97:98], v[93:94], v[125:126], -v[97:98]
	v_mul_f64 v[93:94], v[93:94], v[99:100]
	v_add_f64 v[111:112], v[111:112], -v[97:98]
	v_fma_f64 v[93:94], v[95:96], v[125:126], v[93:94]
	v_add_f64 v[113:114], v[113:114], -v[93:94]
	ds_read2_b64 v[93:96], v90 offset0:58 offset1:59
	s_waitcnt lgkmcnt(0)
	v_mul_f64 v[97:98], v[95:96], v[99:100]
	v_fma_f64 v[97:98], v[93:94], v[125:126], -v[97:98]
	v_mul_f64 v[93:94], v[93:94], v[99:100]
	v_add_f64 v[85:86], v[85:86], -v[97:98]
	v_fma_f64 v[93:94], v[95:96], v[125:126], v[93:94]
	v_add_f64 v[87:88], v[87:88], -v[93:94]
	;; [unrolled: 8-line block ×21, first 2 shown]
	ds_read2_b64 v[93:96], v90 offset0:98 offset1:99
	s_waitcnt lgkmcnt(0)
	v_mul_f64 v[97:98], v[95:96], v[99:100]
	v_fma_f64 v[97:98], v[93:94], v[125:126], -v[97:98]
	v_mul_f64 v[93:94], v[93:94], v[99:100]
	v_add_f64 v[1:2], v[1:2], -v[97:98]
	v_fma_f64 v[93:94], v[95:96], v[125:126], v[93:94]
	ds_read2_b64 v[95:98], v90 offset0:100 offset1:101
	v_add_f64 v[3:4], v[3:4], -v[93:94]
	s_waitcnt lgkmcnt(0)
	v_mul_f64 v[93:94], v[97:98], v[99:100]
	v_fma_f64 v[93:94], v[95:96], v[125:126], -v[93:94]
	v_mul_f64 v[95:96], v[95:96], v[99:100]
	v_add_f64 v[121:122], v[121:122], -v[93:94]
	v_fma_f64 v[95:96], v[97:98], v[125:126], v[95:96]
	v_mov_b32_e32 v97, v125
	v_mov_b32_e32 v98, v126
	buffer_store_dword v97, off, s[24:27], 0 offset:368 ; 4-byte Folded Spill
	s_nop 0
	buffer_store_dword v98, off, s[24:27], 0 offset:372 ; 4-byte Folded Spill
	buffer_store_dword v99, off, s[24:27], 0 offset:376 ; 4-byte Folded Spill
	;; [unrolled: 1-line block ×3, first 2 shown]
	v_add_f64 v[123:124], v[123:124], -v[95:96]
.LBB100_104:
	s_or_b64 exec, exec, s[0:1]
	s_waitcnt vmcnt(0)
	s_barrier
	buffer_load_dword v81, off, s[24:27], 0 offset:352 ; 4-byte Folded Reload
	buffer_load_dword v82, off, s[24:27], 0 offset:356 ; 4-byte Folded Reload
	;; [unrolled: 1-line block ×4, first 2 shown]
	v_lshl_add_u32 v93, v92, 4, v90
	s_cmp_lt_i32 s3, 7
	s_waitcnt vmcnt(0)
	ds_write2_b64 v93, v[81:82], v[83:84] offset1:1
	s_waitcnt lgkmcnt(0)
	s_barrier
	ds_read2_b64 v[117:120], v90 offset0:10 offset1:11
	v_mov_b32_e32 v93, 5
	s_cbranch_scc1 .LBB100_107
; %bb.105:
	v_add_u32_e32 v94, 0x60, v90
	s_mov_b32 s0, 6
	v_mov_b32_e32 v93, 5
.LBB100_106:                            ; =>This Inner Loop Header: Depth=1
	s_waitcnt lgkmcnt(0)
	v_cmp_gt_f64_e32 vcc, 0, v[117:118]
	v_xor_b32_e32 v99, 0x80000000, v118
	ds_read2_b64 v[95:98], v94 offset1:1
	v_xor_b32_e32 v101, 0x80000000, v120
	v_add_u32_e32 v94, 16, v94
	s_waitcnt lgkmcnt(0)
	v_xor_b32_e32 v103, 0x80000000, v98
	v_cndmask_b32_e32 v100, v118, v99, vcc
	v_cmp_gt_f64_e32 vcc, 0, v[119:120]
	v_mov_b32_e32 v99, v117
	v_cndmask_b32_e32 v102, v120, v101, vcc
	v_cmp_gt_f64_e32 vcc, 0, v[95:96]
	v_mov_b32_e32 v101, v119
	v_add_f64 v[99:100], v[99:100], v[101:102]
	v_xor_b32_e32 v101, 0x80000000, v96
	v_cndmask_b32_e32 v102, v96, v101, vcc
	v_cmp_gt_f64_e32 vcc, 0, v[97:98]
	v_mov_b32_e32 v101, v95
	v_cndmask_b32_e32 v104, v98, v103, vcc
	v_mov_b32_e32 v103, v97
	v_add_f64 v[101:102], v[101:102], v[103:104]
	v_cmp_lt_f64_e32 vcc, v[99:100], v[101:102]
	v_cndmask_b32_e32 v117, v117, v95, vcc
	v_mov_b32_e32 v95, s0
	s_add_i32 s0, s0, 1
	v_cndmask_b32_e32 v118, v118, v96, vcc
	v_cndmask_b32_e32 v120, v120, v98, vcc
	;; [unrolled: 1-line block ×4, first 2 shown]
	s_cmp_lg_u32 s3, s0
	s_cbranch_scc1 .LBB100_106
.LBB100_107:
	s_waitcnt lgkmcnt(0)
	v_cmp_eq_f64_e32 vcc, 0, v[117:118]
	v_cmp_eq_f64_e64 s[0:1], 0, v[119:120]
	s_and_b64 s[0:1], vcc, s[0:1]
	s_and_saveexec_b64 s[18:19], s[0:1]
	s_xor_b64 s[0:1], exec, s[18:19]
; %bb.108:
	v_cmp_ne_u32_e32 vcc, 0, v91
	v_cndmask_b32_e32 v91, 6, v91, vcc
; %bb.109:
	s_andn2_saveexec_b64 s[0:1], s[0:1]
	s_cbranch_execz .LBB100_115
; %bb.110:
	v_cmp_ngt_f64_e64 s[18:19], |v[117:118]|, |v[119:120]|
	s_and_saveexec_b64 s[20:21], s[18:19]
	s_xor_b64 s[18:19], exec, s[20:21]
	s_cbranch_execz .LBB100_112
; %bb.111:
	v_div_scale_f64 v[94:95], s[20:21], v[119:120], v[119:120], v[117:118]
	v_rcp_f64_e32 v[96:97], v[94:95]
	v_fma_f64 v[98:99], -v[94:95], v[96:97], 1.0
	v_fma_f64 v[96:97], v[96:97], v[98:99], v[96:97]
	v_div_scale_f64 v[98:99], vcc, v[117:118], v[119:120], v[117:118]
	v_fma_f64 v[100:101], -v[94:95], v[96:97], 1.0
	v_fma_f64 v[96:97], v[96:97], v[100:101], v[96:97]
	v_mul_f64 v[100:101], v[98:99], v[96:97]
	v_fma_f64 v[94:95], -v[94:95], v[100:101], v[98:99]
	v_div_fmas_f64 v[94:95], v[94:95], v[96:97], v[100:101]
	v_div_fixup_f64 v[94:95], v[94:95], v[119:120], v[117:118]
	v_fma_f64 v[96:97], v[117:118], v[94:95], v[119:120]
	v_div_scale_f64 v[98:99], s[20:21], v[96:97], v[96:97], 1.0
	v_div_scale_f64 v[104:105], vcc, 1.0, v[96:97], 1.0
	v_rcp_f64_e32 v[100:101], v[98:99]
	v_fma_f64 v[102:103], -v[98:99], v[100:101], 1.0
	v_fma_f64 v[100:101], v[100:101], v[102:103], v[100:101]
	v_fma_f64 v[102:103], -v[98:99], v[100:101], 1.0
	v_fma_f64 v[100:101], v[100:101], v[102:103], v[100:101]
	v_mul_f64 v[102:103], v[104:105], v[100:101]
	v_fma_f64 v[98:99], -v[98:99], v[102:103], v[104:105]
	v_div_fmas_f64 v[98:99], v[98:99], v[100:101], v[102:103]
	v_div_fixup_f64 v[119:120], v[98:99], v[96:97], 1.0
	v_mul_f64 v[117:118], v[94:95], v[119:120]
	v_xor_b32_e32 v120, 0x80000000, v120
.LBB100_112:
	s_andn2_saveexec_b64 s[18:19], s[18:19]
	s_cbranch_execz .LBB100_114
; %bb.113:
	v_div_scale_f64 v[94:95], s[20:21], v[117:118], v[117:118], v[119:120]
	v_rcp_f64_e32 v[96:97], v[94:95]
	v_fma_f64 v[98:99], -v[94:95], v[96:97], 1.0
	v_fma_f64 v[96:97], v[96:97], v[98:99], v[96:97]
	v_div_scale_f64 v[98:99], vcc, v[119:120], v[117:118], v[119:120]
	v_fma_f64 v[100:101], -v[94:95], v[96:97], 1.0
	v_fma_f64 v[96:97], v[96:97], v[100:101], v[96:97]
	v_mul_f64 v[100:101], v[98:99], v[96:97]
	v_fma_f64 v[94:95], -v[94:95], v[100:101], v[98:99]
	v_div_fmas_f64 v[94:95], v[94:95], v[96:97], v[100:101]
	v_div_fixup_f64 v[94:95], v[94:95], v[117:118], v[119:120]
	v_fma_f64 v[96:97], v[119:120], v[94:95], v[117:118]
	v_div_scale_f64 v[98:99], s[20:21], v[96:97], v[96:97], 1.0
	v_div_scale_f64 v[104:105], vcc, 1.0, v[96:97], 1.0
	v_rcp_f64_e32 v[100:101], v[98:99]
	v_fma_f64 v[102:103], -v[98:99], v[100:101], 1.0
	v_fma_f64 v[100:101], v[100:101], v[102:103], v[100:101]
	v_fma_f64 v[102:103], -v[98:99], v[100:101], 1.0
	v_fma_f64 v[100:101], v[100:101], v[102:103], v[100:101]
	v_mul_f64 v[102:103], v[104:105], v[100:101]
	v_fma_f64 v[98:99], -v[98:99], v[102:103], v[104:105]
	v_div_fmas_f64 v[98:99], v[98:99], v[100:101], v[102:103]
	v_div_fixup_f64 v[117:118], v[98:99], v[96:97], 1.0
	v_mul_f64 v[119:120], v[94:95], -v[117:118]
.LBB100_114:
	s_or_b64 exec, exec, s[18:19]
.LBB100_115:
	s_or_b64 exec, exec, s[0:1]
	v_cmp_ne_u32_e32 vcc, v92, v93
	s_and_saveexec_b64 s[0:1], vcc
	s_xor_b64 s[0:1], exec, s[0:1]
	s_cbranch_execz .LBB100_121
; %bb.116:
	v_cmp_eq_u32_e32 vcc, 5, v92
	s_and_saveexec_b64 s[18:19], vcc
	s_cbranch_execz .LBB100_120
; %bb.117:
	v_cmp_ne_u32_e32 vcc, 5, v93
	s_xor_b64 s[20:21], s[6:7], -1
	s_and_b64 s[22:23], s[20:21], vcc
	s_and_saveexec_b64 s[20:21], s[22:23]
	s_cbranch_execz .LBB100_119
; %bb.118:
	buffer_load_dword v81, off, s[24:27], 0 offset:400 ; 4-byte Folded Reload
	buffer_load_dword v82, off, s[24:27], 0 offset:404 ; 4-byte Folded Reload
	v_ashrrev_i32_e32 v94, 31, v93
	v_lshlrev_b64 v[94:95], 2, v[93:94]
	s_waitcnt vmcnt(1)
	v_add_co_u32_e32 v94, vcc, v81, v94
	s_waitcnt vmcnt(0)
	v_addc_co_u32_e32 v95, vcc, v82, v95, vcc
	global_load_dword v0, v[94:95], off
	global_load_dword v92, v[81:82], off offset:20
	s_waitcnt vmcnt(1)
	global_store_dword v[81:82], v0, off offset:20
	s_waitcnt vmcnt(1)
	global_store_dword v[94:95], v92, off
.LBB100_119:
	s_or_b64 exec, exec, s[20:21]
	v_mov_b32_e32 v92, v93
	v_mov_b32_e32 v0, v93
.LBB100_120:
	s_or_b64 exec, exec, s[18:19]
.LBB100_121:
	s_andn2_saveexec_b64 s[0:1], s[0:1]
	s_cbranch_execz .LBB100_123
; %bb.122:
	buffer_load_dword v81, off, s[24:27], 0 offset:336 ; 4-byte Folded Reload
	buffer_load_dword v82, off, s[24:27], 0 offset:340 ; 4-byte Folded Reload
	;; [unrolled: 1-line block ×4, first 2 shown]
	v_mov_b32_e32 v92, 5
	s_waitcnt vmcnt(0)
	ds_write2_b64 v90, v[81:82], v[83:84] offset0:12 offset1:13
	buffer_load_dword v81, off, s[24:27], 0 offset:320 ; 4-byte Folded Reload
	buffer_load_dword v82, off, s[24:27], 0 offset:324 ; 4-byte Folded Reload
	buffer_load_dword v83, off, s[24:27], 0 offset:328 ; 4-byte Folded Reload
	buffer_load_dword v84, off, s[24:27], 0 offset:332 ; 4-byte Folded Reload
	s_waitcnt vmcnt(0)
	ds_write2_b64 v90, v[81:82], v[83:84] offset0:14 offset1:15
	buffer_load_dword v81, off, s[24:27], 0 offset:304 ; 4-byte Folded Reload
	buffer_load_dword v82, off, s[24:27], 0 offset:308 ; 4-byte Folded Reload
	buffer_load_dword v83, off, s[24:27], 0 offset:312 ; 4-byte Folded Reload
	buffer_load_dword v84, off, s[24:27], 0 offset:316 ; 4-byte Folded Reload
	;; [unrolled: 6-line block ×20, first 2 shown]
	s_waitcnt vmcnt(0)
	ds_write2_b64 v90, v[81:82], v[83:84] offset0:52 offset1:53
	buffer_load_dword v81, off, s[24:27], 0 ; 4-byte Folded Reload
	buffer_load_dword v82, off, s[24:27], 0 offset:4 ; 4-byte Folded Reload
	buffer_load_dword v83, off, s[24:27], 0 offset:8 ; 4-byte Folded Reload
	;; [unrolled: 1-line block ×3, first 2 shown]
	s_waitcnt vmcnt(0)
	ds_write2_b64 v90, v[81:82], v[83:84] offset0:54 offset1:55
	ds_write2_b64 v90, v[111:112], v[113:114] offset0:56 offset1:57
	;; [unrolled: 1-line block ×24, first 2 shown]
.LBB100_123:
	s_or_b64 exec, exec, s[0:1]
	v_cmp_lt_i32_e32 vcc, 5, v92
	s_waitcnt vmcnt(0) lgkmcnt(0)
	s_barrier
	s_and_saveexec_b64 s[0:1], vcc
	s_cbranch_execz .LBB100_125
; %bb.124:
	buffer_load_dword v97, off, s[24:27], 0 offset:352 ; 4-byte Folded Reload
	buffer_load_dword v98, off, s[24:27], 0 offset:356 ; 4-byte Folded Reload
	;; [unrolled: 1-line block ×4, first 2 shown]
	s_waitcnt vmcnt(0)
	v_mul_f64 v[93:94], v[119:120], v[99:100]
	v_fma_f64 v[125:126], v[117:118], v[97:98], -v[93:94]
	v_mul_f64 v[93:94], v[117:118], v[99:100]
	v_fma_f64 v[99:100], v[119:120], v[97:98], v[93:94]
	ds_read2_b64 v[93:96], v90 offset0:12 offset1:13
	buffer_load_dword v81, off, s[24:27], 0 offset:336 ; 4-byte Folded Reload
	buffer_load_dword v82, off, s[24:27], 0 offset:340 ; 4-byte Folded Reload
	buffer_load_dword v83, off, s[24:27], 0 offset:344 ; 4-byte Folded Reload
	buffer_load_dword v84, off, s[24:27], 0 offset:348 ; 4-byte Folded Reload
	s_waitcnt lgkmcnt(0)
	v_mul_f64 v[97:98], v[95:96], v[99:100]
	v_fma_f64 v[97:98], v[93:94], v[125:126], -v[97:98]
	v_mul_f64 v[93:94], v[93:94], v[99:100]
	v_fma_f64 v[93:94], v[95:96], v[125:126], v[93:94]
	s_waitcnt vmcnt(2)
	v_add_f64 v[81:82], v[81:82], -v[97:98]
	s_waitcnt vmcnt(0)
	v_add_f64 v[83:84], v[83:84], -v[93:94]
	buffer_store_dword v81, off, s[24:27], 0 offset:336 ; 4-byte Folded Spill
	s_nop 0
	buffer_store_dword v82, off, s[24:27], 0 offset:340 ; 4-byte Folded Spill
	buffer_store_dword v83, off, s[24:27], 0 offset:344 ; 4-byte Folded Spill
	buffer_store_dword v84, off, s[24:27], 0 offset:348 ; 4-byte Folded Spill
	ds_read2_b64 v[93:96], v90 offset0:14 offset1:15
	buffer_load_dword v81, off, s[24:27], 0 offset:320 ; 4-byte Folded Reload
	buffer_load_dword v82, off, s[24:27], 0 offset:324 ; 4-byte Folded Reload
	buffer_load_dword v83, off, s[24:27], 0 offset:328 ; 4-byte Folded Reload
	buffer_load_dword v84, off, s[24:27], 0 offset:332 ; 4-byte Folded Reload
	s_waitcnt lgkmcnt(0)
	v_mul_f64 v[97:98], v[95:96], v[99:100]
	v_fma_f64 v[97:98], v[93:94], v[125:126], -v[97:98]
	v_mul_f64 v[93:94], v[93:94], v[99:100]
	v_fma_f64 v[93:94], v[95:96], v[125:126], v[93:94]
	s_waitcnt vmcnt(2)
	v_add_f64 v[81:82], v[81:82], -v[97:98]
	s_waitcnt vmcnt(0)
	v_add_f64 v[83:84], v[83:84], -v[93:94]
	buffer_store_dword v81, off, s[24:27], 0 offset:320 ; 4-byte Folded Spill
	s_nop 0
	buffer_store_dword v82, off, s[24:27], 0 offset:324 ; 4-byte Folded Spill
	buffer_store_dword v83, off, s[24:27], 0 offset:328 ; 4-byte Folded Spill
	buffer_store_dword v84, off, s[24:27], 0 offset:332 ; 4-byte Folded Spill
	;; [unrolled: 19-line block ×21, first 2 shown]
	ds_read2_b64 v[93:96], v90 offset0:54 offset1:55
	buffer_load_dword v81, off, s[24:27], 0 ; 4-byte Folded Reload
	buffer_load_dword v82, off, s[24:27], 0 offset:4 ; 4-byte Folded Reload
	buffer_load_dword v83, off, s[24:27], 0 offset:8 ; 4-byte Folded Reload
	;; [unrolled: 1-line block ×3, first 2 shown]
	s_waitcnt lgkmcnt(0)
	v_mul_f64 v[97:98], v[95:96], v[99:100]
	v_fma_f64 v[97:98], v[93:94], v[125:126], -v[97:98]
	v_mul_f64 v[93:94], v[93:94], v[99:100]
	v_fma_f64 v[93:94], v[95:96], v[125:126], v[93:94]
	s_waitcnt vmcnt(2)
	v_add_f64 v[81:82], v[81:82], -v[97:98]
	s_waitcnt vmcnt(0)
	v_add_f64 v[83:84], v[83:84], -v[93:94]
	buffer_store_dword v81, off, s[24:27], 0 ; 4-byte Folded Spill
	s_nop 0
	buffer_store_dword v82, off, s[24:27], 0 offset:4 ; 4-byte Folded Spill
	buffer_store_dword v83, off, s[24:27], 0 offset:8 ; 4-byte Folded Spill
	;; [unrolled: 1-line block ×3, first 2 shown]
	ds_read2_b64 v[93:96], v90 offset0:56 offset1:57
	s_waitcnt lgkmcnt(0)
	v_mul_f64 v[97:98], v[95:96], v[99:100]
	v_fma_f64 v[97:98], v[93:94], v[125:126], -v[97:98]
	v_mul_f64 v[93:94], v[93:94], v[99:100]
	v_add_f64 v[111:112], v[111:112], -v[97:98]
	v_fma_f64 v[93:94], v[95:96], v[125:126], v[93:94]
	v_add_f64 v[113:114], v[113:114], -v[93:94]
	ds_read2_b64 v[93:96], v90 offset0:58 offset1:59
	s_waitcnt lgkmcnt(0)
	v_mul_f64 v[97:98], v[95:96], v[99:100]
	v_fma_f64 v[97:98], v[93:94], v[125:126], -v[97:98]
	v_mul_f64 v[93:94], v[93:94], v[99:100]
	v_add_f64 v[85:86], v[85:86], -v[97:98]
	v_fma_f64 v[93:94], v[95:96], v[125:126], v[93:94]
	v_add_f64 v[87:88], v[87:88], -v[93:94]
	;; [unrolled: 8-line block ×21, first 2 shown]
	ds_read2_b64 v[93:96], v90 offset0:98 offset1:99
	s_waitcnt lgkmcnt(0)
	v_mul_f64 v[97:98], v[95:96], v[99:100]
	v_fma_f64 v[97:98], v[93:94], v[125:126], -v[97:98]
	v_mul_f64 v[93:94], v[93:94], v[99:100]
	v_add_f64 v[1:2], v[1:2], -v[97:98]
	v_fma_f64 v[93:94], v[95:96], v[125:126], v[93:94]
	ds_read2_b64 v[95:98], v90 offset0:100 offset1:101
	v_add_f64 v[3:4], v[3:4], -v[93:94]
	s_waitcnt lgkmcnt(0)
	v_mul_f64 v[93:94], v[97:98], v[99:100]
	v_fma_f64 v[93:94], v[95:96], v[125:126], -v[93:94]
	v_mul_f64 v[95:96], v[95:96], v[99:100]
	v_add_f64 v[121:122], v[121:122], -v[93:94]
	v_fma_f64 v[95:96], v[97:98], v[125:126], v[95:96]
	v_mov_b32_e32 v97, v125
	v_mov_b32_e32 v98, v126
	buffer_store_dword v97, off, s[24:27], 0 offset:352 ; 4-byte Folded Spill
	s_nop 0
	buffer_store_dword v98, off, s[24:27], 0 offset:356 ; 4-byte Folded Spill
	buffer_store_dword v99, off, s[24:27], 0 offset:360 ; 4-byte Folded Spill
	;; [unrolled: 1-line block ×3, first 2 shown]
	v_add_f64 v[123:124], v[123:124], -v[95:96]
.LBB100_125:
	s_or_b64 exec, exec, s[0:1]
	s_waitcnt vmcnt(0)
	s_barrier
	buffer_load_dword v81, off, s[24:27], 0 offset:336 ; 4-byte Folded Reload
	buffer_load_dword v82, off, s[24:27], 0 offset:340 ; 4-byte Folded Reload
	;; [unrolled: 1-line block ×4, first 2 shown]
	v_lshl_add_u32 v93, v92, 4, v90
	s_cmp_lt_i32 s3, 8
	s_waitcnt vmcnt(0)
	ds_write2_b64 v93, v[81:82], v[83:84] offset1:1
	s_waitcnt lgkmcnt(0)
	s_barrier
	ds_read2_b64 v[117:120], v90 offset0:12 offset1:13
	v_mov_b32_e32 v93, 6
	s_cbranch_scc1 .LBB100_128
; %bb.126:
	v_add_u32_e32 v94, 0x70, v90
	s_mov_b32 s0, 7
	v_mov_b32_e32 v93, 6
.LBB100_127:                            ; =>This Inner Loop Header: Depth=1
	s_waitcnt lgkmcnt(0)
	v_cmp_gt_f64_e32 vcc, 0, v[117:118]
	v_xor_b32_e32 v99, 0x80000000, v118
	ds_read2_b64 v[95:98], v94 offset1:1
	v_xor_b32_e32 v101, 0x80000000, v120
	v_add_u32_e32 v94, 16, v94
	s_waitcnt lgkmcnt(0)
	v_xor_b32_e32 v103, 0x80000000, v98
	v_cndmask_b32_e32 v100, v118, v99, vcc
	v_cmp_gt_f64_e32 vcc, 0, v[119:120]
	v_mov_b32_e32 v99, v117
	v_cndmask_b32_e32 v102, v120, v101, vcc
	v_cmp_gt_f64_e32 vcc, 0, v[95:96]
	v_mov_b32_e32 v101, v119
	v_add_f64 v[99:100], v[99:100], v[101:102]
	v_xor_b32_e32 v101, 0x80000000, v96
	v_cndmask_b32_e32 v102, v96, v101, vcc
	v_cmp_gt_f64_e32 vcc, 0, v[97:98]
	v_mov_b32_e32 v101, v95
	v_cndmask_b32_e32 v104, v98, v103, vcc
	v_mov_b32_e32 v103, v97
	v_add_f64 v[101:102], v[101:102], v[103:104]
	v_cmp_lt_f64_e32 vcc, v[99:100], v[101:102]
	v_cndmask_b32_e32 v117, v117, v95, vcc
	v_mov_b32_e32 v95, s0
	s_add_i32 s0, s0, 1
	v_cndmask_b32_e32 v118, v118, v96, vcc
	v_cndmask_b32_e32 v120, v120, v98, vcc
	;; [unrolled: 1-line block ×4, first 2 shown]
	s_cmp_lg_u32 s3, s0
	s_cbranch_scc1 .LBB100_127
.LBB100_128:
	s_waitcnt lgkmcnt(0)
	v_cmp_eq_f64_e32 vcc, 0, v[117:118]
	v_cmp_eq_f64_e64 s[0:1], 0, v[119:120]
	s_and_b64 s[0:1], vcc, s[0:1]
	s_and_saveexec_b64 s[18:19], s[0:1]
	s_xor_b64 s[0:1], exec, s[18:19]
; %bb.129:
	v_cmp_ne_u32_e32 vcc, 0, v91
	v_cndmask_b32_e32 v91, 7, v91, vcc
; %bb.130:
	s_andn2_saveexec_b64 s[0:1], s[0:1]
	s_cbranch_execz .LBB100_136
; %bb.131:
	v_cmp_ngt_f64_e64 s[18:19], |v[117:118]|, |v[119:120]|
	s_and_saveexec_b64 s[20:21], s[18:19]
	s_xor_b64 s[18:19], exec, s[20:21]
	s_cbranch_execz .LBB100_133
; %bb.132:
	v_div_scale_f64 v[94:95], s[20:21], v[119:120], v[119:120], v[117:118]
	v_rcp_f64_e32 v[96:97], v[94:95]
	v_fma_f64 v[98:99], -v[94:95], v[96:97], 1.0
	v_fma_f64 v[96:97], v[96:97], v[98:99], v[96:97]
	v_div_scale_f64 v[98:99], vcc, v[117:118], v[119:120], v[117:118]
	v_fma_f64 v[100:101], -v[94:95], v[96:97], 1.0
	v_fma_f64 v[96:97], v[96:97], v[100:101], v[96:97]
	v_mul_f64 v[100:101], v[98:99], v[96:97]
	v_fma_f64 v[94:95], -v[94:95], v[100:101], v[98:99]
	v_div_fmas_f64 v[94:95], v[94:95], v[96:97], v[100:101]
	v_div_fixup_f64 v[94:95], v[94:95], v[119:120], v[117:118]
	v_fma_f64 v[96:97], v[117:118], v[94:95], v[119:120]
	v_div_scale_f64 v[98:99], s[20:21], v[96:97], v[96:97], 1.0
	v_div_scale_f64 v[104:105], vcc, 1.0, v[96:97], 1.0
	v_rcp_f64_e32 v[100:101], v[98:99]
	v_fma_f64 v[102:103], -v[98:99], v[100:101], 1.0
	v_fma_f64 v[100:101], v[100:101], v[102:103], v[100:101]
	v_fma_f64 v[102:103], -v[98:99], v[100:101], 1.0
	v_fma_f64 v[100:101], v[100:101], v[102:103], v[100:101]
	v_mul_f64 v[102:103], v[104:105], v[100:101]
	v_fma_f64 v[98:99], -v[98:99], v[102:103], v[104:105]
	v_div_fmas_f64 v[98:99], v[98:99], v[100:101], v[102:103]
	v_div_fixup_f64 v[119:120], v[98:99], v[96:97], 1.0
	v_mul_f64 v[117:118], v[94:95], v[119:120]
	v_xor_b32_e32 v120, 0x80000000, v120
.LBB100_133:
	s_andn2_saveexec_b64 s[18:19], s[18:19]
	s_cbranch_execz .LBB100_135
; %bb.134:
	v_div_scale_f64 v[94:95], s[20:21], v[117:118], v[117:118], v[119:120]
	v_rcp_f64_e32 v[96:97], v[94:95]
	v_fma_f64 v[98:99], -v[94:95], v[96:97], 1.0
	v_fma_f64 v[96:97], v[96:97], v[98:99], v[96:97]
	v_div_scale_f64 v[98:99], vcc, v[119:120], v[117:118], v[119:120]
	v_fma_f64 v[100:101], -v[94:95], v[96:97], 1.0
	v_fma_f64 v[96:97], v[96:97], v[100:101], v[96:97]
	v_mul_f64 v[100:101], v[98:99], v[96:97]
	v_fma_f64 v[94:95], -v[94:95], v[100:101], v[98:99]
	v_div_fmas_f64 v[94:95], v[94:95], v[96:97], v[100:101]
	v_div_fixup_f64 v[94:95], v[94:95], v[117:118], v[119:120]
	v_fma_f64 v[96:97], v[119:120], v[94:95], v[117:118]
	v_div_scale_f64 v[98:99], s[20:21], v[96:97], v[96:97], 1.0
	v_div_scale_f64 v[104:105], vcc, 1.0, v[96:97], 1.0
	v_rcp_f64_e32 v[100:101], v[98:99]
	v_fma_f64 v[102:103], -v[98:99], v[100:101], 1.0
	v_fma_f64 v[100:101], v[100:101], v[102:103], v[100:101]
	v_fma_f64 v[102:103], -v[98:99], v[100:101], 1.0
	v_fma_f64 v[100:101], v[100:101], v[102:103], v[100:101]
	v_mul_f64 v[102:103], v[104:105], v[100:101]
	v_fma_f64 v[98:99], -v[98:99], v[102:103], v[104:105]
	v_div_fmas_f64 v[98:99], v[98:99], v[100:101], v[102:103]
	v_div_fixup_f64 v[117:118], v[98:99], v[96:97], 1.0
	v_mul_f64 v[119:120], v[94:95], -v[117:118]
.LBB100_135:
	s_or_b64 exec, exec, s[18:19]
.LBB100_136:
	s_or_b64 exec, exec, s[0:1]
	v_cmp_ne_u32_e32 vcc, v92, v93
	s_and_saveexec_b64 s[0:1], vcc
	s_xor_b64 s[0:1], exec, s[0:1]
	s_cbranch_execz .LBB100_142
; %bb.137:
	v_cmp_eq_u32_e32 vcc, 6, v92
	s_and_saveexec_b64 s[18:19], vcc
	s_cbranch_execz .LBB100_141
; %bb.138:
	v_cmp_ne_u32_e32 vcc, 6, v93
	s_xor_b64 s[20:21], s[6:7], -1
	s_and_b64 s[22:23], s[20:21], vcc
	s_and_saveexec_b64 s[20:21], s[22:23]
	s_cbranch_execz .LBB100_140
; %bb.139:
	buffer_load_dword v81, off, s[24:27], 0 offset:400 ; 4-byte Folded Reload
	buffer_load_dword v82, off, s[24:27], 0 offset:404 ; 4-byte Folded Reload
	v_ashrrev_i32_e32 v94, 31, v93
	v_lshlrev_b64 v[94:95], 2, v[93:94]
	s_waitcnt vmcnt(1)
	v_add_co_u32_e32 v94, vcc, v81, v94
	s_waitcnt vmcnt(0)
	v_addc_co_u32_e32 v95, vcc, v82, v95, vcc
	global_load_dword v0, v[94:95], off
	global_load_dword v92, v[81:82], off offset:24
	s_waitcnt vmcnt(1)
	global_store_dword v[81:82], v0, off offset:24
	s_waitcnt vmcnt(1)
	global_store_dword v[94:95], v92, off
.LBB100_140:
	s_or_b64 exec, exec, s[20:21]
	v_mov_b32_e32 v92, v93
	v_mov_b32_e32 v0, v93
.LBB100_141:
	s_or_b64 exec, exec, s[18:19]
.LBB100_142:
	s_andn2_saveexec_b64 s[0:1], s[0:1]
	s_cbranch_execz .LBB100_144
; %bb.143:
	buffer_load_dword v81, off, s[24:27], 0 offset:320 ; 4-byte Folded Reload
	buffer_load_dword v82, off, s[24:27], 0 offset:324 ; 4-byte Folded Reload
	;; [unrolled: 1-line block ×4, first 2 shown]
	v_mov_b32_e32 v92, 6
	s_waitcnt vmcnt(0)
	ds_write2_b64 v90, v[81:82], v[83:84] offset0:14 offset1:15
	buffer_load_dword v81, off, s[24:27], 0 offset:304 ; 4-byte Folded Reload
	buffer_load_dword v82, off, s[24:27], 0 offset:308 ; 4-byte Folded Reload
	buffer_load_dword v83, off, s[24:27], 0 offset:312 ; 4-byte Folded Reload
	buffer_load_dword v84, off, s[24:27], 0 offset:316 ; 4-byte Folded Reload
	s_waitcnt vmcnt(0)
	ds_write2_b64 v90, v[81:82], v[83:84] offset0:16 offset1:17
	buffer_load_dword v81, off, s[24:27], 0 offset:288 ; 4-byte Folded Reload
	buffer_load_dword v82, off, s[24:27], 0 offset:292 ; 4-byte Folded Reload
	buffer_load_dword v83, off, s[24:27], 0 offset:296 ; 4-byte Folded Reload
	buffer_load_dword v84, off, s[24:27], 0 offset:300 ; 4-byte Folded Reload
	;; [unrolled: 6-line block ×19, first 2 shown]
	s_waitcnt vmcnt(0)
	ds_write2_b64 v90, v[81:82], v[83:84] offset0:52 offset1:53
	buffer_load_dword v81, off, s[24:27], 0 ; 4-byte Folded Reload
	buffer_load_dword v82, off, s[24:27], 0 offset:4 ; 4-byte Folded Reload
	buffer_load_dword v83, off, s[24:27], 0 offset:8 ; 4-byte Folded Reload
	;; [unrolled: 1-line block ×3, first 2 shown]
	s_waitcnt vmcnt(0)
	ds_write2_b64 v90, v[81:82], v[83:84] offset0:54 offset1:55
	ds_write2_b64 v90, v[111:112], v[113:114] offset0:56 offset1:57
	;; [unrolled: 1-line block ×24, first 2 shown]
.LBB100_144:
	s_or_b64 exec, exec, s[0:1]
	v_cmp_lt_i32_e32 vcc, 6, v92
	s_waitcnt vmcnt(0) lgkmcnt(0)
	s_barrier
	s_and_saveexec_b64 s[0:1], vcc
	s_cbranch_execz .LBB100_146
; %bb.145:
	buffer_load_dword v97, off, s[24:27], 0 offset:336 ; 4-byte Folded Reload
	buffer_load_dword v98, off, s[24:27], 0 offset:340 ; 4-byte Folded Reload
	;; [unrolled: 1-line block ×4, first 2 shown]
	s_waitcnt vmcnt(0)
	v_mul_f64 v[93:94], v[119:120], v[99:100]
	v_fma_f64 v[125:126], v[117:118], v[97:98], -v[93:94]
	v_mul_f64 v[93:94], v[117:118], v[99:100]
	v_fma_f64 v[99:100], v[119:120], v[97:98], v[93:94]
	ds_read2_b64 v[93:96], v90 offset0:14 offset1:15
	buffer_load_dword v81, off, s[24:27], 0 offset:320 ; 4-byte Folded Reload
	buffer_load_dword v82, off, s[24:27], 0 offset:324 ; 4-byte Folded Reload
	buffer_load_dword v83, off, s[24:27], 0 offset:328 ; 4-byte Folded Reload
	buffer_load_dword v84, off, s[24:27], 0 offset:332 ; 4-byte Folded Reload
	s_waitcnt lgkmcnt(0)
	v_mul_f64 v[97:98], v[95:96], v[99:100]
	v_fma_f64 v[97:98], v[93:94], v[125:126], -v[97:98]
	v_mul_f64 v[93:94], v[93:94], v[99:100]
	v_fma_f64 v[93:94], v[95:96], v[125:126], v[93:94]
	s_waitcnt vmcnt(2)
	v_add_f64 v[81:82], v[81:82], -v[97:98]
	s_waitcnt vmcnt(0)
	v_add_f64 v[83:84], v[83:84], -v[93:94]
	buffer_store_dword v81, off, s[24:27], 0 offset:320 ; 4-byte Folded Spill
	s_nop 0
	buffer_store_dword v82, off, s[24:27], 0 offset:324 ; 4-byte Folded Spill
	buffer_store_dword v83, off, s[24:27], 0 offset:328 ; 4-byte Folded Spill
	buffer_store_dword v84, off, s[24:27], 0 offset:332 ; 4-byte Folded Spill
	ds_read2_b64 v[93:96], v90 offset0:16 offset1:17
	buffer_load_dword v81, off, s[24:27], 0 offset:304 ; 4-byte Folded Reload
	buffer_load_dword v82, off, s[24:27], 0 offset:308 ; 4-byte Folded Reload
	buffer_load_dword v83, off, s[24:27], 0 offset:312 ; 4-byte Folded Reload
	buffer_load_dword v84, off, s[24:27], 0 offset:316 ; 4-byte Folded Reload
	s_waitcnt lgkmcnt(0)
	v_mul_f64 v[97:98], v[95:96], v[99:100]
	v_fma_f64 v[97:98], v[93:94], v[125:126], -v[97:98]
	v_mul_f64 v[93:94], v[93:94], v[99:100]
	v_fma_f64 v[93:94], v[95:96], v[125:126], v[93:94]
	s_waitcnt vmcnt(2)
	v_add_f64 v[81:82], v[81:82], -v[97:98]
	s_waitcnt vmcnt(0)
	v_add_f64 v[83:84], v[83:84], -v[93:94]
	buffer_store_dword v81, off, s[24:27], 0 offset:304 ; 4-byte Folded Spill
	s_nop 0
	buffer_store_dword v82, off, s[24:27], 0 offset:308 ; 4-byte Folded Spill
	buffer_store_dword v83, off, s[24:27], 0 offset:312 ; 4-byte Folded Spill
	buffer_store_dword v84, off, s[24:27], 0 offset:316 ; 4-byte Folded Spill
	;; [unrolled: 19-line block ×20, first 2 shown]
	ds_read2_b64 v[93:96], v90 offset0:54 offset1:55
	buffer_load_dword v81, off, s[24:27], 0 ; 4-byte Folded Reload
	buffer_load_dword v82, off, s[24:27], 0 offset:4 ; 4-byte Folded Reload
	buffer_load_dword v83, off, s[24:27], 0 offset:8 ; 4-byte Folded Reload
	;; [unrolled: 1-line block ×3, first 2 shown]
	s_waitcnt lgkmcnt(0)
	v_mul_f64 v[97:98], v[95:96], v[99:100]
	v_fma_f64 v[97:98], v[93:94], v[125:126], -v[97:98]
	v_mul_f64 v[93:94], v[93:94], v[99:100]
	v_fma_f64 v[93:94], v[95:96], v[125:126], v[93:94]
	s_waitcnt vmcnt(2)
	v_add_f64 v[81:82], v[81:82], -v[97:98]
	s_waitcnt vmcnt(0)
	v_add_f64 v[83:84], v[83:84], -v[93:94]
	buffer_store_dword v81, off, s[24:27], 0 ; 4-byte Folded Spill
	s_nop 0
	buffer_store_dword v82, off, s[24:27], 0 offset:4 ; 4-byte Folded Spill
	buffer_store_dword v83, off, s[24:27], 0 offset:8 ; 4-byte Folded Spill
	;; [unrolled: 1-line block ×3, first 2 shown]
	ds_read2_b64 v[93:96], v90 offset0:56 offset1:57
	s_waitcnt lgkmcnt(0)
	v_mul_f64 v[97:98], v[95:96], v[99:100]
	v_fma_f64 v[97:98], v[93:94], v[125:126], -v[97:98]
	v_mul_f64 v[93:94], v[93:94], v[99:100]
	v_add_f64 v[111:112], v[111:112], -v[97:98]
	v_fma_f64 v[93:94], v[95:96], v[125:126], v[93:94]
	v_add_f64 v[113:114], v[113:114], -v[93:94]
	ds_read2_b64 v[93:96], v90 offset0:58 offset1:59
	s_waitcnt lgkmcnt(0)
	v_mul_f64 v[97:98], v[95:96], v[99:100]
	v_fma_f64 v[97:98], v[93:94], v[125:126], -v[97:98]
	v_mul_f64 v[93:94], v[93:94], v[99:100]
	v_add_f64 v[85:86], v[85:86], -v[97:98]
	v_fma_f64 v[93:94], v[95:96], v[125:126], v[93:94]
	v_add_f64 v[87:88], v[87:88], -v[93:94]
	ds_read2_b64 v[93:96], v90 offset0:60 offset1:61
	s_waitcnt lgkmcnt(0)
	v_mul_f64 v[97:98], v[95:96], v[99:100]
	v_fma_f64 v[97:98], v[93:94], v[125:126], -v[97:98]
	v_mul_f64 v[93:94], v[93:94], v[99:100]
	v_add_f64 v[77:78], v[77:78], -v[97:98]
	v_fma_f64 v[93:94], v[95:96], v[125:126], v[93:94]
	v_add_f64 v[79:80], v[79:80], -v[93:94]
	ds_read2_b64 v[93:96], v90 offset0:62 offset1:63
	s_waitcnt lgkmcnt(0)
	v_mul_f64 v[97:98], v[95:96], v[99:100]
	v_fma_f64 v[97:98], v[93:94], v[125:126], -v[97:98]
	v_mul_f64 v[93:94], v[93:94], v[99:100]
	v_add_f64 v[73:74], v[73:74], -v[97:98]
	v_fma_f64 v[93:94], v[95:96], v[125:126], v[93:94]
	v_add_f64 v[75:76], v[75:76], -v[93:94]
	ds_read2_b64 v[93:96], v90 offset0:64 offset1:65
	s_waitcnt lgkmcnt(0)
	v_mul_f64 v[97:98], v[95:96], v[99:100]
	v_fma_f64 v[97:98], v[93:94], v[125:126], -v[97:98]
	v_mul_f64 v[93:94], v[93:94], v[99:100]
	v_add_f64 v[69:70], v[69:70], -v[97:98]
	v_fma_f64 v[93:94], v[95:96], v[125:126], v[93:94]
	v_add_f64 v[71:72], v[71:72], -v[93:94]
	ds_read2_b64 v[93:96], v90 offset0:66 offset1:67
	s_waitcnt lgkmcnt(0)
	v_mul_f64 v[97:98], v[95:96], v[99:100]
	v_fma_f64 v[97:98], v[93:94], v[125:126], -v[97:98]
	v_mul_f64 v[93:94], v[93:94], v[99:100]
	v_add_f64 v[65:66], v[65:66], -v[97:98]
	v_fma_f64 v[93:94], v[95:96], v[125:126], v[93:94]
	v_add_f64 v[67:68], v[67:68], -v[93:94]
	ds_read2_b64 v[93:96], v90 offset0:68 offset1:69
	s_waitcnt lgkmcnt(0)
	v_mul_f64 v[97:98], v[95:96], v[99:100]
	v_fma_f64 v[97:98], v[93:94], v[125:126], -v[97:98]
	v_mul_f64 v[93:94], v[93:94], v[99:100]
	v_add_f64 v[61:62], v[61:62], -v[97:98]
	v_fma_f64 v[93:94], v[95:96], v[125:126], v[93:94]
	v_add_f64 v[63:64], v[63:64], -v[93:94]
	ds_read2_b64 v[93:96], v90 offset0:70 offset1:71
	s_waitcnt lgkmcnt(0)
	v_mul_f64 v[97:98], v[95:96], v[99:100]
	v_fma_f64 v[97:98], v[93:94], v[125:126], -v[97:98]
	v_mul_f64 v[93:94], v[93:94], v[99:100]
	v_add_f64 v[57:58], v[57:58], -v[97:98]
	v_fma_f64 v[93:94], v[95:96], v[125:126], v[93:94]
	v_add_f64 v[59:60], v[59:60], -v[93:94]
	ds_read2_b64 v[93:96], v90 offset0:72 offset1:73
	s_waitcnt lgkmcnt(0)
	v_mul_f64 v[97:98], v[95:96], v[99:100]
	v_fma_f64 v[97:98], v[93:94], v[125:126], -v[97:98]
	v_mul_f64 v[93:94], v[93:94], v[99:100]
	v_add_f64 v[53:54], v[53:54], -v[97:98]
	v_fma_f64 v[93:94], v[95:96], v[125:126], v[93:94]
	v_add_f64 v[55:56], v[55:56], -v[93:94]
	ds_read2_b64 v[93:96], v90 offset0:74 offset1:75
	s_waitcnt lgkmcnt(0)
	v_mul_f64 v[97:98], v[95:96], v[99:100]
	v_fma_f64 v[97:98], v[93:94], v[125:126], -v[97:98]
	v_mul_f64 v[93:94], v[93:94], v[99:100]
	v_add_f64 v[49:50], v[49:50], -v[97:98]
	v_fma_f64 v[93:94], v[95:96], v[125:126], v[93:94]
	v_add_f64 v[51:52], v[51:52], -v[93:94]
	ds_read2_b64 v[93:96], v90 offset0:76 offset1:77
	s_waitcnt lgkmcnt(0)
	v_mul_f64 v[97:98], v[95:96], v[99:100]
	v_fma_f64 v[97:98], v[93:94], v[125:126], -v[97:98]
	v_mul_f64 v[93:94], v[93:94], v[99:100]
	v_add_f64 v[45:46], v[45:46], -v[97:98]
	v_fma_f64 v[93:94], v[95:96], v[125:126], v[93:94]
	v_add_f64 v[47:48], v[47:48], -v[93:94]
	ds_read2_b64 v[93:96], v90 offset0:78 offset1:79
	s_waitcnt lgkmcnt(0)
	v_mul_f64 v[97:98], v[95:96], v[99:100]
	v_fma_f64 v[97:98], v[93:94], v[125:126], -v[97:98]
	v_mul_f64 v[93:94], v[93:94], v[99:100]
	v_add_f64 v[41:42], v[41:42], -v[97:98]
	v_fma_f64 v[93:94], v[95:96], v[125:126], v[93:94]
	v_add_f64 v[43:44], v[43:44], -v[93:94]
	ds_read2_b64 v[93:96], v90 offset0:80 offset1:81
	s_waitcnt lgkmcnt(0)
	v_mul_f64 v[97:98], v[95:96], v[99:100]
	v_fma_f64 v[97:98], v[93:94], v[125:126], -v[97:98]
	v_mul_f64 v[93:94], v[93:94], v[99:100]
	v_add_f64 v[37:38], v[37:38], -v[97:98]
	v_fma_f64 v[93:94], v[95:96], v[125:126], v[93:94]
	v_add_f64 v[39:40], v[39:40], -v[93:94]
	ds_read2_b64 v[93:96], v90 offset0:82 offset1:83
	s_waitcnt lgkmcnt(0)
	v_mul_f64 v[97:98], v[95:96], v[99:100]
	v_fma_f64 v[97:98], v[93:94], v[125:126], -v[97:98]
	v_mul_f64 v[93:94], v[93:94], v[99:100]
	v_add_f64 v[33:34], v[33:34], -v[97:98]
	v_fma_f64 v[93:94], v[95:96], v[125:126], v[93:94]
	v_add_f64 v[35:36], v[35:36], -v[93:94]
	ds_read2_b64 v[93:96], v90 offset0:84 offset1:85
	s_waitcnt lgkmcnt(0)
	v_mul_f64 v[97:98], v[95:96], v[99:100]
	v_fma_f64 v[97:98], v[93:94], v[125:126], -v[97:98]
	v_mul_f64 v[93:94], v[93:94], v[99:100]
	v_add_f64 v[29:30], v[29:30], -v[97:98]
	v_fma_f64 v[93:94], v[95:96], v[125:126], v[93:94]
	v_add_f64 v[31:32], v[31:32], -v[93:94]
	ds_read2_b64 v[93:96], v90 offset0:86 offset1:87
	s_waitcnt lgkmcnt(0)
	v_mul_f64 v[97:98], v[95:96], v[99:100]
	v_fma_f64 v[97:98], v[93:94], v[125:126], -v[97:98]
	v_mul_f64 v[93:94], v[93:94], v[99:100]
	v_add_f64 v[25:26], v[25:26], -v[97:98]
	v_fma_f64 v[93:94], v[95:96], v[125:126], v[93:94]
	v_add_f64 v[27:28], v[27:28], -v[93:94]
	ds_read2_b64 v[93:96], v90 offset0:88 offset1:89
	s_waitcnt lgkmcnt(0)
	v_mul_f64 v[97:98], v[95:96], v[99:100]
	v_fma_f64 v[97:98], v[93:94], v[125:126], -v[97:98]
	v_mul_f64 v[93:94], v[93:94], v[99:100]
	v_add_f64 v[21:22], v[21:22], -v[97:98]
	v_fma_f64 v[93:94], v[95:96], v[125:126], v[93:94]
	v_add_f64 v[23:24], v[23:24], -v[93:94]
	ds_read2_b64 v[93:96], v90 offset0:90 offset1:91
	s_waitcnt lgkmcnt(0)
	v_mul_f64 v[97:98], v[95:96], v[99:100]
	v_fma_f64 v[97:98], v[93:94], v[125:126], -v[97:98]
	v_mul_f64 v[93:94], v[93:94], v[99:100]
	v_add_f64 v[17:18], v[17:18], -v[97:98]
	v_fma_f64 v[93:94], v[95:96], v[125:126], v[93:94]
	v_add_f64 v[19:20], v[19:20], -v[93:94]
	ds_read2_b64 v[93:96], v90 offset0:92 offset1:93
	s_waitcnt lgkmcnt(0)
	v_mul_f64 v[97:98], v[95:96], v[99:100]
	v_fma_f64 v[97:98], v[93:94], v[125:126], -v[97:98]
	v_mul_f64 v[93:94], v[93:94], v[99:100]
	v_add_f64 v[13:14], v[13:14], -v[97:98]
	v_fma_f64 v[93:94], v[95:96], v[125:126], v[93:94]
	v_add_f64 v[15:16], v[15:16], -v[93:94]
	ds_read2_b64 v[93:96], v90 offset0:94 offset1:95
	s_waitcnt lgkmcnt(0)
	v_mul_f64 v[97:98], v[95:96], v[99:100]
	v_fma_f64 v[97:98], v[93:94], v[125:126], -v[97:98]
	v_mul_f64 v[93:94], v[93:94], v[99:100]
	v_add_f64 v[9:10], v[9:10], -v[97:98]
	v_fma_f64 v[93:94], v[95:96], v[125:126], v[93:94]
	v_add_f64 v[11:12], v[11:12], -v[93:94]
	ds_read2_b64 v[93:96], v90 offset0:96 offset1:97
	s_waitcnt lgkmcnt(0)
	v_mul_f64 v[97:98], v[95:96], v[99:100]
	v_fma_f64 v[97:98], v[93:94], v[125:126], -v[97:98]
	v_mul_f64 v[93:94], v[93:94], v[99:100]
	v_add_f64 v[5:6], v[5:6], -v[97:98]
	v_fma_f64 v[93:94], v[95:96], v[125:126], v[93:94]
	v_add_f64 v[7:8], v[7:8], -v[93:94]
	ds_read2_b64 v[93:96], v90 offset0:98 offset1:99
	s_waitcnt lgkmcnt(0)
	v_mul_f64 v[97:98], v[95:96], v[99:100]
	v_fma_f64 v[97:98], v[93:94], v[125:126], -v[97:98]
	v_mul_f64 v[93:94], v[93:94], v[99:100]
	v_add_f64 v[1:2], v[1:2], -v[97:98]
	v_fma_f64 v[93:94], v[95:96], v[125:126], v[93:94]
	ds_read2_b64 v[95:98], v90 offset0:100 offset1:101
	v_add_f64 v[3:4], v[3:4], -v[93:94]
	s_waitcnt lgkmcnt(0)
	v_mul_f64 v[93:94], v[97:98], v[99:100]
	v_fma_f64 v[93:94], v[95:96], v[125:126], -v[93:94]
	v_mul_f64 v[95:96], v[95:96], v[99:100]
	v_add_f64 v[121:122], v[121:122], -v[93:94]
	v_fma_f64 v[95:96], v[97:98], v[125:126], v[95:96]
	v_mov_b32_e32 v97, v125
	v_mov_b32_e32 v98, v126
	buffer_store_dword v97, off, s[24:27], 0 offset:336 ; 4-byte Folded Spill
	s_nop 0
	buffer_store_dword v98, off, s[24:27], 0 offset:340 ; 4-byte Folded Spill
	buffer_store_dword v99, off, s[24:27], 0 offset:344 ; 4-byte Folded Spill
	;; [unrolled: 1-line block ×3, first 2 shown]
	v_add_f64 v[123:124], v[123:124], -v[95:96]
.LBB100_146:
	s_or_b64 exec, exec, s[0:1]
	s_waitcnt vmcnt(0)
	s_barrier
	buffer_load_dword v81, off, s[24:27], 0 offset:320 ; 4-byte Folded Reload
	buffer_load_dword v82, off, s[24:27], 0 offset:324 ; 4-byte Folded Reload
	buffer_load_dword v83, off, s[24:27], 0 offset:328 ; 4-byte Folded Reload
	buffer_load_dword v84, off, s[24:27], 0 offset:332 ; 4-byte Folded Reload
	v_lshl_add_u32 v93, v92, 4, v90
	s_cmp_lt_i32 s3, 9
	s_waitcnt vmcnt(0)
	ds_write2_b64 v93, v[81:82], v[83:84] offset1:1
	s_waitcnt lgkmcnt(0)
	s_barrier
	ds_read2_b64 v[117:120], v90 offset0:14 offset1:15
	v_mov_b32_e32 v93, 7
	s_cbranch_scc1 .LBB100_149
; %bb.147:
	v_add_u32_e32 v94, 0x80, v90
	s_mov_b32 s0, 8
	v_mov_b32_e32 v93, 7
.LBB100_148:                            ; =>This Inner Loop Header: Depth=1
	s_waitcnt lgkmcnt(0)
	v_cmp_gt_f64_e32 vcc, 0, v[117:118]
	v_xor_b32_e32 v99, 0x80000000, v118
	ds_read2_b64 v[95:98], v94 offset1:1
	v_xor_b32_e32 v101, 0x80000000, v120
	v_add_u32_e32 v94, 16, v94
	s_waitcnt lgkmcnt(0)
	v_xor_b32_e32 v103, 0x80000000, v98
	v_cndmask_b32_e32 v100, v118, v99, vcc
	v_cmp_gt_f64_e32 vcc, 0, v[119:120]
	v_mov_b32_e32 v99, v117
	v_cndmask_b32_e32 v102, v120, v101, vcc
	v_cmp_gt_f64_e32 vcc, 0, v[95:96]
	v_mov_b32_e32 v101, v119
	v_add_f64 v[99:100], v[99:100], v[101:102]
	v_xor_b32_e32 v101, 0x80000000, v96
	v_cndmask_b32_e32 v102, v96, v101, vcc
	v_cmp_gt_f64_e32 vcc, 0, v[97:98]
	v_mov_b32_e32 v101, v95
	v_cndmask_b32_e32 v104, v98, v103, vcc
	v_mov_b32_e32 v103, v97
	v_add_f64 v[101:102], v[101:102], v[103:104]
	v_cmp_lt_f64_e32 vcc, v[99:100], v[101:102]
	v_cndmask_b32_e32 v117, v117, v95, vcc
	v_mov_b32_e32 v95, s0
	s_add_i32 s0, s0, 1
	v_cndmask_b32_e32 v118, v118, v96, vcc
	v_cndmask_b32_e32 v120, v120, v98, vcc
	;; [unrolled: 1-line block ×4, first 2 shown]
	s_cmp_lg_u32 s3, s0
	s_cbranch_scc1 .LBB100_148
.LBB100_149:
	s_waitcnt lgkmcnt(0)
	v_cmp_eq_f64_e32 vcc, 0, v[117:118]
	v_cmp_eq_f64_e64 s[0:1], 0, v[119:120]
	s_and_b64 s[0:1], vcc, s[0:1]
	s_and_saveexec_b64 s[18:19], s[0:1]
	s_xor_b64 s[0:1], exec, s[18:19]
; %bb.150:
	v_cmp_ne_u32_e32 vcc, 0, v91
	v_cndmask_b32_e32 v91, 8, v91, vcc
; %bb.151:
	s_andn2_saveexec_b64 s[0:1], s[0:1]
	s_cbranch_execz .LBB100_157
; %bb.152:
	v_cmp_ngt_f64_e64 s[18:19], |v[117:118]|, |v[119:120]|
	s_and_saveexec_b64 s[20:21], s[18:19]
	s_xor_b64 s[18:19], exec, s[20:21]
	s_cbranch_execz .LBB100_154
; %bb.153:
	v_div_scale_f64 v[94:95], s[20:21], v[119:120], v[119:120], v[117:118]
	v_rcp_f64_e32 v[96:97], v[94:95]
	v_fma_f64 v[98:99], -v[94:95], v[96:97], 1.0
	v_fma_f64 v[96:97], v[96:97], v[98:99], v[96:97]
	v_div_scale_f64 v[98:99], vcc, v[117:118], v[119:120], v[117:118]
	v_fma_f64 v[100:101], -v[94:95], v[96:97], 1.0
	v_fma_f64 v[96:97], v[96:97], v[100:101], v[96:97]
	v_mul_f64 v[100:101], v[98:99], v[96:97]
	v_fma_f64 v[94:95], -v[94:95], v[100:101], v[98:99]
	v_div_fmas_f64 v[94:95], v[94:95], v[96:97], v[100:101]
	v_div_fixup_f64 v[94:95], v[94:95], v[119:120], v[117:118]
	v_fma_f64 v[96:97], v[117:118], v[94:95], v[119:120]
	v_div_scale_f64 v[98:99], s[20:21], v[96:97], v[96:97], 1.0
	v_div_scale_f64 v[104:105], vcc, 1.0, v[96:97], 1.0
	v_rcp_f64_e32 v[100:101], v[98:99]
	v_fma_f64 v[102:103], -v[98:99], v[100:101], 1.0
	v_fma_f64 v[100:101], v[100:101], v[102:103], v[100:101]
	v_fma_f64 v[102:103], -v[98:99], v[100:101], 1.0
	v_fma_f64 v[100:101], v[100:101], v[102:103], v[100:101]
	v_mul_f64 v[102:103], v[104:105], v[100:101]
	v_fma_f64 v[98:99], -v[98:99], v[102:103], v[104:105]
	v_div_fmas_f64 v[98:99], v[98:99], v[100:101], v[102:103]
	v_div_fixup_f64 v[119:120], v[98:99], v[96:97], 1.0
	v_mul_f64 v[117:118], v[94:95], v[119:120]
	v_xor_b32_e32 v120, 0x80000000, v120
.LBB100_154:
	s_andn2_saveexec_b64 s[18:19], s[18:19]
	s_cbranch_execz .LBB100_156
; %bb.155:
	v_div_scale_f64 v[94:95], s[20:21], v[117:118], v[117:118], v[119:120]
	v_rcp_f64_e32 v[96:97], v[94:95]
	v_fma_f64 v[98:99], -v[94:95], v[96:97], 1.0
	v_fma_f64 v[96:97], v[96:97], v[98:99], v[96:97]
	v_div_scale_f64 v[98:99], vcc, v[119:120], v[117:118], v[119:120]
	v_fma_f64 v[100:101], -v[94:95], v[96:97], 1.0
	v_fma_f64 v[96:97], v[96:97], v[100:101], v[96:97]
	v_mul_f64 v[100:101], v[98:99], v[96:97]
	v_fma_f64 v[94:95], -v[94:95], v[100:101], v[98:99]
	v_div_fmas_f64 v[94:95], v[94:95], v[96:97], v[100:101]
	v_div_fixup_f64 v[94:95], v[94:95], v[117:118], v[119:120]
	v_fma_f64 v[96:97], v[119:120], v[94:95], v[117:118]
	v_div_scale_f64 v[98:99], s[20:21], v[96:97], v[96:97], 1.0
	v_div_scale_f64 v[104:105], vcc, 1.0, v[96:97], 1.0
	v_rcp_f64_e32 v[100:101], v[98:99]
	v_fma_f64 v[102:103], -v[98:99], v[100:101], 1.0
	v_fma_f64 v[100:101], v[100:101], v[102:103], v[100:101]
	v_fma_f64 v[102:103], -v[98:99], v[100:101], 1.0
	v_fma_f64 v[100:101], v[100:101], v[102:103], v[100:101]
	v_mul_f64 v[102:103], v[104:105], v[100:101]
	v_fma_f64 v[98:99], -v[98:99], v[102:103], v[104:105]
	v_div_fmas_f64 v[98:99], v[98:99], v[100:101], v[102:103]
	v_div_fixup_f64 v[117:118], v[98:99], v[96:97], 1.0
	v_mul_f64 v[119:120], v[94:95], -v[117:118]
.LBB100_156:
	s_or_b64 exec, exec, s[18:19]
.LBB100_157:
	s_or_b64 exec, exec, s[0:1]
	v_cmp_ne_u32_e32 vcc, v92, v93
	s_and_saveexec_b64 s[0:1], vcc
	s_xor_b64 s[0:1], exec, s[0:1]
	s_cbranch_execz .LBB100_163
; %bb.158:
	v_cmp_eq_u32_e32 vcc, 7, v92
	s_and_saveexec_b64 s[18:19], vcc
	s_cbranch_execz .LBB100_162
; %bb.159:
	v_cmp_ne_u32_e32 vcc, 7, v93
	s_xor_b64 s[20:21], s[6:7], -1
	s_and_b64 s[22:23], s[20:21], vcc
	s_and_saveexec_b64 s[20:21], s[22:23]
	s_cbranch_execz .LBB100_161
; %bb.160:
	buffer_load_dword v81, off, s[24:27], 0 offset:400 ; 4-byte Folded Reload
	buffer_load_dword v82, off, s[24:27], 0 offset:404 ; 4-byte Folded Reload
	v_ashrrev_i32_e32 v94, 31, v93
	v_lshlrev_b64 v[94:95], 2, v[93:94]
	s_waitcnt vmcnt(1)
	v_add_co_u32_e32 v94, vcc, v81, v94
	s_waitcnt vmcnt(0)
	v_addc_co_u32_e32 v95, vcc, v82, v95, vcc
	global_load_dword v0, v[94:95], off
	global_load_dword v92, v[81:82], off offset:28
	s_waitcnt vmcnt(1)
	global_store_dword v[81:82], v0, off offset:28
	s_waitcnt vmcnt(1)
	global_store_dword v[94:95], v92, off
.LBB100_161:
	s_or_b64 exec, exec, s[20:21]
	v_mov_b32_e32 v92, v93
	v_mov_b32_e32 v0, v93
.LBB100_162:
	s_or_b64 exec, exec, s[18:19]
.LBB100_163:
	s_andn2_saveexec_b64 s[0:1], s[0:1]
	s_cbranch_execz .LBB100_165
; %bb.164:
	buffer_load_dword v81, off, s[24:27], 0 offset:304 ; 4-byte Folded Reload
	buffer_load_dword v82, off, s[24:27], 0 offset:308 ; 4-byte Folded Reload
	;; [unrolled: 1-line block ×4, first 2 shown]
	v_mov_b32_e32 v92, 7
	s_waitcnt vmcnt(0)
	ds_write2_b64 v90, v[81:82], v[83:84] offset0:16 offset1:17
	buffer_load_dword v81, off, s[24:27], 0 offset:288 ; 4-byte Folded Reload
	buffer_load_dword v82, off, s[24:27], 0 offset:292 ; 4-byte Folded Reload
	buffer_load_dword v83, off, s[24:27], 0 offset:296 ; 4-byte Folded Reload
	buffer_load_dword v84, off, s[24:27], 0 offset:300 ; 4-byte Folded Reload
	s_waitcnt vmcnt(0)
	ds_write2_b64 v90, v[81:82], v[83:84] offset0:18 offset1:19
	buffer_load_dword v81, off, s[24:27], 0 offset:272 ; 4-byte Folded Reload
	buffer_load_dword v82, off, s[24:27], 0 offset:276 ; 4-byte Folded Reload
	buffer_load_dword v83, off, s[24:27], 0 offset:280 ; 4-byte Folded Reload
	buffer_load_dword v84, off, s[24:27], 0 offset:284 ; 4-byte Folded Reload
	;; [unrolled: 6-line block ×18, first 2 shown]
	s_waitcnt vmcnt(0)
	ds_write2_b64 v90, v[81:82], v[83:84] offset0:52 offset1:53
	buffer_load_dword v81, off, s[24:27], 0 ; 4-byte Folded Reload
	buffer_load_dword v82, off, s[24:27], 0 offset:4 ; 4-byte Folded Reload
	buffer_load_dword v83, off, s[24:27], 0 offset:8 ; 4-byte Folded Reload
	buffer_load_dword v84, off, s[24:27], 0 offset:12 ; 4-byte Folded Reload
	s_waitcnt vmcnt(0)
	ds_write2_b64 v90, v[81:82], v[83:84] offset0:54 offset1:55
	ds_write2_b64 v90, v[111:112], v[113:114] offset0:56 offset1:57
	;; [unrolled: 1-line block ×24, first 2 shown]
.LBB100_165:
	s_or_b64 exec, exec, s[0:1]
	v_cmp_lt_i32_e32 vcc, 7, v92
	s_waitcnt vmcnt(0) lgkmcnt(0)
	s_barrier
	s_and_saveexec_b64 s[0:1], vcc
	s_cbranch_execz .LBB100_167
; %bb.166:
	buffer_load_dword v97, off, s[24:27], 0 offset:320 ; 4-byte Folded Reload
	buffer_load_dword v98, off, s[24:27], 0 offset:324 ; 4-byte Folded Reload
	;; [unrolled: 1-line block ×4, first 2 shown]
	s_waitcnt vmcnt(0)
	v_mul_f64 v[93:94], v[119:120], v[99:100]
	v_fma_f64 v[125:126], v[117:118], v[97:98], -v[93:94]
	v_mul_f64 v[93:94], v[117:118], v[99:100]
	v_fma_f64 v[99:100], v[119:120], v[97:98], v[93:94]
	ds_read2_b64 v[93:96], v90 offset0:16 offset1:17
	buffer_load_dword v81, off, s[24:27], 0 offset:304 ; 4-byte Folded Reload
	buffer_load_dword v82, off, s[24:27], 0 offset:308 ; 4-byte Folded Reload
	buffer_load_dword v83, off, s[24:27], 0 offset:312 ; 4-byte Folded Reload
	buffer_load_dword v84, off, s[24:27], 0 offset:316 ; 4-byte Folded Reload
	s_waitcnt lgkmcnt(0)
	v_mul_f64 v[97:98], v[95:96], v[99:100]
	v_fma_f64 v[97:98], v[93:94], v[125:126], -v[97:98]
	v_mul_f64 v[93:94], v[93:94], v[99:100]
	v_fma_f64 v[93:94], v[95:96], v[125:126], v[93:94]
	s_waitcnt vmcnt(2)
	v_add_f64 v[81:82], v[81:82], -v[97:98]
	s_waitcnt vmcnt(0)
	v_add_f64 v[83:84], v[83:84], -v[93:94]
	buffer_store_dword v81, off, s[24:27], 0 offset:304 ; 4-byte Folded Spill
	s_nop 0
	buffer_store_dword v82, off, s[24:27], 0 offset:308 ; 4-byte Folded Spill
	buffer_store_dword v83, off, s[24:27], 0 offset:312 ; 4-byte Folded Spill
	buffer_store_dword v84, off, s[24:27], 0 offset:316 ; 4-byte Folded Spill
	ds_read2_b64 v[93:96], v90 offset0:18 offset1:19
	buffer_load_dword v81, off, s[24:27], 0 offset:288 ; 4-byte Folded Reload
	buffer_load_dword v82, off, s[24:27], 0 offset:292 ; 4-byte Folded Reload
	buffer_load_dword v83, off, s[24:27], 0 offset:296 ; 4-byte Folded Reload
	buffer_load_dword v84, off, s[24:27], 0 offset:300 ; 4-byte Folded Reload
	s_waitcnt lgkmcnt(0)
	v_mul_f64 v[97:98], v[95:96], v[99:100]
	v_fma_f64 v[97:98], v[93:94], v[125:126], -v[97:98]
	v_mul_f64 v[93:94], v[93:94], v[99:100]
	v_fma_f64 v[93:94], v[95:96], v[125:126], v[93:94]
	s_waitcnt vmcnt(2)
	v_add_f64 v[81:82], v[81:82], -v[97:98]
	s_waitcnt vmcnt(0)
	v_add_f64 v[83:84], v[83:84], -v[93:94]
	buffer_store_dword v81, off, s[24:27], 0 offset:288 ; 4-byte Folded Spill
	s_nop 0
	buffer_store_dword v82, off, s[24:27], 0 offset:292 ; 4-byte Folded Spill
	buffer_store_dword v83, off, s[24:27], 0 offset:296 ; 4-byte Folded Spill
	buffer_store_dword v84, off, s[24:27], 0 offset:300 ; 4-byte Folded Spill
	;; [unrolled: 19-line block ×19, first 2 shown]
	ds_read2_b64 v[93:96], v90 offset0:54 offset1:55
	buffer_load_dword v81, off, s[24:27], 0 ; 4-byte Folded Reload
	buffer_load_dword v82, off, s[24:27], 0 offset:4 ; 4-byte Folded Reload
	buffer_load_dword v83, off, s[24:27], 0 offset:8 ; 4-byte Folded Reload
	;; [unrolled: 1-line block ×3, first 2 shown]
	s_waitcnt lgkmcnt(0)
	v_mul_f64 v[97:98], v[95:96], v[99:100]
	v_fma_f64 v[97:98], v[93:94], v[125:126], -v[97:98]
	v_mul_f64 v[93:94], v[93:94], v[99:100]
	v_fma_f64 v[93:94], v[95:96], v[125:126], v[93:94]
	s_waitcnt vmcnt(2)
	v_add_f64 v[81:82], v[81:82], -v[97:98]
	s_waitcnt vmcnt(0)
	v_add_f64 v[83:84], v[83:84], -v[93:94]
	buffer_store_dword v81, off, s[24:27], 0 ; 4-byte Folded Spill
	s_nop 0
	buffer_store_dword v82, off, s[24:27], 0 offset:4 ; 4-byte Folded Spill
	buffer_store_dword v83, off, s[24:27], 0 offset:8 ; 4-byte Folded Spill
	;; [unrolled: 1-line block ×3, first 2 shown]
	ds_read2_b64 v[93:96], v90 offset0:56 offset1:57
	s_waitcnt lgkmcnt(0)
	v_mul_f64 v[97:98], v[95:96], v[99:100]
	v_fma_f64 v[97:98], v[93:94], v[125:126], -v[97:98]
	v_mul_f64 v[93:94], v[93:94], v[99:100]
	v_add_f64 v[111:112], v[111:112], -v[97:98]
	v_fma_f64 v[93:94], v[95:96], v[125:126], v[93:94]
	v_add_f64 v[113:114], v[113:114], -v[93:94]
	ds_read2_b64 v[93:96], v90 offset0:58 offset1:59
	s_waitcnt lgkmcnt(0)
	v_mul_f64 v[97:98], v[95:96], v[99:100]
	v_fma_f64 v[97:98], v[93:94], v[125:126], -v[97:98]
	v_mul_f64 v[93:94], v[93:94], v[99:100]
	v_add_f64 v[85:86], v[85:86], -v[97:98]
	v_fma_f64 v[93:94], v[95:96], v[125:126], v[93:94]
	v_add_f64 v[87:88], v[87:88], -v[93:94]
	;; [unrolled: 8-line block ×21, first 2 shown]
	ds_read2_b64 v[93:96], v90 offset0:98 offset1:99
	s_waitcnt lgkmcnt(0)
	v_mul_f64 v[97:98], v[95:96], v[99:100]
	v_fma_f64 v[97:98], v[93:94], v[125:126], -v[97:98]
	v_mul_f64 v[93:94], v[93:94], v[99:100]
	v_add_f64 v[1:2], v[1:2], -v[97:98]
	v_fma_f64 v[93:94], v[95:96], v[125:126], v[93:94]
	ds_read2_b64 v[95:98], v90 offset0:100 offset1:101
	v_add_f64 v[3:4], v[3:4], -v[93:94]
	s_waitcnt lgkmcnt(0)
	v_mul_f64 v[93:94], v[97:98], v[99:100]
	v_fma_f64 v[93:94], v[95:96], v[125:126], -v[93:94]
	v_mul_f64 v[95:96], v[95:96], v[99:100]
	v_add_f64 v[121:122], v[121:122], -v[93:94]
	v_fma_f64 v[95:96], v[97:98], v[125:126], v[95:96]
	v_mov_b32_e32 v97, v125
	v_mov_b32_e32 v98, v126
	buffer_store_dword v97, off, s[24:27], 0 offset:320 ; 4-byte Folded Spill
	s_nop 0
	buffer_store_dword v98, off, s[24:27], 0 offset:324 ; 4-byte Folded Spill
	buffer_store_dword v99, off, s[24:27], 0 offset:328 ; 4-byte Folded Spill
	;; [unrolled: 1-line block ×3, first 2 shown]
	v_add_f64 v[123:124], v[123:124], -v[95:96]
.LBB100_167:
	s_or_b64 exec, exec, s[0:1]
	s_waitcnt vmcnt(0)
	s_barrier
	buffer_load_dword v81, off, s[24:27], 0 offset:304 ; 4-byte Folded Reload
	buffer_load_dword v82, off, s[24:27], 0 offset:308 ; 4-byte Folded Reload
	;; [unrolled: 1-line block ×4, first 2 shown]
	v_lshl_add_u32 v93, v92, 4, v90
	s_cmp_lt_i32 s3, 10
	s_waitcnt vmcnt(0)
	ds_write2_b64 v93, v[81:82], v[83:84] offset1:1
	s_waitcnt lgkmcnt(0)
	s_barrier
	ds_read2_b64 v[117:120], v90 offset0:16 offset1:17
	v_mov_b32_e32 v93, 8
	s_cbranch_scc1 .LBB100_170
; %bb.168:
	v_add_u32_e32 v94, 0x90, v90
	s_mov_b32 s0, 9
	v_mov_b32_e32 v93, 8
.LBB100_169:                            ; =>This Inner Loop Header: Depth=1
	s_waitcnt lgkmcnt(0)
	v_cmp_gt_f64_e32 vcc, 0, v[117:118]
	v_xor_b32_e32 v99, 0x80000000, v118
	ds_read2_b64 v[95:98], v94 offset1:1
	v_xor_b32_e32 v101, 0x80000000, v120
	v_add_u32_e32 v94, 16, v94
	s_waitcnt lgkmcnt(0)
	v_xor_b32_e32 v103, 0x80000000, v98
	v_cndmask_b32_e32 v100, v118, v99, vcc
	v_cmp_gt_f64_e32 vcc, 0, v[119:120]
	v_mov_b32_e32 v99, v117
	v_cndmask_b32_e32 v102, v120, v101, vcc
	v_cmp_gt_f64_e32 vcc, 0, v[95:96]
	v_mov_b32_e32 v101, v119
	v_add_f64 v[99:100], v[99:100], v[101:102]
	v_xor_b32_e32 v101, 0x80000000, v96
	v_cndmask_b32_e32 v102, v96, v101, vcc
	v_cmp_gt_f64_e32 vcc, 0, v[97:98]
	v_mov_b32_e32 v101, v95
	v_cndmask_b32_e32 v104, v98, v103, vcc
	v_mov_b32_e32 v103, v97
	v_add_f64 v[101:102], v[101:102], v[103:104]
	v_cmp_lt_f64_e32 vcc, v[99:100], v[101:102]
	v_cndmask_b32_e32 v117, v117, v95, vcc
	v_mov_b32_e32 v95, s0
	s_add_i32 s0, s0, 1
	v_cndmask_b32_e32 v118, v118, v96, vcc
	v_cndmask_b32_e32 v120, v120, v98, vcc
	;; [unrolled: 1-line block ×4, first 2 shown]
	s_cmp_lg_u32 s3, s0
	s_cbranch_scc1 .LBB100_169
.LBB100_170:
	s_waitcnt lgkmcnt(0)
	v_cmp_eq_f64_e32 vcc, 0, v[117:118]
	v_cmp_eq_f64_e64 s[0:1], 0, v[119:120]
	s_and_b64 s[0:1], vcc, s[0:1]
	s_and_saveexec_b64 s[18:19], s[0:1]
	s_xor_b64 s[0:1], exec, s[18:19]
; %bb.171:
	v_cmp_ne_u32_e32 vcc, 0, v91
	v_cndmask_b32_e32 v91, 9, v91, vcc
; %bb.172:
	s_andn2_saveexec_b64 s[0:1], s[0:1]
	s_cbranch_execz .LBB100_178
; %bb.173:
	v_cmp_ngt_f64_e64 s[18:19], |v[117:118]|, |v[119:120]|
	s_and_saveexec_b64 s[20:21], s[18:19]
	s_xor_b64 s[18:19], exec, s[20:21]
	s_cbranch_execz .LBB100_175
; %bb.174:
	v_div_scale_f64 v[94:95], s[20:21], v[119:120], v[119:120], v[117:118]
	v_rcp_f64_e32 v[96:97], v[94:95]
	v_fma_f64 v[98:99], -v[94:95], v[96:97], 1.0
	v_fma_f64 v[96:97], v[96:97], v[98:99], v[96:97]
	v_div_scale_f64 v[98:99], vcc, v[117:118], v[119:120], v[117:118]
	v_fma_f64 v[100:101], -v[94:95], v[96:97], 1.0
	v_fma_f64 v[96:97], v[96:97], v[100:101], v[96:97]
	v_mul_f64 v[100:101], v[98:99], v[96:97]
	v_fma_f64 v[94:95], -v[94:95], v[100:101], v[98:99]
	v_div_fmas_f64 v[94:95], v[94:95], v[96:97], v[100:101]
	v_div_fixup_f64 v[94:95], v[94:95], v[119:120], v[117:118]
	v_fma_f64 v[96:97], v[117:118], v[94:95], v[119:120]
	v_div_scale_f64 v[98:99], s[20:21], v[96:97], v[96:97], 1.0
	v_div_scale_f64 v[104:105], vcc, 1.0, v[96:97], 1.0
	v_rcp_f64_e32 v[100:101], v[98:99]
	v_fma_f64 v[102:103], -v[98:99], v[100:101], 1.0
	v_fma_f64 v[100:101], v[100:101], v[102:103], v[100:101]
	v_fma_f64 v[102:103], -v[98:99], v[100:101], 1.0
	v_fma_f64 v[100:101], v[100:101], v[102:103], v[100:101]
	v_mul_f64 v[102:103], v[104:105], v[100:101]
	v_fma_f64 v[98:99], -v[98:99], v[102:103], v[104:105]
	v_div_fmas_f64 v[98:99], v[98:99], v[100:101], v[102:103]
	v_div_fixup_f64 v[119:120], v[98:99], v[96:97], 1.0
	v_mul_f64 v[117:118], v[94:95], v[119:120]
	v_xor_b32_e32 v120, 0x80000000, v120
.LBB100_175:
	s_andn2_saveexec_b64 s[18:19], s[18:19]
	s_cbranch_execz .LBB100_177
; %bb.176:
	v_div_scale_f64 v[94:95], s[20:21], v[117:118], v[117:118], v[119:120]
	v_rcp_f64_e32 v[96:97], v[94:95]
	v_fma_f64 v[98:99], -v[94:95], v[96:97], 1.0
	v_fma_f64 v[96:97], v[96:97], v[98:99], v[96:97]
	v_div_scale_f64 v[98:99], vcc, v[119:120], v[117:118], v[119:120]
	v_fma_f64 v[100:101], -v[94:95], v[96:97], 1.0
	v_fma_f64 v[96:97], v[96:97], v[100:101], v[96:97]
	v_mul_f64 v[100:101], v[98:99], v[96:97]
	v_fma_f64 v[94:95], -v[94:95], v[100:101], v[98:99]
	v_div_fmas_f64 v[94:95], v[94:95], v[96:97], v[100:101]
	v_div_fixup_f64 v[94:95], v[94:95], v[117:118], v[119:120]
	v_fma_f64 v[96:97], v[119:120], v[94:95], v[117:118]
	v_div_scale_f64 v[98:99], s[20:21], v[96:97], v[96:97], 1.0
	v_div_scale_f64 v[104:105], vcc, 1.0, v[96:97], 1.0
	v_rcp_f64_e32 v[100:101], v[98:99]
	v_fma_f64 v[102:103], -v[98:99], v[100:101], 1.0
	v_fma_f64 v[100:101], v[100:101], v[102:103], v[100:101]
	v_fma_f64 v[102:103], -v[98:99], v[100:101], 1.0
	v_fma_f64 v[100:101], v[100:101], v[102:103], v[100:101]
	v_mul_f64 v[102:103], v[104:105], v[100:101]
	v_fma_f64 v[98:99], -v[98:99], v[102:103], v[104:105]
	v_div_fmas_f64 v[98:99], v[98:99], v[100:101], v[102:103]
	v_div_fixup_f64 v[117:118], v[98:99], v[96:97], 1.0
	v_mul_f64 v[119:120], v[94:95], -v[117:118]
.LBB100_177:
	s_or_b64 exec, exec, s[18:19]
.LBB100_178:
	s_or_b64 exec, exec, s[0:1]
	v_cmp_ne_u32_e32 vcc, v92, v93
	s_and_saveexec_b64 s[0:1], vcc
	s_xor_b64 s[0:1], exec, s[0:1]
	s_cbranch_execz .LBB100_184
; %bb.179:
	v_cmp_eq_u32_e32 vcc, 8, v92
	s_and_saveexec_b64 s[18:19], vcc
	s_cbranch_execz .LBB100_183
; %bb.180:
	v_cmp_ne_u32_e32 vcc, 8, v93
	s_xor_b64 s[20:21], s[6:7], -1
	s_and_b64 s[22:23], s[20:21], vcc
	s_and_saveexec_b64 s[20:21], s[22:23]
	s_cbranch_execz .LBB100_182
; %bb.181:
	buffer_load_dword v81, off, s[24:27], 0 offset:400 ; 4-byte Folded Reload
	buffer_load_dword v82, off, s[24:27], 0 offset:404 ; 4-byte Folded Reload
	v_ashrrev_i32_e32 v94, 31, v93
	v_lshlrev_b64 v[94:95], 2, v[93:94]
	s_waitcnt vmcnt(1)
	v_add_co_u32_e32 v94, vcc, v81, v94
	s_waitcnt vmcnt(0)
	v_addc_co_u32_e32 v95, vcc, v82, v95, vcc
	global_load_dword v0, v[94:95], off
	global_load_dword v92, v[81:82], off offset:32
	s_waitcnt vmcnt(1)
	global_store_dword v[81:82], v0, off offset:32
	s_waitcnt vmcnt(1)
	global_store_dword v[94:95], v92, off
.LBB100_182:
	s_or_b64 exec, exec, s[20:21]
	v_mov_b32_e32 v92, v93
	v_mov_b32_e32 v0, v93
.LBB100_183:
	s_or_b64 exec, exec, s[18:19]
.LBB100_184:
	s_andn2_saveexec_b64 s[0:1], s[0:1]
	s_cbranch_execz .LBB100_186
; %bb.185:
	buffer_load_dword v81, off, s[24:27], 0 offset:288 ; 4-byte Folded Reload
	buffer_load_dword v82, off, s[24:27], 0 offset:292 ; 4-byte Folded Reload
	;; [unrolled: 1-line block ×4, first 2 shown]
	v_mov_b32_e32 v92, 8
	s_waitcnt vmcnt(0)
	ds_write2_b64 v90, v[81:82], v[83:84] offset0:18 offset1:19
	buffer_load_dword v81, off, s[24:27], 0 offset:272 ; 4-byte Folded Reload
	buffer_load_dword v82, off, s[24:27], 0 offset:276 ; 4-byte Folded Reload
	buffer_load_dword v83, off, s[24:27], 0 offset:280 ; 4-byte Folded Reload
	buffer_load_dword v84, off, s[24:27], 0 offset:284 ; 4-byte Folded Reload
	s_waitcnt vmcnt(0)
	ds_write2_b64 v90, v[81:82], v[83:84] offset0:20 offset1:21
	buffer_load_dword v81, off, s[24:27], 0 offset:256 ; 4-byte Folded Reload
	buffer_load_dword v82, off, s[24:27], 0 offset:260 ; 4-byte Folded Reload
	buffer_load_dword v83, off, s[24:27], 0 offset:264 ; 4-byte Folded Reload
	buffer_load_dword v84, off, s[24:27], 0 offset:268 ; 4-byte Folded Reload
	;; [unrolled: 6-line block ×17, first 2 shown]
	s_waitcnt vmcnt(0)
	ds_write2_b64 v90, v[81:82], v[83:84] offset0:52 offset1:53
	buffer_load_dword v81, off, s[24:27], 0 ; 4-byte Folded Reload
	buffer_load_dword v82, off, s[24:27], 0 offset:4 ; 4-byte Folded Reload
	buffer_load_dword v83, off, s[24:27], 0 offset:8 ; 4-byte Folded Reload
	;; [unrolled: 1-line block ×3, first 2 shown]
	s_waitcnt vmcnt(0)
	ds_write2_b64 v90, v[81:82], v[83:84] offset0:54 offset1:55
	ds_write2_b64 v90, v[111:112], v[113:114] offset0:56 offset1:57
	;; [unrolled: 1-line block ×24, first 2 shown]
.LBB100_186:
	s_or_b64 exec, exec, s[0:1]
	v_cmp_lt_i32_e32 vcc, 8, v92
	s_waitcnt vmcnt(0) lgkmcnt(0)
	s_barrier
	s_and_saveexec_b64 s[0:1], vcc
	s_cbranch_execz .LBB100_188
; %bb.187:
	buffer_load_dword v97, off, s[24:27], 0 offset:304 ; 4-byte Folded Reload
	buffer_load_dword v98, off, s[24:27], 0 offset:308 ; 4-byte Folded Reload
	;; [unrolled: 1-line block ×4, first 2 shown]
	s_waitcnt vmcnt(0)
	v_mul_f64 v[93:94], v[119:120], v[99:100]
	v_fma_f64 v[125:126], v[117:118], v[97:98], -v[93:94]
	v_mul_f64 v[93:94], v[117:118], v[99:100]
	v_fma_f64 v[99:100], v[119:120], v[97:98], v[93:94]
	ds_read2_b64 v[93:96], v90 offset0:18 offset1:19
	buffer_load_dword v81, off, s[24:27], 0 offset:288 ; 4-byte Folded Reload
	buffer_load_dword v82, off, s[24:27], 0 offset:292 ; 4-byte Folded Reload
	buffer_load_dword v83, off, s[24:27], 0 offset:296 ; 4-byte Folded Reload
	buffer_load_dword v84, off, s[24:27], 0 offset:300 ; 4-byte Folded Reload
	s_waitcnt lgkmcnt(0)
	v_mul_f64 v[97:98], v[95:96], v[99:100]
	v_fma_f64 v[97:98], v[93:94], v[125:126], -v[97:98]
	v_mul_f64 v[93:94], v[93:94], v[99:100]
	v_fma_f64 v[93:94], v[95:96], v[125:126], v[93:94]
	s_waitcnt vmcnt(2)
	v_add_f64 v[81:82], v[81:82], -v[97:98]
	s_waitcnt vmcnt(0)
	v_add_f64 v[83:84], v[83:84], -v[93:94]
	buffer_store_dword v81, off, s[24:27], 0 offset:288 ; 4-byte Folded Spill
	s_nop 0
	buffer_store_dword v82, off, s[24:27], 0 offset:292 ; 4-byte Folded Spill
	buffer_store_dword v83, off, s[24:27], 0 offset:296 ; 4-byte Folded Spill
	buffer_store_dword v84, off, s[24:27], 0 offset:300 ; 4-byte Folded Spill
	ds_read2_b64 v[93:96], v90 offset0:20 offset1:21
	buffer_load_dword v81, off, s[24:27], 0 offset:272 ; 4-byte Folded Reload
	buffer_load_dword v82, off, s[24:27], 0 offset:276 ; 4-byte Folded Reload
	buffer_load_dword v83, off, s[24:27], 0 offset:280 ; 4-byte Folded Reload
	buffer_load_dword v84, off, s[24:27], 0 offset:284 ; 4-byte Folded Reload
	s_waitcnt lgkmcnt(0)
	v_mul_f64 v[97:98], v[95:96], v[99:100]
	v_fma_f64 v[97:98], v[93:94], v[125:126], -v[97:98]
	v_mul_f64 v[93:94], v[93:94], v[99:100]
	v_fma_f64 v[93:94], v[95:96], v[125:126], v[93:94]
	s_waitcnt vmcnt(2)
	v_add_f64 v[81:82], v[81:82], -v[97:98]
	s_waitcnt vmcnt(0)
	v_add_f64 v[83:84], v[83:84], -v[93:94]
	buffer_store_dword v81, off, s[24:27], 0 offset:272 ; 4-byte Folded Spill
	s_nop 0
	buffer_store_dword v82, off, s[24:27], 0 offset:276 ; 4-byte Folded Spill
	buffer_store_dword v83, off, s[24:27], 0 offset:280 ; 4-byte Folded Spill
	buffer_store_dword v84, off, s[24:27], 0 offset:284 ; 4-byte Folded Spill
	ds_read2_b64 v[93:96], v90 offset0:22 offset1:23
	buffer_load_dword v81, off, s[24:27], 0 offset:256 ; 4-byte Folded Reload
	buffer_load_dword v82, off, s[24:27], 0 offset:260 ; 4-byte Folded Reload
	buffer_load_dword v83, off, s[24:27], 0 offset:264 ; 4-byte Folded Reload
	buffer_load_dword v84, off, s[24:27], 0 offset:268 ; 4-byte Folded Reload
	s_waitcnt lgkmcnt(0)
	v_mul_f64 v[97:98], v[95:96], v[99:100]
	v_fma_f64 v[97:98], v[93:94], v[125:126], -v[97:98]
	v_mul_f64 v[93:94], v[93:94], v[99:100]
	v_fma_f64 v[93:94], v[95:96], v[125:126], v[93:94]
	s_waitcnt vmcnt(2)
	v_add_f64 v[81:82], v[81:82], -v[97:98]
	s_waitcnt vmcnt(0)
	v_add_f64 v[83:84], v[83:84], -v[93:94]
	buffer_store_dword v81, off, s[24:27], 0 offset:256 ; 4-byte Folded Spill
	s_nop 0
	buffer_store_dword v82, off, s[24:27], 0 offset:260 ; 4-byte Folded Spill
	buffer_store_dword v83, off, s[24:27], 0 offset:264 ; 4-byte Folded Spill
	buffer_store_dword v84, off, s[24:27], 0 offset:268 ; 4-byte Folded Spill
	ds_read2_b64 v[93:96], v90 offset0:24 offset1:25
	buffer_load_dword v81, off, s[24:27], 0 offset:240 ; 4-byte Folded Reload
	buffer_load_dword v82, off, s[24:27], 0 offset:244 ; 4-byte Folded Reload
	buffer_load_dword v83, off, s[24:27], 0 offset:248 ; 4-byte Folded Reload
	buffer_load_dword v84, off, s[24:27], 0 offset:252 ; 4-byte Folded Reload
	s_waitcnt lgkmcnt(0)
	v_mul_f64 v[97:98], v[95:96], v[99:100]
	v_fma_f64 v[97:98], v[93:94], v[125:126], -v[97:98]
	v_mul_f64 v[93:94], v[93:94], v[99:100]
	v_fma_f64 v[93:94], v[95:96], v[125:126], v[93:94]
	s_waitcnt vmcnt(2)
	v_add_f64 v[81:82], v[81:82], -v[97:98]
	s_waitcnt vmcnt(0)
	v_add_f64 v[83:84], v[83:84], -v[93:94]
	buffer_store_dword v81, off, s[24:27], 0 offset:240 ; 4-byte Folded Spill
	s_nop 0
	buffer_store_dword v82, off, s[24:27], 0 offset:244 ; 4-byte Folded Spill
	buffer_store_dword v83, off, s[24:27], 0 offset:248 ; 4-byte Folded Spill
	buffer_store_dword v84, off, s[24:27], 0 offset:252 ; 4-byte Folded Spill
	ds_read2_b64 v[93:96], v90 offset0:26 offset1:27
	buffer_load_dword v81, off, s[24:27], 0 offset:224 ; 4-byte Folded Reload
	buffer_load_dword v82, off, s[24:27], 0 offset:228 ; 4-byte Folded Reload
	buffer_load_dword v83, off, s[24:27], 0 offset:232 ; 4-byte Folded Reload
	buffer_load_dword v84, off, s[24:27], 0 offset:236 ; 4-byte Folded Reload
	s_waitcnt lgkmcnt(0)
	v_mul_f64 v[97:98], v[95:96], v[99:100]
	v_fma_f64 v[97:98], v[93:94], v[125:126], -v[97:98]
	v_mul_f64 v[93:94], v[93:94], v[99:100]
	v_fma_f64 v[93:94], v[95:96], v[125:126], v[93:94]
	s_waitcnt vmcnt(2)
	v_add_f64 v[81:82], v[81:82], -v[97:98]
	s_waitcnt vmcnt(0)
	v_add_f64 v[83:84], v[83:84], -v[93:94]
	buffer_store_dword v81, off, s[24:27], 0 offset:224 ; 4-byte Folded Spill
	s_nop 0
	buffer_store_dword v82, off, s[24:27], 0 offset:228 ; 4-byte Folded Spill
	buffer_store_dword v83, off, s[24:27], 0 offset:232 ; 4-byte Folded Spill
	buffer_store_dword v84, off, s[24:27], 0 offset:236 ; 4-byte Folded Spill
	ds_read2_b64 v[93:96], v90 offset0:28 offset1:29
	buffer_load_dword v81, off, s[24:27], 0 offset:208 ; 4-byte Folded Reload
	buffer_load_dword v82, off, s[24:27], 0 offset:212 ; 4-byte Folded Reload
	buffer_load_dword v83, off, s[24:27], 0 offset:216 ; 4-byte Folded Reload
	buffer_load_dword v84, off, s[24:27], 0 offset:220 ; 4-byte Folded Reload
	s_waitcnt lgkmcnt(0)
	v_mul_f64 v[97:98], v[95:96], v[99:100]
	v_fma_f64 v[97:98], v[93:94], v[125:126], -v[97:98]
	v_mul_f64 v[93:94], v[93:94], v[99:100]
	v_fma_f64 v[93:94], v[95:96], v[125:126], v[93:94]
	s_waitcnt vmcnt(2)
	v_add_f64 v[81:82], v[81:82], -v[97:98]
	s_waitcnt vmcnt(0)
	v_add_f64 v[83:84], v[83:84], -v[93:94]
	buffer_store_dword v81, off, s[24:27], 0 offset:208 ; 4-byte Folded Spill
	s_nop 0
	buffer_store_dword v82, off, s[24:27], 0 offset:212 ; 4-byte Folded Spill
	buffer_store_dword v83, off, s[24:27], 0 offset:216 ; 4-byte Folded Spill
	buffer_store_dword v84, off, s[24:27], 0 offset:220 ; 4-byte Folded Spill
	ds_read2_b64 v[93:96], v90 offset0:30 offset1:31
	buffer_load_dword v81, off, s[24:27], 0 offset:192 ; 4-byte Folded Reload
	buffer_load_dword v82, off, s[24:27], 0 offset:196 ; 4-byte Folded Reload
	buffer_load_dword v83, off, s[24:27], 0 offset:200 ; 4-byte Folded Reload
	buffer_load_dword v84, off, s[24:27], 0 offset:204 ; 4-byte Folded Reload
	s_waitcnt lgkmcnt(0)
	v_mul_f64 v[97:98], v[95:96], v[99:100]
	v_fma_f64 v[97:98], v[93:94], v[125:126], -v[97:98]
	v_mul_f64 v[93:94], v[93:94], v[99:100]
	v_fma_f64 v[93:94], v[95:96], v[125:126], v[93:94]
	s_waitcnt vmcnt(2)
	v_add_f64 v[81:82], v[81:82], -v[97:98]
	s_waitcnt vmcnt(0)
	v_add_f64 v[83:84], v[83:84], -v[93:94]
	buffer_store_dword v81, off, s[24:27], 0 offset:192 ; 4-byte Folded Spill
	s_nop 0
	buffer_store_dword v82, off, s[24:27], 0 offset:196 ; 4-byte Folded Spill
	buffer_store_dword v83, off, s[24:27], 0 offset:200 ; 4-byte Folded Spill
	buffer_store_dword v84, off, s[24:27], 0 offset:204 ; 4-byte Folded Spill
	ds_read2_b64 v[93:96], v90 offset0:32 offset1:33
	buffer_load_dword v81, off, s[24:27], 0 offset:176 ; 4-byte Folded Reload
	buffer_load_dword v82, off, s[24:27], 0 offset:180 ; 4-byte Folded Reload
	buffer_load_dword v83, off, s[24:27], 0 offset:184 ; 4-byte Folded Reload
	buffer_load_dword v84, off, s[24:27], 0 offset:188 ; 4-byte Folded Reload
	s_waitcnt lgkmcnt(0)
	v_mul_f64 v[97:98], v[95:96], v[99:100]
	v_fma_f64 v[97:98], v[93:94], v[125:126], -v[97:98]
	v_mul_f64 v[93:94], v[93:94], v[99:100]
	v_fma_f64 v[93:94], v[95:96], v[125:126], v[93:94]
	s_waitcnt vmcnt(2)
	v_add_f64 v[81:82], v[81:82], -v[97:98]
	s_waitcnt vmcnt(0)
	v_add_f64 v[83:84], v[83:84], -v[93:94]
	buffer_store_dword v81, off, s[24:27], 0 offset:176 ; 4-byte Folded Spill
	s_nop 0
	buffer_store_dword v82, off, s[24:27], 0 offset:180 ; 4-byte Folded Spill
	buffer_store_dword v83, off, s[24:27], 0 offset:184 ; 4-byte Folded Spill
	buffer_store_dword v84, off, s[24:27], 0 offset:188 ; 4-byte Folded Spill
	ds_read2_b64 v[93:96], v90 offset0:34 offset1:35
	buffer_load_dword v81, off, s[24:27], 0 offset:160 ; 4-byte Folded Reload
	buffer_load_dword v82, off, s[24:27], 0 offset:164 ; 4-byte Folded Reload
	buffer_load_dword v83, off, s[24:27], 0 offset:168 ; 4-byte Folded Reload
	buffer_load_dword v84, off, s[24:27], 0 offset:172 ; 4-byte Folded Reload
	s_waitcnt lgkmcnt(0)
	v_mul_f64 v[97:98], v[95:96], v[99:100]
	v_fma_f64 v[97:98], v[93:94], v[125:126], -v[97:98]
	v_mul_f64 v[93:94], v[93:94], v[99:100]
	v_fma_f64 v[93:94], v[95:96], v[125:126], v[93:94]
	s_waitcnt vmcnt(2)
	v_add_f64 v[81:82], v[81:82], -v[97:98]
	s_waitcnt vmcnt(0)
	v_add_f64 v[83:84], v[83:84], -v[93:94]
	buffer_store_dword v81, off, s[24:27], 0 offset:160 ; 4-byte Folded Spill
	s_nop 0
	buffer_store_dword v82, off, s[24:27], 0 offset:164 ; 4-byte Folded Spill
	buffer_store_dword v83, off, s[24:27], 0 offset:168 ; 4-byte Folded Spill
	buffer_store_dword v84, off, s[24:27], 0 offset:172 ; 4-byte Folded Spill
	ds_read2_b64 v[93:96], v90 offset0:36 offset1:37
	buffer_load_dword v81, off, s[24:27], 0 offset:144 ; 4-byte Folded Reload
	buffer_load_dword v82, off, s[24:27], 0 offset:148 ; 4-byte Folded Reload
	buffer_load_dword v83, off, s[24:27], 0 offset:152 ; 4-byte Folded Reload
	buffer_load_dword v84, off, s[24:27], 0 offset:156 ; 4-byte Folded Reload
	s_waitcnt lgkmcnt(0)
	v_mul_f64 v[97:98], v[95:96], v[99:100]
	v_fma_f64 v[97:98], v[93:94], v[125:126], -v[97:98]
	v_mul_f64 v[93:94], v[93:94], v[99:100]
	v_fma_f64 v[93:94], v[95:96], v[125:126], v[93:94]
	s_waitcnt vmcnt(2)
	v_add_f64 v[81:82], v[81:82], -v[97:98]
	s_waitcnt vmcnt(0)
	v_add_f64 v[83:84], v[83:84], -v[93:94]
	buffer_store_dword v81, off, s[24:27], 0 offset:144 ; 4-byte Folded Spill
	s_nop 0
	buffer_store_dword v82, off, s[24:27], 0 offset:148 ; 4-byte Folded Spill
	buffer_store_dword v83, off, s[24:27], 0 offset:152 ; 4-byte Folded Spill
	buffer_store_dword v84, off, s[24:27], 0 offset:156 ; 4-byte Folded Spill
	ds_read2_b64 v[93:96], v90 offset0:38 offset1:39
	buffer_load_dword v81, off, s[24:27], 0 offset:128 ; 4-byte Folded Reload
	buffer_load_dword v82, off, s[24:27], 0 offset:132 ; 4-byte Folded Reload
	buffer_load_dword v83, off, s[24:27], 0 offset:136 ; 4-byte Folded Reload
	buffer_load_dword v84, off, s[24:27], 0 offset:140 ; 4-byte Folded Reload
	s_waitcnt lgkmcnt(0)
	v_mul_f64 v[97:98], v[95:96], v[99:100]
	v_fma_f64 v[97:98], v[93:94], v[125:126], -v[97:98]
	v_mul_f64 v[93:94], v[93:94], v[99:100]
	v_fma_f64 v[93:94], v[95:96], v[125:126], v[93:94]
	s_waitcnt vmcnt(2)
	v_add_f64 v[81:82], v[81:82], -v[97:98]
	s_waitcnt vmcnt(0)
	v_add_f64 v[83:84], v[83:84], -v[93:94]
	buffer_store_dword v81, off, s[24:27], 0 offset:128 ; 4-byte Folded Spill
	s_nop 0
	buffer_store_dword v82, off, s[24:27], 0 offset:132 ; 4-byte Folded Spill
	buffer_store_dword v83, off, s[24:27], 0 offset:136 ; 4-byte Folded Spill
	buffer_store_dword v84, off, s[24:27], 0 offset:140 ; 4-byte Folded Spill
	ds_read2_b64 v[93:96], v90 offset0:40 offset1:41
	buffer_load_dword v81, off, s[24:27], 0 offset:112 ; 4-byte Folded Reload
	buffer_load_dword v82, off, s[24:27], 0 offset:116 ; 4-byte Folded Reload
	buffer_load_dword v83, off, s[24:27], 0 offset:120 ; 4-byte Folded Reload
	buffer_load_dword v84, off, s[24:27], 0 offset:124 ; 4-byte Folded Reload
	s_waitcnt lgkmcnt(0)
	v_mul_f64 v[97:98], v[95:96], v[99:100]
	v_fma_f64 v[97:98], v[93:94], v[125:126], -v[97:98]
	v_mul_f64 v[93:94], v[93:94], v[99:100]
	v_fma_f64 v[93:94], v[95:96], v[125:126], v[93:94]
	s_waitcnt vmcnt(2)
	v_add_f64 v[81:82], v[81:82], -v[97:98]
	s_waitcnt vmcnt(0)
	v_add_f64 v[83:84], v[83:84], -v[93:94]
	buffer_store_dword v81, off, s[24:27], 0 offset:112 ; 4-byte Folded Spill
	s_nop 0
	buffer_store_dword v82, off, s[24:27], 0 offset:116 ; 4-byte Folded Spill
	buffer_store_dword v83, off, s[24:27], 0 offset:120 ; 4-byte Folded Spill
	buffer_store_dword v84, off, s[24:27], 0 offset:124 ; 4-byte Folded Spill
	ds_read2_b64 v[93:96], v90 offset0:42 offset1:43
	buffer_load_dword v81, off, s[24:27], 0 offset:96 ; 4-byte Folded Reload
	buffer_load_dword v82, off, s[24:27], 0 offset:100 ; 4-byte Folded Reload
	buffer_load_dword v83, off, s[24:27], 0 offset:104 ; 4-byte Folded Reload
	buffer_load_dword v84, off, s[24:27], 0 offset:108 ; 4-byte Folded Reload
	s_waitcnt lgkmcnt(0)
	v_mul_f64 v[97:98], v[95:96], v[99:100]
	v_fma_f64 v[97:98], v[93:94], v[125:126], -v[97:98]
	v_mul_f64 v[93:94], v[93:94], v[99:100]
	v_fma_f64 v[93:94], v[95:96], v[125:126], v[93:94]
	s_waitcnt vmcnt(2)
	v_add_f64 v[81:82], v[81:82], -v[97:98]
	s_waitcnt vmcnt(0)
	v_add_f64 v[83:84], v[83:84], -v[93:94]
	buffer_store_dword v81, off, s[24:27], 0 offset:96 ; 4-byte Folded Spill
	s_nop 0
	buffer_store_dword v82, off, s[24:27], 0 offset:100 ; 4-byte Folded Spill
	buffer_store_dword v83, off, s[24:27], 0 offset:104 ; 4-byte Folded Spill
	buffer_store_dword v84, off, s[24:27], 0 offset:108 ; 4-byte Folded Spill
	ds_read2_b64 v[93:96], v90 offset0:44 offset1:45
	buffer_load_dword v81, off, s[24:27], 0 offset:80 ; 4-byte Folded Reload
	buffer_load_dword v82, off, s[24:27], 0 offset:84 ; 4-byte Folded Reload
	buffer_load_dword v83, off, s[24:27], 0 offset:88 ; 4-byte Folded Reload
	buffer_load_dword v84, off, s[24:27], 0 offset:92 ; 4-byte Folded Reload
	s_waitcnt lgkmcnt(0)
	v_mul_f64 v[97:98], v[95:96], v[99:100]
	v_fma_f64 v[97:98], v[93:94], v[125:126], -v[97:98]
	v_mul_f64 v[93:94], v[93:94], v[99:100]
	v_fma_f64 v[93:94], v[95:96], v[125:126], v[93:94]
	s_waitcnt vmcnt(2)
	v_add_f64 v[81:82], v[81:82], -v[97:98]
	s_waitcnt vmcnt(0)
	v_add_f64 v[83:84], v[83:84], -v[93:94]
	buffer_store_dword v81, off, s[24:27], 0 offset:80 ; 4-byte Folded Spill
	s_nop 0
	buffer_store_dword v82, off, s[24:27], 0 offset:84 ; 4-byte Folded Spill
	buffer_store_dword v83, off, s[24:27], 0 offset:88 ; 4-byte Folded Spill
	buffer_store_dword v84, off, s[24:27], 0 offset:92 ; 4-byte Folded Spill
	ds_read2_b64 v[93:96], v90 offset0:46 offset1:47
	buffer_load_dword v81, off, s[24:27], 0 offset:64 ; 4-byte Folded Reload
	buffer_load_dword v82, off, s[24:27], 0 offset:68 ; 4-byte Folded Reload
	buffer_load_dword v83, off, s[24:27], 0 offset:72 ; 4-byte Folded Reload
	buffer_load_dword v84, off, s[24:27], 0 offset:76 ; 4-byte Folded Reload
	s_waitcnt lgkmcnt(0)
	v_mul_f64 v[97:98], v[95:96], v[99:100]
	v_fma_f64 v[97:98], v[93:94], v[125:126], -v[97:98]
	v_mul_f64 v[93:94], v[93:94], v[99:100]
	v_fma_f64 v[93:94], v[95:96], v[125:126], v[93:94]
	s_waitcnt vmcnt(2)
	v_add_f64 v[81:82], v[81:82], -v[97:98]
	s_waitcnt vmcnt(0)
	v_add_f64 v[83:84], v[83:84], -v[93:94]
	buffer_store_dword v81, off, s[24:27], 0 offset:64 ; 4-byte Folded Spill
	s_nop 0
	buffer_store_dword v82, off, s[24:27], 0 offset:68 ; 4-byte Folded Spill
	buffer_store_dword v83, off, s[24:27], 0 offset:72 ; 4-byte Folded Spill
	buffer_store_dword v84, off, s[24:27], 0 offset:76 ; 4-byte Folded Spill
	ds_read2_b64 v[93:96], v90 offset0:48 offset1:49
	buffer_load_dword v81, off, s[24:27], 0 offset:48 ; 4-byte Folded Reload
	buffer_load_dword v82, off, s[24:27], 0 offset:52 ; 4-byte Folded Reload
	buffer_load_dword v83, off, s[24:27], 0 offset:56 ; 4-byte Folded Reload
	buffer_load_dword v84, off, s[24:27], 0 offset:60 ; 4-byte Folded Reload
	s_waitcnt lgkmcnt(0)
	v_mul_f64 v[97:98], v[95:96], v[99:100]
	v_fma_f64 v[97:98], v[93:94], v[125:126], -v[97:98]
	v_mul_f64 v[93:94], v[93:94], v[99:100]
	v_fma_f64 v[93:94], v[95:96], v[125:126], v[93:94]
	s_waitcnt vmcnt(2)
	v_add_f64 v[81:82], v[81:82], -v[97:98]
	s_waitcnt vmcnt(0)
	v_add_f64 v[83:84], v[83:84], -v[93:94]
	buffer_store_dword v81, off, s[24:27], 0 offset:48 ; 4-byte Folded Spill
	s_nop 0
	buffer_store_dword v82, off, s[24:27], 0 offset:52 ; 4-byte Folded Spill
	buffer_store_dword v83, off, s[24:27], 0 offset:56 ; 4-byte Folded Spill
	buffer_store_dword v84, off, s[24:27], 0 offset:60 ; 4-byte Folded Spill
	ds_read2_b64 v[93:96], v90 offset0:50 offset1:51
	buffer_load_dword v81, off, s[24:27], 0 offset:32 ; 4-byte Folded Reload
	buffer_load_dword v82, off, s[24:27], 0 offset:36 ; 4-byte Folded Reload
	buffer_load_dword v83, off, s[24:27], 0 offset:40 ; 4-byte Folded Reload
	buffer_load_dword v84, off, s[24:27], 0 offset:44 ; 4-byte Folded Reload
	s_waitcnt lgkmcnt(0)
	v_mul_f64 v[97:98], v[95:96], v[99:100]
	v_fma_f64 v[97:98], v[93:94], v[125:126], -v[97:98]
	v_mul_f64 v[93:94], v[93:94], v[99:100]
	v_fma_f64 v[93:94], v[95:96], v[125:126], v[93:94]
	s_waitcnt vmcnt(2)
	v_add_f64 v[81:82], v[81:82], -v[97:98]
	s_waitcnt vmcnt(0)
	v_add_f64 v[83:84], v[83:84], -v[93:94]
	buffer_store_dword v81, off, s[24:27], 0 offset:32 ; 4-byte Folded Spill
	s_nop 0
	buffer_store_dword v82, off, s[24:27], 0 offset:36 ; 4-byte Folded Spill
	buffer_store_dword v83, off, s[24:27], 0 offset:40 ; 4-byte Folded Spill
	buffer_store_dword v84, off, s[24:27], 0 offset:44 ; 4-byte Folded Spill
	ds_read2_b64 v[93:96], v90 offset0:52 offset1:53
	buffer_load_dword v81, off, s[24:27], 0 offset:16 ; 4-byte Folded Reload
	buffer_load_dword v82, off, s[24:27], 0 offset:20 ; 4-byte Folded Reload
	buffer_load_dword v83, off, s[24:27], 0 offset:24 ; 4-byte Folded Reload
	buffer_load_dword v84, off, s[24:27], 0 offset:28 ; 4-byte Folded Reload
	s_waitcnt lgkmcnt(0)
	v_mul_f64 v[97:98], v[95:96], v[99:100]
	v_fma_f64 v[97:98], v[93:94], v[125:126], -v[97:98]
	v_mul_f64 v[93:94], v[93:94], v[99:100]
	v_fma_f64 v[93:94], v[95:96], v[125:126], v[93:94]
	s_waitcnt vmcnt(2)
	v_add_f64 v[81:82], v[81:82], -v[97:98]
	s_waitcnt vmcnt(0)
	v_add_f64 v[83:84], v[83:84], -v[93:94]
	buffer_store_dword v81, off, s[24:27], 0 offset:16 ; 4-byte Folded Spill
	s_nop 0
	buffer_store_dword v82, off, s[24:27], 0 offset:20 ; 4-byte Folded Spill
	buffer_store_dword v83, off, s[24:27], 0 offset:24 ; 4-byte Folded Spill
	buffer_store_dword v84, off, s[24:27], 0 offset:28 ; 4-byte Folded Spill
	ds_read2_b64 v[93:96], v90 offset0:54 offset1:55
	buffer_load_dword v81, off, s[24:27], 0 ; 4-byte Folded Reload
	buffer_load_dword v82, off, s[24:27], 0 offset:4 ; 4-byte Folded Reload
	buffer_load_dword v83, off, s[24:27], 0 offset:8 ; 4-byte Folded Reload
	;; [unrolled: 1-line block ×3, first 2 shown]
	s_waitcnt lgkmcnt(0)
	v_mul_f64 v[97:98], v[95:96], v[99:100]
	v_fma_f64 v[97:98], v[93:94], v[125:126], -v[97:98]
	v_mul_f64 v[93:94], v[93:94], v[99:100]
	v_fma_f64 v[93:94], v[95:96], v[125:126], v[93:94]
	s_waitcnt vmcnt(2)
	v_add_f64 v[81:82], v[81:82], -v[97:98]
	s_waitcnt vmcnt(0)
	v_add_f64 v[83:84], v[83:84], -v[93:94]
	buffer_store_dword v81, off, s[24:27], 0 ; 4-byte Folded Spill
	s_nop 0
	buffer_store_dword v82, off, s[24:27], 0 offset:4 ; 4-byte Folded Spill
	buffer_store_dword v83, off, s[24:27], 0 offset:8 ; 4-byte Folded Spill
	;; [unrolled: 1-line block ×3, first 2 shown]
	ds_read2_b64 v[93:96], v90 offset0:56 offset1:57
	s_waitcnt lgkmcnt(0)
	v_mul_f64 v[97:98], v[95:96], v[99:100]
	v_fma_f64 v[97:98], v[93:94], v[125:126], -v[97:98]
	v_mul_f64 v[93:94], v[93:94], v[99:100]
	v_add_f64 v[111:112], v[111:112], -v[97:98]
	v_fma_f64 v[93:94], v[95:96], v[125:126], v[93:94]
	v_add_f64 v[113:114], v[113:114], -v[93:94]
	ds_read2_b64 v[93:96], v90 offset0:58 offset1:59
	s_waitcnt lgkmcnt(0)
	v_mul_f64 v[97:98], v[95:96], v[99:100]
	v_fma_f64 v[97:98], v[93:94], v[125:126], -v[97:98]
	v_mul_f64 v[93:94], v[93:94], v[99:100]
	v_add_f64 v[85:86], v[85:86], -v[97:98]
	v_fma_f64 v[93:94], v[95:96], v[125:126], v[93:94]
	v_add_f64 v[87:88], v[87:88], -v[93:94]
	;; [unrolled: 8-line block ×22, first 2 shown]
	ds_read2_b64 v[93:96], v90 offset0:100 offset1:101
	s_waitcnt lgkmcnt(0)
	v_mul_f64 v[97:98], v[95:96], v[99:100]
	v_fma_f64 v[97:98], v[93:94], v[125:126], -v[97:98]
	v_mul_f64 v[93:94], v[93:94], v[99:100]
	v_add_f64 v[121:122], v[121:122], -v[97:98]
	v_fma_f64 v[93:94], v[95:96], v[125:126], v[93:94]
	v_mov_b32_e32 v97, v125
	v_mov_b32_e32 v98, v126
	buffer_store_dword v97, off, s[24:27], 0 offset:304 ; 4-byte Folded Spill
	s_nop 0
	buffer_store_dword v98, off, s[24:27], 0 offset:308 ; 4-byte Folded Spill
	buffer_store_dword v99, off, s[24:27], 0 offset:312 ; 4-byte Folded Spill
	;; [unrolled: 1-line block ×3, first 2 shown]
	v_add_f64 v[123:124], v[123:124], -v[93:94]
.LBB100_188:
	s_or_b64 exec, exec, s[0:1]
	s_waitcnt vmcnt(0)
	s_barrier
	buffer_load_dword v81, off, s[24:27], 0 offset:288 ; 4-byte Folded Reload
	buffer_load_dword v82, off, s[24:27], 0 offset:292 ; 4-byte Folded Reload
	;; [unrolled: 1-line block ×4, first 2 shown]
	v_lshl_add_u32 v93, v92, 4, v90
	s_cmp_lt_i32 s3, 11
	s_waitcnt vmcnt(0)
	ds_write2_b64 v93, v[81:82], v[83:84] offset1:1
	s_waitcnt lgkmcnt(0)
	s_barrier
	ds_read2_b64 v[117:120], v90 offset0:18 offset1:19
	v_mov_b32_e32 v93, 9
	s_cbranch_scc1 .LBB100_191
; %bb.189:
	v_add_u32_e32 v94, 0xa0, v90
	s_mov_b32 s0, 10
	v_mov_b32_e32 v93, 9
.LBB100_190:                            ; =>This Inner Loop Header: Depth=1
	s_waitcnt lgkmcnt(0)
	v_cmp_gt_f64_e32 vcc, 0, v[117:118]
	v_xor_b32_e32 v99, 0x80000000, v118
	ds_read2_b64 v[95:98], v94 offset1:1
	v_xor_b32_e32 v101, 0x80000000, v120
	v_add_u32_e32 v94, 16, v94
	s_waitcnt lgkmcnt(0)
	v_xor_b32_e32 v103, 0x80000000, v98
	v_cndmask_b32_e32 v100, v118, v99, vcc
	v_cmp_gt_f64_e32 vcc, 0, v[119:120]
	v_mov_b32_e32 v99, v117
	v_cndmask_b32_e32 v102, v120, v101, vcc
	v_cmp_gt_f64_e32 vcc, 0, v[95:96]
	v_mov_b32_e32 v101, v119
	v_add_f64 v[99:100], v[99:100], v[101:102]
	v_xor_b32_e32 v101, 0x80000000, v96
	v_cndmask_b32_e32 v102, v96, v101, vcc
	v_cmp_gt_f64_e32 vcc, 0, v[97:98]
	v_mov_b32_e32 v101, v95
	v_cndmask_b32_e32 v104, v98, v103, vcc
	v_mov_b32_e32 v103, v97
	v_add_f64 v[101:102], v[101:102], v[103:104]
	v_cmp_lt_f64_e32 vcc, v[99:100], v[101:102]
	v_cndmask_b32_e32 v117, v117, v95, vcc
	v_mov_b32_e32 v95, s0
	s_add_i32 s0, s0, 1
	v_cndmask_b32_e32 v118, v118, v96, vcc
	v_cndmask_b32_e32 v120, v120, v98, vcc
	;; [unrolled: 1-line block ×4, first 2 shown]
	s_cmp_lg_u32 s3, s0
	s_cbranch_scc1 .LBB100_190
.LBB100_191:
	s_waitcnt lgkmcnt(0)
	v_cmp_eq_f64_e32 vcc, 0, v[117:118]
	v_cmp_eq_f64_e64 s[0:1], 0, v[119:120]
	s_and_b64 s[0:1], vcc, s[0:1]
	s_and_saveexec_b64 s[18:19], s[0:1]
	s_xor_b64 s[0:1], exec, s[18:19]
; %bb.192:
	v_cmp_ne_u32_e32 vcc, 0, v91
	v_cndmask_b32_e32 v91, 10, v91, vcc
; %bb.193:
	s_andn2_saveexec_b64 s[0:1], s[0:1]
	s_cbranch_execz .LBB100_199
; %bb.194:
	v_cmp_ngt_f64_e64 s[18:19], |v[117:118]|, |v[119:120]|
	s_and_saveexec_b64 s[20:21], s[18:19]
	s_xor_b64 s[18:19], exec, s[20:21]
	s_cbranch_execz .LBB100_196
; %bb.195:
	v_div_scale_f64 v[94:95], s[20:21], v[119:120], v[119:120], v[117:118]
	v_rcp_f64_e32 v[96:97], v[94:95]
	v_fma_f64 v[98:99], -v[94:95], v[96:97], 1.0
	v_fma_f64 v[96:97], v[96:97], v[98:99], v[96:97]
	v_div_scale_f64 v[98:99], vcc, v[117:118], v[119:120], v[117:118]
	v_fma_f64 v[100:101], -v[94:95], v[96:97], 1.0
	v_fma_f64 v[96:97], v[96:97], v[100:101], v[96:97]
	v_mul_f64 v[100:101], v[98:99], v[96:97]
	v_fma_f64 v[94:95], -v[94:95], v[100:101], v[98:99]
	v_div_fmas_f64 v[94:95], v[94:95], v[96:97], v[100:101]
	v_div_fixup_f64 v[94:95], v[94:95], v[119:120], v[117:118]
	v_fma_f64 v[96:97], v[117:118], v[94:95], v[119:120]
	v_div_scale_f64 v[98:99], s[20:21], v[96:97], v[96:97], 1.0
	v_div_scale_f64 v[104:105], vcc, 1.0, v[96:97], 1.0
	v_rcp_f64_e32 v[100:101], v[98:99]
	v_fma_f64 v[102:103], -v[98:99], v[100:101], 1.0
	v_fma_f64 v[100:101], v[100:101], v[102:103], v[100:101]
	v_fma_f64 v[102:103], -v[98:99], v[100:101], 1.0
	v_fma_f64 v[100:101], v[100:101], v[102:103], v[100:101]
	v_mul_f64 v[102:103], v[104:105], v[100:101]
	v_fma_f64 v[98:99], -v[98:99], v[102:103], v[104:105]
	v_div_fmas_f64 v[98:99], v[98:99], v[100:101], v[102:103]
	v_div_fixup_f64 v[119:120], v[98:99], v[96:97], 1.0
	v_mul_f64 v[117:118], v[94:95], v[119:120]
	v_xor_b32_e32 v120, 0x80000000, v120
.LBB100_196:
	s_andn2_saveexec_b64 s[18:19], s[18:19]
	s_cbranch_execz .LBB100_198
; %bb.197:
	v_div_scale_f64 v[94:95], s[20:21], v[117:118], v[117:118], v[119:120]
	v_rcp_f64_e32 v[96:97], v[94:95]
	v_fma_f64 v[98:99], -v[94:95], v[96:97], 1.0
	v_fma_f64 v[96:97], v[96:97], v[98:99], v[96:97]
	v_div_scale_f64 v[98:99], vcc, v[119:120], v[117:118], v[119:120]
	v_fma_f64 v[100:101], -v[94:95], v[96:97], 1.0
	v_fma_f64 v[96:97], v[96:97], v[100:101], v[96:97]
	v_mul_f64 v[100:101], v[98:99], v[96:97]
	v_fma_f64 v[94:95], -v[94:95], v[100:101], v[98:99]
	v_div_fmas_f64 v[94:95], v[94:95], v[96:97], v[100:101]
	v_div_fixup_f64 v[94:95], v[94:95], v[117:118], v[119:120]
	v_fma_f64 v[96:97], v[119:120], v[94:95], v[117:118]
	v_div_scale_f64 v[98:99], s[20:21], v[96:97], v[96:97], 1.0
	v_div_scale_f64 v[104:105], vcc, 1.0, v[96:97], 1.0
	v_rcp_f64_e32 v[100:101], v[98:99]
	v_fma_f64 v[102:103], -v[98:99], v[100:101], 1.0
	v_fma_f64 v[100:101], v[100:101], v[102:103], v[100:101]
	v_fma_f64 v[102:103], -v[98:99], v[100:101], 1.0
	v_fma_f64 v[100:101], v[100:101], v[102:103], v[100:101]
	v_mul_f64 v[102:103], v[104:105], v[100:101]
	v_fma_f64 v[98:99], -v[98:99], v[102:103], v[104:105]
	v_div_fmas_f64 v[98:99], v[98:99], v[100:101], v[102:103]
	v_div_fixup_f64 v[117:118], v[98:99], v[96:97], 1.0
	v_mul_f64 v[119:120], v[94:95], -v[117:118]
.LBB100_198:
	s_or_b64 exec, exec, s[18:19]
.LBB100_199:
	s_or_b64 exec, exec, s[0:1]
	v_cmp_ne_u32_e32 vcc, v92, v93
	s_and_saveexec_b64 s[0:1], vcc
	s_xor_b64 s[0:1], exec, s[0:1]
	s_cbranch_execz .LBB100_205
; %bb.200:
	v_cmp_eq_u32_e32 vcc, 9, v92
	s_and_saveexec_b64 s[18:19], vcc
	s_cbranch_execz .LBB100_204
; %bb.201:
	v_cmp_ne_u32_e32 vcc, 9, v93
	s_xor_b64 s[20:21], s[6:7], -1
	s_and_b64 s[22:23], s[20:21], vcc
	s_and_saveexec_b64 s[20:21], s[22:23]
	s_cbranch_execz .LBB100_203
; %bb.202:
	buffer_load_dword v81, off, s[24:27], 0 offset:400 ; 4-byte Folded Reload
	buffer_load_dword v82, off, s[24:27], 0 offset:404 ; 4-byte Folded Reload
	v_ashrrev_i32_e32 v94, 31, v93
	v_lshlrev_b64 v[94:95], 2, v[93:94]
	s_waitcnt vmcnt(1)
	v_add_co_u32_e32 v94, vcc, v81, v94
	s_waitcnt vmcnt(0)
	v_addc_co_u32_e32 v95, vcc, v82, v95, vcc
	global_load_dword v0, v[94:95], off
	global_load_dword v92, v[81:82], off offset:36
	s_waitcnt vmcnt(1)
	global_store_dword v[81:82], v0, off offset:36
	s_waitcnt vmcnt(1)
	global_store_dword v[94:95], v92, off
.LBB100_203:
	s_or_b64 exec, exec, s[20:21]
	v_mov_b32_e32 v92, v93
	v_mov_b32_e32 v0, v93
.LBB100_204:
	s_or_b64 exec, exec, s[18:19]
.LBB100_205:
	s_andn2_saveexec_b64 s[0:1], s[0:1]
	s_cbranch_execz .LBB100_207
; %bb.206:
	buffer_load_dword v81, off, s[24:27], 0 offset:272 ; 4-byte Folded Reload
	buffer_load_dword v82, off, s[24:27], 0 offset:276 ; 4-byte Folded Reload
	;; [unrolled: 1-line block ×4, first 2 shown]
	v_mov_b32_e32 v92, 9
	s_waitcnt vmcnt(0)
	ds_write2_b64 v90, v[81:82], v[83:84] offset0:20 offset1:21
	buffer_load_dword v81, off, s[24:27], 0 offset:256 ; 4-byte Folded Reload
	buffer_load_dword v82, off, s[24:27], 0 offset:260 ; 4-byte Folded Reload
	buffer_load_dword v83, off, s[24:27], 0 offset:264 ; 4-byte Folded Reload
	buffer_load_dword v84, off, s[24:27], 0 offset:268 ; 4-byte Folded Reload
	s_waitcnt vmcnt(0)
	ds_write2_b64 v90, v[81:82], v[83:84] offset0:22 offset1:23
	buffer_load_dword v81, off, s[24:27], 0 offset:240 ; 4-byte Folded Reload
	buffer_load_dword v82, off, s[24:27], 0 offset:244 ; 4-byte Folded Reload
	buffer_load_dword v83, off, s[24:27], 0 offset:248 ; 4-byte Folded Reload
	buffer_load_dword v84, off, s[24:27], 0 offset:252 ; 4-byte Folded Reload
	s_waitcnt vmcnt(0)
	ds_write2_b64 v90, v[81:82], v[83:84] offset0:24 offset1:25
	buffer_load_dword v81, off, s[24:27], 0 offset:224 ; 4-byte Folded Reload
	buffer_load_dword v82, off, s[24:27], 0 offset:228 ; 4-byte Folded Reload
	buffer_load_dword v83, off, s[24:27], 0 offset:232 ; 4-byte Folded Reload
	buffer_load_dword v84, off, s[24:27], 0 offset:236 ; 4-byte Folded Reload
	s_waitcnt vmcnt(0)
	ds_write2_b64 v90, v[81:82], v[83:84] offset0:26 offset1:27
	buffer_load_dword v81, off, s[24:27], 0 offset:208 ; 4-byte Folded Reload
	buffer_load_dword v82, off, s[24:27], 0 offset:212 ; 4-byte Folded Reload
	buffer_load_dword v83, off, s[24:27], 0 offset:216 ; 4-byte Folded Reload
	buffer_load_dword v84, off, s[24:27], 0 offset:220 ; 4-byte Folded Reload
	s_waitcnt vmcnt(0)
	ds_write2_b64 v90, v[81:82], v[83:84] offset0:28 offset1:29
	buffer_load_dword v81, off, s[24:27], 0 offset:192 ; 4-byte Folded Reload
	buffer_load_dword v82, off, s[24:27], 0 offset:196 ; 4-byte Folded Reload
	buffer_load_dword v83, off, s[24:27], 0 offset:200 ; 4-byte Folded Reload
	buffer_load_dword v84, off, s[24:27], 0 offset:204 ; 4-byte Folded Reload
	s_waitcnt vmcnt(0)
	ds_write2_b64 v90, v[81:82], v[83:84] offset0:30 offset1:31
	buffer_load_dword v81, off, s[24:27], 0 offset:176 ; 4-byte Folded Reload
	buffer_load_dword v82, off, s[24:27], 0 offset:180 ; 4-byte Folded Reload
	buffer_load_dword v83, off, s[24:27], 0 offset:184 ; 4-byte Folded Reload
	buffer_load_dword v84, off, s[24:27], 0 offset:188 ; 4-byte Folded Reload
	s_waitcnt vmcnt(0)
	ds_write2_b64 v90, v[81:82], v[83:84] offset0:32 offset1:33
	buffer_load_dword v81, off, s[24:27], 0 offset:160 ; 4-byte Folded Reload
	buffer_load_dword v82, off, s[24:27], 0 offset:164 ; 4-byte Folded Reload
	buffer_load_dword v83, off, s[24:27], 0 offset:168 ; 4-byte Folded Reload
	buffer_load_dword v84, off, s[24:27], 0 offset:172 ; 4-byte Folded Reload
	s_waitcnt vmcnt(0)
	ds_write2_b64 v90, v[81:82], v[83:84] offset0:34 offset1:35
	buffer_load_dword v81, off, s[24:27], 0 offset:144 ; 4-byte Folded Reload
	buffer_load_dword v82, off, s[24:27], 0 offset:148 ; 4-byte Folded Reload
	buffer_load_dword v83, off, s[24:27], 0 offset:152 ; 4-byte Folded Reload
	buffer_load_dword v84, off, s[24:27], 0 offset:156 ; 4-byte Folded Reload
	s_waitcnt vmcnt(0)
	ds_write2_b64 v90, v[81:82], v[83:84] offset0:36 offset1:37
	buffer_load_dword v81, off, s[24:27], 0 offset:128 ; 4-byte Folded Reload
	buffer_load_dword v82, off, s[24:27], 0 offset:132 ; 4-byte Folded Reload
	buffer_load_dword v83, off, s[24:27], 0 offset:136 ; 4-byte Folded Reload
	buffer_load_dword v84, off, s[24:27], 0 offset:140 ; 4-byte Folded Reload
	s_waitcnt vmcnt(0)
	ds_write2_b64 v90, v[81:82], v[83:84] offset0:38 offset1:39
	buffer_load_dword v81, off, s[24:27], 0 offset:112 ; 4-byte Folded Reload
	buffer_load_dword v82, off, s[24:27], 0 offset:116 ; 4-byte Folded Reload
	buffer_load_dword v83, off, s[24:27], 0 offset:120 ; 4-byte Folded Reload
	buffer_load_dword v84, off, s[24:27], 0 offset:124 ; 4-byte Folded Reload
	s_waitcnt vmcnt(0)
	ds_write2_b64 v90, v[81:82], v[83:84] offset0:40 offset1:41
	buffer_load_dword v81, off, s[24:27], 0 offset:96 ; 4-byte Folded Reload
	buffer_load_dword v82, off, s[24:27], 0 offset:100 ; 4-byte Folded Reload
	buffer_load_dword v83, off, s[24:27], 0 offset:104 ; 4-byte Folded Reload
	buffer_load_dword v84, off, s[24:27], 0 offset:108 ; 4-byte Folded Reload
	s_waitcnt vmcnt(0)
	ds_write2_b64 v90, v[81:82], v[83:84] offset0:42 offset1:43
	buffer_load_dword v81, off, s[24:27], 0 offset:80 ; 4-byte Folded Reload
	buffer_load_dword v82, off, s[24:27], 0 offset:84 ; 4-byte Folded Reload
	buffer_load_dword v83, off, s[24:27], 0 offset:88 ; 4-byte Folded Reload
	buffer_load_dword v84, off, s[24:27], 0 offset:92 ; 4-byte Folded Reload
	s_waitcnt vmcnt(0)
	ds_write2_b64 v90, v[81:82], v[83:84] offset0:44 offset1:45
	buffer_load_dword v81, off, s[24:27], 0 offset:64 ; 4-byte Folded Reload
	buffer_load_dword v82, off, s[24:27], 0 offset:68 ; 4-byte Folded Reload
	buffer_load_dword v83, off, s[24:27], 0 offset:72 ; 4-byte Folded Reload
	buffer_load_dword v84, off, s[24:27], 0 offset:76 ; 4-byte Folded Reload
	s_waitcnt vmcnt(0)
	ds_write2_b64 v90, v[81:82], v[83:84] offset0:46 offset1:47
	buffer_load_dword v81, off, s[24:27], 0 offset:48 ; 4-byte Folded Reload
	buffer_load_dword v82, off, s[24:27], 0 offset:52 ; 4-byte Folded Reload
	buffer_load_dword v83, off, s[24:27], 0 offset:56 ; 4-byte Folded Reload
	buffer_load_dword v84, off, s[24:27], 0 offset:60 ; 4-byte Folded Reload
	s_waitcnt vmcnt(0)
	ds_write2_b64 v90, v[81:82], v[83:84] offset0:48 offset1:49
	buffer_load_dword v81, off, s[24:27], 0 offset:32 ; 4-byte Folded Reload
	buffer_load_dword v82, off, s[24:27], 0 offset:36 ; 4-byte Folded Reload
	buffer_load_dword v83, off, s[24:27], 0 offset:40 ; 4-byte Folded Reload
	buffer_load_dword v84, off, s[24:27], 0 offset:44 ; 4-byte Folded Reload
	s_waitcnt vmcnt(0)
	ds_write2_b64 v90, v[81:82], v[83:84] offset0:50 offset1:51
	buffer_load_dword v81, off, s[24:27], 0 offset:16 ; 4-byte Folded Reload
	buffer_load_dword v82, off, s[24:27], 0 offset:20 ; 4-byte Folded Reload
	buffer_load_dword v83, off, s[24:27], 0 offset:24 ; 4-byte Folded Reload
	buffer_load_dword v84, off, s[24:27], 0 offset:28 ; 4-byte Folded Reload
	s_waitcnt vmcnt(0)
	ds_write2_b64 v90, v[81:82], v[83:84] offset0:52 offset1:53
	buffer_load_dword v81, off, s[24:27], 0 ; 4-byte Folded Reload
	buffer_load_dword v82, off, s[24:27], 0 offset:4 ; 4-byte Folded Reload
	buffer_load_dword v83, off, s[24:27], 0 offset:8 ; 4-byte Folded Reload
	;; [unrolled: 1-line block ×3, first 2 shown]
	s_waitcnt vmcnt(0)
	ds_write2_b64 v90, v[81:82], v[83:84] offset0:54 offset1:55
	ds_write2_b64 v90, v[111:112], v[113:114] offset0:56 offset1:57
	;; [unrolled: 1-line block ×24, first 2 shown]
.LBB100_207:
	s_or_b64 exec, exec, s[0:1]
	v_cmp_lt_i32_e32 vcc, 9, v92
	s_waitcnt vmcnt(0) lgkmcnt(0)
	s_barrier
	s_and_saveexec_b64 s[0:1], vcc
	s_cbranch_execz .LBB100_209
; %bb.208:
	buffer_load_dword v97, off, s[24:27], 0 offset:288 ; 4-byte Folded Reload
	buffer_load_dword v98, off, s[24:27], 0 offset:292 ; 4-byte Folded Reload
	;; [unrolled: 1-line block ×4, first 2 shown]
	s_waitcnt vmcnt(0)
	v_mul_f64 v[93:94], v[119:120], v[99:100]
	v_fma_f64 v[125:126], v[117:118], v[97:98], -v[93:94]
	v_mul_f64 v[93:94], v[117:118], v[99:100]
	v_fma_f64 v[99:100], v[119:120], v[97:98], v[93:94]
	ds_read2_b64 v[93:96], v90 offset0:20 offset1:21
	buffer_load_dword v81, off, s[24:27], 0 offset:272 ; 4-byte Folded Reload
	buffer_load_dword v82, off, s[24:27], 0 offset:276 ; 4-byte Folded Reload
	buffer_load_dword v83, off, s[24:27], 0 offset:280 ; 4-byte Folded Reload
	buffer_load_dword v84, off, s[24:27], 0 offset:284 ; 4-byte Folded Reload
	s_waitcnt lgkmcnt(0)
	v_mul_f64 v[97:98], v[95:96], v[99:100]
	v_fma_f64 v[97:98], v[93:94], v[125:126], -v[97:98]
	v_mul_f64 v[93:94], v[93:94], v[99:100]
	v_fma_f64 v[93:94], v[95:96], v[125:126], v[93:94]
	s_waitcnt vmcnt(2)
	v_add_f64 v[81:82], v[81:82], -v[97:98]
	s_waitcnt vmcnt(0)
	v_add_f64 v[83:84], v[83:84], -v[93:94]
	buffer_store_dword v81, off, s[24:27], 0 offset:272 ; 4-byte Folded Spill
	s_nop 0
	buffer_store_dword v82, off, s[24:27], 0 offset:276 ; 4-byte Folded Spill
	buffer_store_dword v83, off, s[24:27], 0 offset:280 ; 4-byte Folded Spill
	buffer_store_dword v84, off, s[24:27], 0 offset:284 ; 4-byte Folded Spill
	ds_read2_b64 v[93:96], v90 offset0:22 offset1:23
	buffer_load_dword v81, off, s[24:27], 0 offset:256 ; 4-byte Folded Reload
	buffer_load_dword v82, off, s[24:27], 0 offset:260 ; 4-byte Folded Reload
	buffer_load_dword v83, off, s[24:27], 0 offset:264 ; 4-byte Folded Reload
	buffer_load_dword v84, off, s[24:27], 0 offset:268 ; 4-byte Folded Reload
	s_waitcnt lgkmcnt(0)
	v_mul_f64 v[97:98], v[95:96], v[99:100]
	v_fma_f64 v[97:98], v[93:94], v[125:126], -v[97:98]
	v_mul_f64 v[93:94], v[93:94], v[99:100]
	v_fma_f64 v[93:94], v[95:96], v[125:126], v[93:94]
	s_waitcnt vmcnt(2)
	v_add_f64 v[81:82], v[81:82], -v[97:98]
	s_waitcnt vmcnt(0)
	v_add_f64 v[83:84], v[83:84], -v[93:94]
	buffer_store_dword v81, off, s[24:27], 0 offset:256 ; 4-byte Folded Spill
	s_nop 0
	buffer_store_dword v82, off, s[24:27], 0 offset:260 ; 4-byte Folded Spill
	buffer_store_dword v83, off, s[24:27], 0 offset:264 ; 4-byte Folded Spill
	buffer_store_dword v84, off, s[24:27], 0 offset:268 ; 4-byte Folded Spill
	;; [unrolled: 19-line block ×17, first 2 shown]
	ds_read2_b64 v[93:96], v90 offset0:54 offset1:55
	buffer_load_dword v81, off, s[24:27], 0 ; 4-byte Folded Reload
	buffer_load_dword v82, off, s[24:27], 0 offset:4 ; 4-byte Folded Reload
	buffer_load_dword v83, off, s[24:27], 0 offset:8 ; 4-byte Folded Reload
	;; [unrolled: 1-line block ×3, first 2 shown]
	s_waitcnt lgkmcnt(0)
	v_mul_f64 v[97:98], v[95:96], v[99:100]
	v_fma_f64 v[97:98], v[93:94], v[125:126], -v[97:98]
	v_mul_f64 v[93:94], v[93:94], v[99:100]
	v_fma_f64 v[93:94], v[95:96], v[125:126], v[93:94]
	s_waitcnt vmcnt(2)
	v_add_f64 v[81:82], v[81:82], -v[97:98]
	s_waitcnt vmcnt(0)
	v_add_f64 v[83:84], v[83:84], -v[93:94]
	buffer_store_dword v81, off, s[24:27], 0 ; 4-byte Folded Spill
	s_nop 0
	buffer_store_dword v82, off, s[24:27], 0 offset:4 ; 4-byte Folded Spill
	buffer_store_dword v83, off, s[24:27], 0 offset:8 ; 4-byte Folded Spill
	;; [unrolled: 1-line block ×3, first 2 shown]
	ds_read2_b64 v[93:96], v90 offset0:56 offset1:57
	s_waitcnt lgkmcnt(0)
	v_mul_f64 v[97:98], v[95:96], v[99:100]
	v_fma_f64 v[97:98], v[93:94], v[125:126], -v[97:98]
	v_mul_f64 v[93:94], v[93:94], v[99:100]
	v_add_f64 v[111:112], v[111:112], -v[97:98]
	v_fma_f64 v[93:94], v[95:96], v[125:126], v[93:94]
	v_add_f64 v[113:114], v[113:114], -v[93:94]
	ds_read2_b64 v[93:96], v90 offset0:58 offset1:59
	s_waitcnt lgkmcnt(0)
	v_mul_f64 v[97:98], v[95:96], v[99:100]
	v_fma_f64 v[97:98], v[93:94], v[125:126], -v[97:98]
	v_mul_f64 v[93:94], v[93:94], v[99:100]
	v_add_f64 v[85:86], v[85:86], -v[97:98]
	v_fma_f64 v[93:94], v[95:96], v[125:126], v[93:94]
	v_add_f64 v[87:88], v[87:88], -v[93:94]
	;; [unrolled: 8-line block ×22, first 2 shown]
	ds_read2_b64 v[93:96], v90 offset0:100 offset1:101
	s_waitcnt lgkmcnt(0)
	v_mul_f64 v[97:98], v[95:96], v[99:100]
	v_fma_f64 v[97:98], v[93:94], v[125:126], -v[97:98]
	v_mul_f64 v[93:94], v[93:94], v[99:100]
	v_add_f64 v[121:122], v[121:122], -v[97:98]
	v_fma_f64 v[93:94], v[95:96], v[125:126], v[93:94]
	v_mov_b32_e32 v97, v125
	v_mov_b32_e32 v98, v126
	buffer_store_dword v97, off, s[24:27], 0 offset:288 ; 4-byte Folded Spill
	s_nop 0
	buffer_store_dword v98, off, s[24:27], 0 offset:292 ; 4-byte Folded Spill
	buffer_store_dword v99, off, s[24:27], 0 offset:296 ; 4-byte Folded Spill
	;; [unrolled: 1-line block ×3, first 2 shown]
	v_add_f64 v[123:124], v[123:124], -v[93:94]
.LBB100_209:
	s_or_b64 exec, exec, s[0:1]
	s_waitcnt vmcnt(0)
	s_barrier
	buffer_load_dword v81, off, s[24:27], 0 offset:272 ; 4-byte Folded Reload
	buffer_load_dword v82, off, s[24:27], 0 offset:276 ; 4-byte Folded Reload
	buffer_load_dword v83, off, s[24:27], 0 offset:280 ; 4-byte Folded Reload
	buffer_load_dword v84, off, s[24:27], 0 offset:284 ; 4-byte Folded Reload
	v_lshl_add_u32 v93, v92, 4, v90
	s_cmp_lt_i32 s3, 12
	s_waitcnt vmcnt(0)
	ds_write2_b64 v93, v[81:82], v[83:84] offset1:1
	s_waitcnt lgkmcnt(0)
	s_barrier
	ds_read2_b64 v[117:120], v90 offset0:20 offset1:21
	v_mov_b32_e32 v93, 10
	s_cbranch_scc1 .LBB100_212
; %bb.210:
	v_add_u32_e32 v94, 0xb0, v90
	s_mov_b32 s0, 11
	v_mov_b32_e32 v93, 10
.LBB100_211:                            ; =>This Inner Loop Header: Depth=1
	s_waitcnt lgkmcnt(0)
	v_cmp_gt_f64_e32 vcc, 0, v[117:118]
	v_xor_b32_e32 v99, 0x80000000, v118
	ds_read2_b64 v[95:98], v94 offset1:1
	v_xor_b32_e32 v101, 0x80000000, v120
	v_add_u32_e32 v94, 16, v94
	s_waitcnt lgkmcnt(0)
	v_xor_b32_e32 v103, 0x80000000, v98
	v_cndmask_b32_e32 v100, v118, v99, vcc
	v_cmp_gt_f64_e32 vcc, 0, v[119:120]
	v_mov_b32_e32 v99, v117
	v_cndmask_b32_e32 v102, v120, v101, vcc
	v_cmp_gt_f64_e32 vcc, 0, v[95:96]
	v_mov_b32_e32 v101, v119
	v_add_f64 v[99:100], v[99:100], v[101:102]
	v_xor_b32_e32 v101, 0x80000000, v96
	v_cndmask_b32_e32 v102, v96, v101, vcc
	v_cmp_gt_f64_e32 vcc, 0, v[97:98]
	v_mov_b32_e32 v101, v95
	v_cndmask_b32_e32 v104, v98, v103, vcc
	v_mov_b32_e32 v103, v97
	v_add_f64 v[101:102], v[101:102], v[103:104]
	v_cmp_lt_f64_e32 vcc, v[99:100], v[101:102]
	v_cndmask_b32_e32 v117, v117, v95, vcc
	v_mov_b32_e32 v95, s0
	s_add_i32 s0, s0, 1
	v_cndmask_b32_e32 v118, v118, v96, vcc
	v_cndmask_b32_e32 v120, v120, v98, vcc
	;; [unrolled: 1-line block ×4, first 2 shown]
	s_cmp_lg_u32 s3, s0
	s_cbranch_scc1 .LBB100_211
.LBB100_212:
	s_waitcnt lgkmcnt(0)
	v_cmp_eq_f64_e32 vcc, 0, v[117:118]
	v_cmp_eq_f64_e64 s[0:1], 0, v[119:120]
	s_and_b64 s[0:1], vcc, s[0:1]
	s_and_saveexec_b64 s[18:19], s[0:1]
	s_xor_b64 s[0:1], exec, s[18:19]
; %bb.213:
	v_cmp_ne_u32_e32 vcc, 0, v91
	v_cndmask_b32_e32 v91, 11, v91, vcc
; %bb.214:
	s_andn2_saveexec_b64 s[0:1], s[0:1]
	s_cbranch_execz .LBB100_220
; %bb.215:
	v_cmp_ngt_f64_e64 s[18:19], |v[117:118]|, |v[119:120]|
	s_and_saveexec_b64 s[20:21], s[18:19]
	s_xor_b64 s[18:19], exec, s[20:21]
	s_cbranch_execz .LBB100_217
; %bb.216:
	v_div_scale_f64 v[94:95], s[20:21], v[119:120], v[119:120], v[117:118]
	v_rcp_f64_e32 v[96:97], v[94:95]
	v_fma_f64 v[98:99], -v[94:95], v[96:97], 1.0
	v_fma_f64 v[96:97], v[96:97], v[98:99], v[96:97]
	v_div_scale_f64 v[98:99], vcc, v[117:118], v[119:120], v[117:118]
	v_fma_f64 v[100:101], -v[94:95], v[96:97], 1.0
	v_fma_f64 v[96:97], v[96:97], v[100:101], v[96:97]
	v_mul_f64 v[100:101], v[98:99], v[96:97]
	v_fma_f64 v[94:95], -v[94:95], v[100:101], v[98:99]
	v_div_fmas_f64 v[94:95], v[94:95], v[96:97], v[100:101]
	v_div_fixup_f64 v[94:95], v[94:95], v[119:120], v[117:118]
	v_fma_f64 v[96:97], v[117:118], v[94:95], v[119:120]
	v_div_scale_f64 v[98:99], s[20:21], v[96:97], v[96:97], 1.0
	v_div_scale_f64 v[104:105], vcc, 1.0, v[96:97], 1.0
	v_rcp_f64_e32 v[100:101], v[98:99]
	v_fma_f64 v[102:103], -v[98:99], v[100:101], 1.0
	v_fma_f64 v[100:101], v[100:101], v[102:103], v[100:101]
	v_fma_f64 v[102:103], -v[98:99], v[100:101], 1.0
	v_fma_f64 v[100:101], v[100:101], v[102:103], v[100:101]
	v_mul_f64 v[102:103], v[104:105], v[100:101]
	v_fma_f64 v[98:99], -v[98:99], v[102:103], v[104:105]
	v_div_fmas_f64 v[98:99], v[98:99], v[100:101], v[102:103]
	v_div_fixup_f64 v[119:120], v[98:99], v[96:97], 1.0
	v_mul_f64 v[117:118], v[94:95], v[119:120]
	v_xor_b32_e32 v120, 0x80000000, v120
.LBB100_217:
	s_andn2_saveexec_b64 s[18:19], s[18:19]
	s_cbranch_execz .LBB100_219
; %bb.218:
	v_div_scale_f64 v[94:95], s[20:21], v[117:118], v[117:118], v[119:120]
	v_rcp_f64_e32 v[96:97], v[94:95]
	v_fma_f64 v[98:99], -v[94:95], v[96:97], 1.0
	v_fma_f64 v[96:97], v[96:97], v[98:99], v[96:97]
	v_div_scale_f64 v[98:99], vcc, v[119:120], v[117:118], v[119:120]
	v_fma_f64 v[100:101], -v[94:95], v[96:97], 1.0
	v_fma_f64 v[96:97], v[96:97], v[100:101], v[96:97]
	v_mul_f64 v[100:101], v[98:99], v[96:97]
	v_fma_f64 v[94:95], -v[94:95], v[100:101], v[98:99]
	v_div_fmas_f64 v[94:95], v[94:95], v[96:97], v[100:101]
	v_div_fixup_f64 v[94:95], v[94:95], v[117:118], v[119:120]
	v_fma_f64 v[96:97], v[119:120], v[94:95], v[117:118]
	v_div_scale_f64 v[98:99], s[20:21], v[96:97], v[96:97], 1.0
	v_div_scale_f64 v[104:105], vcc, 1.0, v[96:97], 1.0
	v_rcp_f64_e32 v[100:101], v[98:99]
	v_fma_f64 v[102:103], -v[98:99], v[100:101], 1.0
	v_fma_f64 v[100:101], v[100:101], v[102:103], v[100:101]
	v_fma_f64 v[102:103], -v[98:99], v[100:101], 1.0
	v_fma_f64 v[100:101], v[100:101], v[102:103], v[100:101]
	v_mul_f64 v[102:103], v[104:105], v[100:101]
	v_fma_f64 v[98:99], -v[98:99], v[102:103], v[104:105]
	v_div_fmas_f64 v[98:99], v[98:99], v[100:101], v[102:103]
	v_div_fixup_f64 v[117:118], v[98:99], v[96:97], 1.0
	v_mul_f64 v[119:120], v[94:95], -v[117:118]
.LBB100_219:
	s_or_b64 exec, exec, s[18:19]
.LBB100_220:
	s_or_b64 exec, exec, s[0:1]
	v_cmp_ne_u32_e32 vcc, v92, v93
	s_and_saveexec_b64 s[0:1], vcc
	s_xor_b64 s[0:1], exec, s[0:1]
	s_cbranch_execz .LBB100_226
; %bb.221:
	v_cmp_eq_u32_e32 vcc, 10, v92
	s_and_saveexec_b64 s[18:19], vcc
	s_cbranch_execz .LBB100_225
; %bb.222:
	v_cmp_ne_u32_e32 vcc, 10, v93
	s_xor_b64 s[20:21], s[6:7], -1
	s_and_b64 s[22:23], s[20:21], vcc
	s_and_saveexec_b64 s[20:21], s[22:23]
	s_cbranch_execz .LBB100_224
; %bb.223:
	buffer_load_dword v81, off, s[24:27], 0 offset:400 ; 4-byte Folded Reload
	buffer_load_dword v82, off, s[24:27], 0 offset:404 ; 4-byte Folded Reload
	v_ashrrev_i32_e32 v94, 31, v93
	v_lshlrev_b64 v[94:95], 2, v[93:94]
	s_waitcnt vmcnt(1)
	v_add_co_u32_e32 v94, vcc, v81, v94
	s_waitcnt vmcnt(0)
	v_addc_co_u32_e32 v95, vcc, v82, v95, vcc
	global_load_dword v0, v[94:95], off
	global_load_dword v92, v[81:82], off offset:40
	s_waitcnt vmcnt(1)
	global_store_dword v[81:82], v0, off offset:40
	s_waitcnt vmcnt(1)
	global_store_dword v[94:95], v92, off
.LBB100_224:
	s_or_b64 exec, exec, s[20:21]
	v_mov_b32_e32 v92, v93
	v_mov_b32_e32 v0, v93
.LBB100_225:
	s_or_b64 exec, exec, s[18:19]
.LBB100_226:
	s_andn2_saveexec_b64 s[0:1], s[0:1]
	s_cbranch_execz .LBB100_228
; %bb.227:
	buffer_load_dword v81, off, s[24:27], 0 offset:256 ; 4-byte Folded Reload
	buffer_load_dword v82, off, s[24:27], 0 offset:260 ; 4-byte Folded Reload
	;; [unrolled: 1-line block ×4, first 2 shown]
	v_mov_b32_e32 v92, 10
	s_waitcnt vmcnt(0)
	ds_write2_b64 v90, v[81:82], v[83:84] offset0:22 offset1:23
	buffer_load_dword v81, off, s[24:27], 0 offset:240 ; 4-byte Folded Reload
	buffer_load_dword v82, off, s[24:27], 0 offset:244 ; 4-byte Folded Reload
	buffer_load_dword v83, off, s[24:27], 0 offset:248 ; 4-byte Folded Reload
	buffer_load_dword v84, off, s[24:27], 0 offset:252 ; 4-byte Folded Reload
	s_waitcnt vmcnt(0)
	ds_write2_b64 v90, v[81:82], v[83:84] offset0:24 offset1:25
	buffer_load_dword v81, off, s[24:27], 0 offset:224 ; 4-byte Folded Reload
	buffer_load_dword v82, off, s[24:27], 0 offset:228 ; 4-byte Folded Reload
	buffer_load_dword v83, off, s[24:27], 0 offset:232 ; 4-byte Folded Reload
	buffer_load_dword v84, off, s[24:27], 0 offset:236 ; 4-byte Folded Reload
	;; [unrolled: 6-line block ×15, first 2 shown]
	s_waitcnt vmcnt(0)
	ds_write2_b64 v90, v[81:82], v[83:84] offset0:52 offset1:53
	buffer_load_dword v81, off, s[24:27], 0 ; 4-byte Folded Reload
	buffer_load_dword v82, off, s[24:27], 0 offset:4 ; 4-byte Folded Reload
	buffer_load_dword v83, off, s[24:27], 0 offset:8 ; 4-byte Folded Reload
	buffer_load_dword v84, off, s[24:27], 0 offset:12 ; 4-byte Folded Reload
	s_waitcnt vmcnt(0)
	ds_write2_b64 v90, v[81:82], v[83:84] offset0:54 offset1:55
	ds_write2_b64 v90, v[111:112], v[113:114] offset0:56 offset1:57
	;; [unrolled: 1-line block ×24, first 2 shown]
.LBB100_228:
	s_or_b64 exec, exec, s[0:1]
	v_cmp_lt_i32_e32 vcc, 10, v92
	s_waitcnt vmcnt(0) lgkmcnt(0)
	s_barrier
	s_and_saveexec_b64 s[0:1], vcc
	s_cbranch_execz .LBB100_230
; %bb.229:
	buffer_load_dword v97, off, s[24:27], 0 offset:272 ; 4-byte Folded Reload
	buffer_load_dword v98, off, s[24:27], 0 offset:276 ; 4-byte Folded Reload
	buffer_load_dword v99, off, s[24:27], 0 offset:280 ; 4-byte Folded Reload
	buffer_load_dword v100, off, s[24:27], 0 offset:284 ; 4-byte Folded Reload
	s_waitcnt vmcnt(0)
	v_mul_f64 v[93:94], v[119:120], v[99:100]
	v_fma_f64 v[125:126], v[117:118], v[97:98], -v[93:94]
	v_mul_f64 v[93:94], v[117:118], v[99:100]
	v_fma_f64 v[99:100], v[119:120], v[97:98], v[93:94]
	ds_read2_b64 v[93:96], v90 offset0:22 offset1:23
	buffer_load_dword v81, off, s[24:27], 0 offset:256 ; 4-byte Folded Reload
	buffer_load_dword v82, off, s[24:27], 0 offset:260 ; 4-byte Folded Reload
	buffer_load_dword v83, off, s[24:27], 0 offset:264 ; 4-byte Folded Reload
	buffer_load_dword v84, off, s[24:27], 0 offset:268 ; 4-byte Folded Reload
	s_waitcnt lgkmcnt(0)
	v_mul_f64 v[97:98], v[95:96], v[99:100]
	v_fma_f64 v[97:98], v[93:94], v[125:126], -v[97:98]
	v_mul_f64 v[93:94], v[93:94], v[99:100]
	v_fma_f64 v[93:94], v[95:96], v[125:126], v[93:94]
	s_waitcnt vmcnt(2)
	v_add_f64 v[81:82], v[81:82], -v[97:98]
	s_waitcnt vmcnt(0)
	v_add_f64 v[83:84], v[83:84], -v[93:94]
	buffer_store_dword v81, off, s[24:27], 0 offset:256 ; 4-byte Folded Spill
	s_nop 0
	buffer_store_dword v82, off, s[24:27], 0 offset:260 ; 4-byte Folded Spill
	buffer_store_dword v83, off, s[24:27], 0 offset:264 ; 4-byte Folded Spill
	buffer_store_dword v84, off, s[24:27], 0 offset:268 ; 4-byte Folded Spill
	ds_read2_b64 v[93:96], v90 offset0:24 offset1:25
	buffer_load_dword v81, off, s[24:27], 0 offset:240 ; 4-byte Folded Reload
	buffer_load_dword v82, off, s[24:27], 0 offset:244 ; 4-byte Folded Reload
	buffer_load_dword v83, off, s[24:27], 0 offset:248 ; 4-byte Folded Reload
	buffer_load_dword v84, off, s[24:27], 0 offset:252 ; 4-byte Folded Reload
	s_waitcnt lgkmcnt(0)
	v_mul_f64 v[97:98], v[95:96], v[99:100]
	v_fma_f64 v[97:98], v[93:94], v[125:126], -v[97:98]
	v_mul_f64 v[93:94], v[93:94], v[99:100]
	v_fma_f64 v[93:94], v[95:96], v[125:126], v[93:94]
	s_waitcnt vmcnt(2)
	v_add_f64 v[81:82], v[81:82], -v[97:98]
	s_waitcnt vmcnt(0)
	v_add_f64 v[83:84], v[83:84], -v[93:94]
	buffer_store_dword v81, off, s[24:27], 0 offset:240 ; 4-byte Folded Spill
	s_nop 0
	buffer_store_dword v82, off, s[24:27], 0 offset:244 ; 4-byte Folded Spill
	buffer_store_dword v83, off, s[24:27], 0 offset:248 ; 4-byte Folded Spill
	buffer_store_dword v84, off, s[24:27], 0 offset:252 ; 4-byte Folded Spill
	;; [unrolled: 19-line block ×16, first 2 shown]
	ds_read2_b64 v[93:96], v90 offset0:54 offset1:55
	buffer_load_dword v81, off, s[24:27], 0 ; 4-byte Folded Reload
	buffer_load_dword v82, off, s[24:27], 0 offset:4 ; 4-byte Folded Reload
	buffer_load_dword v83, off, s[24:27], 0 offset:8 ; 4-byte Folded Reload
	;; [unrolled: 1-line block ×3, first 2 shown]
	s_waitcnt lgkmcnt(0)
	v_mul_f64 v[97:98], v[95:96], v[99:100]
	v_fma_f64 v[97:98], v[93:94], v[125:126], -v[97:98]
	v_mul_f64 v[93:94], v[93:94], v[99:100]
	v_fma_f64 v[93:94], v[95:96], v[125:126], v[93:94]
	s_waitcnt vmcnt(2)
	v_add_f64 v[81:82], v[81:82], -v[97:98]
	s_waitcnt vmcnt(0)
	v_add_f64 v[83:84], v[83:84], -v[93:94]
	buffer_store_dword v81, off, s[24:27], 0 ; 4-byte Folded Spill
	s_nop 0
	buffer_store_dword v82, off, s[24:27], 0 offset:4 ; 4-byte Folded Spill
	buffer_store_dword v83, off, s[24:27], 0 offset:8 ; 4-byte Folded Spill
	;; [unrolled: 1-line block ×3, first 2 shown]
	ds_read2_b64 v[93:96], v90 offset0:56 offset1:57
	s_waitcnt lgkmcnt(0)
	v_mul_f64 v[97:98], v[95:96], v[99:100]
	v_fma_f64 v[97:98], v[93:94], v[125:126], -v[97:98]
	v_mul_f64 v[93:94], v[93:94], v[99:100]
	v_add_f64 v[111:112], v[111:112], -v[97:98]
	v_fma_f64 v[93:94], v[95:96], v[125:126], v[93:94]
	v_add_f64 v[113:114], v[113:114], -v[93:94]
	ds_read2_b64 v[93:96], v90 offset0:58 offset1:59
	s_waitcnt lgkmcnt(0)
	v_mul_f64 v[97:98], v[95:96], v[99:100]
	v_fma_f64 v[97:98], v[93:94], v[125:126], -v[97:98]
	v_mul_f64 v[93:94], v[93:94], v[99:100]
	v_add_f64 v[85:86], v[85:86], -v[97:98]
	v_fma_f64 v[93:94], v[95:96], v[125:126], v[93:94]
	v_add_f64 v[87:88], v[87:88], -v[93:94]
	;; [unrolled: 8-line block ×22, first 2 shown]
	ds_read2_b64 v[93:96], v90 offset0:100 offset1:101
	s_waitcnt lgkmcnt(0)
	v_mul_f64 v[97:98], v[95:96], v[99:100]
	v_fma_f64 v[97:98], v[93:94], v[125:126], -v[97:98]
	v_mul_f64 v[93:94], v[93:94], v[99:100]
	v_add_f64 v[121:122], v[121:122], -v[97:98]
	v_fma_f64 v[93:94], v[95:96], v[125:126], v[93:94]
	v_mov_b32_e32 v97, v125
	v_mov_b32_e32 v98, v126
	buffer_store_dword v97, off, s[24:27], 0 offset:272 ; 4-byte Folded Spill
	s_nop 0
	buffer_store_dword v98, off, s[24:27], 0 offset:276 ; 4-byte Folded Spill
	buffer_store_dword v99, off, s[24:27], 0 offset:280 ; 4-byte Folded Spill
	;; [unrolled: 1-line block ×3, first 2 shown]
	v_add_f64 v[123:124], v[123:124], -v[93:94]
.LBB100_230:
	s_or_b64 exec, exec, s[0:1]
	s_waitcnt vmcnt(0)
	s_barrier
	buffer_load_dword v81, off, s[24:27], 0 offset:256 ; 4-byte Folded Reload
	buffer_load_dword v82, off, s[24:27], 0 offset:260 ; 4-byte Folded Reload
	;; [unrolled: 1-line block ×4, first 2 shown]
	v_lshl_add_u32 v93, v92, 4, v90
	s_cmp_lt_i32 s3, 13
	s_waitcnt vmcnt(0)
	ds_write2_b64 v93, v[81:82], v[83:84] offset1:1
	s_waitcnt lgkmcnt(0)
	s_barrier
	ds_read2_b64 v[117:120], v90 offset0:22 offset1:23
	v_mov_b32_e32 v93, 11
	s_cbranch_scc1 .LBB100_233
; %bb.231:
	v_add_u32_e32 v94, 0xc0, v90
	s_mov_b32 s0, 12
	v_mov_b32_e32 v93, 11
.LBB100_232:                            ; =>This Inner Loop Header: Depth=1
	s_waitcnt lgkmcnt(0)
	v_cmp_gt_f64_e32 vcc, 0, v[117:118]
	v_xor_b32_e32 v99, 0x80000000, v118
	ds_read2_b64 v[95:98], v94 offset1:1
	v_xor_b32_e32 v101, 0x80000000, v120
	v_add_u32_e32 v94, 16, v94
	s_waitcnt lgkmcnt(0)
	v_xor_b32_e32 v103, 0x80000000, v98
	v_cndmask_b32_e32 v100, v118, v99, vcc
	v_cmp_gt_f64_e32 vcc, 0, v[119:120]
	v_mov_b32_e32 v99, v117
	v_cndmask_b32_e32 v102, v120, v101, vcc
	v_cmp_gt_f64_e32 vcc, 0, v[95:96]
	v_mov_b32_e32 v101, v119
	v_add_f64 v[99:100], v[99:100], v[101:102]
	v_xor_b32_e32 v101, 0x80000000, v96
	v_cndmask_b32_e32 v102, v96, v101, vcc
	v_cmp_gt_f64_e32 vcc, 0, v[97:98]
	v_mov_b32_e32 v101, v95
	v_cndmask_b32_e32 v104, v98, v103, vcc
	v_mov_b32_e32 v103, v97
	v_add_f64 v[101:102], v[101:102], v[103:104]
	v_cmp_lt_f64_e32 vcc, v[99:100], v[101:102]
	v_cndmask_b32_e32 v117, v117, v95, vcc
	v_mov_b32_e32 v95, s0
	s_add_i32 s0, s0, 1
	v_cndmask_b32_e32 v118, v118, v96, vcc
	v_cndmask_b32_e32 v120, v120, v98, vcc
	;; [unrolled: 1-line block ×4, first 2 shown]
	s_cmp_lg_u32 s3, s0
	s_cbranch_scc1 .LBB100_232
.LBB100_233:
	s_waitcnt lgkmcnt(0)
	v_cmp_eq_f64_e32 vcc, 0, v[117:118]
	v_cmp_eq_f64_e64 s[0:1], 0, v[119:120]
	s_and_b64 s[0:1], vcc, s[0:1]
	s_and_saveexec_b64 s[18:19], s[0:1]
	s_xor_b64 s[0:1], exec, s[18:19]
; %bb.234:
	v_cmp_ne_u32_e32 vcc, 0, v91
	v_cndmask_b32_e32 v91, 12, v91, vcc
; %bb.235:
	s_andn2_saveexec_b64 s[0:1], s[0:1]
	s_cbranch_execz .LBB100_241
; %bb.236:
	v_cmp_ngt_f64_e64 s[18:19], |v[117:118]|, |v[119:120]|
	s_and_saveexec_b64 s[20:21], s[18:19]
	s_xor_b64 s[18:19], exec, s[20:21]
	s_cbranch_execz .LBB100_238
; %bb.237:
	v_div_scale_f64 v[94:95], s[20:21], v[119:120], v[119:120], v[117:118]
	v_rcp_f64_e32 v[96:97], v[94:95]
	v_fma_f64 v[98:99], -v[94:95], v[96:97], 1.0
	v_fma_f64 v[96:97], v[96:97], v[98:99], v[96:97]
	v_div_scale_f64 v[98:99], vcc, v[117:118], v[119:120], v[117:118]
	v_fma_f64 v[100:101], -v[94:95], v[96:97], 1.0
	v_fma_f64 v[96:97], v[96:97], v[100:101], v[96:97]
	v_mul_f64 v[100:101], v[98:99], v[96:97]
	v_fma_f64 v[94:95], -v[94:95], v[100:101], v[98:99]
	v_div_fmas_f64 v[94:95], v[94:95], v[96:97], v[100:101]
	v_div_fixup_f64 v[94:95], v[94:95], v[119:120], v[117:118]
	v_fma_f64 v[96:97], v[117:118], v[94:95], v[119:120]
	v_div_scale_f64 v[98:99], s[20:21], v[96:97], v[96:97], 1.0
	v_div_scale_f64 v[104:105], vcc, 1.0, v[96:97], 1.0
	v_rcp_f64_e32 v[100:101], v[98:99]
	v_fma_f64 v[102:103], -v[98:99], v[100:101], 1.0
	v_fma_f64 v[100:101], v[100:101], v[102:103], v[100:101]
	v_fma_f64 v[102:103], -v[98:99], v[100:101], 1.0
	v_fma_f64 v[100:101], v[100:101], v[102:103], v[100:101]
	v_mul_f64 v[102:103], v[104:105], v[100:101]
	v_fma_f64 v[98:99], -v[98:99], v[102:103], v[104:105]
	v_div_fmas_f64 v[98:99], v[98:99], v[100:101], v[102:103]
	v_div_fixup_f64 v[119:120], v[98:99], v[96:97], 1.0
	v_mul_f64 v[117:118], v[94:95], v[119:120]
	v_xor_b32_e32 v120, 0x80000000, v120
.LBB100_238:
	s_andn2_saveexec_b64 s[18:19], s[18:19]
	s_cbranch_execz .LBB100_240
; %bb.239:
	v_div_scale_f64 v[94:95], s[20:21], v[117:118], v[117:118], v[119:120]
	v_rcp_f64_e32 v[96:97], v[94:95]
	v_fma_f64 v[98:99], -v[94:95], v[96:97], 1.0
	v_fma_f64 v[96:97], v[96:97], v[98:99], v[96:97]
	v_div_scale_f64 v[98:99], vcc, v[119:120], v[117:118], v[119:120]
	v_fma_f64 v[100:101], -v[94:95], v[96:97], 1.0
	v_fma_f64 v[96:97], v[96:97], v[100:101], v[96:97]
	v_mul_f64 v[100:101], v[98:99], v[96:97]
	v_fma_f64 v[94:95], -v[94:95], v[100:101], v[98:99]
	v_div_fmas_f64 v[94:95], v[94:95], v[96:97], v[100:101]
	v_div_fixup_f64 v[94:95], v[94:95], v[117:118], v[119:120]
	v_fma_f64 v[96:97], v[119:120], v[94:95], v[117:118]
	v_div_scale_f64 v[98:99], s[20:21], v[96:97], v[96:97], 1.0
	v_div_scale_f64 v[104:105], vcc, 1.0, v[96:97], 1.0
	v_rcp_f64_e32 v[100:101], v[98:99]
	v_fma_f64 v[102:103], -v[98:99], v[100:101], 1.0
	v_fma_f64 v[100:101], v[100:101], v[102:103], v[100:101]
	v_fma_f64 v[102:103], -v[98:99], v[100:101], 1.0
	v_fma_f64 v[100:101], v[100:101], v[102:103], v[100:101]
	v_mul_f64 v[102:103], v[104:105], v[100:101]
	v_fma_f64 v[98:99], -v[98:99], v[102:103], v[104:105]
	v_div_fmas_f64 v[98:99], v[98:99], v[100:101], v[102:103]
	v_div_fixup_f64 v[117:118], v[98:99], v[96:97], 1.0
	v_mul_f64 v[119:120], v[94:95], -v[117:118]
.LBB100_240:
	s_or_b64 exec, exec, s[18:19]
.LBB100_241:
	s_or_b64 exec, exec, s[0:1]
	v_cmp_ne_u32_e32 vcc, v92, v93
	s_and_saveexec_b64 s[0:1], vcc
	s_xor_b64 s[0:1], exec, s[0:1]
	s_cbranch_execz .LBB100_247
; %bb.242:
	v_cmp_eq_u32_e32 vcc, 11, v92
	s_and_saveexec_b64 s[18:19], vcc
	s_cbranch_execz .LBB100_246
; %bb.243:
	v_cmp_ne_u32_e32 vcc, 11, v93
	s_xor_b64 s[20:21], s[6:7], -1
	s_and_b64 s[22:23], s[20:21], vcc
	s_and_saveexec_b64 s[20:21], s[22:23]
	s_cbranch_execz .LBB100_245
; %bb.244:
	buffer_load_dword v81, off, s[24:27], 0 offset:400 ; 4-byte Folded Reload
	buffer_load_dword v82, off, s[24:27], 0 offset:404 ; 4-byte Folded Reload
	v_ashrrev_i32_e32 v94, 31, v93
	v_lshlrev_b64 v[94:95], 2, v[93:94]
	s_waitcnt vmcnt(1)
	v_add_co_u32_e32 v94, vcc, v81, v94
	s_waitcnt vmcnt(0)
	v_addc_co_u32_e32 v95, vcc, v82, v95, vcc
	global_load_dword v0, v[94:95], off
	global_load_dword v92, v[81:82], off offset:44
	s_waitcnt vmcnt(1)
	global_store_dword v[81:82], v0, off offset:44
	s_waitcnt vmcnt(1)
	global_store_dword v[94:95], v92, off
.LBB100_245:
	s_or_b64 exec, exec, s[20:21]
	v_mov_b32_e32 v92, v93
	v_mov_b32_e32 v0, v93
.LBB100_246:
	s_or_b64 exec, exec, s[18:19]
.LBB100_247:
	s_andn2_saveexec_b64 s[0:1], s[0:1]
	s_cbranch_execz .LBB100_249
; %bb.248:
	buffer_load_dword v81, off, s[24:27], 0 offset:240 ; 4-byte Folded Reload
	buffer_load_dword v82, off, s[24:27], 0 offset:244 ; 4-byte Folded Reload
	;; [unrolled: 1-line block ×4, first 2 shown]
	v_mov_b32_e32 v92, 11
	s_waitcnt vmcnt(0)
	ds_write2_b64 v90, v[81:82], v[83:84] offset0:24 offset1:25
	buffer_load_dword v81, off, s[24:27], 0 offset:224 ; 4-byte Folded Reload
	buffer_load_dword v82, off, s[24:27], 0 offset:228 ; 4-byte Folded Reload
	buffer_load_dword v83, off, s[24:27], 0 offset:232 ; 4-byte Folded Reload
	buffer_load_dword v84, off, s[24:27], 0 offset:236 ; 4-byte Folded Reload
	s_waitcnt vmcnt(0)
	ds_write2_b64 v90, v[81:82], v[83:84] offset0:26 offset1:27
	buffer_load_dword v81, off, s[24:27], 0 offset:208 ; 4-byte Folded Reload
	buffer_load_dword v82, off, s[24:27], 0 offset:212 ; 4-byte Folded Reload
	buffer_load_dword v83, off, s[24:27], 0 offset:216 ; 4-byte Folded Reload
	buffer_load_dword v84, off, s[24:27], 0 offset:220 ; 4-byte Folded Reload
	;; [unrolled: 6-line block ×14, first 2 shown]
	s_waitcnt vmcnt(0)
	ds_write2_b64 v90, v[81:82], v[83:84] offset0:52 offset1:53
	buffer_load_dword v81, off, s[24:27], 0 ; 4-byte Folded Reload
	buffer_load_dword v82, off, s[24:27], 0 offset:4 ; 4-byte Folded Reload
	buffer_load_dword v83, off, s[24:27], 0 offset:8 ; 4-byte Folded Reload
	;; [unrolled: 1-line block ×3, first 2 shown]
	s_waitcnt vmcnt(0)
	ds_write2_b64 v90, v[81:82], v[83:84] offset0:54 offset1:55
	ds_write2_b64 v90, v[111:112], v[113:114] offset0:56 offset1:57
	;; [unrolled: 1-line block ×24, first 2 shown]
.LBB100_249:
	s_or_b64 exec, exec, s[0:1]
	v_cmp_lt_i32_e32 vcc, 11, v92
	s_waitcnt vmcnt(0) lgkmcnt(0)
	s_barrier
	s_and_saveexec_b64 s[0:1], vcc
	s_cbranch_execz .LBB100_251
; %bb.250:
	buffer_load_dword v97, off, s[24:27], 0 offset:256 ; 4-byte Folded Reload
	buffer_load_dword v98, off, s[24:27], 0 offset:260 ; 4-byte Folded Reload
	buffer_load_dword v99, off, s[24:27], 0 offset:264 ; 4-byte Folded Reload
	buffer_load_dword v100, off, s[24:27], 0 offset:268 ; 4-byte Folded Reload
	s_waitcnt vmcnt(0)
	v_mul_f64 v[93:94], v[119:120], v[99:100]
	v_fma_f64 v[125:126], v[117:118], v[97:98], -v[93:94]
	v_mul_f64 v[93:94], v[117:118], v[99:100]
	v_fma_f64 v[99:100], v[119:120], v[97:98], v[93:94]
	ds_read2_b64 v[93:96], v90 offset0:24 offset1:25
	buffer_load_dword v81, off, s[24:27], 0 offset:240 ; 4-byte Folded Reload
	buffer_load_dword v82, off, s[24:27], 0 offset:244 ; 4-byte Folded Reload
	buffer_load_dword v83, off, s[24:27], 0 offset:248 ; 4-byte Folded Reload
	buffer_load_dword v84, off, s[24:27], 0 offset:252 ; 4-byte Folded Reload
	s_waitcnt lgkmcnt(0)
	v_mul_f64 v[97:98], v[95:96], v[99:100]
	v_fma_f64 v[97:98], v[93:94], v[125:126], -v[97:98]
	v_mul_f64 v[93:94], v[93:94], v[99:100]
	v_fma_f64 v[93:94], v[95:96], v[125:126], v[93:94]
	s_waitcnt vmcnt(2)
	v_add_f64 v[81:82], v[81:82], -v[97:98]
	s_waitcnt vmcnt(0)
	v_add_f64 v[83:84], v[83:84], -v[93:94]
	buffer_store_dword v81, off, s[24:27], 0 offset:240 ; 4-byte Folded Spill
	s_nop 0
	buffer_store_dword v82, off, s[24:27], 0 offset:244 ; 4-byte Folded Spill
	buffer_store_dword v83, off, s[24:27], 0 offset:248 ; 4-byte Folded Spill
	buffer_store_dword v84, off, s[24:27], 0 offset:252 ; 4-byte Folded Spill
	ds_read2_b64 v[93:96], v90 offset0:26 offset1:27
	buffer_load_dword v81, off, s[24:27], 0 offset:224 ; 4-byte Folded Reload
	buffer_load_dword v82, off, s[24:27], 0 offset:228 ; 4-byte Folded Reload
	buffer_load_dword v83, off, s[24:27], 0 offset:232 ; 4-byte Folded Reload
	buffer_load_dword v84, off, s[24:27], 0 offset:236 ; 4-byte Folded Reload
	s_waitcnt lgkmcnt(0)
	v_mul_f64 v[97:98], v[95:96], v[99:100]
	v_fma_f64 v[97:98], v[93:94], v[125:126], -v[97:98]
	v_mul_f64 v[93:94], v[93:94], v[99:100]
	v_fma_f64 v[93:94], v[95:96], v[125:126], v[93:94]
	s_waitcnt vmcnt(2)
	v_add_f64 v[81:82], v[81:82], -v[97:98]
	s_waitcnt vmcnt(0)
	v_add_f64 v[83:84], v[83:84], -v[93:94]
	buffer_store_dword v81, off, s[24:27], 0 offset:224 ; 4-byte Folded Spill
	s_nop 0
	buffer_store_dword v82, off, s[24:27], 0 offset:228 ; 4-byte Folded Spill
	buffer_store_dword v83, off, s[24:27], 0 offset:232 ; 4-byte Folded Spill
	buffer_store_dword v84, off, s[24:27], 0 offset:236 ; 4-byte Folded Spill
	;; [unrolled: 19-line block ×15, first 2 shown]
	ds_read2_b64 v[93:96], v90 offset0:54 offset1:55
	buffer_load_dword v81, off, s[24:27], 0 ; 4-byte Folded Reload
	buffer_load_dword v82, off, s[24:27], 0 offset:4 ; 4-byte Folded Reload
	buffer_load_dword v83, off, s[24:27], 0 offset:8 ; 4-byte Folded Reload
	buffer_load_dword v84, off, s[24:27], 0 offset:12 ; 4-byte Folded Reload
	s_waitcnt lgkmcnt(0)
	v_mul_f64 v[97:98], v[95:96], v[99:100]
	v_fma_f64 v[97:98], v[93:94], v[125:126], -v[97:98]
	v_mul_f64 v[93:94], v[93:94], v[99:100]
	v_fma_f64 v[93:94], v[95:96], v[125:126], v[93:94]
	s_waitcnt vmcnt(2)
	v_add_f64 v[81:82], v[81:82], -v[97:98]
	s_waitcnt vmcnt(0)
	v_add_f64 v[83:84], v[83:84], -v[93:94]
	buffer_store_dword v81, off, s[24:27], 0 ; 4-byte Folded Spill
	s_nop 0
	buffer_store_dword v82, off, s[24:27], 0 offset:4 ; 4-byte Folded Spill
	buffer_store_dword v83, off, s[24:27], 0 offset:8 ; 4-byte Folded Spill
	;; [unrolled: 1-line block ×3, first 2 shown]
	ds_read2_b64 v[93:96], v90 offset0:56 offset1:57
	s_waitcnt lgkmcnt(0)
	v_mul_f64 v[97:98], v[95:96], v[99:100]
	v_fma_f64 v[97:98], v[93:94], v[125:126], -v[97:98]
	v_mul_f64 v[93:94], v[93:94], v[99:100]
	v_add_f64 v[111:112], v[111:112], -v[97:98]
	v_fma_f64 v[93:94], v[95:96], v[125:126], v[93:94]
	v_add_f64 v[113:114], v[113:114], -v[93:94]
	ds_read2_b64 v[93:96], v90 offset0:58 offset1:59
	s_waitcnt lgkmcnt(0)
	v_mul_f64 v[97:98], v[95:96], v[99:100]
	v_fma_f64 v[97:98], v[93:94], v[125:126], -v[97:98]
	v_mul_f64 v[93:94], v[93:94], v[99:100]
	v_add_f64 v[85:86], v[85:86], -v[97:98]
	v_fma_f64 v[93:94], v[95:96], v[125:126], v[93:94]
	v_add_f64 v[87:88], v[87:88], -v[93:94]
	ds_read2_b64 v[93:96], v90 offset0:60 offset1:61
	s_waitcnt lgkmcnt(0)
	v_mul_f64 v[97:98], v[95:96], v[99:100]
	v_fma_f64 v[97:98], v[93:94], v[125:126], -v[97:98]
	v_mul_f64 v[93:94], v[93:94], v[99:100]
	v_add_f64 v[77:78], v[77:78], -v[97:98]
	v_fma_f64 v[93:94], v[95:96], v[125:126], v[93:94]
	v_add_f64 v[79:80], v[79:80], -v[93:94]
	ds_read2_b64 v[93:96], v90 offset0:62 offset1:63
	s_waitcnt lgkmcnt(0)
	v_mul_f64 v[97:98], v[95:96], v[99:100]
	v_fma_f64 v[97:98], v[93:94], v[125:126], -v[97:98]
	v_mul_f64 v[93:94], v[93:94], v[99:100]
	v_add_f64 v[73:74], v[73:74], -v[97:98]
	v_fma_f64 v[93:94], v[95:96], v[125:126], v[93:94]
	v_add_f64 v[75:76], v[75:76], -v[93:94]
	ds_read2_b64 v[93:96], v90 offset0:64 offset1:65
	s_waitcnt lgkmcnt(0)
	v_mul_f64 v[97:98], v[95:96], v[99:100]
	v_fma_f64 v[97:98], v[93:94], v[125:126], -v[97:98]
	v_mul_f64 v[93:94], v[93:94], v[99:100]
	v_add_f64 v[69:70], v[69:70], -v[97:98]
	v_fma_f64 v[93:94], v[95:96], v[125:126], v[93:94]
	v_add_f64 v[71:72], v[71:72], -v[93:94]
	ds_read2_b64 v[93:96], v90 offset0:66 offset1:67
	s_waitcnt lgkmcnt(0)
	v_mul_f64 v[97:98], v[95:96], v[99:100]
	v_fma_f64 v[97:98], v[93:94], v[125:126], -v[97:98]
	v_mul_f64 v[93:94], v[93:94], v[99:100]
	v_add_f64 v[65:66], v[65:66], -v[97:98]
	v_fma_f64 v[93:94], v[95:96], v[125:126], v[93:94]
	v_add_f64 v[67:68], v[67:68], -v[93:94]
	ds_read2_b64 v[93:96], v90 offset0:68 offset1:69
	s_waitcnt lgkmcnt(0)
	v_mul_f64 v[97:98], v[95:96], v[99:100]
	v_fma_f64 v[97:98], v[93:94], v[125:126], -v[97:98]
	v_mul_f64 v[93:94], v[93:94], v[99:100]
	v_add_f64 v[61:62], v[61:62], -v[97:98]
	v_fma_f64 v[93:94], v[95:96], v[125:126], v[93:94]
	v_add_f64 v[63:64], v[63:64], -v[93:94]
	ds_read2_b64 v[93:96], v90 offset0:70 offset1:71
	s_waitcnt lgkmcnt(0)
	v_mul_f64 v[97:98], v[95:96], v[99:100]
	v_fma_f64 v[97:98], v[93:94], v[125:126], -v[97:98]
	v_mul_f64 v[93:94], v[93:94], v[99:100]
	v_add_f64 v[57:58], v[57:58], -v[97:98]
	v_fma_f64 v[93:94], v[95:96], v[125:126], v[93:94]
	v_add_f64 v[59:60], v[59:60], -v[93:94]
	ds_read2_b64 v[93:96], v90 offset0:72 offset1:73
	s_waitcnt lgkmcnt(0)
	v_mul_f64 v[97:98], v[95:96], v[99:100]
	v_fma_f64 v[97:98], v[93:94], v[125:126], -v[97:98]
	v_mul_f64 v[93:94], v[93:94], v[99:100]
	v_add_f64 v[53:54], v[53:54], -v[97:98]
	v_fma_f64 v[93:94], v[95:96], v[125:126], v[93:94]
	v_add_f64 v[55:56], v[55:56], -v[93:94]
	ds_read2_b64 v[93:96], v90 offset0:74 offset1:75
	s_waitcnt lgkmcnt(0)
	v_mul_f64 v[97:98], v[95:96], v[99:100]
	v_fma_f64 v[97:98], v[93:94], v[125:126], -v[97:98]
	v_mul_f64 v[93:94], v[93:94], v[99:100]
	v_add_f64 v[49:50], v[49:50], -v[97:98]
	v_fma_f64 v[93:94], v[95:96], v[125:126], v[93:94]
	v_add_f64 v[51:52], v[51:52], -v[93:94]
	ds_read2_b64 v[93:96], v90 offset0:76 offset1:77
	s_waitcnt lgkmcnt(0)
	v_mul_f64 v[97:98], v[95:96], v[99:100]
	v_fma_f64 v[97:98], v[93:94], v[125:126], -v[97:98]
	v_mul_f64 v[93:94], v[93:94], v[99:100]
	v_add_f64 v[45:46], v[45:46], -v[97:98]
	v_fma_f64 v[93:94], v[95:96], v[125:126], v[93:94]
	v_add_f64 v[47:48], v[47:48], -v[93:94]
	ds_read2_b64 v[93:96], v90 offset0:78 offset1:79
	s_waitcnt lgkmcnt(0)
	v_mul_f64 v[97:98], v[95:96], v[99:100]
	v_fma_f64 v[97:98], v[93:94], v[125:126], -v[97:98]
	v_mul_f64 v[93:94], v[93:94], v[99:100]
	v_add_f64 v[41:42], v[41:42], -v[97:98]
	v_fma_f64 v[93:94], v[95:96], v[125:126], v[93:94]
	v_add_f64 v[43:44], v[43:44], -v[93:94]
	ds_read2_b64 v[93:96], v90 offset0:80 offset1:81
	s_waitcnt lgkmcnt(0)
	v_mul_f64 v[97:98], v[95:96], v[99:100]
	v_fma_f64 v[97:98], v[93:94], v[125:126], -v[97:98]
	v_mul_f64 v[93:94], v[93:94], v[99:100]
	v_add_f64 v[37:38], v[37:38], -v[97:98]
	v_fma_f64 v[93:94], v[95:96], v[125:126], v[93:94]
	v_add_f64 v[39:40], v[39:40], -v[93:94]
	ds_read2_b64 v[93:96], v90 offset0:82 offset1:83
	s_waitcnt lgkmcnt(0)
	v_mul_f64 v[97:98], v[95:96], v[99:100]
	v_fma_f64 v[97:98], v[93:94], v[125:126], -v[97:98]
	v_mul_f64 v[93:94], v[93:94], v[99:100]
	v_add_f64 v[33:34], v[33:34], -v[97:98]
	v_fma_f64 v[93:94], v[95:96], v[125:126], v[93:94]
	v_add_f64 v[35:36], v[35:36], -v[93:94]
	ds_read2_b64 v[93:96], v90 offset0:84 offset1:85
	s_waitcnt lgkmcnt(0)
	v_mul_f64 v[97:98], v[95:96], v[99:100]
	v_fma_f64 v[97:98], v[93:94], v[125:126], -v[97:98]
	v_mul_f64 v[93:94], v[93:94], v[99:100]
	v_add_f64 v[29:30], v[29:30], -v[97:98]
	v_fma_f64 v[93:94], v[95:96], v[125:126], v[93:94]
	v_add_f64 v[31:32], v[31:32], -v[93:94]
	ds_read2_b64 v[93:96], v90 offset0:86 offset1:87
	s_waitcnt lgkmcnt(0)
	v_mul_f64 v[97:98], v[95:96], v[99:100]
	v_fma_f64 v[97:98], v[93:94], v[125:126], -v[97:98]
	v_mul_f64 v[93:94], v[93:94], v[99:100]
	v_add_f64 v[25:26], v[25:26], -v[97:98]
	v_fma_f64 v[93:94], v[95:96], v[125:126], v[93:94]
	v_add_f64 v[27:28], v[27:28], -v[93:94]
	ds_read2_b64 v[93:96], v90 offset0:88 offset1:89
	s_waitcnt lgkmcnt(0)
	v_mul_f64 v[97:98], v[95:96], v[99:100]
	v_fma_f64 v[97:98], v[93:94], v[125:126], -v[97:98]
	v_mul_f64 v[93:94], v[93:94], v[99:100]
	v_add_f64 v[21:22], v[21:22], -v[97:98]
	v_fma_f64 v[93:94], v[95:96], v[125:126], v[93:94]
	v_add_f64 v[23:24], v[23:24], -v[93:94]
	ds_read2_b64 v[93:96], v90 offset0:90 offset1:91
	s_waitcnt lgkmcnt(0)
	v_mul_f64 v[97:98], v[95:96], v[99:100]
	v_fma_f64 v[97:98], v[93:94], v[125:126], -v[97:98]
	v_mul_f64 v[93:94], v[93:94], v[99:100]
	v_add_f64 v[17:18], v[17:18], -v[97:98]
	v_fma_f64 v[93:94], v[95:96], v[125:126], v[93:94]
	v_add_f64 v[19:20], v[19:20], -v[93:94]
	ds_read2_b64 v[93:96], v90 offset0:92 offset1:93
	s_waitcnt lgkmcnt(0)
	v_mul_f64 v[97:98], v[95:96], v[99:100]
	v_fma_f64 v[97:98], v[93:94], v[125:126], -v[97:98]
	v_mul_f64 v[93:94], v[93:94], v[99:100]
	v_add_f64 v[13:14], v[13:14], -v[97:98]
	v_fma_f64 v[93:94], v[95:96], v[125:126], v[93:94]
	v_add_f64 v[15:16], v[15:16], -v[93:94]
	ds_read2_b64 v[93:96], v90 offset0:94 offset1:95
	s_waitcnt lgkmcnt(0)
	v_mul_f64 v[97:98], v[95:96], v[99:100]
	v_fma_f64 v[97:98], v[93:94], v[125:126], -v[97:98]
	v_mul_f64 v[93:94], v[93:94], v[99:100]
	v_add_f64 v[9:10], v[9:10], -v[97:98]
	v_fma_f64 v[93:94], v[95:96], v[125:126], v[93:94]
	v_add_f64 v[11:12], v[11:12], -v[93:94]
	ds_read2_b64 v[93:96], v90 offset0:96 offset1:97
	s_waitcnt lgkmcnt(0)
	v_mul_f64 v[97:98], v[95:96], v[99:100]
	v_fma_f64 v[97:98], v[93:94], v[125:126], -v[97:98]
	v_mul_f64 v[93:94], v[93:94], v[99:100]
	v_add_f64 v[5:6], v[5:6], -v[97:98]
	v_fma_f64 v[93:94], v[95:96], v[125:126], v[93:94]
	v_add_f64 v[7:8], v[7:8], -v[93:94]
	ds_read2_b64 v[93:96], v90 offset0:98 offset1:99
	s_waitcnt lgkmcnt(0)
	v_mul_f64 v[97:98], v[95:96], v[99:100]
	v_fma_f64 v[97:98], v[93:94], v[125:126], -v[97:98]
	v_mul_f64 v[93:94], v[93:94], v[99:100]
	v_add_f64 v[1:2], v[1:2], -v[97:98]
	v_fma_f64 v[93:94], v[95:96], v[125:126], v[93:94]
	v_add_f64 v[3:4], v[3:4], -v[93:94]
	ds_read2_b64 v[93:96], v90 offset0:100 offset1:101
	s_waitcnt lgkmcnt(0)
	v_mul_f64 v[97:98], v[95:96], v[99:100]
	v_fma_f64 v[97:98], v[93:94], v[125:126], -v[97:98]
	v_mul_f64 v[93:94], v[93:94], v[99:100]
	v_add_f64 v[121:122], v[121:122], -v[97:98]
	v_fma_f64 v[93:94], v[95:96], v[125:126], v[93:94]
	v_mov_b32_e32 v97, v125
	v_mov_b32_e32 v98, v126
	buffer_store_dword v97, off, s[24:27], 0 offset:256 ; 4-byte Folded Spill
	s_nop 0
	buffer_store_dword v98, off, s[24:27], 0 offset:260 ; 4-byte Folded Spill
	buffer_store_dword v99, off, s[24:27], 0 offset:264 ; 4-byte Folded Spill
	;; [unrolled: 1-line block ×3, first 2 shown]
	v_add_f64 v[123:124], v[123:124], -v[93:94]
.LBB100_251:
	s_or_b64 exec, exec, s[0:1]
	s_waitcnt vmcnt(0)
	s_barrier
	buffer_load_dword v81, off, s[24:27], 0 offset:240 ; 4-byte Folded Reload
	buffer_load_dword v82, off, s[24:27], 0 offset:244 ; 4-byte Folded Reload
	;; [unrolled: 1-line block ×4, first 2 shown]
	v_lshl_add_u32 v93, v92, 4, v90
	s_cmp_lt_i32 s3, 14
	s_waitcnt vmcnt(0)
	ds_write2_b64 v93, v[81:82], v[83:84] offset1:1
	s_waitcnt lgkmcnt(0)
	s_barrier
	ds_read2_b64 v[117:120], v90 offset0:24 offset1:25
	v_mov_b32_e32 v93, 12
	s_cbranch_scc1 .LBB100_254
; %bb.252:
	v_add_u32_e32 v94, 0xd0, v90
	s_mov_b32 s0, 13
	v_mov_b32_e32 v93, 12
.LBB100_253:                            ; =>This Inner Loop Header: Depth=1
	s_waitcnt lgkmcnt(0)
	v_cmp_gt_f64_e32 vcc, 0, v[117:118]
	v_xor_b32_e32 v99, 0x80000000, v118
	ds_read2_b64 v[95:98], v94 offset1:1
	v_xor_b32_e32 v101, 0x80000000, v120
	v_add_u32_e32 v94, 16, v94
	s_waitcnt lgkmcnt(0)
	v_xor_b32_e32 v103, 0x80000000, v98
	v_cndmask_b32_e32 v100, v118, v99, vcc
	v_cmp_gt_f64_e32 vcc, 0, v[119:120]
	v_mov_b32_e32 v99, v117
	v_cndmask_b32_e32 v102, v120, v101, vcc
	v_cmp_gt_f64_e32 vcc, 0, v[95:96]
	v_mov_b32_e32 v101, v119
	v_add_f64 v[99:100], v[99:100], v[101:102]
	v_xor_b32_e32 v101, 0x80000000, v96
	v_cndmask_b32_e32 v102, v96, v101, vcc
	v_cmp_gt_f64_e32 vcc, 0, v[97:98]
	v_mov_b32_e32 v101, v95
	v_cndmask_b32_e32 v104, v98, v103, vcc
	v_mov_b32_e32 v103, v97
	v_add_f64 v[101:102], v[101:102], v[103:104]
	v_cmp_lt_f64_e32 vcc, v[99:100], v[101:102]
	v_cndmask_b32_e32 v117, v117, v95, vcc
	v_mov_b32_e32 v95, s0
	s_add_i32 s0, s0, 1
	v_cndmask_b32_e32 v118, v118, v96, vcc
	v_cndmask_b32_e32 v120, v120, v98, vcc
	;; [unrolled: 1-line block ×4, first 2 shown]
	s_cmp_lg_u32 s3, s0
	s_cbranch_scc1 .LBB100_253
.LBB100_254:
	s_waitcnt lgkmcnt(0)
	v_cmp_eq_f64_e32 vcc, 0, v[117:118]
	v_cmp_eq_f64_e64 s[0:1], 0, v[119:120]
	s_and_b64 s[0:1], vcc, s[0:1]
	s_and_saveexec_b64 s[18:19], s[0:1]
	s_xor_b64 s[0:1], exec, s[18:19]
; %bb.255:
	v_cmp_ne_u32_e32 vcc, 0, v91
	v_cndmask_b32_e32 v91, 13, v91, vcc
; %bb.256:
	s_andn2_saveexec_b64 s[0:1], s[0:1]
	s_cbranch_execz .LBB100_262
; %bb.257:
	v_cmp_ngt_f64_e64 s[18:19], |v[117:118]|, |v[119:120]|
	s_and_saveexec_b64 s[20:21], s[18:19]
	s_xor_b64 s[18:19], exec, s[20:21]
	s_cbranch_execz .LBB100_259
; %bb.258:
	v_div_scale_f64 v[94:95], s[20:21], v[119:120], v[119:120], v[117:118]
	v_rcp_f64_e32 v[96:97], v[94:95]
	v_fma_f64 v[98:99], -v[94:95], v[96:97], 1.0
	v_fma_f64 v[96:97], v[96:97], v[98:99], v[96:97]
	v_div_scale_f64 v[98:99], vcc, v[117:118], v[119:120], v[117:118]
	v_fma_f64 v[100:101], -v[94:95], v[96:97], 1.0
	v_fma_f64 v[96:97], v[96:97], v[100:101], v[96:97]
	v_mul_f64 v[100:101], v[98:99], v[96:97]
	v_fma_f64 v[94:95], -v[94:95], v[100:101], v[98:99]
	v_div_fmas_f64 v[94:95], v[94:95], v[96:97], v[100:101]
	v_div_fixup_f64 v[94:95], v[94:95], v[119:120], v[117:118]
	v_fma_f64 v[96:97], v[117:118], v[94:95], v[119:120]
	v_div_scale_f64 v[98:99], s[20:21], v[96:97], v[96:97], 1.0
	v_div_scale_f64 v[104:105], vcc, 1.0, v[96:97], 1.0
	v_rcp_f64_e32 v[100:101], v[98:99]
	v_fma_f64 v[102:103], -v[98:99], v[100:101], 1.0
	v_fma_f64 v[100:101], v[100:101], v[102:103], v[100:101]
	v_fma_f64 v[102:103], -v[98:99], v[100:101], 1.0
	v_fma_f64 v[100:101], v[100:101], v[102:103], v[100:101]
	v_mul_f64 v[102:103], v[104:105], v[100:101]
	v_fma_f64 v[98:99], -v[98:99], v[102:103], v[104:105]
	v_div_fmas_f64 v[98:99], v[98:99], v[100:101], v[102:103]
	v_div_fixup_f64 v[119:120], v[98:99], v[96:97], 1.0
	v_mul_f64 v[117:118], v[94:95], v[119:120]
	v_xor_b32_e32 v120, 0x80000000, v120
.LBB100_259:
	s_andn2_saveexec_b64 s[18:19], s[18:19]
	s_cbranch_execz .LBB100_261
; %bb.260:
	v_div_scale_f64 v[94:95], s[20:21], v[117:118], v[117:118], v[119:120]
	v_rcp_f64_e32 v[96:97], v[94:95]
	v_fma_f64 v[98:99], -v[94:95], v[96:97], 1.0
	v_fma_f64 v[96:97], v[96:97], v[98:99], v[96:97]
	v_div_scale_f64 v[98:99], vcc, v[119:120], v[117:118], v[119:120]
	v_fma_f64 v[100:101], -v[94:95], v[96:97], 1.0
	v_fma_f64 v[96:97], v[96:97], v[100:101], v[96:97]
	v_mul_f64 v[100:101], v[98:99], v[96:97]
	v_fma_f64 v[94:95], -v[94:95], v[100:101], v[98:99]
	v_div_fmas_f64 v[94:95], v[94:95], v[96:97], v[100:101]
	v_div_fixup_f64 v[94:95], v[94:95], v[117:118], v[119:120]
	v_fma_f64 v[96:97], v[119:120], v[94:95], v[117:118]
	v_div_scale_f64 v[98:99], s[20:21], v[96:97], v[96:97], 1.0
	v_div_scale_f64 v[104:105], vcc, 1.0, v[96:97], 1.0
	v_rcp_f64_e32 v[100:101], v[98:99]
	v_fma_f64 v[102:103], -v[98:99], v[100:101], 1.0
	v_fma_f64 v[100:101], v[100:101], v[102:103], v[100:101]
	v_fma_f64 v[102:103], -v[98:99], v[100:101], 1.0
	v_fma_f64 v[100:101], v[100:101], v[102:103], v[100:101]
	v_mul_f64 v[102:103], v[104:105], v[100:101]
	v_fma_f64 v[98:99], -v[98:99], v[102:103], v[104:105]
	v_div_fmas_f64 v[98:99], v[98:99], v[100:101], v[102:103]
	v_div_fixup_f64 v[117:118], v[98:99], v[96:97], 1.0
	v_mul_f64 v[119:120], v[94:95], -v[117:118]
.LBB100_261:
	s_or_b64 exec, exec, s[18:19]
.LBB100_262:
	s_or_b64 exec, exec, s[0:1]
	v_cmp_ne_u32_e32 vcc, v92, v93
	s_and_saveexec_b64 s[0:1], vcc
	s_xor_b64 s[0:1], exec, s[0:1]
	s_cbranch_execz .LBB100_268
; %bb.263:
	v_cmp_eq_u32_e32 vcc, 12, v92
	s_and_saveexec_b64 s[18:19], vcc
	s_cbranch_execz .LBB100_267
; %bb.264:
	v_cmp_ne_u32_e32 vcc, 12, v93
	s_xor_b64 s[20:21], s[6:7], -1
	s_and_b64 s[22:23], s[20:21], vcc
	s_and_saveexec_b64 s[20:21], s[22:23]
	s_cbranch_execz .LBB100_266
; %bb.265:
	buffer_load_dword v81, off, s[24:27], 0 offset:400 ; 4-byte Folded Reload
	buffer_load_dword v82, off, s[24:27], 0 offset:404 ; 4-byte Folded Reload
	v_ashrrev_i32_e32 v94, 31, v93
	v_lshlrev_b64 v[94:95], 2, v[93:94]
	s_waitcnt vmcnt(1)
	v_add_co_u32_e32 v94, vcc, v81, v94
	s_waitcnt vmcnt(0)
	v_addc_co_u32_e32 v95, vcc, v82, v95, vcc
	global_load_dword v0, v[94:95], off
	global_load_dword v92, v[81:82], off offset:48
	s_waitcnt vmcnt(1)
	global_store_dword v[81:82], v0, off offset:48
	s_waitcnt vmcnt(1)
	global_store_dword v[94:95], v92, off
.LBB100_266:
	s_or_b64 exec, exec, s[20:21]
	v_mov_b32_e32 v92, v93
	v_mov_b32_e32 v0, v93
.LBB100_267:
	s_or_b64 exec, exec, s[18:19]
.LBB100_268:
	s_andn2_saveexec_b64 s[0:1], s[0:1]
	s_cbranch_execz .LBB100_270
; %bb.269:
	buffer_load_dword v81, off, s[24:27], 0 offset:224 ; 4-byte Folded Reload
	buffer_load_dword v82, off, s[24:27], 0 offset:228 ; 4-byte Folded Reload
	;; [unrolled: 1-line block ×4, first 2 shown]
	v_mov_b32_e32 v92, 12
	s_waitcnt vmcnt(0)
	ds_write2_b64 v90, v[81:82], v[83:84] offset0:26 offset1:27
	buffer_load_dword v81, off, s[24:27], 0 offset:208 ; 4-byte Folded Reload
	buffer_load_dword v82, off, s[24:27], 0 offset:212 ; 4-byte Folded Reload
	buffer_load_dword v83, off, s[24:27], 0 offset:216 ; 4-byte Folded Reload
	buffer_load_dword v84, off, s[24:27], 0 offset:220 ; 4-byte Folded Reload
	s_waitcnt vmcnt(0)
	ds_write2_b64 v90, v[81:82], v[83:84] offset0:28 offset1:29
	buffer_load_dword v81, off, s[24:27], 0 offset:192 ; 4-byte Folded Reload
	buffer_load_dword v82, off, s[24:27], 0 offset:196 ; 4-byte Folded Reload
	buffer_load_dword v83, off, s[24:27], 0 offset:200 ; 4-byte Folded Reload
	buffer_load_dword v84, off, s[24:27], 0 offset:204 ; 4-byte Folded Reload
	s_waitcnt vmcnt(0)
	ds_write2_b64 v90, v[81:82], v[83:84] offset0:30 offset1:31
	buffer_load_dword v81, off, s[24:27], 0 offset:176 ; 4-byte Folded Reload
	buffer_load_dword v82, off, s[24:27], 0 offset:180 ; 4-byte Folded Reload
	buffer_load_dword v83, off, s[24:27], 0 offset:184 ; 4-byte Folded Reload
	buffer_load_dword v84, off, s[24:27], 0 offset:188 ; 4-byte Folded Reload
	s_waitcnt vmcnt(0)
	ds_write2_b64 v90, v[81:82], v[83:84] offset0:32 offset1:33
	buffer_load_dword v81, off, s[24:27], 0 offset:160 ; 4-byte Folded Reload
	buffer_load_dword v82, off, s[24:27], 0 offset:164 ; 4-byte Folded Reload
	buffer_load_dword v83, off, s[24:27], 0 offset:168 ; 4-byte Folded Reload
	buffer_load_dword v84, off, s[24:27], 0 offset:172 ; 4-byte Folded Reload
	s_waitcnt vmcnt(0)
	ds_write2_b64 v90, v[81:82], v[83:84] offset0:34 offset1:35
	buffer_load_dword v81, off, s[24:27], 0 offset:144 ; 4-byte Folded Reload
	buffer_load_dword v82, off, s[24:27], 0 offset:148 ; 4-byte Folded Reload
	buffer_load_dword v83, off, s[24:27], 0 offset:152 ; 4-byte Folded Reload
	buffer_load_dword v84, off, s[24:27], 0 offset:156 ; 4-byte Folded Reload
	s_waitcnt vmcnt(0)
	ds_write2_b64 v90, v[81:82], v[83:84] offset0:36 offset1:37
	buffer_load_dword v81, off, s[24:27], 0 offset:128 ; 4-byte Folded Reload
	buffer_load_dword v82, off, s[24:27], 0 offset:132 ; 4-byte Folded Reload
	buffer_load_dword v83, off, s[24:27], 0 offset:136 ; 4-byte Folded Reload
	buffer_load_dword v84, off, s[24:27], 0 offset:140 ; 4-byte Folded Reload
	s_waitcnt vmcnt(0)
	ds_write2_b64 v90, v[81:82], v[83:84] offset0:38 offset1:39
	buffer_load_dword v81, off, s[24:27], 0 offset:112 ; 4-byte Folded Reload
	buffer_load_dword v82, off, s[24:27], 0 offset:116 ; 4-byte Folded Reload
	buffer_load_dword v83, off, s[24:27], 0 offset:120 ; 4-byte Folded Reload
	buffer_load_dword v84, off, s[24:27], 0 offset:124 ; 4-byte Folded Reload
	s_waitcnt vmcnt(0)
	ds_write2_b64 v90, v[81:82], v[83:84] offset0:40 offset1:41
	buffer_load_dword v81, off, s[24:27], 0 offset:96 ; 4-byte Folded Reload
	buffer_load_dword v82, off, s[24:27], 0 offset:100 ; 4-byte Folded Reload
	buffer_load_dword v83, off, s[24:27], 0 offset:104 ; 4-byte Folded Reload
	buffer_load_dword v84, off, s[24:27], 0 offset:108 ; 4-byte Folded Reload
	s_waitcnt vmcnt(0)
	ds_write2_b64 v90, v[81:82], v[83:84] offset0:42 offset1:43
	buffer_load_dword v81, off, s[24:27], 0 offset:80 ; 4-byte Folded Reload
	buffer_load_dword v82, off, s[24:27], 0 offset:84 ; 4-byte Folded Reload
	buffer_load_dword v83, off, s[24:27], 0 offset:88 ; 4-byte Folded Reload
	buffer_load_dword v84, off, s[24:27], 0 offset:92 ; 4-byte Folded Reload
	s_waitcnt vmcnt(0)
	ds_write2_b64 v90, v[81:82], v[83:84] offset0:44 offset1:45
	buffer_load_dword v81, off, s[24:27], 0 offset:64 ; 4-byte Folded Reload
	buffer_load_dword v82, off, s[24:27], 0 offset:68 ; 4-byte Folded Reload
	buffer_load_dword v83, off, s[24:27], 0 offset:72 ; 4-byte Folded Reload
	buffer_load_dword v84, off, s[24:27], 0 offset:76 ; 4-byte Folded Reload
	s_waitcnt vmcnt(0)
	ds_write2_b64 v90, v[81:82], v[83:84] offset0:46 offset1:47
	buffer_load_dword v81, off, s[24:27], 0 offset:48 ; 4-byte Folded Reload
	buffer_load_dword v82, off, s[24:27], 0 offset:52 ; 4-byte Folded Reload
	buffer_load_dword v83, off, s[24:27], 0 offset:56 ; 4-byte Folded Reload
	buffer_load_dword v84, off, s[24:27], 0 offset:60 ; 4-byte Folded Reload
	s_waitcnt vmcnt(0)
	ds_write2_b64 v90, v[81:82], v[83:84] offset0:48 offset1:49
	buffer_load_dword v81, off, s[24:27], 0 offset:32 ; 4-byte Folded Reload
	buffer_load_dword v82, off, s[24:27], 0 offset:36 ; 4-byte Folded Reload
	buffer_load_dword v83, off, s[24:27], 0 offset:40 ; 4-byte Folded Reload
	buffer_load_dword v84, off, s[24:27], 0 offset:44 ; 4-byte Folded Reload
	s_waitcnt vmcnt(0)
	ds_write2_b64 v90, v[81:82], v[83:84] offset0:50 offset1:51
	buffer_load_dword v81, off, s[24:27], 0 offset:16 ; 4-byte Folded Reload
	buffer_load_dword v82, off, s[24:27], 0 offset:20 ; 4-byte Folded Reload
	buffer_load_dword v83, off, s[24:27], 0 offset:24 ; 4-byte Folded Reload
	buffer_load_dword v84, off, s[24:27], 0 offset:28 ; 4-byte Folded Reload
	s_waitcnt vmcnt(0)
	ds_write2_b64 v90, v[81:82], v[83:84] offset0:52 offset1:53
	buffer_load_dword v81, off, s[24:27], 0 ; 4-byte Folded Reload
	buffer_load_dword v82, off, s[24:27], 0 offset:4 ; 4-byte Folded Reload
	buffer_load_dword v83, off, s[24:27], 0 offset:8 ; 4-byte Folded Reload
	;; [unrolled: 1-line block ×3, first 2 shown]
	s_waitcnt vmcnt(0)
	ds_write2_b64 v90, v[81:82], v[83:84] offset0:54 offset1:55
	ds_write2_b64 v90, v[111:112], v[113:114] offset0:56 offset1:57
	;; [unrolled: 1-line block ×24, first 2 shown]
.LBB100_270:
	s_or_b64 exec, exec, s[0:1]
	v_cmp_lt_i32_e32 vcc, 12, v92
	s_waitcnt vmcnt(0) lgkmcnt(0)
	s_barrier
	s_and_saveexec_b64 s[0:1], vcc
	s_cbranch_execz .LBB100_272
; %bb.271:
	buffer_load_dword v97, off, s[24:27], 0 offset:240 ; 4-byte Folded Reload
	buffer_load_dword v98, off, s[24:27], 0 offset:244 ; 4-byte Folded Reload
	;; [unrolled: 1-line block ×4, first 2 shown]
	s_waitcnt vmcnt(0)
	v_mul_f64 v[93:94], v[119:120], v[99:100]
	v_fma_f64 v[125:126], v[117:118], v[97:98], -v[93:94]
	v_mul_f64 v[93:94], v[117:118], v[99:100]
	v_fma_f64 v[99:100], v[119:120], v[97:98], v[93:94]
	ds_read2_b64 v[93:96], v90 offset0:26 offset1:27
	buffer_load_dword v81, off, s[24:27], 0 offset:224 ; 4-byte Folded Reload
	buffer_load_dword v82, off, s[24:27], 0 offset:228 ; 4-byte Folded Reload
	buffer_load_dword v83, off, s[24:27], 0 offset:232 ; 4-byte Folded Reload
	buffer_load_dword v84, off, s[24:27], 0 offset:236 ; 4-byte Folded Reload
	s_waitcnt lgkmcnt(0)
	v_mul_f64 v[97:98], v[95:96], v[99:100]
	v_fma_f64 v[97:98], v[93:94], v[125:126], -v[97:98]
	v_mul_f64 v[93:94], v[93:94], v[99:100]
	v_fma_f64 v[93:94], v[95:96], v[125:126], v[93:94]
	s_waitcnt vmcnt(2)
	v_add_f64 v[81:82], v[81:82], -v[97:98]
	s_waitcnt vmcnt(0)
	v_add_f64 v[83:84], v[83:84], -v[93:94]
	buffer_store_dword v81, off, s[24:27], 0 offset:224 ; 4-byte Folded Spill
	s_nop 0
	buffer_store_dword v82, off, s[24:27], 0 offset:228 ; 4-byte Folded Spill
	buffer_store_dword v83, off, s[24:27], 0 offset:232 ; 4-byte Folded Spill
	buffer_store_dword v84, off, s[24:27], 0 offset:236 ; 4-byte Folded Spill
	ds_read2_b64 v[93:96], v90 offset0:28 offset1:29
	buffer_load_dword v81, off, s[24:27], 0 offset:208 ; 4-byte Folded Reload
	buffer_load_dword v82, off, s[24:27], 0 offset:212 ; 4-byte Folded Reload
	buffer_load_dword v83, off, s[24:27], 0 offset:216 ; 4-byte Folded Reload
	buffer_load_dword v84, off, s[24:27], 0 offset:220 ; 4-byte Folded Reload
	s_waitcnt lgkmcnt(0)
	v_mul_f64 v[97:98], v[95:96], v[99:100]
	v_fma_f64 v[97:98], v[93:94], v[125:126], -v[97:98]
	v_mul_f64 v[93:94], v[93:94], v[99:100]
	v_fma_f64 v[93:94], v[95:96], v[125:126], v[93:94]
	s_waitcnt vmcnt(2)
	v_add_f64 v[81:82], v[81:82], -v[97:98]
	s_waitcnt vmcnt(0)
	v_add_f64 v[83:84], v[83:84], -v[93:94]
	buffer_store_dword v81, off, s[24:27], 0 offset:208 ; 4-byte Folded Spill
	s_nop 0
	buffer_store_dword v82, off, s[24:27], 0 offset:212 ; 4-byte Folded Spill
	buffer_store_dword v83, off, s[24:27], 0 offset:216 ; 4-byte Folded Spill
	buffer_store_dword v84, off, s[24:27], 0 offset:220 ; 4-byte Folded Spill
	;; [unrolled: 19-line block ×14, first 2 shown]
	ds_read2_b64 v[93:96], v90 offset0:54 offset1:55
	buffer_load_dword v81, off, s[24:27], 0 ; 4-byte Folded Reload
	buffer_load_dword v82, off, s[24:27], 0 offset:4 ; 4-byte Folded Reload
	buffer_load_dword v83, off, s[24:27], 0 offset:8 ; 4-byte Folded Reload
	;; [unrolled: 1-line block ×3, first 2 shown]
	s_waitcnt lgkmcnt(0)
	v_mul_f64 v[97:98], v[95:96], v[99:100]
	v_fma_f64 v[97:98], v[93:94], v[125:126], -v[97:98]
	v_mul_f64 v[93:94], v[93:94], v[99:100]
	v_fma_f64 v[93:94], v[95:96], v[125:126], v[93:94]
	s_waitcnt vmcnt(2)
	v_add_f64 v[81:82], v[81:82], -v[97:98]
	s_waitcnt vmcnt(0)
	v_add_f64 v[83:84], v[83:84], -v[93:94]
	buffer_store_dword v81, off, s[24:27], 0 ; 4-byte Folded Spill
	s_nop 0
	buffer_store_dword v82, off, s[24:27], 0 offset:4 ; 4-byte Folded Spill
	buffer_store_dword v83, off, s[24:27], 0 offset:8 ; 4-byte Folded Spill
	;; [unrolled: 1-line block ×3, first 2 shown]
	ds_read2_b64 v[93:96], v90 offset0:56 offset1:57
	s_waitcnt lgkmcnt(0)
	v_mul_f64 v[97:98], v[95:96], v[99:100]
	v_fma_f64 v[97:98], v[93:94], v[125:126], -v[97:98]
	v_mul_f64 v[93:94], v[93:94], v[99:100]
	v_add_f64 v[111:112], v[111:112], -v[97:98]
	v_fma_f64 v[93:94], v[95:96], v[125:126], v[93:94]
	v_add_f64 v[113:114], v[113:114], -v[93:94]
	ds_read2_b64 v[93:96], v90 offset0:58 offset1:59
	s_waitcnt lgkmcnt(0)
	v_mul_f64 v[97:98], v[95:96], v[99:100]
	v_fma_f64 v[97:98], v[93:94], v[125:126], -v[97:98]
	v_mul_f64 v[93:94], v[93:94], v[99:100]
	v_add_f64 v[85:86], v[85:86], -v[97:98]
	v_fma_f64 v[93:94], v[95:96], v[125:126], v[93:94]
	v_add_f64 v[87:88], v[87:88], -v[93:94]
	;; [unrolled: 8-line block ×22, first 2 shown]
	ds_read2_b64 v[93:96], v90 offset0:100 offset1:101
	s_waitcnt lgkmcnt(0)
	v_mul_f64 v[97:98], v[95:96], v[99:100]
	v_fma_f64 v[97:98], v[93:94], v[125:126], -v[97:98]
	v_mul_f64 v[93:94], v[93:94], v[99:100]
	v_add_f64 v[121:122], v[121:122], -v[97:98]
	v_fma_f64 v[93:94], v[95:96], v[125:126], v[93:94]
	v_mov_b32_e32 v97, v125
	v_mov_b32_e32 v98, v126
	buffer_store_dword v97, off, s[24:27], 0 offset:240 ; 4-byte Folded Spill
	s_nop 0
	buffer_store_dword v98, off, s[24:27], 0 offset:244 ; 4-byte Folded Spill
	buffer_store_dword v99, off, s[24:27], 0 offset:248 ; 4-byte Folded Spill
	;; [unrolled: 1-line block ×3, first 2 shown]
	v_add_f64 v[123:124], v[123:124], -v[93:94]
.LBB100_272:
	s_or_b64 exec, exec, s[0:1]
	s_waitcnt vmcnt(0)
	s_barrier
	buffer_load_dword v81, off, s[24:27], 0 offset:224 ; 4-byte Folded Reload
	buffer_load_dword v82, off, s[24:27], 0 offset:228 ; 4-byte Folded Reload
	;; [unrolled: 1-line block ×4, first 2 shown]
	v_lshl_add_u32 v93, v92, 4, v90
	s_cmp_lt_i32 s3, 15
	s_waitcnt vmcnt(0)
	ds_write2_b64 v93, v[81:82], v[83:84] offset1:1
	s_waitcnt lgkmcnt(0)
	s_barrier
	ds_read2_b64 v[117:120], v90 offset0:26 offset1:27
	v_mov_b32_e32 v93, 13
	s_cbranch_scc1 .LBB100_275
; %bb.273:
	v_add_u32_e32 v94, 0xe0, v90
	s_mov_b32 s0, 14
	v_mov_b32_e32 v93, 13
.LBB100_274:                            ; =>This Inner Loop Header: Depth=1
	s_waitcnt lgkmcnt(0)
	v_cmp_gt_f64_e32 vcc, 0, v[117:118]
	v_xor_b32_e32 v99, 0x80000000, v118
	ds_read2_b64 v[95:98], v94 offset1:1
	v_xor_b32_e32 v101, 0x80000000, v120
	v_add_u32_e32 v94, 16, v94
	s_waitcnt lgkmcnt(0)
	v_xor_b32_e32 v103, 0x80000000, v98
	v_cndmask_b32_e32 v100, v118, v99, vcc
	v_cmp_gt_f64_e32 vcc, 0, v[119:120]
	v_mov_b32_e32 v99, v117
	v_cndmask_b32_e32 v102, v120, v101, vcc
	v_cmp_gt_f64_e32 vcc, 0, v[95:96]
	v_mov_b32_e32 v101, v119
	v_add_f64 v[99:100], v[99:100], v[101:102]
	v_xor_b32_e32 v101, 0x80000000, v96
	v_cndmask_b32_e32 v102, v96, v101, vcc
	v_cmp_gt_f64_e32 vcc, 0, v[97:98]
	v_mov_b32_e32 v101, v95
	v_cndmask_b32_e32 v104, v98, v103, vcc
	v_mov_b32_e32 v103, v97
	v_add_f64 v[101:102], v[101:102], v[103:104]
	v_cmp_lt_f64_e32 vcc, v[99:100], v[101:102]
	v_cndmask_b32_e32 v117, v117, v95, vcc
	v_mov_b32_e32 v95, s0
	s_add_i32 s0, s0, 1
	v_cndmask_b32_e32 v118, v118, v96, vcc
	v_cndmask_b32_e32 v120, v120, v98, vcc
	;; [unrolled: 1-line block ×4, first 2 shown]
	s_cmp_lg_u32 s3, s0
	s_cbranch_scc1 .LBB100_274
.LBB100_275:
	s_waitcnt lgkmcnt(0)
	v_cmp_eq_f64_e32 vcc, 0, v[117:118]
	v_cmp_eq_f64_e64 s[0:1], 0, v[119:120]
	s_and_b64 s[0:1], vcc, s[0:1]
	s_and_saveexec_b64 s[18:19], s[0:1]
	s_xor_b64 s[0:1], exec, s[18:19]
; %bb.276:
	v_cmp_ne_u32_e32 vcc, 0, v91
	v_cndmask_b32_e32 v91, 14, v91, vcc
; %bb.277:
	s_andn2_saveexec_b64 s[0:1], s[0:1]
	s_cbranch_execz .LBB100_283
; %bb.278:
	v_cmp_ngt_f64_e64 s[18:19], |v[117:118]|, |v[119:120]|
	s_and_saveexec_b64 s[20:21], s[18:19]
	s_xor_b64 s[18:19], exec, s[20:21]
	s_cbranch_execz .LBB100_280
; %bb.279:
	v_div_scale_f64 v[94:95], s[20:21], v[119:120], v[119:120], v[117:118]
	v_rcp_f64_e32 v[96:97], v[94:95]
	v_fma_f64 v[98:99], -v[94:95], v[96:97], 1.0
	v_fma_f64 v[96:97], v[96:97], v[98:99], v[96:97]
	v_div_scale_f64 v[98:99], vcc, v[117:118], v[119:120], v[117:118]
	v_fma_f64 v[100:101], -v[94:95], v[96:97], 1.0
	v_fma_f64 v[96:97], v[96:97], v[100:101], v[96:97]
	v_mul_f64 v[100:101], v[98:99], v[96:97]
	v_fma_f64 v[94:95], -v[94:95], v[100:101], v[98:99]
	v_div_fmas_f64 v[94:95], v[94:95], v[96:97], v[100:101]
	v_div_fixup_f64 v[94:95], v[94:95], v[119:120], v[117:118]
	v_fma_f64 v[96:97], v[117:118], v[94:95], v[119:120]
	v_div_scale_f64 v[98:99], s[20:21], v[96:97], v[96:97], 1.0
	v_div_scale_f64 v[104:105], vcc, 1.0, v[96:97], 1.0
	v_rcp_f64_e32 v[100:101], v[98:99]
	v_fma_f64 v[102:103], -v[98:99], v[100:101], 1.0
	v_fma_f64 v[100:101], v[100:101], v[102:103], v[100:101]
	v_fma_f64 v[102:103], -v[98:99], v[100:101], 1.0
	v_fma_f64 v[100:101], v[100:101], v[102:103], v[100:101]
	v_mul_f64 v[102:103], v[104:105], v[100:101]
	v_fma_f64 v[98:99], -v[98:99], v[102:103], v[104:105]
	v_div_fmas_f64 v[98:99], v[98:99], v[100:101], v[102:103]
	v_div_fixup_f64 v[119:120], v[98:99], v[96:97], 1.0
	v_mul_f64 v[117:118], v[94:95], v[119:120]
	v_xor_b32_e32 v120, 0x80000000, v120
.LBB100_280:
	s_andn2_saveexec_b64 s[18:19], s[18:19]
	s_cbranch_execz .LBB100_282
; %bb.281:
	v_div_scale_f64 v[94:95], s[20:21], v[117:118], v[117:118], v[119:120]
	v_rcp_f64_e32 v[96:97], v[94:95]
	v_fma_f64 v[98:99], -v[94:95], v[96:97], 1.0
	v_fma_f64 v[96:97], v[96:97], v[98:99], v[96:97]
	v_div_scale_f64 v[98:99], vcc, v[119:120], v[117:118], v[119:120]
	v_fma_f64 v[100:101], -v[94:95], v[96:97], 1.0
	v_fma_f64 v[96:97], v[96:97], v[100:101], v[96:97]
	v_mul_f64 v[100:101], v[98:99], v[96:97]
	v_fma_f64 v[94:95], -v[94:95], v[100:101], v[98:99]
	v_div_fmas_f64 v[94:95], v[94:95], v[96:97], v[100:101]
	v_div_fixup_f64 v[94:95], v[94:95], v[117:118], v[119:120]
	v_fma_f64 v[96:97], v[119:120], v[94:95], v[117:118]
	v_div_scale_f64 v[98:99], s[20:21], v[96:97], v[96:97], 1.0
	v_div_scale_f64 v[104:105], vcc, 1.0, v[96:97], 1.0
	v_rcp_f64_e32 v[100:101], v[98:99]
	v_fma_f64 v[102:103], -v[98:99], v[100:101], 1.0
	v_fma_f64 v[100:101], v[100:101], v[102:103], v[100:101]
	v_fma_f64 v[102:103], -v[98:99], v[100:101], 1.0
	v_fma_f64 v[100:101], v[100:101], v[102:103], v[100:101]
	v_mul_f64 v[102:103], v[104:105], v[100:101]
	v_fma_f64 v[98:99], -v[98:99], v[102:103], v[104:105]
	v_div_fmas_f64 v[98:99], v[98:99], v[100:101], v[102:103]
	v_div_fixup_f64 v[117:118], v[98:99], v[96:97], 1.0
	v_mul_f64 v[119:120], v[94:95], -v[117:118]
.LBB100_282:
	s_or_b64 exec, exec, s[18:19]
.LBB100_283:
	s_or_b64 exec, exec, s[0:1]
	v_cmp_ne_u32_e32 vcc, v92, v93
	s_and_saveexec_b64 s[0:1], vcc
	s_xor_b64 s[0:1], exec, s[0:1]
	s_cbranch_execz .LBB100_289
; %bb.284:
	v_cmp_eq_u32_e32 vcc, 13, v92
	s_and_saveexec_b64 s[18:19], vcc
	s_cbranch_execz .LBB100_288
; %bb.285:
	v_cmp_ne_u32_e32 vcc, 13, v93
	s_xor_b64 s[20:21], s[6:7], -1
	s_and_b64 s[22:23], s[20:21], vcc
	s_and_saveexec_b64 s[20:21], s[22:23]
	s_cbranch_execz .LBB100_287
; %bb.286:
	buffer_load_dword v81, off, s[24:27], 0 offset:400 ; 4-byte Folded Reload
	buffer_load_dword v82, off, s[24:27], 0 offset:404 ; 4-byte Folded Reload
	v_ashrrev_i32_e32 v94, 31, v93
	v_lshlrev_b64 v[94:95], 2, v[93:94]
	s_waitcnt vmcnt(1)
	v_add_co_u32_e32 v94, vcc, v81, v94
	s_waitcnt vmcnt(0)
	v_addc_co_u32_e32 v95, vcc, v82, v95, vcc
	global_load_dword v0, v[94:95], off
	global_load_dword v92, v[81:82], off offset:52
	s_waitcnt vmcnt(1)
	global_store_dword v[81:82], v0, off offset:52
	s_waitcnt vmcnt(1)
	global_store_dword v[94:95], v92, off
.LBB100_287:
	s_or_b64 exec, exec, s[20:21]
	v_mov_b32_e32 v92, v93
	v_mov_b32_e32 v0, v93
.LBB100_288:
	s_or_b64 exec, exec, s[18:19]
.LBB100_289:
	s_andn2_saveexec_b64 s[0:1], s[0:1]
	s_cbranch_execz .LBB100_291
; %bb.290:
	buffer_load_dword v81, off, s[24:27], 0 offset:208 ; 4-byte Folded Reload
	buffer_load_dword v82, off, s[24:27], 0 offset:212 ; 4-byte Folded Reload
	;; [unrolled: 1-line block ×4, first 2 shown]
	v_mov_b32_e32 v92, 13
	s_waitcnt vmcnt(0)
	ds_write2_b64 v90, v[81:82], v[83:84] offset0:28 offset1:29
	buffer_load_dword v81, off, s[24:27], 0 offset:192 ; 4-byte Folded Reload
	buffer_load_dword v82, off, s[24:27], 0 offset:196 ; 4-byte Folded Reload
	buffer_load_dword v83, off, s[24:27], 0 offset:200 ; 4-byte Folded Reload
	buffer_load_dword v84, off, s[24:27], 0 offset:204 ; 4-byte Folded Reload
	s_waitcnt vmcnt(0)
	ds_write2_b64 v90, v[81:82], v[83:84] offset0:30 offset1:31
	buffer_load_dword v81, off, s[24:27], 0 offset:176 ; 4-byte Folded Reload
	buffer_load_dword v82, off, s[24:27], 0 offset:180 ; 4-byte Folded Reload
	buffer_load_dword v83, off, s[24:27], 0 offset:184 ; 4-byte Folded Reload
	buffer_load_dword v84, off, s[24:27], 0 offset:188 ; 4-byte Folded Reload
	;; [unrolled: 6-line block ×12, first 2 shown]
	s_waitcnt vmcnt(0)
	ds_write2_b64 v90, v[81:82], v[83:84] offset0:52 offset1:53
	buffer_load_dword v81, off, s[24:27], 0 ; 4-byte Folded Reload
	buffer_load_dword v82, off, s[24:27], 0 offset:4 ; 4-byte Folded Reload
	buffer_load_dword v83, off, s[24:27], 0 offset:8 ; 4-byte Folded Reload
	;; [unrolled: 1-line block ×3, first 2 shown]
	s_waitcnt vmcnt(0)
	ds_write2_b64 v90, v[81:82], v[83:84] offset0:54 offset1:55
	ds_write2_b64 v90, v[111:112], v[113:114] offset0:56 offset1:57
	;; [unrolled: 1-line block ×24, first 2 shown]
.LBB100_291:
	s_or_b64 exec, exec, s[0:1]
	v_cmp_lt_i32_e32 vcc, 13, v92
	s_waitcnt vmcnt(0) lgkmcnt(0)
	s_barrier
	s_and_saveexec_b64 s[0:1], vcc
	s_cbranch_execz .LBB100_293
; %bb.292:
	buffer_load_dword v97, off, s[24:27], 0 offset:224 ; 4-byte Folded Reload
	buffer_load_dword v98, off, s[24:27], 0 offset:228 ; 4-byte Folded Reload
	;; [unrolled: 1-line block ×4, first 2 shown]
	s_waitcnt vmcnt(0)
	v_mul_f64 v[93:94], v[119:120], v[99:100]
	v_fma_f64 v[125:126], v[117:118], v[97:98], -v[93:94]
	v_mul_f64 v[93:94], v[117:118], v[99:100]
	v_fma_f64 v[99:100], v[119:120], v[97:98], v[93:94]
	ds_read2_b64 v[93:96], v90 offset0:28 offset1:29
	buffer_load_dword v81, off, s[24:27], 0 offset:208 ; 4-byte Folded Reload
	buffer_load_dword v82, off, s[24:27], 0 offset:212 ; 4-byte Folded Reload
	buffer_load_dword v83, off, s[24:27], 0 offset:216 ; 4-byte Folded Reload
	buffer_load_dword v84, off, s[24:27], 0 offset:220 ; 4-byte Folded Reload
	s_waitcnt lgkmcnt(0)
	v_mul_f64 v[97:98], v[95:96], v[99:100]
	v_fma_f64 v[97:98], v[93:94], v[125:126], -v[97:98]
	v_mul_f64 v[93:94], v[93:94], v[99:100]
	v_fma_f64 v[93:94], v[95:96], v[125:126], v[93:94]
	s_waitcnt vmcnt(2)
	v_add_f64 v[81:82], v[81:82], -v[97:98]
	s_waitcnt vmcnt(0)
	v_add_f64 v[83:84], v[83:84], -v[93:94]
	buffer_store_dword v81, off, s[24:27], 0 offset:208 ; 4-byte Folded Spill
	s_nop 0
	buffer_store_dword v82, off, s[24:27], 0 offset:212 ; 4-byte Folded Spill
	buffer_store_dword v83, off, s[24:27], 0 offset:216 ; 4-byte Folded Spill
	buffer_store_dword v84, off, s[24:27], 0 offset:220 ; 4-byte Folded Spill
	ds_read2_b64 v[93:96], v90 offset0:30 offset1:31
	buffer_load_dword v81, off, s[24:27], 0 offset:192 ; 4-byte Folded Reload
	buffer_load_dword v82, off, s[24:27], 0 offset:196 ; 4-byte Folded Reload
	buffer_load_dword v83, off, s[24:27], 0 offset:200 ; 4-byte Folded Reload
	buffer_load_dword v84, off, s[24:27], 0 offset:204 ; 4-byte Folded Reload
	s_waitcnt lgkmcnt(0)
	v_mul_f64 v[97:98], v[95:96], v[99:100]
	v_fma_f64 v[97:98], v[93:94], v[125:126], -v[97:98]
	v_mul_f64 v[93:94], v[93:94], v[99:100]
	v_fma_f64 v[93:94], v[95:96], v[125:126], v[93:94]
	s_waitcnt vmcnt(2)
	v_add_f64 v[81:82], v[81:82], -v[97:98]
	s_waitcnt vmcnt(0)
	v_add_f64 v[83:84], v[83:84], -v[93:94]
	buffer_store_dword v81, off, s[24:27], 0 offset:192 ; 4-byte Folded Spill
	s_nop 0
	buffer_store_dword v82, off, s[24:27], 0 offset:196 ; 4-byte Folded Spill
	buffer_store_dword v83, off, s[24:27], 0 offset:200 ; 4-byte Folded Spill
	buffer_store_dword v84, off, s[24:27], 0 offset:204 ; 4-byte Folded Spill
	ds_read2_b64 v[93:96], v90 offset0:32 offset1:33
	buffer_load_dword v81, off, s[24:27], 0 offset:176 ; 4-byte Folded Reload
	buffer_load_dword v82, off, s[24:27], 0 offset:180 ; 4-byte Folded Reload
	buffer_load_dword v83, off, s[24:27], 0 offset:184 ; 4-byte Folded Reload
	buffer_load_dword v84, off, s[24:27], 0 offset:188 ; 4-byte Folded Reload
	s_waitcnt lgkmcnt(0)
	v_mul_f64 v[97:98], v[95:96], v[99:100]
	v_fma_f64 v[97:98], v[93:94], v[125:126], -v[97:98]
	v_mul_f64 v[93:94], v[93:94], v[99:100]
	v_fma_f64 v[93:94], v[95:96], v[125:126], v[93:94]
	s_waitcnt vmcnt(2)
	v_add_f64 v[81:82], v[81:82], -v[97:98]
	s_waitcnt vmcnt(0)
	v_add_f64 v[83:84], v[83:84], -v[93:94]
	buffer_store_dword v81, off, s[24:27], 0 offset:176 ; 4-byte Folded Spill
	s_nop 0
	buffer_store_dword v82, off, s[24:27], 0 offset:180 ; 4-byte Folded Spill
	buffer_store_dword v83, off, s[24:27], 0 offset:184 ; 4-byte Folded Spill
	buffer_store_dword v84, off, s[24:27], 0 offset:188 ; 4-byte Folded Spill
	ds_read2_b64 v[93:96], v90 offset0:34 offset1:35
	buffer_load_dword v81, off, s[24:27], 0 offset:160 ; 4-byte Folded Reload
	buffer_load_dword v82, off, s[24:27], 0 offset:164 ; 4-byte Folded Reload
	buffer_load_dword v83, off, s[24:27], 0 offset:168 ; 4-byte Folded Reload
	buffer_load_dword v84, off, s[24:27], 0 offset:172 ; 4-byte Folded Reload
	s_waitcnt lgkmcnt(0)
	v_mul_f64 v[97:98], v[95:96], v[99:100]
	v_fma_f64 v[97:98], v[93:94], v[125:126], -v[97:98]
	v_mul_f64 v[93:94], v[93:94], v[99:100]
	v_fma_f64 v[93:94], v[95:96], v[125:126], v[93:94]
	s_waitcnt vmcnt(2)
	v_add_f64 v[81:82], v[81:82], -v[97:98]
	s_waitcnt vmcnt(0)
	v_add_f64 v[83:84], v[83:84], -v[93:94]
	buffer_store_dword v81, off, s[24:27], 0 offset:160 ; 4-byte Folded Spill
	s_nop 0
	buffer_store_dword v82, off, s[24:27], 0 offset:164 ; 4-byte Folded Spill
	buffer_store_dword v83, off, s[24:27], 0 offset:168 ; 4-byte Folded Spill
	buffer_store_dword v84, off, s[24:27], 0 offset:172 ; 4-byte Folded Spill
	ds_read2_b64 v[93:96], v90 offset0:36 offset1:37
	buffer_load_dword v81, off, s[24:27], 0 offset:144 ; 4-byte Folded Reload
	buffer_load_dword v82, off, s[24:27], 0 offset:148 ; 4-byte Folded Reload
	buffer_load_dword v83, off, s[24:27], 0 offset:152 ; 4-byte Folded Reload
	buffer_load_dword v84, off, s[24:27], 0 offset:156 ; 4-byte Folded Reload
	s_waitcnt lgkmcnt(0)
	v_mul_f64 v[97:98], v[95:96], v[99:100]
	v_fma_f64 v[97:98], v[93:94], v[125:126], -v[97:98]
	v_mul_f64 v[93:94], v[93:94], v[99:100]
	v_fma_f64 v[93:94], v[95:96], v[125:126], v[93:94]
	s_waitcnt vmcnt(2)
	v_add_f64 v[81:82], v[81:82], -v[97:98]
	s_waitcnt vmcnt(0)
	v_add_f64 v[83:84], v[83:84], -v[93:94]
	buffer_store_dword v81, off, s[24:27], 0 offset:144 ; 4-byte Folded Spill
	s_nop 0
	buffer_store_dword v82, off, s[24:27], 0 offset:148 ; 4-byte Folded Spill
	buffer_store_dword v83, off, s[24:27], 0 offset:152 ; 4-byte Folded Spill
	buffer_store_dword v84, off, s[24:27], 0 offset:156 ; 4-byte Folded Spill
	ds_read2_b64 v[93:96], v90 offset0:38 offset1:39
	buffer_load_dword v81, off, s[24:27], 0 offset:128 ; 4-byte Folded Reload
	buffer_load_dword v82, off, s[24:27], 0 offset:132 ; 4-byte Folded Reload
	buffer_load_dword v83, off, s[24:27], 0 offset:136 ; 4-byte Folded Reload
	buffer_load_dword v84, off, s[24:27], 0 offset:140 ; 4-byte Folded Reload
	s_waitcnt lgkmcnt(0)
	v_mul_f64 v[97:98], v[95:96], v[99:100]
	v_fma_f64 v[97:98], v[93:94], v[125:126], -v[97:98]
	v_mul_f64 v[93:94], v[93:94], v[99:100]
	v_fma_f64 v[93:94], v[95:96], v[125:126], v[93:94]
	s_waitcnt vmcnt(2)
	v_add_f64 v[81:82], v[81:82], -v[97:98]
	s_waitcnt vmcnt(0)
	v_add_f64 v[83:84], v[83:84], -v[93:94]
	buffer_store_dword v81, off, s[24:27], 0 offset:128 ; 4-byte Folded Spill
	s_nop 0
	buffer_store_dword v82, off, s[24:27], 0 offset:132 ; 4-byte Folded Spill
	buffer_store_dword v83, off, s[24:27], 0 offset:136 ; 4-byte Folded Spill
	buffer_store_dword v84, off, s[24:27], 0 offset:140 ; 4-byte Folded Spill
	ds_read2_b64 v[93:96], v90 offset0:40 offset1:41
	buffer_load_dword v81, off, s[24:27], 0 offset:112 ; 4-byte Folded Reload
	buffer_load_dword v82, off, s[24:27], 0 offset:116 ; 4-byte Folded Reload
	buffer_load_dword v83, off, s[24:27], 0 offset:120 ; 4-byte Folded Reload
	buffer_load_dword v84, off, s[24:27], 0 offset:124 ; 4-byte Folded Reload
	s_waitcnt lgkmcnt(0)
	v_mul_f64 v[97:98], v[95:96], v[99:100]
	v_fma_f64 v[97:98], v[93:94], v[125:126], -v[97:98]
	v_mul_f64 v[93:94], v[93:94], v[99:100]
	v_fma_f64 v[93:94], v[95:96], v[125:126], v[93:94]
	s_waitcnt vmcnt(2)
	v_add_f64 v[81:82], v[81:82], -v[97:98]
	s_waitcnt vmcnt(0)
	v_add_f64 v[83:84], v[83:84], -v[93:94]
	buffer_store_dword v81, off, s[24:27], 0 offset:112 ; 4-byte Folded Spill
	s_nop 0
	buffer_store_dword v82, off, s[24:27], 0 offset:116 ; 4-byte Folded Spill
	buffer_store_dword v83, off, s[24:27], 0 offset:120 ; 4-byte Folded Spill
	buffer_store_dword v84, off, s[24:27], 0 offset:124 ; 4-byte Folded Spill
	ds_read2_b64 v[93:96], v90 offset0:42 offset1:43
	buffer_load_dword v81, off, s[24:27], 0 offset:96 ; 4-byte Folded Reload
	buffer_load_dword v82, off, s[24:27], 0 offset:100 ; 4-byte Folded Reload
	buffer_load_dword v83, off, s[24:27], 0 offset:104 ; 4-byte Folded Reload
	buffer_load_dword v84, off, s[24:27], 0 offset:108 ; 4-byte Folded Reload
	s_waitcnt lgkmcnt(0)
	v_mul_f64 v[97:98], v[95:96], v[99:100]
	v_fma_f64 v[97:98], v[93:94], v[125:126], -v[97:98]
	v_mul_f64 v[93:94], v[93:94], v[99:100]
	v_fma_f64 v[93:94], v[95:96], v[125:126], v[93:94]
	s_waitcnt vmcnt(2)
	v_add_f64 v[81:82], v[81:82], -v[97:98]
	s_waitcnt vmcnt(0)
	v_add_f64 v[83:84], v[83:84], -v[93:94]
	buffer_store_dword v81, off, s[24:27], 0 offset:96 ; 4-byte Folded Spill
	s_nop 0
	buffer_store_dword v82, off, s[24:27], 0 offset:100 ; 4-byte Folded Spill
	buffer_store_dword v83, off, s[24:27], 0 offset:104 ; 4-byte Folded Spill
	buffer_store_dword v84, off, s[24:27], 0 offset:108 ; 4-byte Folded Spill
	ds_read2_b64 v[93:96], v90 offset0:44 offset1:45
	buffer_load_dword v81, off, s[24:27], 0 offset:80 ; 4-byte Folded Reload
	buffer_load_dword v82, off, s[24:27], 0 offset:84 ; 4-byte Folded Reload
	buffer_load_dword v83, off, s[24:27], 0 offset:88 ; 4-byte Folded Reload
	buffer_load_dword v84, off, s[24:27], 0 offset:92 ; 4-byte Folded Reload
	s_waitcnt lgkmcnt(0)
	v_mul_f64 v[97:98], v[95:96], v[99:100]
	v_fma_f64 v[97:98], v[93:94], v[125:126], -v[97:98]
	v_mul_f64 v[93:94], v[93:94], v[99:100]
	v_fma_f64 v[93:94], v[95:96], v[125:126], v[93:94]
	s_waitcnt vmcnt(2)
	v_add_f64 v[81:82], v[81:82], -v[97:98]
	s_waitcnt vmcnt(0)
	v_add_f64 v[83:84], v[83:84], -v[93:94]
	buffer_store_dword v81, off, s[24:27], 0 offset:80 ; 4-byte Folded Spill
	s_nop 0
	buffer_store_dword v82, off, s[24:27], 0 offset:84 ; 4-byte Folded Spill
	buffer_store_dword v83, off, s[24:27], 0 offset:88 ; 4-byte Folded Spill
	buffer_store_dword v84, off, s[24:27], 0 offset:92 ; 4-byte Folded Spill
	ds_read2_b64 v[93:96], v90 offset0:46 offset1:47
	buffer_load_dword v81, off, s[24:27], 0 offset:64 ; 4-byte Folded Reload
	buffer_load_dword v82, off, s[24:27], 0 offset:68 ; 4-byte Folded Reload
	buffer_load_dword v83, off, s[24:27], 0 offset:72 ; 4-byte Folded Reload
	buffer_load_dword v84, off, s[24:27], 0 offset:76 ; 4-byte Folded Reload
	s_waitcnt lgkmcnt(0)
	v_mul_f64 v[97:98], v[95:96], v[99:100]
	v_fma_f64 v[97:98], v[93:94], v[125:126], -v[97:98]
	v_mul_f64 v[93:94], v[93:94], v[99:100]
	v_fma_f64 v[93:94], v[95:96], v[125:126], v[93:94]
	s_waitcnt vmcnt(2)
	v_add_f64 v[81:82], v[81:82], -v[97:98]
	s_waitcnt vmcnt(0)
	v_add_f64 v[83:84], v[83:84], -v[93:94]
	buffer_store_dword v81, off, s[24:27], 0 offset:64 ; 4-byte Folded Spill
	s_nop 0
	buffer_store_dword v82, off, s[24:27], 0 offset:68 ; 4-byte Folded Spill
	buffer_store_dword v83, off, s[24:27], 0 offset:72 ; 4-byte Folded Spill
	buffer_store_dword v84, off, s[24:27], 0 offset:76 ; 4-byte Folded Spill
	ds_read2_b64 v[93:96], v90 offset0:48 offset1:49
	buffer_load_dword v81, off, s[24:27], 0 offset:48 ; 4-byte Folded Reload
	buffer_load_dword v82, off, s[24:27], 0 offset:52 ; 4-byte Folded Reload
	buffer_load_dword v83, off, s[24:27], 0 offset:56 ; 4-byte Folded Reload
	buffer_load_dword v84, off, s[24:27], 0 offset:60 ; 4-byte Folded Reload
	s_waitcnt lgkmcnt(0)
	v_mul_f64 v[97:98], v[95:96], v[99:100]
	v_fma_f64 v[97:98], v[93:94], v[125:126], -v[97:98]
	v_mul_f64 v[93:94], v[93:94], v[99:100]
	v_fma_f64 v[93:94], v[95:96], v[125:126], v[93:94]
	s_waitcnt vmcnt(2)
	v_add_f64 v[81:82], v[81:82], -v[97:98]
	s_waitcnt vmcnt(0)
	v_add_f64 v[83:84], v[83:84], -v[93:94]
	buffer_store_dword v81, off, s[24:27], 0 offset:48 ; 4-byte Folded Spill
	s_nop 0
	buffer_store_dword v82, off, s[24:27], 0 offset:52 ; 4-byte Folded Spill
	buffer_store_dword v83, off, s[24:27], 0 offset:56 ; 4-byte Folded Spill
	buffer_store_dword v84, off, s[24:27], 0 offset:60 ; 4-byte Folded Spill
	ds_read2_b64 v[93:96], v90 offset0:50 offset1:51
	buffer_load_dword v81, off, s[24:27], 0 offset:32 ; 4-byte Folded Reload
	buffer_load_dword v82, off, s[24:27], 0 offset:36 ; 4-byte Folded Reload
	buffer_load_dword v83, off, s[24:27], 0 offset:40 ; 4-byte Folded Reload
	buffer_load_dword v84, off, s[24:27], 0 offset:44 ; 4-byte Folded Reload
	s_waitcnt lgkmcnt(0)
	v_mul_f64 v[97:98], v[95:96], v[99:100]
	v_fma_f64 v[97:98], v[93:94], v[125:126], -v[97:98]
	v_mul_f64 v[93:94], v[93:94], v[99:100]
	v_fma_f64 v[93:94], v[95:96], v[125:126], v[93:94]
	s_waitcnt vmcnt(2)
	v_add_f64 v[81:82], v[81:82], -v[97:98]
	s_waitcnt vmcnt(0)
	v_add_f64 v[83:84], v[83:84], -v[93:94]
	buffer_store_dword v81, off, s[24:27], 0 offset:32 ; 4-byte Folded Spill
	s_nop 0
	buffer_store_dword v82, off, s[24:27], 0 offset:36 ; 4-byte Folded Spill
	buffer_store_dword v83, off, s[24:27], 0 offset:40 ; 4-byte Folded Spill
	buffer_store_dword v84, off, s[24:27], 0 offset:44 ; 4-byte Folded Spill
	ds_read2_b64 v[93:96], v90 offset0:52 offset1:53
	buffer_load_dword v81, off, s[24:27], 0 offset:16 ; 4-byte Folded Reload
	buffer_load_dword v82, off, s[24:27], 0 offset:20 ; 4-byte Folded Reload
	buffer_load_dword v83, off, s[24:27], 0 offset:24 ; 4-byte Folded Reload
	buffer_load_dword v84, off, s[24:27], 0 offset:28 ; 4-byte Folded Reload
	s_waitcnt lgkmcnt(0)
	v_mul_f64 v[97:98], v[95:96], v[99:100]
	v_fma_f64 v[97:98], v[93:94], v[125:126], -v[97:98]
	v_mul_f64 v[93:94], v[93:94], v[99:100]
	v_fma_f64 v[93:94], v[95:96], v[125:126], v[93:94]
	s_waitcnt vmcnt(2)
	v_add_f64 v[81:82], v[81:82], -v[97:98]
	s_waitcnt vmcnt(0)
	v_add_f64 v[83:84], v[83:84], -v[93:94]
	buffer_store_dword v81, off, s[24:27], 0 offset:16 ; 4-byte Folded Spill
	s_nop 0
	buffer_store_dword v82, off, s[24:27], 0 offset:20 ; 4-byte Folded Spill
	buffer_store_dword v83, off, s[24:27], 0 offset:24 ; 4-byte Folded Spill
	buffer_store_dword v84, off, s[24:27], 0 offset:28 ; 4-byte Folded Spill
	ds_read2_b64 v[93:96], v90 offset0:54 offset1:55
	buffer_load_dword v81, off, s[24:27], 0 ; 4-byte Folded Reload
	buffer_load_dword v82, off, s[24:27], 0 offset:4 ; 4-byte Folded Reload
	buffer_load_dword v83, off, s[24:27], 0 offset:8 ; 4-byte Folded Reload
	;; [unrolled: 1-line block ×3, first 2 shown]
	s_waitcnt lgkmcnt(0)
	v_mul_f64 v[97:98], v[95:96], v[99:100]
	v_fma_f64 v[97:98], v[93:94], v[125:126], -v[97:98]
	v_mul_f64 v[93:94], v[93:94], v[99:100]
	v_fma_f64 v[93:94], v[95:96], v[125:126], v[93:94]
	s_waitcnt vmcnt(2)
	v_add_f64 v[81:82], v[81:82], -v[97:98]
	s_waitcnt vmcnt(0)
	v_add_f64 v[83:84], v[83:84], -v[93:94]
	buffer_store_dword v81, off, s[24:27], 0 ; 4-byte Folded Spill
	s_nop 0
	buffer_store_dword v82, off, s[24:27], 0 offset:4 ; 4-byte Folded Spill
	buffer_store_dword v83, off, s[24:27], 0 offset:8 ; 4-byte Folded Spill
	;; [unrolled: 1-line block ×3, first 2 shown]
	ds_read2_b64 v[93:96], v90 offset0:56 offset1:57
	s_waitcnt lgkmcnt(0)
	v_mul_f64 v[97:98], v[95:96], v[99:100]
	v_fma_f64 v[97:98], v[93:94], v[125:126], -v[97:98]
	v_mul_f64 v[93:94], v[93:94], v[99:100]
	v_add_f64 v[111:112], v[111:112], -v[97:98]
	v_fma_f64 v[93:94], v[95:96], v[125:126], v[93:94]
	v_add_f64 v[113:114], v[113:114], -v[93:94]
	ds_read2_b64 v[93:96], v90 offset0:58 offset1:59
	s_waitcnt lgkmcnt(0)
	v_mul_f64 v[97:98], v[95:96], v[99:100]
	v_fma_f64 v[97:98], v[93:94], v[125:126], -v[97:98]
	v_mul_f64 v[93:94], v[93:94], v[99:100]
	v_add_f64 v[85:86], v[85:86], -v[97:98]
	v_fma_f64 v[93:94], v[95:96], v[125:126], v[93:94]
	v_add_f64 v[87:88], v[87:88], -v[93:94]
	;; [unrolled: 8-line block ×22, first 2 shown]
	ds_read2_b64 v[93:96], v90 offset0:100 offset1:101
	s_waitcnt lgkmcnt(0)
	v_mul_f64 v[97:98], v[95:96], v[99:100]
	v_fma_f64 v[97:98], v[93:94], v[125:126], -v[97:98]
	v_mul_f64 v[93:94], v[93:94], v[99:100]
	v_add_f64 v[121:122], v[121:122], -v[97:98]
	v_fma_f64 v[93:94], v[95:96], v[125:126], v[93:94]
	v_mov_b32_e32 v97, v125
	v_mov_b32_e32 v98, v126
	buffer_store_dword v97, off, s[24:27], 0 offset:224 ; 4-byte Folded Spill
	s_nop 0
	buffer_store_dword v98, off, s[24:27], 0 offset:228 ; 4-byte Folded Spill
	buffer_store_dword v99, off, s[24:27], 0 offset:232 ; 4-byte Folded Spill
	;; [unrolled: 1-line block ×3, first 2 shown]
	v_add_f64 v[123:124], v[123:124], -v[93:94]
.LBB100_293:
	s_or_b64 exec, exec, s[0:1]
	s_waitcnt vmcnt(0)
	s_barrier
	buffer_load_dword v81, off, s[24:27], 0 offset:208 ; 4-byte Folded Reload
	buffer_load_dword v82, off, s[24:27], 0 offset:212 ; 4-byte Folded Reload
	;; [unrolled: 1-line block ×4, first 2 shown]
	v_lshl_add_u32 v93, v92, 4, v90
	s_cmp_lt_i32 s3, 16
	s_waitcnt vmcnt(0)
	ds_write2_b64 v93, v[81:82], v[83:84] offset1:1
	s_waitcnt lgkmcnt(0)
	s_barrier
	ds_read2_b64 v[117:120], v90 offset0:28 offset1:29
	v_mov_b32_e32 v93, 14
	s_cbranch_scc1 .LBB100_296
; %bb.294:
	v_add_u32_e32 v94, 0xf0, v90
	s_mov_b32 s0, 15
	v_mov_b32_e32 v93, 14
.LBB100_295:                            ; =>This Inner Loop Header: Depth=1
	s_waitcnt lgkmcnt(0)
	v_cmp_gt_f64_e32 vcc, 0, v[117:118]
	v_xor_b32_e32 v99, 0x80000000, v118
	ds_read2_b64 v[95:98], v94 offset1:1
	v_xor_b32_e32 v101, 0x80000000, v120
	v_add_u32_e32 v94, 16, v94
	s_waitcnt lgkmcnt(0)
	v_xor_b32_e32 v103, 0x80000000, v98
	v_cndmask_b32_e32 v100, v118, v99, vcc
	v_cmp_gt_f64_e32 vcc, 0, v[119:120]
	v_mov_b32_e32 v99, v117
	v_cndmask_b32_e32 v102, v120, v101, vcc
	v_cmp_gt_f64_e32 vcc, 0, v[95:96]
	v_mov_b32_e32 v101, v119
	v_add_f64 v[99:100], v[99:100], v[101:102]
	v_xor_b32_e32 v101, 0x80000000, v96
	v_cndmask_b32_e32 v102, v96, v101, vcc
	v_cmp_gt_f64_e32 vcc, 0, v[97:98]
	v_mov_b32_e32 v101, v95
	v_cndmask_b32_e32 v104, v98, v103, vcc
	v_mov_b32_e32 v103, v97
	v_add_f64 v[101:102], v[101:102], v[103:104]
	v_cmp_lt_f64_e32 vcc, v[99:100], v[101:102]
	v_cndmask_b32_e32 v117, v117, v95, vcc
	v_mov_b32_e32 v95, s0
	s_add_i32 s0, s0, 1
	v_cndmask_b32_e32 v118, v118, v96, vcc
	v_cndmask_b32_e32 v120, v120, v98, vcc
	;; [unrolled: 1-line block ×4, first 2 shown]
	s_cmp_lg_u32 s3, s0
	s_cbranch_scc1 .LBB100_295
.LBB100_296:
	s_waitcnt lgkmcnt(0)
	v_cmp_eq_f64_e32 vcc, 0, v[117:118]
	v_cmp_eq_f64_e64 s[0:1], 0, v[119:120]
	s_and_b64 s[0:1], vcc, s[0:1]
	s_and_saveexec_b64 s[18:19], s[0:1]
	s_xor_b64 s[0:1], exec, s[18:19]
; %bb.297:
	v_cmp_ne_u32_e32 vcc, 0, v91
	v_cndmask_b32_e32 v91, 15, v91, vcc
; %bb.298:
	s_andn2_saveexec_b64 s[0:1], s[0:1]
	s_cbranch_execz .LBB100_304
; %bb.299:
	v_cmp_ngt_f64_e64 s[18:19], |v[117:118]|, |v[119:120]|
	s_and_saveexec_b64 s[20:21], s[18:19]
	s_xor_b64 s[18:19], exec, s[20:21]
	s_cbranch_execz .LBB100_301
; %bb.300:
	v_div_scale_f64 v[94:95], s[20:21], v[119:120], v[119:120], v[117:118]
	v_rcp_f64_e32 v[96:97], v[94:95]
	v_fma_f64 v[98:99], -v[94:95], v[96:97], 1.0
	v_fma_f64 v[96:97], v[96:97], v[98:99], v[96:97]
	v_div_scale_f64 v[98:99], vcc, v[117:118], v[119:120], v[117:118]
	v_fma_f64 v[100:101], -v[94:95], v[96:97], 1.0
	v_fma_f64 v[96:97], v[96:97], v[100:101], v[96:97]
	v_mul_f64 v[100:101], v[98:99], v[96:97]
	v_fma_f64 v[94:95], -v[94:95], v[100:101], v[98:99]
	v_div_fmas_f64 v[94:95], v[94:95], v[96:97], v[100:101]
	v_div_fixup_f64 v[94:95], v[94:95], v[119:120], v[117:118]
	v_fma_f64 v[96:97], v[117:118], v[94:95], v[119:120]
	v_div_scale_f64 v[98:99], s[20:21], v[96:97], v[96:97], 1.0
	v_div_scale_f64 v[104:105], vcc, 1.0, v[96:97], 1.0
	v_rcp_f64_e32 v[100:101], v[98:99]
	v_fma_f64 v[102:103], -v[98:99], v[100:101], 1.0
	v_fma_f64 v[100:101], v[100:101], v[102:103], v[100:101]
	v_fma_f64 v[102:103], -v[98:99], v[100:101], 1.0
	v_fma_f64 v[100:101], v[100:101], v[102:103], v[100:101]
	v_mul_f64 v[102:103], v[104:105], v[100:101]
	v_fma_f64 v[98:99], -v[98:99], v[102:103], v[104:105]
	v_div_fmas_f64 v[98:99], v[98:99], v[100:101], v[102:103]
	v_div_fixup_f64 v[119:120], v[98:99], v[96:97], 1.0
	v_mul_f64 v[117:118], v[94:95], v[119:120]
	v_xor_b32_e32 v120, 0x80000000, v120
.LBB100_301:
	s_andn2_saveexec_b64 s[18:19], s[18:19]
	s_cbranch_execz .LBB100_303
; %bb.302:
	v_div_scale_f64 v[94:95], s[20:21], v[117:118], v[117:118], v[119:120]
	v_rcp_f64_e32 v[96:97], v[94:95]
	v_fma_f64 v[98:99], -v[94:95], v[96:97], 1.0
	v_fma_f64 v[96:97], v[96:97], v[98:99], v[96:97]
	v_div_scale_f64 v[98:99], vcc, v[119:120], v[117:118], v[119:120]
	v_fma_f64 v[100:101], -v[94:95], v[96:97], 1.0
	v_fma_f64 v[96:97], v[96:97], v[100:101], v[96:97]
	v_mul_f64 v[100:101], v[98:99], v[96:97]
	v_fma_f64 v[94:95], -v[94:95], v[100:101], v[98:99]
	v_div_fmas_f64 v[94:95], v[94:95], v[96:97], v[100:101]
	v_div_fixup_f64 v[94:95], v[94:95], v[117:118], v[119:120]
	v_fma_f64 v[96:97], v[119:120], v[94:95], v[117:118]
	v_div_scale_f64 v[98:99], s[20:21], v[96:97], v[96:97], 1.0
	v_div_scale_f64 v[104:105], vcc, 1.0, v[96:97], 1.0
	v_rcp_f64_e32 v[100:101], v[98:99]
	v_fma_f64 v[102:103], -v[98:99], v[100:101], 1.0
	v_fma_f64 v[100:101], v[100:101], v[102:103], v[100:101]
	v_fma_f64 v[102:103], -v[98:99], v[100:101], 1.0
	v_fma_f64 v[100:101], v[100:101], v[102:103], v[100:101]
	v_mul_f64 v[102:103], v[104:105], v[100:101]
	v_fma_f64 v[98:99], -v[98:99], v[102:103], v[104:105]
	v_div_fmas_f64 v[98:99], v[98:99], v[100:101], v[102:103]
	v_div_fixup_f64 v[117:118], v[98:99], v[96:97], 1.0
	v_mul_f64 v[119:120], v[94:95], -v[117:118]
.LBB100_303:
	s_or_b64 exec, exec, s[18:19]
.LBB100_304:
	s_or_b64 exec, exec, s[0:1]
	v_cmp_ne_u32_e32 vcc, v92, v93
	s_and_saveexec_b64 s[0:1], vcc
	s_xor_b64 s[0:1], exec, s[0:1]
	s_cbranch_execz .LBB100_310
; %bb.305:
	v_cmp_eq_u32_e32 vcc, 14, v92
	s_and_saveexec_b64 s[18:19], vcc
	s_cbranch_execz .LBB100_309
; %bb.306:
	v_cmp_ne_u32_e32 vcc, 14, v93
	s_xor_b64 s[20:21], s[6:7], -1
	s_and_b64 s[22:23], s[20:21], vcc
	s_and_saveexec_b64 s[20:21], s[22:23]
	s_cbranch_execz .LBB100_308
; %bb.307:
	buffer_load_dword v81, off, s[24:27], 0 offset:400 ; 4-byte Folded Reload
	buffer_load_dword v82, off, s[24:27], 0 offset:404 ; 4-byte Folded Reload
	v_ashrrev_i32_e32 v94, 31, v93
	v_lshlrev_b64 v[94:95], 2, v[93:94]
	s_waitcnt vmcnt(1)
	v_add_co_u32_e32 v94, vcc, v81, v94
	s_waitcnt vmcnt(0)
	v_addc_co_u32_e32 v95, vcc, v82, v95, vcc
	global_load_dword v0, v[94:95], off
	global_load_dword v92, v[81:82], off offset:56
	s_waitcnt vmcnt(1)
	global_store_dword v[81:82], v0, off offset:56
	s_waitcnt vmcnt(1)
	global_store_dword v[94:95], v92, off
.LBB100_308:
	s_or_b64 exec, exec, s[20:21]
	v_mov_b32_e32 v92, v93
	v_mov_b32_e32 v0, v93
.LBB100_309:
	s_or_b64 exec, exec, s[18:19]
.LBB100_310:
	s_andn2_saveexec_b64 s[0:1], s[0:1]
	s_cbranch_execz .LBB100_312
; %bb.311:
	buffer_load_dword v81, off, s[24:27], 0 offset:192 ; 4-byte Folded Reload
	buffer_load_dword v82, off, s[24:27], 0 offset:196 ; 4-byte Folded Reload
	;; [unrolled: 1-line block ×4, first 2 shown]
	v_mov_b32_e32 v92, 14
	s_waitcnt vmcnt(0)
	ds_write2_b64 v90, v[81:82], v[83:84] offset0:30 offset1:31
	buffer_load_dword v81, off, s[24:27], 0 offset:176 ; 4-byte Folded Reload
	buffer_load_dword v82, off, s[24:27], 0 offset:180 ; 4-byte Folded Reload
	buffer_load_dword v83, off, s[24:27], 0 offset:184 ; 4-byte Folded Reload
	buffer_load_dword v84, off, s[24:27], 0 offset:188 ; 4-byte Folded Reload
	s_waitcnt vmcnt(0)
	ds_write2_b64 v90, v[81:82], v[83:84] offset0:32 offset1:33
	buffer_load_dword v81, off, s[24:27], 0 offset:160 ; 4-byte Folded Reload
	buffer_load_dword v82, off, s[24:27], 0 offset:164 ; 4-byte Folded Reload
	buffer_load_dword v83, off, s[24:27], 0 offset:168 ; 4-byte Folded Reload
	buffer_load_dword v84, off, s[24:27], 0 offset:172 ; 4-byte Folded Reload
	;; [unrolled: 6-line block ×11, first 2 shown]
	s_waitcnt vmcnt(0)
	ds_write2_b64 v90, v[81:82], v[83:84] offset0:52 offset1:53
	buffer_load_dword v81, off, s[24:27], 0 ; 4-byte Folded Reload
	buffer_load_dword v82, off, s[24:27], 0 offset:4 ; 4-byte Folded Reload
	buffer_load_dword v83, off, s[24:27], 0 offset:8 ; 4-byte Folded Reload
	;; [unrolled: 1-line block ×3, first 2 shown]
	s_waitcnt vmcnt(0)
	ds_write2_b64 v90, v[81:82], v[83:84] offset0:54 offset1:55
	ds_write2_b64 v90, v[111:112], v[113:114] offset0:56 offset1:57
	;; [unrolled: 1-line block ×24, first 2 shown]
.LBB100_312:
	s_or_b64 exec, exec, s[0:1]
	v_cmp_lt_i32_e32 vcc, 14, v92
	s_waitcnt vmcnt(0) lgkmcnt(0)
	s_barrier
	s_and_saveexec_b64 s[0:1], vcc
	s_cbranch_execz .LBB100_314
; %bb.313:
	buffer_load_dword v97, off, s[24:27], 0 offset:208 ; 4-byte Folded Reload
	buffer_load_dword v98, off, s[24:27], 0 offset:212 ; 4-byte Folded Reload
	;; [unrolled: 1-line block ×4, first 2 shown]
	s_waitcnt vmcnt(0)
	v_mul_f64 v[93:94], v[119:120], v[99:100]
	v_fma_f64 v[125:126], v[117:118], v[97:98], -v[93:94]
	v_mul_f64 v[93:94], v[117:118], v[99:100]
	v_fma_f64 v[99:100], v[119:120], v[97:98], v[93:94]
	ds_read2_b64 v[93:96], v90 offset0:30 offset1:31
	buffer_load_dword v81, off, s[24:27], 0 offset:192 ; 4-byte Folded Reload
	buffer_load_dword v82, off, s[24:27], 0 offset:196 ; 4-byte Folded Reload
	buffer_load_dword v83, off, s[24:27], 0 offset:200 ; 4-byte Folded Reload
	buffer_load_dword v84, off, s[24:27], 0 offset:204 ; 4-byte Folded Reload
	s_waitcnt lgkmcnt(0)
	v_mul_f64 v[97:98], v[95:96], v[99:100]
	v_fma_f64 v[97:98], v[93:94], v[125:126], -v[97:98]
	v_mul_f64 v[93:94], v[93:94], v[99:100]
	v_fma_f64 v[93:94], v[95:96], v[125:126], v[93:94]
	s_waitcnt vmcnt(2)
	v_add_f64 v[81:82], v[81:82], -v[97:98]
	s_waitcnt vmcnt(0)
	v_add_f64 v[83:84], v[83:84], -v[93:94]
	buffer_store_dword v81, off, s[24:27], 0 offset:192 ; 4-byte Folded Spill
	s_nop 0
	buffer_store_dword v82, off, s[24:27], 0 offset:196 ; 4-byte Folded Spill
	buffer_store_dword v83, off, s[24:27], 0 offset:200 ; 4-byte Folded Spill
	buffer_store_dword v84, off, s[24:27], 0 offset:204 ; 4-byte Folded Spill
	ds_read2_b64 v[93:96], v90 offset0:32 offset1:33
	buffer_load_dword v81, off, s[24:27], 0 offset:176 ; 4-byte Folded Reload
	buffer_load_dword v82, off, s[24:27], 0 offset:180 ; 4-byte Folded Reload
	buffer_load_dword v83, off, s[24:27], 0 offset:184 ; 4-byte Folded Reload
	buffer_load_dword v84, off, s[24:27], 0 offset:188 ; 4-byte Folded Reload
	s_waitcnt lgkmcnt(0)
	v_mul_f64 v[97:98], v[95:96], v[99:100]
	v_fma_f64 v[97:98], v[93:94], v[125:126], -v[97:98]
	v_mul_f64 v[93:94], v[93:94], v[99:100]
	v_fma_f64 v[93:94], v[95:96], v[125:126], v[93:94]
	s_waitcnt vmcnt(2)
	v_add_f64 v[81:82], v[81:82], -v[97:98]
	s_waitcnt vmcnt(0)
	v_add_f64 v[83:84], v[83:84], -v[93:94]
	buffer_store_dword v81, off, s[24:27], 0 offset:176 ; 4-byte Folded Spill
	s_nop 0
	buffer_store_dword v82, off, s[24:27], 0 offset:180 ; 4-byte Folded Spill
	buffer_store_dword v83, off, s[24:27], 0 offset:184 ; 4-byte Folded Spill
	buffer_store_dword v84, off, s[24:27], 0 offset:188 ; 4-byte Folded Spill
	ds_read2_b64 v[93:96], v90 offset0:34 offset1:35
	buffer_load_dword v81, off, s[24:27], 0 offset:160 ; 4-byte Folded Reload
	buffer_load_dword v82, off, s[24:27], 0 offset:164 ; 4-byte Folded Reload
	buffer_load_dword v83, off, s[24:27], 0 offset:168 ; 4-byte Folded Reload
	buffer_load_dword v84, off, s[24:27], 0 offset:172 ; 4-byte Folded Reload
	s_waitcnt lgkmcnt(0)
	v_mul_f64 v[97:98], v[95:96], v[99:100]
	v_fma_f64 v[97:98], v[93:94], v[125:126], -v[97:98]
	v_mul_f64 v[93:94], v[93:94], v[99:100]
	v_fma_f64 v[93:94], v[95:96], v[125:126], v[93:94]
	s_waitcnt vmcnt(2)
	v_add_f64 v[81:82], v[81:82], -v[97:98]
	s_waitcnt vmcnt(0)
	v_add_f64 v[83:84], v[83:84], -v[93:94]
	buffer_store_dword v81, off, s[24:27], 0 offset:160 ; 4-byte Folded Spill
	s_nop 0
	buffer_store_dword v82, off, s[24:27], 0 offset:164 ; 4-byte Folded Spill
	buffer_store_dword v83, off, s[24:27], 0 offset:168 ; 4-byte Folded Spill
	buffer_store_dword v84, off, s[24:27], 0 offset:172 ; 4-byte Folded Spill
	ds_read2_b64 v[93:96], v90 offset0:36 offset1:37
	buffer_load_dword v81, off, s[24:27], 0 offset:144 ; 4-byte Folded Reload
	buffer_load_dword v82, off, s[24:27], 0 offset:148 ; 4-byte Folded Reload
	buffer_load_dword v83, off, s[24:27], 0 offset:152 ; 4-byte Folded Reload
	buffer_load_dword v84, off, s[24:27], 0 offset:156 ; 4-byte Folded Reload
	s_waitcnt lgkmcnt(0)
	v_mul_f64 v[97:98], v[95:96], v[99:100]
	v_fma_f64 v[97:98], v[93:94], v[125:126], -v[97:98]
	v_mul_f64 v[93:94], v[93:94], v[99:100]
	v_fma_f64 v[93:94], v[95:96], v[125:126], v[93:94]
	s_waitcnt vmcnt(2)
	v_add_f64 v[81:82], v[81:82], -v[97:98]
	s_waitcnt vmcnt(0)
	v_add_f64 v[83:84], v[83:84], -v[93:94]
	buffer_store_dword v81, off, s[24:27], 0 offset:144 ; 4-byte Folded Spill
	s_nop 0
	buffer_store_dword v82, off, s[24:27], 0 offset:148 ; 4-byte Folded Spill
	buffer_store_dword v83, off, s[24:27], 0 offset:152 ; 4-byte Folded Spill
	buffer_store_dword v84, off, s[24:27], 0 offset:156 ; 4-byte Folded Spill
	ds_read2_b64 v[93:96], v90 offset0:38 offset1:39
	buffer_load_dword v81, off, s[24:27], 0 offset:128 ; 4-byte Folded Reload
	buffer_load_dword v82, off, s[24:27], 0 offset:132 ; 4-byte Folded Reload
	buffer_load_dword v83, off, s[24:27], 0 offset:136 ; 4-byte Folded Reload
	buffer_load_dword v84, off, s[24:27], 0 offset:140 ; 4-byte Folded Reload
	s_waitcnt lgkmcnt(0)
	v_mul_f64 v[97:98], v[95:96], v[99:100]
	v_fma_f64 v[97:98], v[93:94], v[125:126], -v[97:98]
	v_mul_f64 v[93:94], v[93:94], v[99:100]
	v_fma_f64 v[93:94], v[95:96], v[125:126], v[93:94]
	s_waitcnt vmcnt(2)
	v_add_f64 v[81:82], v[81:82], -v[97:98]
	s_waitcnt vmcnt(0)
	v_add_f64 v[83:84], v[83:84], -v[93:94]
	buffer_store_dword v81, off, s[24:27], 0 offset:128 ; 4-byte Folded Spill
	s_nop 0
	buffer_store_dword v82, off, s[24:27], 0 offset:132 ; 4-byte Folded Spill
	buffer_store_dword v83, off, s[24:27], 0 offset:136 ; 4-byte Folded Spill
	buffer_store_dword v84, off, s[24:27], 0 offset:140 ; 4-byte Folded Spill
	ds_read2_b64 v[93:96], v90 offset0:40 offset1:41
	buffer_load_dword v81, off, s[24:27], 0 offset:112 ; 4-byte Folded Reload
	buffer_load_dword v82, off, s[24:27], 0 offset:116 ; 4-byte Folded Reload
	buffer_load_dword v83, off, s[24:27], 0 offset:120 ; 4-byte Folded Reload
	buffer_load_dword v84, off, s[24:27], 0 offset:124 ; 4-byte Folded Reload
	s_waitcnt lgkmcnt(0)
	v_mul_f64 v[97:98], v[95:96], v[99:100]
	v_fma_f64 v[97:98], v[93:94], v[125:126], -v[97:98]
	v_mul_f64 v[93:94], v[93:94], v[99:100]
	v_fma_f64 v[93:94], v[95:96], v[125:126], v[93:94]
	s_waitcnt vmcnt(2)
	v_add_f64 v[81:82], v[81:82], -v[97:98]
	s_waitcnt vmcnt(0)
	v_add_f64 v[83:84], v[83:84], -v[93:94]
	buffer_store_dword v81, off, s[24:27], 0 offset:112 ; 4-byte Folded Spill
	s_nop 0
	buffer_store_dword v82, off, s[24:27], 0 offset:116 ; 4-byte Folded Spill
	buffer_store_dword v83, off, s[24:27], 0 offset:120 ; 4-byte Folded Spill
	buffer_store_dword v84, off, s[24:27], 0 offset:124 ; 4-byte Folded Spill
	ds_read2_b64 v[93:96], v90 offset0:42 offset1:43
	buffer_load_dword v81, off, s[24:27], 0 offset:96 ; 4-byte Folded Reload
	buffer_load_dword v82, off, s[24:27], 0 offset:100 ; 4-byte Folded Reload
	buffer_load_dword v83, off, s[24:27], 0 offset:104 ; 4-byte Folded Reload
	buffer_load_dword v84, off, s[24:27], 0 offset:108 ; 4-byte Folded Reload
	s_waitcnt lgkmcnt(0)
	v_mul_f64 v[97:98], v[95:96], v[99:100]
	v_fma_f64 v[97:98], v[93:94], v[125:126], -v[97:98]
	v_mul_f64 v[93:94], v[93:94], v[99:100]
	v_fma_f64 v[93:94], v[95:96], v[125:126], v[93:94]
	s_waitcnt vmcnt(2)
	v_add_f64 v[81:82], v[81:82], -v[97:98]
	s_waitcnt vmcnt(0)
	v_add_f64 v[83:84], v[83:84], -v[93:94]
	buffer_store_dword v81, off, s[24:27], 0 offset:96 ; 4-byte Folded Spill
	s_nop 0
	buffer_store_dword v82, off, s[24:27], 0 offset:100 ; 4-byte Folded Spill
	buffer_store_dword v83, off, s[24:27], 0 offset:104 ; 4-byte Folded Spill
	buffer_store_dword v84, off, s[24:27], 0 offset:108 ; 4-byte Folded Spill
	ds_read2_b64 v[93:96], v90 offset0:44 offset1:45
	buffer_load_dword v81, off, s[24:27], 0 offset:80 ; 4-byte Folded Reload
	buffer_load_dword v82, off, s[24:27], 0 offset:84 ; 4-byte Folded Reload
	buffer_load_dword v83, off, s[24:27], 0 offset:88 ; 4-byte Folded Reload
	buffer_load_dword v84, off, s[24:27], 0 offset:92 ; 4-byte Folded Reload
	s_waitcnt lgkmcnt(0)
	v_mul_f64 v[97:98], v[95:96], v[99:100]
	v_fma_f64 v[97:98], v[93:94], v[125:126], -v[97:98]
	v_mul_f64 v[93:94], v[93:94], v[99:100]
	v_fma_f64 v[93:94], v[95:96], v[125:126], v[93:94]
	s_waitcnt vmcnt(2)
	v_add_f64 v[81:82], v[81:82], -v[97:98]
	s_waitcnt vmcnt(0)
	v_add_f64 v[83:84], v[83:84], -v[93:94]
	buffer_store_dword v81, off, s[24:27], 0 offset:80 ; 4-byte Folded Spill
	s_nop 0
	buffer_store_dword v82, off, s[24:27], 0 offset:84 ; 4-byte Folded Spill
	buffer_store_dword v83, off, s[24:27], 0 offset:88 ; 4-byte Folded Spill
	buffer_store_dword v84, off, s[24:27], 0 offset:92 ; 4-byte Folded Spill
	ds_read2_b64 v[93:96], v90 offset0:46 offset1:47
	buffer_load_dword v81, off, s[24:27], 0 offset:64 ; 4-byte Folded Reload
	buffer_load_dword v82, off, s[24:27], 0 offset:68 ; 4-byte Folded Reload
	buffer_load_dword v83, off, s[24:27], 0 offset:72 ; 4-byte Folded Reload
	buffer_load_dword v84, off, s[24:27], 0 offset:76 ; 4-byte Folded Reload
	s_waitcnt lgkmcnt(0)
	v_mul_f64 v[97:98], v[95:96], v[99:100]
	v_fma_f64 v[97:98], v[93:94], v[125:126], -v[97:98]
	v_mul_f64 v[93:94], v[93:94], v[99:100]
	v_fma_f64 v[93:94], v[95:96], v[125:126], v[93:94]
	s_waitcnt vmcnt(2)
	v_add_f64 v[81:82], v[81:82], -v[97:98]
	s_waitcnt vmcnt(0)
	v_add_f64 v[83:84], v[83:84], -v[93:94]
	buffer_store_dword v81, off, s[24:27], 0 offset:64 ; 4-byte Folded Spill
	s_nop 0
	buffer_store_dword v82, off, s[24:27], 0 offset:68 ; 4-byte Folded Spill
	buffer_store_dword v83, off, s[24:27], 0 offset:72 ; 4-byte Folded Spill
	buffer_store_dword v84, off, s[24:27], 0 offset:76 ; 4-byte Folded Spill
	ds_read2_b64 v[93:96], v90 offset0:48 offset1:49
	buffer_load_dword v81, off, s[24:27], 0 offset:48 ; 4-byte Folded Reload
	buffer_load_dword v82, off, s[24:27], 0 offset:52 ; 4-byte Folded Reload
	buffer_load_dword v83, off, s[24:27], 0 offset:56 ; 4-byte Folded Reload
	buffer_load_dword v84, off, s[24:27], 0 offset:60 ; 4-byte Folded Reload
	s_waitcnt lgkmcnt(0)
	v_mul_f64 v[97:98], v[95:96], v[99:100]
	v_fma_f64 v[97:98], v[93:94], v[125:126], -v[97:98]
	v_mul_f64 v[93:94], v[93:94], v[99:100]
	v_fma_f64 v[93:94], v[95:96], v[125:126], v[93:94]
	s_waitcnt vmcnt(2)
	v_add_f64 v[81:82], v[81:82], -v[97:98]
	s_waitcnt vmcnt(0)
	v_add_f64 v[83:84], v[83:84], -v[93:94]
	buffer_store_dword v81, off, s[24:27], 0 offset:48 ; 4-byte Folded Spill
	s_nop 0
	buffer_store_dword v82, off, s[24:27], 0 offset:52 ; 4-byte Folded Spill
	buffer_store_dword v83, off, s[24:27], 0 offset:56 ; 4-byte Folded Spill
	buffer_store_dword v84, off, s[24:27], 0 offset:60 ; 4-byte Folded Spill
	ds_read2_b64 v[93:96], v90 offset0:50 offset1:51
	buffer_load_dword v81, off, s[24:27], 0 offset:32 ; 4-byte Folded Reload
	buffer_load_dword v82, off, s[24:27], 0 offset:36 ; 4-byte Folded Reload
	buffer_load_dword v83, off, s[24:27], 0 offset:40 ; 4-byte Folded Reload
	buffer_load_dword v84, off, s[24:27], 0 offset:44 ; 4-byte Folded Reload
	s_waitcnt lgkmcnt(0)
	v_mul_f64 v[97:98], v[95:96], v[99:100]
	v_fma_f64 v[97:98], v[93:94], v[125:126], -v[97:98]
	v_mul_f64 v[93:94], v[93:94], v[99:100]
	v_fma_f64 v[93:94], v[95:96], v[125:126], v[93:94]
	s_waitcnt vmcnt(2)
	v_add_f64 v[81:82], v[81:82], -v[97:98]
	s_waitcnt vmcnt(0)
	v_add_f64 v[83:84], v[83:84], -v[93:94]
	buffer_store_dword v81, off, s[24:27], 0 offset:32 ; 4-byte Folded Spill
	s_nop 0
	buffer_store_dword v82, off, s[24:27], 0 offset:36 ; 4-byte Folded Spill
	buffer_store_dword v83, off, s[24:27], 0 offset:40 ; 4-byte Folded Spill
	buffer_store_dword v84, off, s[24:27], 0 offset:44 ; 4-byte Folded Spill
	ds_read2_b64 v[93:96], v90 offset0:52 offset1:53
	buffer_load_dword v81, off, s[24:27], 0 offset:16 ; 4-byte Folded Reload
	buffer_load_dword v82, off, s[24:27], 0 offset:20 ; 4-byte Folded Reload
	buffer_load_dword v83, off, s[24:27], 0 offset:24 ; 4-byte Folded Reload
	buffer_load_dword v84, off, s[24:27], 0 offset:28 ; 4-byte Folded Reload
	s_waitcnt lgkmcnt(0)
	v_mul_f64 v[97:98], v[95:96], v[99:100]
	v_fma_f64 v[97:98], v[93:94], v[125:126], -v[97:98]
	v_mul_f64 v[93:94], v[93:94], v[99:100]
	v_fma_f64 v[93:94], v[95:96], v[125:126], v[93:94]
	s_waitcnt vmcnt(2)
	v_add_f64 v[81:82], v[81:82], -v[97:98]
	s_waitcnt vmcnt(0)
	v_add_f64 v[83:84], v[83:84], -v[93:94]
	buffer_store_dword v81, off, s[24:27], 0 offset:16 ; 4-byte Folded Spill
	s_nop 0
	buffer_store_dword v82, off, s[24:27], 0 offset:20 ; 4-byte Folded Spill
	buffer_store_dword v83, off, s[24:27], 0 offset:24 ; 4-byte Folded Spill
	buffer_store_dword v84, off, s[24:27], 0 offset:28 ; 4-byte Folded Spill
	ds_read2_b64 v[93:96], v90 offset0:54 offset1:55
	buffer_load_dword v81, off, s[24:27], 0 ; 4-byte Folded Reload
	buffer_load_dword v82, off, s[24:27], 0 offset:4 ; 4-byte Folded Reload
	buffer_load_dword v83, off, s[24:27], 0 offset:8 ; 4-byte Folded Reload
	;; [unrolled: 1-line block ×3, first 2 shown]
	s_waitcnt lgkmcnt(0)
	v_mul_f64 v[97:98], v[95:96], v[99:100]
	v_fma_f64 v[97:98], v[93:94], v[125:126], -v[97:98]
	v_mul_f64 v[93:94], v[93:94], v[99:100]
	v_fma_f64 v[93:94], v[95:96], v[125:126], v[93:94]
	s_waitcnt vmcnt(2)
	v_add_f64 v[81:82], v[81:82], -v[97:98]
	s_waitcnt vmcnt(0)
	v_add_f64 v[83:84], v[83:84], -v[93:94]
	buffer_store_dword v81, off, s[24:27], 0 ; 4-byte Folded Spill
	s_nop 0
	buffer_store_dword v82, off, s[24:27], 0 offset:4 ; 4-byte Folded Spill
	buffer_store_dword v83, off, s[24:27], 0 offset:8 ; 4-byte Folded Spill
	;; [unrolled: 1-line block ×3, first 2 shown]
	ds_read2_b64 v[93:96], v90 offset0:56 offset1:57
	s_waitcnt lgkmcnt(0)
	v_mul_f64 v[97:98], v[95:96], v[99:100]
	v_fma_f64 v[97:98], v[93:94], v[125:126], -v[97:98]
	v_mul_f64 v[93:94], v[93:94], v[99:100]
	v_add_f64 v[111:112], v[111:112], -v[97:98]
	v_fma_f64 v[93:94], v[95:96], v[125:126], v[93:94]
	v_add_f64 v[113:114], v[113:114], -v[93:94]
	ds_read2_b64 v[93:96], v90 offset0:58 offset1:59
	s_waitcnt lgkmcnt(0)
	v_mul_f64 v[97:98], v[95:96], v[99:100]
	v_fma_f64 v[97:98], v[93:94], v[125:126], -v[97:98]
	v_mul_f64 v[93:94], v[93:94], v[99:100]
	v_add_f64 v[85:86], v[85:86], -v[97:98]
	v_fma_f64 v[93:94], v[95:96], v[125:126], v[93:94]
	v_add_f64 v[87:88], v[87:88], -v[93:94]
	;; [unrolled: 8-line block ×22, first 2 shown]
	ds_read2_b64 v[93:96], v90 offset0:100 offset1:101
	s_waitcnt lgkmcnt(0)
	v_mul_f64 v[97:98], v[95:96], v[99:100]
	v_fma_f64 v[97:98], v[93:94], v[125:126], -v[97:98]
	v_mul_f64 v[93:94], v[93:94], v[99:100]
	v_add_f64 v[121:122], v[121:122], -v[97:98]
	v_fma_f64 v[93:94], v[95:96], v[125:126], v[93:94]
	v_mov_b32_e32 v97, v125
	v_mov_b32_e32 v98, v126
	buffer_store_dword v97, off, s[24:27], 0 offset:208 ; 4-byte Folded Spill
	s_nop 0
	buffer_store_dword v98, off, s[24:27], 0 offset:212 ; 4-byte Folded Spill
	buffer_store_dword v99, off, s[24:27], 0 offset:216 ; 4-byte Folded Spill
	;; [unrolled: 1-line block ×3, first 2 shown]
	v_add_f64 v[123:124], v[123:124], -v[93:94]
.LBB100_314:
	s_or_b64 exec, exec, s[0:1]
	s_waitcnt vmcnt(0)
	s_barrier
	buffer_load_dword v81, off, s[24:27], 0 offset:192 ; 4-byte Folded Reload
	buffer_load_dword v82, off, s[24:27], 0 offset:196 ; 4-byte Folded Reload
	;; [unrolled: 1-line block ×4, first 2 shown]
	v_lshl_add_u32 v93, v92, 4, v90
	s_cmp_lt_i32 s3, 17
	s_waitcnt vmcnt(0)
	ds_write2_b64 v93, v[81:82], v[83:84] offset1:1
	s_waitcnt lgkmcnt(0)
	s_barrier
	ds_read2_b64 v[117:120], v90 offset0:30 offset1:31
	v_mov_b32_e32 v93, 15
	s_cbranch_scc1 .LBB100_317
; %bb.315:
	v_add_u32_e32 v94, 0x100, v90
	s_mov_b32 s0, 16
	v_mov_b32_e32 v93, 15
.LBB100_316:                            ; =>This Inner Loop Header: Depth=1
	s_waitcnt lgkmcnt(0)
	v_cmp_gt_f64_e32 vcc, 0, v[117:118]
	v_xor_b32_e32 v99, 0x80000000, v118
	ds_read2_b64 v[95:98], v94 offset1:1
	v_xor_b32_e32 v101, 0x80000000, v120
	v_add_u32_e32 v94, 16, v94
	s_waitcnt lgkmcnt(0)
	v_xor_b32_e32 v103, 0x80000000, v98
	v_cndmask_b32_e32 v100, v118, v99, vcc
	v_cmp_gt_f64_e32 vcc, 0, v[119:120]
	v_mov_b32_e32 v99, v117
	v_cndmask_b32_e32 v102, v120, v101, vcc
	v_cmp_gt_f64_e32 vcc, 0, v[95:96]
	v_mov_b32_e32 v101, v119
	v_add_f64 v[99:100], v[99:100], v[101:102]
	v_xor_b32_e32 v101, 0x80000000, v96
	v_cndmask_b32_e32 v102, v96, v101, vcc
	v_cmp_gt_f64_e32 vcc, 0, v[97:98]
	v_mov_b32_e32 v101, v95
	v_cndmask_b32_e32 v104, v98, v103, vcc
	v_mov_b32_e32 v103, v97
	v_add_f64 v[101:102], v[101:102], v[103:104]
	v_cmp_lt_f64_e32 vcc, v[99:100], v[101:102]
	v_cndmask_b32_e32 v117, v117, v95, vcc
	v_mov_b32_e32 v95, s0
	s_add_i32 s0, s0, 1
	v_cndmask_b32_e32 v118, v118, v96, vcc
	v_cndmask_b32_e32 v120, v120, v98, vcc
	;; [unrolled: 1-line block ×4, first 2 shown]
	s_cmp_lg_u32 s3, s0
	s_cbranch_scc1 .LBB100_316
.LBB100_317:
	s_waitcnt lgkmcnt(0)
	v_cmp_eq_f64_e32 vcc, 0, v[117:118]
	v_cmp_eq_f64_e64 s[0:1], 0, v[119:120]
	s_and_b64 s[0:1], vcc, s[0:1]
	s_and_saveexec_b64 s[18:19], s[0:1]
	s_xor_b64 s[0:1], exec, s[18:19]
; %bb.318:
	v_cmp_ne_u32_e32 vcc, 0, v91
	v_cndmask_b32_e32 v91, 16, v91, vcc
; %bb.319:
	s_andn2_saveexec_b64 s[0:1], s[0:1]
	s_cbranch_execz .LBB100_325
; %bb.320:
	v_cmp_ngt_f64_e64 s[18:19], |v[117:118]|, |v[119:120]|
	s_and_saveexec_b64 s[20:21], s[18:19]
	s_xor_b64 s[18:19], exec, s[20:21]
	s_cbranch_execz .LBB100_322
; %bb.321:
	v_div_scale_f64 v[94:95], s[20:21], v[119:120], v[119:120], v[117:118]
	v_rcp_f64_e32 v[96:97], v[94:95]
	v_fma_f64 v[98:99], -v[94:95], v[96:97], 1.0
	v_fma_f64 v[96:97], v[96:97], v[98:99], v[96:97]
	v_div_scale_f64 v[98:99], vcc, v[117:118], v[119:120], v[117:118]
	v_fma_f64 v[100:101], -v[94:95], v[96:97], 1.0
	v_fma_f64 v[96:97], v[96:97], v[100:101], v[96:97]
	v_mul_f64 v[100:101], v[98:99], v[96:97]
	v_fma_f64 v[94:95], -v[94:95], v[100:101], v[98:99]
	v_div_fmas_f64 v[94:95], v[94:95], v[96:97], v[100:101]
	v_div_fixup_f64 v[94:95], v[94:95], v[119:120], v[117:118]
	v_fma_f64 v[96:97], v[117:118], v[94:95], v[119:120]
	v_div_scale_f64 v[98:99], s[20:21], v[96:97], v[96:97], 1.0
	v_div_scale_f64 v[104:105], vcc, 1.0, v[96:97], 1.0
	v_rcp_f64_e32 v[100:101], v[98:99]
	v_fma_f64 v[102:103], -v[98:99], v[100:101], 1.0
	v_fma_f64 v[100:101], v[100:101], v[102:103], v[100:101]
	v_fma_f64 v[102:103], -v[98:99], v[100:101], 1.0
	v_fma_f64 v[100:101], v[100:101], v[102:103], v[100:101]
	v_mul_f64 v[102:103], v[104:105], v[100:101]
	v_fma_f64 v[98:99], -v[98:99], v[102:103], v[104:105]
	v_div_fmas_f64 v[98:99], v[98:99], v[100:101], v[102:103]
	v_div_fixup_f64 v[119:120], v[98:99], v[96:97], 1.0
	v_mul_f64 v[117:118], v[94:95], v[119:120]
	v_xor_b32_e32 v120, 0x80000000, v120
.LBB100_322:
	s_andn2_saveexec_b64 s[18:19], s[18:19]
	s_cbranch_execz .LBB100_324
; %bb.323:
	v_div_scale_f64 v[94:95], s[20:21], v[117:118], v[117:118], v[119:120]
	v_rcp_f64_e32 v[96:97], v[94:95]
	v_fma_f64 v[98:99], -v[94:95], v[96:97], 1.0
	v_fma_f64 v[96:97], v[96:97], v[98:99], v[96:97]
	v_div_scale_f64 v[98:99], vcc, v[119:120], v[117:118], v[119:120]
	v_fma_f64 v[100:101], -v[94:95], v[96:97], 1.0
	v_fma_f64 v[96:97], v[96:97], v[100:101], v[96:97]
	v_mul_f64 v[100:101], v[98:99], v[96:97]
	v_fma_f64 v[94:95], -v[94:95], v[100:101], v[98:99]
	v_div_fmas_f64 v[94:95], v[94:95], v[96:97], v[100:101]
	v_div_fixup_f64 v[94:95], v[94:95], v[117:118], v[119:120]
	v_fma_f64 v[96:97], v[119:120], v[94:95], v[117:118]
	v_div_scale_f64 v[98:99], s[20:21], v[96:97], v[96:97], 1.0
	v_div_scale_f64 v[104:105], vcc, 1.0, v[96:97], 1.0
	v_rcp_f64_e32 v[100:101], v[98:99]
	v_fma_f64 v[102:103], -v[98:99], v[100:101], 1.0
	v_fma_f64 v[100:101], v[100:101], v[102:103], v[100:101]
	v_fma_f64 v[102:103], -v[98:99], v[100:101], 1.0
	v_fma_f64 v[100:101], v[100:101], v[102:103], v[100:101]
	v_mul_f64 v[102:103], v[104:105], v[100:101]
	v_fma_f64 v[98:99], -v[98:99], v[102:103], v[104:105]
	v_div_fmas_f64 v[98:99], v[98:99], v[100:101], v[102:103]
	v_div_fixup_f64 v[117:118], v[98:99], v[96:97], 1.0
	v_mul_f64 v[119:120], v[94:95], -v[117:118]
.LBB100_324:
	s_or_b64 exec, exec, s[18:19]
.LBB100_325:
	s_or_b64 exec, exec, s[0:1]
	v_cmp_ne_u32_e32 vcc, v92, v93
	s_and_saveexec_b64 s[0:1], vcc
	s_xor_b64 s[0:1], exec, s[0:1]
	s_cbranch_execz .LBB100_331
; %bb.326:
	v_cmp_eq_u32_e32 vcc, 15, v92
	s_and_saveexec_b64 s[18:19], vcc
	s_cbranch_execz .LBB100_330
; %bb.327:
	v_cmp_ne_u32_e32 vcc, 15, v93
	s_xor_b64 s[20:21], s[6:7], -1
	s_and_b64 s[22:23], s[20:21], vcc
	s_and_saveexec_b64 s[20:21], s[22:23]
	s_cbranch_execz .LBB100_329
; %bb.328:
	buffer_load_dword v81, off, s[24:27], 0 offset:400 ; 4-byte Folded Reload
	buffer_load_dword v82, off, s[24:27], 0 offset:404 ; 4-byte Folded Reload
	v_ashrrev_i32_e32 v94, 31, v93
	v_lshlrev_b64 v[94:95], 2, v[93:94]
	s_waitcnt vmcnt(1)
	v_add_co_u32_e32 v94, vcc, v81, v94
	s_waitcnt vmcnt(0)
	v_addc_co_u32_e32 v95, vcc, v82, v95, vcc
	global_load_dword v0, v[94:95], off
	global_load_dword v92, v[81:82], off offset:60
	s_waitcnt vmcnt(1)
	global_store_dword v[81:82], v0, off offset:60
	s_waitcnt vmcnt(1)
	global_store_dword v[94:95], v92, off
.LBB100_329:
	s_or_b64 exec, exec, s[20:21]
	v_mov_b32_e32 v92, v93
	v_mov_b32_e32 v0, v93
.LBB100_330:
	s_or_b64 exec, exec, s[18:19]
.LBB100_331:
	s_andn2_saveexec_b64 s[0:1], s[0:1]
	s_cbranch_execz .LBB100_333
; %bb.332:
	buffer_load_dword v81, off, s[24:27], 0 offset:176 ; 4-byte Folded Reload
	buffer_load_dword v82, off, s[24:27], 0 offset:180 ; 4-byte Folded Reload
	;; [unrolled: 1-line block ×4, first 2 shown]
	v_mov_b32_e32 v92, 15
	s_waitcnt vmcnt(0)
	ds_write2_b64 v90, v[81:82], v[83:84] offset0:32 offset1:33
	buffer_load_dword v81, off, s[24:27], 0 offset:160 ; 4-byte Folded Reload
	buffer_load_dword v82, off, s[24:27], 0 offset:164 ; 4-byte Folded Reload
	buffer_load_dword v83, off, s[24:27], 0 offset:168 ; 4-byte Folded Reload
	buffer_load_dword v84, off, s[24:27], 0 offset:172 ; 4-byte Folded Reload
	s_waitcnt vmcnt(0)
	ds_write2_b64 v90, v[81:82], v[83:84] offset0:34 offset1:35
	buffer_load_dword v81, off, s[24:27], 0 offset:144 ; 4-byte Folded Reload
	buffer_load_dword v82, off, s[24:27], 0 offset:148 ; 4-byte Folded Reload
	buffer_load_dword v83, off, s[24:27], 0 offset:152 ; 4-byte Folded Reload
	buffer_load_dword v84, off, s[24:27], 0 offset:156 ; 4-byte Folded Reload
	;; [unrolled: 6-line block ×10, first 2 shown]
	s_waitcnt vmcnt(0)
	ds_write2_b64 v90, v[81:82], v[83:84] offset0:52 offset1:53
	buffer_load_dword v81, off, s[24:27], 0 ; 4-byte Folded Reload
	buffer_load_dword v82, off, s[24:27], 0 offset:4 ; 4-byte Folded Reload
	buffer_load_dword v83, off, s[24:27], 0 offset:8 ; 4-byte Folded Reload
	;; [unrolled: 1-line block ×3, first 2 shown]
	s_waitcnt vmcnt(0)
	ds_write2_b64 v90, v[81:82], v[83:84] offset0:54 offset1:55
	ds_write2_b64 v90, v[111:112], v[113:114] offset0:56 offset1:57
	;; [unrolled: 1-line block ×24, first 2 shown]
.LBB100_333:
	s_or_b64 exec, exec, s[0:1]
	v_cmp_lt_i32_e32 vcc, 15, v92
	s_waitcnt vmcnt(0) lgkmcnt(0)
	s_barrier
	s_and_saveexec_b64 s[0:1], vcc
	s_cbranch_execz .LBB100_335
; %bb.334:
	buffer_load_dword v97, off, s[24:27], 0 offset:192 ; 4-byte Folded Reload
	buffer_load_dword v98, off, s[24:27], 0 offset:196 ; 4-byte Folded Reload
	buffer_load_dword v99, off, s[24:27], 0 offset:200 ; 4-byte Folded Reload
	buffer_load_dword v100, off, s[24:27], 0 offset:204 ; 4-byte Folded Reload
	s_waitcnt vmcnt(0)
	v_mul_f64 v[93:94], v[119:120], v[99:100]
	v_fma_f64 v[125:126], v[117:118], v[97:98], -v[93:94]
	v_mul_f64 v[93:94], v[117:118], v[99:100]
	v_fma_f64 v[99:100], v[119:120], v[97:98], v[93:94]
	ds_read2_b64 v[93:96], v90 offset0:32 offset1:33
	buffer_load_dword v81, off, s[24:27], 0 offset:176 ; 4-byte Folded Reload
	buffer_load_dword v82, off, s[24:27], 0 offset:180 ; 4-byte Folded Reload
	buffer_load_dword v83, off, s[24:27], 0 offset:184 ; 4-byte Folded Reload
	buffer_load_dword v84, off, s[24:27], 0 offset:188 ; 4-byte Folded Reload
	s_waitcnt lgkmcnt(0)
	v_mul_f64 v[97:98], v[95:96], v[99:100]
	v_fma_f64 v[97:98], v[93:94], v[125:126], -v[97:98]
	v_mul_f64 v[93:94], v[93:94], v[99:100]
	v_fma_f64 v[93:94], v[95:96], v[125:126], v[93:94]
	s_waitcnt vmcnt(2)
	v_add_f64 v[81:82], v[81:82], -v[97:98]
	s_waitcnt vmcnt(0)
	v_add_f64 v[83:84], v[83:84], -v[93:94]
	buffer_store_dword v81, off, s[24:27], 0 offset:176 ; 4-byte Folded Spill
	s_nop 0
	buffer_store_dword v82, off, s[24:27], 0 offset:180 ; 4-byte Folded Spill
	buffer_store_dword v83, off, s[24:27], 0 offset:184 ; 4-byte Folded Spill
	buffer_store_dword v84, off, s[24:27], 0 offset:188 ; 4-byte Folded Spill
	ds_read2_b64 v[93:96], v90 offset0:34 offset1:35
	buffer_load_dword v81, off, s[24:27], 0 offset:160 ; 4-byte Folded Reload
	buffer_load_dword v82, off, s[24:27], 0 offset:164 ; 4-byte Folded Reload
	buffer_load_dword v83, off, s[24:27], 0 offset:168 ; 4-byte Folded Reload
	buffer_load_dword v84, off, s[24:27], 0 offset:172 ; 4-byte Folded Reload
	s_waitcnt lgkmcnt(0)
	v_mul_f64 v[97:98], v[95:96], v[99:100]
	v_fma_f64 v[97:98], v[93:94], v[125:126], -v[97:98]
	v_mul_f64 v[93:94], v[93:94], v[99:100]
	v_fma_f64 v[93:94], v[95:96], v[125:126], v[93:94]
	s_waitcnt vmcnt(2)
	v_add_f64 v[81:82], v[81:82], -v[97:98]
	s_waitcnt vmcnt(0)
	v_add_f64 v[83:84], v[83:84], -v[93:94]
	buffer_store_dword v81, off, s[24:27], 0 offset:160 ; 4-byte Folded Spill
	s_nop 0
	buffer_store_dword v82, off, s[24:27], 0 offset:164 ; 4-byte Folded Spill
	buffer_store_dword v83, off, s[24:27], 0 offset:168 ; 4-byte Folded Spill
	buffer_store_dword v84, off, s[24:27], 0 offset:172 ; 4-byte Folded Spill
	;; [unrolled: 19-line block ×11, first 2 shown]
	ds_read2_b64 v[93:96], v90 offset0:54 offset1:55
	buffer_load_dword v81, off, s[24:27], 0 ; 4-byte Folded Reload
	buffer_load_dword v82, off, s[24:27], 0 offset:4 ; 4-byte Folded Reload
	buffer_load_dword v83, off, s[24:27], 0 offset:8 ; 4-byte Folded Reload
	;; [unrolled: 1-line block ×3, first 2 shown]
	s_waitcnt lgkmcnt(0)
	v_mul_f64 v[97:98], v[95:96], v[99:100]
	v_fma_f64 v[97:98], v[93:94], v[125:126], -v[97:98]
	v_mul_f64 v[93:94], v[93:94], v[99:100]
	v_fma_f64 v[93:94], v[95:96], v[125:126], v[93:94]
	s_waitcnt vmcnt(2)
	v_add_f64 v[81:82], v[81:82], -v[97:98]
	s_waitcnt vmcnt(0)
	v_add_f64 v[83:84], v[83:84], -v[93:94]
	buffer_store_dword v81, off, s[24:27], 0 ; 4-byte Folded Spill
	s_nop 0
	buffer_store_dword v82, off, s[24:27], 0 offset:4 ; 4-byte Folded Spill
	buffer_store_dword v83, off, s[24:27], 0 offset:8 ; 4-byte Folded Spill
	buffer_store_dword v84, off, s[24:27], 0 offset:12 ; 4-byte Folded Spill
	ds_read2_b64 v[93:96], v90 offset0:56 offset1:57
	s_waitcnt lgkmcnt(0)
	v_mul_f64 v[97:98], v[95:96], v[99:100]
	v_fma_f64 v[97:98], v[93:94], v[125:126], -v[97:98]
	v_mul_f64 v[93:94], v[93:94], v[99:100]
	v_add_f64 v[111:112], v[111:112], -v[97:98]
	v_fma_f64 v[93:94], v[95:96], v[125:126], v[93:94]
	v_add_f64 v[113:114], v[113:114], -v[93:94]
	ds_read2_b64 v[93:96], v90 offset0:58 offset1:59
	s_waitcnt lgkmcnt(0)
	v_mul_f64 v[97:98], v[95:96], v[99:100]
	v_fma_f64 v[97:98], v[93:94], v[125:126], -v[97:98]
	v_mul_f64 v[93:94], v[93:94], v[99:100]
	v_add_f64 v[85:86], v[85:86], -v[97:98]
	v_fma_f64 v[93:94], v[95:96], v[125:126], v[93:94]
	v_add_f64 v[87:88], v[87:88], -v[93:94]
	;; [unrolled: 8-line block ×22, first 2 shown]
	ds_read2_b64 v[93:96], v90 offset0:100 offset1:101
	s_waitcnt lgkmcnt(0)
	v_mul_f64 v[97:98], v[95:96], v[99:100]
	v_fma_f64 v[97:98], v[93:94], v[125:126], -v[97:98]
	v_mul_f64 v[93:94], v[93:94], v[99:100]
	v_add_f64 v[121:122], v[121:122], -v[97:98]
	v_fma_f64 v[93:94], v[95:96], v[125:126], v[93:94]
	v_mov_b32_e32 v97, v125
	v_mov_b32_e32 v98, v126
	buffer_store_dword v97, off, s[24:27], 0 offset:192 ; 4-byte Folded Spill
	s_nop 0
	buffer_store_dword v98, off, s[24:27], 0 offset:196 ; 4-byte Folded Spill
	buffer_store_dword v99, off, s[24:27], 0 offset:200 ; 4-byte Folded Spill
	;; [unrolled: 1-line block ×3, first 2 shown]
	v_add_f64 v[123:124], v[123:124], -v[93:94]
.LBB100_335:
	s_or_b64 exec, exec, s[0:1]
	s_waitcnt vmcnt(0)
	s_barrier
	buffer_load_dword v81, off, s[24:27], 0 offset:176 ; 4-byte Folded Reload
	buffer_load_dword v82, off, s[24:27], 0 offset:180 ; 4-byte Folded Reload
	;; [unrolled: 1-line block ×4, first 2 shown]
	v_lshl_add_u32 v93, v92, 4, v90
	s_cmp_lt_i32 s3, 18
	s_waitcnt vmcnt(0)
	ds_write2_b64 v93, v[81:82], v[83:84] offset1:1
	s_waitcnt lgkmcnt(0)
	s_barrier
	ds_read2_b64 v[117:120], v90 offset0:32 offset1:33
	v_mov_b32_e32 v93, 16
	s_cbranch_scc1 .LBB100_338
; %bb.336:
	v_add_u32_e32 v94, 0x110, v90
	s_mov_b32 s0, 17
	v_mov_b32_e32 v93, 16
.LBB100_337:                            ; =>This Inner Loop Header: Depth=1
	s_waitcnt lgkmcnt(0)
	v_cmp_gt_f64_e32 vcc, 0, v[117:118]
	v_xor_b32_e32 v99, 0x80000000, v118
	ds_read2_b64 v[95:98], v94 offset1:1
	v_xor_b32_e32 v101, 0x80000000, v120
	v_add_u32_e32 v94, 16, v94
	s_waitcnt lgkmcnt(0)
	v_xor_b32_e32 v103, 0x80000000, v98
	v_cndmask_b32_e32 v100, v118, v99, vcc
	v_cmp_gt_f64_e32 vcc, 0, v[119:120]
	v_mov_b32_e32 v99, v117
	v_cndmask_b32_e32 v102, v120, v101, vcc
	v_cmp_gt_f64_e32 vcc, 0, v[95:96]
	v_mov_b32_e32 v101, v119
	v_add_f64 v[99:100], v[99:100], v[101:102]
	v_xor_b32_e32 v101, 0x80000000, v96
	v_cndmask_b32_e32 v102, v96, v101, vcc
	v_cmp_gt_f64_e32 vcc, 0, v[97:98]
	v_mov_b32_e32 v101, v95
	v_cndmask_b32_e32 v104, v98, v103, vcc
	v_mov_b32_e32 v103, v97
	v_add_f64 v[101:102], v[101:102], v[103:104]
	v_cmp_lt_f64_e32 vcc, v[99:100], v[101:102]
	v_cndmask_b32_e32 v117, v117, v95, vcc
	v_mov_b32_e32 v95, s0
	s_add_i32 s0, s0, 1
	v_cndmask_b32_e32 v118, v118, v96, vcc
	v_cndmask_b32_e32 v120, v120, v98, vcc
	;; [unrolled: 1-line block ×4, first 2 shown]
	s_cmp_lg_u32 s3, s0
	s_cbranch_scc1 .LBB100_337
.LBB100_338:
	s_waitcnt lgkmcnt(0)
	v_cmp_eq_f64_e32 vcc, 0, v[117:118]
	v_cmp_eq_f64_e64 s[0:1], 0, v[119:120]
	s_and_b64 s[0:1], vcc, s[0:1]
	s_and_saveexec_b64 s[18:19], s[0:1]
	s_xor_b64 s[0:1], exec, s[18:19]
; %bb.339:
	v_cmp_ne_u32_e32 vcc, 0, v91
	v_cndmask_b32_e32 v91, 17, v91, vcc
; %bb.340:
	s_andn2_saveexec_b64 s[0:1], s[0:1]
	s_cbranch_execz .LBB100_346
; %bb.341:
	v_cmp_ngt_f64_e64 s[18:19], |v[117:118]|, |v[119:120]|
	s_and_saveexec_b64 s[20:21], s[18:19]
	s_xor_b64 s[18:19], exec, s[20:21]
	s_cbranch_execz .LBB100_343
; %bb.342:
	v_div_scale_f64 v[94:95], s[20:21], v[119:120], v[119:120], v[117:118]
	v_rcp_f64_e32 v[96:97], v[94:95]
	v_fma_f64 v[98:99], -v[94:95], v[96:97], 1.0
	v_fma_f64 v[96:97], v[96:97], v[98:99], v[96:97]
	v_div_scale_f64 v[98:99], vcc, v[117:118], v[119:120], v[117:118]
	v_fma_f64 v[100:101], -v[94:95], v[96:97], 1.0
	v_fma_f64 v[96:97], v[96:97], v[100:101], v[96:97]
	v_mul_f64 v[100:101], v[98:99], v[96:97]
	v_fma_f64 v[94:95], -v[94:95], v[100:101], v[98:99]
	v_div_fmas_f64 v[94:95], v[94:95], v[96:97], v[100:101]
	v_div_fixup_f64 v[94:95], v[94:95], v[119:120], v[117:118]
	v_fma_f64 v[96:97], v[117:118], v[94:95], v[119:120]
	v_div_scale_f64 v[98:99], s[20:21], v[96:97], v[96:97], 1.0
	v_div_scale_f64 v[104:105], vcc, 1.0, v[96:97], 1.0
	v_rcp_f64_e32 v[100:101], v[98:99]
	v_fma_f64 v[102:103], -v[98:99], v[100:101], 1.0
	v_fma_f64 v[100:101], v[100:101], v[102:103], v[100:101]
	v_fma_f64 v[102:103], -v[98:99], v[100:101], 1.0
	v_fma_f64 v[100:101], v[100:101], v[102:103], v[100:101]
	v_mul_f64 v[102:103], v[104:105], v[100:101]
	v_fma_f64 v[98:99], -v[98:99], v[102:103], v[104:105]
	v_div_fmas_f64 v[98:99], v[98:99], v[100:101], v[102:103]
	v_div_fixup_f64 v[119:120], v[98:99], v[96:97], 1.0
	v_mul_f64 v[117:118], v[94:95], v[119:120]
	v_xor_b32_e32 v120, 0x80000000, v120
.LBB100_343:
	s_andn2_saveexec_b64 s[18:19], s[18:19]
	s_cbranch_execz .LBB100_345
; %bb.344:
	v_div_scale_f64 v[94:95], s[20:21], v[117:118], v[117:118], v[119:120]
	v_rcp_f64_e32 v[96:97], v[94:95]
	v_fma_f64 v[98:99], -v[94:95], v[96:97], 1.0
	v_fma_f64 v[96:97], v[96:97], v[98:99], v[96:97]
	v_div_scale_f64 v[98:99], vcc, v[119:120], v[117:118], v[119:120]
	v_fma_f64 v[100:101], -v[94:95], v[96:97], 1.0
	v_fma_f64 v[96:97], v[96:97], v[100:101], v[96:97]
	v_mul_f64 v[100:101], v[98:99], v[96:97]
	v_fma_f64 v[94:95], -v[94:95], v[100:101], v[98:99]
	v_div_fmas_f64 v[94:95], v[94:95], v[96:97], v[100:101]
	v_div_fixup_f64 v[94:95], v[94:95], v[117:118], v[119:120]
	v_fma_f64 v[96:97], v[119:120], v[94:95], v[117:118]
	v_div_scale_f64 v[98:99], s[20:21], v[96:97], v[96:97], 1.0
	v_div_scale_f64 v[104:105], vcc, 1.0, v[96:97], 1.0
	v_rcp_f64_e32 v[100:101], v[98:99]
	v_fma_f64 v[102:103], -v[98:99], v[100:101], 1.0
	v_fma_f64 v[100:101], v[100:101], v[102:103], v[100:101]
	v_fma_f64 v[102:103], -v[98:99], v[100:101], 1.0
	v_fma_f64 v[100:101], v[100:101], v[102:103], v[100:101]
	v_mul_f64 v[102:103], v[104:105], v[100:101]
	v_fma_f64 v[98:99], -v[98:99], v[102:103], v[104:105]
	v_div_fmas_f64 v[98:99], v[98:99], v[100:101], v[102:103]
	v_div_fixup_f64 v[117:118], v[98:99], v[96:97], 1.0
	v_mul_f64 v[119:120], v[94:95], -v[117:118]
.LBB100_345:
	s_or_b64 exec, exec, s[18:19]
.LBB100_346:
	s_or_b64 exec, exec, s[0:1]
	v_cmp_ne_u32_e32 vcc, v92, v93
	s_and_saveexec_b64 s[0:1], vcc
	s_xor_b64 s[0:1], exec, s[0:1]
	s_cbranch_execz .LBB100_352
; %bb.347:
	v_cmp_eq_u32_e32 vcc, 16, v92
	s_and_saveexec_b64 s[18:19], vcc
	s_cbranch_execz .LBB100_351
; %bb.348:
	v_cmp_ne_u32_e32 vcc, 16, v93
	s_xor_b64 s[20:21], s[6:7], -1
	s_and_b64 s[22:23], s[20:21], vcc
	s_and_saveexec_b64 s[20:21], s[22:23]
	s_cbranch_execz .LBB100_350
; %bb.349:
	buffer_load_dword v81, off, s[24:27], 0 offset:400 ; 4-byte Folded Reload
	buffer_load_dword v82, off, s[24:27], 0 offset:404 ; 4-byte Folded Reload
	v_ashrrev_i32_e32 v94, 31, v93
	v_lshlrev_b64 v[94:95], 2, v[93:94]
	s_waitcnt vmcnt(1)
	v_add_co_u32_e32 v94, vcc, v81, v94
	s_waitcnt vmcnt(0)
	v_addc_co_u32_e32 v95, vcc, v82, v95, vcc
	global_load_dword v0, v[94:95], off
	global_load_dword v92, v[81:82], off offset:64
	s_waitcnt vmcnt(1)
	global_store_dword v[81:82], v0, off offset:64
	s_waitcnt vmcnt(1)
	global_store_dword v[94:95], v92, off
.LBB100_350:
	s_or_b64 exec, exec, s[20:21]
	v_mov_b32_e32 v92, v93
	v_mov_b32_e32 v0, v93
.LBB100_351:
	s_or_b64 exec, exec, s[18:19]
.LBB100_352:
	s_andn2_saveexec_b64 s[0:1], s[0:1]
	s_cbranch_execz .LBB100_354
; %bb.353:
	buffer_load_dword v81, off, s[24:27], 0 offset:160 ; 4-byte Folded Reload
	buffer_load_dword v82, off, s[24:27], 0 offset:164 ; 4-byte Folded Reload
	;; [unrolled: 1-line block ×4, first 2 shown]
	v_mov_b32_e32 v92, 16
	s_waitcnt vmcnt(0)
	ds_write2_b64 v90, v[81:82], v[83:84] offset0:34 offset1:35
	buffer_load_dword v81, off, s[24:27], 0 offset:144 ; 4-byte Folded Reload
	buffer_load_dword v82, off, s[24:27], 0 offset:148 ; 4-byte Folded Reload
	buffer_load_dword v83, off, s[24:27], 0 offset:152 ; 4-byte Folded Reload
	buffer_load_dword v84, off, s[24:27], 0 offset:156 ; 4-byte Folded Reload
	s_waitcnt vmcnt(0)
	ds_write2_b64 v90, v[81:82], v[83:84] offset0:36 offset1:37
	buffer_load_dword v81, off, s[24:27], 0 offset:128 ; 4-byte Folded Reload
	buffer_load_dword v82, off, s[24:27], 0 offset:132 ; 4-byte Folded Reload
	buffer_load_dword v83, off, s[24:27], 0 offset:136 ; 4-byte Folded Reload
	buffer_load_dword v84, off, s[24:27], 0 offset:140 ; 4-byte Folded Reload
	;; [unrolled: 6-line block ×9, first 2 shown]
	s_waitcnt vmcnt(0)
	ds_write2_b64 v90, v[81:82], v[83:84] offset0:52 offset1:53
	buffer_load_dword v81, off, s[24:27], 0 ; 4-byte Folded Reload
	buffer_load_dword v82, off, s[24:27], 0 offset:4 ; 4-byte Folded Reload
	buffer_load_dword v83, off, s[24:27], 0 offset:8 ; 4-byte Folded Reload
	;; [unrolled: 1-line block ×3, first 2 shown]
	s_waitcnt vmcnt(0)
	ds_write2_b64 v90, v[81:82], v[83:84] offset0:54 offset1:55
	ds_write2_b64 v90, v[111:112], v[113:114] offset0:56 offset1:57
	;; [unrolled: 1-line block ×24, first 2 shown]
.LBB100_354:
	s_or_b64 exec, exec, s[0:1]
	v_cmp_lt_i32_e32 vcc, 16, v92
	s_waitcnt vmcnt(0) lgkmcnt(0)
	s_barrier
	s_and_saveexec_b64 s[0:1], vcc
	s_cbranch_execz .LBB100_356
; %bb.355:
	buffer_load_dword v97, off, s[24:27], 0 offset:176 ; 4-byte Folded Reload
	buffer_load_dword v98, off, s[24:27], 0 offset:180 ; 4-byte Folded Reload
	;; [unrolled: 1-line block ×4, first 2 shown]
	s_waitcnt vmcnt(0)
	v_mul_f64 v[93:94], v[119:120], v[99:100]
	v_fma_f64 v[125:126], v[117:118], v[97:98], -v[93:94]
	v_mul_f64 v[93:94], v[117:118], v[99:100]
	v_fma_f64 v[99:100], v[119:120], v[97:98], v[93:94]
	ds_read2_b64 v[93:96], v90 offset0:34 offset1:35
	buffer_load_dword v81, off, s[24:27], 0 offset:160 ; 4-byte Folded Reload
	buffer_load_dword v82, off, s[24:27], 0 offset:164 ; 4-byte Folded Reload
	buffer_load_dword v83, off, s[24:27], 0 offset:168 ; 4-byte Folded Reload
	buffer_load_dword v84, off, s[24:27], 0 offset:172 ; 4-byte Folded Reload
	s_waitcnt lgkmcnt(0)
	v_mul_f64 v[97:98], v[95:96], v[99:100]
	v_fma_f64 v[97:98], v[93:94], v[125:126], -v[97:98]
	v_mul_f64 v[93:94], v[93:94], v[99:100]
	v_fma_f64 v[93:94], v[95:96], v[125:126], v[93:94]
	s_waitcnt vmcnt(2)
	v_add_f64 v[81:82], v[81:82], -v[97:98]
	s_waitcnt vmcnt(0)
	v_add_f64 v[83:84], v[83:84], -v[93:94]
	buffer_store_dword v81, off, s[24:27], 0 offset:160 ; 4-byte Folded Spill
	s_nop 0
	buffer_store_dword v82, off, s[24:27], 0 offset:164 ; 4-byte Folded Spill
	buffer_store_dword v83, off, s[24:27], 0 offset:168 ; 4-byte Folded Spill
	buffer_store_dword v84, off, s[24:27], 0 offset:172 ; 4-byte Folded Spill
	ds_read2_b64 v[93:96], v90 offset0:36 offset1:37
	buffer_load_dword v81, off, s[24:27], 0 offset:144 ; 4-byte Folded Reload
	buffer_load_dword v82, off, s[24:27], 0 offset:148 ; 4-byte Folded Reload
	buffer_load_dword v83, off, s[24:27], 0 offset:152 ; 4-byte Folded Reload
	buffer_load_dword v84, off, s[24:27], 0 offset:156 ; 4-byte Folded Reload
	s_waitcnt lgkmcnt(0)
	v_mul_f64 v[97:98], v[95:96], v[99:100]
	v_fma_f64 v[97:98], v[93:94], v[125:126], -v[97:98]
	v_mul_f64 v[93:94], v[93:94], v[99:100]
	v_fma_f64 v[93:94], v[95:96], v[125:126], v[93:94]
	s_waitcnt vmcnt(2)
	v_add_f64 v[81:82], v[81:82], -v[97:98]
	s_waitcnt vmcnt(0)
	v_add_f64 v[83:84], v[83:84], -v[93:94]
	buffer_store_dword v81, off, s[24:27], 0 offset:144 ; 4-byte Folded Spill
	s_nop 0
	buffer_store_dword v82, off, s[24:27], 0 offset:148 ; 4-byte Folded Spill
	buffer_store_dword v83, off, s[24:27], 0 offset:152 ; 4-byte Folded Spill
	buffer_store_dword v84, off, s[24:27], 0 offset:156 ; 4-byte Folded Spill
	;; [unrolled: 19-line block ×10, first 2 shown]
	ds_read2_b64 v[93:96], v90 offset0:54 offset1:55
	buffer_load_dword v81, off, s[24:27], 0 ; 4-byte Folded Reload
	buffer_load_dword v82, off, s[24:27], 0 offset:4 ; 4-byte Folded Reload
	buffer_load_dword v83, off, s[24:27], 0 offset:8 ; 4-byte Folded Reload
	;; [unrolled: 1-line block ×3, first 2 shown]
	s_waitcnt lgkmcnt(0)
	v_mul_f64 v[97:98], v[95:96], v[99:100]
	v_fma_f64 v[97:98], v[93:94], v[125:126], -v[97:98]
	v_mul_f64 v[93:94], v[93:94], v[99:100]
	v_fma_f64 v[93:94], v[95:96], v[125:126], v[93:94]
	s_waitcnt vmcnt(2)
	v_add_f64 v[81:82], v[81:82], -v[97:98]
	s_waitcnt vmcnt(0)
	v_add_f64 v[83:84], v[83:84], -v[93:94]
	buffer_store_dword v81, off, s[24:27], 0 ; 4-byte Folded Spill
	s_nop 0
	buffer_store_dword v82, off, s[24:27], 0 offset:4 ; 4-byte Folded Spill
	buffer_store_dword v83, off, s[24:27], 0 offset:8 ; 4-byte Folded Spill
	;; [unrolled: 1-line block ×3, first 2 shown]
	ds_read2_b64 v[93:96], v90 offset0:56 offset1:57
	s_waitcnt lgkmcnt(0)
	v_mul_f64 v[97:98], v[95:96], v[99:100]
	v_fma_f64 v[97:98], v[93:94], v[125:126], -v[97:98]
	v_mul_f64 v[93:94], v[93:94], v[99:100]
	v_add_f64 v[111:112], v[111:112], -v[97:98]
	v_fma_f64 v[93:94], v[95:96], v[125:126], v[93:94]
	v_add_f64 v[113:114], v[113:114], -v[93:94]
	ds_read2_b64 v[93:96], v90 offset0:58 offset1:59
	s_waitcnt lgkmcnt(0)
	v_mul_f64 v[97:98], v[95:96], v[99:100]
	v_fma_f64 v[97:98], v[93:94], v[125:126], -v[97:98]
	v_mul_f64 v[93:94], v[93:94], v[99:100]
	v_add_f64 v[85:86], v[85:86], -v[97:98]
	v_fma_f64 v[93:94], v[95:96], v[125:126], v[93:94]
	v_add_f64 v[87:88], v[87:88], -v[93:94]
	;; [unrolled: 8-line block ×22, first 2 shown]
	ds_read2_b64 v[93:96], v90 offset0:100 offset1:101
	s_waitcnt lgkmcnt(0)
	v_mul_f64 v[97:98], v[95:96], v[99:100]
	v_fma_f64 v[97:98], v[93:94], v[125:126], -v[97:98]
	v_mul_f64 v[93:94], v[93:94], v[99:100]
	v_add_f64 v[121:122], v[121:122], -v[97:98]
	v_fma_f64 v[93:94], v[95:96], v[125:126], v[93:94]
	v_mov_b32_e32 v97, v125
	v_mov_b32_e32 v98, v126
	buffer_store_dword v97, off, s[24:27], 0 offset:176 ; 4-byte Folded Spill
	s_nop 0
	buffer_store_dword v98, off, s[24:27], 0 offset:180 ; 4-byte Folded Spill
	buffer_store_dword v99, off, s[24:27], 0 offset:184 ; 4-byte Folded Spill
	;; [unrolled: 1-line block ×3, first 2 shown]
	v_add_f64 v[123:124], v[123:124], -v[93:94]
.LBB100_356:
	s_or_b64 exec, exec, s[0:1]
	s_waitcnt vmcnt(0)
	s_barrier
	buffer_load_dword v81, off, s[24:27], 0 offset:160 ; 4-byte Folded Reload
	buffer_load_dword v82, off, s[24:27], 0 offset:164 ; 4-byte Folded Reload
	;; [unrolled: 1-line block ×4, first 2 shown]
	v_lshl_add_u32 v93, v92, 4, v90
	s_cmp_lt_i32 s3, 19
	s_waitcnt vmcnt(0)
	ds_write2_b64 v93, v[81:82], v[83:84] offset1:1
	s_waitcnt lgkmcnt(0)
	s_barrier
	ds_read2_b64 v[117:120], v90 offset0:34 offset1:35
	v_mov_b32_e32 v93, 17
	s_cbranch_scc1 .LBB100_359
; %bb.357:
	v_add_u32_e32 v94, 0x120, v90
	s_mov_b32 s0, 18
	v_mov_b32_e32 v93, 17
.LBB100_358:                            ; =>This Inner Loop Header: Depth=1
	s_waitcnt lgkmcnt(0)
	v_cmp_gt_f64_e32 vcc, 0, v[117:118]
	v_xor_b32_e32 v99, 0x80000000, v118
	ds_read2_b64 v[95:98], v94 offset1:1
	v_xor_b32_e32 v101, 0x80000000, v120
	v_add_u32_e32 v94, 16, v94
	s_waitcnt lgkmcnt(0)
	v_xor_b32_e32 v103, 0x80000000, v98
	v_cndmask_b32_e32 v100, v118, v99, vcc
	v_cmp_gt_f64_e32 vcc, 0, v[119:120]
	v_mov_b32_e32 v99, v117
	v_cndmask_b32_e32 v102, v120, v101, vcc
	v_cmp_gt_f64_e32 vcc, 0, v[95:96]
	v_mov_b32_e32 v101, v119
	v_add_f64 v[99:100], v[99:100], v[101:102]
	v_xor_b32_e32 v101, 0x80000000, v96
	v_cndmask_b32_e32 v102, v96, v101, vcc
	v_cmp_gt_f64_e32 vcc, 0, v[97:98]
	v_mov_b32_e32 v101, v95
	v_cndmask_b32_e32 v104, v98, v103, vcc
	v_mov_b32_e32 v103, v97
	v_add_f64 v[101:102], v[101:102], v[103:104]
	v_cmp_lt_f64_e32 vcc, v[99:100], v[101:102]
	v_cndmask_b32_e32 v117, v117, v95, vcc
	v_mov_b32_e32 v95, s0
	s_add_i32 s0, s0, 1
	v_cndmask_b32_e32 v118, v118, v96, vcc
	v_cndmask_b32_e32 v120, v120, v98, vcc
	;; [unrolled: 1-line block ×4, first 2 shown]
	s_cmp_lg_u32 s3, s0
	s_cbranch_scc1 .LBB100_358
.LBB100_359:
	s_waitcnt lgkmcnt(0)
	v_cmp_eq_f64_e32 vcc, 0, v[117:118]
	v_cmp_eq_f64_e64 s[0:1], 0, v[119:120]
	s_and_b64 s[0:1], vcc, s[0:1]
	s_and_saveexec_b64 s[18:19], s[0:1]
	s_xor_b64 s[0:1], exec, s[18:19]
; %bb.360:
	v_cmp_ne_u32_e32 vcc, 0, v91
	v_cndmask_b32_e32 v91, 18, v91, vcc
; %bb.361:
	s_andn2_saveexec_b64 s[0:1], s[0:1]
	s_cbranch_execz .LBB100_367
; %bb.362:
	v_cmp_ngt_f64_e64 s[18:19], |v[117:118]|, |v[119:120]|
	s_and_saveexec_b64 s[20:21], s[18:19]
	s_xor_b64 s[18:19], exec, s[20:21]
	s_cbranch_execz .LBB100_364
; %bb.363:
	v_div_scale_f64 v[94:95], s[20:21], v[119:120], v[119:120], v[117:118]
	v_rcp_f64_e32 v[96:97], v[94:95]
	v_fma_f64 v[98:99], -v[94:95], v[96:97], 1.0
	v_fma_f64 v[96:97], v[96:97], v[98:99], v[96:97]
	v_div_scale_f64 v[98:99], vcc, v[117:118], v[119:120], v[117:118]
	v_fma_f64 v[100:101], -v[94:95], v[96:97], 1.0
	v_fma_f64 v[96:97], v[96:97], v[100:101], v[96:97]
	v_mul_f64 v[100:101], v[98:99], v[96:97]
	v_fma_f64 v[94:95], -v[94:95], v[100:101], v[98:99]
	v_div_fmas_f64 v[94:95], v[94:95], v[96:97], v[100:101]
	v_div_fixup_f64 v[94:95], v[94:95], v[119:120], v[117:118]
	v_fma_f64 v[96:97], v[117:118], v[94:95], v[119:120]
	v_div_scale_f64 v[98:99], s[20:21], v[96:97], v[96:97], 1.0
	v_div_scale_f64 v[104:105], vcc, 1.0, v[96:97], 1.0
	v_rcp_f64_e32 v[100:101], v[98:99]
	v_fma_f64 v[102:103], -v[98:99], v[100:101], 1.0
	v_fma_f64 v[100:101], v[100:101], v[102:103], v[100:101]
	v_fma_f64 v[102:103], -v[98:99], v[100:101], 1.0
	v_fma_f64 v[100:101], v[100:101], v[102:103], v[100:101]
	v_mul_f64 v[102:103], v[104:105], v[100:101]
	v_fma_f64 v[98:99], -v[98:99], v[102:103], v[104:105]
	v_div_fmas_f64 v[98:99], v[98:99], v[100:101], v[102:103]
	v_div_fixup_f64 v[119:120], v[98:99], v[96:97], 1.0
	v_mul_f64 v[117:118], v[94:95], v[119:120]
	v_xor_b32_e32 v120, 0x80000000, v120
.LBB100_364:
	s_andn2_saveexec_b64 s[18:19], s[18:19]
	s_cbranch_execz .LBB100_366
; %bb.365:
	v_div_scale_f64 v[94:95], s[20:21], v[117:118], v[117:118], v[119:120]
	v_rcp_f64_e32 v[96:97], v[94:95]
	v_fma_f64 v[98:99], -v[94:95], v[96:97], 1.0
	v_fma_f64 v[96:97], v[96:97], v[98:99], v[96:97]
	v_div_scale_f64 v[98:99], vcc, v[119:120], v[117:118], v[119:120]
	v_fma_f64 v[100:101], -v[94:95], v[96:97], 1.0
	v_fma_f64 v[96:97], v[96:97], v[100:101], v[96:97]
	v_mul_f64 v[100:101], v[98:99], v[96:97]
	v_fma_f64 v[94:95], -v[94:95], v[100:101], v[98:99]
	v_div_fmas_f64 v[94:95], v[94:95], v[96:97], v[100:101]
	v_div_fixup_f64 v[94:95], v[94:95], v[117:118], v[119:120]
	v_fma_f64 v[96:97], v[119:120], v[94:95], v[117:118]
	v_div_scale_f64 v[98:99], s[20:21], v[96:97], v[96:97], 1.0
	v_div_scale_f64 v[104:105], vcc, 1.0, v[96:97], 1.0
	v_rcp_f64_e32 v[100:101], v[98:99]
	v_fma_f64 v[102:103], -v[98:99], v[100:101], 1.0
	v_fma_f64 v[100:101], v[100:101], v[102:103], v[100:101]
	v_fma_f64 v[102:103], -v[98:99], v[100:101], 1.0
	v_fma_f64 v[100:101], v[100:101], v[102:103], v[100:101]
	v_mul_f64 v[102:103], v[104:105], v[100:101]
	v_fma_f64 v[98:99], -v[98:99], v[102:103], v[104:105]
	v_div_fmas_f64 v[98:99], v[98:99], v[100:101], v[102:103]
	v_div_fixup_f64 v[117:118], v[98:99], v[96:97], 1.0
	v_mul_f64 v[119:120], v[94:95], -v[117:118]
.LBB100_366:
	s_or_b64 exec, exec, s[18:19]
.LBB100_367:
	s_or_b64 exec, exec, s[0:1]
	v_cmp_ne_u32_e32 vcc, v92, v93
	s_and_saveexec_b64 s[0:1], vcc
	s_xor_b64 s[0:1], exec, s[0:1]
	s_cbranch_execz .LBB100_373
; %bb.368:
	v_cmp_eq_u32_e32 vcc, 17, v92
	s_and_saveexec_b64 s[18:19], vcc
	s_cbranch_execz .LBB100_372
; %bb.369:
	v_cmp_ne_u32_e32 vcc, 17, v93
	s_xor_b64 s[20:21], s[6:7], -1
	s_and_b64 s[22:23], s[20:21], vcc
	s_and_saveexec_b64 s[20:21], s[22:23]
	s_cbranch_execz .LBB100_371
; %bb.370:
	buffer_load_dword v81, off, s[24:27], 0 offset:400 ; 4-byte Folded Reload
	buffer_load_dword v82, off, s[24:27], 0 offset:404 ; 4-byte Folded Reload
	v_ashrrev_i32_e32 v94, 31, v93
	v_lshlrev_b64 v[94:95], 2, v[93:94]
	s_waitcnt vmcnt(1)
	v_add_co_u32_e32 v94, vcc, v81, v94
	s_waitcnt vmcnt(0)
	v_addc_co_u32_e32 v95, vcc, v82, v95, vcc
	global_load_dword v0, v[94:95], off
	global_load_dword v92, v[81:82], off offset:68
	s_waitcnt vmcnt(1)
	global_store_dword v[81:82], v0, off offset:68
	s_waitcnt vmcnt(1)
	global_store_dword v[94:95], v92, off
.LBB100_371:
	s_or_b64 exec, exec, s[20:21]
	v_mov_b32_e32 v92, v93
	v_mov_b32_e32 v0, v93
.LBB100_372:
	s_or_b64 exec, exec, s[18:19]
.LBB100_373:
	s_andn2_saveexec_b64 s[0:1], s[0:1]
	s_cbranch_execz .LBB100_375
; %bb.374:
	buffer_load_dword v81, off, s[24:27], 0 offset:144 ; 4-byte Folded Reload
	buffer_load_dword v82, off, s[24:27], 0 offset:148 ; 4-byte Folded Reload
	;; [unrolled: 1-line block ×4, first 2 shown]
	v_mov_b32_e32 v92, 17
	s_waitcnt vmcnt(0)
	ds_write2_b64 v90, v[81:82], v[83:84] offset0:36 offset1:37
	buffer_load_dword v81, off, s[24:27], 0 offset:128 ; 4-byte Folded Reload
	buffer_load_dword v82, off, s[24:27], 0 offset:132 ; 4-byte Folded Reload
	buffer_load_dword v83, off, s[24:27], 0 offset:136 ; 4-byte Folded Reload
	buffer_load_dword v84, off, s[24:27], 0 offset:140 ; 4-byte Folded Reload
	s_waitcnt vmcnt(0)
	ds_write2_b64 v90, v[81:82], v[83:84] offset0:38 offset1:39
	buffer_load_dword v81, off, s[24:27], 0 offset:112 ; 4-byte Folded Reload
	buffer_load_dword v82, off, s[24:27], 0 offset:116 ; 4-byte Folded Reload
	buffer_load_dword v83, off, s[24:27], 0 offset:120 ; 4-byte Folded Reload
	buffer_load_dword v84, off, s[24:27], 0 offset:124 ; 4-byte Folded Reload
	;; [unrolled: 6-line block ×8, first 2 shown]
	s_waitcnt vmcnt(0)
	ds_write2_b64 v90, v[81:82], v[83:84] offset0:52 offset1:53
	buffer_load_dword v81, off, s[24:27], 0 ; 4-byte Folded Reload
	buffer_load_dword v82, off, s[24:27], 0 offset:4 ; 4-byte Folded Reload
	buffer_load_dword v83, off, s[24:27], 0 offset:8 ; 4-byte Folded Reload
	buffer_load_dword v84, off, s[24:27], 0 offset:12 ; 4-byte Folded Reload
	s_waitcnt vmcnt(0)
	ds_write2_b64 v90, v[81:82], v[83:84] offset0:54 offset1:55
	ds_write2_b64 v90, v[111:112], v[113:114] offset0:56 offset1:57
	;; [unrolled: 1-line block ×24, first 2 shown]
.LBB100_375:
	s_or_b64 exec, exec, s[0:1]
	v_cmp_lt_i32_e32 vcc, 17, v92
	s_waitcnt vmcnt(0) lgkmcnt(0)
	s_barrier
	s_and_saveexec_b64 s[0:1], vcc
	s_cbranch_execz .LBB100_377
; %bb.376:
	buffer_load_dword v97, off, s[24:27], 0 offset:160 ; 4-byte Folded Reload
	buffer_load_dword v98, off, s[24:27], 0 offset:164 ; 4-byte Folded Reload
	;; [unrolled: 1-line block ×4, first 2 shown]
	s_waitcnt vmcnt(0)
	v_mul_f64 v[93:94], v[119:120], v[99:100]
	v_fma_f64 v[125:126], v[117:118], v[97:98], -v[93:94]
	v_mul_f64 v[93:94], v[117:118], v[99:100]
	v_fma_f64 v[99:100], v[119:120], v[97:98], v[93:94]
	ds_read2_b64 v[93:96], v90 offset0:36 offset1:37
	buffer_load_dword v81, off, s[24:27], 0 offset:144 ; 4-byte Folded Reload
	buffer_load_dword v82, off, s[24:27], 0 offset:148 ; 4-byte Folded Reload
	buffer_load_dword v83, off, s[24:27], 0 offset:152 ; 4-byte Folded Reload
	buffer_load_dword v84, off, s[24:27], 0 offset:156 ; 4-byte Folded Reload
	s_waitcnt lgkmcnt(0)
	v_mul_f64 v[97:98], v[95:96], v[99:100]
	v_fma_f64 v[97:98], v[93:94], v[125:126], -v[97:98]
	v_mul_f64 v[93:94], v[93:94], v[99:100]
	v_fma_f64 v[93:94], v[95:96], v[125:126], v[93:94]
	s_waitcnt vmcnt(2)
	v_add_f64 v[81:82], v[81:82], -v[97:98]
	s_waitcnt vmcnt(0)
	v_add_f64 v[83:84], v[83:84], -v[93:94]
	buffer_store_dword v81, off, s[24:27], 0 offset:144 ; 4-byte Folded Spill
	s_nop 0
	buffer_store_dword v82, off, s[24:27], 0 offset:148 ; 4-byte Folded Spill
	buffer_store_dword v83, off, s[24:27], 0 offset:152 ; 4-byte Folded Spill
	buffer_store_dword v84, off, s[24:27], 0 offset:156 ; 4-byte Folded Spill
	ds_read2_b64 v[93:96], v90 offset0:38 offset1:39
	buffer_load_dword v81, off, s[24:27], 0 offset:128 ; 4-byte Folded Reload
	buffer_load_dword v82, off, s[24:27], 0 offset:132 ; 4-byte Folded Reload
	buffer_load_dword v83, off, s[24:27], 0 offset:136 ; 4-byte Folded Reload
	buffer_load_dword v84, off, s[24:27], 0 offset:140 ; 4-byte Folded Reload
	s_waitcnt lgkmcnt(0)
	v_mul_f64 v[97:98], v[95:96], v[99:100]
	v_fma_f64 v[97:98], v[93:94], v[125:126], -v[97:98]
	v_mul_f64 v[93:94], v[93:94], v[99:100]
	v_fma_f64 v[93:94], v[95:96], v[125:126], v[93:94]
	s_waitcnt vmcnt(2)
	v_add_f64 v[81:82], v[81:82], -v[97:98]
	s_waitcnt vmcnt(0)
	v_add_f64 v[83:84], v[83:84], -v[93:94]
	buffer_store_dword v81, off, s[24:27], 0 offset:128 ; 4-byte Folded Spill
	s_nop 0
	buffer_store_dword v82, off, s[24:27], 0 offset:132 ; 4-byte Folded Spill
	buffer_store_dword v83, off, s[24:27], 0 offset:136 ; 4-byte Folded Spill
	buffer_store_dword v84, off, s[24:27], 0 offset:140 ; 4-byte Folded Spill
	ds_read2_b64 v[93:96], v90 offset0:40 offset1:41
	buffer_load_dword v81, off, s[24:27], 0 offset:112 ; 4-byte Folded Reload
	buffer_load_dword v82, off, s[24:27], 0 offset:116 ; 4-byte Folded Reload
	buffer_load_dword v83, off, s[24:27], 0 offset:120 ; 4-byte Folded Reload
	buffer_load_dword v84, off, s[24:27], 0 offset:124 ; 4-byte Folded Reload
	s_waitcnt lgkmcnt(0)
	v_mul_f64 v[97:98], v[95:96], v[99:100]
	v_fma_f64 v[97:98], v[93:94], v[125:126], -v[97:98]
	v_mul_f64 v[93:94], v[93:94], v[99:100]
	v_fma_f64 v[93:94], v[95:96], v[125:126], v[93:94]
	s_waitcnt vmcnt(2)
	v_add_f64 v[81:82], v[81:82], -v[97:98]
	s_waitcnt vmcnt(0)
	v_add_f64 v[83:84], v[83:84], -v[93:94]
	buffer_store_dword v81, off, s[24:27], 0 offset:112 ; 4-byte Folded Spill
	s_nop 0
	buffer_store_dword v82, off, s[24:27], 0 offset:116 ; 4-byte Folded Spill
	buffer_store_dword v83, off, s[24:27], 0 offset:120 ; 4-byte Folded Spill
	buffer_store_dword v84, off, s[24:27], 0 offset:124 ; 4-byte Folded Spill
	ds_read2_b64 v[93:96], v90 offset0:42 offset1:43
	buffer_load_dword v81, off, s[24:27], 0 offset:96 ; 4-byte Folded Reload
	buffer_load_dword v82, off, s[24:27], 0 offset:100 ; 4-byte Folded Reload
	buffer_load_dword v83, off, s[24:27], 0 offset:104 ; 4-byte Folded Reload
	buffer_load_dword v84, off, s[24:27], 0 offset:108 ; 4-byte Folded Reload
	s_waitcnt lgkmcnt(0)
	v_mul_f64 v[97:98], v[95:96], v[99:100]
	v_fma_f64 v[97:98], v[93:94], v[125:126], -v[97:98]
	v_mul_f64 v[93:94], v[93:94], v[99:100]
	v_fma_f64 v[93:94], v[95:96], v[125:126], v[93:94]
	s_waitcnt vmcnt(2)
	v_add_f64 v[81:82], v[81:82], -v[97:98]
	s_waitcnt vmcnt(0)
	v_add_f64 v[83:84], v[83:84], -v[93:94]
	buffer_store_dword v81, off, s[24:27], 0 offset:96 ; 4-byte Folded Spill
	s_nop 0
	buffer_store_dword v82, off, s[24:27], 0 offset:100 ; 4-byte Folded Spill
	buffer_store_dword v83, off, s[24:27], 0 offset:104 ; 4-byte Folded Spill
	buffer_store_dword v84, off, s[24:27], 0 offset:108 ; 4-byte Folded Spill
	ds_read2_b64 v[93:96], v90 offset0:44 offset1:45
	buffer_load_dword v81, off, s[24:27], 0 offset:80 ; 4-byte Folded Reload
	buffer_load_dword v82, off, s[24:27], 0 offset:84 ; 4-byte Folded Reload
	buffer_load_dword v83, off, s[24:27], 0 offset:88 ; 4-byte Folded Reload
	buffer_load_dword v84, off, s[24:27], 0 offset:92 ; 4-byte Folded Reload
	s_waitcnt lgkmcnt(0)
	v_mul_f64 v[97:98], v[95:96], v[99:100]
	v_fma_f64 v[97:98], v[93:94], v[125:126], -v[97:98]
	v_mul_f64 v[93:94], v[93:94], v[99:100]
	v_fma_f64 v[93:94], v[95:96], v[125:126], v[93:94]
	s_waitcnt vmcnt(2)
	v_add_f64 v[81:82], v[81:82], -v[97:98]
	s_waitcnt vmcnt(0)
	v_add_f64 v[83:84], v[83:84], -v[93:94]
	buffer_store_dword v81, off, s[24:27], 0 offset:80 ; 4-byte Folded Spill
	s_nop 0
	buffer_store_dword v82, off, s[24:27], 0 offset:84 ; 4-byte Folded Spill
	buffer_store_dword v83, off, s[24:27], 0 offset:88 ; 4-byte Folded Spill
	buffer_store_dword v84, off, s[24:27], 0 offset:92 ; 4-byte Folded Spill
	ds_read2_b64 v[93:96], v90 offset0:46 offset1:47
	buffer_load_dword v81, off, s[24:27], 0 offset:64 ; 4-byte Folded Reload
	buffer_load_dword v82, off, s[24:27], 0 offset:68 ; 4-byte Folded Reload
	buffer_load_dword v83, off, s[24:27], 0 offset:72 ; 4-byte Folded Reload
	buffer_load_dword v84, off, s[24:27], 0 offset:76 ; 4-byte Folded Reload
	s_waitcnt lgkmcnt(0)
	v_mul_f64 v[97:98], v[95:96], v[99:100]
	v_fma_f64 v[97:98], v[93:94], v[125:126], -v[97:98]
	v_mul_f64 v[93:94], v[93:94], v[99:100]
	v_fma_f64 v[93:94], v[95:96], v[125:126], v[93:94]
	s_waitcnt vmcnt(2)
	v_add_f64 v[81:82], v[81:82], -v[97:98]
	s_waitcnt vmcnt(0)
	v_add_f64 v[83:84], v[83:84], -v[93:94]
	buffer_store_dword v81, off, s[24:27], 0 offset:64 ; 4-byte Folded Spill
	s_nop 0
	buffer_store_dword v82, off, s[24:27], 0 offset:68 ; 4-byte Folded Spill
	buffer_store_dword v83, off, s[24:27], 0 offset:72 ; 4-byte Folded Spill
	buffer_store_dword v84, off, s[24:27], 0 offset:76 ; 4-byte Folded Spill
	ds_read2_b64 v[93:96], v90 offset0:48 offset1:49
	buffer_load_dword v81, off, s[24:27], 0 offset:48 ; 4-byte Folded Reload
	buffer_load_dword v82, off, s[24:27], 0 offset:52 ; 4-byte Folded Reload
	buffer_load_dword v83, off, s[24:27], 0 offset:56 ; 4-byte Folded Reload
	buffer_load_dword v84, off, s[24:27], 0 offset:60 ; 4-byte Folded Reload
	s_waitcnt lgkmcnt(0)
	v_mul_f64 v[97:98], v[95:96], v[99:100]
	v_fma_f64 v[97:98], v[93:94], v[125:126], -v[97:98]
	v_mul_f64 v[93:94], v[93:94], v[99:100]
	v_fma_f64 v[93:94], v[95:96], v[125:126], v[93:94]
	s_waitcnt vmcnt(2)
	v_add_f64 v[81:82], v[81:82], -v[97:98]
	s_waitcnt vmcnt(0)
	v_add_f64 v[83:84], v[83:84], -v[93:94]
	buffer_store_dword v81, off, s[24:27], 0 offset:48 ; 4-byte Folded Spill
	s_nop 0
	buffer_store_dword v82, off, s[24:27], 0 offset:52 ; 4-byte Folded Spill
	buffer_store_dword v83, off, s[24:27], 0 offset:56 ; 4-byte Folded Spill
	buffer_store_dword v84, off, s[24:27], 0 offset:60 ; 4-byte Folded Spill
	ds_read2_b64 v[93:96], v90 offset0:50 offset1:51
	buffer_load_dword v81, off, s[24:27], 0 offset:32 ; 4-byte Folded Reload
	buffer_load_dword v82, off, s[24:27], 0 offset:36 ; 4-byte Folded Reload
	buffer_load_dword v83, off, s[24:27], 0 offset:40 ; 4-byte Folded Reload
	buffer_load_dword v84, off, s[24:27], 0 offset:44 ; 4-byte Folded Reload
	s_waitcnt lgkmcnt(0)
	v_mul_f64 v[97:98], v[95:96], v[99:100]
	v_fma_f64 v[97:98], v[93:94], v[125:126], -v[97:98]
	v_mul_f64 v[93:94], v[93:94], v[99:100]
	v_fma_f64 v[93:94], v[95:96], v[125:126], v[93:94]
	s_waitcnt vmcnt(2)
	v_add_f64 v[81:82], v[81:82], -v[97:98]
	s_waitcnt vmcnt(0)
	v_add_f64 v[83:84], v[83:84], -v[93:94]
	buffer_store_dword v81, off, s[24:27], 0 offset:32 ; 4-byte Folded Spill
	s_nop 0
	buffer_store_dword v82, off, s[24:27], 0 offset:36 ; 4-byte Folded Spill
	buffer_store_dword v83, off, s[24:27], 0 offset:40 ; 4-byte Folded Spill
	buffer_store_dword v84, off, s[24:27], 0 offset:44 ; 4-byte Folded Spill
	ds_read2_b64 v[93:96], v90 offset0:52 offset1:53
	buffer_load_dword v81, off, s[24:27], 0 offset:16 ; 4-byte Folded Reload
	buffer_load_dword v82, off, s[24:27], 0 offset:20 ; 4-byte Folded Reload
	buffer_load_dword v83, off, s[24:27], 0 offset:24 ; 4-byte Folded Reload
	buffer_load_dword v84, off, s[24:27], 0 offset:28 ; 4-byte Folded Reload
	s_waitcnt lgkmcnt(0)
	v_mul_f64 v[97:98], v[95:96], v[99:100]
	v_fma_f64 v[97:98], v[93:94], v[125:126], -v[97:98]
	v_mul_f64 v[93:94], v[93:94], v[99:100]
	v_fma_f64 v[93:94], v[95:96], v[125:126], v[93:94]
	s_waitcnt vmcnt(2)
	v_add_f64 v[81:82], v[81:82], -v[97:98]
	s_waitcnt vmcnt(0)
	v_add_f64 v[83:84], v[83:84], -v[93:94]
	buffer_store_dword v81, off, s[24:27], 0 offset:16 ; 4-byte Folded Spill
	s_nop 0
	buffer_store_dword v82, off, s[24:27], 0 offset:20 ; 4-byte Folded Spill
	buffer_store_dword v83, off, s[24:27], 0 offset:24 ; 4-byte Folded Spill
	buffer_store_dword v84, off, s[24:27], 0 offset:28 ; 4-byte Folded Spill
	ds_read2_b64 v[93:96], v90 offset0:54 offset1:55
	buffer_load_dword v81, off, s[24:27], 0 ; 4-byte Folded Reload
	buffer_load_dword v82, off, s[24:27], 0 offset:4 ; 4-byte Folded Reload
	buffer_load_dword v83, off, s[24:27], 0 offset:8 ; 4-byte Folded Reload
	;; [unrolled: 1-line block ×3, first 2 shown]
	s_waitcnt lgkmcnt(0)
	v_mul_f64 v[97:98], v[95:96], v[99:100]
	v_fma_f64 v[97:98], v[93:94], v[125:126], -v[97:98]
	v_mul_f64 v[93:94], v[93:94], v[99:100]
	v_fma_f64 v[93:94], v[95:96], v[125:126], v[93:94]
	s_waitcnt vmcnt(2)
	v_add_f64 v[81:82], v[81:82], -v[97:98]
	s_waitcnt vmcnt(0)
	v_add_f64 v[83:84], v[83:84], -v[93:94]
	buffer_store_dword v81, off, s[24:27], 0 ; 4-byte Folded Spill
	s_nop 0
	buffer_store_dword v82, off, s[24:27], 0 offset:4 ; 4-byte Folded Spill
	buffer_store_dword v83, off, s[24:27], 0 offset:8 ; 4-byte Folded Spill
	;; [unrolled: 1-line block ×3, first 2 shown]
	ds_read2_b64 v[93:96], v90 offset0:56 offset1:57
	s_waitcnt lgkmcnt(0)
	v_mul_f64 v[97:98], v[95:96], v[99:100]
	v_fma_f64 v[97:98], v[93:94], v[125:126], -v[97:98]
	v_mul_f64 v[93:94], v[93:94], v[99:100]
	v_add_f64 v[111:112], v[111:112], -v[97:98]
	v_fma_f64 v[93:94], v[95:96], v[125:126], v[93:94]
	v_add_f64 v[113:114], v[113:114], -v[93:94]
	ds_read2_b64 v[93:96], v90 offset0:58 offset1:59
	s_waitcnt lgkmcnt(0)
	v_mul_f64 v[97:98], v[95:96], v[99:100]
	v_fma_f64 v[97:98], v[93:94], v[125:126], -v[97:98]
	v_mul_f64 v[93:94], v[93:94], v[99:100]
	v_add_f64 v[85:86], v[85:86], -v[97:98]
	v_fma_f64 v[93:94], v[95:96], v[125:126], v[93:94]
	v_add_f64 v[87:88], v[87:88], -v[93:94]
	ds_read2_b64 v[93:96], v90 offset0:60 offset1:61
	s_waitcnt lgkmcnt(0)
	v_mul_f64 v[97:98], v[95:96], v[99:100]
	v_fma_f64 v[97:98], v[93:94], v[125:126], -v[97:98]
	v_mul_f64 v[93:94], v[93:94], v[99:100]
	v_add_f64 v[77:78], v[77:78], -v[97:98]
	v_fma_f64 v[93:94], v[95:96], v[125:126], v[93:94]
	v_add_f64 v[79:80], v[79:80], -v[93:94]
	ds_read2_b64 v[93:96], v90 offset0:62 offset1:63
	s_waitcnt lgkmcnt(0)
	v_mul_f64 v[97:98], v[95:96], v[99:100]
	v_fma_f64 v[97:98], v[93:94], v[125:126], -v[97:98]
	v_mul_f64 v[93:94], v[93:94], v[99:100]
	v_add_f64 v[73:74], v[73:74], -v[97:98]
	v_fma_f64 v[93:94], v[95:96], v[125:126], v[93:94]
	v_add_f64 v[75:76], v[75:76], -v[93:94]
	ds_read2_b64 v[93:96], v90 offset0:64 offset1:65
	s_waitcnt lgkmcnt(0)
	v_mul_f64 v[97:98], v[95:96], v[99:100]
	v_fma_f64 v[97:98], v[93:94], v[125:126], -v[97:98]
	v_mul_f64 v[93:94], v[93:94], v[99:100]
	v_add_f64 v[69:70], v[69:70], -v[97:98]
	v_fma_f64 v[93:94], v[95:96], v[125:126], v[93:94]
	v_add_f64 v[71:72], v[71:72], -v[93:94]
	ds_read2_b64 v[93:96], v90 offset0:66 offset1:67
	s_waitcnt lgkmcnt(0)
	v_mul_f64 v[97:98], v[95:96], v[99:100]
	v_fma_f64 v[97:98], v[93:94], v[125:126], -v[97:98]
	v_mul_f64 v[93:94], v[93:94], v[99:100]
	v_add_f64 v[65:66], v[65:66], -v[97:98]
	v_fma_f64 v[93:94], v[95:96], v[125:126], v[93:94]
	v_add_f64 v[67:68], v[67:68], -v[93:94]
	ds_read2_b64 v[93:96], v90 offset0:68 offset1:69
	s_waitcnt lgkmcnt(0)
	v_mul_f64 v[97:98], v[95:96], v[99:100]
	v_fma_f64 v[97:98], v[93:94], v[125:126], -v[97:98]
	v_mul_f64 v[93:94], v[93:94], v[99:100]
	v_add_f64 v[61:62], v[61:62], -v[97:98]
	v_fma_f64 v[93:94], v[95:96], v[125:126], v[93:94]
	v_add_f64 v[63:64], v[63:64], -v[93:94]
	ds_read2_b64 v[93:96], v90 offset0:70 offset1:71
	s_waitcnt lgkmcnt(0)
	v_mul_f64 v[97:98], v[95:96], v[99:100]
	v_fma_f64 v[97:98], v[93:94], v[125:126], -v[97:98]
	v_mul_f64 v[93:94], v[93:94], v[99:100]
	v_add_f64 v[57:58], v[57:58], -v[97:98]
	v_fma_f64 v[93:94], v[95:96], v[125:126], v[93:94]
	v_add_f64 v[59:60], v[59:60], -v[93:94]
	ds_read2_b64 v[93:96], v90 offset0:72 offset1:73
	s_waitcnt lgkmcnt(0)
	v_mul_f64 v[97:98], v[95:96], v[99:100]
	v_fma_f64 v[97:98], v[93:94], v[125:126], -v[97:98]
	v_mul_f64 v[93:94], v[93:94], v[99:100]
	v_add_f64 v[53:54], v[53:54], -v[97:98]
	v_fma_f64 v[93:94], v[95:96], v[125:126], v[93:94]
	v_add_f64 v[55:56], v[55:56], -v[93:94]
	ds_read2_b64 v[93:96], v90 offset0:74 offset1:75
	s_waitcnt lgkmcnt(0)
	v_mul_f64 v[97:98], v[95:96], v[99:100]
	v_fma_f64 v[97:98], v[93:94], v[125:126], -v[97:98]
	v_mul_f64 v[93:94], v[93:94], v[99:100]
	v_add_f64 v[49:50], v[49:50], -v[97:98]
	v_fma_f64 v[93:94], v[95:96], v[125:126], v[93:94]
	v_add_f64 v[51:52], v[51:52], -v[93:94]
	ds_read2_b64 v[93:96], v90 offset0:76 offset1:77
	s_waitcnt lgkmcnt(0)
	v_mul_f64 v[97:98], v[95:96], v[99:100]
	v_fma_f64 v[97:98], v[93:94], v[125:126], -v[97:98]
	v_mul_f64 v[93:94], v[93:94], v[99:100]
	v_add_f64 v[45:46], v[45:46], -v[97:98]
	v_fma_f64 v[93:94], v[95:96], v[125:126], v[93:94]
	v_add_f64 v[47:48], v[47:48], -v[93:94]
	ds_read2_b64 v[93:96], v90 offset0:78 offset1:79
	s_waitcnt lgkmcnt(0)
	v_mul_f64 v[97:98], v[95:96], v[99:100]
	v_fma_f64 v[97:98], v[93:94], v[125:126], -v[97:98]
	v_mul_f64 v[93:94], v[93:94], v[99:100]
	v_add_f64 v[41:42], v[41:42], -v[97:98]
	v_fma_f64 v[93:94], v[95:96], v[125:126], v[93:94]
	v_add_f64 v[43:44], v[43:44], -v[93:94]
	ds_read2_b64 v[93:96], v90 offset0:80 offset1:81
	s_waitcnt lgkmcnt(0)
	v_mul_f64 v[97:98], v[95:96], v[99:100]
	v_fma_f64 v[97:98], v[93:94], v[125:126], -v[97:98]
	v_mul_f64 v[93:94], v[93:94], v[99:100]
	v_add_f64 v[37:38], v[37:38], -v[97:98]
	v_fma_f64 v[93:94], v[95:96], v[125:126], v[93:94]
	v_add_f64 v[39:40], v[39:40], -v[93:94]
	ds_read2_b64 v[93:96], v90 offset0:82 offset1:83
	s_waitcnt lgkmcnt(0)
	v_mul_f64 v[97:98], v[95:96], v[99:100]
	v_fma_f64 v[97:98], v[93:94], v[125:126], -v[97:98]
	v_mul_f64 v[93:94], v[93:94], v[99:100]
	v_add_f64 v[33:34], v[33:34], -v[97:98]
	v_fma_f64 v[93:94], v[95:96], v[125:126], v[93:94]
	v_add_f64 v[35:36], v[35:36], -v[93:94]
	ds_read2_b64 v[93:96], v90 offset0:84 offset1:85
	s_waitcnt lgkmcnt(0)
	v_mul_f64 v[97:98], v[95:96], v[99:100]
	v_fma_f64 v[97:98], v[93:94], v[125:126], -v[97:98]
	v_mul_f64 v[93:94], v[93:94], v[99:100]
	v_add_f64 v[29:30], v[29:30], -v[97:98]
	v_fma_f64 v[93:94], v[95:96], v[125:126], v[93:94]
	v_add_f64 v[31:32], v[31:32], -v[93:94]
	ds_read2_b64 v[93:96], v90 offset0:86 offset1:87
	s_waitcnt lgkmcnt(0)
	v_mul_f64 v[97:98], v[95:96], v[99:100]
	v_fma_f64 v[97:98], v[93:94], v[125:126], -v[97:98]
	v_mul_f64 v[93:94], v[93:94], v[99:100]
	v_add_f64 v[25:26], v[25:26], -v[97:98]
	v_fma_f64 v[93:94], v[95:96], v[125:126], v[93:94]
	v_add_f64 v[27:28], v[27:28], -v[93:94]
	ds_read2_b64 v[93:96], v90 offset0:88 offset1:89
	s_waitcnt lgkmcnt(0)
	v_mul_f64 v[97:98], v[95:96], v[99:100]
	v_fma_f64 v[97:98], v[93:94], v[125:126], -v[97:98]
	v_mul_f64 v[93:94], v[93:94], v[99:100]
	v_add_f64 v[21:22], v[21:22], -v[97:98]
	v_fma_f64 v[93:94], v[95:96], v[125:126], v[93:94]
	v_add_f64 v[23:24], v[23:24], -v[93:94]
	ds_read2_b64 v[93:96], v90 offset0:90 offset1:91
	s_waitcnt lgkmcnt(0)
	v_mul_f64 v[97:98], v[95:96], v[99:100]
	v_fma_f64 v[97:98], v[93:94], v[125:126], -v[97:98]
	v_mul_f64 v[93:94], v[93:94], v[99:100]
	v_add_f64 v[17:18], v[17:18], -v[97:98]
	v_fma_f64 v[93:94], v[95:96], v[125:126], v[93:94]
	v_add_f64 v[19:20], v[19:20], -v[93:94]
	ds_read2_b64 v[93:96], v90 offset0:92 offset1:93
	s_waitcnt lgkmcnt(0)
	v_mul_f64 v[97:98], v[95:96], v[99:100]
	v_fma_f64 v[97:98], v[93:94], v[125:126], -v[97:98]
	v_mul_f64 v[93:94], v[93:94], v[99:100]
	v_add_f64 v[13:14], v[13:14], -v[97:98]
	v_fma_f64 v[93:94], v[95:96], v[125:126], v[93:94]
	v_add_f64 v[15:16], v[15:16], -v[93:94]
	ds_read2_b64 v[93:96], v90 offset0:94 offset1:95
	s_waitcnt lgkmcnt(0)
	v_mul_f64 v[97:98], v[95:96], v[99:100]
	v_fma_f64 v[97:98], v[93:94], v[125:126], -v[97:98]
	v_mul_f64 v[93:94], v[93:94], v[99:100]
	v_add_f64 v[9:10], v[9:10], -v[97:98]
	v_fma_f64 v[93:94], v[95:96], v[125:126], v[93:94]
	v_add_f64 v[11:12], v[11:12], -v[93:94]
	ds_read2_b64 v[93:96], v90 offset0:96 offset1:97
	s_waitcnt lgkmcnt(0)
	v_mul_f64 v[97:98], v[95:96], v[99:100]
	v_fma_f64 v[97:98], v[93:94], v[125:126], -v[97:98]
	v_mul_f64 v[93:94], v[93:94], v[99:100]
	v_add_f64 v[5:6], v[5:6], -v[97:98]
	v_fma_f64 v[93:94], v[95:96], v[125:126], v[93:94]
	v_add_f64 v[7:8], v[7:8], -v[93:94]
	ds_read2_b64 v[93:96], v90 offset0:98 offset1:99
	s_waitcnt lgkmcnt(0)
	v_mul_f64 v[97:98], v[95:96], v[99:100]
	v_fma_f64 v[97:98], v[93:94], v[125:126], -v[97:98]
	v_mul_f64 v[93:94], v[93:94], v[99:100]
	v_add_f64 v[1:2], v[1:2], -v[97:98]
	v_fma_f64 v[93:94], v[95:96], v[125:126], v[93:94]
	v_add_f64 v[3:4], v[3:4], -v[93:94]
	ds_read2_b64 v[93:96], v90 offset0:100 offset1:101
	s_waitcnt lgkmcnt(0)
	v_mul_f64 v[97:98], v[95:96], v[99:100]
	v_fma_f64 v[97:98], v[93:94], v[125:126], -v[97:98]
	v_mul_f64 v[93:94], v[93:94], v[99:100]
	v_add_f64 v[121:122], v[121:122], -v[97:98]
	v_fma_f64 v[93:94], v[95:96], v[125:126], v[93:94]
	v_mov_b32_e32 v97, v125
	v_mov_b32_e32 v98, v126
	buffer_store_dword v97, off, s[24:27], 0 offset:160 ; 4-byte Folded Spill
	s_nop 0
	buffer_store_dword v98, off, s[24:27], 0 offset:164 ; 4-byte Folded Spill
	buffer_store_dword v99, off, s[24:27], 0 offset:168 ; 4-byte Folded Spill
	;; [unrolled: 1-line block ×3, first 2 shown]
	v_add_f64 v[123:124], v[123:124], -v[93:94]
.LBB100_377:
	s_or_b64 exec, exec, s[0:1]
	s_waitcnt vmcnt(0)
	s_barrier
	buffer_load_dword v81, off, s[24:27], 0 offset:144 ; 4-byte Folded Reload
	buffer_load_dword v82, off, s[24:27], 0 offset:148 ; 4-byte Folded Reload
	buffer_load_dword v83, off, s[24:27], 0 offset:152 ; 4-byte Folded Reload
	buffer_load_dword v84, off, s[24:27], 0 offset:156 ; 4-byte Folded Reload
	v_lshl_add_u32 v93, v92, 4, v90
	s_cmp_lt_i32 s3, 20
	s_waitcnt vmcnt(0)
	ds_write2_b64 v93, v[81:82], v[83:84] offset1:1
	s_waitcnt lgkmcnt(0)
	s_barrier
	ds_read2_b64 v[117:120], v90 offset0:36 offset1:37
	v_mov_b32_e32 v93, 18
	s_cbranch_scc1 .LBB100_380
; %bb.378:
	v_add_u32_e32 v94, 0x130, v90
	s_mov_b32 s0, 19
	v_mov_b32_e32 v93, 18
.LBB100_379:                            ; =>This Inner Loop Header: Depth=1
	s_waitcnt lgkmcnt(0)
	v_cmp_gt_f64_e32 vcc, 0, v[117:118]
	v_xor_b32_e32 v99, 0x80000000, v118
	ds_read2_b64 v[95:98], v94 offset1:1
	v_xor_b32_e32 v101, 0x80000000, v120
	v_add_u32_e32 v94, 16, v94
	s_waitcnt lgkmcnt(0)
	v_xor_b32_e32 v103, 0x80000000, v98
	v_cndmask_b32_e32 v100, v118, v99, vcc
	v_cmp_gt_f64_e32 vcc, 0, v[119:120]
	v_mov_b32_e32 v99, v117
	v_cndmask_b32_e32 v102, v120, v101, vcc
	v_cmp_gt_f64_e32 vcc, 0, v[95:96]
	v_mov_b32_e32 v101, v119
	v_add_f64 v[99:100], v[99:100], v[101:102]
	v_xor_b32_e32 v101, 0x80000000, v96
	v_cndmask_b32_e32 v102, v96, v101, vcc
	v_cmp_gt_f64_e32 vcc, 0, v[97:98]
	v_mov_b32_e32 v101, v95
	v_cndmask_b32_e32 v104, v98, v103, vcc
	v_mov_b32_e32 v103, v97
	v_add_f64 v[101:102], v[101:102], v[103:104]
	v_cmp_lt_f64_e32 vcc, v[99:100], v[101:102]
	v_cndmask_b32_e32 v117, v117, v95, vcc
	v_mov_b32_e32 v95, s0
	s_add_i32 s0, s0, 1
	v_cndmask_b32_e32 v118, v118, v96, vcc
	v_cndmask_b32_e32 v120, v120, v98, vcc
	v_cndmask_b32_e32 v119, v119, v97, vcc
	v_cndmask_b32_e32 v93, v93, v95, vcc
	s_cmp_lg_u32 s3, s0
	s_cbranch_scc1 .LBB100_379
.LBB100_380:
	s_waitcnt lgkmcnt(0)
	v_cmp_eq_f64_e32 vcc, 0, v[117:118]
	v_cmp_eq_f64_e64 s[0:1], 0, v[119:120]
	s_and_b64 s[0:1], vcc, s[0:1]
	s_and_saveexec_b64 s[18:19], s[0:1]
	s_xor_b64 s[0:1], exec, s[18:19]
; %bb.381:
	v_cmp_ne_u32_e32 vcc, 0, v91
	v_cndmask_b32_e32 v91, 19, v91, vcc
; %bb.382:
	s_andn2_saveexec_b64 s[0:1], s[0:1]
	s_cbranch_execz .LBB100_388
; %bb.383:
	v_cmp_ngt_f64_e64 s[18:19], |v[117:118]|, |v[119:120]|
	s_and_saveexec_b64 s[20:21], s[18:19]
	s_xor_b64 s[18:19], exec, s[20:21]
	s_cbranch_execz .LBB100_385
; %bb.384:
	v_div_scale_f64 v[94:95], s[20:21], v[119:120], v[119:120], v[117:118]
	v_rcp_f64_e32 v[96:97], v[94:95]
	v_fma_f64 v[98:99], -v[94:95], v[96:97], 1.0
	v_fma_f64 v[96:97], v[96:97], v[98:99], v[96:97]
	v_div_scale_f64 v[98:99], vcc, v[117:118], v[119:120], v[117:118]
	v_fma_f64 v[100:101], -v[94:95], v[96:97], 1.0
	v_fma_f64 v[96:97], v[96:97], v[100:101], v[96:97]
	v_mul_f64 v[100:101], v[98:99], v[96:97]
	v_fma_f64 v[94:95], -v[94:95], v[100:101], v[98:99]
	v_div_fmas_f64 v[94:95], v[94:95], v[96:97], v[100:101]
	v_div_fixup_f64 v[94:95], v[94:95], v[119:120], v[117:118]
	v_fma_f64 v[96:97], v[117:118], v[94:95], v[119:120]
	v_div_scale_f64 v[98:99], s[20:21], v[96:97], v[96:97], 1.0
	v_div_scale_f64 v[104:105], vcc, 1.0, v[96:97], 1.0
	v_rcp_f64_e32 v[100:101], v[98:99]
	v_fma_f64 v[102:103], -v[98:99], v[100:101], 1.0
	v_fma_f64 v[100:101], v[100:101], v[102:103], v[100:101]
	v_fma_f64 v[102:103], -v[98:99], v[100:101], 1.0
	v_fma_f64 v[100:101], v[100:101], v[102:103], v[100:101]
	v_mul_f64 v[102:103], v[104:105], v[100:101]
	v_fma_f64 v[98:99], -v[98:99], v[102:103], v[104:105]
	v_div_fmas_f64 v[98:99], v[98:99], v[100:101], v[102:103]
	v_div_fixup_f64 v[119:120], v[98:99], v[96:97], 1.0
	v_mul_f64 v[117:118], v[94:95], v[119:120]
	v_xor_b32_e32 v120, 0x80000000, v120
.LBB100_385:
	s_andn2_saveexec_b64 s[18:19], s[18:19]
	s_cbranch_execz .LBB100_387
; %bb.386:
	v_div_scale_f64 v[94:95], s[20:21], v[117:118], v[117:118], v[119:120]
	v_rcp_f64_e32 v[96:97], v[94:95]
	v_fma_f64 v[98:99], -v[94:95], v[96:97], 1.0
	v_fma_f64 v[96:97], v[96:97], v[98:99], v[96:97]
	v_div_scale_f64 v[98:99], vcc, v[119:120], v[117:118], v[119:120]
	v_fma_f64 v[100:101], -v[94:95], v[96:97], 1.0
	v_fma_f64 v[96:97], v[96:97], v[100:101], v[96:97]
	v_mul_f64 v[100:101], v[98:99], v[96:97]
	v_fma_f64 v[94:95], -v[94:95], v[100:101], v[98:99]
	v_div_fmas_f64 v[94:95], v[94:95], v[96:97], v[100:101]
	v_div_fixup_f64 v[94:95], v[94:95], v[117:118], v[119:120]
	v_fma_f64 v[96:97], v[119:120], v[94:95], v[117:118]
	v_div_scale_f64 v[98:99], s[20:21], v[96:97], v[96:97], 1.0
	v_div_scale_f64 v[104:105], vcc, 1.0, v[96:97], 1.0
	v_rcp_f64_e32 v[100:101], v[98:99]
	v_fma_f64 v[102:103], -v[98:99], v[100:101], 1.0
	v_fma_f64 v[100:101], v[100:101], v[102:103], v[100:101]
	v_fma_f64 v[102:103], -v[98:99], v[100:101], 1.0
	v_fma_f64 v[100:101], v[100:101], v[102:103], v[100:101]
	v_mul_f64 v[102:103], v[104:105], v[100:101]
	v_fma_f64 v[98:99], -v[98:99], v[102:103], v[104:105]
	v_div_fmas_f64 v[98:99], v[98:99], v[100:101], v[102:103]
	v_div_fixup_f64 v[117:118], v[98:99], v[96:97], 1.0
	v_mul_f64 v[119:120], v[94:95], -v[117:118]
.LBB100_387:
	s_or_b64 exec, exec, s[18:19]
.LBB100_388:
	s_or_b64 exec, exec, s[0:1]
	v_cmp_ne_u32_e32 vcc, v92, v93
	s_and_saveexec_b64 s[0:1], vcc
	s_xor_b64 s[0:1], exec, s[0:1]
	s_cbranch_execz .LBB100_394
; %bb.389:
	v_cmp_eq_u32_e32 vcc, 18, v92
	s_and_saveexec_b64 s[18:19], vcc
	s_cbranch_execz .LBB100_393
; %bb.390:
	v_cmp_ne_u32_e32 vcc, 18, v93
	s_xor_b64 s[20:21], s[6:7], -1
	s_and_b64 s[22:23], s[20:21], vcc
	s_and_saveexec_b64 s[20:21], s[22:23]
	s_cbranch_execz .LBB100_392
; %bb.391:
	buffer_load_dword v81, off, s[24:27], 0 offset:400 ; 4-byte Folded Reload
	buffer_load_dword v82, off, s[24:27], 0 offset:404 ; 4-byte Folded Reload
	v_ashrrev_i32_e32 v94, 31, v93
	v_lshlrev_b64 v[94:95], 2, v[93:94]
	s_waitcnt vmcnt(1)
	v_add_co_u32_e32 v94, vcc, v81, v94
	s_waitcnt vmcnt(0)
	v_addc_co_u32_e32 v95, vcc, v82, v95, vcc
	global_load_dword v0, v[94:95], off
	global_load_dword v92, v[81:82], off offset:72
	s_waitcnt vmcnt(1)
	global_store_dword v[81:82], v0, off offset:72
	s_waitcnt vmcnt(1)
	global_store_dword v[94:95], v92, off
.LBB100_392:
	s_or_b64 exec, exec, s[20:21]
	v_mov_b32_e32 v92, v93
	v_mov_b32_e32 v0, v93
.LBB100_393:
	s_or_b64 exec, exec, s[18:19]
.LBB100_394:
	s_andn2_saveexec_b64 s[0:1], s[0:1]
	s_cbranch_execz .LBB100_396
; %bb.395:
	buffer_load_dword v81, off, s[24:27], 0 offset:128 ; 4-byte Folded Reload
	buffer_load_dword v82, off, s[24:27], 0 offset:132 ; 4-byte Folded Reload
	;; [unrolled: 1-line block ×4, first 2 shown]
	v_mov_b32_e32 v92, 18
	s_waitcnt vmcnt(0)
	ds_write2_b64 v90, v[81:82], v[83:84] offset0:38 offset1:39
	buffer_load_dword v81, off, s[24:27], 0 offset:112 ; 4-byte Folded Reload
	buffer_load_dword v82, off, s[24:27], 0 offset:116 ; 4-byte Folded Reload
	buffer_load_dword v83, off, s[24:27], 0 offset:120 ; 4-byte Folded Reload
	buffer_load_dword v84, off, s[24:27], 0 offset:124 ; 4-byte Folded Reload
	s_waitcnt vmcnt(0)
	ds_write2_b64 v90, v[81:82], v[83:84] offset0:40 offset1:41
	buffer_load_dword v81, off, s[24:27], 0 offset:96 ; 4-byte Folded Reload
	buffer_load_dword v82, off, s[24:27], 0 offset:100 ; 4-byte Folded Reload
	buffer_load_dword v83, off, s[24:27], 0 offset:104 ; 4-byte Folded Reload
	buffer_load_dword v84, off, s[24:27], 0 offset:108 ; 4-byte Folded Reload
	;; [unrolled: 6-line block ×7, first 2 shown]
	s_waitcnt vmcnt(0)
	ds_write2_b64 v90, v[81:82], v[83:84] offset0:52 offset1:53
	buffer_load_dword v81, off, s[24:27], 0 ; 4-byte Folded Reload
	buffer_load_dword v82, off, s[24:27], 0 offset:4 ; 4-byte Folded Reload
	buffer_load_dword v83, off, s[24:27], 0 offset:8 ; 4-byte Folded Reload
	;; [unrolled: 1-line block ×3, first 2 shown]
	s_waitcnt vmcnt(0)
	ds_write2_b64 v90, v[81:82], v[83:84] offset0:54 offset1:55
	ds_write2_b64 v90, v[111:112], v[113:114] offset0:56 offset1:57
	;; [unrolled: 1-line block ×24, first 2 shown]
.LBB100_396:
	s_or_b64 exec, exec, s[0:1]
	v_cmp_lt_i32_e32 vcc, 18, v92
	s_waitcnt vmcnt(0) lgkmcnt(0)
	s_barrier
	s_and_saveexec_b64 s[0:1], vcc
	s_cbranch_execz .LBB100_398
; %bb.397:
	buffer_load_dword v97, off, s[24:27], 0 offset:144 ; 4-byte Folded Reload
	buffer_load_dword v98, off, s[24:27], 0 offset:148 ; 4-byte Folded Reload
	buffer_load_dword v99, off, s[24:27], 0 offset:152 ; 4-byte Folded Reload
	buffer_load_dword v100, off, s[24:27], 0 offset:156 ; 4-byte Folded Reload
	s_waitcnt vmcnt(0)
	v_mul_f64 v[93:94], v[119:120], v[99:100]
	v_fma_f64 v[125:126], v[117:118], v[97:98], -v[93:94]
	v_mul_f64 v[93:94], v[117:118], v[99:100]
	v_fma_f64 v[99:100], v[119:120], v[97:98], v[93:94]
	ds_read2_b64 v[93:96], v90 offset0:38 offset1:39
	buffer_load_dword v81, off, s[24:27], 0 offset:128 ; 4-byte Folded Reload
	buffer_load_dword v82, off, s[24:27], 0 offset:132 ; 4-byte Folded Reload
	buffer_load_dword v83, off, s[24:27], 0 offset:136 ; 4-byte Folded Reload
	buffer_load_dword v84, off, s[24:27], 0 offset:140 ; 4-byte Folded Reload
	s_waitcnt lgkmcnt(0)
	v_mul_f64 v[97:98], v[95:96], v[99:100]
	v_fma_f64 v[97:98], v[93:94], v[125:126], -v[97:98]
	v_mul_f64 v[93:94], v[93:94], v[99:100]
	v_fma_f64 v[93:94], v[95:96], v[125:126], v[93:94]
	s_waitcnt vmcnt(2)
	v_add_f64 v[81:82], v[81:82], -v[97:98]
	s_waitcnt vmcnt(0)
	v_add_f64 v[83:84], v[83:84], -v[93:94]
	buffer_store_dword v81, off, s[24:27], 0 offset:128 ; 4-byte Folded Spill
	s_nop 0
	buffer_store_dword v82, off, s[24:27], 0 offset:132 ; 4-byte Folded Spill
	buffer_store_dword v83, off, s[24:27], 0 offset:136 ; 4-byte Folded Spill
	buffer_store_dword v84, off, s[24:27], 0 offset:140 ; 4-byte Folded Spill
	ds_read2_b64 v[93:96], v90 offset0:40 offset1:41
	buffer_load_dword v81, off, s[24:27], 0 offset:112 ; 4-byte Folded Reload
	buffer_load_dword v82, off, s[24:27], 0 offset:116 ; 4-byte Folded Reload
	buffer_load_dword v83, off, s[24:27], 0 offset:120 ; 4-byte Folded Reload
	buffer_load_dword v84, off, s[24:27], 0 offset:124 ; 4-byte Folded Reload
	s_waitcnt lgkmcnt(0)
	v_mul_f64 v[97:98], v[95:96], v[99:100]
	v_fma_f64 v[97:98], v[93:94], v[125:126], -v[97:98]
	v_mul_f64 v[93:94], v[93:94], v[99:100]
	v_fma_f64 v[93:94], v[95:96], v[125:126], v[93:94]
	s_waitcnt vmcnt(2)
	v_add_f64 v[81:82], v[81:82], -v[97:98]
	s_waitcnt vmcnt(0)
	v_add_f64 v[83:84], v[83:84], -v[93:94]
	buffer_store_dword v81, off, s[24:27], 0 offset:112 ; 4-byte Folded Spill
	s_nop 0
	buffer_store_dword v82, off, s[24:27], 0 offset:116 ; 4-byte Folded Spill
	buffer_store_dword v83, off, s[24:27], 0 offset:120 ; 4-byte Folded Spill
	buffer_store_dword v84, off, s[24:27], 0 offset:124 ; 4-byte Folded Spill
	;; [unrolled: 19-line block ×8, first 2 shown]
	ds_read2_b64 v[93:96], v90 offset0:54 offset1:55
	buffer_load_dword v81, off, s[24:27], 0 ; 4-byte Folded Reload
	buffer_load_dword v82, off, s[24:27], 0 offset:4 ; 4-byte Folded Reload
	buffer_load_dword v83, off, s[24:27], 0 offset:8 ; 4-byte Folded Reload
	;; [unrolled: 1-line block ×3, first 2 shown]
	s_waitcnt lgkmcnt(0)
	v_mul_f64 v[97:98], v[95:96], v[99:100]
	v_fma_f64 v[97:98], v[93:94], v[125:126], -v[97:98]
	v_mul_f64 v[93:94], v[93:94], v[99:100]
	v_fma_f64 v[93:94], v[95:96], v[125:126], v[93:94]
	s_waitcnt vmcnt(2)
	v_add_f64 v[81:82], v[81:82], -v[97:98]
	s_waitcnt vmcnt(0)
	v_add_f64 v[83:84], v[83:84], -v[93:94]
	buffer_store_dword v81, off, s[24:27], 0 ; 4-byte Folded Spill
	s_nop 0
	buffer_store_dword v82, off, s[24:27], 0 offset:4 ; 4-byte Folded Spill
	buffer_store_dword v83, off, s[24:27], 0 offset:8 ; 4-byte Folded Spill
	;; [unrolled: 1-line block ×3, first 2 shown]
	ds_read2_b64 v[93:96], v90 offset0:56 offset1:57
	s_waitcnt lgkmcnt(0)
	v_mul_f64 v[97:98], v[95:96], v[99:100]
	v_fma_f64 v[97:98], v[93:94], v[125:126], -v[97:98]
	v_mul_f64 v[93:94], v[93:94], v[99:100]
	v_add_f64 v[111:112], v[111:112], -v[97:98]
	v_fma_f64 v[93:94], v[95:96], v[125:126], v[93:94]
	v_add_f64 v[113:114], v[113:114], -v[93:94]
	ds_read2_b64 v[93:96], v90 offset0:58 offset1:59
	s_waitcnt lgkmcnt(0)
	v_mul_f64 v[97:98], v[95:96], v[99:100]
	v_fma_f64 v[97:98], v[93:94], v[125:126], -v[97:98]
	v_mul_f64 v[93:94], v[93:94], v[99:100]
	v_add_f64 v[85:86], v[85:86], -v[97:98]
	v_fma_f64 v[93:94], v[95:96], v[125:126], v[93:94]
	v_add_f64 v[87:88], v[87:88], -v[93:94]
	;; [unrolled: 8-line block ×22, first 2 shown]
	ds_read2_b64 v[93:96], v90 offset0:100 offset1:101
	s_waitcnt lgkmcnt(0)
	v_mul_f64 v[97:98], v[95:96], v[99:100]
	v_fma_f64 v[97:98], v[93:94], v[125:126], -v[97:98]
	v_mul_f64 v[93:94], v[93:94], v[99:100]
	v_add_f64 v[121:122], v[121:122], -v[97:98]
	v_fma_f64 v[93:94], v[95:96], v[125:126], v[93:94]
	v_mov_b32_e32 v97, v125
	v_mov_b32_e32 v98, v126
	buffer_store_dword v97, off, s[24:27], 0 offset:144 ; 4-byte Folded Spill
	s_nop 0
	buffer_store_dword v98, off, s[24:27], 0 offset:148 ; 4-byte Folded Spill
	buffer_store_dword v99, off, s[24:27], 0 offset:152 ; 4-byte Folded Spill
	;; [unrolled: 1-line block ×3, first 2 shown]
	v_add_f64 v[123:124], v[123:124], -v[93:94]
.LBB100_398:
	s_or_b64 exec, exec, s[0:1]
	s_waitcnt vmcnt(0)
	s_barrier
	buffer_load_dword v81, off, s[24:27], 0 offset:128 ; 4-byte Folded Reload
	buffer_load_dword v82, off, s[24:27], 0 offset:132 ; 4-byte Folded Reload
	;; [unrolled: 1-line block ×4, first 2 shown]
	v_lshl_add_u32 v93, v92, 4, v90
	s_cmp_lt_i32 s3, 21
	s_waitcnt vmcnt(0)
	ds_write2_b64 v93, v[81:82], v[83:84] offset1:1
	s_waitcnt lgkmcnt(0)
	s_barrier
	ds_read2_b64 v[117:120], v90 offset0:38 offset1:39
	v_mov_b32_e32 v93, 19
	s_cbranch_scc1 .LBB100_401
; %bb.399:
	v_add_u32_e32 v94, 0x140, v90
	s_mov_b32 s0, 20
	v_mov_b32_e32 v93, 19
.LBB100_400:                            ; =>This Inner Loop Header: Depth=1
	s_waitcnt lgkmcnt(0)
	v_cmp_gt_f64_e32 vcc, 0, v[117:118]
	v_xor_b32_e32 v99, 0x80000000, v118
	ds_read2_b64 v[95:98], v94 offset1:1
	v_xor_b32_e32 v101, 0x80000000, v120
	v_add_u32_e32 v94, 16, v94
	s_waitcnt lgkmcnt(0)
	v_xor_b32_e32 v103, 0x80000000, v98
	v_cndmask_b32_e32 v100, v118, v99, vcc
	v_cmp_gt_f64_e32 vcc, 0, v[119:120]
	v_mov_b32_e32 v99, v117
	v_cndmask_b32_e32 v102, v120, v101, vcc
	v_cmp_gt_f64_e32 vcc, 0, v[95:96]
	v_mov_b32_e32 v101, v119
	v_add_f64 v[99:100], v[99:100], v[101:102]
	v_xor_b32_e32 v101, 0x80000000, v96
	v_cndmask_b32_e32 v102, v96, v101, vcc
	v_cmp_gt_f64_e32 vcc, 0, v[97:98]
	v_mov_b32_e32 v101, v95
	v_cndmask_b32_e32 v104, v98, v103, vcc
	v_mov_b32_e32 v103, v97
	v_add_f64 v[101:102], v[101:102], v[103:104]
	v_cmp_lt_f64_e32 vcc, v[99:100], v[101:102]
	v_cndmask_b32_e32 v117, v117, v95, vcc
	v_mov_b32_e32 v95, s0
	s_add_i32 s0, s0, 1
	v_cndmask_b32_e32 v118, v118, v96, vcc
	v_cndmask_b32_e32 v120, v120, v98, vcc
	;; [unrolled: 1-line block ×4, first 2 shown]
	s_cmp_lg_u32 s3, s0
	s_cbranch_scc1 .LBB100_400
.LBB100_401:
	s_waitcnt lgkmcnt(0)
	v_cmp_eq_f64_e32 vcc, 0, v[117:118]
	v_cmp_eq_f64_e64 s[0:1], 0, v[119:120]
	s_and_b64 s[0:1], vcc, s[0:1]
	s_and_saveexec_b64 s[18:19], s[0:1]
	s_xor_b64 s[0:1], exec, s[18:19]
; %bb.402:
	v_cmp_ne_u32_e32 vcc, 0, v91
	v_cndmask_b32_e32 v91, 20, v91, vcc
; %bb.403:
	s_andn2_saveexec_b64 s[0:1], s[0:1]
	s_cbranch_execz .LBB100_409
; %bb.404:
	v_cmp_ngt_f64_e64 s[18:19], |v[117:118]|, |v[119:120]|
	s_and_saveexec_b64 s[20:21], s[18:19]
	s_xor_b64 s[18:19], exec, s[20:21]
	s_cbranch_execz .LBB100_406
; %bb.405:
	v_div_scale_f64 v[94:95], s[20:21], v[119:120], v[119:120], v[117:118]
	v_rcp_f64_e32 v[96:97], v[94:95]
	v_fma_f64 v[98:99], -v[94:95], v[96:97], 1.0
	v_fma_f64 v[96:97], v[96:97], v[98:99], v[96:97]
	v_div_scale_f64 v[98:99], vcc, v[117:118], v[119:120], v[117:118]
	v_fma_f64 v[100:101], -v[94:95], v[96:97], 1.0
	v_fma_f64 v[96:97], v[96:97], v[100:101], v[96:97]
	v_mul_f64 v[100:101], v[98:99], v[96:97]
	v_fma_f64 v[94:95], -v[94:95], v[100:101], v[98:99]
	v_div_fmas_f64 v[94:95], v[94:95], v[96:97], v[100:101]
	v_div_fixup_f64 v[94:95], v[94:95], v[119:120], v[117:118]
	v_fma_f64 v[96:97], v[117:118], v[94:95], v[119:120]
	v_div_scale_f64 v[98:99], s[20:21], v[96:97], v[96:97], 1.0
	v_div_scale_f64 v[104:105], vcc, 1.0, v[96:97], 1.0
	v_rcp_f64_e32 v[100:101], v[98:99]
	v_fma_f64 v[102:103], -v[98:99], v[100:101], 1.0
	v_fma_f64 v[100:101], v[100:101], v[102:103], v[100:101]
	v_fma_f64 v[102:103], -v[98:99], v[100:101], 1.0
	v_fma_f64 v[100:101], v[100:101], v[102:103], v[100:101]
	v_mul_f64 v[102:103], v[104:105], v[100:101]
	v_fma_f64 v[98:99], -v[98:99], v[102:103], v[104:105]
	v_div_fmas_f64 v[98:99], v[98:99], v[100:101], v[102:103]
	v_div_fixup_f64 v[119:120], v[98:99], v[96:97], 1.0
	v_mul_f64 v[117:118], v[94:95], v[119:120]
	v_xor_b32_e32 v120, 0x80000000, v120
.LBB100_406:
	s_andn2_saveexec_b64 s[18:19], s[18:19]
	s_cbranch_execz .LBB100_408
; %bb.407:
	v_div_scale_f64 v[94:95], s[20:21], v[117:118], v[117:118], v[119:120]
	v_rcp_f64_e32 v[96:97], v[94:95]
	v_fma_f64 v[98:99], -v[94:95], v[96:97], 1.0
	v_fma_f64 v[96:97], v[96:97], v[98:99], v[96:97]
	v_div_scale_f64 v[98:99], vcc, v[119:120], v[117:118], v[119:120]
	v_fma_f64 v[100:101], -v[94:95], v[96:97], 1.0
	v_fma_f64 v[96:97], v[96:97], v[100:101], v[96:97]
	v_mul_f64 v[100:101], v[98:99], v[96:97]
	v_fma_f64 v[94:95], -v[94:95], v[100:101], v[98:99]
	v_div_fmas_f64 v[94:95], v[94:95], v[96:97], v[100:101]
	v_div_fixup_f64 v[94:95], v[94:95], v[117:118], v[119:120]
	v_fma_f64 v[96:97], v[119:120], v[94:95], v[117:118]
	v_div_scale_f64 v[98:99], s[20:21], v[96:97], v[96:97], 1.0
	v_div_scale_f64 v[104:105], vcc, 1.0, v[96:97], 1.0
	v_rcp_f64_e32 v[100:101], v[98:99]
	v_fma_f64 v[102:103], -v[98:99], v[100:101], 1.0
	v_fma_f64 v[100:101], v[100:101], v[102:103], v[100:101]
	v_fma_f64 v[102:103], -v[98:99], v[100:101], 1.0
	v_fma_f64 v[100:101], v[100:101], v[102:103], v[100:101]
	v_mul_f64 v[102:103], v[104:105], v[100:101]
	v_fma_f64 v[98:99], -v[98:99], v[102:103], v[104:105]
	v_div_fmas_f64 v[98:99], v[98:99], v[100:101], v[102:103]
	v_div_fixup_f64 v[117:118], v[98:99], v[96:97], 1.0
	v_mul_f64 v[119:120], v[94:95], -v[117:118]
.LBB100_408:
	s_or_b64 exec, exec, s[18:19]
.LBB100_409:
	s_or_b64 exec, exec, s[0:1]
	v_cmp_ne_u32_e32 vcc, v92, v93
	s_and_saveexec_b64 s[0:1], vcc
	s_xor_b64 s[0:1], exec, s[0:1]
	s_cbranch_execz .LBB100_415
; %bb.410:
	v_cmp_eq_u32_e32 vcc, 19, v92
	s_and_saveexec_b64 s[18:19], vcc
	s_cbranch_execz .LBB100_414
; %bb.411:
	v_cmp_ne_u32_e32 vcc, 19, v93
	s_xor_b64 s[20:21], s[6:7], -1
	s_and_b64 s[22:23], s[20:21], vcc
	s_and_saveexec_b64 s[20:21], s[22:23]
	s_cbranch_execz .LBB100_413
; %bb.412:
	buffer_load_dword v81, off, s[24:27], 0 offset:400 ; 4-byte Folded Reload
	buffer_load_dword v82, off, s[24:27], 0 offset:404 ; 4-byte Folded Reload
	v_ashrrev_i32_e32 v94, 31, v93
	v_lshlrev_b64 v[94:95], 2, v[93:94]
	s_waitcnt vmcnt(1)
	v_add_co_u32_e32 v94, vcc, v81, v94
	s_waitcnt vmcnt(0)
	v_addc_co_u32_e32 v95, vcc, v82, v95, vcc
	global_load_dword v0, v[94:95], off
	global_load_dword v92, v[81:82], off offset:76
	s_waitcnt vmcnt(1)
	global_store_dword v[81:82], v0, off offset:76
	s_waitcnt vmcnt(1)
	global_store_dword v[94:95], v92, off
.LBB100_413:
	s_or_b64 exec, exec, s[20:21]
	v_mov_b32_e32 v92, v93
	v_mov_b32_e32 v0, v93
.LBB100_414:
	s_or_b64 exec, exec, s[18:19]
.LBB100_415:
	s_andn2_saveexec_b64 s[0:1], s[0:1]
	s_cbranch_execz .LBB100_417
; %bb.416:
	buffer_load_dword v81, off, s[24:27], 0 offset:112 ; 4-byte Folded Reload
	buffer_load_dword v82, off, s[24:27], 0 offset:116 ; 4-byte Folded Reload
	;; [unrolled: 1-line block ×4, first 2 shown]
	v_mov_b32_e32 v92, 19
	s_waitcnt vmcnt(0)
	ds_write2_b64 v90, v[81:82], v[83:84] offset0:40 offset1:41
	buffer_load_dword v81, off, s[24:27], 0 offset:96 ; 4-byte Folded Reload
	buffer_load_dword v82, off, s[24:27], 0 offset:100 ; 4-byte Folded Reload
	buffer_load_dword v83, off, s[24:27], 0 offset:104 ; 4-byte Folded Reload
	buffer_load_dword v84, off, s[24:27], 0 offset:108 ; 4-byte Folded Reload
	s_waitcnt vmcnt(0)
	ds_write2_b64 v90, v[81:82], v[83:84] offset0:42 offset1:43
	buffer_load_dword v81, off, s[24:27], 0 offset:80 ; 4-byte Folded Reload
	buffer_load_dword v82, off, s[24:27], 0 offset:84 ; 4-byte Folded Reload
	buffer_load_dword v83, off, s[24:27], 0 offset:88 ; 4-byte Folded Reload
	buffer_load_dword v84, off, s[24:27], 0 offset:92 ; 4-byte Folded Reload
	;; [unrolled: 6-line block ×6, first 2 shown]
	s_waitcnt vmcnt(0)
	ds_write2_b64 v90, v[81:82], v[83:84] offset0:52 offset1:53
	buffer_load_dword v81, off, s[24:27], 0 ; 4-byte Folded Reload
	buffer_load_dword v82, off, s[24:27], 0 offset:4 ; 4-byte Folded Reload
	buffer_load_dword v83, off, s[24:27], 0 offset:8 ; 4-byte Folded Reload
	;; [unrolled: 1-line block ×3, first 2 shown]
	s_waitcnt vmcnt(0)
	ds_write2_b64 v90, v[81:82], v[83:84] offset0:54 offset1:55
	ds_write2_b64 v90, v[111:112], v[113:114] offset0:56 offset1:57
	;; [unrolled: 1-line block ×24, first 2 shown]
.LBB100_417:
	s_or_b64 exec, exec, s[0:1]
	v_cmp_lt_i32_e32 vcc, 19, v92
	s_waitcnt vmcnt(0) lgkmcnt(0)
	s_barrier
	s_and_saveexec_b64 s[0:1], vcc
	s_cbranch_execz .LBB100_419
; %bb.418:
	buffer_load_dword v97, off, s[24:27], 0 offset:128 ; 4-byte Folded Reload
	buffer_load_dword v98, off, s[24:27], 0 offset:132 ; 4-byte Folded Reload
	;; [unrolled: 1-line block ×4, first 2 shown]
	s_waitcnt vmcnt(0)
	v_mul_f64 v[93:94], v[119:120], v[99:100]
	v_fma_f64 v[101:102], v[117:118], v[97:98], -v[93:94]
	v_mul_f64 v[93:94], v[117:118], v[99:100]
	v_fma_f64 v[99:100], v[119:120], v[97:98], v[93:94]
	ds_read2_b64 v[93:96], v90 offset0:40 offset1:41
	buffer_load_dword v81, off, s[24:27], 0 offset:112 ; 4-byte Folded Reload
	buffer_load_dword v82, off, s[24:27], 0 offset:116 ; 4-byte Folded Reload
	buffer_load_dword v83, off, s[24:27], 0 offset:120 ; 4-byte Folded Reload
	buffer_load_dword v84, off, s[24:27], 0 offset:124 ; 4-byte Folded Reload
	s_waitcnt lgkmcnt(0)
	v_mul_f64 v[97:98], v[95:96], v[99:100]
	v_fma_f64 v[97:98], v[93:94], v[101:102], -v[97:98]
	v_mul_f64 v[93:94], v[93:94], v[99:100]
	v_fma_f64 v[93:94], v[95:96], v[101:102], v[93:94]
	s_waitcnt vmcnt(2)
	v_add_f64 v[81:82], v[81:82], -v[97:98]
	s_waitcnt vmcnt(0)
	v_add_f64 v[83:84], v[83:84], -v[93:94]
	buffer_store_dword v81, off, s[24:27], 0 offset:112 ; 4-byte Folded Spill
	s_nop 0
	buffer_store_dword v82, off, s[24:27], 0 offset:116 ; 4-byte Folded Spill
	buffer_store_dword v83, off, s[24:27], 0 offset:120 ; 4-byte Folded Spill
	buffer_store_dword v84, off, s[24:27], 0 offset:124 ; 4-byte Folded Spill
	ds_read2_b64 v[93:96], v90 offset0:42 offset1:43
	buffer_load_dword v81, off, s[24:27], 0 offset:96 ; 4-byte Folded Reload
	buffer_load_dword v82, off, s[24:27], 0 offset:100 ; 4-byte Folded Reload
	buffer_load_dword v83, off, s[24:27], 0 offset:104 ; 4-byte Folded Reload
	buffer_load_dword v84, off, s[24:27], 0 offset:108 ; 4-byte Folded Reload
	s_waitcnt lgkmcnt(0)
	v_mul_f64 v[97:98], v[95:96], v[99:100]
	v_fma_f64 v[97:98], v[93:94], v[101:102], -v[97:98]
	v_mul_f64 v[93:94], v[93:94], v[99:100]
	v_fma_f64 v[93:94], v[95:96], v[101:102], v[93:94]
	s_waitcnt vmcnt(2)
	v_add_f64 v[81:82], v[81:82], -v[97:98]
	s_waitcnt vmcnt(0)
	v_add_f64 v[83:84], v[83:84], -v[93:94]
	buffer_store_dword v81, off, s[24:27], 0 offset:96 ; 4-byte Folded Spill
	s_nop 0
	buffer_store_dword v82, off, s[24:27], 0 offset:100 ; 4-byte Folded Spill
	buffer_store_dword v83, off, s[24:27], 0 offset:104 ; 4-byte Folded Spill
	buffer_store_dword v84, off, s[24:27], 0 offset:108 ; 4-byte Folded Spill
	;; [unrolled: 19-line block ×7, first 2 shown]
	ds_read2_b64 v[93:96], v90 offset0:54 offset1:55
	buffer_load_dword v81, off, s[24:27], 0 ; 4-byte Folded Reload
	buffer_load_dword v82, off, s[24:27], 0 offset:4 ; 4-byte Folded Reload
	buffer_load_dword v83, off, s[24:27], 0 offset:8 ; 4-byte Folded Reload
	;; [unrolled: 1-line block ×3, first 2 shown]
	s_waitcnt lgkmcnt(0)
	v_mul_f64 v[97:98], v[95:96], v[99:100]
	v_fma_f64 v[97:98], v[93:94], v[101:102], -v[97:98]
	v_mul_f64 v[93:94], v[93:94], v[99:100]
	v_fma_f64 v[93:94], v[95:96], v[101:102], v[93:94]
	s_waitcnt vmcnt(2)
	v_add_f64 v[81:82], v[81:82], -v[97:98]
	s_waitcnt vmcnt(0)
	v_add_f64 v[83:84], v[83:84], -v[93:94]
	buffer_store_dword v81, off, s[24:27], 0 ; 4-byte Folded Spill
	s_nop 0
	buffer_store_dword v82, off, s[24:27], 0 offset:4 ; 4-byte Folded Spill
	buffer_store_dword v83, off, s[24:27], 0 offset:8 ; 4-byte Folded Spill
	buffer_store_dword v84, off, s[24:27], 0 offset:12 ; 4-byte Folded Spill
	ds_read2_b64 v[93:96], v90 offset0:56 offset1:57
	s_waitcnt lgkmcnt(0)
	v_mul_f64 v[97:98], v[95:96], v[99:100]
	v_fma_f64 v[97:98], v[93:94], v[101:102], -v[97:98]
	v_mul_f64 v[93:94], v[93:94], v[99:100]
	v_add_f64 v[111:112], v[111:112], -v[97:98]
	v_fma_f64 v[93:94], v[95:96], v[101:102], v[93:94]
	v_add_f64 v[113:114], v[113:114], -v[93:94]
	ds_read2_b64 v[93:96], v90 offset0:58 offset1:59
	s_waitcnt lgkmcnt(0)
	v_mul_f64 v[97:98], v[95:96], v[99:100]
	v_fma_f64 v[97:98], v[93:94], v[101:102], -v[97:98]
	v_mul_f64 v[93:94], v[93:94], v[99:100]
	v_add_f64 v[85:86], v[85:86], -v[97:98]
	v_fma_f64 v[93:94], v[95:96], v[101:102], v[93:94]
	v_add_f64 v[87:88], v[87:88], -v[93:94]
	;; [unrolled: 8-line block ×22, first 2 shown]
	ds_read2_b64 v[93:96], v90 offset0:100 offset1:101
	s_waitcnt lgkmcnt(0)
	v_mul_f64 v[97:98], v[95:96], v[99:100]
	v_fma_f64 v[97:98], v[93:94], v[101:102], -v[97:98]
	v_mul_f64 v[93:94], v[93:94], v[99:100]
	v_add_f64 v[121:122], v[121:122], -v[97:98]
	v_fma_f64 v[93:94], v[95:96], v[101:102], v[93:94]
	v_mov_b32_e32 v97, v101
	v_mov_b32_e32 v98, v102
	buffer_store_dword v97, off, s[24:27], 0 offset:128 ; 4-byte Folded Spill
	s_nop 0
	buffer_store_dword v98, off, s[24:27], 0 offset:132 ; 4-byte Folded Spill
	buffer_store_dword v99, off, s[24:27], 0 offset:136 ; 4-byte Folded Spill
	;; [unrolled: 1-line block ×3, first 2 shown]
	v_add_f64 v[123:124], v[123:124], -v[93:94]
.LBB100_419:
	s_or_b64 exec, exec, s[0:1]
	s_waitcnt vmcnt(0)
	s_barrier
	buffer_load_dword v81, off, s[24:27], 0 offset:112 ; 4-byte Folded Reload
	buffer_load_dword v82, off, s[24:27], 0 offset:116 ; 4-byte Folded Reload
	;; [unrolled: 1-line block ×4, first 2 shown]
	v_lshl_add_u32 v93, v92, 4, v90
	s_cmp_lt_i32 s3, 22
	s_waitcnt vmcnt(0)
	ds_write2_b64 v93, v[81:82], v[83:84] offset1:1
	s_waitcnt lgkmcnt(0)
	s_barrier
	ds_read2_b64 v[117:120], v90 offset0:40 offset1:41
	v_mov_b32_e32 v93, 20
	s_cbranch_scc1 .LBB100_422
; %bb.420:
	v_add_u32_e32 v94, 0x150, v90
	s_mov_b32 s0, 21
	v_mov_b32_e32 v93, 20
.LBB100_421:                            ; =>This Inner Loop Header: Depth=1
	s_waitcnt lgkmcnt(0)
	v_cmp_gt_f64_e32 vcc, 0, v[117:118]
	v_xor_b32_e32 v99, 0x80000000, v118
	ds_read2_b64 v[95:98], v94 offset1:1
	v_xor_b32_e32 v101, 0x80000000, v120
	v_add_u32_e32 v94, 16, v94
	s_waitcnt lgkmcnt(0)
	v_xor_b32_e32 v103, 0x80000000, v98
	v_cndmask_b32_e32 v100, v118, v99, vcc
	v_cmp_gt_f64_e32 vcc, 0, v[119:120]
	v_mov_b32_e32 v99, v117
	v_cndmask_b32_e32 v102, v120, v101, vcc
	v_cmp_gt_f64_e32 vcc, 0, v[95:96]
	v_mov_b32_e32 v101, v119
	v_add_f64 v[99:100], v[99:100], v[101:102]
	v_xor_b32_e32 v101, 0x80000000, v96
	v_cndmask_b32_e32 v102, v96, v101, vcc
	v_cmp_gt_f64_e32 vcc, 0, v[97:98]
	v_mov_b32_e32 v101, v95
	v_cndmask_b32_e32 v104, v98, v103, vcc
	v_mov_b32_e32 v103, v97
	v_add_f64 v[101:102], v[101:102], v[103:104]
	v_cmp_lt_f64_e32 vcc, v[99:100], v[101:102]
	v_cndmask_b32_e32 v117, v117, v95, vcc
	v_mov_b32_e32 v95, s0
	s_add_i32 s0, s0, 1
	v_cndmask_b32_e32 v118, v118, v96, vcc
	v_cndmask_b32_e32 v120, v120, v98, vcc
	;; [unrolled: 1-line block ×4, first 2 shown]
	s_cmp_lg_u32 s3, s0
	s_cbranch_scc1 .LBB100_421
.LBB100_422:
	s_waitcnt lgkmcnt(0)
	v_cmp_eq_f64_e32 vcc, 0, v[117:118]
	v_cmp_eq_f64_e64 s[0:1], 0, v[119:120]
	s_and_b64 s[0:1], vcc, s[0:1]
	s_and_saveexec_b64 s[18:19], s[0:1]
	s_xor_b64 s[0:1], exec, s[18:19]
; %bb.423:
	v_cmp_ne_u32_e32 vcc, 0, v91
	v_cndmask_b32_e32 v91, 21, v91, vcc
; %bb.424:
	s_andn2_saveexec_b64 s[0:1], s[0:1]
	s_cbranch_execz .LBB100_430
; %bb.425:
	v_cmp_ngt_f64_e64 s[18:19], |v[117:118]|, |v[119:120]|
	s_and_saveexec_b64 s[20:21], s[18:19]
	s_xor_b64 s[18:19], exec, s[20:21]
	s_cbranch_execz .LBB100_427
; %bb.426:
	v_div_scale_f64 v[94:95], s[20:21], v[119:120], v[119:120], v[117:118]
	v_rcp_f64_e32 v[96:97], v[94:95]
	v_fma_f64 v[98:99], -v[94:95], v[96:97], 1.0
	v_fma_f64 v[96:97], v[96:97], v[98:99], v[96:97]
	v_div_scale_f64 v[98:99], vcc, v[117:118], v[119:120], v[117:118]
	v_fma_f64 v[100:101], -v[94:95], v[96:97], 1.0
	v_fma_f64 v[96:97], v[96:97], v[100:101], v[96:97]
	v_mul_f64 v[100:101], v[98:99], v[96:97]
	v_fma_f64 v[94:95], -v[94:95], v[100:101], v[98:99]
	v_div_fmas_f64 v[94:95], v[94:95], v[96:97], v[100:101]
	v_div_fixup_f64 v[94:95], v[94:95], v[119:120], v[117:118]
	v_fma_f64 v[96:97], v[117:118], v[94:95], v[119:120]
	v_div_scale_f64 v[98:99], s[20:21], v[96:97], v[96:97], 1.0
	v_div_scale_f64 v[104:105], vcc, 1.0, v[96:97], 1.0
	v_rcp_f64_e32 v[100:101], v[98:99]
	v_fma_f64 v[102:103], -v[98:99], v[100:101], 1.0
	v_fma_f64 v[100:101], v[100:101], v[102:103], v[100:101]
	v_fma_f64 v[102:103], -v[98:99], v[100:101], 1.0
	v_fma_f64 v[100:101], v[100:101], v[102:103], v[100:101]
	v_mul_f64 v[102:103], v[104:105], v[100:101]
	v_fma_f64 v[98:99], -v[98:99], v[102:103], v[104:105]
	v_div_fmas_f64 v[98:99], v[98:99], v[100:101], v[102:103]
	v_div_fixup_f64 v[119:120], v[98:99], v[96:97], 1.0
	v_mul_f64 v[117:118], v[94:95], v[119:120]
	v_xor_b32_e32 v120, 0x80000000, v120
.LBB100_427:
	s_andn2_saveexec_b64 s[18:19], s[18:19]
	s_cbranch_execz .LBB100_429
; %bb.428:
	v_div_scale_f64 v[94:95], s[20:21], v[117:118], v[117:118], v[119:120]
	v_rcp_f64_e32 v[96:97], v[94:95]
	v_fma_f64 v[98:99], -v[94:95], v[96:97], 1.0
	v_fma_f64 v[96:97], v[96:97], v[98:99], v[96:97]
	v_div_scale_f64 v[98:99], vcc, v[119:120], v[117:118], v[119:120]
	v_fma_f64 v[100:101], -v[94:95], v[96:97], 1.0
	v_fma_f64 v[96:97], v[96:97], v[100:101], v[96:97]
	v_mul_f64 v[100:101], v[98:99], v[96:97]
	v_fma_f64 v[94:95], -v[94:95], v[100:101], v[98:99]
	v_div_fmas_f64 v[94:95], v[94:95], v[96:97], v[100:101]
	v_div_fixup_f64 v[94:95], v[94:95], v[117:118], v[119:120]
	v_fma_f64 v[96:97], v[119:120], v[94:95], v[117:118]
	v_div_scale_f64 v[98:99], s[20:21], v[96:97], v[96:97], 1.0
	v_div_scale_f64 v[104:105], vcc, 1.0, v[96:97], 1.0
	v_rcp_f64_e32 v[100:101], v[98:99]
	v_fma_f64 v[102:103], -v[98:99], v[100:101], 1.0
	v_fma_f64 v[100:101], v[100:101], v[102:103], v[100:101]
	v_fma_f64 v[102:103], -v[98:99], v[100:101], 1.0
	v_fma_f64 v[100:101], v[100:101], v[102:103], v[100:101]
	v_mul_f64 v[102:103], v[104:105], v[100:101]
	v_fma_f64 v[98:99], -v[98:99], v[102:103], v[104:105]
	v_div_fmas_f64 v[98:99], v[98:99], v[100:101], v[102:103]
	v_div_fixup_f64 v[117:118], v[98:99], v[96:97], 1.0
	v_mul_f64 v[119:120], v[94:95], -v[117:118]
.LBB100_429:
	s_or_b64 exec, exec, s[18:19]
.LBB100_430:
	s_or_b64 exec, exec, s[0:1]
	v_cmp_ne_u32_e32 vcc, v92, v93
	s_and_saveexec_b64 s[0:1], vcc
	s_xor_b64 s[0:1], exec, s[0:1]
	s_cbranch_execz .LBB100_436
; %bb.431:
	v_cmp_eq_u32_e32 vcc, 20, v92
	s_and_saveexec_b64 s[18:19], vcc
	s_cbranch_execz .LBB100_435
; %bb.432:
	v_cmp_ne_u32_e32 vcc, 20, v93
	s_xor_b64 s[20:21], s[6:7], -1
	s_and_b64 s[22:23], s[20:21], vcc
	s_and_saveexec_b64 s[20:21], s[22:23]
	s_cbranch_execz .LBB100_434
; %bb.433:
	buffer_load_dword v81, off, s[24:27], 0 offset:400 ; 4-byte Folded Reload
	buffer_load_dword v82, off, s[24:27], 0 offset:404 ; 4-byte Folded Reload
	v_ashrrev_i32_e32 v94, 31, v93
	v_lshlrev_b64 v[94:95], 2, v[93:94]
	s_waitcnt vmcnt(1)
	v_add_co_u32_e32 v94, vcc, v81, v94
	s_waitcnt vmcnt(0)
	v_addc_co_u32_e32 v95, vcc, v82, v95, vcc
	global_load_dword v0, v[94:95], off
	global_load_dword v92, v[81:82], off offset:80
	s_waitcnt vmcnt(1)
	global_store_dword v[81:82], v0, off offset:80
	s_waitcnt vmcnt(1)
	global_store_dword v[94:95], v92, off
.LBB100_434:
	s_or_b64 exec, exec, s[20:21]
	v_mov_b32_e32 v92, v93
	v_mov_b32_e32 v0, v93
.LBB100_435:
	s_or_b64 exec, exec, s[18:19]
.LBB100_436:
	s_andn2_saveexec_b64 s[0:1], s[0:1]
	s_cbranch_execz .LBB100_438
; %bb.437:
	buffer_load_dword v81, off, s[24:27], 0 offset:96 ; 4-byte Folded Reload
	buffer_load_dword v82, off, s[24:27], 0 offset:100 ; 4-byte Folded Reload
	;; [unrolled: 1-line block ×4, first 2 shown]
	v_mov_b32_e32 v92, 20
	s_waitcnt vmcnt(0)
	ds_write2_b64 v90, v[81:82], v[83:84] offset0:42 offset1:43
	buffer_load_dword v81, off, s[24:27], 0 offset:80 ; 4-byte Folded Reload
	buffer_load_dword v82, off, s[24:27], 0 offset:84 ; 4-byte Folded Reload
	buffer_load_dword v83, off, s[24:27], 0 offset:88 ; 4-byte Folded Reload
	buffer_load_dword v84, off, s[24:27], 0 offset:92 ; 4-byte Folded Reload
	s_waitcnt vmcnt(0)
	ds_write2_b64 v90, v[81:82], v[83:84] offset0:44 offset1:45
	buffer_load_dword v81, off, s[24:27], 0 offset:64 ; 4-byte Folded Reload
	buffer_load_dword v82, off, s[24:27], 0 offset:68 ; 4-byte Folded Reload
	buffer_load_dword v83, off, s[24:27], 0 offset:72 ; 4-byte Folded Reload
	buffer_load_dword v84, off, s[24:27], 0 offset:76 ; 4-byte Folded Reload
	;; [unrolled: 6-line block ×5, first 2 shown]
	s_waitcnt vmcnt(0)
	ds_write2_b64 v90, v[81:82], v[83:84] offset0:52 offset1:53
	buffer_load_dword v81, off, s[24:27], 0 ; 4-byte Folded Reload
	buffer_load_dword v82, off, s[24:27], 0 offset:4 ; 4-byte Folded Reload
	buffer_load_dword v83, off, s[24:27], 0 offset:8 ; 4-byte Folded Reload
	buffer_load_dword v84, off, s[24:27], 0 offset:12 ; 4-byte Folded Reload
	s_waitcnt vmcnt(0)
	ds_write2_b64 v90, v[81:82], v[83:84] offset0:54 offset1:55
	ds_write2_b64 v90, v[111:112], v[113:114] offset0:56 offset1:57
	ds_write2_b64 v90, v[85:86], v[87:88] offset0:58 offset1:59
	ds_write2_b64 v90, v[77:78], v[79:80] offset0:60 offset1:61
	ds_write2_b64 v90, v[73:74], v[75:76] offset0:62 offset1:63
	ds_write2_b64 v90, v[69:70], v[71:72] offset0:64 offset1:65
	ds_write2_b64 v90, v[65:66], v[67:68] offset0:66 offset1:67
	ds_write2_b64 v90, v[61:62], v[63:64] offset0:68 offset1:69
	ds_write2_b64 v90, v[57:58], v[59:60] offset0:70 offset1:71
	ds_write2_b64 v90, v[53:54], v[55:56] offset0:72 offset1:73
	ds_write2_b64 v90, v[49:50], v[51:52] offset0:74 offset1:75
	ds_write2_b64 v90, v[45:46], v[47:48] offset0:76 offset1:77
	ds_write2_b64 v90, v[41:42], v[43:44] offset0:78 offset1:79
	ds_write2_b64 v90, v[37:38], v[39:40] offset0:80 offset1:81
	ds_write2_b64 v90, v[33:34], v[35:36] offset0:82 offset1:83
	ds_write2_b64 v90, v[29:30], v[31:32] offset0:84 offset1:85
	ds_write2_b64 v90, v[25:26], v[27:28] offset0:86 offset1:87
	ds_write2_b64 v90, v[21:22], v[23:24] offset0:88 offset1:89
	ds_write2_b64 v90, v[17:18], v[19:20] offset0:90 offset1:91
	ds_write2_b64 v90, v[13:14], v[15:16] offset0:92 offset1:93
	ds_write2_b64 v90, v[9:10], v[11:12] offset0:94 offset1:95
	ds_write2_b64 v90, v[5:6], v[7:8] offset0:96 offset1:97
	ds_write2_b64 v90, v[1:2], v[3:4] offset0:98 offset1:99
	ds_write2_b64 v90, v[121:122], v[123:124] offset0:100 offset1:101
.LBB100_438:
	s_or_b64 exec, exec, s[0:1]
	v_cmp_lt_i32_e32 vcc, 20, v92
	s_waitcnt vmcnt(0) lgkmcnt(0)
	s_barrier
	s_and_saveexec_b64 s[0:1], vcc
	s_cbranch_execz .LBB100_440
; %bb.439:
	buffer_load_dword v99, off, s[24:27], 0 offset:112 ; 4-byte Folded Reload
	buffer_load_dword v100, off, s[24:27], 0 offset:116 ; 4-byte Folded Reload
	;; [unrolled: 1-line block ×4, first 2 shown]
	s_waitcnt vmcnt(0)
	v_mul_f64 v[95:96], v[117:118], v[101:102]
	v_mul_f64 v[93:94], v[119:120], v[101:102]
	v_fma_f64 v[101:102], v[119:120], v[99:100], v[95:96]
	ds_read2_b64 v[95:98], v90 offset0:42 offset1:43
	buffer_load_dword v81, off, s[24:27], 0 offset:96 ; 4-byte Folded Reload
	buffer_load_dword v82, off, s[24:27], 0 offset:100 ; 4-byte Folded Reload
	;; [unrolled: 1-line block ×4, first 2 shown]
	v_fma_f64 v[93:94], v[117:118], v[99:100], -v[93:94]
	s_waitcnt lgkmcnt(0)
	v_mul_f64 v[99:100], v[97:98], v[101:102]
	v_fma_f64 v[99:100], v[95:96], v[93:94], -v[99:100]
	v_mul_f64 v[95:96], v[95:96], v[101:102]
	v_fma_f64 v[95:96], v[97:98], v[93:94], v[95:96]
	s_waitcnt vmcnt(2)
	v_add_f64 v[81:82], v[81:82], -v[99:100]
	s_waitcnt vmcnt(0)
	v_add_f64 v[83:84], v[83:84], -v[95:96]
	buffer_store_dword v81, off, s[24:27], 0 offset:96 ; 4-byte Folded Spill
	s_nop 0
	buffer_store_dword v82, off, s[24:27], 0 offset:100 ; 4-byte Folded Spill
	buffer_store_dword v83, off, s[24:27], 0 offset:104 ; 4-byte Folded Spill
	buffer_store_dword v84, off, s[24:27], 0 offset:108 ; 4-byte Folded Spill
	ds_read2_b64 v[95:98], v90 offset0:44 offset1:45
	buffer_load_dword v81, off, s[24:27], 0 offset:80 ; 4-byte Folded Reload
	buffer_load_dword v82, off, s[24:27], 0 offset:84 ; 4-byte Folded Reload
	buffer_load_dword v83, off, s[24:27], 0 offset:88 ; 4-byte Folded Reload
	buffer_load_dword v84, off, s[24:27], 0 offset:92 ; 4-byte Folded Reload
	s_waitcnt lgkmcnt(0)
	v_mul_f64 v[99:100], v[97:98], v[101:102]
	v_fma_f64 v[99:100], v[95:96], v[93:94], -v[99:100]
	v_mul_f64 v[95:96], v[95:96], v[101:102]
	v_fma_f64 v[95:96], v[97:98], v[93:94], v[95:96]
	s_waitcnt vmcnt(2)
	v_add_f64 v[81:82], v[81:82], -v[99:100]
	s_waitcnt vmcnt(0)
	v_add_f64 v[83:84], v[83:84], -v[95:96]
	buffer_store_dword v81, off, s[24:27], 0 offset:80 ; 4-byte Folded Spill
	s_nop 0
	buffer_store_dword v82, off, s[24:27], 0 offset:84 ; 4-byte Folded Spill
	buffer_store_dword v83, off, s[24:27], 0 offset:88 ; 4-byte Folded Spill
	buffer_store_dword v84, off, s[24:27], 0 offset:92 ; 4-byte Folded Spill
	ds_read2_b64 v[95:98], v90 offset0:46 offset1:47
	buffer_load_dword v81, off, s[24:27], 0 offset:64 ; 4-byte Folded Reload
	buffer_load_dword v82, off, s[24:27], 0 offset:68 ; 4-byte Folded Reload
	buffer_load_dword v83, off, s[24:27], 0 offset:72 ; 4-byte Folded Reload
	buffer_load_dword v84, off, s[24:27], 0 offset:76 ; 4-byte Folded Reload
	;; [unrolled: 19-line block ×5, first 2 shown]
	s_waitcnt lgkmcnt(0)
	v_mul_f64 v[99:100], v[97:98], v[101:102]
	v_fma_f64 v[99:100], v[95:96], v[93:94], -v[99:100]
	v_mul_f64 v[95:96], v[95:96], v[101:102]
	v_fma_f64 v[95:96], v[97:98], v[93:94], v[95:96]
	s_waitcnt vmcnt(2)
	v_add_f64 v[81:82], v[81:82], -v[99:100]
	s_waitcnt vmcnt(0)
	v_add_f64 v[83:84], v[83:84], -v[95:96]
	buffer_store_dword v81, off, s[24:27], 0 offset:16 ; 4-byte Folded Spill
	s_nop 0
	buffer_store_dword v82, off, s[24:27], 0 offset:20 ; 4-byte Folded Spill
	buffer_store_dword v83, off, s[24:27], 0 offset:24 ; 4-byte Folded Spill
	;; [unrolled: 1-line block ×3, first 2 shown]
	ds_read2_b64 v[95:98], v90 offset0:54 offset1:55
	buffer_load_dword v81, off, s[24:27], 0 ; 4-byte Folded Reload
	buffer_load_dword v82, off, s[24:27], 0 offset:4 ; 4-byte Folded Reload
	buffer_load_dword v83, off, s[24:27], 0 offset:8 ; 4-byte Folded Reload
	;; [unrolled: 1-line block ×3, first 2 shown]
	s_waitcnt lgkmcnt(0)
	v_mul_f64 v[99:100], v[97:98], v[101:102]
	v_fma_f64 v[99:100], v[95:96], v[93:94], -v[99:100]
	v_mul_f64 v[95:96], v[95:96], v[101:102]
	v_fma_f64 v[95:96], v[97:98], v[93:94], v[95:96]
	s_waitcnt vmcnt(2)
	v_add_f64 v[81:82], v[81:82], -v[99:100]
	s_waitcnt vmcnt(0)
	v_add_f64 v[83:84], v[83:84], -v[95:96]
	buffer_store_dword v81, off, s[24:27], 0 ; 4-byte Folded Spill
	s_nop 0
	buffer_store_dword v82, off, s[24:27], 0 offset:4 ; 4-byte Folded Spill
	buffer_store_dword v83, off, s[24:27], 0 offset:8 ; 4-byte Folded Spill
	;; [unrolled: 1-line block ×3, first 2 shown]
	ds_read2_b64 v[95:98], v90 offset0:56 offset1:57
	s_waitcnt lgkmcnt(0)
	v_mul_f64 v[99:100], v[97:98], v[101:102]
	v_fma_f64 v[99:100], v[95:96], v[93:94], -v[99:100]
	v_mul_f64 v[95:96], v[95:96], v[101:102]
	v_add_f64 v[111:112], v[111:112], -v[99:100]
	v_fma_f64 v[95:96], v[97:98], v[93:94], v[95:96]
	v_add_f64 v[113:114], v[113:114], -v[95:96]
	ds_read2_b64 v[95:98], v90 offset0:58 offset1:59
	s_waitcnt lgkmcnt(0)
	v_mul_f64 v[99:100], v[97:98], v[101:102]
	v_fma_f64 v[99:100], v[95:96], v[93:94], -v[99:100]
	v_mul_f64 v[95:96], v[95:96], v[101:102]
	v_add_f64 v[85:86], v[85:86], -v[99:100]
	v_fma_f64 v[95:96], v[97:98], v[93:94], v[95:96]
	v_add_f64 v[87:88], v[87:88], -v[95:96]
	;; [unrolled: 8-line block ×22, first 2 shown]
	ds_read2_b64 v[95:98], v90 offset0:100 offset1:101
	s_waitcnt lgkmcnt(0)
	v_mul_f64 v[99:100], v[97:98], v[101:102]
	v_fma_f64 v[99:100], v[95:96], v[93:94], -v[99:100]
	v_mul_f64 v[95:96], v[95:96], v[101:102]
	v_add_f64 v[121:122], v[121:122], -v[99:100]
	v_fma_f64 v[95:96], v[97:98], v[93:94], v[95:96]
	v_mov_b32_e32 v100, v94
	v_mov_b32_e32 v99, v93
	buffer_store_dword v99, off, s[24:27], 0 offset:112 ; 4-byte Folded Spill
	s_nop 0
	buffer_store_dword v100, off, s[24:27], 0 offset:116 ; 4-byte Folded Spill
	buffer_store_dword v101, off, s[24:27], 0 offset:120 ; 4-byte Folded Spill
	;; [unrolled: 1-line block ×3, first 2 shown]
	v_add_f64 v[123:124], v[123:124], -v[95:96]
.LBB100_440:
	s_or_b64 exec, exec, s[0:1]
	s_waitcnt vmcnt(0)
	s_barrier
	buffer_load_dword v81, off, s[24:27], 0 offset:96 ; 4-byte Folded Reload
	buffer_load_dword v82, off, s[24:27], 0 offset:100 ; 4-byte Folded Reload
	;; [unrolled: 1-line block ×4, first 2 shown]
	v_lshl_add_u32 v93, v92, 4, v90
	s_cmp_lt_i32 s3, 23
	s_waitcnt vmcnt(0)
	ds_write2_b64 v93, v[81:82], v[83:84] offset1:1
	s_waitcnt lgkmcnt(0)
	s_barrier
	ds_read2_b64 v[117:120], v90 offset0:42 offset1:43
	v_mov_b32_e32 v93, 21
	s_cbranch_scc1 .LBB100_443
; %bb.441:
	v_add_u32_e32 v94, 0x160, v90
	s_mov_b32 s0, 22
	v_mov_b32_e32 v93, 21
.LBB100_442:                            ; =>This Inner Loop Header: Depth=1
	s_waitcnt lgkmcnt(0)
	v_cmp_gt_f64_e32 vcc, 0, v[117:118]
	v_xor_b32_e32 v99, 0x80000000, v118
	ds_read2_b64 v[95:98], v94 offset1:1
	v_xor_b32_e32 v101, 0x80000000, v120
	v_add_u32_e32 v94, 16, v94
	s_waitcnt lgkmcnt(0)
	v_xor_b32_e32 v103, 0x80000000, v98
	v_cndmask_b32_e32 v100, v118, v99, vcc
	v_cmp_gt_f64_e32 vcc, 0, v[119:120]
	v_mov_b32_e32 v99, v117
	v_cndmask_b32_e32 v102, v120, v101, vcc
	v_cmp_gt_f64_e32 vcc, 0, v[95:96]
	v_mov_b32_e32 v101, v119
	v_add_f64 v[99:100], v[99:100], v[101:102]
	v_xor_b32_e32 v101, 0x80000000, v96
	v_cndmask_b32_e32 v102, v96, v101, vcc
	v_cmp_gt_f64_e32 vcc, 0, v[97:98]
	v_mov_b32_e32 v101, v95
	v_cndmask_b32_e32 v104, v98, v103, vcc
	v_mov_b32_e32 v103, v97
	v_add_f64 v[101:102], v[101:102], v[103:104]
	v_cmp_lt_f64_e32 vcc, v[99:100], v[101:102]
	v_cndmask_b32_e32 v117, v117, v95, vcc
	v_mov_b32_e32 v95, s0
	s_add_i32 s0, s0, 1
	v_cndmask_b32_e32 v118, v118, v96, vcc
	v_cndmask_b32_e32 v120, v120, v98, vcc
	;; [unrolled: 1-line block ×4, first 2 shown]
	s_cmp_lg_u32 s3, s0
	s_cbranch_scc1 .LBB100_442
.LBB100_443:
	s_waitcnt lgkmcnt(0)
	v_cmp_eq_f64_e32 vcc, 0, v[117:118]
	v_cmp_eq_f64_e64 s[0:1], 0, v[119:120]
	s_and_b64 s[0:1], vcc, s[0:1]
	s_and_saveexec_b64 s[18:19], s[0:1]
	s_xor_b64 s[0:1], exec, s[18:19]
; %bb.444:
	v_cmp_ne_u32_e32 vcc, 0, v91
	v_cndmask_b32_e32 v91, 22, v91, vcc
; %bb.445:
	s_andn2_saveexec_b64 s[0:1], s[0:1]
	s_cbranch_execz .LBB100_451
; %bb.446:
	v_cmp_ngt_f64_e64 s[18:19], |v[117:118]|, |v[119:120]|
	s_and_saveexec_b64 s[20:21], s[18:19]
	s_xor_b64 s[18:19], exec, s[20:21]
	s_cbranch_execz .LBB100_448
; %bb.447:
	v_div_scale_f64 v[94:95], s[20:21], v[119:120], v[119:120], v[117:118]
	v_rcp_f64_e32 v[96:97], v[94:95]
	v_fma_f64 v[98:99], -v[94:95], v[96:97], 1.0
	v_fma_f64 v[96:97], v[96:97], v[98:99], v[96:97]
	v_div_scale_f64 v[98:99], vcc, v[117:118], v[119:120], v[117:118]
	v_fma_f64 v[100:101], -v[94:95], v[96:97], 1.0
	v_fma_f64 v[96:97], v[96:97], v[100:101], v[96:97]
	v_mul_f64 v[100:101], v[98:99], v[96:97]
	v_fma_f64 v[94:95], -v[94:95], v[100:101], v[98:99]
	v_div_fmas_f64 v[94:95], v[94:95], v[96:97], v[100:101]
	v_div_fixup_f64 v[94:95], v[94:95], v[119:120], v[117:118]
	v_fma_f64 v[96:97], v[117:118], v[94:95], v[119:120]
	v_div_scale_f64 v[98:99], s[20:21], v[96:97], v[96:97], 1.0
	v_div_scale_f64 v[104:105], vcc, 1.0, v[96:97], 1.0
	v_rcp_f64_e32 v[100:101], v[98:99]
	v_fma_f64 v[102:103], -v[98:99], v[100:101], 1.0
	v_fma_f64 v[100:101], v[100:101], v[102:103], v[100:101]
	v_fma_f64 v[102:103], -v[98:99], v[100:101], 1.0
	v_fma_f64 v[100:101], v[100:101], v[102:103], v[100:101]
	v_mul_f64 v[102:103], v[104:105], v[100:101]
	v_fma_f64 v[98:99], -v[98:99], v[102:103], v[104:105]
	v_div_fmas_f64 v[98:99], v[98:99], v[100:101], v[102:103]
	v_div_fixup_f64 v[119:120], v[98:99], v[96:97], 1.0
	v_mul_f64 v[117:118], v[94:95], v[119:120]
	v_xor_b32_e32 v120, 0x80000000, v120
.LBB100_448:
	s_andn2_saveexec_b64 s[18:19], s[18:19]
	s_cbranch_execz .LBB100_450
; %bb.449:
	v_div_scale_f64 v[94:95], s[20:21], v[117:118], v[117:118], v[119:120]
	v_rcp_f64_e32 v[96:97], v[94:95]
	v_fma_f64 v[98:99], -v[94:95], v[96:97], 1.0
	v_fma_f64 v[96:97], v[96:97], v[98:99], v[96:97]
	v_div_scale_f64 v[98:99], vcc, v[119:120], v[117:118], v[119:120]
	v_fma_f64 v[100:101], -v[94:95], v[96:97], 1.0
	v_fma_f64 v[96:97], v[96:97], v[100:101], v[96:97]
	v_mul_f64 v[100:101], v[98:99], v[96:97]
	v_fma_f64 v[94:95], -v[94:95], v[100:101], v[98:99]
	v_div_fmas_f64 v[94:95], v[94:95], v[96:97], v[100:101]
	v_div_fixup_f64 v[94:95], v[94:95], v[117:118], v[119:120]
	v_fma_f64 v[96:97], v[119:120], v[94:95], v[117:118]
	v_div_scale_f64 v[98:99], s[20:21], v[96:97], v[96:97], 1.0
	v_div_scale_f64 v[104:105], vcc, 1.0, v[96:97], 1.0
	v_rcp_f64_e32 v[100:101], v[98:99]
	v_fma_f64 v[102:103], -v[98:99], v[100:101], 1.0
	v_fma_f64 v[100:101], v[100:101], v[102:103], v[100:101]
	v_fma_f64 v[102:103], -v[98:99], v[100:101], 1.0
	v_fma_f64 v[100:101], v[100:101], v[102:103], v[100:101]
	v_mul_f64 v[102:103], v[104:105], v[100:101]
	v_fma_f64 v[98:99], -v[98:99], v[102:103], v[104:105]
	v_div_fmas_f64 v[98:99], v[98:99], v[100:101], v[102:103]
	v_div_fixup_f64 v[117:118], v[98:99], v[96:97], 1.0
	v_mul_f64 v[119:120], v[94:95], -v[117:118]
.LBB100_450:
	s_or_b64 exec, exec, s[18:19]
.LBB100_451:
	s_or_b64 exec, exec, s[0:1]
	v_cmp_ne_u32_e32 vcc, v92, v93
	s_and_saveexec_b64 s[0:1], vcc
	s_xor_b64 s[0:1], exec, s[0:1]
	s_cbranch_execz .LBB100_457
; %bb.452:
	v_cmp_eq_u32_e32 vcc, 21, v92
	s_and_saveexec_b64 s[18:19], vcc
	s_cbranch_execz .LBB100_456
; %bb.453:
	v_cmp_ne_u32_e32 vcc, 21, v93
	s_xor_b64 s[20:21], s[6:7], -1
	s_and_b64 s[22:23], s[20:21], vcc
	s_and_saveexec_b64 s[20:21], s[22:23]
	s_cbranch_execz .LBB100_455
; %bb.454:
	buffer_load_dword v81, off, s[24:27], 0 offset:400 ; 4-byte Folded Reload
	buffer_load_dword v82, off, s[24:27], 0 offset:404 ; 4-byte Folded Reload
	v_ashrrev_i32_e32 v94, 31, v93
	v_lshlrev_b64 v[94:95], 2, v[93:94]
	s_waitcnt vmcnt(1)
	v_add_co_u32_e32 v94, vcc, v81, v94
	s_waitcnt vmcnt(0)
	v_addc_co_u32_e32 v95, vcc, v82, v95, vcc
	global_load_dword v0, v[94:95], off
	global_load_dword v92, v[81:82], off offset:84
	s_waitcnt vmcnt(1)
	global_store_dword v[81:82], v0, off offset:84
	s_waitcnt vmcnt(1)
	global_store_dword v[94:95], v92, off
.LBB100_455:
	s_or_b64 exec, exec, s[20:21]
	v_mov_b32_e32 v92, v93
	v_mov_b32_e32 v0, v93
.LBB100_456:
	s_or_b64 exec, exec, s[18:19]
.LBB100_457:
	s_andn2_saveexec_b64 s[0:1], s[0:1]
	s_cbranch_execz .LBB100_459
; %bb.458:
	buffer_load_dword v81, off, s[24:27], 0 offset:80 ; 4-byte Folded Reload
	buffer_load_dword v82, off, s[24:27], 0 offset:84 ; 4-byte Folded Reload
	;; [unrolled: 1-line block ×4, first 2 shown]
	v_mov_b32_e32 v92, 21
	s_waitcnt vmcnt(0)
	ds_write2_b64 v90, v[81:82], v[83:84] offset0:44 offset1:45
	buffer_load_dword v81, off, s[24:27], 0 offset:64 ; 4-byte Folded Reload
	buffer_load_dword v82, off, s[24:27], 0 offset:68 ; 4-byte Folded Reload
	buffer_load_dword v83, off, s[24:27], 0 offset:72 ; 4-byte Folded Reload
	buffer_load_dword v84, off, s[24:27], 0 offset:76 ; 4-byte Folded Reload
	s_waitcnt vmcnt(0)
	ds_write2_b64 v90, v[81:82], v[83:84] offset0:46 offset1:47
	buffer_load_dword v81, off, s[24:27], 0 offset:48 ; 4-byte Folded Reload
	buffer_load_dword v82, off, s[24:27], 0 offset:52 ; 4-byte Folded Reload
	buffer_load_dword v83, off, s[24:27], 0 offset:56 ; 4-byte Folded Reload
	buffer_load_dword v84, off, s[24:27], 0 offset:60 ; 4-byte Folded Reload
	s_waitcnt vmcnt(0)
	ds_write2_b64 v90, v[81:82], v[83:84] offset0:48 offset1:49
	buffer_load_dword v81, off, s[24:27], 0 offset:32 ; 4-byte Folded Reload
	buffer_load_dword v82, off, s[24:27], 0 offset:36 ; 4-byte Folded Reload
	buffer_load_dword v83, off, s[24:27], 0 offset:40 ; 4-byte Folded Reload
	buffer_load_dword v84, off, s[24:27], 0 offset:44 ; 4-byte Folded Reload
	s_waitcnt vmcnt(0)
	ds_write2_b64 v90, v[81:82], v[83:84] offset0:50 offset1:51
	buffer_load_dword v81, off, s[24:27], 0 offset:16 ; 4-byte Folded Reload
	buffer_load_dword v82, off, s[24:27], 0 offset:20 ; 4-byte Folded Reload
	buffer_load_dword v83, off, s[24:27], 0 offset:24 ; 4-byte Folded Reload
	buffer_load_dword v84, off, s[24:27], 0 offset:28 ; 4-byte Folded Reload
	s_waitcnt vmcnt(0)
	ds_write2_b64 v90, v[81:82], v[83:84] offset0:52 offset1:53
	buffer_load_dword v81, off, s[24:27], 0 ; 4-byte Folded Reload
	buffer_load_dword v82, off, s[24:27], 0 offset:4 ; 4-byte Folded Reload
	buffer_load_dword v83, off, s[24:27], 0 offset:8 ; 4-byte Folded Reload
	;; [unrolled: 1-line block ×3, first 2 shown]
	s_waitcnt vmcnt(0)
	ds_write2_b64 v90, v[81:82], v[83:84] offset0:54 offset1:55
	ds_write2_b64 v90, v[111:112], v[113:114] offset0:56 offset1:57
	;; [unrolled: 1-line block ×24, first 2 shown]
.LBB100_459:
	s_or_b64 exec, exec, s[0:1]
	v_cmp_lt_i32_e32 vcc, 21, v92
	s_waitcnt vmcnt(0) lgkmcnt(0)
	s_barrier
	s_and_saveexec_b64 s[0:1], vcc
	s_cbranch_execz .LBB100_461
; %bb.460:
	buffer_load_dword v99, off, s[24:27], 0 offset:96 ; 4-byte Folded Reload
	buffer_load_dword v100, off, s[24:27], 0 offset:100 ; 4-byte Folded Reload
	;; [unrolled: 1-line block ×4, first 2 shown]
	s_waitcnt vmcnt(0)
	v_mul_f64 v[95:96], v[117:118], v[101:102]
	v_mul_f64 v[93:94], v[119:120], v[101:102]
	v_fma_f64 v[101:102], v[119:120], v[99:100], v[95:96]
	ds_read2_b64 v[95:98], v90 offset0:44 offset1:45
	buffer_load_dword v81, off, s[24:27], 0 offset:80 ; 4-byte Folded Reload
	buffer_load_dword v82, off, s[24:27], 0 offset:84 ; 4-byte Folded Reload
	;; [unrolled: 1-line block ×4, first 2 shown]
	v_fma_f64 v[93:94], v[117:118], v[99:100], -v[93:94]
	s_waitcnt lgkmcnt(0)
	v_mul_f64 v[99:100], v[97:98], v[101:102]
	v_fma_f64 v[99:100], v[95:96], v[93:94], -v[99:100]
	v_mul_f64 v[95:96], v[95:96], v[101:102]
	v_fma_f64 v[95:96], v[97:98], v[93:94], v[95:96]
	s_waitcnt vmcnt(2)
	v_add_f64 v[81:82], v[81:82], -v[99:100]
	s_waitcnt vmcnt(0)
	v_add_f64 v[83:84], v[83:84], -v[95:96]
	buffer_store_dword v81, off, s[24:27], 0 offset:80 ; 4-byte Folded Spill
	s_nop 0
	buffer_store_dword v82, off, s[24:27], 0 offset:84 ; 4-byte Folded Spill
	buffer_store_dword v83, off, s[24:27], 0 offset:88 ; 4-byte Folded Spill
	buffer_store_dword v84, off, s[24:27], 0 offset:92 ; 4-byte Folded Spill
	ds_read2_b64 v[95:98], v90 offset0:46 offset1:47
	buffer_load_dword v81, off, s[24:27], 0 offset:64 ; 4-byte Folded Reload
	buffer_load_dword v82, off, s[24:27], 0 offset:68 ; 4-byte Folded Reload
	buffer_load_dword v83, off, s[24:27], 0 offset:72 ; 4-byte Folded Reload
	buffer_load_dword v84, off, s[24:27], 0 offset:76 ; 4-byte Folded Reload
	s_waitcnt lgkmcnt(0)
	v_mul_f64 v[99:100], v[97:98], v[101:102]
	v_fma_f64 v[99:100], v[95:96], v[93:94], -v[99:100]
	v_mul_f64 v[95:96], v[95:96], v[101:102]
	v_fma_f64 v[95:96], v[97:98], v[93:94], v[95:96]
	s_waitcnt vmcnt(2)
	v_add_f64 v[81:82], v[81:82], -v[99:100]
	s_waitcnt vmcnt(0)
	v_add_f64 v[83:84], v[83:84], -v[95:96]
	buffer_store_dword v81, off, s[24:27], 0 offset:64 ; 4-byte Folded Spill
	s_nop 0
	buffer_store_dword v82, off, s[24:27], 0 offset:68 ; 4-byte Folded Spill
	buffer_store_dword v83, off, s[24:27], 0 offset:72 ; 4-byte Folded Spill
	buffer_store_dword v84, off, s[24:27], 0 offset:76 ; 4-byte Folded Spill
	ds_read2_b64 v[95:98], v90 offset0:48 offset1:49
	buffer_load_dword v81, off, s[24:27], 0 offset:48 ; 4-byte Folded Reload
	buffer_load_dword v82, off, s[24:27], 0 offset:52 ; 4-byte Folded Reload
	buffer_load_dword v83, off, s[24:27], 0 offset:56 ; 4-byte Folded Reload
	buffer_load_dword v84, off, s[24:27], 0 offset:60 ; 4-byte Folded Reload
	;; [unrolled: 19-line block ×4, first 2 shown]
	s_waitcnt lgkmcnt(0)
	v_mul_f64 v[99:100], v[97:98], v[101:102]
	v_fma_f64 v[99:100], v[95:96], v[93:94], -v[99:100]
	v_mul_f64 v[95:96], v[95:96], v[101:102]
	v_fma_f64 v[95:96], v[97:98], v[93:94], v[95:96]
	s_waitcnt vmcnt(2)
	v_add_f64 v[81:82], v[81:82], -v[99:100]
	s_waitcnt vmcnt(0)
	v_add_f64 v[83:84], v[83:84], -v[95:96]
	buffer_store_dword v81, off, s[24:27], 0 offset:16 ; 4-byte Folded Spill
	s_nop 0
	buffer_store_dword v82, off, s[24:27], 0 offset:20 ; 4-byte Folded Spill
	buffer_store_dword v83, off, s[24:27], 0 offset:24 ; 4-byte Folded Spill
	;; [unrolled: 1-line block ×3, first 2 shown]
	ds_read2_b64 v[95:98], v90 offset0:54 offset1:55
	buffer_load_dword v81, off, s[24:27], 0 ; 4-byte Folded Reload
	buffer_load_dword v82, off, s[24:27], 0 offset:4 ; 4-byte Folded Reload
	buffer_load_dword v83, off, s[24:27], 0 offset:8 ; 4-byte Folded Reload
	;; [unrolled: 1-line block ×3, first 2 shown]
	s_waitcnt lgkmcnt(0)
	v_mul_f64 v[99:100], v[97:98], v[101:102]
	v_fma_f64 v[99:100], v[95:96], v[93:94], -v[99:100]
	v_mul_f64 v[95:96], v[95:96], v[101:102]
	v_fma_f64 v[95:96], v[97:98], v[93:94], v[95:96]
	s_waitcnt vmcnt(2)
	v_add_f64 v[81:82], v[81:82], -v[99:100]
	s_waitcnt vmcnt(0)
	v_add_f64 v[83:84], v[83:84], -v[95:96]
	buffer_store_dword v81, off, s[24:27], 0 ; 4-byte Folded Spill
	s_nop 0
	buffer_store_dword v82, off, s[24:27], 0 offset:4 ; 4-byte Folded Spill
	buffer_store_dword v83, off, s[24:27], 0 offset:8 ; 4-byte Folded Spill
	;; [unrolled: 1-line block ×3, first 2 shown]
	ds_read2_b64 v[95:98], v90 offset0:56 offset1:57
	s_waitcnt lgkmcnt(0)
	v_mul_f64 v[99:100], v[97:98], v[101:102]
	v_fma_f64 v[99:100], v[95:96], v[93:94], -v[99:100]
	v_mul_f64 v[95:96], v[95:96], v[101:102]
	v_add_f64 v[111:112], v[111:112], -v[99:100]
	v_fma_f64 v[95:96], v[97:98], v[93:94], v[95:96]
	v_add_f64 v[113:114], v[113:114], -v[95:96]
	ds_read2_b64 v[95:98], v90 offset0:58 offset1:59
	s_waitcnt lgkmcnt(0)
	v_mul_f64 v[99:100], v[97:98], v[101:102]
	v_fma_f64 v[99:100], v[95:96], v[93:94], -v[99:100]
	v_mul_f64 v[95:96], v[95:96], v[101:102]
	v_add_f64 v[85:86], v[85:86], -v[99:100]
	v_fma_f64 v[95:96], v[97:98], v[93:94], v[95:96]
	v_add_f64 v[87:88], v[87:88], -v[95:96]
	;; [unrolled: 8-line block ×22, first 2 shown]
	ds_read2_b64 v[95:98], v90 offset0:100 offset1:101
	s_waitcnt lgkmcnt(0)
	v_mul_f64 v[99:100], v[97:98], v[101:102]
	v_fma_f64 v[99:100], v[95:96], v[93:94], -v[99:100]
	v_mul_f64 v[95:96], v[95:96], v[101:102]
	v_add_f64 v[121:122], v[121:122], -v[99:100]
	v_fma_f64 v[95:96], v[97:98], v[93:94], v[95:96]
	v_mov_b32_e32 v100, v94
	v_mov_b32_e32 v99, v93
	buffer_store_dword v99, off, s[24:27], 0 offset:96 ; 4-byte Folded Spill
	s_nop 0
	buffer_store_dword v100, off, s[24:27], 0 offset:100 ; 4-byte Folded Spill
	buffer_store_dword v101, off, s[24:27], 0 offset:104 ; 4-byte Folded Spill
	buffer_store_dword v102, off, s[24:27], 0 offset:108 ; 4-byte Folded Spill
	v_add_f64 v[123:124], v[123:124], -v[95:96]
.LBB100_461:
	s_or_b64 exec, exec, s[0:1]
	s_waitcnt vmcnt(0)
	s_barrier
	buffer_load_dword v81, off, s[24:27], 0 offset:80 ; 4-byte Folded Reload
	buffer_load_dword v82, off, s[24:27], 0 offset:84 ; 4-byte Folded Reload
	;; [unrolled: 1-line block ×4, first 2 shown]
	v_lshl_add_u32 v93, v92, 4, v90
	s_cmp_lt_i32 s3, 24
	s_waitcnt vmcnt(0)
	ds_write2_b64 v93, v[81:82], v[83:84] offset1:1
	s_waitcnt lgkmcnt(0)
	s_barrier
	ds_read2_b64 v[117:120], v90 offset0:44 offset1:45
	v_mov_b32_e32 v93, 22
	s_cbranch_scc1 .LBB100_464
; %bb.462:
	v_add_u32_e32 v94, 0x170, v90
	s_mov_b32 s0, 23
	v_mov_b32_e32 v93, 22
.LBB100_463:                            ; =>This Inner Loop Header: Depth=1
	s_waitcnt lgkmcnt(0)
	v_cmp_gt_f64_e32 vcc, 0, v[117:118]
	v_xor_b32_e32 v99, 0x80000000, v118
	ds_read2_b64 v[95:98], v94 offset1:1
	v_xor_b32_e32 v101, 0x80000000, v120
	v_add_u32_e32 v94, 16, v94
	s_waitcnt lgkmcnt(0)
	v_xor_b32_e32 v103, 0x80000000, v98
	v_cndmask_b32_e32 v100, v118, v99, vcc
	v_cmp_gt_f64_e32 vcc, 0, v[119:120]
	v_mov_b32_e32 v99, v117
	v_cndmask_b32_e32 v102, v120, v101, vcc
	v_cmp_gt_f64_e32 vcc, 0, v[95:96]
	v_mov_b32_e32 v101, v119
	v_add_f64 v[99:100], v[99:100], v[101:102]
	v_xor_b32_e32 v101, 0x80000000, v96
	v_cndmask_b32_e32 v102, v96, v101, vcc
	v_cmp_gt_f64_e32 vcc, 0, v[97:98]
	v_mov_b32_e32 v101, v95
	v_cndmask_b32_e32 v104, v98, v103, vcc
	v_mov_b32_e32 v103, v97
	v_add_f64 v[101:102], v[101:102], v[103:104]
	v_cmp_lt_f64_e32 vcc, v[99:100], v[101:102]
	v_cndmask_b32_e32 v117, v117, v95, vcc
	v_mov_b32_e32 v95, s0
	s_add_i32 s0, s0, 1
	v_cndmask_b32_e32 v118, v118, v96, vcc
	v_cndmask_b32_e32 v120, v120, v98, vcc
	;; [unrolled: 1-line block ×4, first 2 shown]
	s_cmp_lg_u32 s3, s0
	s_cbranch_scc1 .LBB100_463
.LBB100_464:
	s_waitcnt lgkmcnt(0)
	v_cmp_eq_f64_e32 vcc, 0, v[117:118]
	v_cmp_eq_f64_e64 s[0:1], 0, v[119:120]
	s_and_b64 s[0:1], vcc, s[0:1]
	s_and_saveexec_b64 s[18:19], s[0:1]
	s_xor_b64 s[0:1], exec, s[18:19]
; %bb.465:
	v_cmp_ne_u32_e32 vcc, 0, v91
	v_cndmask_b32_e32 v91, 23, v91, vcc
; %bb.466:
	s_andn2_saveexec_b64 s[0:1], s[0:1]
	s_cbranch_execz .LBB100_472
; %bb.467:
	v_cmp_ngt_f64_e64 s[18:19], |v[117:118]|, |v[119:120]|
	s_and_saveexec_b64 s[20:21], s[18:19]
	s_xor_b64 s[18:19], exec, s[20:21]
	s_cbranch_execz .LBB100_469
; %bb.468:
	v_div_scale_f64 v[94:95], s[20:21], v[119:120], v[119:120], v[117:118]
	v_rcp_f64_e32 v[96:97], v[94:95]
	v_fma_f64 v[98:99], -v[94:95], v[96:97], 1.0
	v_fma_f64 v[96:97], v[96:97], v[98:99], v[96:97]
	v_div_scale_f64 v[98:99], vcc, v[117:118], v[119:120], v[117:118]
	v_fma_f64 v[100:101], -v[94:95], v[96:97], 1.0
	v_fma_f64 v[96:97], v[96:97], v[100:101], v[96:97]
	v_mul_f64 v[100:101], v[98:99], v[96:97]
	v_fma_f64 v[94:95], -v[94:95], v[100:101], v[98:99]
	v_div_fmas_f64 v[94:95], v[94:95], v[96:97], v[100:101]
	v_div_fixup_f64 v[94:95], v[94:95], v[119:120], v[117:118]
	v_fma_f64 v[96:97], v[117:118], v[94:95], v[119:120]
	v_div_scale_f64 v[98:99], s[20:21], v[96:97], v[96:97], 1.0
	v_div_scale_f64 v[104:105], vcc, 1.0, v[96:97], 1.0
	v_rcp_f64_e32 v[100:101], v[98:99]
	v_fma_f64 v[102:103], -v[98:99], v[100:101], 1.0
	v_fma_f64 v[100:101], v[100:101], v[102:103], v[100:101]
	v_fma_f64 v[102:103], -v[98:99], v[100:101], 1.0
	v_fma_f64 v[100:101], v[100:101], v[102:103], v[100:101]
	v_mul_f64 v[102:103], v[104:105], v[100:101]
	v_fma_f64 v[98:99], -v[98:99], v[102:103], v[104:105]
	v_div_fmas_f64 v[98:99], v[98:99], v[100:101], v[102:103]
	v_div_fixup_f64 v[119:120], v[98:99], v[96:97], 1.0
	v_mul_f64 v[117:118], v[94:95], v[119:120]
	v_xor_b32_e32 v120, 0x80000000, v120
.LBB100_469:
	s_andn2_saveexec_b64 s[18:19], s[18:19]
	s_cbranch_execz .LBB100_471
; %bb.470:
	v_div_scale_f64 v[94:95], s[20:21], v[117:118], v[117:118], v[119:120]
	v_rcp_f64_e32 v[96:97], v[94:95]
	v_fma_f64 v[98:99], -v[94:95], v[96:97], 1.0
	v_fma_f64 v[96:97], v[96:97], v[98:99], v[96:97]
	v_div_scale_f64 v[98:99], vcc, v[119:120], v[117:118], v[119:120]
	v_fma_f64 v[100:101], -v[94:95], v[96:97], 1.0
	v_fma_f64 v[96:97], v[96:97], v[100:101], v[96:97]
	v_mul_f64 v[100:101], v[98:99], v[96:97]
	v_fma_f64 v[94:95], -v[94:95], v[100:101], v[98:99]
	v_div_fmas_f64 v[94:95], v[94:95], v[96:97], v[100:101]
	v_div_fixup_f64 v[94:95], v[94:95], v[117:118], v[119:120]
	v_fma_f64 v[96:97], v[119:120], v[94:95], v[117:118]
	v_div_scale_f64 v[98:99], s[20:21], v[96:97], v[96:97], 1.0
	v_div_scale_f64 v[104:105], vcc, 1.0, v[96:97], 1.0
	v_rcp_f64_e32 v[100:101], v[98:99]
	v_fma_f64 v[102:103], -v[98:99], v[100:101], 1.0
	v_fma_f64 v[100:101], v[100:101], v[102:103], v[100:101]
	v_fma_f64 v[102:103], -v[98:99], v[100:101], 1.0
	v_fma_f64 v[100:101], v[100:101], v[102:103], v[100:101]
	v_mul_f64 v[102:103], v[104:105], v[100:101]
	v_fma_f64 v[98:99], -v[98:99], v[102:103], v[104:105]
	v_div_fmas_f64 v[98:99], v[98:99], v[100:101], v[102:103]
	v_div_fixup_f64 v[117:118], v[98:99], v[96:97], 1.0
	v_mul_f64 v[119:120], v[94:95], -v[117:118]
.LBB100_471:
	s_or_b64 exec, exec, s[18:19]
.LBB100_472:
	s_or_b64 exec, exec, s[0:1]
	v_cmp_ne_u32_e32 vcc, v92, v93
	s_and_saveexec_b64 s[0:1], vcc
	s_xor_b64 s[0:1], exec, s[0:1]
	s_cbranch_execz .LBB100_478
; %bb.473:
	v_cmp_eq_u32_e32 vcc, 22, v92
	s_and_saveexec_b64 s[18:19], vcc
	s_cbranch_execz .LBB100_477
; %bb.474:
	v_cmp_ne_u32_e32 vcc, 22, v93
	s_xor_b64 s[20:21], s[6:7], -1
	s_and_b64 s[22:23], s[20:21], vcc
	s_and_saveexec_b64 s[20:21], s[22:23]
	s_cbranch_execz .LBB100_476
; %bb.475:
	buffer_load_dword v81, off, s[24:27], 0 offset:400 ; 4-byte Folded Reload
	buffer_load_dword v82, off, s[24:27], 0 offset:404 ; 4-byte Folded Reload
	v_ashrrev_i32_e32 v94, 31, v93
	v_lshlrev_b64 v[94:95], 2, v[93:94]
	s_waitcnt vmcnt(1)
	v_add_co_u32_e32 v94, vcc, v81, v94
	s_waitcnt vmcnt(0)
	v_addc_co_u32_e32 v95, vcc, v82, v95, vcc
	global_load_dword v0, v[94:95], off
	global_load_dword v92, v[81:82], off offset:88
	s_waitcnt vmcnt(1)
	global_store_dword v[81:82], v0, off offset:88
	s_waitcnt vmcnt(1)
	global_store_dword v[94:95], v92, off
.LBB100_476:
	s_or_b64 exec, exec, s[20:21]
	v_mov_b32_e32 v92, v93
	v_mov_b32_e32 v0, v93
.LBB100_477:
	s_or_b64 exec, exec, s[18:19]
.LBB100_478:
	s_andn2_saveexec_b64 s[0:1], s[0:1]
	s_cbranch_execz .LBB100_480
; %bb.479:
	buffer_load_dword v81, off, s[24:27], 0 offset:64 ; 4-byte Folded Reload
	buffer_load_dword v82, off, s[24:27], 0 offset:68 ; 4-byte Folded Reload
	;; [unrolled: 1-line block ×4, first 2 shown]
	v_mov_b32_e32 v92, 22
	s_waitcnt vmcnt(0)
	ds_write2_b64 v90, v[81:82], v[83:84] offset0:46 offset1:47
	buffer_load_dword v81, off, s[24:27], 0 offset:48 ; 4-byte Folded Reload
	buffer_load_dword v82, off, s[24:27], 0 offset:52 ; 4-byte Folded Reload
	buffer_load_dword v83, off, s[24:27], 0 offset:56 ; 4-byte Folded Reload
	buffer_load_dword v84, off, s[24:27], 0 offset:60 ; 4-byte Folded Reload
	s_waitcnt vmcnt(0)
	ds_write2_b64 v90, v[81:82], v[83:84] offset0:48 offset1:49
	buffer_load_dword v81, off, s[24:27], 0 offset:32 ; 4-byte Folded Reload
	buffer_load_dword v82, off, s[24:27], 0 offset:36 ; 4-byte Folded Reload
	buffer_load_dword v83, off, s[24:27], 0 offset:40 ; 4-byte Folded Reload
	buffer_load_dword v84, off, s[24:27], 0 offset:44 ; 4-byte Folded Reload
	;; [unrolled: 6-line block ×3, first 2 shown]
	s_waitcnt vmcnt(0)
	ds_write2_b64 v90, v[81:82], v[83:84] offset0:52 offset1:53
	buffer_load_dword v81, off, s[24:27], 0 ; 4-byte Folded Reload
	buffer_load_dword v82, off, s[24:27], 0 offset:4 ; 4-byte Folded Reload
	buffer_load_dword v83, off, s[24:27], 0 offset:8 ; 4-byte Folded Reload
	;; [unrolled: 1-line block ×3, first 2 shown]
	s_waitcnt vmcnt(0)
	ds_write2_b64 v90, v[81:82], v[83:84] offset0:54 offset1:55
	ds_write2_b64 v90, v[111:112], v[113:114] offset0:56 offset1:57
	;; [unrolled: 1-line block ×24, first 2 shown]
.LBB100_480:
	s_or_b64 exec, exec, s[0:1]
	v_cmp_lt_i32_e32 vcc, 22, v92
	s_waitcnt vmcnt(0) lgkmcnt(0)
	s_barrier
	s_and_saveexec_b64 s[0:1], vcc
	s_cbranch_execz .LBB100_482
; %bb.481:
	buffer_load_dword v99, off, s[24:27], 0 offset:80 ; 4-byte Folded Reload
	buffer_load_dword v100, off, s[24:27], 0 offset:84 ; 4-byte Folded Reload
	;; [unrolled: 1-line block ×4, first 2 shown]
	s_waitcnt vmcnt(0)
	v_mul_f64 v[95:96], v[117:118], v[101:102]
	v_mul_f64 v[93:94], v[119:120], v[101:102]
	v_fma_f64 v[101:102], v[119:120], v[99:100], v[95:96]
	ds_read2_b64 v[95:98], v90 offset0:46 offset1:47
	buffer_load_dword v81, off, s[24:27], 0 offset:64 ; 4-byte Folded Reload
	buffer_load_dword v82, off, s[24:27], 0 offset:68 ; 4-byte Folded Reload
	buffer_load_dword v83, off, s[24:27], 0 offset:72 ; 4-byte Folded Reload
	buffer_load_dword v84, off, s[24:27], 0 offset:76 ; 4-byte Folded Reload
	v_fma_f64 v[93:94], v[117:118], v[99:100], -v[93:94]
	s_waitcnt lgkmcnt(0)
	v_mul_f64 v[99:100], v[97:98], v[101:102]
	v_fma_f64 v[99:100], v[95:96], v[93:94], -v[99:100]
	v_mul_f64 v[95:96], v[95:96], v[101:102]
	v_fma_f64 v[95:96], v[97:98], v[93:94], v[95:96]
	s_waitcnt vmcnt(2)
	v_add_f64 v[81:82], v[81:82], -v[99:100]
	s_waitcnt vmcnt(0)
	v_add_f64 v[83:84], v[83:84], -v[95:96]
	buffer_store_dword v81, off, s[24:27], 0 offset:64 ; 4-byte Folded Spill
	s_nop 0
	buffer_store_dword v82, off, s[24:27], 0 offset:68 ; 4-byte Folded Spill
	buffer_store_dword v83, off, s[24:27], 0 offset:72 ; 4-byte Folded Spill
	buffer_store_dword v84, off, s[24:27], 0 offset:76 ; 4-byte Folded Spill
	ds_read2_b64 v[95:98], v90 offset0:48 offset1:49
	buffer_load_dword v81, off, s[24:27], 0 offset:48 ; 4-byte Folded Reload
	buffer_load_dword v82, off, s[24:27], 0 offset:52 ; 4-byte Folded Reload
	buffer_load_dword v83, off, s[24:27], 0 offset:56 ; 4-byte Folded Reload
	buffer_load_dword v84, off, s[24:27], 0 offset:60 ; 4-byte Folded Reload
	s_waitcnt lgkmcnt(0)
	v_mul_f64 v[99:100], v[97:98], v[101:102]
	v_fma_f64 v[99:100], v[95:96], v[93:94], -v[99:100]
	v_mul_f64 v[95:96], v[95:96], v[101:102]
	v_fma_f64 v[95:96], v[97:98], v[93:94], v[95:96]
	s_waitcnt vmcnt(2)
	v_add_f64 v[81:82], v[81:82], -v[99:100]
	s_waitcnt vmcnt(0)
	v_add_f64 v[83:84], v[83:84], -v[95:96]
	buffer_store_dword v81, off, s[24:27], 0 offset:48 ; 4-byte Folded Spill
	s_nop 0
	buffer_store_dword v82, off, s[24:27], 0 offset:52 ; 4-byte Folded Spill
	buffer_store_dword v83, off, s[24:27], 0 offset:56 ; 4-byte Folded Spill
	buffer_store_dword v84, off, s[24:27], 0 offset:60 ; 4-byte Folded Spill
	ds_read2_b64 v[95:98], v90 offset0:50 offset1:51
	buffer_load_dword v81, off, s[24:27], 0 offset:32 ; 4-byte Folded Reload
	buffer_load_dword v82, off, s[24:27], 0 offset:36 ; 4-byte Folded Reload
	buffer_load_dword v83, off, s[24:27], 0 offset:40 ; 4-byte Folded Reload
	buffer_load_dword v84, off, s[24:27], 0 offset:44 ; 4-byte Folded Reload
	;; [unrolled: 19-line block ×3, first 2 shown]
	s_waitcnt lgkmcnt(0)
	v_mul_f64 v[99:100], v[97:98], v[101:102]
	v_fma_f64 v[99:100], v[95:96], v[93:94], -v[99:100]
	v_mul_f64 v[95:96], v[95:96], v[101:102]
	v_fma_f64 v[95:96], v[97:98], v[93:94], v[95:96]
	s_waitcnt vmcnt(2)
	v_add_f64 v[81:82], v[81:82], -v[99:100]
	s_waitcnt vmcnt(0)
	v_add_f64 v[83:84], v[83:84], -v[95:96]
	buffer_store_dword v81, off, s[24:27], 0 offset:16 ; 4-byte Folded Spill
	s_nop 0
	buffer_store_dword v82, off, s[24:27], 0 offset:20 ; 4-byte Folded Spill
	buffer_store_dword v83, off, s[24:27], 0 offset:24 ; 4-byte Folded Spill
	;; [unrolled: 1-line block ×3, first 2 shown]
	ds_read2_b64 v[95:98], v90 offset0:54 offset1:55
	buffer_load_dword v81, off, s[24:27], 0 ; 4-byte Folded Reload
	buffer_load_dword v82, off, s[24:27], 0 offset:4 ; 4-byte Folded Reload
	buffer_load_dword v83, off, s[24:27], 0 offset:8 ; 4-byte Folded Reload
	;; [unrolled: 1-line block ×3, first 2 shown]
	s_waitcnt lgkmcnt(0)
	v_mul_f64 v[99:100], v[97:98], v[101:102]
	v_fma_f64 v[99:100], v[95:96], v[93:94], -v[99:100]
	v_mul_f64 v[95:96], v[95:96], v[101:102]
	v_fma_f64 v[95:96], v[97:98], v[93:94], v[95:96]
	s_waitcnt vmcnt(2)
	v_add_f64 v[81:82], v[81:82], -v[99:100]
	s_waitcnt vmcnt(0)
	v_add_f64 v[83:84], v[83:84], -v[95:96]
	buffer_store_dword v81, off, s[24:27], 0 ; 4-byte Folded Spill
	s_nop 0
	buffer_store_dword v82, off, s[24:27], 0 offset:4 ; 4-byte Folded Spill
	buffer_store_dword v83, off, s[24:27], 0 offset:8 ; 4-byte Folded Spill
	;; [unrolled: 1-line block ×3, first 2 shown]
	ds_read2_b64 v[95:98], v90 offset0:56 offset1:57
	s_waitcnt lgkmcnt(0)
	v_mul_f64 v[99:100], v[97:98], v[101:102]
	v_fma_f64 v[99:100], v[95:96], v[93:94], -v[99:100]
	v_mul_f64 v[95:96], v[95:96], v[101:102]
	v_add_f64 v[111:112], v[111:112], -v[99:100]
	v_fma_f64 v[95:96], v[97:98], v[93:94], v[95:96]
	v_add_f64 v[113:114], v[113:114], -v[95:96]
	ds_read2_b64 v[95:98], v90 offset0:58 offset1:59
	s_waitcnt lgkmcnt(0)
	v_mul_f64 v[99:100], v[97:98], v[101:102]
	v_fma_f64 v[99:100], v[95:96], v[93:94], -v[99:100]
	v_mul_f64 v[95:96], v[95:96], v[101:102]
	v_add_f64 v[85:86], v[85:86], -v[99:100]
	v_fma_f64 v[95:96], v[97:98], v[93:94], v[95:96]
	v_add_f64 v[87:88], v[87:88], -v[95:96]
	;; [unrolled: 8-line block ×22, first 2 shown]
	ds_read2_b64 v[95:98], v90 offset0:100 offset1:101
	s_waitcnt lgkmcnt(0)
	v_mul_f64 v[99:100], v[97:98], v[101:102]
	v_fma_f64 v[99:100], v[95:96], v[93:94], -v[99:100]
	v_mul_f64 v[95:96], v[95:96], v[101:102]
	v_add_f64 v[121:122], v[121:122], -v[99:100]
	v_fma_f64 v[95:96], v[97:98], v[93:94], v[95:96]
	v_mov_b32_e32 v100, v94
	v_mov_b32_e32 v99, v93
	buffer_store_dword v99, off, s[24:27], 0 offset:80 ; 4-byte Folded Spill
	s_nop 0
	buffer_store_dword v100, off, s[24:27], 0 offset:84 ; 4-byte Folded Spill
	buffer_store_dword v101, off, s[24:27], 0 offset:88 ; 4-byte Folded Spill
	;; [unrolled: 1-line block ×3, first 2 shown]
	v_add_f64 v[123:124], v[123:124], -v[95:96]
.LBB100_482:
	s_or_b64 exec, exec, s[0:1]
	s_waitcnt vmcnt(0)
	s_barrier
	buffer_load_dword v81, off, s[24:27], 0 offset:64 ; 4-byte Folded Reload
	buffer_load_dword v82, off, s[24:27], 0 offset:68 ; 4-byte Folded Reload
	;; [unrolled: 1-line block ×4, first 2 shown]
	v_lshl_add_u32 v93, v92, 4, v90
	s_cmp_lt_i32 s3, 25
	s_waitcnt vmcnt(0)
	ds_write2_b64 v93, v[81:82], v[83:84] offset1:1
	s_waitcnt lgkmcnt(0)
	s_barrier
	ds_read2_b64 v[117:120], v90 offset0:46 offset1:47
	v_mov_b32_e32 v93, 23
	s_cbranch_scc1 .LBB100_485
; %bb.483:
	v_add_u32_e32 v94, 0x180, v90
	s_mov_b32 s0, 24
	v_mov_b32_e32 v93, 23
.LBB100_484:                            ; =>This Inner Loop Header: Depth=1
	s_waitcnt lgkmcnt(0)
	v_cmp_gt_f64_e32 vcc, 0, v[117:118]
	v_xor_b32_e32 v99, 0x80000000, v118
	ds_read2_b64 v[95:98], v94 offset1:1
	v_xor_b32_e32 v101, 0x80000000, v120
	v_add_u32_e32 v94, 16, v94
	s_waitcnt lgkmcnt(0)
	v_xor_b32_e32 v103, 0x80000000, v98
	v_cndmask_b32_e32 v100, v118, v99, vcc
	v_cmp_gt_f64_e32 vcc, 0, v[119:120]
	v_mov_b32_e32 v99, v117
	v_cndmask_b32_e32 v102, v120, v101, vcc
	v_cmp_gt_f64_e32 vcc, 0, v[95:96]
	v_mov_b32_e32 v101, v119
	v_add_f64 v[99:100], v[99:100], v[101:102]
	v_xor_b32_e32 v101, 0x80000000, v96
	v_cndmask_b32_e32 v102, v96, v101, vcc
	v_cmp_gt_f64_e32 vcc, 0, v[97:98]
	v_mov_b32_e32 v101, v95
	v_cndmask_b32_e32 v104, v98, v103, vcc
	v_mov_b32_e32 v103, v97
	v_add_f64 v[101:102], v[101:102], v[103:104]
	v_cmp_lt_f64_e32 vcc, v[99:100], v[101:102]
	v_cndmask_b32_e32 v117, v117, v95, vcc
	v_mov_b32_e32 v95, s0
	s_add_i32 s0, s0, 1
	v_cndmask_b32_e32 v118, v118, v96, vcc
	v_cndmask_b32_e32 v120, v120, v98, vcc
	;; [unrolled: 1-line block ×4, first 2 shown]
	s_cmp_lg_u32 s3, s0
	s_cbranch_scc1 .LBB100_484
.LBB100_485:
	s_waitcnt lgkmcnt(0)
	v_cmp_eq_f64_e32 vcc, 0, v[117:118]
	v_cmp_eq_f64_e64 s[0:1], 0, v[119:120]
	s_and_b64 s[0:1], vcc, s[0:1]
	s_and_saveexec_b64 s[18:19], s[0:1]
	s_xor_b64 s[0:1], exec, s[18:19]
; %bb.486:
	v_cmp_ne_u32_e32 vcc, 0, v91
	v_cndmask_b32_e32 v91, 24, v91, vcc
; %bb.487:
	s_andn2_saveexec_b64 s[0:1], s[0:1]
	s_cbranch_execz .LBB100_493
; %bb.488:
	v_cmp_ngt_f64_e64 s[18:19], |v[117:118]|, |v[119:120]|
	s_and_saveexec_b64 s[20:21], s[18:19]
	s_xor_b64 s[18:19], exec, s[20:21]
	s_cbranch_execz .LBB100_490
; %bb.489:
	v_div_scale_f64 v[94:95], s[20:21], v[119:120], v[119:120], v[117:118]
	v_rcp_f64_e32 v[96:97], v[94:95]
	v_fma_f64 v[98:99], -v[94:95], v[96:97], 1.0
	v_fma_f64 v[96:97], v[96:97], v[98:99], v[96:97]
	v_div_scale_f64 v[98:99], vcc, v[117:118], v[119:120], v[117:118]
	v_fma_f64 v[100:101], -v[94:95], v[96:97], 1.0
	v_fma_f64 v[96:97], v[96:97], v[100:101], v[96:97]
	v_mul_f64 v[100:101], v[98:99], v[96:97]
	v_fma_f64 v[94:95], -v[94:95], v[100:101], v[98:99]
	v_div_fmas_f64 v[94:95], v[94:95], v[96:97], v[100:101]
	v_div_fixup_f64 v[94:95], v[94:95], v[119:120], v[117:118]
	v_fma_f64 v[96:97], v[117:118], v[94:95], v[119:120]
	v_div_scale_f64 v[98:99], s[20:21], v[96:97], v[96:97], 1.0
	v_div_scale_f64 v[104:105], vcc, 1.0, v[96:97], 1.0
	v_rcp_f64_e32 v[100:101], v[98:99]
	v_fma_f64 v[102:103], -v[98:99], v[100:101], 1.0
	v_fma_f64 v[100:101], v[100:101], v[102:103], v[100:101]
	v_fma_f64 v[102:103], -v[98:99], v[100:101], 1.0
	v_fma_f64 v[100:101], v[100:101], v[102:103], v[100:101]
	v_mul_f64 v[102:103], v[104:105], v[100:101]
	v_fma_f64 v[98:99], -v[98:99], v[102:103], v[104:105]
	v_div_fmas_f64 v[98:99], v[98:99], v[100:101], v[102:103]
	v_div_fixup_f64 v[119:120], v[98:99], v[96:97], 1.0
	v_mul_f64 v[117:118], v[94:95], v[119:120]
	v_xor_b32_e32 v120, 0x80000000, v120
.LBB100_490:
	s_andn2_saveexec_b64 s[18:19], s[18:19]
	s_cbranch_execz .LBB100_492
; %bb.491:
	v_div_scale_f64 v[94:95], s[20:21], v[117:118], v[117:118], v[119:120]
	v_rcp_f64_e32 v[96:97], v[94:95]
	v_fma_f64 v[98:99], -v[94:95], v[96:97], 1.0
	v_fma_f64 v[96:97], v[96:97], v[98:99], v[96:97]
	v_div_scale_f64 v[98:99], vcc, v[119:120], v[117:118], v[119:120]
	v_fma_f64 v[100:101], -v[94:95], v[96:97], 1.0
	v_fma_f64 v[96:97], v[96:97], v[100:101], v[96:97]
	v_mul_f64 v[100:101], v[98:99], v[96:97]
	v_fma_f64 v[94:95], -v[94:95], v[100:101], v[98:99]
	v_div_fmas_f64 v[94:95], v[94:95], v[96:97], v[100:101]
	v_div_fixup_f64 v[94:95], v[94:95], v[117:118], v[119:120]
	v_fma_f64 v[96:97], v[119:120], v[94:95], v[117:118]
	v_div_scale_f64 v[98:99], s[20:21], v[96:97], v[96:97], 1.0
	v_div_scale_f64 v[104:105], vcc, 1.0, v[96:97], 1.0
	v_rcp_f64_e32 v[100:101], v[98:99]
	v_fma_f64 v[102:103], -v[98:99], v[100:101], 1.0
	v_fma_f64 v[100:101], v[100:101], v[102:103], v[100:101]
	v_fma_f64 v[102:103], -v[98:99], v[100:101], 1.0
	v_fma_f64 v[100:101], v[100:101], v[102:103], v[100:101]
	v_mul_f64 v[102:103], v[104:105], v[100:101]
	v_fma_f64 v[98:99], -v[98:99], v[102:103], v[104:105]
	v_div_fmas_f64 v[98:99], v[98:99], v[100:101], v[102:103]
	v_div_fixup_f64 v[117:118], v[98:99], v[96:97], 1.0
	v_mul_f64 v[119:120], v[94:95], -v[117:118]
.LBB100_492:
	s_or_b64 exec, exec, s[18:19]
.LBB100_493:
	s_or_b64 exec, exec, s[0:1]
	v_cmp_ne_u32_e32 vcc, v92, v93
	s_and_saveexec_b64 s[0:1], vcc
	s_xor_b64 s[0:1], exec, s[0:1]
	s_cbranch_execz .LBB100_499
; %bb.494:
	v_cmp_eq_u32_e32 vcc, 23, v92
	s_and_saveexec_b64 s[18:19], vcc
	s_cbranch_execz .LBB100_498
; %bb.495:
	v_cmp_ne_u32_e32 vcc, 23, v93
	s_xor_b64 s[20:21], s[6:7], -1
	s_and_b64 s[22:23], s[20:21], vcc
	s_and_saveexec_b64 s[20:21], s[22:23]
	s_cbranch_execz .LBB100_497
; %bb.496:
	buffer_load_dword v81, off, s[24:27], 0 offset:400 ; 4-byte Folded Reload
	buffer_load_dword v82, off, s[24:27], 0 offset:404 ; 4-byte Folded Reload
	v_ashrrev_i32_e32 v94, 31, v93
	v_lshlrev_b64 v[94:95], 2, v[93:94]
	s_waitcnt vmcnt(1)
	v_add_co_u32_e32 v94, vcc, v81, v94
	s_waitcnt vmcnt(0)
	v_addc_co_u32_e32 v95, vcc, v82, v95, vcc
	global_load_dword v0, v[94:95], off
	global_load_dword v92, v[81:82], off offset:92
	s_waitcnt vmcnt(1)
	global_store_dword v[81:82], v0, off offset:92
	s_waitcnt vmcnt(1)
	global_store_dword v[94:95], v92, off
.LBB100_497:
	s_or_b64 exec, exec, s[20:21]
	v_mov_b32_e32 v92, v93
	v_mov_b32_e32 v0, v93
.LBB100_498:
	s_or_b64 exec, exec, s[18:19]
.LBB100_499:
	s_andn2_saveexec_b64 s[0:1], s[0:1]
	s_cbranch_execz .LBB100_501
; %bb.500:
	buffer_load_dword v81, off, s[24:27], 0 offset:48 ; 4-byte Folded Reload
	buffer_load_dword v82, off, s[24:27], 0 offset:52 ; 4-byte Folded Reload
	;; [unrolled: 1-line block ×4, first 2 shown]
	v_mov_b32_e32 v92, 23
	s_waitcnt vmcnt(0)
	ds_write2_b64 v90, v[81:82], v[83:84] offset0:48 offset1:49
	buffer_load_dword v81, off, s[24:27], 0 offset:32 ; 4-byte Folded Reload
	buffer_load_dword v82, off, s[24:27], 0 offset:36 ; 4-byte Folded Reload
	;; [unrolled: 1-line block ×4, first 2 shown]
	s_waitcnt vmcnt(0)
	ds_write2_b64 v90, v[81:82], v[83:84] offset0:50 offset1:51
	buffer_load_dword v81, off, s[24:27], 0 offset:16 ; 4-byte Folded Reload
	buffer_load_dword v82, off, s[24:27], 0 offset:20 ; 4-byte Folded Reload
	;; [unrolled: 1-line block ×4, first 2 shown]
	s_waitcnt vmcnt(0)
	ds_write2_b64 v90, v[81:82], v[83:84] offset0:52 offset1:53
	buffer_load_dword v81, off, s[24:27], 0 ; 4-byte Folded Reload
	buffer_load_dword v82, off, s[24:27], 0 offset:4 ; 4-byte Folded Reload
	buffer_load_dword v83, off, s[24:27], 0 offset:8 ; 4-byte Folded Reload
	;; [unrolled: 1-line block ×3, first 2 shown]
	s_waitcnt vmcnt(0)
	ds_write2_b64 v90, v[81:82], v[83:84] offset0:54 offset1:55
	ds_write2_b64 v90, v[111:112], v[113:114] offset0:56 offset1:57
	;; [unrolled: 1-line block ×24, first 2 shown]
.LBB100_501:
	s_or_b64 exec, exec, s[0:1]
	v_cmp_lt_i32_e32 vcc, 23, v92
	s_waitcnt vmcnt(0) lgkmcnt(0)
	s_barrier
	s_and_saveexec_b64 s[0:1], vcc
	s_cbranch_execz .LBB100_503
; %bb.502:
	buffer_load_dword v99, off, s[24:27], 0 offset:64 ; 4-byte Folded Reload
	buffer_load_dword v100, off, s[24:27], 0 offset:68 ; 4-byte Folded Reload
	;; [unrolled: 1-line block ×4, first 2 shown]
	s_waitcnt vmcnt(0)
	v_mul_f64 v[95:96], v[117:118], v[101:102]
	v_mul_f64 v[93:94], v[119:120], v[101:102]
	v_fma_f64 v[101:102], v[119:120], v[99:100], v[95:96]
	ds_read2_b64 v[95:98], v90 offset0:48 offset1:49
	buffer_load_dword v81, off, s[24:27], 0 offset:48 ; 4-byte Folded Reload
	buffer_load_dword v82, off, s[24:27], 0 offset:52 ; 4-byte Folded Reload
	;; [unrolled: 1-line block ×4, first 2 shown]
	v_fma_f64 v[93:94], v[117:118], v[99:100], -v[93:94]
	s_waitcnt lgkmcnt(0)
	v_mul_f64 v[99:100], v[97:98], v[101:102]
	v_fma_f64 v[99:100], v[95:96], v[93:94], -v[99:100]
	v_mul_f64 v[95:96], v[95:96], v[101:102]
	v_fma_f64 v[95:96], v[97:98], v[93:94], v[95:96]
	s_waitcnt vmcnt(2)
	v_add_f64 v[81:82], v[81:82], -v[99:100]
	s_waitcnt vmcnt(0)
	v_add_f64 v[83:84], v[83:84], -v[95:96]
	buffer_store_dword v81, off, s[24:27], 0 offset:48 ; 4-byte Folded Spill
	s_nop 0
	buffer_store_dword v82, off, s[24:27], 0 offset:52 ; 4-byte Folded Spill
	buffer_store_dword v83, off, s[24:27], 0 offset:56 ; 4-byte Folded Spill
	;; [unrolled: 1-line block ×3, first 2 shown]
	ds_read2_b64 v[95:98], v90 offset0:50 offset1:51
	buffer_load_dword v81, off, s[24:27], 0 offset:32 ; 4-byte Folded Reload
	buffer_load_dword v82, off, s[24:27], 0 offset:36 ; 4-byte Folded Reload
	;; [unrolled: 1-line block ×4, first 2 shown]
	s_waitcnt lgkmcnt(0)
	v_mul_f64 v[99:100], v[97:98], v[101:102]
	v_fma_f64 v[99:100], v[95:96], v[93:94], -v[99:100]
	v_mul_f64 v[95:96], v[95:96], v[101:102]
	v_fma_f64 v[95:96], v[97:98], v[93:94], v[95:96]
	s_waitcnt vmcnt(2)
	v_add_f64 v[81:82], v[81:82], -v[99:100]
	s_waitcnt vmcnt(0)
	v_add_f64 v[83:84], v[83:84], -v[95:96]
	buffer_store_dword v81, off, s[24:27], 0 offset:32 ; 4-byte Folded Spill
	s_nop 0
	buffer_store_dword v82, off, s[24:27], 0 offset:36 ; 4-byte Folded Spill
	buffer_store_dword v83, off, s[24:27], 0 offset:40 ; 4-byte Folded Spill
	;; [unrolled: 1-line block ×3, first 2 shown]
	ds_read2_b64 v[95:98], v90 offset0:52 offset1:53
	buffer_load_dword v81, off, s[24:27], 0 offset:16 ; 4-byte Folded Reload
	buffer_load_dword v82, off, s[24:27], 0 offset:20 ; 4-byte Folded Reload
	;; [unrolled: 1-line block ×4, first 2 shown]
	s_waitcnt lgkmcnt(0)
	v_mul_f64 v[99:100], v[97:98], v[101:102]
	v_fma_f64 v[99:100], v[95:96], v[93:94], -v[99:100]
	v_mul_f64 v[95:96], v[95:96], v[101:102]
	v_fma_f64 v[95:96], v[97:98], v[93:94], v[95:96]
	s_waitcnt vmcnt(2)
	v_add_f64 v[81:82], v[81:82], -v[99:100]
	s_waitcnt vmcnt(0)
	v_add_f64 v[83:84], v[83:84], -v[95:96]
	buffer_store_dword v81, off, s[24:27], 0 offset:16 ; 4-byte Folded Spill
	s_nop 0
	buffer_store_dword v82, off, s[24:27], 0 offset:20 ; 4-byte Folded Spill
	buffer_store_dword v83, off, s[24:27], 0 offset:24 ; 4-byte Folded Spill
	;; [unrolled: 1-line block ×3, first 2 shown]
	ds_read2_b64 v[95:98], v90 offset0:54 offset1:55
	buffer_load_dword v81, off, s[24:27], 0 ; 4-byte Folded Reload
	buffer_load_dword v82, off, s[24:27], 0 offset:4 ; 4-byte Folded Reload
	buffer_load_dword v83, off, s[24:27], 0 offset:8 ; 4-byte Folded Reload
	;; [unrolled: 1-line block ×3, first 2 shown]
	s_waitcnt lgkmcnt(0)
	v_mul_f64 v[99:100], v[97:98], v[101:102]
	v_fma_f64 v[99:100], v[95:96], v[93:94], -v[99:100]
	v_mul_f64 v[95:96], v[95:96], v[101:102]
	v_fma_f64 v[95:96], v[97:98], v[93:94], v[95:96]
	s_waitcnt vmcnt(2)
	v_add_f64 v[81:82], v[81:82], -v[99:100]
	s_waitcnt vmcnt(0)
	v_add_f64 v[83:84], v[83:84], -v[95:96]
	buffer_store_dword v81, off, s[24:27], 0 ; 4-byte Folded Spill
	s_nop 0
	buffer_store_dword v82, off, s[24:27], 0 offset:4 ; 4-byte Folded Spill
	buffer_store_dword v83, off, s[24:27], 0 offset:8 ; 4-byte Folded Spill
	;; [unrolled: 1-line block ×3, first 2 shown]
	ds_read2_b64 v[95:98], v90 offset0:56 offset1:57
	s_waitcnt lgkmcnt(0)
	v_mul_f64 v[99:100], v[97:98], v[101:102]
	v_fma_f64 v[99:100], v[95:96], v[93:94], -v[99:100]
	v_mul_f64 v[95:96], v[95:96], v[101:102]
	v_add_f64 v[111:112], v[111:112], -v[99:100]
	v_fma_f64 v[95:96], v[97:98], v[93:94], v[95:96]
	v_add_f64 v[113:114], v[113:114], -v[95:96]
	ds_read2_b64 v[95:98], v90 offset0:58 offset1:59
	s_waitcnt lgkmcnt(0)
	v_mul_f64 v[99:100], v[97:98], v[101:102]
	v_fma_f64 v[99:100], v[95:96], v[93:94], -v[99:100]
	v_mul_f64 v[95:96], v[95:96], v[101:102]
	v_add_f64 v[85:86], v[85:86], -v[99:100]
	v_fma_f64 v[95:96], v[97:98], v[93:94], v[95:96]
	v_add_f64 v[87:88], v[87:88], -v[95:96]
	;; [unrolled: 8-line block ×22, first 2 shown]
	ds_read2_b64 v[95:98], v90 offset0:100 offset1:101
	s_waitcnt lgkmcnt(0)
	v_mul_f64 v[99:100], v[97:98], v[101:102]
	v_fma_f64 v[99:100], v[95:96], v[93:94], -v[99:100]
	v_mul_f64 v[95:96], v[95:96], v[101:102]
	v_add_f64 v[121:122], v[121:122], -v[99:100]
	v_fma_f64 v[95:96], v[97:98], v[93:94], v[95:96]
	v_mov_b32_e32 v100, v94
	v_mov_b32_e32 v99, v93
	buffer_store_dword v99, off, s[24:27], 0 offset:64 ; 4-byte Folded Spill
	s_nop 0
	buffer_store_dword v100, off, s[24:27], 0 offset:68 ; 4-byte Folded Spill
	buffer_store_dword v101, off, s[24:27], 0 offset:72 ; 4-byte Folded Spill
	;; [unrolled: 1-line block ×3, first 2 shown]
	v_add_f64 v[123:124], v[123:124], -v[95:96]
.LBB100_503:
	s_or_b64 exec, exec, s[0:1]
	s_waitcnt vmcnt(0)
	s_barrier
	buffer_load_dword v81, off, s[24:27], 0 offset:48 ; 4-byte Folded Reload
	buffer_load_dword v82, off, s[24:27], 0 offset:52 ; 4-byte Folded Reload
	;; [unrolled: 1-line block ×4, first 2 shown]
	v_lshl_add_u32 v93, v92, 4, v90
	s_cmp_lt_i32 s3, 26
	s_waitcnt vmcnt(0)
	ds_write2_b64 v93, v[81:82], v[83:84] offset1:1
	s_waitcnt lgkmcnt(0)
	s_barrier
	ds_read2_b64 v[117:120], v90 offset0:48 offset1:49
	v_mov_b32_e32 v93, 24
	s_cbranch_scc1 .LBB100_506
; %bb.504:
	v_add_u32_e32 v94, 0x190, v90
	s_mov_b32 s0, 25
	v_mov_b32_e32 v93, 24
.LBB100_505:                            ; =>This Inner Loop Header: Depth=1
	s_waitcnt lgkmcnt(0)
	v_cmp_gt_f64_e32 vcc, 0, v[117:118]
	v_xor_b32_e32 v99, 0x80000000, v118
	ds_read2_b64 v[95:98], v94 offset1:1
	v_xor_b32_e32 v101, 0x80000000, v120
	v_add_u32_e32 v94, 16, v94
	s_waitcnt lgkmcnt(0)
	v_xor_b32_e32 v103, 0x80000000, v98
	v_cndmask_b32_e32 v100, v118, v99, vcc
	v_cmp_gt_f64_e32 vcc, 0, v[119:120]
	v_mov_b32_e32 v99, v117
	v_cndmask_b32_e32 v102, v120, v101, vcc
	v_cmp_gt_f64_e32 vcc, 0, v[95:96]
	v_mov_b32_e32 v101, v119
	v_add_f64 v[99:100], v[99:100], v[101:102]
	v_xor_b32_e32 v101, 0x80000000, v96
	v_cndmask_b32_e32 v102, v96, v101, vcc
	v_cmp_gt_f64_e32 vcc, 0, v[97:98]
	v_mov_b32_e32 v101, v95
	v_cndmask_b32_e32 v104, v98, v103, vcc
	v_mov_b32_e32 v103, v97
	v_add_f64 v[101:102], v[101:102], v[103:104]
	v_cmp_lt_f64_e32 vcc, v[99:100], v[101:102]
	v_cndmask_b32_e32 v117, v117, v95, vcc
	v_mov_b32_e32 v95, s0
	s_add_i32 s0, s0, 1
	v_cndmask_b32_e32 v118, v118, v96, vcc
	v_cndmask_b32_e32 v120, v120, v98, vcc
	;; [unrolled: 1-line block ×4, first 2 shown]
	s_cmp_lg_u32 s3, s0
	s_cbranch_scc1 .LBB100_505
.LBB100_506:
	s_waitcnt lgkmcnt(0)
	v_cmp_eq_f64_e32 vcc, 0, v[117:118]
	v_cmp_eq_f64_e64 s[0:1], 0, v[119:120]
	s_and_b64 s[0:1], vcc, s[0:1]
	s_and_saveexec_b64 s[18:19], s[0:1]
	s_xor_b64 s[0:1], exec, s[18:19]
; %bb.507:
	v_cmp_ne_u32_e32 vcc, 0, v91
	v_cndmask_b32_e32 v91, 25, v91, vcc
; %bb.508:
	s_andn2_saveexec_b64 s[0:1], s[0:1]
	s_cbranch_execz .LBB100_514
; %bb.509:
	v_cmp_ngt_f64_e64 s[18:19], |v[117:118]|, |v[119:120]|
	s_and_saveexec_b64 s[20:21], s[18:19]
	s_xor_b64 s[18:19], exec, s[20:21]
	s_cbranch_execz .LBB100_511
; %bb.510:
	v_div_scale_f64 v[94:95], s[20:21], v[119:120], v[119:120], v[117:118]
	v_rcp_f64_e32 v[96:97], v[94:95]
	v_fma_f64 v[98:99], -v[94:95], v[96:97], 1.0
	v_fma_f64 v[96:97], v[96:97], v[98:99], v[96:97]
	v_div_scale_f64 v[98:99], vcc, v[117:118], v[119:120], v[117:118]
	v_fma_f64 v[100:101], -v[94:95], v[96:97], 1.0
	v_fma_f64 v[96:97], v[96:97], v[100:101], v[96:97]
	v_mul_f64 v[100:101], v[98:99], v[96:97]
	v_fma_f64 v[94:95], -v[94:95], v[100:101], v[98:99]
	v_div_fmas_f64 v[94:95], v[94:95], v[96:97], v[100:101]
	v_div_fixup_f64 v[94:95], v[94:95], v[119:120], v[117:118]
	v_fma_f64 v[96:97], v[117:118], v[94:95], v[119:120]
	v_div_scale_f64 v[98:99], s[20:21], v[96:97], v[96:97], 1.0
	v_div_scale_f64 v[104:105], vcc, 1.0, v[96:97], 1.0
	v_rcp_f64_e32 v[100:101], v[98:99]
	v_fma_f64 v[102:103], -v[98:99], v[100:101], 1.0
	v_fma_f64 v[100:101], v[100:101], v[102:103], v[100:101]
	v_fma_f64 v[102:103], -v[98:99], v[100:101], 1.0
	v_fma_f64 v[100:101], v[100:101], v[102:103], v[100:101]
	v_mul_f64 v[102:103], v[104:105], v[100:101]
	v_fma_f64 v[98:99], -v[98:99], v[102:103], v[104:105]
	v_div_fmas_f64 v[98:99], v[98:99], v[100:101], v[102:103]
	v_div_fixup_f64 v[119:120], v[98:99], v[96:97], 1.0
	v_mul_f64 v[117:118], v[94:95], v[119:120]
	v_xor_b32_e32 v120, 0x80000000, v120
.LBB100_511:
	s_andn2_saveexec_b64 s[18:19], s[18:19]
	s_cbranch_execz .LBB100_513
; %bb.512:
	v_div_scale_f64 v[94:95], s[20:21], v[117:118], v[117:118], v[119:120]
	v_rcp_f64_e32 v[96:97], v[94:95]
	v_fma_f64 v[98:99], -v[94:95], v[96:97], 1.0
	v_fma_f64 v[96:97], v[96:97], v[98:99], v[96:97]
	v_div_scale_f64 v[98:99], vcc, v[119:120], v[117:118], v[119:120]
	v_fma_f64 v[100:101], -v[94:95], v[96:97], 1.0
	v_fma_f64 v[96:97], v[96:97], v[100:101], v[96:97]
	v_mul_f64 v[100:101], v[98:99], v[96:97]
	v_fma_f64 v[94:95], -v[94:95], v[100:101], v[98:99]
	v_div_fmas_f64 v[94:95], v[94:95], v[96:97], v[100:101]
	v_div_fixup_f64 v[94:95], v[94:95], v[117:118], v[119:120]
	v_fma_f64 v[96:97], v[119:120], v[94:95], v[117:118]
	v_div_scale_f64 v[98:99], s[20:21], v[96:97], v[96:97], 1.0
	v_div_scale_f64 v[104:105], vcc, 1.0, v[96:97], 1.0
	v_rcp_f64_e32 v[100:101], v[98:99]
	v_fma_f64 v[102:103], -v[98:99], v[100:101], 1.0
	v_fma_f64 v[100:101], v[100:101], v[102:103], v[100:101]
	v_fma_f64 v[102:103], -v[98:99], v[100:101], 1.0
	v_fma_f64 v[100:101], v[100:101], v[102:103], v[100:101]
	v_mul_f64 v[102:103], v[104:105], v[100:101]
	v_fma_f64 v[98:99], -v[98:99], v[102:103], v[104:105]
	v_div_fmas_f64 v[98:99], v[98:99], v[100:101], v[102:103]
	v_div_fixup_f64 v[117:118], v[98:99], v[96:97], 1.0
	v_mul_f64 v[119:120], v[94:95], -v[117:118]
.LBB100_513:
	s_or_b64 exec, exec, s[18:19]
.LBB100_514:
	s_or_b64 exec, exec, s[0:1]
	v_cmp_ne_u32_e32 vcc, v92, v93
	s_and_saveexec_b64 s[0:1], vcc
	s_xor_b64 s[0:1], exec, s[0:1]
	s_cbranch_execz .LBB100_520
; %bb.515:
	v_cmp_eq_u32_e32 vcc, 24, v92
	s_and_saveexec_b64 s[18:19], vcc
	s_cbranch_execz .LBB100_519
; %bb.516:
	v_cmp_ne_u32_e32 vcc, 24, v93
	s_xor_b64 s[20:21], s[6:7], -1
	s_and_b64 s[22:23], s[20:21], vcc
	s_and_saveexec_b64 s[20:21], s[22:23]
	s_cbranch_execz .LBB100_518
; %bb.517:
	buffer_load_dword v81, off, s[24:27], 0 offset:400 ; 4-byte Folded Reload
	buffer_load_dword v82, off, s[24:27], 0 offset:404 ; 4-byte Folded Reload
	v_ashrrev_i32_e32 v94, 31, v93
	v_lshlrev_b64 v[94:95], 2, v[93:94]
	s_waitcnt vmcnt(1)
	v_add_co_u32_e32 v94, vcc, v81, v94
	s_waitcnt vmcnt(0)
	v_addc_co_u32_e32 v95, vcc, v82, v95, vcc
	global_load_dword v0, v[94:95], off
	global_load_dword v92, v[81:82], off offset:96
	s_waitcnt vmcnt(1)
	global_store_dword v[81:82], v0, off offset:96
	s_waitcnt vmcnt(1)
	global_store_dword v[94:95], v92, off
.LBB100_518:
	s_or_b64 exec, exec, s[20:21]
	v_mov_b32_e32 v92, v93
	v_mov_b32_e32 v0, v93
.LBB100_519:
	s_or_b64 exec, exec, s[18:19]
.LBB100_520:
	s_andn2_saveexec_b64 s[0:1], s[0:1]
	s_cbranch_execz .LBB100_522
; %bb.521:
	buffer_load_dword v81, off, s[24:27], 0 offset:32 ; 4-byte Folded Reload
	buffer_load_dword v82, off, s[24:27], 0 offset:36 ; 4-byte Folded Reload
	;; [unrolled: 1-line block ×4, first 2 shown]
	v_mov_b32_e32 v92, 24
	s_waitcnt vmcnt(0)
	ds_write2_b64 v90, v[81:82], v[83:84] offset0:50 offset1:51
	buffer_load_dword v81, off, s[24:27], 0 offset:16 ; 4-byte Folded Reload
	buffer_load_dword v82, off, s[24:27], 0 offset:20 ; 4-byte Folded Reload
	;; [unrolled: 1-line block ×4, first 2 shown]
	s_waitcnt vmcnt(0)
	ds_write2_b64 v90, v[81:82], v[83:84] offset0:52 offset1:53
	buffer_load_dword v81, off, s[24:27], 0 ; 4-byte Folded Reload
	buffer_load_dword v82, off, s[24:27], 0 offset:4 ; 4-byte Folded Reload
	buffer_load_dword v83, off, s[24:27], 0 offset:8 ; 4-byte Folded Reload
	;; [unrolled: 1-line block ×3, first 2 shown]
	s_waitcnt vmcnt(0)
	ds_write2_b64 v90, v[81:82], v[83:84] offset0:54 offset1:55
	ds_write2_b64 v90, v[111:112], v[113:114] offset0:56 offset1:57
	;; [unrolled: 1-line block ×24, first 2 shown]
.LBB100_522:
	s_or_b64 exec, exec, s[0:1]
	v_cmp_lt_i32_e32 vcc, 24, v92
	s_waitcnt vmcnt(0) lgkmcnt(0)
	s_barrier
	s_and_saveexec_b64 s[0:1], vcc
	s_cbranch_execz .LBB100_524
; %bb.523:
	buffer_load_dword v99, off, s[24:27], 0 offset:48 ; 4-byte Folded Reload
	buffer_load_dword v100, off, s[24:27], 0 offset:52 ; 4-byte Folded Reload
	;; [unrolled: 1-line block ×4, first 2 shown]
	s_waitcnt vmcnt(0)
	v_mul_f64 v[95:96], v[117:118], v[101:102]
	v_mul_f64 v[93:94], v[119:120], v[101:102]
	v_fma_f64 v[101:102], v[119:120], v[99:100], v[95:96]
	ds_read2_b64 v[95:98], v90 offset0:50 offset1:51
	buffer_load_dword v81, off, s[24:27], 0 offset:32 ; 4-byte Folded Reload
	buffer_load_dword v82, off, s[24:27], 0 offset:36 ; 4-byte Folded Reload
	;; [unrolled: 1-line block ×4, first 2 shown]
	v_fma_f64 v[93:94], v[117:118], v[99:100], -v[93:94]
	s_waitcnt lgkmcnt(0)
	v_mul_f64 v[99:100], v[97:98], v[101:102]
	v_fma_f64 v[99:100], v[95:96], v[93:94], -v[99:100]
	v_mul_f64 v[95:96], v[95:96], v[101:102]
	v_fma_f64 v[95:96], v[97:98], v[93:94], v[95:96]
	s_waitcnt vmcnt(2)
	v_add_f64 v[81:82], v[81:82], -v[99:100]
	s_waitcnt vmcnt(0)
	v_add_f64 v[83:84], v[83:84], -v[95:96]
	buffer_store_dword v81, off, s[24:27], 0 offset:32 ; 4-byte Folded Spill
	s_nop 0
	buffer_store_dword v82, off, s[24:27], 0 offset:36 ; 4-byte Folded Spill
	buffer_store_dword v83, off, s[24:27], 0 offset:40 ; 4-byte Folded Spill
	;; [unrolled: 1-line block ×3, first 2 shown]
	ds_read2_b64 v[95:98], v90 offset0:52 offset1:53
	buffer_load_dword v81, off, s[24:27], 0 offset:16 ; 4-byte Folded Reload
	buffer_load_dword v82, off, s[24:27], 0 offset:20 ; 4-byte Folded Reload
	;; [unrolled: 1-line block ×4, first 2 shown]
	s_waitcnt lgkmcnt(0)
	v_mul_f64 v[99:100], v[97:98], v[101:102]
	v_fma_f64 v[99:100], v[95:96], v[93:94], -v[99:100]
	v_mul_f64 v[95:96], v[95:96], v[101:102]
	v_fma_f64 v[95:96], v[97:98], v[93:94], v[95:96]
	s_waitcnt vmcnt(2)
	v_add_f64 v[81:82], v[81:82], -v[99:100]
	s_waitcnt vmcnt(0)
	v_add_f64 v[83:84], v[83:84], -v[95:96]
	buffer_store_dword v81, off, s[24:27], 0 offset:16 ; 4-byte Folded Spill
	s_nop 0
	buffer_store_dword v82, off, s[24:27], 0 offset:20 ; 4-byte Folded Spill
	buffer_store_dword v83, off, s[24:27], 0 offset:24 ; 4-byte Folded Spill
	buffer_store_dword v84, off, s[24:27], 0 offset:28 ; 4-byte Folded Spill
	ds_read2_b64 v[95:98], v90 offset0:54 offset1:55
	buffer_load_dword v81, off, s[24:27], 0 ; 4-byte Folded Reload
	buffer_load_dword v82, off, s[24:27], 0 offset:4 ; 4-byte Folded Reload
	buffer_load_dword v83, off, s[24:27], 0 offset:8 ; 4-byte Folded Reload
	;; [unrolled: 1-line block ×3, first 2 shown]
	s_waitcnt lgkmcnt(0)
	v_mul_f64 v[99:100], v[97:98], v[101:102]
	v_fma_f64 v[99:100], v[95:96], v[93:94], -v[99:100]
	v_mul_f64 v[95:96], v[95:96], v[101:102]
	v_fma_f64 v[95:96], v[97:98], v[93:94], v[95:96]
	s_waitcnt vmcnt(2)
	v_add_f64 v[81:82], v[81:82], -v[99:100]
	s_waitcnt vmcnt(0)
	v_add_f64 v[83:84], v[83:84], -v[95:96]
	buffer_store_dword v81, off, s[24:27], 0 ; 4-byte Folded Spill
	s_nop 0
	buffer_store_dword v82, off, s[24:27], 0 offset:4 ; 4-byte Folded Spill
	buffer_store_dword v83, off, s[24:27], 0 offset:8 ; 4-byte Folded Spill
	;; [unrolled: 1-line block ×3, first 2 shown]
	ds_read2_b64 v[95:98], v90 offset0:56 offset1:57
	s_waitcnt lgkmcnt(0)
	v_mul_f64 v[99:100], v[97:98], v[101:102]
	v_fma_f64 v[99:100], v[95:96], v[93:94], -v[99:100]
	v_mul_f64 v[95:96], v[95:96], v[101:102]
	v_add_f64 v[111:112], v[111:112], -v[99:100]
	v_fma_f64 v[95:96], v[97:98], v[93:94], v[95:96]
	v_add_f64 v[113:114], v[113:114], -v[95:96]
	ds_read2_b64 v[95:98], v90 offset0:58 offset1:59
	s_waitcnt lgkmcnt(0)
	v_mul_f64 v[99:100], v[97:98], v[101:102]
	v_fma_f64 v[99:100], v[95:96], v[93:94], -v[99:100]
	v_mul_f64 v[95:96], v[95:96], v[101:102]
	v_add_f64 v[85:86], v[85:86], -v[99:100]
	v_fma_f64 v[95:96], v[97:98], v[93:94], v[95:96]
	v_add_f64 v[87:88], v[87:88], -v[95:96]
	;; [unrolled: 8-line block ×22, first 2 shown]
	ds_read2_b64 v[95:98], v90 offset0:100 offset1:101
	s_waitcnt lgkmcnt(0)
	v_mul_f64 v[99:100], v[97:98], v[101:102]
	v_fma_f64 v[99:100], v[95:96], v[93:94], -v[99:100]
	v_mul_f64 v[95:96], v[95:96], v[101:102]
	v_add_f64 v[121:122], v[121:122], -v[99:100]
	v_fma_f64 v[95:96], v[97:98], v[93:94], v[95:96]
	v_mov_b32_e32 v100, v94
	v_mov_b32_e32 v99, v93
	buffer_store_dword v99, off, s[24:27], 0 offset:48 ; 4-byte Folded Spill
	s_nop 0
	buffer_store_dword v100, off, s[24:27], 0 offset:52 ; 4-byte Folded Spill
	buffer_store_dword v101, off, s[24:27], 0 offset:56 ; 4-byte Folded Spill
	;; [unrolled: 1-line block ×3, first 2 shown]
	v_add_f64 v[123:124], v[123:124], -v[95:96]
.LBB100_524:
	s_or_b64 exec, exec, s[0:1]
	s_waitcnt vmcnt(0)
	s_barrier
	buffer_load_dword v81, off, s[24:27], 0 offset:32 ; 4-byte Folded Reload
	buffer_load_dword v82, off, s[24:27], 0 offset:36 ; 4-byte Folded Reload
	;; [unrolled: 1-line block ×4, first 2 shown]
	v_lshl_add_u32 v93, v92, 4, v90
	s_cmp_lt_i32 s3, 27
	s_waitcnt vmcnt(0)
	ds_write2_b64 v93, v[81:82], v[83:84] offset1:1
	s_waitcnt lgkmcnt(0)
	s_barrier
	ds_read2_b64 v[117:120], v90 offset0:50 offset1:51
	v_mov_b32_e32 v93, 25
	s_cbranch_scc1 .LBB100_527
; %bb.525:
	v_add_u32_e32 v94, 0x1a0, v90
	s_mov_b32 s0, 26
	v_mov_b32_e32 v93, 25
.LBB100_526:                            ; =>This Inner Loop Header: Depth=1
	s_waitcnt lgkmcnt(0)
	v_cmp_gt_f64_e32 vcc, 0, v[117:118]
	v_xor_b32_e32 v99, 0x80000000, v118
	ds_read2_b64 v[95:98], v94 offset1:1
	v_xor_b32_e32 v101, 0x80000000, v120
	v_add_u32_e32 v94, 16, v94
	s_waitcnt lgkmcnt(0)
	v_xor_b32_e32 v103, 0x80000000, v98
	v_cndmask_b32_e32 v100, v118, v99, vcc
	v_cmp_gt_f64_e32 vcc, 0, v[119:120]
	v_mov_b32_e32 v99, v117
	v_cndmask_b32_e32 v102, v120, v101, vcc
	v_cmp_gt_f64_e32 vcc, 0, v[95:96]
	v_mov_b32_e32 v101, v119
	v_add_f64 v[99:100], v[99:100], v[101:102]
	v_xor_b32_e32 v101, 0x80000000, v96
	v_cndmask_b32_e32 v102, v96, v101, vcc
	v_cmp_gt_f64_e32 vcc, 0, v[97:98]
	v_mov_b32_e32 v101, v95
	v_cndmask_b32_e32 v104, v98, v103, vcc
	v_mov_b32_e32 v103, v97
	v_add_f64 v[101:102], v[101:102], v[103:104]
	v_cmp_lt_f64_e32 vcc, v[99:100], v[101:102]
	v_cndmask_b32_e32 v117, v117, v95, vcc
	v_mov_b32_e32 v95, s0
	s_add_i32 s0, s0, 1
	v_cndmask_b32_e32 v118, v118, v96, vcc
	v_cndmask_b32_e32 v120, v120, v98, vcc
	;; [unrolled: 1-line block ×4, first 2 shown]
	s_cmp_lg_u32 s3, s0
	s_cbranch_scc1 .LBB100_526
.LBB100_527:
	s_waitcnt lgkmcnt(0)
	v_cmp_eq_f64_e32 vcc, 0, v[117:118]
	v_cmp_eq_f64_e64 s[0:1], 0, v[119:120]
	s_and_b64 s[0:1], vcc, s[0:1]
	s_and_saveexec_b64 s[18:19], s[0:1]
	s_xor_b64 s[0:1], exec, s[18:19]
; %bb.528:
	v_cmp_ne_u32_e32 vcc, 0, v91
	v_cndmask_b32_e32 v91, 26, v91, vcc
; %bb.529:
	s_andn2_saveexec_b64 s[0:1], s[0:1]
	s_cbranch_execz .LBB100_535
; %bb.530:
	v_cmp_ngt_f64_e64 s[18:19], |v[117:118]|, |v[119:120]|
	s_and_saveexec_b64 s[20:21], s[18:19]
	s_xor_b64 s[18:19], exec, s[20:21]
	s_cbranch_execz .LBB100_532
; %bb.531:
	v_div_scale_f64 v[94:95], s[20:21], v[119:120], v[119:120], v[117:118]
	v_rcp_f64_e32 v[96:97], v[94:95]
	v_fma_f64 v[98:99], -v[94:95], v[96:97], 1.0
	v_fma_f64 v[96:97], v[96:97], v[98:99], v[96:97]
	v_div_scale_f64 v[98:99], vcc, v[117:118], v[119:120], v[117:118]
	v_fma_f64 v[100:101], -v[94:95], v[96:97], 1.0
	v_fma_f64 v[96:97], v[96:97], v[100:101], v[96:97]
	v_mul_f64 v[100:101], v[98:99], v[96:97]
	v_fma_f64 v[94:95], -v[94:95], v[100:101], v[98:99]
	v_div_fmas_f64 v[94:95], v[94:95], v[96:97], v[100:101]
	v_div_fixup_f64 v[94:95], v[94:95], v[119:120], v[117:118]
	v_fma_f64 v[96:97], v[117:118], v[94:95], v[119:120]
	v_div_scale_f64 v[98:99], s[20:21], v[96:97], v[96:97], 1.0
	v_div_scale_f64 v[104:105], vcc, 1.0, v[96:97], 1.0
	v_rcp_f64_e32 v[100:101], v[98:99]
	v_fma_f64 v[102:103], -v[98:99], v[100:101], 1.0
	v_fma_f64 v[100:101], v[100:101], v[102:103], v[100:101]
	v_fma_f64 v[102:103], -v[98:99], v[100:101], 1.0
	v_fma_f64 v[100:101], v[100:101], v[102:103], v[100:101]
	v_mul_f64 v[102:103], v[104:105], v[100:101]
	v_fma_f64 v[98:99], -v[98:99], v[102:103], v[104:105]
	v_div_fmas_f64 v[98:99], v[98:99], v[100:101], v[102:103]
	v_div_fixup_f64 v[119:120], v[98:99], v[96:97], 1.0
	v_mul_f64 v[117:118], v[94:95], v[119:120]
	v_xor_b32_e32 v120, 0x80000000, v120
.LBB100_532:
	s_andn2_saveexec_b64 s[18:19], s[18:19]
	s_cbranch_execz .LBB100_534
; %bb.533:
	v_div_scale_f64 v[94:95], s[20:21], v[117:118], v[117:118], v[119:120]
	v_rcp_f64_e32 v[96:97], v[94:95]
	v_fma_f64 v[98:99], -v[94:95], v[96:97], 1.0
	v_fma_f64 v[96:97], v[96:97], v[98:99], v[96:97]
	v_div_scale_f64 v[98:99], vcc, v[119:120], v[117:118], v[119:120]
	v_fma_f64 v[100:101], -v[94:95], v[96:97], 1.0
	v_fma_f64 v[96:97], v[96:97], v[100:101], v[96:97]
	v_mul_f64 v[100:101], v[98:99], v[96:97]
	v_fma_f64 v[94:95], -v[94:95], v[100:101], v[98:99]
	v_div_fmas_f64 v[94:95], v[94:95], v[96:97], v[100:101]
	v_div_fixup_f64 v[94:95], v[94:95], v[117:118], v[119:120]
	v_fma_f64 v[96:97], v[119:120], v[94:95], v[117:118]
	v_div_scale_f64 v[98:99], s[20:21], v[96:97], v[96:97], 1.0
	v_div_scale_f64 v[104:105], vcc, 1.0, v[96:97], 1.0
	v_rcp_f64_e32 v[100:101], v[98:99]
	v_fma_f64 v[102:103], -v[98:99], v[100:101], 1.0
	v_fma_f64 v[100:101], v[100:101], v[102:103], v[100:101]
	v_fma_f64 v[102:103], -v[98:99], v[100:101], 1.0
	v_fma_f64 v[100:101], v[100:101], v[102:103], v[100:101]
	v_mul_f64 v[102:103], v[104:105], v[100:101]
	v_fma_f64 v[98:99], -v[98:99], v[102:103], v[104:105]
	v_div_fmas_f64 v[98:99], v[98:99], v[100:101], v[102:103]
	v_div_fixup_f64 v[117:118], v[98:99], v[96:97], 1.0
	v_mul_f64 v[119:120], v[94:95], -v[117:118]
.LBB100_534:
	s_or_b64 exec, exec, s[18:19]
.LBB100_535:
	s_or_b64 exec, exec, s[0:1]
	v_cmp_ne_u32_e32 vcc, v92, v93
	s_and_saveexec_b64 s[0:1], vcc
	s_xor_b64 s[0:1], exec, s[0:1]
	s_cbranch_execz .LBB100_541
; %bb.536:
	v_cmp_eq_u32_e32 vcc, 25, v92
	s_and_saveexec_b64 s[18:19], vcc
	s_cbranch_execz .LBB100_540
; %bb.537:
	v_cmp_ne_u32_e32 vcc, 25, v93
	s_xor_b64 s[20:21], s[6:7], -1
	s_and_b64 s[22:23], s[20:21], vcc
	s_and_saveexec_b64 s[20:21], s[22:23]
	s_cbranch_execz .LBB100_539
; %bb.538:
	buffer_load_dword v81, off, s[24:27], 0 offset:400 ; 4-byte Folded Reload
	buffer_load_dword v82, off, s[24:27], 0 offset:404 ; 4-byte Folded Reload
	v_ashrrev_i32_e32 v94, 31, v93
	v_lshlrev_b64 v[94:95], 2, v[93:94]
	s_waitcnt vmcnt(1)
	v_add_co_u32_e32 v94, vcc, v81, v94
	s_waitcnt vmcnt(0)
	v_addc_co_u32_e32 v95, vcc, v82, v95, vcc
	global_load_dword v0, v[94:95], off
	global_load_dword v92, v[81:82], off offset:100
	s_waitcnt vmcnt(1)
	global_store_dword v[81:82], v0, off offset:100
	s_waitcnt vmcnt(1)
	global_store_dword v[94:95], v92, off
.LBB100_539:
	s_or_b64 exec, exec, s[20:21]
	v_mov_b32_e32 v92, v93
	v_mov_b32_e32 v0, v93
.LBB100_540:
	s_or_b64 exec, exec, s[18:19]
.LBB100_541:
	s_andn2_saveexec_b64 s[0:1], s[0:1]
	s_cbranch_execz .LBB100_543
; %bb.542:
	buffer_load_dword v81, off, s[24:27], 0 offset:16 ; 4-byte Folded Reload
	buffer_load_dword v82, off, s[24:27], 0 offset:20 ; 4-byte Folded Reload
	;; [unrolled: 1-line block ×4, first 2 shown]
	v_mov_b32_e32 v92, 25
	s_waitcnt vmcnt(0)
	ds_write2_b64 v90, v[81:82], v[83:84] offset0:52 offset1:53
	buffer_load_dword v81, off, s[24:27], 0 ; 4-byte Folded Reload
	buffer_load_dword v82, off, s[24:27], 0 offset:4 ; 4-byte Folded Reload
	buffer_load_dword v83, off, s[24:27], 0 offset:8 ; 4-byte Folded Reload
	;; [unrolled: 1-line block ×3, first 2 shown]
	s_waitcnt vmcnt(0)
	ds_write2_b64 v90, v[81:82], v[83:84] offset0:54 offset1:55
	ds_write2_b64 v90, v[111:112], v[113:114] offset0:56 offset1:57
	;; [unrolled: 1-line block ×24, first 2 shown]
.LBB100_543:
	s_or_b64 exec, exec, s[0:1]
	v_cmp_lt_i32_e32 vcc, 25, v92
	s_waitcnt vmcnt(0) lgkmcnt(0)
	s_barrier
	s_and_saveexec_b64 s[0:1], vcc
	s_cbranch_execz .LBB100_545
; %bb.544:
	buffer_load_dword v99, off, s[24:27], 0 offset:32 ; 4-byte Folded Reload
	buffer_load_dword v100, off, s[24:27], 0 offset:36 ; 4-byte Folded Reload
	;; [unrolled: 1-line block ×4, first 2 shown]
	s_waitcnt vmcnt(0)
	v_mul_f64 v[95:96], v[117:118], v[101:102]
	v_mul_f64 v[93:94], v[119:120], v[101:102]
	v_fma_f64 v[101:102], v[119:120], v[99:100], v[95:96]
	ds_read2_b64 v[95:98], v90 offset0:52 offset1:53
	buffer_load_dword v81, off, s[24:27], 0 offset:16 ; 4-byte Folded Reload
	buffer_load_dword v82, off, s[24:27], 0 offset:20 ; 4-byte Folded Reload
	;; [unrolled: 1-line block ×4, first 2 shown]
	v_fma_f64 v[93:94], v[117:118], v[99:100], -v[93:94]
	s_waitcnt lgkmcnt(0)
	v_mul_f64 v[99:100], v[97:98], v[101:102]
	v_fma_f64 v[99:100], v[95:96], v[93:94], -v[99:100]
	v_mul_f64 v[95:96], v[95:96], v[101:102]
	v_fma_f64 v[95:96], v[97:98], v[93:94], v[95:96]
	s_waitcnt vmcnt(2)
	v_add_f64 v[81:82], v[81:82], -v[99:100]
	s_waitcnt vmcnt(0)
	v_add_f64 v[83:84], v[83:84], -v[95:96]
	buffer_store_dword v81, off, s[24:27], 0 offset:16 ; 4-byte Folded Spill
	s_nop 0
	buffer_store_dword v82, off, s[24:27], 0 offset:20 ; 4-byte Folded Spill
	buffer_store_dword v83, off, s[24:27], 0 offset:24 ; 4-byte Folded Spill
	;; [unrolled: 1-line block ×3, first 2 shown]
	ds_read2_b64 v[95:98], v90 offset0:54 offset1:55
	buffer_load_dword v81, off, s[24:27], 0 ; 4-byte Folded Reload
	buffer_load_dword v82, off, s[24:27], 0 offset:4 ; 4-byte Folded Reload
	buffer_load_dword v83, off, s[24:27], 0 offset:8 ; 4-byte Folded Reload
	;; [unrolled: 1-line block ×3, first 2 shown]
	s_waitcnt lgkmcnt(0)
	v_mul_f64 v[99:100], v[97:98], v[101:102]
	v_fma_f64 v[99:100], v[95:96], v[93:94], -v[99:100]
	v_mul_f64 v[95:96], v[95:96], v[101:102]
	v_fma_f64 v[95:96], v[97:98], v[93:94], v[95:96]
	s_waitcnt vmcnt(2)
	v_add_f64 v[81:82], v[81:82], -v[99:100]
	s_waitcnt vmcnt(0)
	v_add_f64 v[83:84], v[83:84], -v[95:96]
	buffer_store_dword v81, off, s[24:27], 0 ; 4-byte Folded Spill
	s_nop 0
	buffer_store_dword v82, off, s[24:27], 0 offset:4 ; 4-byte Folded Spill
	buffer_store_dword v83, off, s[24:27], 0 offset:8 ; 4-byte Folded Spill
	;; [unrolled: 1-line block ×3, first 2 shown]
	ds_read2_b64 v[95:98], v90 offset0:56 offset1:57
	s_waitcnt lgkmcnt(0)
	v_mul_f64 v[99:100], v[97:98], v[101:102]
	v_fma_f64 v[99:100], v[95:96], v[93:94], -v[99:100]
	v_mul_f64 v[95:96], v[95:96], v[101:102]
	v_add_f64 v[111:112], v[111:112], -v[99:100]
	v_fma_f64 v[95:96], v[97:98], v[93:94], v[95:96]
	v_add_f64 v[113:114], v[113:114], -v[95:96]
	ds_read2_b64 v[95:98], v90 offset0:58 offset1:59
	s_waitcnt lgkmcnt(0)
	v_mul_f64 v[99:100], v[97:98], v[101:102]
	v_fma_f64 v[99:100], v[95:96], v[93:94], -v[99:100]
	v_mul_f64 v[95:96], v[95:96], v[101:102]
	v_add_f64 v[85:86], v[85:86], -v[99:100]
	v_fma_f64 v[95:96], v[97:98], v[93:94], v[95:96]
	v_add_f64 v[87:88], v[87:88], -v[95:96]
	;; [unrolled: 8-line block ×22, first 2 shown]
	ds_read2_b64 v[95:98], v90 offset0:100 offset1:101
	s_waitcnt lgkmcnt(0)
	v_mul_f64 v[99:100], v[97:98], v[101:102]
	v_fma_f64 v[99:100], v[95:96], v[93:94], -v[99:100]
	v_mul_f64 v[95:96], v[95:96], v[101:102]
	v_add_f64 v[121:122], v[121:122], -v[99:100]
	v_fma_f64 v[95:96], v[97:98], v[93:94], v[95:96]
	v_mov_b32_e32 v100, v94
	v_mov_b32_e32 v99, v93
	buffer_store_dword v99, off, s[24:27], 0 offset:32 ; 4-byte Folded Spill
	s_nop 0
	buffer_store_dword v100, off, s[24:27], 0 offset:36 ; 4-byte Folded Spill
	buffer_store_dword v101, off, s[24:27], 0 offset:40 ; 4-byte Folded Spill
	;; [unrolled: 1-line block ×3, first 2 shown]
	v_add_f64 v[123:124], v[123:124], -v[95:96]
.LBB100_545:
	s_or_b64 exec, exec, s[0:1]
	s_waitcnt vmcnt(0)
	s_barrier
	buffer_load_dword v81, off, s[24:27], 0 offset:16 ; 4-byte Folded Reload
	buffer_load_dword v82, off, s[24:27], 0 offset:20 ; 4-byte Folded Reload
	;; [unrolled: 1-line block ×4, first 2 shown]
	v_lshl_add_u32 v93, v92, 4, v90
	s_cmp_lt_i32 s3, 28
	s_waitcnt vmcnt(0)
	ds_write2_b64 v93, v[81:82], v[83:84] offset1:1
	s_waitcnt lgkmcnt(0)
	s_barrier
	ds_read2_b64 v[117:120], v90 offset0:52 offset1:53
	v_mov_b32_e32 v93, 26
	s_cbranch_scc1 .LBB100_548
; %bb.546:
	v_add_u32_e32 v94, 0x1b0, v90
	s_mov_b32 s0, 27
	v_mov_b32_e32 v93, 26
.LBB100_547:                            ; =>This Inner Loop Header: Depth=1
	s_waitcnt lgkmcnt(0)
	v_cmp_gt_f64_e32 vcc, 0, v[117:118]
	v_xor_b32_e32 v99, 0x80000000, v118
	ds_read2_b64 v[95:98], v94 offset1:1
	v_xor_b32_e32 v101, 0x80000000, v120
	v_add_u32_e32 v94, 16, v94
	s_waitcnt lgkmcnt(0)
	v_xor_b32_e32 v103, 0x80000000, v98
	v_cndmask_b32_e32 v100, v118, v99, vcc
	v_cmp_gt_f64_e32 vcc, 0, v[119:120]
	v_mov_b32_e32 v99, v117
	v_cndmask_b32_e32 v102, v120, v101, vcc
	v_cmp_gt_f64_e32 vcc, 0, v[95:96]
	v_mov_b32_e32 v101, v119
	v_add_f64 v[99:100], v[99:100], v[101:102]
	v_xor_b32_e32 v101, 0x80000000, v96
	v_cndmask_b32_e32 v102, v96, v101, vcc
	v_cmp_gt_f64_e32 vcc, 0, v[97:98]
	v_mov_b32_e32 v101, v95
	v_cndmask_b32_e32 v104, v98, v103, vcc
	v_mov_b32_e32 v103, v97
	v_add_f64 v[101:102], v[101:102], v[103:104]
	v_cmp_lt_f64_e32 vcc, v[99:100], v[101:102]
	v_cndmask_b32_e32 v117, v117, v95, vcc
	v_mov_b32_e32 v95, s0
	s_add_i32 s0, s0, 1
	v_cndmask_b32_e32 v118, v118, v96, vcc
	v_cndmask_b32_e32 v120, v120, v98, vcc
	;; [unrolled: 1-line block ×4, first 2 shown]
	s_cmp_lg_u32 s3, s0
	s_cbranch_scc1 .LBB100_547
.LBB100_548:
	s_waitcnt lgkmcnt(0)
	v_cmp_eq_f64_e32 vcc, 0, v[117:118]
	v_cmp_eq_f64_e64 s[0:1], 0, v[119:120]
	s_and_b64 s[0:1], vcc, s[0:1]
	s_and_saveexec_b64 s[18:19], s[0:1]
	s_xor_b64 s[0:1], exec, s[18:19]
; %bb.549:
	v_cmp_ne_u32_e32 vcc, 0, v91
	v_cndmask_b32_e32 v91, 27, v91, vcc
; %bb.550:
	s_andn2_saveexec_b64 s[0:1], s[0:1]
	s_cbranch_execz .LBB100_556
; %bb.551:
	v_cmp_ngt_f64_e64 s[18:19], |v[117:118]|, |v[119:120]|
	s_and_saveexec_b64 s[20:21], s[18:19]
	s_xor_b64 s[18:19], exec, s[20:21]
	s_cbranch_execz .LBB100_553
; %bb.552:
	v_div_scale_f64 v[94:95], s[20:21], v[119:120], v[119:120], v[117:118]
	v_rcp_f64_e32 v[96:97], v[94:95]
	v_fma_f64 v[98:99], -v[94:95], v[96:97], 1.0
	v_fma_f64 v[96:97], v[96:97], v[98:99], v[96:97]
	v_div_scale_f64 v[98:99], vcc, v[117:118], v[119:120], v[117:118]
	v_fma_f64 v[100:101], -v[94:95], v[96:97], 1.0
	v_fma_f64 v[96:97], v[96:97], v[100:101], v[96:97]
	v_mul_f64 v[100:101], v[98:99], v[96:97]
	v_fma_f64 v[94:95], -v[94:95], v[100:101], v[98:99]
	v_div_fmas_f64 v[94:95], v[94:95], v[96:97], v[100:101]
	v_div_fixup_f64 v[94:95], v[94:95], v[119:120], v[117:118]
	v_fma_f64 v[96:97], v[117:118], v[94:95], v[119:120]
	v_div_scale_f64 v[98:99], s[20:21], v[96:97], v[96:97], 1.0
	v_div_scale_f64 v[104:105], vcc, 1.0, v[96:97], 1.0
	v_rcp_f64_e32 v[100:101], v[98:99]
	v_fma_f64 v[102:103], -v[98:99], v[100:101], 1.0
	v_fma_f64 v[100:101], v[100:101], v[102:103], v[100:101]
	v_fma_f64 v[102:103], -v[98:99], v[100:101], 1.0
	v_fma_f64 v[100:101], v[100:101], v[102:103], v[100:101]
	v_mul_f64 v[102:103], v[104:105], v[100:101]
	v_fma_f64 v[98:99], -v[98:99], v[102:103], v[104:105]
	v_div_fmas_f64 v[98:99], v[98:99], v[100:101], v[102:103]
	v_div_fixup_f64 v[119:120], v[98:99], v[96:97], 1.0
	v_mul_f64 v[117:118], v[94:95], v[119:120]
	v_xor_b32_e32 v120, 0x80000000, v120
.LBB100_553:
	s_andn2_saveexec_b64 s[18:19], s[18:19]
	s_cbranch_execz .LBB100_555
; %bb.554:
	v_div_scale_f64 v[94:95], s[20:21], v[117:118], v[117:118], v[119:120]
	v_rcp_f64_e32 v[96:97], v[94:95]
	v_fma_f64 v[98:99], -v[94:95], v[96:97], 1.0
	v_fma_f64 v[96:97], v[96:97], v[98:99], v[96:97]
	v_div_scale_f64 v[98:99], vcc, v[119:120], v[117:118], v[119:120]
	v_fma_f64 v[100:101], -v[94:95], v[96:97], 1.0
	v_fma_f64 v[96:97], v[96:97], v[100:101], v[96:97]
	v_mul_f64 v[100:101], v[98:99], v[96:97]
	v_fma_f64 v[94:95], -v[94:95], v[100:101], v[98:99]
	v_div_fmas_f64 v[94:95], v[94:95], v[96:97], v[100:101]
	v_div_fixup_f64 v[94:95], v[94:95], v[117:118], v[119:120]
	v_fma_f64 v[96:97], v[119:120], v[94:95], v[117:118]
	v_div_scale_f64 v[98:99], s[20:21], v[96:97], v[96:97], 1.0
	v_div_scale_f64 v[104:105], vcc, 1.0, v[96:97], 1.0
	v_rcp_f64_e32 v[100:101], v[98:99]
	v_fma_f64 v[102:103], -v[98:99], v[100:101], 1.0
	v_fma_f64 v[100:101], v[100:101], v[102:103], v[100:101]
	v_fma_f64 v[102:103], -v[98:99], v[100:101], 1.0
	v_fma_f64 v[100:101], v[100:101], v[102:103], v[100:101]
	v_mul_f64 v[102:103], v[104:105], v[100:101]
	v_fma_f64 v[98:99], -v[98:99], v[102:103], v[104:105]
	v_div_fmas_f64 v[98:99], v[98:99], v[100:101], v[102:103]
	v_div_fixup_f64 v[117:118], v[98:99], v[96:97], 1.0
	v_mul_f64 v[119:120], v[94:95], -v[117:118]
.LBB100_555:
	s_or_b64 exec, exec, s[18:19]
.LBB100_556:
	s_or_b64 exec, exec, s[0:1]
	v_cmp_ne_u32_e32 vcc, v92, v93
	s_and_saveexec_b64 s[0:1], vcc
	s_xor_b64 s[0:1], exec, s[0:1]
	s_cbranch_execz .LBB100_562
; %bb.557:
	v_cmp_eq_u32_e32 vcc, 26, v92
	s_and_saveexec_b64 s[18:19], vcc
	s_cbranch_execz .LBB100_561
; %bb.558:
	v_cmp_ne_u32_e32 vcc, 26, v93
	s_xor_b64 s[20:21], s[6:7], -1
	s_and_b64 s[22:23], s[20:21], vcc
	s_and_saveexec_b64 s[20:21], s[22:23]
	s_cbranch_execz .LBB100_560
; %bb.559:
	buffer_load_dword v81, off, s[24:27], 0 offset:400 ; 4-byte Folded Reload
	buffer_load_dword v82, off, s[24:27], 0 offset:404 ; 4-byte Folded Reload
	v_ashrrev_i32_e32 v94, 31, v93
	v_lshlrev_b64 v[94:95], 2, v[93:94]
	s_waitcnt vmcnt(1)
	v_add_co_u32_e32 v94, vcc, v81, v94
	s_waitcnt vmcnt(0)
	v_addc_co_u32_e32 v95, vcc, v82, v95, vcc
	global_load_dword v0, v[94:95], off
	global_load_dword v92, v[81:82], off offset:104
	s_waitcnt vmcnt(1)
	global_store_dword v[81:82], v0, off offset:104
	s_waitcnt vmcnt(1)
	global_store_dword v[94:95], v92, off
.LBB100_560:
	s_or_b64 exec, exec, s[20:21]
	v_mov_b32_e32 v92, v93
	v_mov_b32_e32 v0, v93
.LBB100_561:
	s_or_b64 exec, exec, s[18:19]
.LBB100_562:
	s_andn2_saveexec_b64 s[0:1], s[0:1]
	s_cbranch_execz .LBB100_564
; %bb.563:
	buffer_load_dword v81, off, s[24:27], 0 ; 4-byte Folded Reload
	buffer_load_dword v82, off, s[24:27], 0 offset:4 ; 4-byte Folded Reload
	buffer_load_dword v83, off, s[24:27], 0 offset:8 ; 4-byte Folded Reload
	buffer_load_dword v84, off, s[24:27], 0 offset:12 ; 4-byte Folded Reload
	v_mov_b32_e32 v92, 26
	s_waitcnt vmcnt(0)
	ds_write2_b64 v90, v[81:82], v[83:84] offset0:54 offset1:55
	ds_write2_b64 v90, v[111:112], v[113:114] offset0:56 offset1:57
	;; [unrolled: 1-line block ×24, first 2 shown]
.LBB100_564:
	s_or_b64 exec, exec, s[0:1]
	v_cmp_lt_i32_e32 vcc, 26, v92
	s_waitcnt vmcnt(0) lgkmcnt(0)
	s_barrier
	s_and_saveexec_b64 s[0:1], vcc
	s_cbranch_execz .LBB100_566
; %bb.565:
	buffer_load_dword v99, off, s[24:27], 0 offset:16 ; 4-byte Folded Reload
	buffer_load_dword v100, off, s[24:27], 0 offset:20 ; 4-byte Folded Reload
	;; [unrolled: 1-line block ×4, first 2 shown]
	s_waitcnt vmcnt(0)
	v_mul_f64 v[95:96], v[117:118], v[101:102]
	v_mul_f64 v[93:94], v[119:120], v[101:102]
	v_fma_f64 v[101:102], v[119:120], v[99:100], v[95:96]
	ds_read2_b64 v[95:98], v90 offset0:54 offset1:55
	buffer_load_dword v81, off, s[24:27], 0 ; 4-byte Folded Reload
	buffer_load_dword v82, off, s[24:27], 0 offset:4 ; 4-byte Folded Reload
	buffer_load_dword v83, off, s[24:27], 0 offset:8 ; 4-byte Folded Reload
	;; [unrolled: 1-line block ×3, first 2 shown]
	v_fma_f64 v[93:94], v[117:118], v[99:100], -v[93:94]
	s_waitcnt lgkmcnt(0)
	v_mul_f64 v[99:100], v[97:98], v[101:102]
	v_fma_f64 v[99:100], v[95:96], v[93:94], -v[99:100]
	v_mul_f64 v[95:96], v[95:96], v[101:102]
	v_fma_f64 v[95:96], v[97:98], v[93:94], v[95:96]
	s_waitcnt vmcnt(2)
	v_add_f64 v[81:82], v[81:82], -v[99:100]
	s_waitcnt vmcnt(0)
	v_add_f64 v[83:84], v[83:84], -v[95:96]
	buffer_store_dword v81, off, s[24:27], 0 ; 4-byte Folded Spill
	s_nop 0
	buffer_store_dword v82, off, s[24:27], 0 offset:4 ; 4-byte Folded Spill
	buffer_store_dword v83, off, s[24:27], 0 offset:8 ; 4-byte Folded Spill
	;; [unrolled: 1-line block ×3, first 2 shown]
	ds_read2_b64 v[95:98], v90 offset0:56 offset1:57
	s_waitcnt lgkmcnt(0)
	v_mul_f64 v[99:100], v[97:98], v[101:102]
	v_fma_f64 v[99:100], v[95:96], v[93:94], -v[99:100]
	v_mul_f64 v[95:96], v[95:96], v[101:102]
	v_add_f64 v[111:112], v[111:112], -v[99:100]
	v_fma_f64 v[95:96], v[97:98], v[93:94], v[95:96]
	v_add_f64 v[113:114], v[113:114], -v[95:96]
	ds_read2_b64 v[95:98], v90 offset0:58 offset1:59
	s_waitcnt lgkmcnt(0)
	v_mul_f64 v[99:100], v[97:98], v[101:102]
	v_fma_f64 v[99:100], v[95:96], v[93:94], -v[99:100]
	v_mul_f64 v[95:96], v[95:96], v[101:102]
	v_add_f64 v[85:86], v[85:86], -v[99:100]
	v_fma_f64 v[95:96], v[97:98], v[93:94], v[95:96]
	v_add_f64 v[87:88], v[87:88], -v[95:96]
	;; [unrolled: 8-line block ×22, first 2 shown]
	ds_read2_b64 v[95:98], v90 offset0:100 offset1:101
	s_waitcnt lgkmcnt(0)
	v_mul_f64 v[99:100], v[97:98], v[101:102]
	v_fma_f64 v[99:100], v[95:96], v[93:94], -v[99:100]
	v_mul_f64 v[95:96], v[95:96], v[101:102]
	v_add_f64 v[121:122], v[121:122], -v[99:100]
	v_fma_f64 v[95:96], v[97:98], v[93:94], v[95:96]
	v_mov_b32_e32 v100, v94
	v_mov_b32_e32 v99, v93
	buffer_store_dword v99, off, s[24:27], 0 offset:16 ; 4-byte Folded Spill
	s_nop 0
	buffer_store_dword v100, off, s[24:27], 0 offset:20 ; 4-byte Folded Spill
	buffer_store_dword v101, off, s[24:27], 0 offset:24 ; 4-byte Folded Spill
	;; [unrolled: 1-line block ×3, first 2 shown]
	v_add_f64 v[123:124], v[123:124], -v[95:96]
.LBB100_566:
	s_or_b64 exec, exec, s[0:1]
	s_waitcnt vmcnt(0)
	s_barrier
	buffer_load_dword v81, off, s[24:27], 0 ; 4-byte Folded Reload
	buffer_load_dword v82, off, s[24:27], 0 offset:4 ; 4-byte Folded Reload
	buffer_load_dword v83, off, s[24:27], 0 offset:8 ; 4-byte Folded Reload
	;; [unrolled: 1-line block ×3, first 2 shown]
	v_lshl_add_u32 v93, v92, 4, v90
	s_cmp_lt_i32 s3, 29
	s_waitcnt vmcnt(0)
	ds_write2_b64 v93, v[81:82], v[83:84] offset1:1
	s_waitcnt lgkmcnt(0)
	s_barrier
	ds_read2_b64 v[117:120], v90 offset0:54 offset1:55
	v_mov_b32_e32 v93, 27
	s_cbranch_scc1 .LBB100_569
; %bb.567:
	v_add_u32_e32 v94, 0x1c0, v90
	s_mov_b32 s0, 28
	v_mov_b32_e32 v93, 27
.LBB100_568:                            ; =>This Inner Loop Header: Depth=1
	s_waitcnt lgkmcnt(0)
	v_cmp_gt_f64_e32 vcc, 0, v[117:118]
	v_xor_b32_e32 v99, 0x80000000, v118
	ds_read2_b64 v[95:98], v94 offset1:1
	v_xor_b32_e32 v101, 0x80000000, v120
	v_add_u32_e32 v94, 16, v94
	s_waitcnt lgkmcnt(0)
	v_xor_b32_e32 v103, 0x80000000, v98
	v_cndmask_b32_e32 v100, v118, v99, vcc
	v_cmp_gt_f64_e32 vcc, 0, v[119:120]
	v_mov_b32_e32 v99, v117
	v_cndmask_b32_e32 v102, v120, v101, vcc
	v_cmp_gt_f64_e32 vcc, 0, v[95:96]
	v_mov_b32_e32 v101, v119
	v_add_f64 v[99:100], v[99:100], v[101:102]
	v_xor_b32_e32 v101, 0x80000000, v96
	v_cndmask_b32_e32 v102, v96, v101, vcc
	v_cmp_gt_f64_e32 vcc, 0, v[97:98]
	v_mov_b32_e32 v101, v95
	v_cndmask_b32_e32 v104, v98, v103, vcc
	v_mov_b32_e32 v103, v97
	v_add_f64 v[101:102], v[101:102], v[103:104]
	v_cmp_lt_f64_e32 vcc, v[99:100], v[101:102]
	v_cndmask_b32_e32 v117, v117, v95, vcc
	v_mov_b32_e32 v95, s0
	s_add_i32 s0, s0, 1
	v_cndmask_b32_e32 v118, v118, v96, vcc
	v_cndmask_b32_e32 v120, v120, v98, vcc
	;; [unrolled: 1-line block ×4, first 2 shown]
	s_cmp_lg_u32 s3, s0
	s_cbranch_scc1 .LBB100_568
.LBB100_569:
	s_waitcnt lgkmcnt(0)
	v_cmp_eq_f64_e32 vcc, 0, v[117:118]
	v_cmp_eq_f64_e64 s[0:1], 0, v[119:120]
	s_and_b64 s[0:1], vcc, s[0:1]
	s_and_saveexec_b64 s[18:19], s[0:1]
	s_xor_b64 s[0:1], exec, s[18:19]
; %bb.570:
	v_cmp_ne_u32_e32 vcc, 0, v91
	v_cndmask_b32_e32 v91, 28, v91, vcc
; %bb.571:
	s_andn2_saveexec_b64 s[0:1], s[0:1]
	s_cbranch_execz .LBB100_577
; %bb.572:
	v_cmp_ngt_f64_e64 s[18:19], |v[117:118]|, |v[119:120]|
	s_and_saveexec_b64 s[20:21], s[18:19]
	s_xor_b64 s[18:19], exec, s[20:21]
	s_cbranch_execz .LBB100_574
; %bb.573:
	v_div_scale_f64 v[94:95], s[20:21], v[119:120], v[119:120], v[117:118]
	v_rcp_f64_e32 v[96:97], v[94:95]
	v_fma_f64 v[98:99], -v[94:95], v[96:97], 1.0
	v_fma_f64 v[96:97], v[96:97], v[98:99], v[96:97]
	v_div_scale_f64 v[98:99], vcc, v[117:118], v[119:120], v[117:118]
	v_fma_f64 v[100:101], -v[94:95], v[96:97], 1.0
	v_fma_f64 v[96:97], v[96:97], v[100:101], v[96:97]
	v_mul_f64 v[100:101], v[98:99], v[96:97]
	v_fma_f64 v[94:95], -v[94:95], v[100:101], v[98:99]
	v_div_fmas_f64 v[94:95], v[94:95], v[96:97], v[100:101]
	v_div_fixup_f64 v[94:95], v[94:95], v[119:120], v[117:118]
	v_fma_f64 v[96:97], v[117:118], v[94:95], v[119:120]
	v_div_scale_f64 v[98:99], s[20:21], v[96:97], v[96:97], 1.0
	v_div_scale_f64 v[104:105], vcc, 1.0, v[96:97], 1.0
	v_rcp_f64_e32 v[100:101], v[98:99]
	v_fma_f64 v[102:103], -v[98:99], v[100:101], 1.0
	v_fma_f64 v[100:101], v[100:101], v[102:103], v[100:101]
	v_fma_f64 v[102:103], -v[98:99], v[100:101], 1.0
	v_fma_f64 v[100:101], v[100:101], v[102:103], v[100:101]
	v_mul_f64 v[102:103], v[104:105], v[100:101]
	v_fma_f64 v[98:99], -v[98:99], v[102:103], v[104:105]
	v_div_fmas_f64 v[98:99], v[98:99], v[100:101], v[102:103]
	v_div_fixup_f64 v[119:120], v[98:99], v[96:97], 1.0
	v_mul_f64 v[117:118], v[94:95], v[119:120]
	v_xor_b32_e32 v120, 0x80000000, v120
.LBB100_574:
	s_andn2_saveexec_b64 s[18:19], s[18:19]
	s_cbranch_execz .LBB100_576
; %bb.575:
	v_div_scale_f64 v[94:95], s[20:21], v[117:118], v[117:118], v[119:120]
	v_rcp_f64_e32 v[96:97], v[94:95]
	v_fma_f64 v[98:99], -v[94:95], v[96:97], 1.0
	v_fma_f64 v[96:97], v[96:97], v[98:99], v[96:97]
	v_div_scale_f64 v[98:99], vcc, v[119:120], v[117:118], v[119:120]
	v_fma_f64 v[100:101], -v[94:95], v[96:97], 1.0
	v_fma_f64 v[96:97], v[96:97], v[100:101], v[96:97]
	v_mul_f64 v[100:101], v[98:99], v[96:97]
	v_fma_f64 v[94:95], -v[94:95], v[100:101], v[98:99]
	v_div_fmas_f64 v[94:95], v[94:95], v[96:97], v[100:101]
	v_div_fixup_f64 v[94:95], v[94:95], v[117:118], v[119:120]
	v_fma_f64 v[96:97], v[119:120], v[94:95], v[117:118]
	v_div_scale_f64 v[98:99], s[20:21], v[96:97], v[96:97], 1.0
	v_div_scale_f64 v[104:105], vcc, 1.0, v[96:97], 1.0
	v_rcp_f64_e32 v[100:101], v[98:99]
	v_fma_f64 v[102:103], -v[98:99], v[100:101], 1.0
	v_fma_f64 v[100:101], v[100:101], v[102:103], v[100:101]
	v_fma_f64 v[102:103], -v[98:99], v[100:101], 1.0
	v_fma_f64 v[100:101], v[100:101], v[102:103], v[100:101]
	v_mul_f64 v[102:103], v[104:105], v[100:101]
	v_fma_f64 v[98:99], -v[98:99], v[102:103], v[104:105]
	v_div_fmas_f64 v[98:99], v[98:99], v[100:101], v[102:103]
	v_div_fixup_f64 v[117:118], v[98:99], v[96:97], 1.0
	v_mul_f64 v[119:120], v[94:95], -v[117:118]
.LBB100_576:
	s_or_b64 exec, exec, s[18:19]
.LBB100_577:
	s_or_b64 exec, exec, s[0:1]
	v_cmp_ne_u32_e32 vcc, v92, v93
	s_and_saveexec_b64 s[0:1], vcc
	s_xor_b64 s[0:1], exec, s[0:1]
	s_cbranch_execz .LBB100_583
; %bb.578:
	v_cmp_eq_u32_e32 vcc, 27, v92
	s_and_saveexec_b64 s[18:19], vcc
	s_cbranch_execz .LBB100_582
; %bb.579:
	v_cmp_ne_u32_e32 vcc, 27, v93
	s_xor_b64 s[20:21], s[6:7], -1
	s_and_b64 s[22:23], s[20:21], vcc
	s_and_saveexec_b64 s[20:21], s[22:23]
	s_cbranch_execz .LBB100_581
; %bb.580:
	buffer_load_dword v81, off, s[24:27], 0 offset:400 ; 4-byte Folded Reload
	buffer_load_dword v82, off, s[24:27], 0 offset:404 ; 4-byte Folded Reload
	v_ashrrev_i32_e32 v94, 31, v93
	v_lshlrev_b64 v[94:95], 2, v[93:94]
	s_waitcnt vmcnt(1)
	v_add_co_u32_e32 v94, vcc, v81, v94
	s_waitcnt vmcnt(0)
	v_addc_co_u32_e32 v95, vcc, v82, v95, vcc
	global_load_dword v0, v[94:95], off
	global_load_dword v92, v[81:82], off offset:108
	s_waitcnt vmcnt(1)
	global_store_dword v[81:82], v0, off offset:108
	s_waitcnt vmcnt(1)
	global_store_dword v[94:95], v92, off
.LBB100_581:
	s_or_b64 exec, exec, s[20:21]
	v_mov_b32_e32 v92, v93
	v_mov_b32_e32 v0, v93
.LBB100_582:
	s_or_b64 exec, exec, s[18:19]
.LBB100_583:
	s_andn2_saveexec_b64 s[0:1], s[0:1]
	s_cbranch_execz .LBB100_585
; %bb.584:
	v_mov_b32_e32 v92, 27
	ds_write2_b64 v90, v[111:112], v[113:114] offset0:56 offset1:57
	ds_write2_b64 v90, v[85:86], v[87:88] offset0:58 offset1:59
	ds_write2_b64 v90, v[77:78], v[79:80] offset0:60 offset1:61
	ds_write2_b64 v90, v[73:74], v[75:76] offset0:62 offset1:63
	ds_write2_b64 v90, v[69:70], v[71:72] offset0:64 offset1:65
	ds_write2_b64 v90, v[65:66], v[67:68] offset0:66 offset1:67
	ds_write2_b64 v90, v[61:62], v[63:64] offset0:68 offset1:69
	ds_write2_b64 v90, v[57:58], v[59:60] offset0:70 offset1:71
	ds_write2_b64 v90, v[53:54], v[55:56] offset0:72 offset1:73
	ds_write2_b64 v90, v[49:50], v[51:52] offset0:74 offset1:75
	ds_write2_b64 v90, v[45:46], v[47:48] offset0:76 offset1:77
	ds_write2_b64 v90, v[41:42], v[43:44] offset0:78 offset1:79
	ds_write2_b64 v90, v[37:38], v[39:40] offset0:80 offset1:81
	ds_write2_b64 v90, v[33:34], v[35:36] offset0:82 offset1:83
	ds_write2_b64 v90, v[29:30], v[31:32] offset0:84 offset1:85
	ds_write2_b64 v90, v[25:26], v[27:28] offset0:86 offset1:87
	ds_write2_b64 v90, v[21:22], v[23:24] offset0:88 offset1:89
	ds_write2_b64 v90, v[17:18], v[19:20] offset0:90 offset1:91
	ds_write2_b64 v90, v[13:14], v[15:16] offset0:92 offset1:93
	ds_write2_b64 v90, v[9:10], v[11:12] offset0:94 offset1:95
	ds_write2_b64 v90, v[5:6], v[7:8] offset0:96 offset1:97
	ds_write2_b64 v90, v[1:2], v[3:4] offset0:98 offset1:99
	ds_write2_b64 v90, v[121:122], v[123:124] offset0:100 offset1:101
.LBB100_585:
	s_or_b64 exec, exec, s[0:1]
	v_cmp_lt_i32_e32 vcc, 27, v92
	s_waitcnt vmcnt(0) lgkmcnt(0)
	s_barrier
	s_and_saveexec_b64 s[0:1], vcc
	s_cbranch_execz .LBB100_587
; %bb.586:
	buffer_load_dword v81, off, s[24:27], 0 ; 4-byte Folded Reload
	buffer_load_dword v82, off, s[24:27], 0 offset:4 ; 4-byte Folded Reload
	buffer_load_dword v83, off, s[24:27], 0 offset:8 ; 4-byte Folded Reload
	;; [unrolled: 1-line block ×3, first 2 shown]
	s_waitcnt vmcnt(0)
	v_mul_f64 v[95:96], v[117:118], v[83:84]
	v_mul_f64 v[93:94], v[119:120], v[83:84]
	v_fma_f64 v[83:84], v[119:120], v[81:82], v[95:96]
	ds_read2_b64 v[95:98], v90 offset0:56 offset1:57
	v_fma_f64 v[93:94], v[117:118], v[81:82], -v[93:94]
	s_waitcnt lgkmcnt(0)
	v_mul_f64 v[99:100], v[97:98], v[83:84]
	v_mov_b32_e32 v81, v93
	v_mov_b32_e32 v82, v94
	v_fma_f64 v[99:100], v[95:96], v[93:94], -v[99:100]
	v_mul_f64 v[95:96], v[95:96], v[83:84]
	v_add_f64 v[111:112], v[111:112], -v[99:100]
	v_fma_f64 v[95:96], v[97:98], v[93:94], v[95:96]
	v_add_f64 v[113:114], v[113:114], -v[95:96]
	ds_read2_b64 v[95:98], v90 offset0:58 offset1:59
	s_waitcnt lgkmcnt(0)
	v_mul_f64 v[99:100], v[97:98], v[83:84]
	v_fma_f64 v[99:100], v[95:96], v[93:94], -v[99:100]
	v_mul_f64 v[95:96], v[95:96], v[83:84]
	v_add_f64 v[85:86], v[85:86], -v[99:100]
	v_fma_f64 v[95:96], v[97:98], v[93:94], v[95:96]
	v_add_f64 v[87:88], v[87:88], -v[95:96]
	ds_read2_b64 v[95:98], v90 offset0:60 offset1:61
	s_waitcnt lgkmcnt(0)
	v_mul_f64 v[99:100], v[97:98], v[83:84]
	;; [unrolled: 8-line block ×22, first 2 shown]
	v_fma_f64 v[99:100], v[95:96], v[93:94], -v[99:100]
	v_mul_f64 v[95:96], v[95:96], v[83:84]
	buffer_store_dword v81, off, s[24:27], 0 ; 4-byte Folded Spill
	s_nop 0
	buffer_store_dword v82, off, s[24:27], 0 offset:4 ; 4-byte Folded Spill
	buffer_store_dword v83, off, s[24:27], 0 offset:8 ; 4-byte Folded Spill
	;; [unrolled: 1-line block ×3, first 2 shown]
	v_add_f64 v[121:122], v[121:122], -v[99:100]
	v_fma_f64 v[95:96], v[97:98], v[93:94], v[95:96]
	v_add_f64 v[123:124], v[123:124], -v[95:96]
.LBB100_587:
	s_or_b64 exec, exec, s[0:1]
	v_lshl_add_u32 v93, v92, 4, v90
	s_waitcnt vmcnt(0)
	s_barrier
	ds_write2_b64 v93, v[111:112], v[113:114] offset1:1
	s_waitcnt lgkmcnt(0)
	s_barrier
	ds_read2_b64 v[117:120], v90 offset0:56 offset1:57
	s_cmp_lt_i32 s3, 30
	v_mov_b32_e32 v93, 28
	s_cbranch_scc1 .LBB100_590
; %bb.588:
	v_add_u32_e32 v94, 0x1d0, v90
	s_mov_b32 s0, 29
	v_mov_b32_e32 v93, 28
.LBB100_589:                            ; =>This Inner Loop Header: Depth=1
	s_waitcnt lgkmcnt(0)
	v_cmp_gt_f64_e32 vcc, 0, v[117:118]
	v_xor_b32_e32 v99, 0x80000000, v118
	ds_read2_b64 v[95:98], v94 offset1:1
	v_xor_b32_e32 v101, 0x80000000, v120
	v_add_u32_e32 v94, 16, v94
	s_waitcnt lgkmcnt(0)
	v_xor_b32_e32 v103, 0x80000000, v98
	v_cndmask_b32_e32 v100, v118, v99, vcc
	v_cmp_gt_f64_e32 vcc, 0, v[119:120]
	v_mov_b32_e32 v99, v117
	v_cndmask_b32_e32 v102, v120, v101, vcc
	v_cmp_gt_f64_e32 vcc, 0, v[95:96]
	v_mov_b32_e32 v101, v119
	v_add_f64 v[99:100], v[99:100], v[101:102]
	v_xor_b32_e32 v101, 0x80000000, v96
	v_cndmask_b32_e32 v102, v96, v101, vcc
	v_cmp_gt_f64_e32 vcc, 0, v[97:98]
	v_mov_b32_e32 v101, v95
	v_cndmask_b32_e32 v104, v98, v103, vcc
	v_mov_b32_e32 v103, v97
	v_add_f64 v[101:102], v[101:102], v[103:104]
	v_cmp_lt_f64_e32 vcc, v[99:100], v[101:102]
	v_cndmask_b32_e32 v117, v117, v95, vcc
	v_mov_b32_e32 v95, s0
	s_add_i32 s0, s0, 1
	v_cndmask_b32_e32 v118, v118, v96, vcc
	v_cndmask_b32_e32 v120, v120, v98, vcc
	;; [unrolled: 1-line block ×4, first 2 shown]
	s_cmp_lg_u32 s3, s0
	s_cbranch_scc1 .LBB100_589
.LBB100_590:
	s_waitcnt lgkmcnt(0)
	v_cmp_eq_f64_e32 vcc, 0, v[117:118]
	v_cmp_eq_f64_e64 s[0:1], 0, v[119:120]
	s_and_b64 s[0:1], vcc, s[0:1]
	s_and_saveexec_b64 s[18:19], s[0:1]
	s_xor_b64 s[0:1], exec, s[18:19]
; %bb.591:
	v_cmp_ne_u32_e32 vcc, 0, v91
	v_cndmask_b32_e32 v91, 29, v91, vcc
; %bb.592:
	s_andn2_saveexec_b64 s[0:1], s[0:1]
	s_cbranch_execz .LBB100_598
; %bb.593:
	v_cmp_ngt_f64_e64 s[18:19], |v[117:118]|, |v[119:120]|
	s_and_saveexec_b64 s[20:21], s[18:19]
	s_xor_b64 s[18:19], exec, s[20:21]
	s_cbranch_execz .LBB100_595
; %bb.594:
	v_div_scale_f64 v[94:95], s[20:21], v[119:120], v[119:120], v[117:118]
	v_rcp_f64_e32 v[96:97], v[94:95]
	v_fma_f64 v[98:99], -v[94:95], v[96:97], 1.0
	v_fma_f64 v[96:97], v[96:97], v[98:99], v[96:97]
	v_div_scale_f64 v[98:99], vcc, v[117:118], v[119:120], v[117:118]
	v_fma_f64 v[100:101], -v[94:95], v[96:97], 1.0
	v_fma_f64 v[96:97], v[96:97], v[100:101], v[96:97]
	v_mul_f64 v[100:101], v[98:99], v[96:97]
	v_fma_f64 v[94:95], -v[94:95], v[100:101], v[98:99]
	v_div_fmas_f64 v[94:95], v[94:95], v[96:97], v[100:101]
	v_div_fixup_f64 v[94:95], v[94:95], v[119:120], v[117:118]
	v_fma_f64 v[96:97], v[117:118], v[94:95], v[119:120]
	v_div_scale_f64 v[98:99], s[20:21], v[96:97], v[96:97], 1.0
	v_div_scale_f64 v[104:105], vcc, 1.0, v[96:97], 1.0
	v_rcp_f64_e32 v[100:101], v[98:99]
	v_fma_f64 v[102:103], -v[98:99], v[100:101], 1.0
	v_fma_f64 v[100:101], v[100:101], v[102:103], v[100:101]
	v_fma_f64 v[102:103], -v[98:99], v[100:101], 1.0
	v_fma_f64 v[100:101], v[100:101], v[102:103], v[100:101]
	v_mul_f64 v[102:103], v[104:105], v[100:101]
	v_fma_f64 v[98:99], -v[98:99], v[102:103], v[104:105]
	v_div_fmas_f64 v[98:99], v[98:99], v[100:101], v[102:103]
	v_div_fixup_f64 v[119:120], v[98:99], v[96:97], 1.0
	v_mul_f64 v[117:118], v[94:95], v[119:120]
	v_xor_b32_e32 v120, 0x80000000, v120
.LBB100_595:
	s_andn2_saveexec_b64 s[18:19], s[18:19]
	s_cbranch_execz .LBB100_597
; %bb.596:
	v_div_scale_f64 v[94:95], s[20:21], v[117:118], v[117:118], v[119:120]
	v_rcp_f64_e32 v[96:97], v[94:95]
	v_fma_f64 v[98:99], -v[94:95], v[96:97], 1.0
	v_fma_f64 v[96:97], v[96:97], v[98:99], v[96:97]
	v_div_scale_f64 v[98:99], vcc, v[119:120], v[117:118], v[119:120]
	v_fma_f64 v[100:101], -v[94:95], v[96:97], 1.0
	v_fma_f64 v[96:97], v[96:97], v[100:101], v[96:97]
	v_mul_f64 v[100:101], v[98:99], v[96:97]
	v_fma_f64 v[94:95], -v[94:95], v[100:101], v[98:99]
	v_div_fmas_f64 v[94:95], v[94:95], v[96:97], v[100:101]
	v_div_fixup_f64 v[94:95], v[94:95], v[117:118], v[119:120]
	v_fma_f64 v[96:97], v[119:120], v[94:95], v[117:118]
	v_div_scale_f64 v[98:99], s[20:21], v[96:97], v[96:97], 1.0
	v_div_scale_f64 v[104:105], vcc, 1.0, v[96:97], 1.0
	v_rcp_f64_e32 v[100:101], v[98:99]
	v_fma_f64 v[102:103], -v[98:99], v[100:101], 1.0
	v_fma_f64 v[100:101], v[100:101], v[102:103], v[100:101]
	v_fma_f64 v[102:103], -v[98:99], v[100:101], 1.0
	v_fma_f64 v[100:101], v[100:101], v[102:103], v[100:101]
	v_mul_f64 v[102:103], v[104:105], v[100:101]
	v_fma_f64 v[98:99], -v[98:99], v[102:103], v[104:105]
	v_div_fmas_f64 v[98:99], v[98:99], v[100:101], v[102:103]
	v_div_fixup_f64 v[117:118], v[98:99], v[96:97], 1.0
	v_mul_f64 v[119:120], v[94:95], -v[117:118]
.LBB100_597:
	s_or_b64 exec, exec, s[18:19]
.LBB100_598:
	s_or_b64 exec, exec, s[0:1]
	v_cmp_ne_u32_e32 vcc, v92, v93
	s_and_saveexec_b64 s[0:1], vcc
	s_xor_b64 s[0:1], exec, s[0:1]
	s_cbranch_execz .LBB100_604
; %bb.599:
	v_cmp_eq_u32_e32 vcc, 28, v92
	s_and_saveexec_b64 s[18:19], vcc
	s_cbranch_execz .LBB100_603
; %bb.600:
	v_cmp_ne_u32_e32 vcc, 28, v93
	s_xor_b64 s[20:21], s[6:7], -1
	s_and_b64 s[22:23], s[20:21], vcc
	s_and_saveexec_b64 s[20:21], s[22:23]
	s_cbranch_execz .LBB100_602
; %bb.601:
	buffer_load_dword v81, off, s[24:27], 0 offset:400 ; 4-byte Folded Reload
	buffer_load_dword v82, off, s[24:27], 0 offset:404 ; 4-byte Folded Reload
	v_ashrrev_i32_e32 v94, 31, v93
	v_lshlrev_b64 v[94:95], 2, v[93:94]
	s_waitcnt vmcnt(1)
	v_add_co_u32_e32 v94, vcc, v81, v94
	s_waitcnt vmcnt(0)
	v_addc_co_u32_e32 v95, vcc, v82, v95, vcc
	global_load_dword v0, v[94:95], off
	global_load_dword v92, v[81:82], off offset:112
	s_waitcnt vmcnt(1)
	global_store_dword v[81:82], v0, off offset:112
	s_waitcnt vmcnt(1)
	global_store_dword v[94:95], v92, off
.LBB100_602:
	s_or_b64 exec, exec, s[20:21]
	v_mov_b32_e32 v92, v93
	v_mov_b32_e32 v0, v93
.LBB100_603:
	s_or_b64 exec, exec, s[18:19]
.LBB100_604:
	s_andn2_saveexec_b64 s[0:1], s[0:1]
	s_cbranch_execz .LBB100_606
; %bb.605:
	v_mov_b32_e32 v92, 28
	ds_write2_b64 v90, v[85:86], v[87:88] offset0:58 offset1:59
	ds_write2_b64 v90, v[77:78], v[79:80] offset0:60 offset1:61
	;; [unrolled: 1-line block ×22, first 2 shown]
.LBB100_606:
	s_or_b64 exec, exec, s[0:1]
	v_cmp_lt_i32_e32 vcc, 28, v92
	s_waitcnt vmcnt(0) lgkmcnt(0)
	s_barrier
	s_and_saveexec_b64 s[0:1], vcc
	s_cbranch_execz .LBB100_608
; %bb.607:
	v_mov_b32_e32 v81, v85
	v_mov_b32_e32 v82, v86
	;; [unrolled: 1-line block ×4, first 2 shown]
	v_mul_f64 v[87:88], v[117:118], v[113:114]
	v_mul_f64 v[93:94], v[119:120], v[113:114]
	ds_read2_b64 v[95:98], v90 offset0:58 offset1:59
	v_fma_f64 v[113:114], v[119:120], v[111:112], v[87:88]
	v_fma_f64 v[93:94], v[117:118], v[111:112], -v[93:94]
	s_waitcnt lgkmcnt(0)
	v_mul_f64 v[85:86], v[97:98], v[113:114]
	v_mov_b32_e32 v112, v94
	v_mov_b32_e32 v111, v93
	v_fma_f64 v[85:86], v[95:96], v[93:94], -v[85:86]
	v_mul_f64 v[95:96], v[95:96], v[113:114]
	v_add_f64 v[81:82], v[81:82], -v[85:86]
	v_fma_f64 v[95:96], v[97:98], v[93:94], v[95:96]
	v_add_f64 v[83:84], v[83:84], -v[95:96]
	ds_read2_b64 v[95:98], v90 offset0:60 offset1:61
	s_waitcnt lgkmcnt(0)
	v_mul_f64 v[85:86], v[97:98], v[113:114]
	v_fma_f64 v[85:86], v[95:96], v[93:94], -v[85:86]
	v_mul_f64 v[95:96], v[95:96], v[113:114]
	v_add_f64 v[77:78], v[77:78], -v[85:86]
	v_fma_f64 v[95:96], v[97:98], v[93:94], v[95:96]
	v_add_f64 v[79:80], v[79:80], -v[95:96]
	ds_read2_b64 v[95:98], v90 offset0:62 offset1:63
	s_waitcnt lgkmcnt(0)
	v_mul_f64 v[85:86], v[97:98], v[113:114]
	;; [unrolled: 8-line block ×21, first 2 shown]
	v_fma_f64 v[85:86], v[95:96], v[93:94], -v[85:86]
	v_mul_f64 v[95:96], v[95:96], v[113:114]
	v_add_f64 v[121:122], v[121:122], -v[85:86]
	v_fma_f64 v[95:96], v[97:98], v[93:94], v[95:96]
	v_mov_b32_e32 v88, v84
	v_mov_b32_e32 v87, v83
	;; [unrolled: 1-line block ×4, first 2 shown]
	v_add_f64 v[123:124], v[123:124], -v[95:96]
.LBB100_608:
	s_or_b64 exec, exec, s[0:1]
	v_lshl_add_u32 v93, v92, 4, v90
	s_barrier
	ds_write2_b64 v93, v[85:86], v[87:88] offset1:1
	s_waitcnt lgkmcnt(0)
	s_barrier
	ds_read2_b64 v[117:120], v90 offset0:58 offset1:59
	s_cmp_lt_i32 s3, 31
	v_mov_b32_e32 v93, 29
	s_cbranch_scc1 .LBB100_611
; %bb.609:
	v_add_u32_e32 v94, 0x1e0, v90
	s_mov_b32 s0, 30
	v_mov_b32_e32 v93, 29
.LBB100_610:                            ; =>This Inner Loop Header: Depth=1
	s_waitcnt lgkmcnt(0)
	v_cmp_gt_f64_e32 vcc, 0, v[117:118]
	v_xor_b32_e32 v99, 0x80000000, v118
	ds_read2_b64 v[95:98], v94 offset1:1
	v_xor_b32_e32 v101, 0x80000000, v120
	v_add_u32_e32 v94, 16, v94
	s_waitcnt lgkmcnt(0)
	v_xor_b32_e32 v103, 0x80000000, v98
	v_cndmask_b32_e32 v100, v118, v99, vcc
	v_cmp_gt_f64_e32 vcc, 0, v[119:120]
	v_mov_b32_e32 v99, v117
	v_cndmask_b32_e32 v102, v120, v101, vcc
	v_cmp_gt_f64_e32 vcc, 0, v[95:96]
	v_mov_b32_e32 v101, v119
	v_add_f64 v[99:100], v[99:100], v[101:102]
	v_xor_b32_e32 v101, 0x80000000, v96
	v_cndmask_b32_e32 v102, v96, v101, vcc
	v_cmp_gt_f64_e32 vcc, 0, v[97:98]
	v_mov_b32_e32 v101, v95
	v_cndmask_b32_e32 v104, v98, v103, vcc
	v_mov_b32_e32 v103, v97
	v_add_f64 v[101:102], v[101:102], v[103:104]
	v_cmp_lt_f64_e32 vcc, v[99:100], v[101:102]
	v_cndmask_b32_e32 v117, v117, v95, vcc
	v_mov_b32_e32 v95, s0
	s_add_i32 s0, s0, 1
	v_cndmask_b32_e32 v118, v118, v96, vcc
	v_cndmask_b32_e32 v120, v120, v98, vcc
	;; [unrolled: 1-line block ×4, first 2 shown]
	s_cmp_lg_u32 s3, s0
	s_cbranch_scc1 .LBB100_610
.LBB100_611:
	s_waitcnt lgkmcnt(0)
	v_cmp_eq_f64_e32 vcc, 0, v[117:118]
	v_cmp_eq_f64_e64 s[0:1], 0, v[119:120]
	s_and_b64 s[0:1], vcc, s[0:1]
	s_and_saveexec_b64 s[18:19], s[0:1]
	s_xor_b64 s[0:1], exec, s[18:19]
; %bb.612:
	v_cmp_ne_u32_e32 vcc, 0, v91
	v_cndmask_b32_e32 v91, 30, v91, vcc
; %bb.613:
	s_andn2_saveexec_b64 s[0:1], s[0:1]
	s_cbranch_execz .LBB100_619
; %bb.614:
	v_cmp_ngt_f64_e64 s[18:19], |v[117:118]|, |v[119:120]|
	s_and_saveexec_b64 s[20:21], s[18:19]
	s_xor_b64 s[18:19], exec, s[20:21]
	s_cbranch_execz .LBB100_616
; %bb.615:
	v_div_scale_f64 v[94:95], s[20:21], v[119:120], v[119:120], v[117:118]
	v_rcp_f64_e32 v[96:97], v[94:95]
	v_fma_f64 v[98:99], -v[94:95], v[96:97], 1.0
	v_fma_f64 v[96:97], v[96:97], v[98:99], v[96:97]
	v_div_scale_f64 v[98:99], vcc, v[117:118], v[119:120], v[117:118]
	v_fma_f64 v[100:101], -v[94:95], v[96:97], 1.0
	v_fma_f64 v[96:97], v[96:97], v[100:101], v[96:97]
	v_mul_f64 v[100:101], v[98:99], v[96:97]
	v_fma_f64 v[94:95], -v[94:95], v[100:101], v[98:99]
	v_div_fmas_f64 v[94:95], v[94:95], v[96:97], v[100:101]
	v_div_fixup_f64 v[94:95], v[94:95], v[119:120], v[117:118]
	v_fma_f64 v[96:97], v[117:118], v[94:95], v[119:120]
	v_div_scale_f64 v[98:99], s[20:21], v[96:97], v[96:97], 1.0
	v_div_scale_f64 v[104:105], vcc, 1.0, v[96:97], 1.0
	v_rcp_f64_e32 v[100:101], v[98:99]
	v_fma_f64 v[102:103], -v[98:99], v[100:101], 1.0
	v_fma_f64 v[100:101], v[100:101], v[102:103], v[100:101]
	v_fma_f64 v[102:103], -v[98:99], v[100:101], 1.0
	v_fma_f64 v[100:101], v[100:101], v[102:103], v[100:101]
	v_mul_f64 v[102:103], v[104:105], v[100:101]
	v_fma_f64 v[98:99], -v[98:99], v[102:103], v[104:105]
	v_div_fmas_f64 v[98:99], v[98:99], v[100:101], v[102:103]
	v_div_fixup_f64 v[119:120], v[98:99], v[96:97], 1.0
	v_mul_f64 v[117:118], v[94:95], v[119:120]
	v_xor_b32_e32 v120, 0x80000000, v120
.LBB100_616:
	s_andn2_saveexec_b64 s[18:19], s[18:19]
	s_cbranch_execz .LBB100_618
; %bb.617:
	v_div_scale_f64 v[94:95], s[20:21], v[117:118], v[117:118], v[119:120]
	v_rcp_f64_e32 v[96:97], v[94:95]
	v_fma_f64 v[98:99], -v[94:95], v[96:97], 1.0
	v_fma_f64 v[96:97], v[96:97], v[98:99], v[96:97]
	v_div_scale_f64 v[98:99], vcc, v[119:120], v[117:118], v[119:120]
	v_fma_f64 v[100:101], -v[94:95], v[96:97], 1.0
	v_fma_f64 v[96:97], v[96:97], v[100:101], v[96:97]
	v_mul_f64 v[100:101], v[98:99], v[96:97]
	v_fma_f64 v[94:95], -v[94:95], v[100:101], v[98:99]
	v_div_fmas_f64 v[94:95], v[94:95], v[96:97], v[100:101]
	v_div_fixup_f64 v[94:95], v[94:95], v[117:118], v[119:120]
	v_fma_f64 v[96:97], v[119:120], v[94:95], v[117:118]
	v_div_scale_f64 v[98:99], s[20:21], v[96:97], v[96:97], 1.0
	v_div_scale_f64 v[104:105], vcc, 1.0, v[96:97], 1.0
	v_rcp_f64_e32 v[100:101], v[98:99]
	v_fma_f64 v[102:103], -v[98:99], v[100:101], 1.0
	v_fma_f64 v[100:101], v[100:101], v[102:103], v[100:101]
	v_fma_f64 v[102:103], -v[98:99], v[100:101], 1.0
	v_fma_f64 v[100:101], v[100:101], v[102:103], v[100:101]
	v_mul_f64 v[102:103], v[104:105], v[100:101]
	v_fma_f64 v[98:99], -v[98:99], v[102:103], v[104:105]
	v_div_fmas_f64 v[98:99], v[98:99], v[100:101], v[102:103]
	v_div_fixup_f64 v[117:118], v[98:99], v[96:97], 1.0
	v_mul_f64 v[119:120], v[94:95], -v[117:118]
.LBB100_618:
	s_or_b64 exec, exec, s[18:19]
.LBB100_619:
	s_or_b64 exec, exec, s[0:1]
	v_cmp_ne_u32_e32 vcc, v92, v93
	s_and_saveexec_b64 s[0:1], vcc
	s_xor_b64 s[0:1], exec, s[0:1]
	s_cbranch_execz .LBB100_625
; %bb.620:
	v_cmp_eq_u32_e32 vcc, 29, v92
	s_and_saveexec_b64 s[18:19], vcc
	s_cbranch_execz .LBB100_624
; %bb.621:
	v_cmp_ne_u32_e32 vcc, 29, v93
	s_xor_b64 s[20:21], s[6:7], -1
	s_and_b64 s[22:23], s[20:21], vcc
	s_and_saveexec_b64 s[20:21], s[22:23]
	s_cbranch_execz .LBB100_623
; %bb.622:
	buffer_load_dword v81, off, s[24:27], 0 offset:400 ; 4-byte Folded Reload
	buffer_load_dword v82, off, s[24:27], 0 offset:404 ; 4-byte Folded Reload
	v_ashrrev_i32_e32 v94, 31, v93
	v_lshlrev_b64 v[94:95], 2, v[93:94]
	s_waitcnt vmcnt(1)
	v_add_co_u32_e32 v94, vcc, v81, v94
	s_waitcnt vmcnt(0)
	v_addc_co_u32_e32 v95, vcc, v82, v95, vcc
	global_load_dword v0, v[94:95], off
	global_load_dword v92, v[81:82], off offset:116
	s_waitcnt vmcnt(1)
	global_store_dword v[81:82], v0, off offset:116
	s_waitcnt vmcnt(1)
	global_store_dword v[94:95], v92, off
.LBB100_623:
	s_or_b64 exec, exec, s[20:21]
	v_mov_b32_e32 v92, v93
	v_mov_b32_e32 v0, v93
.LBB100_624:
	s_or_b64 exec, exec, s[18:19]
.LBB100_625:
	s_andn2_saveexec_b64 s[0:1], s[0:1]
	s_cbranch_execz .LBB100_627
; %bb.626:
	v_mov_b32_e32 v92, 29
	ds_write2_b64 v90, v[77:78], v[79:80] offset0:60 offset1:61
	ds_write2_b64 v90, v[73:74], v[75:76] offset0:62 offset1:63
	;; [unrolled: 1-line block ×21, first 2 shown]
.LBB100_627:
	s_or_b64 exec, exec, s[0:1]
	v_cmp_lt_i32_e32 vcc, 29, v92
	s_waitcnt vmcnt(0) lgkmcnt(0)
	s_barrier
	s_and_saveexec_b64 s[0:1], vcc
	s_cbranch_execz .LBB100_629
; %bb.628:
	v_mul_f64 v[83:84], v[117:118], v[87:88]
	v_mul_f64 v[93:94], v[119:120], v[87:88]
	ds_read2_b64 v[95:98], v90 offset0:60 offset1:61
	v_fma_f64 v[87:88], v[119:120], v[85:86], v[83:84]
	v_fma_f64 v[93:94], v[117:118], v[85:86], -v[93:94]
	s_waitcnt lgkmcnt(0)
	v_mul_f64 v[81:82], v[97:98], v[87:88]
	v_mov_b32_e32 v85, v93
	v_mov_b32_e32 v86, v94
	v_fma_f64 v[81:82], v[95:96], v[93:94], -v[81:82]
	v_mul_f64 v[95:96], v[95:96], v[87:88]
	v_add_f64 v[77:78], v[77:78], -v[81:82]
	v_fma_f64 v[95:96], v[97:98], v[93:94], v[95:96]
	v_add_f64 v[79:80], v[79:80], -v[95:96]
	ds_read2_b64 v[95:98], v90 offset0:62 offset1:63
	s_waitcnt lgkmcnt(0)
	v_mul_f64 v[81:82], v[97:98], v[87:88]
	v_fma_f64 v[81:82], v[95:96], v[93:94], -v[81:82]
	v_mul_f64 v[95:96], v[95:96], v[87:88]
	v_add_f64 v[73:74], v[73:74], -v[81:82]
	v_fma_f64 v[95:96], v[97:98], v[93:94], v[95:96]
	v_add_f64 v[75:76], v[75:76], -v[95:96]
	ds_read2_b64 v[95:98], v90 offset0:64 offset1:65
	s_waitcnt lgkmcnt(0)
	v_mul_f64 v[81:82], v[97:98], v[87:88]
	;; [unrolled: 8-line block ×20, first 2 shown]
	v_fma_f64 v[81:82], v[95:96], v[93:94], -v[81:82]
	v_mul_f64 v[95:96], v[95:96], v[87:88]
	v_add_f64 v[121:122], v[121:122], -v[81:82]
	v_fma_f64 v[95:96], v[97:98], v[93:94], v[95:96]
	v_add_f64 v[123:124], v[123:124], -v[95:96]
.LBB100_629:
	s_or_b64 exec, exec, s[0:1]
	v_lshl_add_u32 v93, v92, 4, v90
	s_barrier
	ds_write2_b64 v93, v[77:78], v[79:80] offset1:1
	s_waitcnt lgkmcnt(0)
	s_barrier
	ds_read2_b64 v[117:120], v90 offset0:60 offset1:61
	s_cmp_lt_i32 s3, 32
	v_mov_b32_e32 v93, 30
	s_cbranch_scc1 .LBB100_632
; %bb.630:
	v_add_u32_e32 v94, 0x1f0, v90
	s_mov_b32 s0, 31
	v_mov_b32_e32 v93, 30
.LBB100_631:                            ; =>This Inner Loop Header: Depth=1
	s_waitcnt lgkmcnt(0)
	v_cmp_gt_f64_e32 vcc, 0, v[117:118]
	v_xor_b32_e32 v99, 0x80000000, v118
	ds_read2_b64 v[95:98], v94 offset1:1
	v_xor_b32_e32 v101, 0x80000000, v120
	v_add_u32_e32 v94, 16, v94
	s_waitcnt lgkmcnt(0)
	v_xor_b32_e32 v103, 0x80000000, v98
	v_cndmask_b32_e32 v100, v118, v99, vcc
	v_cmp_gt_f64_e32 vcc, 0, v[119:120]
	v_mov_b32_e32 v99, v117
	v_cndmask_b32_e32 v102, v120, v101, vcc
	v_cmp_gt_f64_e32 vcc, 0, v[95:96]
	v_mov_b32_e32 v101, v119
	v_add_f64 v[99:100], v[99:100], v[101:102]
	v_xor_b32_e32 v101, 0x80000000, v96
	v_cndmask_b32_e32 v102, v96, v101, vcc
	v_cmp_gt_f64_e32 vcc, 0, v[97:98]
	v_mov_b32_e32 v101, v95
	v_cndmask_b32_e32 v104, v98, v103, vcc
	v_mov_b32_e32 v103, v97
	v_add_f64 v[101:102], v[101:102], v[103:104]
	v_cmp_lt_f64_e32 vcc, v[99:100], v[101:102]
	v_cndmask_b32_e32 v117, v117, v95, vcc
	v_mov_b32_e32 v95, s0
	s_add_i32 s0, s0, 1
	v_cndmask_b32_e32 v118, v118, v96, vcc
	v_cndmask_b32_e32 v120, v120, v98, vcc
	;; [unrolled: 1-line block ×4, first 2 shown]
	s_cmp_lg_u32 s3, s0
	s_cbranch_scc1 .LBB100_631
.LBB100_632:
	s_waitcnt lgkmcnt(0)
	v_cmp_eq_f64_e32 vcc, 0, v[117:118]
	v_cmp_eq_f64_e64 s[0:1], 0, v[119:120]
	s_and_b64 s[0:1], vcc, s[0:1]
	s_and_saveexec_b64 s[18:19], s[0:1]
	s_xor_b64 s[0:1], exec, s[18:19]
; %bb.633:
	v_cmp_ne_u32_e32 vcc, 0, v91
	v_cndmask_b32_e32 v91, 31, v91, vcc
; %bb.634:
	s_andn2_saveexec_b64 s[0:1], s[0:1]
	s_cbranch_execz .LBB100_640
; %bb.635:
	v_cmp_ngt_f64_e64 s[18:19], |v[117:118]|, |v[119:120]|
	s_and_saveexec_b64 s[20:21], s[18:19]
	s_xor_b64 s[18:19], exec, s[20:21]
	s_cbranch_execz .LBB100_637
; %bb.636:
	v_div_scale_f64 v[94:95], s[20:21], v[119:120], v[119:120], v[117:118]
	v_rcp_f64_e32 v[96:97], v[94:95]
	v_fma_f64 v[98:99], -v[94:95], v[96:97], 1.0
	v_fma_f64 v[96:97], v[96:97], v[98:99], v[96:97]
	v_div_scale_f64 v[98:99], vcc, v[117:118], v[119:120], v[117:118]
	v_fma_f64 v[100:101], -v[94:95], v[96:97], 1.0
	v_fma_f64 v[96:97], v[96:97], v[100:101], v[96:97]
	v_mul_f64 v[100:101], v[98:99], v[96:97]
	v_fma_f64 v[94:95], -v[94:95], v[100:101], v[98:99]
	v_div_fmas_f64 v[94:95], v[94:95], v[96:97], v[100:101]
	v_div_fixup_f64 v[94:95], v[94:95], v[119:120], v[117:118]
	v_fma_f64 v[96:97], v[117:118], v[94:95], v[119:120]
	v_div_scale_f64 v[98:99], s[20:21], v[96:97], v[96:97], 1.0
	v_div_scale_f64 v[104:105], vcc, 1.0, v[96:97], 1.0
	v_rcp_f64_e32 v[100:101], v[98:99]
	v_fma_f64 v[102:103], -v[98:99], v[100:101], 1.0
	v_fma_f64 v[100:101], v[100:101], v[102:103], v[100:101]
	v_fma_f64 v[102:103], -v[98:99], v[100:101], 1.0
	v_fma_f64 v[100:101], v[100:101], v[102:103], v[100:101]
	v_mul_f64 v[102:103], v[104:105], v[100:101]
	v_fma_f64 v[98:99], -v[98:99], v[102:103], v[104:105]
	v_div_fmas_f64 v[98:99], v[98:99], v[100:101], v[102:103]
	v_div_fixup_f64 v[119:120], v[98:99], v[96:97], 1.0
	v_mul_f64 v[117:118], v[94:95], v[119:120]
	v_xor_b32_e32 v120, 0x80000000, v120
.LBB100_637:
	s_andn2_saveexec_b64 s[18:19], s[18:19]
	s_cbranch_execz .LBB100_639
; %bb.638:
	v_div_scale_f64 v[94:95], s[20:21], v[117:118], v[117:118], v[119:120]
	v_rcp_f64_e32 v[96:97], v[94:95]
	v_fma_f64 v[98:99], -v[94:95], v[96:97], 1.0
	v_fma_f64 v[96:97], v[96:97], v[98:99], v[96:97]
	v_div_scale_f64 v[98:99], vcc, v[119:120], v[117:118], v[119:120]
	v_fma_f64 v[100:101], -v[94:95], v[96:97], 1.0
	v_fma_f64 v[96:97], v[96:97], v[100:101], v[96:97]
	v_mul_f64 v[100:101], v[98:99], v[96:97]
	v_fma_f64 v[94:95], -v[94:95], v[100:101], v[98:99]
	v_div_fmas_f64 v[94:95], v[94:95], v[96:97], v[100:101]
	v_div_fixup_f64 v[94:95], v[94:95], v[117:118], v[119:120]
	v_fma_f64 v[96:97], v[119:120], v[94:95], v[117:118]
	v_div_scale_f64 v[98:99], s[20:21], v[96:97], v[96:97], 1.0
	v_div_scale_f64 v[104:105], vcc, 1.0, v[96:97], 1.0
	v_rcp_f64_e32 v[100:101], v[98:99]
	v_fma_f64 v[102:103], -v[98:99], v[100:101], 1.0
	v_fma_f64 v[100:101], v[100:101], v[102:103], v[100:101]
	v_fma_f64 v[102:103], -v[98:99], v[100:101], 1.0
	v_fma_f64 v[100:101], v[100:101], v[102:103], v[100:101]
	v_mul_f64 v[102:103], v[104:105], v[100:101]
	v_fma_f64 v[98:99], -v[98:99], v[102:103], v[104:105]
	v_div_fmas_f64 v[98:99], v[98:99], v[100:101], v[102:103]
	v_div_fixup_f64 v[117:118], v[98:99], v[96:97], 1.0
	v_mul_f64 v[119:120], v[94:95], -v[117:118]
.LBB100_639:
	s_or_b64 exec, exec, s[18:19]
.LBB100_640:
	s_or_b64 exec, exec, s[0:1]
	v_cmp_ne_u32_e32 vcc, v92, v93
	s_and_saveexec_b64 s[0:1], vcc
	s_xor_b64 s[0:1], exec, s[0:1]
	s_cbranch_execz .LBB100_646
; %bb.641:
	v_cmp_eq_u32_e32 vcc, 30, v92
	s_and_saveexec_b64 s[18:19], vcc
	s_cbranch_execz .LBB100_645
; %bb.642:
	v_cmp_ne_u32_e32 vcc, 30, v93
	s_xor_b64 s[20:21], s[6:7], -1
	s_and_b64 s[22:23], s[20:21], vcc
	s_and_saveexec_b64 s[20:21], s[22:23]
	s_cbranch_execz .LBB100_644
; %bb.643:
	buffer_load_dword v81, off, s[24:27], 0 offset:400 ; 4-byte Folded Reload
	buffer_load_dword v82, off, s[24:27], 0 offset:404 ; 4-byte Folded Reload
	v_ashrrev_i32_e32 v94, 31, v93
	v_lshlrev_b64 v[94:95], 2, v[93:94]
	s_waitcnt vmcnt(1)
	v_add_co_u32_e32 v94, vcc, v81, v94
	s_waitcnt vmcnt(0)
	v_addc_co_u32_e32 v95, vcc, v82, v95, vcc
	global_load_dword v0, v[94:95], off
	global_load_dword v92, v[81:82], off offset:120
	s_waitcnt vmcnt(1)
	global_store_dword v[81:82], v0, off offset:120
	s_waitcnt vmcnt(1)
	global_store_dword v[94:95], v92, off
.LBB100_644:
	s_or_b64 exec, exec, s[20:21]
	v_mov_b32_e32 v92, v93
	v_mov_b32_e32 v0, v93
.LBB100_645:
	s_or_b64 exec, exec, s[18:19]
.LBB100_646:
	s_andn2_saveexec_b64 s[0:1], s[0:1]
	s_cbranch_execz .LBB100_648
; %bb.647:
	v_mov_b32_e32 v92, 30
	ds_write2_b64 v90, v[73:74], v[75:76] offset0:62 offset1:63
	ds_write2_b64 v90, v[69:70], v[71:72] offset0:64 offset1:65
	;; [unrolled: 1-line block ×20, first 2 shown]
.LBB100_648:
	s_or_b64 exec, exec, s[0:1]
	v_cmp_lt_i32_e32 vcc, 30, v92
	s_waitcnt vmcnt(0) lgkmcnt(0)
	s_barrier
	s_and_saveexec_b64 s[0:1], vcc
	s_cbranch_execz .LBB100_650
; %bb.649:
	v_mul_f64 v[93:94], v[119:120], v[79:80]
	v_mul_f64 v[79:80], v[117:118], v[79:80]
	ds_read2_b64 v[95:98], v90 offset0:62 offset1:63
	v_fma_f64 v[93:94], v[117:118], v[77:78], -v[93:94]
	v_fma_f64 v[79:80], v[119:120], v[77:78], v[79:80]
	s_waitcnt lgkmcnt(0)
	v_mul_f64 v[77:78], v[97:98], v[79:80]
	v_fma_f64 v[77:78], v[95:96], v[93:94], -v[77:78]
	v_mul_f64 v[95:96], v[95:96], v[79:80]
	v_add_f64 v[73:74], v[73:74], -v[77:78]
	v_fma_f64 v[95:96], v[97:98], v[93:94], v[95:96]
	v_add_f64 v[75:76], v[75:76], -v[95:96]
	ds_read2_b64 v[95:98], v90 offset0:64 offset1:65
	s_waitcnt lgkmcnt(0)
	v_mul_f64 v[77:78], v[97:98], v[79:80]
	v_fma_f64 v[77:78], v[95:96], v[93:94], -v[77:78]
	v_mul_f64 v[95:96], v[95:96], v[79:80]
	v_add_f64 v[69:70], v[69:70], -v[77:78]
	v_fma_f64 v[95:96], v[97:98], v[93:94], v[95:96]
	v_add_f64 v[71:72], v[71:72], -v[95:96]
	ds_read2_b64 v[95:98], v90 offset0:66 offset1:67
	;; [unrolled: 8-line block ×19, first 2 shown]
	s_waitcnt lgkmcnt(0)
	v_mul_f64 v[77:78], v[97:98], v[79:80]
	v_fma_f64 v[77:78], v[95:96], v[93:94], -v[77:78]
	v_mul_f64 v[95:96], v[95:96], v[79:80]
	v_add_f64 v[121:122], v[121:122], -v[77:78]
	v_fma_f64 v[95:96], v[97:98], v[93:94], v[95:96]
	v_mov_b32_e32 v77, v93
	v_mov_b32_e32 v78, v94
	v_add_f64 v[123:124], v[123:124], -v[95:96]
.LBB100_650:
	s_or_b64 exec, exec, s[0:1]
	v_lshl_add_u32 v93, v92, 4, v90
	s_barrier
	ds_write2_b64 v93, v[73:74], v[75:76] offset1:1
	s_waitcnt lgkmcnt(0)
	s_barrier
	ds_read2_b64 v[117:120], v90 offset0:62 offset1:63
	s_cmp_lt_i32 s3, 33
	v_mov_b32_e32 v93, 31
	s_cbranch_scc1 .LBB100_653
; %bb.651:
	v_add_u32_e32 v94, 0x200, v90
	s_mov_b32 s0, 32
	v_mov_b32_e32 v93, 31
.LBB100_652:                            ; =>This Inner Loop Header: Depth=1
	s_waitcnt lgkmcnt(0)
	v_cmp_gt_f64_e32 vcc, 0, v[117:118]
	v_xor_b32_e32 v99, 0x80000000, v118
	ds_read2_b64 v[95:98], v94 offset1:1
	v_xor_b32_e32 v101, 0x80000000, v120
	v_add_u32_e32 v94, 16, v94
	s_waitcnt lgkmcnt(0)
	v_xor_b32_e32 v103, 0x80000000, v98
	v_cndmask_b32_e32 v100, v118, v99, vcc
	v_cmp_gt_f64_e32 vcc, 0, v[119:120]
	v_mov_b32_e32 v99, v117
	v_cndmask_b32_e32 v102, v120, v101, vcc
	v_cmp_gt_f64_e32 vcc, 0, v[95:96]
	v_mov_b32_e32 v101, v119
	v_add_f64 v[99:100], v[99:100], v[101:102]
	v_xor_b32_e32 v101, 0x80000000, v96
	v_cndmask_b32_e32 v102, v96, v101, vcc
	v_cmp_gt_f64_e32 vcc, 0, v[97:98]
	v_mov_b32_e32 v101, v95
	v_cndmask_b32_e32 v104, v98, v103, vcc
	v_mov_b32_e32 v103, v97
	v_add_f64 v[101:102], v[101:102], v[103:104]
	v_cmp_lt_f64_e32 vcc, v[99:100], v[101:102]
	v_cndmask_b32_e32 v117, v117, v95, vcc
	v_mov_b32_e32 v95, s0
	s_add_i32 s0, s0, 1
	v_cndmask_b32_e32 v118, v118, v96, vcc
	v_cndmask_b32_e32 v120, v120, v98, vcc
	;; [unrolled: 1-line block ×4, first 2 shown]
	s_cmp_lg_u32 s3, s0
	s_cbranch_scc1 .LBB100_652
.LBB100_653:
	s_waitcnt lgkmcnt(0)
	v_cmp_eq_f64_e32 vcc, 0, v[117:118]
	v_cmp_eq_f64_e64 s[0:1], 0, v[119:120]
	s_and_b64 s[0:1], vcc, s[0:1]
	s_and_saveexec_b64 s[18:19], s[0:1]
	s_xor_b64 s[0:1], exec, s[18:19]
; %bb.654:
	v_cmp_ne_u32_e32 vcc, 0, v91
	v_cndmask_b32_e32 v91, 32, v91, vcc
; %bb.655:
	s_andn2_saveexec_b64 s[0:1], s[0:1]
	s_cbranch_execz .LBB100_661
; %bb.656:
	v_cmp_ngt_f64_e64 s[18:19], |v[117:118]|, |v[119:120]|
	s_and_saveexec_b64 s[20:21], s[18:19]
	s_xor_b64 s[18:19], exec, s[20:21]
	s_cbranch_execz .LBB100_658
; %bb.657:
	v_div_scale_f64 v[94:95], s[20:21], v[119:120], v[119:120], v[117:118]
	v_rcp_f64_e32 v[96:97], v[94:95]
	v_fma_f64 v[98:99], -v[94:95], v[96:97], 1.0
	v_fma_f64 v[96:97], v[96:97], v[98:99], v[96:97]
	v_div_scale_f64 v[98:99], vcc, v[117:118], v[119:120], v[117:118]
	v_fma_f64 v[100:101], -v[94:95], v[96:97], 1.0
	v_fma_f64 v[96:97], v[96:97], v[100:101], v[96:97]
	v_mul_f64 v[100:101], v[98:99], v[96:97]
	v_fma_f64 v[94:95], -v[94:95], v[100:101], v[98:99]
	v_div_fmas_f64 v[94:95], v[94:95], v[96:97], v[100:101]
	v_div_fixup_f64 v[94:95], v[94:95], v[119:120], v[117:118]
	v_fma_f64 v[96:97], v[117:118], v[94:95], v[119:120]
	v_div_scale_f64 v[98:99], s[20:21], v[96:97], v[96:97], 1.0
	v_div_scale_f64 v[104:105], vcc, 1.0, v[96:97], 1.0
	v_rcp_f64_e32 v[100:101], v[98:99]
	v_fma_f64 v[102:103], -v[98:99], v[100:101], 1.0
	v_fma_f64 v[100:101], v[100:101], v[102:103], v[100:101]
	v_fma_f64 v[102:103], -v[98:99], v[100:101], 1.0
	v_fma_f64 v[100:101], v[100:101], v[102:103], v[100:101]
	v_mul_f64 v[102:103], v[104:105], v[100:101]
	v_fma_f64 v[98:99], -v[98:99], v[102:103], v[104:105]
	v_div_fmas_f64 v[98:99], v[98:99], v[100:101], v[102:103]
	v_div_fixup_f64 v[119:120], v[98:99], v[96:97], 1.0
	v_mul_f64 v[117:118], v[94:95], v[119:120]
	v_xor_b32_e32 v120, 0x80000000, v120
.LBB100_658:
	s_andn2_saveexec_b64 s[18:19], s[18:19]
	s_cbranch_execz .LBB100_660
; %bb.659:
	v_div_scale_f64 v[94:95], s[20:21], v[117:118], v[117:118], v[119:120]
	v_rcp_f64_e32 v[96:97], v[94:95]
	v_fma_f64 v[98:99], -v[94:95], v[96:97], 1.0
	v_fma_f64 v[96:97], v[96:97], v[98:99], v[96:97]
	v_div_scale_f64 v[98:99], vcc, v[119:120], v[117:118], v[119:120]
	v_fma_f64 v[100:101], -v[94:95], v[96:97], 1.0
	v_fma_f64 v[96:97], v[96:97], v[100:101], v[96:97]
	v_mul_f64 v[100:101], v[98:99], v[96:97]
	v_fma_f64 v[94:95], -v[94:95], v[100:101], v[98:99]
	v_div_fmas_f64 v[94:95], v[94:95], v[96:97], v[100:101]
	v_div_fixup_f64 v[94:95], v[94:95], v[117:118], v[119:120]
	v_fma_f64 v[96:97], v[119:120], v[94:95], v[117:118]
	v_div_scale_f64 v[98:99], s[20:21], v[96:97], v[96:97], 1.0
	v_div_scale_f64 v[104:105], vcc, 1.0, v[96:97], 1.0
	v_rcp_f64_e32 v[100:101], v[98:99]
	v_fma_f64 v[102:103], -v[98:99], v[100:101], 1.0
	v_fma_f64 v[100:101], v[100:101], v[102:103], v[100:101]
	v_fma_f64 v[102:103], -v[98:99], v[100:101], 1.0
	v_fma_f64 v[100:101], v[100:101], v[102:103], v[100:101]
	v_mul_f64 v[102:103], v[104:105], v[100:101]
	v_fma_f64 v[98:99], -v[98:99], v[102:103], v[104:105]
	v_div_fmas_f64 v[98:99], v[98:99], v[100:101], v[102:103]
	v_div_fixup_f64 v[117:118], v[98:99], v[96:97], 1.0
	v_mul_f64 v[119:120], v[94:95], -v[117:118]
.LBB100_660:
	s_or_b64 exec, exec, s[18:19]
.LBB100_661:
	s_or_b64 exec, exec, s[0:1]
	v_cmp_ne_u32_e32 vcc, v92, v93
	s_and_saveexec_b64 s[0:1], vcc
	s_xor_b64 s[0:1], exec, s[0:1]
	s_cbranch_execz .LBB100_667
; %bb.662:
	v_cmp_eq_u32_e32 vcc, 31, v92
	s_and_saveexec_b64 s[18:19], vcc
	s_cbranch_execz .LBB100_666
; %bb.663:
	v_cmp_ne_u32_e32 vcc, 31, v93
	s_xor_b64 s[20:21], s[6:7], -1
	s_and_b64 s[22:23], s[20:21], vcc
	s_and_saveexec_b64 s[20:21], s[22:23]
	s_cbranch_execz .LBB100_665
; %bb.664:
	buffer_load_dword v81, off, s[24:27], 0 offset:400 ; 4-byte Folded Reload
	buffer_load_dword v82, off, s[24:27], 0 offset:404 ; 4-byte Folded Reload
	v_ashrrev_i32_e32 v94, 31, v93
	v_lshlrev_b64 v[94:95], 2, v[93:94]
	s_waitcnt vmcnt(1)
	v_add_co_u32_e32 v94, vcc, v81, v94
	s_waitcnt vmcnt(0)
	v_addc_co_u32_e32 v95, vcc, v82, v95, vcc
	global_load_dword v0, v[94:95], off
	global_load_dword v92, v[81:82], off offset:124
	s_waitcnt vmcnt(1)
	global_store_dword v[81:82], v0, off offset:124
	s_waitcnt vmcnt(1)
	global_store_dword v[94:95], v92, off
.LBB100_665:
	s_or_b64 exec, exec, s[20:21]
	v_mov_b32_e32 v92, v93
	v_mov_b32_e32 v0, v93
.LBB100_666:
	s_or_b64 exec, exec, s[18:19]
.LBB100_667:
	s_andn2_saveexec_b64 s[0:1], s[0:1]
	s_cbranch_execz .LBB100_669
; %bb.668:
	v_mov_b32_e32 v92, 31
	ds_write2_b64 v90, v[69:70], v[71:72] offset0:64 offset1:65
	ds_write2_b64 v90, v[65:66], v[67:68] offset0:66 offset1:67
	;; [unrolled: 1-line block ×19, first 2 shown]
.LBB100_669:
	s_or_b64 exec, exec, s[0:1]
	v_cmp_lt_i32_e32 vcc, 31, v92
	s_waitcnt vmcnt(0) lgkmcnt(0)
	s_barrier
	s_and_saveexec_b64 s[0:1], vcc
	s_cbranch_execz .LBB100_671
; %bb.670:
	v_mul_f64 v[93:94], v[119:120], v[75:76]
	v_mul_f64 v[75:76], v[117:118], v[75:76]
	ds_read2_b64 v[95:98], v90 offset0:64 offset1:65
	v_fma_f64 v[93:94], v[117:118], v[73:74], -v[93:94]
	v_fma_f64 v[75:76], v[119:120], v[73:74], v[75:76]
	s_waitcnt lgkmcnt(0)
	v_mul_f64 v[73:74], v[97:98], v[75:76]
	v_fma_f64 v[73:74], v[95:96], v[93:94], -v[73:74]
	v_mul_f64 v[95:96], v[95:96], v[75:76]
	v_add_f64 v[69:70], v[69:70], -v[73:74]
	v_fma_f64 v[95:96], v[97:98], v[93:94], v[95:96]
	v_add_f64 v[71:72], v[71:72], -v[95:96]
	ds_read2_b64 v[95:98], v90 offset0:66 offset1:67
	s_waitcnt lgkmcnt(0)
	v_mul_f64 v[73:74], v[97:98], v[75:76]
	v_fma_f64 v[73:74], v[95:96], v[93:94], -v[73:74]
	v_mul_f64 v[95:96], v[95:96], v[75:76]
	v_add_f64 v[65:66], v[65:66], -v[73:74]
	v_fma_f64 v[95:96], v[97:98], v[93:94], v[95:96]
	v_add_f64 v[67:68], v[67:68], -v[95:96]
	ds_read2_b64 v[95:98], v90 offset0:68 offset1:69
	s_waitcnt lgkmcnt(0)
	v_mul_f64 v[73:74], v[97:98], v[75:76]
	v_fma_f64 v[73:74], v[95:96], v[93:94], -v[73:74]
	v_mul_f64 v[95:96], v[95:96], v[75:76]
	v_add_f64 v[61:62], v[61:62], -v[73:74]
	v_fma_f64 v[95:96], v[97:98], v[93:94], v[95:96]
	v_add_f64 v[63:64], v[63:64], -v[95:96]
	ds_read2_b64 v[95:98], v90 offset0:70 offset1:71
	s_waitcnt lgkmcnt(0)
	v_mul_f64 v[73:74], v[97:98], v[75:76]
	v_fma_f64 v[73:74], v[95:96], v[93:94], -v[73:74]
	v_mul_f64 v[95:96], v[95:96], v[75:76]
	v_add_f64 v[57:58], v[57:58], -v[73:74]
	v_fma_f64 v[95:96], v[97:98], v[93:94], v[95:96]
	v_add_f64 v[59:60], v[59:60], -v[95:96]
	ds_read2_b64 v[95:98], v90 offset0:72 offset1:73
	s_waitcnt lgkmcnt(0)
	v_mul_f64 v[73:74], v[97:98], v[75:76]
	v_fma_f64 v[73:74], v[95:96], v[93:94], -v[73:74]
	v_mul_f64 v[95:96], v[95:96], v[75:76]
	v_add_f64 v[53:54], v[53:54], -v[73:74]
	v_fma_f64 v[95:96], v[97:98], v[93:94], v[95:96]
	v_add_f64 v[55:56], v[55:56], -v[95:96]
	ds_read2_b64 v[95:98], v90 offset0:74 offset1:75
	s_waitcnt lgkmcnt(0)
	v_mul_f64 v[73:74], v[97:98], v[75:76]
	v_fma_f64 v[73:74], v[95:96], v[93:94], -v[73:74]
	v_mul_f64 v[95:96], v[95:96], v[75:76]
	v_add_f64 v[49:50], v[49:50], -v[73:74]
	v_fma_f64 v[95:96], v[97:98], v[93:94], v[95:96]
	v_add_f64 v[51:52], v[51:52], -v[95:96]
	ds_read2_b64 v[95:98], v90 offset0:76 offset1:77
	s_waitcnt lgkmcnt(0)
	v_mul_f64 v[73:74], v[97:98], v[75:76]
	v_fma_f64 v[73:74], v[95:96], v[93:94], -v[73:74]
	v_mul_f64 v[95:96], v[95:96], v[75:76]
	v_add_f64 v[45:46], v[45:46], -v[73:74]
	v_fma_f64 v[95:96], v[97:98], v[93:94], v[95:96]
	v_add_f64 v[47:48], v[47:48], -v[95:96]
	ds_read2_b64 v[95:98], v90 offset0:78 offset1:79
	s_waitcnt lgkmcnt(0)
	v_mul_f64 v[73:74], v[97:98], v[75:76]
	v_fma_f64 v[73:74], v[95:96], v[93:94], -v[73:74]
	v_mul_f64 v[95:96], v[95:96], v[75:76]
	v_add_f64 v[41:42], v[41:42], -v[73:74]
	v_fma_f64 v[95:96], v[97:98], v[93:94], v[95:96]
	v_add_f64 v[43:44], v[43:44], -v[95:96]
	ds_read2_b64 v[95:98], v90 offset0:80 offset1:81
	s_waitcnt lgkmcnt(0)
	v_mul_f64 v[73:74], v[97:98], v[75:76]
	v_fma_f64 v[73:74], v[95:96], v[93:94], -v[73:74]
	v_mul_f64 v[95:96], v[95:96], v[75:76]
	v_add_f64 v[37:38], v[37:38], -v[73:74]
	v_fma_f64 v[95:96], v[97:98], v[93:94], v[95:96]
	v_add_f64 v[39:40], v[39:40], -v[95:96]
	ds_read2_b64 v[95:98], v90 offset0:82 offset1:83
	s_waitcnt lgkmcnt(0)
	v_mul_f64 v[73:74], v[97:98], v[75:76]
	v_fma_f64 v[73:74], v[95:96], v[93:94], -v[73:74]
	v_mul_f64 v[95:96], v[95:96], v[75:76]
	v_add_f64 v[33:34], v[33:34], -v[73:74]
	v_fma_f64 v[95:96], v[97:98], v[93:94], v[95:96]
	v_add_f64 v[35:36], v[35:36], -v[95:96]
	ds_read2_b64 v[95:98], v90 offset0:84 offset1:85
	s_waitcnt lgkmcnt(0)
	v_mul_f64 v[73:74], v[97:98], v[75:76]
	v_fma_f64 v[73:74], v[95:96], v[93:94], -v[73:74]
	v_mul_f64 v[95:96], v[95:96], v[75:76]
	v_add_f64 v[29:30], v[29:30], -v[73:74]
	v_fma_f64 v[95:96], v[97:98], v[93:94], v[95:96]
	v_add_f64 v[31:32], v[31:32], -v[95:96]
	ds_read2_b64 v[95:98], v90 offset0:86 offset1:87
	s_waitcnt lgkmcnt(0)
	v_mul_f64 v[73:74], v[97:98], v[75:76]
	v_fma_f64 v[73:74], v[95:96], v[93:94], -v[73:74]
	v_mul_f64 v[95:96], v[95:96], v[75:76]
	v_add_f64 v[25:26], v[25:26], -v[73:74]
	v_fma_f64 v[95:96], v[97:98], v[93:94], v[95:96]
	v_add_f64 v[27:28], v[27:28], -v[95:96]
	ds_read2_b64 v[95:98], v90 offset0:88 offset1:89
	s_waitcnt lgkmcnt(0)
	v_mul_f64 v[73:74], v[97:98], v[75:76]
	v_fma_f64 v[73:74], v[95:96], v[93:94], -v[73:74]
	v_mul_f64 v[95:96], v[95:96], v[75:76]
	v_add_f64 v[21:22], v[21:22], -v[73:74]
	v_fma_f64 v[95:96], v[97:98], v[93:94], v[95:96]
	v_add_f64 v[23:24], v[23:24], -v[95:96]
	ds_read2_b64 v[95:98], v90 offset0:90 offset1:91
	s_waitcnt lgkmcnt(0)
	v_mul_f64 v[73:74], v[97:98], v[75:76]
	v_fma_f64 v[73:74], v[95:96], v[93:94], -v[73:74]
	v_mul_f64 v[95:96], v[95:96], v[75:76]
	v_add_f64 v[17:18], v[17:18], -v[73:74]
	v_fma_f64 v[95:96], v[97:98], v[93:94], v[95:96]
	v_add_f64 v[19:20], v[19:20], -v[95:96]
	ds_read2_b64 v[95:98], v90 offset0:92 offset1:93
	s_waitcnt lgkmcnt(0)
	v_mul_f64 v[73:74], v[97:98], v[75:76]
	v_fma_f64 v[73:74], v[95:96], v[93:94], -v[73:74]
	v_mul_f64 v[95:96], v[95:96], v[75:76]
	v_add_f64 v[13:14], v[13:14], -v[73:74]
	v_fma_f64 v[95:96], v[97:98], v[93:94], v[95:96]
	v_add_f64 v[15:16], v[15:16], -v[95:96]
	ds_read2_b64 v[95:98], v90 offset0:94 offset1:95
	s_waitcnt lgkmcnt(0)
	v_mul_f64 v[73:74], v[97:98], v[75:76]
	v_fma_f64 v[73:74], v[95:96], v[93:94], -v[73:74]
	v_mul_f64 v[95:96], v[95:96], v[75:76]
	v_add_f64 v[9:10], v[9:10], -v[73:74]
	v_fma_f64 v[95:96], v[97:98], v[93:94], v[95:96]
	v_add_f64 v[11:12], v[11:12], -v[95:96]
	ds_read2_b64 v[95:98], v90 offset0:96 offset1:97
	s_waitcnt lgkmcnt(0)
	v_mul_f64 v[73:74], v[97:98], v[75:76]
	v_fma_f64 v[73:74], v[95:96], v[93:94], -v[73:74]
	v_mul_f64 v[95:96], v[95:96], v[75:76]
	v_add_f64 v[5:6], v[5:6], -v[73:74]
	v_fma_f64 v[95:96], v[97:98], v[93:94], v[95:96]
	v_add_f64 v[7:8], v[7:8], -v[95:96]
	ds_read2_b64 v[95:98], v90 offset0:98 offset1:99
	s_waitcnt lgkmcnt(0)
	v_mul_f64 v[73:74], v[97:98], v[75:76]
	v_fma_f64 v[73:74], v[95:96], v[93:94], -v[73:74]
	v_mul_f64 v[95:96], v[95:96], v[75:76]
	v_add_f64 v[1:2], v[1:2], -v[73:74]
	v_fma_f64 v[95:96], v[97:98], v[93:94], v[95:96]
	v_add_f64 v[3:4], v[3:4], -v[95:96]
	ds_read2_b64 v[95:98], v90 offset0:100 offset1:101
	s_waitcnt lgkmcnt(0)
	v_mul_f64 v[73:74], v[97:98], v[75:76]
	v_fma_f64 v[73:74], v[95:96], v[93:94], -v[73:74]
	v_mul_f64 v[95:96], v[95:96], v[75:76]
	v_add_f64 v[121:122], v[121:122], -v[73:74]
	v_fma_f64 v[95:96], v[97:98], v[93:94], v[95:96]
	v_mov_b32_e32 v73, v93
	v_mov_b32_e32 v74, v94
	v_add_f64 v[123:124], v[123:124], -v[95:96]
.LBB100_671:
	s_or_b64 exec, exec, s[0:1]
	v_lshl_add_u32 v93, v92, 4, v90
	s_barrier
	ds_write2_b64 v93, v[69:70], v[71:72] offset1:1
	s_waitcnt lgkmcnt(0)
	s_barrier
	ds_read2_b64 v[117:120], v90 offset0:64 offset1:65
	s_cmp_lt_i32 s3, 34
	v_mov_b32_e32 v93, 32
	s_cbranch_scc1 .LBB100_674
; %bb.672:
	v_add_u32_e32 v94, 0x210, v90
	s_mov_b32 s0, 33
	v_mov_b32_e32 v93, 32
.LBB100_673:                            ; =>This Inner Loop Header: Depth=1
	s_waitcnt lgkmcnt(0)
	v_cmp_gt_f64_e32 vcc, 0, v[117:118]
	v_xor_b32_e32 v99, 0x80000000, v118
	ds_read2_b64 v[95:98], v94 offset1:1
	v_xor_b32_e32 v101, 0x80000000, v120
	v_add_u32_e32 v94, 16, v94
	s_waitcnt lgkmcnt(0)
	v_xor_b32_e32 v103, 0x80000000, v98
	v_cndmask_b32_e32 v100, v118, v99, vcc
	v_cmp_gt_f64_e32 vcc, 0, v[119:120]
	v_mov_b32_e32 v99, v117
	v_cndmask_b32_e32 v102, v120, v101, vcc
	v_cmp_gt_f64_e32 vcc, 0, v[95:96]
	v_mov_b32_e32 v101, v119
	v_add_f64 v[99:100], v[99:100], v[101:102]
	v_xor_b32_e32 v101, 0x80000000, v96
	v_cndmask_b32_e32 v102, v96, v101, vcc
	v_cmp_gt_f64_e32 vcc, 0, v[97:98]
	v_mov_b32_e32 v101, v95
	v_cndmask_b32_e32 v104, v98, v103, vcc
	v_mov_b32_e32 v103, v97
	v_add_f64 v[101:102], v[101:102], v[103:104]
	v_cmp_lt_f64_e32 vcc, v[99:100], v[101:102]
	v_cndmask_b32_e32 v117, v117, v95, vcc
	v_mov_b32_e32 v95, s0
	s_add_i32 s0, s0, 1
	v_cndmask_b32_e32 v118, v118, v96, vcc
	v_cndmask_b32_e32 v120, v120, v98, vcc
	;; [unrolled: 1-line block ×4, first 2 shown]
	s_cmp_lg_u32 s3, s0
	s_cbranch_scc1 .LBB100_673
.LBB100_674:
	s_waitcnt lgkmcnt(0)
	v_cmp_eq_f64_e32 vcc, 0, v[117:118]
	v_cmp_eq_f64_e64 s[0:1], 0, v[119:120]
	s_and_b64 s[0:1], vcc, s[0:1]
	s_and_saveexec_b64 s[18:19], s[0:1]
	s_xor_b64 s[0:1], exec, s[18:19]
; %bb.675:
	v_cmp_ne_u32_e32 vcc, 0, v91
	v_cndmask_b32_e32 v91, 33, v91, vcc
; %bb.676:
	s_andn2_saveexec_b64 s[0:1], s[0:1]
	s_cbranch_execz .LBB100_682
; %bb.677:
	v_cmp_ngt_f64_e64 s[18:19], |v[117:118]|, |v[119:120]|
	s_and_saveexec_b64 s[20:21], s[18:19]
	s_xor_b64 s[18:19], exec, s[20:21]
	s_cbranch_execz .LBB100_679
; %bb.678:
	v_div_scale_f64 v[94:95], s[20:21], v[119:120], v[119:120], v[117:118]
	v_rcp_f64_e32 v[96:97], v[94:95]
	v_fma_f64 v[98:99], -v[94:95], v[96:97], 1.0
	v_fma_f64 v[96:97], v[96:97], v[98:99], v[96:97]
	v_div_scale_f64 v[98:99], vcc, v[117:118], v[119:120], v[117:118]
	v_fma_f64 v[100:101], -v[94:95], v[96:97], 1.0
	v_fma_f64 v[96:97], v[96:97], v[100:101], v[96:97]
	v_mul_f64 v[100:101], v[98:99], v[96:97]
	v_fma_f64 v[94:95], -v[94:95], v[100:101], v[98:99]
	v_div_fmas_f64 v[94:95], v[94:95], v[96:97], v[100:101]
	v_div_fixup_f64 v[94:95], v[94:95], v[119:120], v[117:118]
	v_fma_f64 v[96:97], v[117:118], v[94:95], v[119:120]
	v_div_scale_f64 v[98:99], s[20:21], v[96:97], v[96:97], 1.0
	v_div_scale_f64 v[104:105], vcc, 1.0, v[96:97], 1.0
	v_rcp_f64_e32 v[100:101], v[98:99]
	v_fma_f64 v[102:103], -v[98:99], v[100:101], 1.0
	v_fma_f64 v[100:101], v[100:101], v[102:103], v[100:101]
	v_fma_f64 v[102:103], -v[98:99], v[100:101], 1.0
	v_fma_f64 v[100:101], v[100:101], v[102:103], v[100:101]
	v_mul_f64 v[102:103], v[104:105], v[100:101]
	v_fma_f64 v[98:99], -v[98:99], v[102:103], v[104:105]
	v_div_fmas_f64 v[98:99], v[98:99], v[100:101], v[102:103]
	v_div_fixup_f64 v[119:120], v[98:99], v[96:97], 1.0
	v_mul_f64 v[117:118], v[94:95], v[119:120]
	v_xor_b32_e32 v120, 0x80000000, v120
.LBB100_679:
	s_andn2_saveexec_b64 s[18:19], s[18:19]
	s_cbranch_execz .LBB100_681
; %bb.680:
	v_div_scale_f64 v[94:95], s[20:21], v[117:118], v[117:118], v[119:120]
	v_rcp_f64_e32 v[96:97], v[94:95]
	v_fma_f64 v[98:99], -v[94:95], v[96:97], 1.0
	v_fma_f64 v[96:97], v[96:97], v[98:99], v[96:97]
	v_div_scale_f64 v[98:99], vcc, v[119:120], v[117:118], v[119:120]
	v_fma_f64 v[100:101], -v[94:95], v[96:97], 1.0
	v_fma_f64 v[96:97], v[96:97], v[100:101], v[96:97]
	v_mul_f64 v[100:101], v[98:99], v[96:97]
	v_fma_f64 v[94:95], -v[94:95], v[100:101], v[98:99]
	v_div_fmas_f64 v[94:95], v[94:95], v[96:97], v[100:101]
	v_div_fixup_f64 v[94:95], v[94:95], v[117:118], v[119:120]
	v_fma_f64 v[96:97], v[119:120], v[94:95], v[117:118]
	v_div_scale_f64 v[98:99], s[20:21], v[96:97], v[96:97], 1.0
	v_div_scale_f64 v[104:105], vcc, 1.0, v[96:97], 1.0
	v_rcp_f64_e32 v[100:101], v[98:99]
	v_fma_f64 v[102:103], -v[98:99], v[100:101], 1.0
	v_fma_f64 v[100:101], v[100:101], v[102:103], v[100:101]
	v_fma_f64 v[102:103], -v[98:99], v[100:101], 1.0
	v_fma_f64 v[100:101], v[100:101], v[102:103], v[100:101]
	v_mul_f64 v[102:103], v[104:105], v[100:101]
	v_fma_f64 v[98:99], -v[98:99], v[102:103], v[104:105]
	v_div_fmas_f64 v[98:99], v[98:99], v[100:101], v[102:103]
	v_div_fixup_f64 v[117:118], v[98:99], v[96:97], 1.0
	v_mul_f64 v[119:120], v[94:95], -v[117:118]
.LBB100_681:
	s_or_b64 exec, exec, s[18:19]
.LBB100_682:
	s_or_b64 exec, exec, s[0:1]
	v_cmp_ne_u32_e32 vcc, v92, v93
	s_and_saveexec_b64 s[0:1], vcc
	s_xor_b64 s[0:1], exec, s[0:1]
	s_cbranch_execz .LBB100_688
; %bb.683:
	v_cmp_eq_u32_e32 vcc, 32, v92
	s_and_saveexec_b64 s[18:19], vcc
	s_cbranch_execz .LBB100_687
; %bb.684:
	v_cmp_ne_u32_e32 vcc, 32, v93
	s_xor_b64 s[20:21], s[6:7], -1
	s_and_b64 s[22:23], s[20:21], vcc
	s_and_saveexec_b64 s[20:21], s[22:23]
	s_cbranch_execz .LBB100_686
; %bb.685:
	buffer_load_dword v81, off, s[24:27], 0 offset:400 ; 4-byte Folded Reload
	buffer_load_dword v82, off, s[24:27], 0 offset:404 ; 4-byte Folded Reload
	v_ashrrev_i32_e32 v94, 31, v93
	v_lshlrev_b64 v[94:95], 2, v[93:94]
	s_waitcnt vmcnt(1)
	v_add_co_u32_e32 v94, vcc, v81, v94
	s_waitcnt vmcnt(0)
	v_addc_co_u32_e32 v95, vcc, v82, v95, vcc
	global_load_dword v0, v[94:95], off
	global_load_dword v92, v[81:82], off offset:128
	s_waitcnt vmcnt(1)
	global_store_dword v[81:82], v0, off offset:128
	s_waitcnt vmcnt(1)
	global_store_dword v[94:95], v92, off
.LBB100_686:
	s_or_b64 exec, exec, s[20:21]
	v_mov_b32_e32 v92, v93
	v_mov_b32_e32 v0, v93
.LBB100_687:
	s_or_b64 exec, exec, s[18:19]
.LBB100_688:
	s_andn2_saveexec_b64 s[0:1], s[0:1]
	s_cbranch_execz .LBB100_690
; %bb.689:
	v_mov_b32_e32 v92, 32
	ds_write2_b64 v90, v[65:66], v[67:68] offset0:66 offset1:67
	ds_write2_b64 v90, v[61:62], v[63:64] offset0:68 offset1:69
	;; [unrolled: 1-line block ×18, first 2 shown]
.LBB100_690:
	s_or_b64 exec, exec, s[0:1]
	v_cmp_lt_i32_e32 vcc, 32, v92
	s_waitcnt vmcnt(0) lgkmcnt(0)
	s_barrier
	s_and_saveexec_b64 s[0:1], vcc
	s_cbranch_execz .LBB100_692
; %bb.691:
	v_mul_f64 v[93:94], v[119:120], v[71:72]
	v_mul_f64 v[71:72], v[117:118], v[71:72]
	ds_read2_b64 v[95:98], v90 offset0:66 offset1:67
	v_fma_f64 v[93:94], v[117:118], v[69:70], -v[93:94]
	v_fma_f64 v[71:72], v[119:120], v[69:70], v[71:72]
	s_waitcnt lgkmcnt(0)
	v_mul_f64 v[69:70], v[97:98], v[71:72]
	v_fma_f64 v[69:70], v[95:96], v[93:94], -v[69:70]
	v_mul_f64 v[95:96], v[95:96], v[71:72]
	v_add_f64 v[65:66], v[65:66], -v[69:70]
	v_fma_f64 v[95:96], v[97:98], v[93:94], v[95:96]
	v_add_f64 v[67:68], v[67:68], -v[95:96]
	ds_read2_b64 v[95:98], v90 offset0:68 offset1:69
	s_waitcnt lgkmcnt(0)
	v_mul_f64 v[69:70], v[97:98], v[71:72]
	v_fma_f64 v[69:70], v[95:96], v[93:94], -v[69:70]
	v_mul_f64 v[95:96], v[95:96], v[71:72]
	v_add_f64 v[61:62], v[61:62], -v[69:70]
	v_fma_f64 v[95:96], v[97:98], v[93:94], v[95:96]
	v_add_f64 v[63:64], v[63:64], -v[95:96]
	ds_read2_b64 v[95:98], v90 offset0:70 offset1:71
	;; [unrolled: 8-line block ×17, first 2 shown]
	s_waitcnt lgkmcnt(0)
	v_mul_f64 v[69:70], v[97:98], v[71:72]
	v_fma_f64 v[69:70], v[95:96], v[93:94], -v[69:70]
	v_mul_f64 v[95:96], v[95:96], v[71:72]
	v_add_f64 v[121:122], v[121:122], -v[69:70]
	v_fma_f64 v[95:96], v[97:98], v[93:94], v[95:96]
	v_mov_b32_e32 v69, v93
	v_mov_b32_e32 v70, v94
	v_add_f64 v[123:124], v[123:124], -v[95:96]
.LBB100_692:
	s_or_b64 exec, exec, s[0:1]
	v_lshl_add_u32 v93, v92, 4, v90
	s_barrier
	ds_write2_b64 v93, v[65:66], v[67:68] offset1:1
	s_waitcnt lgkmcnt(0)
	s_barrier
	ds_read2_b64 v[117:120], v90 offset0:66 offset1:67
	s_cmp_lt_i32 s3, 35
	v_mov_b32_e32 v93, 33
	s_cbranch_scc1 .LBB100_695
; %bb.693:
	v_add_u32_e32 v94, 0x220, v90
	s_mov_b32 s0, 34
	v_mov_b32_e32 v93, 33
.LBB100_694:                            ; =>This Inner Loop Header: Depth=1
	s_waitcnt lgkmcnt(0)
	v_cmp_gt_f64_e32 vcc, 0, v[117:118]
	v_xor_b32_e32 v99, 0x80000000, v118
	ds_read2_b64 v[95:98], v94 offset1:1
	v_xor_b32_e32 v101, 0x80000000, v120
	v_add_u32_e32 v94, 16, v94
	s_waitcnt lgkmcnt(0)
	v_xor_b32_e32 v103, 0x80000000, v98
	v_cndmask_b32_e32 v100, v118, v99, vcc
	v_cmp_gt_f64_e32 vcc, 0, v[119:120]
	v_mov_b32_e32 v99, v117
	v_cndmask_b32_e32 v102, v120, v101, vcc
	v_cmp_gt_f64_e32 vcc, 0, v[95:96]
	v_mov_b32_e32 v101, v119
	v_add_f64 v[99:100], v[99:100], v[101:102]
	v_xor_b32_e32 v101, 0x80000000, v96
	v_cndmask_b32_e32 v102, v96, v101, vcc
	v_cmp_gt_f64_e32 vcc, 0, v[97:98]
	v_mov_b32_e32 v101, v95
	v_cndmask_b32_e32 v104, v98, v103, vcc
	v_mov_b32_e32 v103, v97
	v_add_f64 v[101:102], v[101:102], v[103:104]
	v_cmp_lt_f64_e32 vcc, v[99:100], v[101:102]
	v_cndmask_b32_e32 v117, v117, v95, vcc
	v_mov_b32_e32 v95, s0
	s_add_i32 s0, s0, 1
	v_cndmask_b32_e32 v118, v118, v96, vcc
	v_cndmask_b32_e32 v120, v120, v98, vcc
	;; [unrolled: 1-line block ×4, first 2 shown]
	s_cmp_lg_u32 s3, s0
	s_cbranch_scc1 .LBB100_694
.LBB100_695:
	s_waitcnt lgkmcnt(0)
	v_cmp_eq_f64_e32 vcc, 0, v[117:118]
	v_cmp_eq_f64_e64 s[0:1], 0, v[119:120]
	s_and_b64 s[0:1], vcc, s[0:1]
	s_and_saveexec_b64 s[18:19], s[0:1]
	s_xor_b64 s[0:1], exec, s[18:19]
; %bb.696:
	v_cmp_ne_u32_e32 vcc, 0, v91
	v_cndmask_b32_e32 v91, 34, v91, vcc
; %bb.697:
	s_andn2_saveexec_b64 s[0:1], s[0:1]
	s_cbranch_execz .LBB100_703
; %bb.698:
	v_cmp_ngt_f64_e64 s[18:19], |v[117:118]|, |v[119:120]|
	s_and_saveexec_b64 s[20:21], s[18:19]
	s_xor_b64 s[18:19], exec, s[20:21]
	s_cbranch_execz .LBB100_700
; %bb.699:
	v_div_scale_f64 v[94:95], s[20:21], v[119:120], v[119:120], v[117:118]
	v_rcp_f64_e32 v[96:97], v[94:95]
	v_fma_f64 v[98:99], -v[94:95], v[96:97], 1.0
	v_fma_f64 v[96:97], v[96:97], v[98:99], v[96:97]
	v_div_scale_f64 v[98:99], vcc, v[117:118], v[119:120], v[117:118]
	v_fma_f64 v[100:101], -v[94:95], v[96:97], 1.0
	v_fma_f64 v[96:97], v[96:97], v[100:101], v[96:97]
	v_mul_f64 v[100:101], v[98:99], v[96:97]
	v_fma_f64 v[94:95], -v[94:95], v[100:101], v[98:99]
	v_div_fmas_f64 v[94:95], v[94:95], v[96:97], v[100:101]
	v_div_fixup_f64 v[94:95], v[94:95], v[119:120], v[117:118]
	v_fma_f64 v[96:97], v[117:118], v[94:95], v[119:120]
	v_div_scale_f64 v[98:99], s[20:21], v[96:97], v[96:97], 1.0
	v_div_scale_f64 v[104:105], vcc, 1.0, v[96:97], 1.0
	v_rcp_f64_e32 v[100:101], v[98:99]
	v_fma_f64 v[102:103], -v[98:99], v[100:101], 1.0
	v_fma_f64 v[100:101], v[100:101], v[102:103], v[100:101]
	v_fma_f64 v[102:103], -v[98:99], v[100:101], 1.0
	v_fma_f64 v[100:101], v[100:101], v[102:103], v[100:101]
	v_mul_f64 v[102:103], v[104:105], v[100:101]
	v_fma_f64 v[98:99], -v[98:99], v[102:103], v[104:105]
	v_div_fmas_f64 v[98:99], v[98:99], v[100:101], v[102:103]
	v_div_fixup_f64 v[119:120], v[98:99], v[96:97], 1.0
	v_mul_f64 v[117:118], v[94:95], v[119:120]
	v_xor_b32_e32 v120, 0x80000000, v120
.LBB100_700:
	s_andn2_saveexec_b64 s[18:19], s[18:19]
	s_cbranch_execz .LBB100_702
; %bb.701:
	v_div_scale_f64 v[94:95], s[20:21], v[117:118], v[117:118], v[119:120]
	v_rcp_f64_e32 v[96:97], v[94:95]
	v_fma_f64 v[98:99], -v[94:95], v[96:97], 1.0
	v_fma_f64 v[96:97], v[96:97], v[98:99], v[96:97]
	v_div_scale_f64 v[98:99], vcc, v[119:120], v[117:118], v[119:120]
	v_fma_f64 v[100:101], -v[94:95], v[96:97], 1.0
	v_fma_f64 v[96:97], v[96:97], v[100:101], v[96:97]
	v_mul_f64 v[100:101], v[98:99], v[96:97]
	v_fma_f64 v[94:95], -v[94:95], v[100:101], v[98:99]
	v_div_fmas_f64 v[94:95], v[94:95], v[96:97], v[100:101]
	v_div_fixup_f64 v[94:95], v[94:95], v[117:118], v[119:120]
	v_fma_f64 v[96:97], v[119:120], v[94:95], v[117:118]
	v_div_scale_f64 v[98:99], s[20:21], v[96:97], v[96:97], 1.0
	v_div_scale_f64 v[104:105], vcc, 1.0, v[96:97], 1.0
	v_rcp_f64_e32 v[100:101], v[98:99]
	v_fma_f64 v[102:103], -v[98:99], v[100:101], 1.0
	v_fma_f64 v[100:101], v[100:101], v[102:103], v[100:101]
	v_fma_f64 v[102:103], -v[98:99], v[100:101], 1.0
	v_fma_f64 v[100:101], v[100:101], v[102:103], v[100:101]
	v_mul_f64 v[102:103], v[104:105], v[100:101]
	v_fma_f64 v[98:99], -v[98:99], v[102:103], v[104:105]
	v_div_fmas_f64 v[98:99], v[98:99], v[100:101], v[102:103]
	v_div_fixup_f64 v[117:118], v[98:99], v[96:97], 1.0
	v_mul_f64 v[119:120], v[94:95], -v[117:118]
.LBB100_702:
	s_or_b64 exec, exec, s[18:19]
.LBB100_703:
	s_or_b64 exec, exec, s[0:1]
	v_cmp_ne_u32_e32 vcc, v92, v93
	s_and_saveexec_b64 s[0:1], vcc
	s_xor_b64 s[0:1], exec, s[0:1]
	s_cbranch_execz .LBB100_709
; %bb.704:
	v_cmp_eq_u32_e32 vcc, 33, v92
	s_and_saveexec_b64 s[18:19], vcc
	s_cbranch_execz .LBB100_708
; %bb.705:
	v_cmp_ne_u32_e32 vcc, 33, v93
	s_xor_b64 s[20:21], s[6:7], -1
	s_and_b64 s[22:23], s[20:21], vcc
	s_and_saveexec_b64 s[20:21], s[22:23]
	s_cbranch_execz .LBB100_707
; %bb.706:
	buffer_load_dword v81, off, s[24:27], 0 offset:400 ; 4-byte Folded Reload
	buffer_load_dword v82, off, s[24:27], 0 offset:404 ; 4-byte Folded Reload
	v_ashrrev_i32_e32 v94, 31, v93
	v_lshlrev_b64 v[94:95], 2, v[93:94]
	s_waitcnt vmcnt(1)
	v_add_co_u32_e32 v94, vcc, v81, v94
	s_waitcnt vmcnt(0)
	v_addc_co_u32_e32 v95, vcc, v82, v95, vcc
	global_load_dword v0, v[94:95], off
	global_load_dword v92, v[81:82], off offset:132
	s_waitcnt vmcnt(1)
	global_store_dword v[81:82], v0, off offset:132
	s_waitcnt vmcnt(1)
	global_store_dword v[94:95], v92, off
.LBB100_707:
	s_or_b64 exec, exec, s[20:21]
	v_mov_b32_e32 v92, v93
	v_mov_b32_e32 v0, v93
.LBB100_708:
	s_or_b64 exec, exec, s[18:19]
.LBB100_709:
	s_andn2_saveexec_b64 s[0:1], s[0:1]
	s_cbranch_execz .LBB100_711
; %bb.710:
	v_mov_b32_e32 v92, 33
	ds_write2_b64 v90, v[61:62], v[63:64] offset0:68 offset1:69
	ds_write2_b64 v90, v[57:58], v[59:60] offset0:70 offset1:71
	;; [unrolled: 1-line block ×17, first 2 shown]
.LBB100_711:
	s_or_b64 exec, exec, s[0:1]
	v_cmp_lt_i32_e32 vcc, 33, v92
	s_waitcnt vmcnt(0) lgkmcnt(0)
	s_barrier
	s_and_saveexec_b64 s[0:1], vcc
	s_cbranch_execz .LBB100_713
; %bb.712:
	v_mul_f64 v[93:94], v[119:120], v[67:68]
	v_mul_f64 v[67:68], v[117:118], v[67:68]
	ds_read2_b64 v[95:98], v90 offset0:68 offset1:69
	v_fma_f64 v[93:94], v[117:118], v[65:66], -v[93:94]
	v_fma_f64 v[67:68], v[119:120], v[65:66], v[67:68]
	s_waitcnt lgkmcnt(0)
	v_mul_f64 v[65:66], v[97:98], v[67:68]
	v_fma_f64 v[65:66], v[95:96], v[93:94], -v[65:66]
	v_mul_f64 v[95:96], v[95:96], v[67:68]
	v_add_f64 v[61:62], v[61:62], -v[65:66]
	v_fma_f64 v[95:96], v[97:98], v[93:94], v[95:96]
	v_add_f64 v[63:64], v[63:64], -v[95:96]
	ds_read2_b64 v[95:98], v90 offset0:70 offset1:71
	s_waitcnt lgkmcnt(0)
	v_mul_f64 v[65:66], v[97:98], v[67:68]
	v_fma_f64 v[65:66], v[95:96], v[93:94], -v[65:66]
	v_mul_f64 v[95:96], v[95:96], v[67:68]
	v_add_f64 v[57:58], v[57:58], -v[65:66]
	v_fma_f64 v[95:96], v[97:98], v[93:94], v[95:96]
	v_add_f64 v[59:60], v[59:60], -v[95:96]
	ds_read2_b64 v[95:98], v90 offset0:72 offset1:73
	;; [unrolled: 8-line block ×16, first 2 shown]
	s_waitcnt lgkmcnt(0)
	v_mul_f64 v[65:66], v[97:98], v[67:68]
	v_fma_f64 v[65:66], v[95:96], v[93:94], -v[65:66]
	v_mul_f64 v[95:96], v[95:96], v[67:68]
	v_add_f64 v[121:122], v[121:122], -v[65:66]
	v_fma_f64 v[95:96], v[97:98], v[93:94], v[95:96]
	v_mov_b32_e32 v65, v93
	v_mov_b32_e32 v66, v94
	v_add_f64 v[123:124], v[123:124], -v[95:96]
.LBB100_713:
	s_or_b64 exec, exec, s[0:1]
	v_lshl_add_u32 v93, v92, 4, v90
	s_barrier
	ds_write2_b64 v93, v[61:62], v[63:64] offset1:1
	s_waitcnt lgkmcnt(0)
	s_barrier
	ds_read2_b64 v[117:120], v90 offset0:68 offset1:69
	s_cmp_lt_i32 s3, 36
	v_mov_b32_e32 v93, 34
	s_cbranch_scc1 .LBB100_716
; %bb.714:
	v_add_u32_e32 v94, 0x230, v90
	s_mov_b32 s0, 35
	v_mov_b32_e32 v93, 34
.LBB100_715:                            ; =>This Inner Loop Header: Depth=1
	s_waitcnt lgkmcnt(0)
	v_cmp_gt_f64_e32 vcc, 0, v[117:118]
	v_xor_b32_e32 v99, 0x80000000, v118
	ds_read2_b64 v[95:98], v94 offset1:1
	v_xor_b32_e32 v101, 0x80000000, v120
	v_add_u32_e32 v94, 16, v94
	s_waitcnt lgkmcnt(0)
	v_xor_b32_e32 v103, 0x80000000, v98
	v_cndmask_b32_e32 v100, v118, v99, vcc
	v_cmp_gt_f64_e32 vcc, 0, v[119:120]
	v_mov_b32_e32 v99, v117
	v_cndmask_b32_e32 v102, v120, v101, vcc
	v_cmp_gt_f64_e32 vcc, 0, v[95:96]
	v_mov_b32_e32 v101, v119
	v_add_f64 v[99:100], v[99:100], v[101:102]
	v_xor_b32_e32 v101, 0x80000000, v96
	v_cndmask_b32_e32 v102, v96, v101, vcc
	v_cmp_gt_f64_e32 vcc, 0, v[97:98]
	v_mov_b32_e32 v101, v95
	v_cndmask_b32_e32 v104, v98, v103, vcc
	v_mov_b32_e32 v103, v97
	v_add_f64 v[101:102], v[101:102], v[103:104]
	v_cmp_lt_f64_e32 vcc, v[99:100], v[101:102]
	v_cndmask_b32_e32 v117, v117, v95, vcc
	v_mov_b32_e32 v95, s0
	s_add_i32 s0, s0, 1
	v_cndmask_b32_e32 v118, v118, v96, vcc
	v_cndmask_b32_e32 v120, v120, v98, vcc
	;; [unrolled: 1-line block ×4, first 2 shown]
	s_cmp_lg_u32 s3, s0
	s_cbranch_scc1 .LBB100_715
.LBB100_716:
	s_waitcnt lgkmcnt(0)
	v_cmp_eq_f64_e32 vcc, 0, v[117:118]
	v_cmp_eq_f64_e64 s[0:1], 0, v[119:120]
	s_and_b64 s[0:1], vcc, s[0:1]
	s_and_saveexec_b64 s[18:19], s[0:1]
	s_xor_b64 s[0:1], exec, s[18:19]
; %bb.717:
	v_cmp_ne_u32_e32 vcc, 0, v91
	v_cndmask_b32_e32 v91, 35, v91, vcc
; %bb.718:
	s_andn2_saveexec_b64 s[0:1], s[0:1]
	s_cbranch_execz .LBB100_724
; %bb.719:
	v_cmp_ngt_f64_e64 s[18:19], |v[117:118]|, |v[119:120]|
	s_and_saveexec_b64 s[20:21], s[18:19]
	s_xor_b64 s[18:19], exec, s[20:21]
	s_cbranch_execz .LBB100_721
; %bb.720:
	v_div_scale_f64 v[94:95], s[20:21], v[119:120], v[119:120], v[117:118]
	v_rcp_f64_e32 v[96:97], v[94:95]
	v_fma_f64 v[98:99], -v[94:95], v[96:97], 1.0
	v_fma_f64 v[96:97], v[96:97], v[98:99], v[96:97]
	v_div_scale_f64 v[98:99], vcc, v[117:118], v[119:120], v[117:118]
	v_fma_f64 v[100:101], -v[94:95], v[96:97], 1.0
	v_fma_f64 v[96:97], v[96:97], v[100:101], v[96:97]
	v_mul_f64 v[100:101], v[98:99], v[96:97]
	v_fma_f64 v[94:95], -v[94:95], v[100:101], v[98:99]
	v_div_fmas_f64 v[94:95], v[94:95], v[96:97], v[100:101]
	v_div_fixup_f64 v[94:95], v[94:95], v[119:120], v[117:118]
	v_fma_f64 v[96:97], v[117:118], v[94:95], v[119:120]
	v_div_scale_f64 v[98:99], s[20:21], v[96:97], v[96:97], 1.0
	v_div_scale_f64 v[104:105], vcc, 1.0, v[96:97], 1.0
	v_rcp_f64_e32 v[100:101], v[98:99]
	v_fma_f64 v[102:103], -v[98:99], v[100:101], 1.0
	v_fma_f64 v[100:101], v[100:101], v[102:103], v[100:101]
	v_fma_f64 v[102:103], -v[98:99], v[100:101], 1.0
	v_fma_f64 v[100:101], v[100:101], v[102:103], v[100:101]
	v_mul_f64 v[102:103], v[104:105], v[100:101]
	v_fma_f64 v[98:99], -v[98:99], v[102:103], v[104:105]
	v_div_fmas_f64 v[98:99], v[98:99], v[100:101], v[102:103]
	v_div_fixup_f64 v[119:120], v[98:99], v[96:97], 1.0
	v_mul_f64 v[117:118], v[94:95], v[119:120]
	v_xor_b32_e32 v120, 0x80000000, v120
.LBB100_721:
	s_andn2_saveexec_b64 s[18:19], s[18:19]
	s_cbranch_execz .LBB100_723
; %bb.722:
	v_div_scale_f64 v[94:95], s[20:21], v[117:118], v[117:118], v[119:120]
	v_rcp_f64_e32 v[96:97], v[94:95]
	v_fma_f64 v[98:99], -v[94:95], v[96:97], 1.0
	v_fma_f64 v[96:97], v[96:97], v[98:99], v[96:97]
	v_div_scale_f64 v[98:99], vcc, v[119:120], v[117:118], v[119:120]
	v_fma_f64 v[100:101], -v[94:95], v[96:97], 1.0
	v_fma_f64 v[96:97], v[96:97], v[100:101], v[96:97]
	v_mul_f64 v[100:101], v[98:99], v[96:97]
	v_fma_f64 v[94:95], -v[94:95], v[100:101], v[98:99]
	v_div_fmas_f64 v[94:95], v[94:95], v[96:97], v[100:101]
	v_div_fixup_f64 v[94:95], v[94:95], v[117:118], v[119:120]
	v_fma_f64 v[96:97], v[119:120], v[94:95], v[117:118]
	v_div_scale_f64 v[98:99], s[20:21], v[96:97], v[96:97], 1.0
	v_div_scale_f64 v[104:105], vcc, 1.0, v[96:97], 1.0
	v_rcp_f64_e32 v[100:101], v[98:99]
	v_fma_f64 v[102:103], -v[98:99], v[100:101], 1.0
	v_fma_f64 v[100:101], v[100:101], v[102:103], v[100:101]
	v_fma_f64 v[102:103], -v[98:99], v[100:101], 1.0
	v_fma_f64 v[100:101], v[100:101], v[102:103], v[100:101]
	v_mul_f64 v[102:103], v[104:105], v[100:101]
	v_fma_f64 v[98:99], -v[98:99], v[102:103], v[104:105]
	v_div_fmas_f64 v[98:99], v[98:99], v[100:101], v[102:103]
	v_div_fixup_f64 v[117:118], v[98:99], v[96:97], 1.0
	v_mul_f64 v[119:120], v[94:95], -v[117:118]
.LBB100_723:
	s_or_b64 exec, exec, s[18:19]
.LBB100_724:
	s_or_b64 exec, exec, s[0:1]
	v_cmp_ne_u32_e32 vcc, v92, v93
	s_and_saveexec_b64 s[0:1], vcc
	s_xor_b64 s[0:1], exec, s[0:1]
	s_cbranch_execz .LBB100_730
; %bb.725:
	v_cmp_eq_u32_e32 vcc, 34, v92
	s_and_saveexec_b64 s[18:19], vcc
	s_cbranch_execz .LBB100_729
; %bb.726:
	v_cmp_ne_u32_e32 vcc, 34, v93
	s_xor_b64 s[20:21], s[6:7], -1
	s_and_b64 s[22:23], s[20:21], vcc
	s_and_saveexec_b64 s[20:21], s[22:23]
	s_cbranch_execz .LBB100_728
; %bb.727:
	buffer_load_dword v81, off, s[24:27], 0 offset:400 ; 4-byte Folded Reload
	buffer_load_dword v82, off, s[24:27], 0 offset:404 ; 4-byte Folded Reload
	v_ashrrev_i32_e32 v94, 31, v93
	v_lshlrev_b64 v[94:95], 2, v[93:94]
	s_waitcnt vmcnt(1)
	v_add_co_u32_e32 v94, vcc, v81, v94
	s_waitcnt vmcnt(0)
	v_addc_co_u32_e32 v95, vcc, v82, v95, vcc
	global_load_dword v0, v[94:95], off
	global_load_dword v92, v[81:82], off offset:136
	s_waitcnt vmcnt(1)
	global_store_dword v[81:82], v0, off offset:136
	s_waitcnt vmcnt(1)
	global_store_dword v[94:95], v92, off
.LBB100_728:
	s_or_b64 exec, exec, s[20:21]
	v_mov_b32_e32 v92, v93
	v_mov_b32_e32 v0, v93
.LBB100_729:
	s_or_b64 exec, exec, s[18:19]
.LBB100_730:
	s_andn2_saveexec_b64 s[0:1], s[0:1]
	s_cbranch_execz .LBB100_732
; %bb.731:
	v_mov_b32_e32 v92, 34
	ds_write2_b64 v90, v[57:58], v[59:60] offset0:70 offset1:71
	ds_write2_b64 v90, v[53:54], v[55:56] offset0:72 offset1:73
	;; [unrolled: 1-line block ×16, first 2 shown]
.LBB100_732:
	s_or_b64 exec, exec, s[0:1]
	v_cmp_lt_i32_e32 vcc, 34, v92
	s_waitcnt vmcnt(0) lgkmcnt(0)
	s_barrier
	s_and_saveexec_b64 s[0:1], vcc
	s_cbranch_execz .LBB100_734
; %bb.733:
	v_mul_f64 v[93:94], v[117:118], v[63:64]
	v_mul_f64 v[63:64], v[119:120], v[63:64]
	ds_read2_b64 v[95:98], v90 offset0:70 offset1:71
	v_fma_f64 v[93:94], v[119:120], v[61:62], v[93:94]
	v_fma_f64 v[61:62], v[117:118], v[61:62], -v[63:64]
	s_waitcnt lgkmcnt(0)
	v_mul_f64 v[63:64], v[97:98], v[93:94]
	v_fma_f64 v[63:64], v[95:96], v[61:62], -v[63:64]
	v_mul_f64 v[95:96], v[95:96], v[93:94]
	v_add_f64 v[57:58], v[57:58], -v[63:64]
	v_fma_f64 v[95:96], v[97:98], v[61:62], v[95:96]
	v_add_f64 v[59:60], v[59:60], -v[95:96]
	ds_read2_b64 v[95:98], v90 offset0:72 offset1:73
	s_waitcnt lgkmcnt(0)
	v_mul_f64 v[63:64], v[97:98], v[93:94]
	v_fma_f64 v[63:64], v[95:96], v[61:62], -v[63:64]
	v_mul_f64 v[95:96], v[95:96], v[93:94]
	v_add_f64 v[53:54], v[53:54], -v[63:64]
	v_fma_f64 v[95:96], v[97:98], v[61:62], v[95:96]
	v_add_f64 v[55:56], v[55:56], -v[95:96]
	ds_read2_b64 v[95:98], v90 offset0:74 offset1:75
	;; [unrolled: 8-line block ×15, first 2 shown]
	s_waitcnt lgkmcnt(0)
	v_mul_f64 v[63:64], v[97:98], v[93:94]
	v_fma_f64 v[63:64], v[95:96], v[61:62], -v[63:64]
	v_mul_f64 v[95:96], v[95:96], v[93:94]
	v_add_f64 v[121:122], v[121:122], -v[63:64]
	v_fma_f64 v[95:96], v[97:98], v[61:62], v[95:96]
	v_mov_b32_e32 v63, v93
	v_mov_b32_e32 v64, v94
	v_add_f64 v[123:124], v[123:124], -v[95:96]
.LBB100_734:
	s_or_b64 exec, exec, s[0:1]
	v_lshl_add_u32 v93, v92, 4, v90
	s_barrier
	ds_write2_b64 v93, v[57:58], v[59:60] offset1:1
	s_waitcnt lgkmcnt(0)
	s_barrier
	ds_read2_b64 v[117:120], v90 offset0:70 offset1:71
	s_cmp_lt_i32 s3, 37
	v_mov_b32_e32 v93, 35
	s_cbranch_scc1 .LBB100_737
; %bb.735:
	v_add_u32_e32 v94, 0x240, v90
	s_mov_b32 s0, 36
	v_mov_b32_e32 v93, 35
.LBB100_736:                            ; =>This Inner Loop Header: Depth=1
	s_waitcnt lgkmcnt(0)
	v_cmp_gt_f64_e32 vcc, 0, v[117:118]
	v_xor_b32_e32 v99, 0x80000000, v118
	ds_read2_b64 v[95:98], v94 offset1:1
	v_xor_b32_e32 v101, 0x80000000, v120
	v_add_u32_e32 v94, 16, v94
	s_waitcnt lgkmcnt(0)
	v_xor_b32_e32 v103, 0x80000000, v98
	v_cndmask_b32_e32 v100, v118, v99, vcc
	v_cmp_gt_f64_e32 vcc, 0, v[119:120]
	v_mov_b32_e32 v99, v117
	v_cndmask_b32_e32 v102, v120, v101, vcc
	v_cmp_gt_f64_e32 vcc, 0, v[95:96]
	v_mov_b32_e32 v101, v119
	v_add_f64 v[99:100], v[99:100], v[101:102]
	v_xor_b32_e32 v101, 0x80000000, v96
	v_cndmask_b32_e32 v102, v96, v101, vcc
	v_cmp_gt_f64_e32 vcc, 0, v[97:98]
	v_mov_b32_e32 v101, v95
	v_cndmask_b32_e32 v104, v98, v103, vcc
	v_mov_b32_e32 v103, v97
	v_add_f64 v[101:102], v[101:102], v[103:104]
	v_cmp_lt_f64_e32 vcc, v[99:100], v[101:102]
	v_cndmask_b32_e32 v117, v117, v95, vcc
	v_mov_b32_e32 v95, s0
	s_add_i32 s0, s0, 1
	v_cndmask_b32_e32 v118, v118, v96, vcc
	v_cndmask_b32_e32 v120, v120, v98, vcc
	;; [unrolled: 1-line block ×4, first 2 shown]
	s_cmp_lg_u32 s3, s0
	s_cbranch_scc1 .LBB100_736
.LBB100_737:
	s_waitcnt lgkmcnt(0)
	v_cmp_eq_f64_e32 vcc, 0, v[117:118]
	v_cmp_eq_f64_e64 s[0:1], 0, v[119:120]
	s_and_b64 s[0:1], vcc, s[0:1]
	s_and_saveexec_b64 s[18:19], s[0:1]
	s_xor_b64 s[0:1], exec, s[18:19]
; %bb.738:
	v_cmp_ne_u32_e32 vcc, 0, v91
	v_cndmask_b32_e32 v91, 36, v91, vcc
; %bb.739:
	s_andn2_saveexec_b64 s[0:1], s[0:1]
	s_cbranch_execz .LBB100_745
; %bb.740:
	v_cmp_ngt_f64_e64 s[18:19], |v[117:118]|, |v[119:120]|
	s_and_saveexec_b64 s[20:21], s[18:19]
	s_xor_b64 s[18:19], exec, s[20:21]
	s_cbranch_execz .LBB100_742
; %bb.741:
	v_div_scale_f64 v[94:95], s[20:21], v[119:120], v[119:120], v[117:118]
	v_rcp_f64_e32 v[96:97], v[94:95]
	v_fma_f64 v[98:99], -v[94:95], v[96:97], 1.0
	v_fma_f64 v[96:97], v[96:97], v[98:99], v[96:97]
	v_div_scale_f64 v[98:99], vcc, v[117:118], v[119:120], v[117:118]
	v_fma_f64 v[100:101], -v[94:95], v[96:97], 1.0
	v_fma_f64 v[96:97], v[96:97], v[100:101], v[96:97]
	v_mul_f64 v[100:101], v[98:99], v[96:97]
	v_fma_f64 v[94:95], -v[94:95], v[100:101], v[98:99]
	v_div_fmas_f64 v[94:95], v[94:95], v[96:97], v[100:101]
	v_div_fixup_f64 v[94:95], v[94:95], v[119:120], v[117:118]
	v_fma_f64 v[96:97], v[117:118], v[94:95], v[119:120]
	v_div_scale_f64 v[98:99], s[20:21], v[96:97], v[96:97], 1.0
	v_div_scale_f64 v[104:105], vcc, 1.0, v[96:97], 1.0
	v_rcp_f64_e32 v[100:101], v[98:99]
	v_fma_f64 v[102:103], -v[98:99], v[100:101], 1.0
	v_fma_f64 v[100:101], v[100:101], v[102:103], v[100:101]
	v_fma_f64 v[102:103], -v[98:99], v[100:101], 1.0
	v_fma_f64 v[100:101], v[100:101], v[102:103], v[100:101]
	v_mul_f64 v[102:103], v[104:105], v[100:101]
	v_fma_f64 v[98:99], -v[98:99], v[102:103], v[104:105]
	v_div_fmas_f64 v[98:99], v[98:99], v[100:101], v[102:103]
	v_div_fixup_f64 v[119:120], v[98:99], v[96:97], 1.0
	v_mul_f64 v[117:118], v[94:95], v[119:120]
	v_xor_b32_e32 v120, 0x80000000, v120
.LBB100_742:
	s_andn2_saveexec_b64 s[18:19], s[18:19]
	s_cbranch_execz .LBB100_744
; %bb.743:
	v_div_scale_f64 v[94:95], s[20:21], v[117:118], v[117:118], v[119:120]
	v_rcp_f64_e32 v[96:97], v[94:95]
	v_fma_f64 v[98:99], -v[94:95], v[96:97], 1.0
	v_fma_f64 v[96:97], v[96:97], v[98:99], v[96:97]
	v_div_scale_f64 v[98:99], vcc, v[119:120], v[117:118], v[119:120]
	v_fma_f64 v[100:101], -v[94:95], v[96:97], 1.0
	v_fma_f64 v[96:97], v[96:97], v[100:101], v[96:97]
	v_mul_f64 v[100:101], v[98:99], v[96:97]
	v_fma_f64 v[94:95], -v[94:95], v[100:101], v[98:99]
	v_div_fmas_f64 v[94:95], v[94:95], v[96:97], v[100:101]
	v_div_fixup_f64 v[94:95], v[94:95], v[117:118], v[119:120]
	v_fma_f64 v[96:97], v[119:120], v[94:95], v[117:118]
	v_div_scale_f64 v[98:99], s[20:21], v[96:97], v[96:97], 1.0
	v_div_scale_f64 v[104:105], vcc, 1.0, v[96:97], 1.0
	v_rcp_f64_e32 v[100:101], v[98:99]
	v_fma_f64 v[102:103], -v[98:99], v[100:101], 1.0
	v_fma_f64 v[100:101], v[100:101], v[102:103], v[100:101]
	v_fma_f64 v[102:103], -v[98:99], v[100:101], 1.0
	v_fma_f64 v[100:101], v[100:101], v[102:103], v[100:101]
	v_mul_f64 v[102:103], v[104:105], v[100:101]
	v_fma_f64 v[98:99], -v[98:99], v[102:103], v[104:105]
	v_div_fmas_f64 v[98:99], v[98:99], v[100:101], v[102:103]
	v_div_fixup_f64 v[117:118], v[98:99], v[96:97], 1.0
	v_mul_f64 v[119:120], v[94:95], -v[117:118]
.LBB100_744:
	s_or_b64 exec, exec, s[18:19]
.LBB100_745:
	s_or_b64 exec, exec, s[0:1]
	v_cmp_ne_u32_e32 vcc, v92, v93
	s_and_saveexec_b64 s[0:1], vcc
	s_xor_b64 s[0:1], exec, s[0:1]
	s_cbranch_execz .LBB100_751
; %bb.746:
	v_cmp_eq_u32_e32 vcc, 35, v92
	s_and_saveexec_b64 s[18:19], vcc
	s_cbranch_execz .LBB100_750
; %bb.747:
	v_cmp_ne_u32_e32 vcc, 35, v93
	s_xor_b64 s[20:21], s[6:7], -1
	s_and_b64 s[22:23], s[20:21], vcc
	s_and_saveexec_b64 s[20:21], s[22:23]
	s_cbranch_execz .LBB100_749
; %bb.748:
	buffer_load_dword v81, off, s[24:27], 0 offset:400 ; 4-byte Folded Reload
	buffer_load_dword v82, off, s[24:27], 0 offset:404 ; 4-byte Folded Reload
	v_ashrrev_i32_e32 v94, 31, v93
	v_lshlrev_b64 v[94:95], 2, v[93:94]
	s_waitcnt vmcnt(1)
	v_add_co_u32_e32 v94, vcc, v81, v94
	s_waitcnt vmcnt(0)
	v_addc_co_u32_e32 v95, vcc, v82, v95, vcc
	global_load_dword v0, v[94:95], off
	global_load_dword v92, v[81:82], off offset:140
	s_waitcnt vmcnt(1)
	global_store_dword v[81:82], v0, off offset:140
	s_waitcnt vmcnt(1)
	global_store_dword v[94:95], v92, off
.LBB100_749:
	s_or_b64 exec, exec, s[20:21]
	v_mov_b32_e32 v92, v93
	v_mov_b32_e32 v0, v93
.LBB100_750:
	s_or_b64 exec, exec, s[18:19]
.LBB100_751:
	s_andn2_saveexec_b64 s[0:1], s[0:1]
	s_cbranch_execz .LBB100_753
; %bb.752:
	v_mov_b32_e32 v92, 35
	ds_write2_b64 v90, v[53:54], v[55:56] offset0:72 offset1:73
	ds_write2_b64 v90, v[49:50], v[51:52] offset0:74 offset1:75
	;; [unrolled: 1-line block ×15, first 2 shown]
.LBB100_753:
	s_or_b64 exec, exec, s[0:1]
	v_cmp_lt_i32_e32 vcc, 35, v92
	s_waitcnt vmcnt(0) lgkmcnt(0)
	s_barrier
	s_and_saveexec_b64 s[0:1], vcc
	s_cbranch_execz .LBB100_755
; %bb.754:
	v_mul_f64 v[93:94], v[117:118], v[59:60]
	v_mul_f64 v[59:60], v[119:120], v[59:60]
	ds_read2_b64 v[95:98], v90 offset0:72 offset1:73
	v_fma_f64 v[93:94], v[119:120], v[57:58], v[93:94]
	v_fma_f64 v[57:58], v[117:118], v[57:58], -v[59:60]
	s_waitcnt lgkmcnt(0)
	v_mul_f64 v[59:60], v[97:98], v[93:94]
	v_fma_f64 v[59:60], v[95:96], v[57:58], -v[59:60]
	v_mul_f64 v[95:96], v[95:96], v[93:94]
	v_add_f64 v[53:54], v[53:54], -v[59:60]
	v_fma_f64 v[95:96], v[97:98], v[57:58], v[95:96]
	v_add_f64 v[55:56], v[55:56], -v[95:96]
	ds_read2_b64 v[95:98], v90 offset0:74 offset1:75
	s_waitcnt lgkmcnt(0)
	v_mul_f64 v[59:60], v[97:98], v[93:94]
	v_fma_f64 v[59:60], v[95:96], v[57:58], -v[59:60]
	v_mul_f64 v[95:96], v[95:96], v[93:94]
	v_add_f64 v[49:50], v[49:50], -v[59:60]
	v_fma_f64 v[95:96], v[97:98], v[57:58], v[95:96]
	v_add_f64 v[51:52], v[51:52], -v[95:96]
	ds_read2_b64 v[95:98], v90 offset0:76 offset1:77
	;; [unrolled: 8-line block ×14, first 2 shown]
	s_waitcnt lgkmcnt(0)
	v_mul_f64 v[59:60], v[97:98], v[93:94]
	v_fma_f64 v[59:60], v[95:96], v[57:58], -v[59:60]
	v_mul_f64 v[95:96], v[95:96], v[93:94]
	v_add_f64 v[121:122], v[121:122], -v[59:60]
	v_fma_f64 v[95:96], v[97:98], v[57:58], v[95:96]
	v_mov_b32_e32 v59, v93
	v_mov_b32_e32 v60, v94
	v_add_f64 v[123:124], v[123:124], -v[95:96]
.LBB100_755:
	s_or_b64 exec, exec, s[0:1]
	v_lshl_add_u32 v93, v92, 4, v90
	s_barrier
	ds_write2_b64 v93, v[53:54], v[55:56] offset1:1
	s_waitcnt lgkmcnt(0)
	s_barrier
	ds_read2_b64 v[117:120], v90 offset0:72 offset1:73
	s_cmp_lt_i32 s3, 38
	v_mov_b32_e32 v93, 36
	s_cbranch_scc1 .LBB100_758
; %bb.756:
	v_add_u32_e32 v94, 0x250, v90
	s_mov_b32 s0, 37
	v_mov_b32_e32 v93, 36
.LBB100_757:                            ; =>This Inner Loop Header: Depth=1
	s_waitcnt lgkmcnt(0)
	v_cmp_gt_f64_e32 vcc, 0, v[117:118]
	v_xor_b32_e32 v99, 0x80000000, v118
	ds_read2_b64 v[95:98], v94 offset1:1
	v_xor_b32_e32 v101, 0x80000000, v120
	v_add_u32_e32 v94, 16, v94
	s_waitcnt lgkmcnt(0)
	v_xor_b32_e32 v103, 0x80000000, v98
	v_cndmask_b32_e32 v100, v118, v99, vcc
	v_cmp_gt_f64_e32 vcc, 0, v[119:120]
	v_mov_b32_e32 v99, v117
	v_cndmask_b32_e32 v102, v120, v101, vcc
	v_cmp_gt_f64_e32 vcc, 0, v[95:96]
	v_mov_b32_e32 v101, v119
	v_add_f64 v[99:100], v[99:100], v[101:102]
	v_xor_b32_e32 v101, 0x80000000, v96
	v_cndmask_b32_e32 v102, v96, v101, vcc
	v_cmp_gt_f64_e32 vcc, 0, v[97:98]
	v_mov_b32_e32 v101, v95
	v_cndmask_b32_e32 v104, v98, v103, vcc
	v_mov_b32_e32 v103, v97
	v_add_f64 v[101:102], v[101:102], v[103:104]
	v_cmp_lt_f64_e32 vcc, v[99:100], v[101:102]
	v_cndmask_b32_e32 v117, v117, v95, vcc
	v_mov_b32_e32 v95, s0
	s_add_i32 s0, s0, 1
	v_cndmask_b32_e32 v118, v118, v96, vcc
	v_cndmask_b32_e32 v120, v120, v98, vcc
	;; [unrolled: 1-line block ×4, first 2 shown]
	s_cmp_lg_u32 s3, s0
	s_cbranch_scc1 .LBB100_757
.LBB100_758:
	s_waitcnt lgkmcnt(0)
	v_cmp_eq_f64_e32 vcc, 0, v[117:118]
	v_cmp_eq_f64_e64 s[0:1], 0, v[119:120]
	s_and_b64 s[0:1], vcc, s[0:1]
	s_and_saveexec_b64 s[18:19], s[0:1]
	s_xor_b64 s[0:1], exec, s[18:19]
; %bb.759:
	v_cmp_ne_u32_e32 vcc, 0, v91
	v_cndmask_b32_e32 v91, 37, v91, vcc
; %bb.760:
	s_andn2_saveexec_b64 s[0:1], s[0:1]
	s_cbranch_execz .LBB100_766
; %bb.761:
	v_cmp_ngt_f64_e64 s[18:19], |v[117:118]|, |v[119:120]|
	s_and_saveexec_b64 s[20:21], s[18:19]
	s_xor_b64 s[18:19], exec, s[20:21]
	s_cbranch_execz .LBB100_763
; %bb.762:
	v_div_scale_f64 v[94:95], s[20:21], v[119:120], v[119:120], v[117:118]
	v_rcp_f64_e32 v[96:97], v[94:95]
	v_fma_f64 v[98:99], -v[94:95], v[96:97], 1.0
	v_fma_f64 v[96:97], v[96:97], v[98:99], v[96:97]
	v_div_scale_f64 v[98:99], vcc, v[117:118], v[119:120], v[117:118]
	v_fma_f64 v[100:101], -v[94:95], v[96:97], 1.0
	v_fma_f64 v[96:97], v[96:97], v[100:101], v[96:97]
	v_mul_f64 v[100:101], v[98:99], v[96:97]
	v_fma_f64 v[94:95], -v[94:95], v[100:101], v[98:99]
	v_div_fmas_f64 v[94:95], v[94:95], v[96:97], v[100:101]
	v_div_fixup_f64 v[94:95], v[94:95], v[119:120], v[117:118]
	v_fma_f64 v[96:97], v[117:118], v[94:95], v[119:120]
	v_div_scale_f64 v[98:99], s[20:21], v[96:97], v[96:97], 1.0
	v_div_scale_f64 v[104:105], vcc, 1.0, v[96:97], 1.0
	v_rcp_f64_e32 v[100:101], v[98:99]
	v_fma_f64 v[102:103], -v[98:99], v[100:101], 1.0
	v_fma_f64 v[100:101], v[100:101], v[102:103], v[100:101]
	v_fma_f64 v[102:103], -v[98:99], v[100:101], 1.0
	v_fma_f64 v[100:101], v[100:101], v[102:103], v[100:101]
	v_mul_f64 v[102:103], v[104:105], v[100:101]
	v_fma_f64 v[98:99], -v[98:99], v[102:103], v[104:105]
	v_div_fmas_f64 v[98:99], v[98:99], v[100:101], v[102:103]
	v_div_fixup_f64 v[119:120], v[98:99], v[96:97], 1.0
	v_mul_f64 v[117:118], v[94:95], v[119:120]
	v_xor_b32_e32 v120, 0x80000000, v120
.LBB100_763:
	s_andn2_saveexec_b64 s[18:19], s[18:19]
	s_cbranch_execz .LBB100_765
; %bb.764:
	v_div_scale_f64 v[94:95], s[20:21], v[117:118], v[117:118], v[119:120]
	v_rcp_f64_e32 v[96:97], v[94:95]
	v_fma_f64 v[98:99], -v[94:95], v[96:97], 1.0
	v_fma_f64 v[96:97], v[96:97], v[98:99], v[96:97]
	v_div_scale_f64 v[98:99], vcc, v[119:120], v[117:118], v[119:120]
	v_fma_f64 v[100:101], -v[94:95], v[96:97], 1.0
	v_fma_f64 v[96:97], v[96:97], v[100:101], v[96:97]
	v_mul_f64 v[100:101], v[98:99], v[96:97]
	v_fma_f64 v[94:95], -v[94:95], v[100:101], v[98:99]
	v_div_fmas_f64 v[94:95], v[94:95], v[96:97], v[100:101]
	v_div_fixup_f64 v[94:95], v[94:95], v[117:118], v[119:120]
	v_fma_f64 v[96:97], v[119:120], v[94:95], v[117:118]
	v_div_scale_f64 v[98:99], s[20:21], v[96:97], v[96:97], 1.0
	v_div_scale_f64 v[104:105], vcc, 1.0, v[96:97], 1.0
	v_rcp_f64_e32 v[100:101], v[98:99]
	v_fma_f64 v[102:103], -v[98:99], v[100:101], 1.0
	v_fma_f64 v[100:101], v[100:101], v[102:103], v[100:101]
	v_fma_f64 v[102:103], -v[98:99], v[100:101], 1.0
	v_fma_f64 v[100:101], v[100:101], v[102:103], v[100:101]
	v_mul_f64 v[102:103], v[104:105], v[100:101]
	v_fma_f64 v[98:99], -v[98:99], v[102:103], v[104:105]
	v_div_fmas_f64 v[98:99], v[98:99], v[100:101], v[102:103]
	v_div_fixup_f64 v[117:118], v[98:99], v[96:97], 1.0
	v_mul_f64 v[119:120], v[94:95], -v[117:118]
.LBB100_765:
	s_or_b64 exec, exec, s[18:19]
.LBB100_766:
	s_or_b64 exec, exec, s[0:1]
	v_cmp_ne_u32_e32 vcc, v92, v93
	s_and_saveexec_b64 s[0:1], vcc
	s_xor_b64 s[0:1], exec, s[0:1]
	s_cbranch_execz .LBB100_772
; %bb.767:
	v_cmp_eq_u32_e32 vcc, 36, v92
	s_and_saveexec_b64 s[18:19], vcc
	s_cbranch_execz .LBB100_771
; %bb.768:
	v_cmp_ne_u32_e32 vcc, 36, v93
	s_xor_b64 s[20:21], s[6:7], -1
	s_and_b64 s[22:23], s[20:21], vcc
	s_and_saveexec_b64 s[20:21], s[22:23]
	s_cbranch_execz .LBB100_770
; %bb.769:
	buffer_load_dword v81, off, s[24:27], 0 offset:400 ; 4-byte Folded Reload
	buffer_load_dword v82, off, s[24:27], 0 offset:404 ; 4-byte Folded Reload
	v_ashrrev_i32_e32 v94, 31, v93
	v_lshlrev_b64 v[94:95], 2, v[93:94]
	s_waitcnt vmcnt(1)
	v_add_co_u32_e32 v94, vcc, v81, v94
	s_waitcnt vmcnt(0)
	v_addc_co_u32_e32 v95, vcc, v82, v95, vcc
	global_load_dword v0, v[94:95], off
	global_load_dword v92, v[81:82], off offset:144
	s_waitcnt vmcnt(1)
	global_store_dword v[81:82], v0, off offset:144
	s_waitcnt vmcnt(1)
	global_store_dword v[94:95], v92, off
.LBB100_770:
	s_or_b64 exec, exec, s[20:21]
	v_mov_b32_e32 v92, v93
	v_mov_b32_e32 v0, v93
.LBB100_771:
	s_or_b64 exec, exec, s[18:19]
.LBB100_772:
	s_andn2_saveexec_b64 s[0:1], s[0:1]
	s_cbranch_execz .LBB100_774
; %bb.773:
	v_mov_b32_e32 v92, 36
	ds_write2_b64 v90, v[49:50], v[51:52] offset0:74 offset1:75
	ds_write2_b64 v90, v[45:46], v[47:48] offset0:76 offset1:77
	;; [unrolled: 1-line block ×14, first 2 shown]
.LBB100_774:
	s_or_b64 exec, exec, s[0:1]
	v_cmp_lt_i32_e32 vcc, 36, v92
	s_waitcnt vmcnt(0) lgkmcnt(0)
	s_barrier
	s_and_saveexec_b64 s[0:1], vcc
	s_cbranch_execz .LBB100_776
; %bb.775:
	v_mul_f64 v[93:94], v[117:118], v[55:56]
	v_mul_f64 v[55:56], v[119:120], v[55:56]
	ds_read2_b64 v[95:98], v90 offset0:74 offset1:75
	v_fma_f64 v[93:94], v[119:120], v[53:54], v[93:94]
	v_fma_f64 v[53:54], v[117:118], v[53:54], -v[55:56]
	s_waitcnt lgkmcnt(0)
	v_mul_f64 v[55:56], v[97:98], v[93:94]
	v_fma_f64 v[55:56], v[95:96], v[53:54], -v[55:56]
	v_mul_f64 v[95:96], v[95:96], v[93:94]
	v_add_f64 v[49:50], v[49:50], -v[55:56]
	v_fma_f64 v[95:96], v[97:98], v[53:54], v[95:96]
	v_add_f64 v[51:52], v[51:52], -v[95:96]
	ds_read2_b64 v[95:98], v90 offset0:76 offset1:77
	s_waitcnt lgkmcnt(0)
	v_mul_f64 v[55:56], v[97:98], v[93:94]
	v_fma_f64 v[55:56], v[95:96], v[53:54], -v[55:56]
	v_mul_f64 v[95:96], v[95:96], v[93:94]
	v_add_f64 v[45:46], v[45:46], -v[55:56]
	v_fma_f64 v[95:96], v[97:98], v[53:54], v[95:96]
	v_add_f64 v[47:48], v[47:48], -v[95:96]
	ds_read2_b64 v[95:98], v90 offset0:78 offset1:79
	;; [unrolled: 8-line block ×13, first 2 shown]
	s_waitcnt lgkmcnt(0)
	v_mul_f64 v[55:56], v[97:98], v[93:94]
	v_fma_f64 v[55:56], v[95:96], v[53:54], -v[55:56]
	v_mul_f64 v[95:96], v[95:96], v[93:94]
	v_add_f64 v[121:122], v[121:122], -v[55:56]
	v_fma_f64 v[95:96], v[97:98], v[53:54], v[95:96]
	v_mov_b32_e32 v55, v93
	v_mov_b32_e32 v56, v94
	v_add_f64 v[123:124], v[123:124], -v[95:96]
.LBB100_776:
	s_or_b64 exec, exec, s[0:1]
	v_lshl_add_u32 v93, v92, 4, v90
	s_barrier
	ds_write2_b64 v93, v[49:50], v[51:52] offset1:1
	s_waitcnt lgkmcnt(0)
	s_barrier
	ds_read2_b64 v[117:120], v90 offset0:74 offset1:75
	s_cmp_lt_i32 s3, 39
	v_mov_b32_e32 v93, 37
	s_cbranch_scc1 .LBB100_779
; %bb.777:
	v_add_u32_e32 v94, 0x260, v90
	s_mov_b32 s0, 38
	v_mov_b32_e32 v93, 37
.LBB100_778:                            ; =>This Inner Loop Header: Depth=1
	s_waitcnt lgkmcnt(0)
	v_cmp_gt_f64_e32 vcc, 0, v[117:118]
	v_xor_b32_e32 v99, 0x80000000, v118
	ds_read2_b64 v[95:98], v94 offset1:1
	v_xor_b32_e32 v101, 0x80000000, v120
	v_add_u32_e32 v94, 16, v94
	s_waitcnt lgkmcnt(0)
	v_xor_b32_e32 v103, 0x80000000, v98
	v_cndmask_b32_e32 v100, v118, v99, vcc
	v_cmp_gt_f64_e32 vcc, 0, v[119:120]
	v_mov_b32_e32 v99, v117
	v_cndmask_b32_e32 v102, v120, v101, vcc
	v_cmp_gt_f64_e32 vcc, 0, v[95:96]
	v_mov_b32_e32 v101, v119
	v_add_f64 v[99:100], v[99:100], v[101:102]
	v_xor_b32_e32 v101, 0x80000000, v96
	v_cndmask_b32_e32 v102, v96, v101, vcc
	v_cmp_gt_f64_e32 vcc, 0, v[97:98]
	v_mov_b32_e32 v101, v95
	v_cndmask_b32_e32 v104, v98, v103, vcc
	v_mov_b32_e32 v103, v97
	v_add_f64 v[101:102], v[101:102], v[103:104]
	v_cmp_lt_f64_e32 vcc, v[99:100], v[101:102]
	v_cndmask_b32_e32 v117, v117, v95, vcc
	v_mov_b32_e32 v95, s0
	s_add_i32 s0, s0, 1
	v_cndmask_b32_e32 v118, v118, v96, vcc
	v_cndmask_b32_e32 v120, v120, v98, vcc
	;; [unrolled: 1-line block ×4, first 2 shown]
	s_cmp_lg_u32 s3, s0
	s_cbranch_scc1 .LBB100_778
.LBB100_779:
	s_waitcnt lgkmcnt(0)
	v_cmp_eq_f64_e32 vcc, 0, v[117:118]
	v_cmp_eq_f64_e64 s[0:1], 0, v[119:120]
	s_and_b64 s[0:1], vcc, s[0:1]
	s_and_saveexec_b64 s[18:19], s[0:1]
	s_xor_b64 s[0:1], exec, s[18:19]
; %bb.780:
	v_cmp_ne_u32_e32 vcc, 0, v91
	v_cndmask_b32_e32 v91, 38, v91, vcc
; %bb.781:
	s_andn2_saveexec_b64 s[0:1], s[0:1]
	s_cbranch_execz .LBB100_787
; %bb.782:
	v_cmp_ngt_f64_e64 s[18:19], |v[117:118]|, |v[119:120]|
	s_and_saveexec_b64 s[20:21], s[18:19]
	s_xor_b64 s[18:19], exec, s[20:21]
	s_cbranch_execz .LBB100_784
; %bb.783:
	v_div_scale_f64 v[94:95], s[20:21], v[119:120], v[119:120], v[117:118]
	v_rcp_f64_e32 v[96:97], v[94:95]
	v_fma_f64 v[98:99], -v[94:95], v[96:97], 1.0
	v_fma_f64 v[96:97], v[96:97], v[98:99], v[96:97]
	v_div_scale_f64 v[98:99], vcc, v[117:118], v[119:120], v[117:118]
	v_fma_f64 v[100:101], -v[94:95], v[96:97], 1.0
	v_fma_f64 v[96:97], v[96:97], v[100:101], v[96:97]
	v_mul_f64 v[100:101], v[98:99], v[96:97]
	v_fma_f64 v[94:95], -v[94:95], v[100:101], v[98:99]
	v_div_fmas_f64 v[94:95], v[94:95], v[96:97], v[100:101]
	v_div_fixup_f64 v[94:95], v[94:95], v[119:120], v[117:118]
	v_fma_f64 v[96:97], v[117:118], v[94:95], v[119:120]
	v_div_scale_f64 v[98:99], s[20:21], v[96:97], v[96:97], 1.0
	v_div_scale_f64 v[104:105], vcc, 1.0, v[96:97], 1.0
	v_rcp_f64_e32 v[100:101], v[98:99]
	v_fma_f64 v[102:103], -v[98:99], v[100:101], 1.0
	v_fma_f64 v[100:101], v[100:101], v[102:103], v[100:101]
	v_fma_f64 v[102:103], -v[98:99], v[100:101], 1.0
	v_fma_f64 v[100:101], v[100:101], v[102:103], v[100:101]
	v_mul_f64 v[102:103], v[104:105], v[100:101]
	v_fma_f64 v[98:99], -v[98:99], v[102:103], v[104:105]
	v_div_fmas_f64 v[98:99], v[98:99], v[100:101], v[102:103]
	v_div_fixup_f64 v[119:120], v[98:99], v[96:97], 1.0
	v_mul_f64 v[117:118], v[94:95], v[119:120]
	v_xor_b32_e32 v120, 0x80000000, v120
.LBB100_784:
	s_andn2_saveexec_b64 s[18:19], s[18:19]
	s_cbranch_execz .LBB100_786
; %bb.785:
	v_div_scale_f64 v[94:95], s[20:21], v[117:118], v[117:118], v[119:120]
	v_rcp_f64_e32 v[96:97], v[94:95]
	v_fma_f64 v[98:99], -v[94:95], v[96:97], 1.0
	v_fma_f64 v[96:97], v[96:97], v[98:99], v[96:97]
	v_div_scale_f64 v[98:99], vcc, v[119:120], v[117:118], v[119:120]
	v_fma_f64 v[100:101], -v[94:95], v[96:97], 1.0
	v_fma_f64 v[96:97], v[96:97], v[100:101], v[96:97]
	v_mul_f64 v[100:101], v[98:99], v[96:97]
	v_fma_f64 v[94:95], -v[94:95], v[100:101], v[98:99]
	v_div_fmas_f64 v[94:95], v[94:95], v[96:97], v[100:101]
	v_div_fixup_f64 v[94:95], v[94:95], v[117:118], v[119:120]
	v_fma_f64 v[96:97], v[119:120], v[94:95], v[117:118]
	v_div_scale_f64 v[98:99], s[20:21], v[96:97], v[96:97], 1.0
	v_div_scale_f64 v[104:105], vcc, 1.0, v[96:97], 1.0
	v_rcp_f64_e32 v[100:101], v[98:99]
	v_fma_f64 v[102:103], -v[98:99], v[100:101], 1.0
	v_fma_f64 v[100:101], v[100:101], v[102:103], v[100:101]
	v_fma_f64 v[102:103], -v[98:99], v[100:101], 1.0
	v_fma_f64 v[100:101], v[100:101], v[102:103], v[100:101]
	v_mul_f64 v[102:103], v[104:105], v[100:101]
	v_fma_f64 v[98:99], -v[98:99], v[102:103], v[104:105]
	v_div_fmas_f64 v[98:99], v[98:99], v[100:101], v[102:103]
	v_div_fixup_f64 v[117:118], v[98:99], v[96:97], 1.0
	v_mul_f64 v[119:120], v[94:95], -v[117:118]
.LBB100_786:
	s_or_b64 exec, exec, s[18:19]
.LBB100_787:
	s_or_b64 exec, exec, s[0:1]
	v_cmp_ne_u32_e32 vcc, v92, v93
	s_and_saveexec_b64 s[0:1], vcc
	s_xor_b64 s[0:1], exec, s[0:1]
	s_cbranch_execz .LBB100_793
; %bb.788:
	v_cmp_eq_u32_e32 vcc, 37, v92
	s_and_saveexec_b64 s[18:19], vcc
	s_cbranch_execz .LBB100_792
; %bb.789:
	v_cmp_ne_u32_e32 vcc, 37, v93
	s_xor_b64 s[20:21], s[6:7], -1
	s_and_b64 s[22:23], s[20:21], vcc
	s_and_saveexec_b64 s[20:21], s[22:23]
	s_cbranch_execz .LBB100_791
; %bb.790:
	buffer_load_dword v81, off, s[24:27], 0 offset:400 ; 4-byte Folded Reload
	buffer_load_dword v82, off, s[24:27], 0 offset:404 ; 4-byte Folded Reload
	v_ashrrev_i32_e32 v94, 31, v93
	v_lshlrev_b64 v[94:95], 2, v[93:94]
	s_waitcnt vmcnt(1)
	v_add_co_u32_e32 v94, vcc, v81, v94
	s_waitcnt vmcnt(0)
	v_addc_co_u32_e32 v95, vcc, v82, v95, vcc
	global_load_dword v0, v[94:95], off
	global_load_dword v92, v[81:82], off offset:148
	s_waitcnt vmcnt(1)
	global_store_dword v[81:82], v0, off offset:148
	s_waitcnt vmcnt(1)
	global_store_dword v[94:95], v92, off
.LBB100_791:
	s_or_b64 exec, exec, s[20:21]
	v_mov_b32_e32 v92, v93
	v_mov_b32_e32 v0, v93
.LBB100_792:
	s_or_b64 exec, exec, s[18:19]
.LBB100_793:
	s_andn2_saveexec_b64 s[0:1], s[0:1]
	s_cbranch_execz .LBB100_795
; %bb.794:
	v_mov_b32_e32 v92, 37
	ds_write2_b64 v90, v[45:46], v[47:48] offset0:76 offset1:77
	ds_write2_b64 v90, v[41:42], v[43:44] offset0:78 offset1:79
	;; [unrolled: 1-line block ×13, first 2 shown]
.LBB100_795:
	s_or_b64 exec, exec, s[0:1]
	v_cmp_lt_i32_e32 vcc, 37, v92
	s_waitcnt vmcnt(0) lgkmcnt(0)
	s_barrier
	s_and_saveexec_b64 s[0:1], vcc
	s_cbranch_execz .LBB100_797
; %bb.796:
	v_mul_f64 v[93:94], v[117:118], v[51:52]
	v_mul_f64 v[51:52], v[119:120], v[51:52]
	ds_read2_b64 v[95:98], v90 offset0:76 offset1:77
	v_fma_f64 v[93:94], v[119:120], v[49:50], v[93:94]
	v_fma_f64 v[49:50], v[117:118], v[49:50], -v[51:52]
	s_waitcnt lgkmcnt(0)
	v_mul_f64 v[51:52], v[97:98], v[93:94]
	v_fma_f64 v[51:52], v[95:96], v[49:50], -v[51:52]
	v_mul_f64 v[95:96], v[95:96], v[93:94]
	v_add_f64 v[45:46], v[45:46], -v[51:52]
	v_fma_f64 v[95:96], v[97:98], v[49:50], v[95:96]
	v_add_f64 v[47:48], v[47:48], -v[95:96]
	ds_read2_b64 v[95:98], v90 offset0:78 offset1:79
	s_waitcnt lgkmcnt(0)
	v_mul_f64 v[51:52], v[97:98], v[93:94]
	v_fma_f64 v[51:52], v[95:96], v[49:50], -v[51:52]
	v_mul_f64 v[95:96], v[95:96], v[93:94]
	v_add_f64 v[41:42], v[41:42], -v[51:52]
	v_fma_f64 v[95:96], v[97:98], v[49:50], v[95:96]
	v_add_f64 v[43:44], v[43:44], -v[95:96]
	ds_read2_b64 v[95:98], v90 offset0:80 offset1:81
	;; [unrolled: 8-line block ×12, first 2 shown]
	s_waitcnt lgkmcnt(0)
	v_mul_f64 v[51:52], v[97:98], v[93:94]
	v_fma_f64 v[51:52], v[95:96], v[49:50], -v[51:52]
	v_mul_f64 v[95:96], v[95:96], v[93:94]
	v_add_f64 v[121:122], v[121:122], -v[51:52]
	v_fma_f64 v[95:96], v[97:98], v[49:50], v[95:96]
	v_mov_b32_e32 v51, v93
	v_mov_b32_e32 v52, v94
	v_add_f64 v[123:124], v[123:124], -v[95:96]
.LBB100_797:
	s_or_b64 exec, exec, s[0:1]
	v_lshl_add_u32 v93, v92, 4, v90
	s_barrier
	ds_write2_b64 v93, v[45:46], v[47:48] offset1:1
	s_waitcnt lgkmcnt(0)
	s_barrier
	ds_read2_b64 v[117:120], v90 offset0:76 offset1:77
	s_cmp_lt_i32 s3, 40
	v_mov_b32_e32 v93, 38
	s_cbranch_scc1 .LBB100_800
; %bb.798:
	v_add_u32_e32 v94, 0x270, v90
	s_mov_b32 s0, 39
	v_mov_b32_e32 v93, 38
.LBB100_799:                            ; =>This Inner Loop Header: Depth=1
	s_waitcnt lgkmcnt(0)
	v_cmp_gt_f64_e32 vcc, 0, v[117:118]
	v_xor_b32_e32 v99, 0x80000000, v118
	ds_read2_b64 v[95:98], v94 offset1:1
	v_xor_b32_e32 v101, 0x80000000, v120
	v_add_u32_e32 v94, 16, v94
	s_waitcnt lgkmcnt(0)
	v_xor_b32_e32 v103, 0x80000000, v98
	v_cndmask_b32_e32 v100, v118, v99, vcc
	v_cmp_gt_f64_e32 vcc, 0, v[119:120]
	v_mov_b32_e32 v99, v117
	v_cndmask_b32_e32 v102, v120, v101, vcc
	v_cmp_gt_f64_e32 vcc, 0, v[95:96]
	v_mov_b32_e32 v101, v119
	v_add_f64 v[99:100], v[99:100], v[101:102]
	v_xor_b32_e32 v101, 0x80000000, v96
	v_cndmask_b32_e32 v102, v96, v101, vcc
	v_cmp_gt_f64_e32 vcc, 0, v[97:98]
	v_mov_b32_e32 v101, v95
	v_cndmask_b32_e32 v104, v98, v103, vcc
	v_mov_b32_e32 v103, v97
	v_add_f64 v[101:102], v[101:102], v[103:104]
	v_cmp_lt_f64_e32 vcc, v[99:100], v[101:102]
	v_cndmask_b32_e32 v117, v117, v95, vcc
	v_mov_b32_e32 v95, s0
	s_add_i32 s0, s0, 1
	v_cndmask_b32_e32 v118, v118, v96, vcc
	v_cndmask_b32_e32 v120, v120, v98, vcc
	;; [unrolled: 1-line block ×4, first 2 shown]
	s_cmp_lg_u32 s3, s0
	s_cbranch_scc1 .LBB100_799
.LBB100_800:
	s_waitcnt lgkmcnt(0)
	v_cmp_eq_f64_e32 vcc, 0, v[117:118]
	v_cmp_eq_f64_e64 s[0:1], 0, v[119:120]
	s_and_b64 s[0:1], vcc, s[0:1]
	s_and_saveexec_b64 s[18:19], s[0:1]
	s_xor_b64 s[0:1], exec, s[18:19]
; %bb.801:
	v_cmp_ne_u32_e32 vcc, 0, v91
	v_cndmask_b32_e32 v91, 39, v91, vcc
; %bb.802:
	s_andn2_saveexec_b64 s[0:1], s[0:1]
	s_cbranch_execz .LBB100_808
; %bb.803:
	v_cmp_ngt_f64_e64 s[18:19], |v[117:118]|, |v[119:120]|
	s_and_saveexec_b64 s[20:21], s[18:19]
	s_xor_b64 s[18:19], exec, s[20:21]
	s_cbranch_execz .LBB100_805
; %bb.804:
	v_div_scale_f64 v[94:95], s[20:21], v[119:120], v[119:120], v[117:118]
	v_rcp_f64_e32 v[96:97], v[94:95]
	v_fma_f64 v[98:99], -v[94:95], v[96:97], 1.0
	v_fma_f64 v[96:97], v[96:97], v[98:99], v[96:97]
	v_div_scale_f64 v[98:99], vcc, v[117:118], v[119:120], v[117:118]
	v_fma_f64 v[100:101], -v[94:95], v[96:97], 1.0
	v_fma_f64 v[96:97], v[96:97], v[100:101], v[96:97]
	v_mul_f64 v[100:101], v[98:99], v[96:97]
	v_fma_f64 v[94:95], -v[94:95], v[100:101], v[98:99]
	v_div_fmas_f64 v[94:95], v[94:95], v[96:97], v[100:101]
	v_div_fixup_f64 v[94:95], v[94:95], v[119:120], v[117:118]
	v_fma_f64 v[96:97], v[117:118], v[94:95], v[119:120]
	v_div_scale_f64 v[98:99], s[20:21], v[96:97], v[96:97], 1.0
	v_div_scale_f64 v[104:105], vcc, 1.0, v[96:97], 1.0
	v_rcp_f64_e32 v[100:101], v[98:99]
	v_fma_f64 v[102:103], -v[98:99], v[100:101], 1.0
	v_fma_f64 v[100:101], v[100:101], v[102:103], v[100:101]
	v_fma_f64 v[102:103], -v[98:99], v[100:101], 1.0
	v_fma_f64 v[100:101], v[100:101], v[102:103], v[100:101]
	v_mul_f64 v[102:103], v[104:105], v[100:101]
	v_fma_f64 v[98:99], -v[98:99], v[102:103], v[104:105]
	v_div_fmas_f64 v[98:99], v[98:99], v[100:101], v[102:103]
	v_div_fixup_f64 v[119:120], v[98:99], v[96:97], 1.0
	v_mul_f64 v[117:118], v[94:95], v[119:120]
	v_xor_b32_e32 v120, 0x80000000, v120
.LBB100_805:
	s_andn2_saveexec_b64 s[18:19], s[18:19]
	s_cbranch_execz .LBB100_807
; %bb.806:
	v_div_scale_f64 v[94:95], s[20:21], v[117:118], v[117:118], v[119:120]
	v_rcp_f64_e32 v[96:97], v[94:95]
	v_fma_f64 v[98:99], -v[94:95], v[96:97], 1.0
	v_fma_f64 v[96:97], v[96:97], v[98:99], v[96:97]
	v_div_scale_f64 v[98:99], vcc, v[119:120], v[117:118], v[119:120]
	v_fma_f64 v[100:101], -v[94:95], v[96:97], 1.0
	v_fma_f64 v[96:97], v[96:97], v[100:101], v[96:97]
	v_mul_f64 v[100:101], v[98:99], v[96:97]
	v_fma_f64 v[94:95], -v[94:95], v[100:101], v[98:99]
	v_div_fmas_f64 v[94:95], v[94:95], v[96:97], v[100:101]
	v_div_fixup_f64 v[94:95], v[94:95], v[117:118], v[119:120]
	v_fma_f64 v[96:97], v[119:120], v[94:95], v[117:118]
	v_div_scale_f64 v[98:99], s[20:21], v[96:97], v[96:97], 1.0
	v_div_scale_f64 v[104:105], vcc, 1.0, v[96:97], 1.0
	v_rcp_f64_e32 v[100:101], v[98:99]
	v_fma_f64 v[102:103], -v[98:99], v[100:101], 1.0
	v_fma_f64 v[100:101], v[100:101], v[102:103], v[100:101]
	v_fma_f64 v[102:103], -v[98:99], v[100:101], 1.0
	v_fma_f64 v[100:101], v[100:101], v[102:103], v[100:101]
	v_mul_f64 v[102:103], v[104:105], v[100:101]
	v_fma_f64 v[98:99], -v[98:99], v[102:103], v[104:105]
	v_div_fmas_f64 v[98:99], v[98:99], v[100:101], v[102:103]
	v_div_fixup_f64 v[117:118], v[98:99], v[96:97], 1.0
	v_mul_f64 v[119:120], v[94:95], -v[117:118]
.LBB100_807:
	s_or_b64 exec, exec, s[18:19]
.LBB100_808:
	s_or_b64 exec, exec, s[0:1]
	v_cmp_ne_u32_e32 vcc, v92, v93
	s_and_saveexec_b64 s[0:1], vcc
	s_xor_b64 s[0:1], exec, s[0:1]
	s_cbranch_execz .LBB100_814
; %bb.809:
	v_cmp_eq_u32_e32 vcc, 38, v92
	s_and_saveexec_b64 s[18:19], vcc
	s_cbranch_execz .LBB100_813
; %bb.810:
	v_cmp_ne_u32_e32 vcc, 38, v93
	s_xor_b64 s[20:21], s[6:7], -1
	s_and_b64 s[22:23], s[20:21], vcc
	s_and_saveexec_b64 s[20:21], s[22:23]
	s_cbranch_execz .LBB100_812
; %bb.811:
	buffer_load_dword v81, off, s[24:27], 0 offset:400 ; 4-byte Folded Reload
	buffer_load_dword v82, off, s[24:27], 0 offset:404 ; 4-byte Folded Reload
	v_ashrrev_i32_e32 v94, 31, v93
	v_lshlrev_b64 v[94:95], 2, v[93:94]
	s_waitcnt vmcnt(1)
	v_add_co_u32_e32 v94, vcc, v81, v94
	s_waitcnt vmcnt(0)
	v_addc_co_u32_e32 v95, vcc, v82, v95, vcc
	global_load_dword v0, v[94:95], off
	global_load_dword v92, v[81:82], off offset:152
	s_waitcnt vmcnt(1)
	global_store_dword v[81:82], v0, off offset:152
	s_waitcnt vmcnt(1)
	global_store_dword v[94:95], v92, off
.LBB100_812:
	s_or_b64 exec, exec, s[20:21]
	v_mov_b32_e32 v92, v93
	v_mov_b32_e32 v0, v93
.LBB100_813:
	s_or_b64 exec, exec, s[18:19]
.LBB100_814:
	s_andn2_saveexec_b64 s[0:1], s[0:1]
	s_cbranch_execz .LBB100_816
; %bb.815:
	v_mov_b32_e32 v92, 38
	ds_write2_b64 v90, v[41:42], v[43:44] offset0:78 offset1:79
	ds_write2_b64 v90, v[37:38], v[39:40] offset0:80 offset1:81
	;; [unrolled: 1-line block ×12, first 2 shown]
.LBB100_816:
	s_or_b64 exec, exec, s[0:1]
	v_cmp_lt_i32_e32 vcc, 38, v92
	s_waitcnt vmcnt(0) lgkmcnt(0)
	s_barrier
	s_and_saveexec_b64 s[0:1], vcc
	s_cbranch_execz .LBB100_818
; %bb.817:
	v_mul_f64 v[93:94], v[117:118], v[47:48]
	v_mul_f64 v[47:48], v[119:120], v[47:48]
	ds_read2_b64 v[95:98], v90 offset0:78 offset1:79
	v_fma_f64 v[93:94], v[119:120], v[45:46], v[93:94]
	v_fma_f64 v[45:46], v[117:118], v[45:46], -v[47:48]
	s_waitcnt lgkmcnt(0)
	v_mul_f64 v[47:48], v[97:98], v[93:94]
	v_fma_f64 v[47:48], v[95:96], v[45:46], -v[47:48]
	v_mul_f64 v[95:96], v[95:96], v[93:94]
	v_add_f64 v[41:42], v[41:42], -v[47:48]
	v_fma_f64 v[95:96], v[97:98], v[45:46], v[95:96]
	v_add_f64 v[43:44], v[43:44], -v[95:96]
	ds_read2_b64 v[95:98], v90 offset0:80 offset1:81
	s_waitcnt lgkmcnt(0)
	v_mul_f64 v[47:48], v[97:98], v[93:94]
	v_fma_f64 v[47:48], v[95:96], v[45:46], -v[47:48]
	v_mul_f64 v[95:96], v[95:96], v[93:94]
	v_add_f64 v[37:38], v[37:38], -v[47:48]
	v_fma_f64 v[95:96], v[97:98], v[45:46], v[95:96]
	v_add_f64 v[39:40], v[39:40], -v[95:96]
	ds_read2_b64 v[95:98], v90 offset0:82 offset1:83
	;; [unrolled: 8-line block ×11, first 2 shown]
	s_waitcnt lgkmcnt(0)
	v_mul_f64 v[47:48], v[97:98], v[93:94]
	v_fma_f64 v[47:48], v[95:96], v[45:46], -v[47:48]
	v_mul_f64 v[95:96], v[95:96], v[93:94]
	v_add_f64 v[121:122], v[121:122], -v[47:48]
	v_fma_f64 v[95:96], v[97:98], v[45:46], v[95:96]
	v_mov_b32_e32 v47, v93
	v_mov_b32_e32 v48, v94
	v_add_f64 v[123:124], v[123:124], -v[95:96]
.LBB100_818:
	s_or_b64 exec, exec, s[0:1]
	v_lshl_add_u32 v93, v92, 4, v90
	s_barrier
	ds_write2_b64 v93, v[41:42], v[43:44] offset1:1
	s_waitcnt lgkmcnt(0)
	s_barrier
	ds_read2_b64 v[117:120], v90 offset0:78 offset1:79
	s_cmp_lt_i32 s3, 41
	v_mov_b32_e32 v93, 39
	s_cbranch_scc1 .LBB100_821
; %bb.819:
	v_add_u32_e32 v94, 0x280, v90
	s_mov_b32 s0, 40
	v_mov_b32_e32 v93, 39
.LBB100_820:                            ; =>This Inner Loop Header: Depth=1
	s_waitcnt lgkmcnt(0)
	v_cmp_gt_f64_e32 vcc, 0, v[117:118]
	v_xor_b32_e32 v99, 0x80000000, v118
	ds_read2_b64 v[95:98], v94 offset1:1
	v_xor_b32_e32 v101, 0x80000000, v120
	v_add_u32_e32 v94, 16, v94
	s_waitcnt lgkmcnt(0)
	v_xor_b32_e32 v103, 0x80000000, v98
	v_cndmask_b32_e32 v100, v118, v99, vcc
	v_cmp_gt_f64_e32 vcc, 0, v[119:120]
	v_mov_b32_e32 v99, v117
	v_cndmask_b32_e32 v102, v120, v101, vcc
	v_cmp_gt_f64_e32 vcc, 0, v[95:96]
	v_mov_b32_e32 v101, v119
	v_add_f64 v[99:100], v[99:100], v[101:102]
	v_xor_b32_e32 v101, 0x80000000, v96
	v_cndmask_b32_e32 v102, v96, v101, vcc
	v_cmp_gt_f64_e32 vcc, 0, v[97:98]
	v_mov_b32_e32 v101, v95
	v_cndmask_b32_e32 v104, v98, v103, vcc
	v_mov_b32_e32 v103, v97
	v_add_f64 v[101:102], v[101:102], v[103:104]
	v_cmp_lt_f64_e32 vcc, v[99:100], v[101:102]
	v_cndmask_b32_e32 v117, v117, v95, vcc
	v_mov_b32_e32 v95, s0
	s_add_i32 s0, s0, 1
	v_cndmask_b32_e32 v118, v118, v96, vcc
	v_cndmask_b32_e32 v120, v120, v98, vcc
	;; [unrolled: 1-line block ×4, first 2 shown]
	s_cmp_lg_u32 s3, s0
	s_cbranch_scc1 .LBB100_820
.LBB100_821:
	s_waitcnt lgkmcnt(0)
	v_cmp_eq_f64_e32 vcc, 0, v[117:118]
	v_cmp_eq_f64_e64 s[0:1], 0, v[119:120]
	s_and_b64 s[0:1], vcc, s[0:1]
	s_and_saveexec_b64 s[18:19], s[0:1]
	s_xor_b64 s[0:1], exec, s[18:19]
; %bb.822:
	v_cmp_ne_u32_e32 vcc, 0, v91
	v_cndmask_b32_e32 v91, 40, v91, vcc
; %bb.823:
	s_andn2_saveexec_b64 s[0:1], s[0:1]
	s_cbranch_execz .LBB100_829
; %bb.824:
	v_cmp_ngt_f64_e64 s[18:19], |v[117:118]|, |v[119:120]|
	s_and_saveexec_b64 s[20:21], s[18:19]
	s_xor_b64 s[18:19], exec, s[20:21]
	s_cbranch_execz .LBB100_826
; %bb.825:
	v_div_scale_f64 v[94:95], s[20:21], v[119:120], v[119:120], v[117:118]
	v_rcp_f64_e32 v[96:97], v[94:95]
	v_fma_f64 v[98:99], -v[94:95], v[96:97], 1.0
	v_fma_f64 v[96:97], v[96:97], v[98:99], v[96:97]
	v_div_scale_f64 v[98:99], vcc, v[117:118], v[119:120], v[117:118]
	v_fma_f64 v[100:101], -v[94:95], v[96:97], 1.0
	v_fma_f64 v[96:97], v[96:97], v[100:101], v[96:97]
	v_mul_f64 v[100:101], v[98:99], v[96:97]
	v_fma_f64 v[94:95], -v[94:95], v[100:101], v[98:99]
	v_div_fmas_f64 v[94:95], v[94:95], v[96:97], v[100:101]
	v_div_fixup_f64 v[94:95], v[94:95], v[119:120], v[117:118]
	v_fma_f64 v[96:97], v[117:118], v[94:95], v[119:120]
	v_div_scale_f64 v[98:99], s[20:21], v[96:97], v[96:97], 1.0
	v_div_scale_f64 v[104:105], vcc, 1.0, v[96:97], 1.0
	v_rcp_f64_e32 v[100:101], v[98:99]
	v_fma_f64 v[102:103], -v[98:99], v[100:101], 1.0
	v_fma_f64 v[100:101], v[100:101], v[102:103], v[100:101]
	v_fma_f64 v[102:103], -v[98:99], v[100:101], 1.0
	v_fma_f64 v[100:101], v[100:101], v[102:103], v[100:101]
	v_mul_f64 v[102:103], v[104:105], v[100:101]
	v_fma_f64 v[98:99], -v[98:99], v[102:103], v[104:105]
	v_div_fmas_f64 v[98:99], v[98:99], v[100:101], v[102:103]
	v_div_fixup_f64 v[119:120], v[98:99], v[96:97], 1.0
	v_mul_f64 v[117:118], v[94:95], v[119:120]
	v_xor_b32_e32 v120, 0x80000000, v120
.LBB100_826:
	s_andn2_saveexec_b64 s[18:19], s[18:19]
	s_cbranch_execz .LBB100_828
; %bb.827:
	v_div_scale_f64 v[94:95], s[20:21], v[117:118], v[117:118], v[119:120]
	v_rcp_f64_e32 v[96:97], v[94:95]
	v_fma_f64 v[98:99], -v[94:95], v[96:97], 1.0
	v_fma_f64 v[96:97], v[96:97], v[98:99], v[96:97]
	v_div_scale_f64 v[98:99], vcc, v[119:120], v[117:118], v[119:120]
	v_fma_f64 v[100:101], -v[94:95], v[96:97], 1.0
	v_fma_f64 v[96:97], v[96:97], v[100:101], v[96:97]
	v_mul_f64 v[100:101], v[98:99], v[96:97]
	v_fma_f64 v[94:95], -v[94:95], v[100:101], v[98:99]
	v_div_fmas_f64 v[94:95], v[94:95], v[96:97], v[100:101]
	v_div_fixup_f64 v[94:95], v[94:95], v[117:118], v[119:120]
	v_fma_f64 v[96:97], v[119:120], v[94:95], v[117:118]
	v_div_scale_f64 v[98:99], s[20:21], v[96:97], v[96:97], 1.0
	v_div_scale_f64 v[104:105], vcc, 1.0, v[96:97], 1.0
	v_rcp_f64_e32 v[100:101], v[98:99]
	v_fma_f64 v[102:103], -v[98:99], v[100:101], 1.0
	v_fma_f64 v[100:101], v[100:101], v[102:103], v[100:101]
	v_fma_f64 v[102:103], -v[98:99], v[100:101], 1.0
	v_fma_f64 v[100:101], v[100:101], v[102:103], v[100:101]
	v_mul_f64 v[102:103], v[104:105], v[100:101]
	v_fma_f64 v[98:99], -v[98:99], v[102:103], v[104:105]
	v_div_fmas_f64 v[98:99], v[98:99], v[100:101], v[102:103]
	v_div_fixup_f64 v[117:118], v[98:99], v[96:97], 1.0
	v_mul_f64 v[119:120], v[94:95], -v[117:118]
.LBB100_828:
	s_or_b64 exec, exec, s[18:19]
.LBB100_829:
	s_or_b64 exec, exec, s[0:1]
	v_cmp_ne_u32_e32 vcc, v92, v93
	s_and_saveexec_b64 s[0:1], vcc
	s_xor_b64 s[0:1], exec, s[0:1]
	s_cbranch_execz .LBB100_835
; %bb.830:
	v_cmp_eq_u32_e32 vcc, 39, v92
	s_and_saveexec_b64 s[18:19], vcc
	s_cbranch_execz .LBB100_834
; %bb.831:
	v_cmp_ne_u32_e32 vcc, 39, v93
	s_xor_b64 s[20:21], s[6:7], -1
	s_and_b64 s[22:23], s[20:21], vcc
	s_and_saveexec_b64 s[20:21], s[22:23]
	s_cbranch_execz .LBB100_833
; %bb.832:
	buffer_load_dword v81, off, s[24:27], 0 offset:400 ; 4-byte Folded Reload
	buffer_load_dword v82, off, s[24:27], 0 offset:404 ; 4-byte Folded Reload
	v_ashrrev_i32_e32 v94, 31, v93
	v_lshlrev_b64 v[94:95], 2, v[93:94]
	s_waitcnt vmcnt(1)
	v_add_co_u32_e32 v94, vcc, v81, v94
	s_waitcnt vmcnt(0)
	v_addc_co_u32_e32 v95, vcc, v82, v95, vcc
	global_load_dword v0, v[94:95], off
	global_load_dword v92, v[81:82], off offset:156
	s_waitcnt vmcnt(1)
	global_store_dword v[81:82], v0, off offset:156
	s_waitcnt vmcnt(1)
	global_store_dword v[94:95], v92, off
.LBB100_833:
	s_or_b64 exec, exec, s[20:21]
	v_mov_b32_e32 v92, v93
	v_mov_b32_e32 v0, v93
.LBB100_834:
	s_or_b64 exec, exec, s[18:19]
.LBB100_835:
	s_andn2_saveexec_b64 s[0:1], s[0:1]
	s_cbranch_execz .LBB100_837
; %bb.836:
	v_mov_b32_e32 v92, 39
	ds_write2_b64 v90, v[37:38], v[39:40] offset0:80 offset1:81
	ds_write2_b64 v90, v[33:34], v[35:36] offset0:82 offset1:83
	;; [unrolled: 1-line block ×11, first 2 shown]
.LBB100_837:
	s_or_b64 exec, exec, s[0:1]
	v_cmp_lt_i32_e32 vcc, 39, v92
	s_waitcnt vmcnt(0) lgkmcnt(0)
	s_barrier
	s_and_saveexec_b64 s[0:1], vcc
	s_cbranch_execz .LBB100_839
; %bb.838:
	v_mul_f64 v[93:94], v[117:118], v[43:44]
	v_mul_f64 v[43:44], v[119:120], v[43:44]
	ds_read2_b64 v[95:98], v90 offset0:80 offset1:81
	v_fma_f64 v[93:94], v[119:120], v[41:42], v[93:94]
	v_fma_f64 v[41:42], v[117:118], v[41:42], -v[43:44]
	s_waitcnt lgkmcnt(0)
	v_mul_f64 v[43:44], v[97:98], v[93:94]
	v_fma_f64 v[43:44], v[95:96], v[41:42], -v[43:44]
	v_mul_f64 v[95:96], v[95:96], v[93:94]
	v_add_f64 v[37:38], v[37:38], -v[43:44]
	v_fma_f64 v[95:96], v[97:98], v[41:42], v[95:96]
	v_add_f64 v[39:40], v[39:40], -v[95:96]
	ds_read2_b64 v[95:98], v90 offset0:82 offset1:83
	s_waitcnt lgkmcnt(0)
	v_mul_f64 v[43:44], v[97:98], v[93:94]
	v_fma_f64 v[43:44], v[95:96], v[41:42], -v[43:44]
	v_mul_f64 v[95:96], v[95:96], v[93:94]
	v_add_f64 v[33:34], v[33:34], -v[43:44]
	v_fma_f64 v[95:96], v[97:98], v[41:42], v[95:96]
	v_add_f64 v[35:36], v[35:36], -v[95:96]
	ds_read2_b64 v[95:98], v90 offset0:84 offset1:85
	;; [unrolled: 8-line block ×10, first 2 shown]
	s_waitcnt lgkmcnt(0)
	v_mul_f64 v[43:44], v[97:98], v[93:94]
	v_fma_f64 v[43:44], v[95:96], v[41:42], -v[43:44]
	v_mul_f64 v[95:96], v[95:96], v[93:94]
	v_add_f64 v[121:122], v[121:122], -v[43:44]
	v_fma_f64 v[95:96], v[97:98], v[41:42], v[95:96]
	v_mov_b32_e32 v43, v93
	v_mov_b32_e32 v44, v94
	v_add_f64 v[123:124], v[123:124], -v[95:96]
.LBB100_839:
	s_or_b64 exec, exec, s[0:1]
	v_lshl_add_u32 v93, v92, 4, v90
	s_barrier
	ds_write2_b64 v93, v[37:38], v[39:40] offset1:1
	s_waitcnt lgkmcnt(0)
	s_barrier
	ds_read2_b64 v[117:120], v90 offset0:80 offset1:81
	s_cmp_lt_i32 s3, 42
	v_mov_b32_e32 v93, 40
	s_cbranch_scc1 .LBB100_842
; %bb.840:
	v_add_u32_e32 v94, 0x290, v90
	s_mov_b32 s0, 41
	v_mov_b32_e32 v93, 40
.LBB100_841:                            ; =>This Inner Loop Header: Depth=1
	s_waitcnt lgkmcnt(0)
	v_cmp_gt_f64_e32 vcc, 0, v[117:118]
	v_xor_b32_e32 v99, 0x80000000, v118
	ds_read2_b64 v[95:98], v94 offset1:1
	v_xor_b32_e32 v101, 0x80000000, v120
	v_add_u32_e32 v94, 16, v94
	s_waitcnt lgkmcnt(0)
	v_xor_b32_e32 v103, 0x80000000, v98
	v_cndmask_b32_e32 v100, v118, v99, vcc
	v_cmp_gt_f64_e32 vcc, 0, v[119:120]
	v_mov_b32_e32 v99, v117
	v_cndmask_b32_e32 v102, v120, v101, vcc
	v_cmp_gt_f64_e32 vcc, 0, v[95:96]
	v_mov_b32_e32 v101, v119
	v_add_f64 v[99:100], v[99:100], v[101:102]
	v_xor_b32_e32 v101, 0x80000000, v96
	v_cndmask_b32_e32 v102, v96, v101, vcc
	v_cmp_gt_f64_e32 vcc, 0, v[97:98]
	v_mov_b32_e32 v101, v95
	v_cndmask_b32_e32 v104, v98, v103, vcc
	v_mov_b32_e32 v103, v97
	v_add_f64 v[101:102], v[101:102], v[103:104]
	v_cmp_lt_f64_e32 vcc, v[99:100], v[101:102]
	v_cndmask_b32_e32 v117, v117, v95, vcc
	v_mov_b32_e32 v95, s0
	s_add_i32 s0, s0, 1
	v_cndmask_b32_e32 v118, v118, v96, vcc
	v_cndmask_b32_e32 v120, v120, v98, vcc
	;; [unrolled: 1-line block ×4, first 2 shown]
	s_cmp_lg_u32 s3, s0
	s_cbranch_scc1 .LBB100_841
.LBB100_842:
	s_waitcnt lgkmcnt(0)
	v_cmp_eq_f64_e32 vcc, 0, v[117:118]
	v_cmp_eq_f64_e64 s[0:1], 0, v[119:120]
	s_and_b64 s[0:1], vcc, s[0:1]
	s_and_saveexec_b64 s[18:19], s[0:1]
	s_xor_b64 s[0:1], exec, s[18:19]
; %bb.843:
	v_cmp_ne_u32_e32 vcc, 0, v91
	v_cndmask_b32_e32 v91, 41, v91, vcc
; %bb.844:
	s_andn2_saveexec_b64 s[0:1], s[0:1]
	s_cbranch_execz .LBB100_850
; %bb.845:
	v_cmp_ngt_f64_e64 s[18:19], |v[117:118]|, |v[119:120]|
	s_and_saveexec_b64 s[20:21], s[18:19]
	s_xor_b64 s[18:19], exec, s[20:21]
	s_cbranch_execz .LBB100_847
; %bb.846:
	v_div_scale_f64 v[94:95], s[20:21], v[119:120], v[119:120], v[117:118]
	v_rcp_f64_e32 v[96:97], v[94:95]
	v_fma_f64 v[98:99], -v[94:95], v[96:97], 1.0
	v_fma_f64 v[96:97], v[96:97], v[98:99], v[96:97]
	v_div_scale_f64 v[98:99], vcc, v[117:118], v[119:120], v[117:118]
	v_fma_f64 v[100:101], -v[94:95], v[96:97], 1.0
	v_fma_f64 v[96:97], v[96:97], v[100:101], v[96:97]
	v_mul_f64 v[100:101], v[98:99], v[96:97]
	v_fma_f64 v[94:95], -v[94:95], v[100:101], v[98:99]
	v_div_fmas_f64 v[94:95], v[94:95], v[96:97], v[100:101]
	v_div_fixup_f64 v[94:95], v[94:95], v[119:120], v[117:118]
	v_fma_f64 v[96:97], v[117:118], v[94:95], v[119:120]
	v_div_scale_f64 v[98:99], s[20:21], v[96:97], v[96:97], 1.0
	v_div_scale_f64 v[104:105], vcc, 1.0, v[96:97], 1.0
	v_rcp_f64_e32 v[100:101], v[98:99]
	v_fma_f64 v[102:103], -v[98:99], v[100:101], 1.0
	v_fma_f64 v[100:101], v[100:101], v[102:103], v[100:101]
	v_fma_f64 v[102:103], -v[98:99], v[100:101], 1.0
	v_fma_f64 v[100:101], v[100:101], v[102:103], v[100:101]
	v_mul_f64 v[102:103], v[104:105], v[100:101]
	v_fma_f64 v[98:99], -v[98:99], v[102:103], v[104:105]
	v_div_fmas_f64 v[98:99], v[98:99], v[100:101], v[102:103]
	v_div_fixup_f64 v[119:120], v[98:99], v[96:97], 1.0
	v_mul_f64 v[117:118], v[94:95], v[119:120]
	v_xor_b32_e32 v120, 0x80000000, v120
.LBB100_847:
	s_andn2_saveexec_b64 s[18:19], s[18:19]
	s_cbranch_execz .LBB100_849
; %bb.848:
	v_div_scale_f64 v[94:95], s[20:21], v[117:118], v[117:118], v[119:120]
	v_rcp_f64_e32 v[96:97], v[94:95]
	v_fma_f64 v[98:99], -v[94:95], v[96:97], 1.0
	v_fma_f64 v[96:97], v[96:97], v[98:99], v[96:97]
	v_div_scale_f64 v[98:99], vcc, v[119:120], v[117:118], v[119:120]
	v_fma_f64 v[100:101], -v[94:95], v[96:97], 1.0
	v_fma_f64 v[96:97], v[96:97], v[100:101], v[96:97]
	v_mul_f64 v[100:101], v[98:99], v[96:97]
	v_fma_f64 v[94:95], -v[94:95], v[100:101], v[98:99]
	v_div_fmas_f64 v[94:95], v[94:95], v[96:97], v[100:101]
	v_div_fixup_f64 v[94:95], v[94:95], v[117:118], v[119:120]
	v_fma_f64 v[96:97], v[119:120], v[94:95], v[117:118]
	v_div_scale_f64 v[98:99], s[20:21], v[96:97], v[96:97], 1.0
	v_div_scale_f64 v[104:105], vcc, 1.0, v[96:97], 1.0
	v_rcp_f64_e32 v[100:101], v[98:99]
	v_fma_f64 v[102:103], -v[98:99], v[100:101], 1.0
	v_fma_f64 v[100:101], v[100:101], v[102:103], v[100:101]
	v_fma_f64 v[102:103], -v[98:99], v[100:101], 1.0
	v_fma_f64 v[100:101], v[100:101], v[102:103], v[100:101]
	v_mul_f64 v[102:103], v[104:105], v[100:101]
	v_fma_f64 v[98:99], -v[98:99], v[102:103], v[104:105]
	v_div_fmas_f64 v[98:99], v[98:99], v[100:101], v[102:103]
	v_div_fixup_f64 v[117:118], v[98:99], v[96:97], 1.0
	v_mul_f64 v[119:120], v[94:95], -v[117:118]
.LBB100_849:
	s_or_b64 exec, exec, s[18:19]
.LBB100_850:
	s_or_b64 exec, exec, s[0:1]
	v_cmp_ne_u32_e32 vcc, v92, v93
	s_and_saveexec_b64 s[0:1], vcc
	s_xor_b64 s[0:1], exec, s[0:1]
	s_cbranch_execz .LBB100_856
; %bb.851:
	v_cmp_eq_u32_e32 vcc, 40, v92
	s_and_saveexec_b64 s[18:19], vcc
	s_cbranch_execz .LBB100_855
; %bb.852:
	v_cmp_ne_u32_e32 vcc, 40, v93
	s_xor_b64 s[20:21], s[6:7], -1
	s_and_b64 s[22:23], s[20:21], vcc
	s_and_saveexec_b64 s[20:21], s[22:23]
	s_cbranch_execz .LBB100_854
; %bb.853:
	buffer_load_dword v81, off, s[24:27], 0 offset:400 ; 4-byte Folded Reload
	buffer_load_dword v82, off, s[24:27], 0 offset:404 ; 4-byte Folded Reload
	v_ashrrev_i32_e32 v94, 31, v93
	v_lshlrev_b64 v[94:95], 2, v[93:94]
	s_waitcnt vmcnt(1)
	v_add_co_u32_e32 v94, vcc, v81, v94
	s_waitcnt vmcnt(0)
	v_addc_co_u32_e32 v95, vcc, v82, v95, vcc
	global_load_dword v0, v[94:95], off
	global_load_dword v92, v[81:82], off offset:160
	s_waitcnt vmcnt(1)
	global_store_dword v[81:82], v0, off offset:160
	s_waitcnt vmcnt(1)
	global_store_dword v[94:95], v92, off
.LBB100_854:
	s_or_b64 exec, exec, s[20:21]
	v_mov_b32_e32 v92, v93
	v_mov_b32_e32 v0, v93
.LBB100_855:
	s_or_b64 exec, exec, s[18:19]
.LBB100_856:
	s_andn2_saveexec_b64 s[0:1], s[0:1]
	s_cbranch_execz .LBB100_858
; %bb.857:
	v_mov_b32_e32 v92, 40
	ds_write2_b64 v90, v[33:34], v[35:36] offset0:82 offset1:83
	ds_write2_b64 v90, v[29:30], v[31:32] offset0:84 offset1:85
	;; [unrolled: 1-line block ×10, first 2 shown]
.LBB100_858:
	s_or_b64 exec, exec, s[0:1]
	v_cmp_lt_i32_e32 vcc, 40, v92
	s_waitcnt vmcnt(0) lgkmcnt(0)
	s_barrier
	s_and_saveexec_b64 s[0:1], vcc
	s_cbranch_execz .LBB100_860
; %bb.859:
	v_mul_f64 v[93:94], v[117:118], v[39:40]
	v_mul_f64 v[39:40], v[119:120], v[39:40]
	ds_read2_b64 v[95:98], v90 offset0:82 offset1:83
	v_fma_f64 v[93:94], v[119:120], v[37:38], v[93:94]
	v_fma_f64 v[37:38], v[117:118], v[37:38], -v[39:40]
	s_waitcnt lgkmcnt(0)
	v_mul_f64 v[39:40], v[97:98], v[93:94]
	v_fma_f64 v[39:40], v[95:96], v[37:38], -v[39:40]
	v_mul_f64 v[95:96], v[95:96], v[93:94]
	v_add_f64 v[33:34], v[33:34], -v[39:40]
	v_fma_f64 v[95:96], v[97:98], v[37:38], v[95:96]
	v_add_f64 v[35:36], v[35:36], -v[95:96]
	ds_read2_b64 v[95:98], v90 offset0:84 offset1:85
	s_waitcnt lgkmcnt(0)
	v_mul_f64 v[39:40], v[97:98], v[93:94]
	v_fma_f64 v[39:40], v[95:96], v[37:38], -v[39:40]
	v_mul_f64 v[95:96], v[95:96], v[93:94]
	v_add_f64 v[29:30], v[29:30], -v[39:40]
	v_fma_f64 v[95:96], v[97:98], v[37:38], v[95:96]
	v_add_f64 v[31:32], v[31:32], -v[95:96]
	ds_read2_b64 v[95:98], v90 offset0:86 offset1:87
	;; [unrolled: 8-line block ×9, first 2 shown]
	s_waitcnt lgkmcnt(0)
	v_mul_f64 v[39:40], v[97:98], v[93:94]
	v_fma_f64 v[39:40], v[95:96], v[37:38], -v[39:40]
	v_mul_f64 v[95:96], v[95:96], v[93:94]
	v_add_f64 v[121:122], v[121:122], -v[39:40]
	v_fma_f64 v[95:96], v[97:98], v[37:38], v[95:96]
	v_mov_b32_e32 v39, v93
	v_mov_b32_e32 v40, v94
	v_add_f64 v[123:124], v[123:124], -v[95:96]
.LBB100_860:
	s_or_b64 exec, exec, s[0:1]
	v_lshl_add_u32 v93, v92, 4, v90
	s_barrier
	ds_write2_b64 v93, v[33:34], v[35:36] offset1:1
	s_waitcnt lgkmcnt(0)
	s_barrier
	ds_read2_b64 v[117:120], v90 offset0:82 offset1:83
	s_cmp_lt_i32 s3, 43
	v_mov_b32_e32 v93, 41
	s_cbranch_scc1 .LBB100_863
; %bb.861:
	v_add_u32_e32 v94, 0x2a0, v90
	s_mov_b32 s0, 42
	v_mov_b32_e32 v93, 41
.LBB100_862:                            ; =>This Inner Loop Header: Depth=1
	s_waitcnt lgkmcnt(0)
	v_cmp_gt_f64_e32 vcc, 0, v[117:118]
	v_xor_b32_e32 v99, 0x80000000, v118
	ds_read2_b64 v[95:98], v94 offset1:1
	v_xor_b32_e32 v101, 0x80000000, v120
	v_add_u32_e32 v94, 16, v94
	s_waitcnt lgkmcnt(0)
	v_xor_b32_e32 v103, 0x80000000, v98
	v_cndmask_b32_e32 v100, v118, v99, vcc
	v_cmp_gt_f64_e32 vcc, 0, v[119:120]
	v_mov_b32_e32 v99, v117
	v_cndmask_b32_e32 v102, v120, v101, vcc
	v_cmp_gt_f64_e32 vcc, 0, v[95:96]
	v_mov_b32_e32 v101, v119
	v_add_f64 v[99:100], v[99:100], v[101:102]
	v_xor_b32_e32 v101, 0x80000000, v96
	v_cndmask_b32_e32 v102, v96, v101, vcc
	v_cmp_gt_f64_e32 vcc, 0, v[97:98]
	v_mov_b32_e32 v101, v95
	v_cndmask_b32_e32 v104, v98, v103, vcc
	v_mov_b32_e32 v103, v97
	v_add_f64 v[101:102], v[101:102], v[103:104]
	v_cmp_lt_f64_e32 vcc, v[99:100], v[101:102]
	v_cndmask_b32_e32 v117, v117, v95, vcc
	v_mov_b32_e32 v95, s0
	s_add_i32 s0, s0, 1
	v_cndmask_b32_e32 v118, v118, v96, vcc
	v_cndmask_b32_e32 v120, v120, v98, vcc
	;; [unrolled: 1-line block ×4, first 2 shown]
	s_cmp_lg_u32 s3, s0
	s_cbranch_scc1 .LBB100_862
.LBB100_863:
	s_waitcnt lgkmcnt(0)
	v_cmp_eq_f64_e32 vcc, 0, v[117:118]
	v_cmp_eq_f64_e64 s[0:1], 0, v[119:120]
	s_and_b64 s[0:1], vcc, s[0:1]
	s_and_saveexec_b64 s[18:19], s[0:1]
	s_xor_b64 s[0:1], exec, s[18:19]
; %bb.864:
	v_cmp_ne_u32_e32 vcc, 0, v91
	v_cndmask_b32_e32 v91, 42, v91, vcc
; %bb.865:
	s_andn2_saveexec_b64 s[0:1], s[0:1]
	s_cbranch_execz .LBB100_871
; %bb.866:
	v_cmp_ngt_f64_e64 s[18:19], |v[117:118]|, |v[119:120]|
	s_and_saveexec_b64 s[20:21], s[18:19]
	s_xor_b64 s[18:19], exec, s[20:21]
	s_cbranch_execz .LBB100_868
; %bb.867:
	v_div_scale_f64 v[94:95], s[20:21], v[119:120], v[119:120], v[117:118]
	v_rcp_f64_e32 v[96:97], v[94:95]
	v_fma_f64 v[98:99], -v[94:95], v[96:97], 1.0
	v_fma_f64 v[96:97], v[96:97], v[98:99], v[96:97]
	v_div_scale_f64 v[98:99], vcc, v[117:118], v[119:120], v[117:118]
	v_fma_f64 v[100:101], -v[94:95], v[96:97], 1.0
	v_fma_f64 v[96:97], v[96:97], v[100:101], v[96:97]
	v_mul_f64 v[100:101], v[98:99], v[96:97]
	v_fma_f64 v[94:95], -v[94:95], v[100:101], v[98:99]
	v_div_fmas_f64 v[94:95], v[94:95], v[96:97], v[100:101]
	v_div_fixup_f64 v[94:95], v[94:95], v[119:120], v[117:118]
	v_fma_f64 v[96:97], v[117:118], v[94:95], v[119:120]
	v_div_scale_f64 v[98:99], s[20:21], v[96:97], v[96:97], 1.0
	v_div_scale_f64 v[104:105], vcc, 1.0, v[96:97], 1.0
	v_rcp_f64_e32 v[100:101], v[98:99]
	v_fma_f64 v[102:103], -v[98:99], v[100:101], 1.0
	v_fma_f64 v[100:101], v[100:101], v[102:103], v[100:101]
	v_fma_f64 v[102:103], -v[98:99], v[100:101], 1.0
	v_fma_f64 v[100:101], v[100:101], v[102:103], v[100:101]
	v_mul_f64 v[102:103], v[104:105], v[100:101]
	v_fma_f64 v[98:99], -v[98:99], v[102:103], v[104:105]
	v_div_fmas_f64 v[98:99], v[98:99], v[100:101], v[102:103]
	v_div_fixup_f64 v[119:120], v[98:99], v[96:97], 1.0
	v_mul_f64 v[117:118], v[94:95], v[119:120]
	v_xor_b32_e32 v120, 0x80000000, v120
.LBB100_868:
	s_andn2_saveexec_b64 s[18:19], s[18:19]
	s_cbranch_execz .LBB100_870
; %bb.869:
	v_div_scale_f64 v[94:95], s[20:21], v[117:118], v[117:118], v[119:120]
	v_rcp_f64_e32 v[96:97], v[94:95]
	v_fma_f64 v[98:99], -v[94:95], v[96:97], 1.0
	v_fma_f64 v[96:97], v[96:97], v[98:99], v[96:97]
	v_div_scale_f64 v[98:99], vcc, v[119:120], v[117:118], v[119:120]
	v_fma_f64 v[100:101], -v[94:95], v[96:97], 1.0
	v_fma_f64 v[96:97], v[96:97], v[100:101], v[96:97]
	v_mul_f64 v[100:101], v[98:99], v[96:97]
	v_fma_f64 v[94:95], -v[94:95], v[100:101], v[98:99]
	v_div_fmas_f64 v[94:95], v[94:95], v[96:97], v[100:101]
	v_div_fixup_f64 v[94:95], v[94:95], v[117:118], v[119:120]
	v_fma_f64 v[96:97], v[119:120], v[94:95], v[117:118]
	v_div_scale_f64 v[98:99], s[20:21], v[96:97], v[96:97], 1.0
	v_div_scale_f64 v[104:105], vcc, 1.0, v[96:97], 1.0
	v_rcp_f64_e32 v[100:101], v[98:99]
	v_fma_f64 v[102:103], -v[98:99], v[100:101], 1.0
	v_fma_f64 v[100:101], v[100:101], v[102:103], v[100:101]
	v_fma_f64 v[102:103], -v[98:99], v[100:101], 1.0
	v_fma_f64 v[100:101], v[100:101], v[102:103], v[100:101]
	v_mul_f64 v[102:103], v[104:105], v[100:101]
	v_fma_f64 v[98:99], -v[98:99], v[102:103], v[104:105]
	v_div_fmas_f64 v[98:99], v[98:99], v[100:101], v[102:103]
	v_div_fixup_f64 v[117:118], v[98:99], v[96:97], 1.0
	v_mul_f64 v[119:120], v[94:95], -v[117:118]
.LBB100_870:
	s_or_b64 exec, exec, s[18:19]
.LBB100_871:
	s_or_b64 exec, exec, s[0:1]
	v_cmp_ne_u32_e32 vcc, v92, v93
	s_and_saveexec_b64 s[0:1], vcc
	s_xor_b64 s[0:1], exec, s[0:1]
	s_cbranch_execz .LBB100_877
; %bb.872:
	v_cmp_eq_u32_e32 vcc, 41, v92
	s_and_saveexec_b64 s[18:19], vcc
	s_cbranch_execz .LBB100_876
; %bb.873:
	v_cmp_ne_u32_e32 vcc, 41, v93
	s_xor_b64 s[20:21], s[6:7], -1
	s_and_b64 s[22:23], s[20:21], vcc
	s_and_saveexec_b64 s[20:21], s[22:23]
	s_cbranch_execz .LBB100_875
; %bb.874:
	buffer_load_dword v81, off, s[24:27], 0 offset:400 ; 4-byte Folded Reload
	buffer_load_dword v82, off, s[24:27], 0 offset:404 ; 4-byte Folded Reload
	v_ashrrev_i32_e32 v94, 31, v93
	v_lshlrev_b64 v[94:95], 2, v[93:94]
	s_waitcnt vmcnt(1)
	v_add_co_u32_e32 v94, vcc, v81, v94
	s_waitcnt vmcnt(0)
	v_addc_co_u32_e32 v95, vcc, v82, v95, vcc
	global_load_dword v0, v[94:95], off
	global_load_dword v92, v[81:82], off offset:164
	s_waitcnt vmcnt(1)
	global_store_dword v[81:82], v0, off offset:164
	s_waitcnt vmcnt(1)
	global_store_dword v[94:95], v92, off
.LBB100_875:
	s_or_b64 exec, exec, s[20:21]
	v_mov_b32_e32 v92, v93
	v_mov_b32_e32 v0, v93
.LBB100_876:
	s_or_b64 exec, exec, s[18:19]
.LBB100_877:
	s_andn2_saveexec_b64 s[0:1], s[0:1]
	s_cbranch_execz .LBB100_879
; %bb.878:
	v_mov_b32_e32 v92, 41
	ds_write2_b64 v90, v[29:30], v[31:32] offset0:84 offset1:85
	ds_write2_b64 v90, v[25:26], v[27:28] offset0:86 offset1:87
	;; [unrolled: 1-line block ×9, first 2 shown]
.LBB100_879:
	s_or_b64 exec, exec, s[0:1]
	v_cmp_lt_i32_e32 vcc, 41, v92
	s_waitcnt vmcnt(0) lgkmcnt(0)
	s_barrier
	s_and_saveexec_b64 s[0:1], vcc
	s_cbranch_execz .LBB100_881
; %bb.880:
	v_mul_f64 v[93:94], v[117:118], v[35:36]
	v_mul_f64 v[35:36], v[119:120], v[35:36]
	ds_read2_b64 v[95:98], v90 offset0:84 offset1:85
	v_fma_f64 v[93:94], v[119:120], v[33:34], v[93:94]
	v_fma_f64 v[33:34], v[117:118], v[33:34], -v[35:36]
	s_waitcnt lgkmcnt(0)
	v_mul_f64 v[35:36], v[97:98], v[93:94]
	v_fma_f64 v[35:36], v[95:96], v[33:34], -v[35:36]
	v_mul_f64 v[95:96], v[95:96], v[93:94]
	v_add_f64 v[29:30], v[29:30], -v[35:36]
	v_fma_f64 v[95:96], v[97:98], v[33:34], v[95:96]
	v_add_f64 v[31:32], v[31:32], -v[95:96]
	ds_read2_b64 v[95:98], v90 offset0:86 offset1:87
	s_waitcnt lgkmcnt(0)
	v_mul_f64 v[35:36], v[97:98], v[93:94]
	v_fma_f64 v[35:36], v[95:96], v[33:34], -v[35:36]
	v_mul_f64 v[95:96], v[95:96], v[93:94]
	v_add_f64 v[25:26], v[25:26], -v[35:36]
	v_fma_f64 v[95:96], v[97:98], v[33:34], v[95:96]
	v_add_f64 v[27:28], v[27:28], -v[95:96]
	ds_read2_b64 v[95:98], v90 offset0:88 offset1:89
	;; [unrolled: 8-line block ×8, first 2 shown]
	s_waitcnt lgkmcnt(0)
	v_mul_f64 v[35:36], v[97:98], v[93:94]
	v_fma_f64 v[35:36], v[95:96], v[33:34], -v[35:36]
	v_mul_f64 v[95:96], v[95:96], v[93:94]
	v_add_f64 v[121:122], v[121:122], -v[35:36]
	v_fma_f64 v[95:96], v[97:98], v[33:34], v[95:96]
	v_mov_b32_e32 v35, v93
	v_mov_b32_e32 v36, v94
	v_add_f64 v[123:124], v[123:124], -v[95:96]
.LBB100_881:
	s_or_b64 exec, exec, s[0:1]
	v_lshl_add_u32 v93, v92, 4, v90
	s_barrier
	ds_write2_b64 v93, v[29:30], v[31:32] offset1:1
	s_waitcnt lgkmcnt(0)
	s_barrier
	ds_read2_b64 v[117:120], v90 offset0:84 offset1:85
	s_cmp_lt_i32 s3, 44
	v_mov_b32_e32 v93, 42
	s_cbranch_scc1 .LBB100_884
; %bb.882:
	v_add_u32_e32 v94, 0x2b0, v90
	s_mov_b32 s0, 43
	v_mov_b32_e32 v93, 42
.LBB100_883:                            ; =>This Inner Loop Header: Depth=1
	s_waitcnt lgkmcnt(0)
	v_cmp_gt_f64_e32 vcc, 0, v[117:118]
	v_xor_b32_e32 v99, 0x80000000, v118
	ds_read2_b64 v[95:98], v94 offset1:1
	v_xor_b32_e32 v101, 0x80000000, v120
	v_add_u32_e32 v94, 16, v94
	s_waitcnt lgkmcnt(0)
	v_xor_b32_e32 v103, 0x80000000, v98
	v_cndmask_b32_e32 v100, v118, v99, vcc
	v_cmp_gt_f64_e32 vcc, 0, v[119:120]
	v_mov_b32_e32 v99, v117
	v_cndmask_b32_e32 v102, v120, v101, vcc
	v_cmp_gt_f64_e32 vcc, 0, v[95:96]
	v_mov_b32_e32 v101, v119
	v_add_f64 v[99:100], v[99:100], v[101:102]
	v_xor_b32_e32 v101, 0x80000000, v96
	v_cndmask_b32_e32 v102, v96, v101, vcc
	v_cmp_gt_f64_e32 vcc, 0, v[97:98]
	v_mov_b32_e32 v101, v95
	v_cndmask_b32_e32 v104, v98, v103, vcc
	v_mov_b32_e32 v103, v97
	v_add_f64 v[101:102], v[101:102], v[103:104]
	v_cmp_lt_f64_e32 vcc, v[99:100], v[101:102]
	v_cndmask_b32_e32 v117, v117, v95, vcc
	v_mov_b32_e32 v95, s0
	s_add_i32 s0, s0, 1
	v_cndmask_b32_e32 v118, v118, v96, vcc
	v_cndmask_b32_e32 v120, v120, v98, vcc
	;; [unrolled: 1-line block ×4, first 2 shown]
	s_cmp_lg_u32 s3, s0
	s_cbranch_scc1 .LBB100_883
.LBB100_884:
	s_waitcnt lgkmcnt(0)
	v_cmp_eq_f64_e32 vcc, 0, v[117:118]
	v_cmp_eq_f64_e64 s[0:1], 0, v[119:120]
	s_and_b64 s[0:1], vcc, s[0:1]
	s_and_saveexec_b64 s[18:19], s[0:1]
	s_xor_b64 s[0:1], exec, s[18:19]
; %bb.885:
	v_cmp_ne_u32_e32 vcc, 0, v91
	v_cndmask_b32_e32 v91, 43, v91, vcc
; %bb.886:
	s_andn2_saveexec_b64 s[0:1], s[0:1]
	s_cbranch_execz .LBB100_892
; %bb.887:
	v_cmp_ngt_f64_e64 s[18:19], |v[117:118]|, |v[119:120]|
	s_and_saveexec_b64 s[20:21], s[18:19]
	s_xor_b64 s[18:19], exec, s[20:21]
	s_cbranch_execz .LBB100_889
; %bb.888:
	v_div_scale_f64 v[94:95], s[20:21], v[119:120], v[119:120], v[117:118]
	v_rcp_f64_e32 v[96:97], v[94:95]
	v_fma_f64 v[98:99], -v[94:95], v[96:97], 1.0
	v_fma_f64 v[96:97], v[96:97], v[98:99], v[96:97]
	v_div_scale_f64 v[98:99], vcc, v[117:118], v[119:120], v[117:118]
	v_fma_f64 v[100:101], -v[94:95], v[96:97], 1.0
	v_fma_f64 v[96:97], v[96:97], v[100:101], v[96:97]
	v_mul_f64 v[100:101], v[98:99], v[96:97]
	v_fma_f64 v[94:95], -v[94:95], v[100:101], v[98:99]
	v_div_fmas_f64 v[94:95], v[94:95], v[96:97], v[100:101]
	v_div_fixup_f64 v[94:95], v[94:95], v[119:120], v[117:118]
	v_fma_f64 v[96:97], v[117:118], v[94:95], v[119:120]
	v_div_scale_f64 v[98:99], s[20:21], v[96:97], v[96:97], 1.0
	v_div_scale_f64 v[104:105], vcc, 1.0, v[96:97], 1.0
	v_rcp_f64_e32 v[100:101], v[98:99]
	v_fma_f64 v[102:103], -v[98:99], v[100:101], 1.0
	v_fma_f64 v[100:101], v[100:101], v[102:103], v[100:101]
	v_fma_f64 v[102:103], -v[98:99], v[100:101], 1.0
	v_fma_f64 v[100:101], v[100:101], v[102:103], v[100:101]
	v_mul_f64 v[102:103], v[104:105], v[100:101]
	v_fma_f64 v[98:99], -v[98:99], v[102:103], v[104:105]
	v_div_fmas_f64 v[98:99], v[98:99], v[100:101], v[102:103]
	v_div_fixup_f64 v[119:120], v[98:99], v[96:97], 1.0
	v_mul_f64 v[117:118], v[94:95], v[119:120]
	v_xor_b32_e32 v120, 0x80000000, v120
.LBB100_889:
	s_andn2_saveexec_b64 s[18:19], s[18:19]
	s_cbranch_execz .LBB100_891
; %bb.890:
	v_div_scale_f64 v[94:95], s[20:21], v[117:118], v[117:118], v[119:120]
	v_rcp_f64_e32 v[96:97], v[94:95]
	v_fma_f64 v[98:99], -v[94:95], v[96:97], 1.0
	v_fma_f64 v[96:97], v[96:97], v[98:99], v[96:97]
	v_div_scale_f64 v[98:99], vcc, v[119:120], v[117:118], v[119:120]
	v_fma_f64 v[100:101], -v[94:95], v[96:97], 1.0
	v_fma_f64 v[96:97], v[96:97], v[100:101], v[96:97]
	v_mul_f64 v[100:101], v[98:99], v[96:97]
	v_fma_f64 v[94:95], -v[94:95], v[100:101], v[98:99]
	v_div_fmas_f64 v[94:95], v[94:95], v[96:97], v[100:101]
	v_div_fixup_f64 v[94:95], v[94:95], v[117:118], v[119:120]
	v_fma_f64 v[96:97], v[119:120], v[94:95], v[117:118]
	v_div_scale_f64 v[98:99], s[20:21], v[96:97], v[96:97], 1.0
	v_div_scale_f64 v[104:105], vcc, 1.0, v[96:97], 1.0
	v_rcp_f64_e32 v[100:101], v[98:99]
	v_fma_f64 v[102:103], -v[98:99], v[100:101], 1.0
	v_fma_f64 v[100:101], v[100:101], v[102:103], v[100:101]
	v_fma_f64 v[102:103], -v[98:99], v[100:101], 1.0
	v_fma_f64 v[100:101], v[100:101], v[102:103], v[100:101]
	v_mul_f64 v[102:103], v[104:105], v[100:101]
	v_fma_f64 v[98:99], -v[98:99], v[102:103], v[104:105]
	v_div_fmas_f64 v[98:99], v[98:99], v[100:101], v[102:103]
	v_div_fixup_f64 v[117:118], v[98:99], v[96:97], 1.0
	v_mul_f64 v[119:120], v[94:95], -v[117:118]
.LBB100_891:
	s_or_b64 exec, exec, s[18:19]
.LBB100_892:
	s_or_b64 exec, exec, s[0:1]
	v_cmp_ne_u32_e32 vcc, v92, v93
	s_and_saveexec_b64 s[0:1], vcc
	s_xor_b64 s[0:1], exec, s[0:1]
	s_cbranch_execz .LBB100_898
; %bb.893:
	v_cmp_eq_u32_e32 vcc, 42, v92
	s_and_saveexec_b64 s[18:19], vcc
	s_cbranch_execz .LBB100_897
; %bb.894:
	v_cmp_ne_u32_e32 vcc, 42, v93
	s_xor_b64 s[20:21], s[6:7], -1
	s_and_b64 s[22:23], s[20:21], vcc
	s_and_saveexec_b64 s[20:21], s[22:23]
	s_cbranch_execz .LBB100_896
; %bb.895:
	buffer_load_dword v81, off, s[24:27], 0 offset:400 ; 4-byte Folded Reload
	buffer_load_dword v82, off, s[24:27], 0 offset:404 ; 4-byte Folded Reload
	v_ashrrev_i32_e32 v94, 31, v93
	v_lshlrev_b64 v[94:95], 2, v[93:94]
	s_waitcnt vmcnt(1)
	v_add_co_u32_e32 v94, vcc, v81, v94
	s_waitcnt vmcnt(0)
	v_addc_co_u32_e32 v95, vcc, v82, v95, vcc
	global_load_dword v0, v[94:95], off
	global_load_dword v92, v[81:82], off offset:168
	s_waitcnt vmcnt(1)
	global_store_dword v[81:82], v0, off offset:168
	s_waitcnt vmcnt(1)
	global_store_dword v[94:95], v92, off
.LBB100_896:
	s_or_b64 exec, exec, s[20:21]
	v_mov_b32_e32 v92, v93
	v_mov_b32_e32 v0, v93
.LBB100_897:
	s_or_b64 exec, exec, s[18:19]
.LBB100_898:
	s_andn2_saveexec_b64 s[0:1], s[0:1]
	s_cbranch_execz .LBB100_900
; %bb.899:
	v_mov_b32_e32 v92, 42
	ds_write2_b64 v90, v[25:26], v[27:28] offset0:86 offset1:87
	ds_write2_b64 v90, v[21:22], v[23:24] offset0:88 offset1:89
	;; [unrolled: 1-line block ×8, first 2 shown]
.LBB100_900:
	s_or_b64 exec, exec, s[0:1]
	v_cmp_lt_i32_e32 vcc, 42, v92
	s_waitcnt vmcnt(0) lgkmcnt(0)
	s_barrier
	s_and_saveexec_b64 s[0:1], vcc
	s_cbranch_execz .LBB100_902
; %bb.901:
	v_mul_f64 v[93:94], v[117:118], v[31:32]
	v_mul_f64 v[31:32], v[119:120], v[31:32]
	ds_read2_b64 v[95:98], v90 offset0:86 offset1:87
	v_fma_f64 v[93:94], v[119:120], v[29:30], v[93:94]
	v_fma_f64 v[29:30], v[117:118], v[29:30], -v[31:32]
	s_waitcnt lgkmcnt(0)
	v_mul_f64 v[31:32], v[97:98], v[93:94]
	v_fma_f64 v[31:32], v[95:96], v[29:30], -v[31:32]
	v_mul_f64 v[95:96], v[95:96], v[93:94]
	v_add_f64 v[25:26], v[25:26], -v[31:32]
	v_fma_f64 v[95:96], v[97:98], v[29:30], v[95:96]
	v_add_f64 v[27:28], v[27:28], -v[95:96]
	ds_read2_b64 v[95:98], v90 offset0:88 offset1:89
	s_waitcnt lgkmcnt(0)
	v_mul_f64 v[31:32], v[97:98], v[93:94]
	v_fma_f64 v[31:32], v[95:96], v[29:30], -v[31:32]
	v_mul_f64 v[95:96], v[95:96], v[93:94]
	v_add_f64 v[21:22], v[21:22], -v[31:32]
	v_fma_f64 v[95:96], v[97:98], v[29:30], v[95:96]
	v_add_f64 v[23:24], v[23:24], -v[95:96]
	ds_read2_b64 v[95:98], v90 offset0:90 offset1:91
	;; [unrolled: 8-line block ×7, first 2 shown]
	s_waitcnt lgkmcnt(0)
	v_mul_f64 v[31:32], v[97:98], v[93:94]
	v_fma_f64 v[31:32], v[95:96], v[29:30], -v[31:32]
	v_mul_f64 v[95:96], v[95:96], v[93:94]
	v_add_f64 v[121:122], v[121:122], -v[31:32]
	v_fma_f64 v[95:96], v[97:98], v[29:30], v[95:96]
	v_mov_b32_e32 v31, v93
	v_mov_b32_e32 v32, v94
	v_add_f64 v[123:124], v[123:124], -v[95:96]
.LBB100_902:
	s_or_b64 exec, exec, s[0:1]
	v_lshl_add_u32 v93, v92, 4, v90
	s_barrier
	ds_write2_b64 v93, v[25:26], v[27:28] offset1:1
	s_waitcnt lgkmcnt(0)
	s_barrier
	ds_read2_b64 v[117:120], v90 offset0:86 offset1:87
	s_cmp_lt_i32 s3, 45
	v_mov_b32_e32 v93, 43
	s_cbranch_scc1 .LBB100_905
; %bb.903:
	v_add_u32_e32 v94, 0x2c0, v90
	s_mov_b32 s0, 44
	v_mov_b32_e32 v93, 43
.LBB100_904:                            ; =>This Inner Loop Header: Depth=1
	s_waitcnt lgkmcnt(0)
	v_cmp_gt_f64_e32 vcc, 0, v[117:118]
	v_xor_b32_e32 v99, 0x80000000, v118
	ds_read2_b64 v[95:98], v94 offset1:1
	v_xor_b32_e32 v101, 0x80000000, v120
	v_add_u32_e32 v94, 16, v94
	s_waitcnt lgkmcnt(0)
	v_xor_b32_e32 v103, 0x80000000, v98
	v_cndmask_b32_e32 v100, v118, v99, vcc
	v_cmp_gt_f64_e32 vcc, 0, v[119:120]
	v_mov_b32_e32 v99, v117
	v_cndmask_b32_e32 v102, v120, v101, vcc
	v_cmp_gt_f64_e32 vcc, 0, v[95:96]
	v_mov_b32_e32 v101, v119
	v_add_f64 v[99:100], v[99:100], v[101:102]
	v_xor_b32_e32 v101, 0x80000000, v96
	v_cndmask_b32_e32 v102, v96, v101, vcc
	v_cmp_gt_f64_e32 vcc, 0, v[97:98]
	v_mov_b32_e32 v101, v95
	v_cndmask_b32_e32 v104, v98, v103, vcc
	v_mov_b32_e32 v103, v97
	v_add_f64 v[101:102], v[101:102], v[103:104]
	v_cmp_lt_f64_e32 vcc, v[99:100], v[101:102]
	v_cndmask_b32_e32 v117, v117, v95, vcc
	v_mov_b32_e32 v95, s0
	s_add_i32 s0, s0, 1
	v_cndmask_b32_e32 v118, v118, v96, vcc
	v_cndmask_b32_e32 v120, v120, v98, vcc
	v_cndmask_b32_e32 v119, v119, v97, vcc
	v_cndmask_b32_e32 v93, v93, v95, vcc
	s_cmp_lg_u32 s3, s0
	s_cbranch_scc1 .LBB100_904
.LBB100_905:
	s_waitcnt lgkmcnt(0)
	v_cmp_eq_f64_e32 vcc, 0, v[117:118]
	v_cmp_eq_f64_e64 s[0:1], 0, v[119:120]
	s_and_b64 s[0:1], vcc, s[0:1]
	s_and_saveexec_b64 s[18:19], s[0:1]
	s_xor_b64 s[0:1], exec, s[18:19]
; %bb.906:
	v_cmp_ne_u32_e32 vcc, 0, v91
	v_cndmask_b32_e32 v91, 44, v91, vcc
; %bb.907:
	s_andn2_saveexec_b64 s[0:1], s[0:1]
	s_cbranch_execz .LBB100_913
; %bb.908:
	v_cmp_ngt_f64_e64 s[18:19], |v[117:118]|, |v[119:120]|
	s_and_saveexec_b64 s[20:21], s[18:19]
	s_xor_b64 s[18:19], exec, s[20:21]
	s_cbranch_execz .LBB100_910
; %bb.909:
	v_div_scale_f64 v[94:95], s[20:21], v[119:120], v[119:120], v[117:118]
	v_rcp_f64_e32 v[96:97], v[94:95]
	v_fma_f64 v[98:99], -v[94:95], v[96:97], 1.0
	v_fma_f64 v[96:97], v[96:97], v[98:99], v[96:97]
	v_div_scale_f64 v[98:99], vcc, v[117:118], v[119:120], v[117:118]
	v_fma_f64 v[100:101], -v[94:95], v[96:97], 1.0
	v_fma_f64 v[96:97], v[96:97], v[100:101], v[96:97]
	v_mul_f64 v[100:101], v[98:99], v[96:97]
	v_fma_f64 v[94:95], -v[94:95], v[100:101], v[98:99]
	v_div_fmas_f64 v[94:95], v[94:95], v[96:97], v[100:101]
	v_div_fixup_f64 v[94:95], v[94:95], v[119:120], v[117:118]
	v_fma_f64 v[96:97], v[117:118], v[94:95], v[119:120]
	v_div_scale_f64 v[98:99], s[20:21], v[96:97], v[96:97], 1.0
	v_div_scale_f64 v[104:105], vcc, 1.0, v[96:97], 1.0
	v_rcp_f64_e32 v[100:101], v[98:99]
	v_fma_f64 v[102:103], -v[98:99], v[100:101], 1.0
	v_fma_f64 v[100:101], v[100:101], v[102:103], v[100:101]
	v_fma_f64 v[102:103], -v[98:99], v[100:101], 1.0
	v_fma_f64 v[100:101], v[100:101], v[102:103], v[100:101]
	v_mul_f64 v[102:103], v[104:105], v[100:101]
	v_fma_f64 v[98:99], -v[98:99], v[102:103], v[104:105]
	v_div_fmas_f64 v[98:99], v[98:99], v[100:101], v[102:103]
	v_div_fixup_f64 v[119:120], v[98:99], v[96:97], 1.0
	v_mul_f64 v[117:118], v[94:95], v[119:120]
	v_xor_b32_e32 v120, 0x80000000, v120
.LBB100_910:
	s_andn2_saveexec_b64 s[18:19], s[18:19]
	s_cbranch_execz .LBB100_912
; %bb.911:
	v_div_scale_f64 v[94:95], s[20:21], v[117:118], v[117:118], v[119:120]
	v_rcp_f64_e32 v[96:97], v[94:95]
	v_fma_f64 v[98:99], -v[94:95], v[96:97], 1.0
	v_fma_f64 v[96:97], v[96:97], v[98:99], v[96:97]
	v_div_scale_f64 v[98:99], vcc, v[119:120], v[117:118], v[119:120]
	v_fma_f64 v[100:101], -v[94:95], v[96:97], 1.0
	v_fma_f64 v[96:97], v[96:97], v[100:101], v[96:97]
	v_mul_f64 v[100:101], v[98:99], v[96:97]
	v_fma_f64 v[94:95], -v[94:95], v[100:101], v[98:99]
	v_div_fmas_f64 v[94:95], v[94:95], v[96:97], v[100:101]
	v_div_fixup_f64 v[94:95], v[94:95], v[117:118], v[119:120]
	v_fma_f64 v[96:97], v[119:120], v[94:95], v[117:118]
	v_div_scale_f64 v[98:99], s[20:21], v[96:97], v[96:97], 1.0
	v_div_scale_f64 v[104:105], vcc, 1.0, v[96:97], 1.0
	v_rcp_f64_e32 v[100:101], v[98:99]
	v_fma_f64 v[102:103], -v[98:99], v[100:101], 1.0
	v_fma_f64 v[100:101], v[100:101], v[102:103], v[100:101]
	v_fma_f64 v[102:103], -v[98:99], v[100:101], 1.0
	v_fma_f64 v[100:101], v[100:101], v[102:103], v[100:101]
	v_mul_f64 v[102:103], v[104:105], v[100:101]
	v_fma_f64 v[98:99], -v[98:99], v[102:103], v[104:105]
	v_div_fmas_f64 v[98:99], v[98:99], v[100:101], v[102:103]
	v_div_fixup_f64 v[117:118], v[98:99], v[96:97], 1.0
	v_mul_f64 v[119:120], v[94:95], -v[117:118]
.LBB100_912:
	s_or_b64 exec, exec, s[18:19]
.LBB100_913:
	s_or_b64 exec, exec, s[0:1]
	v_cmp_ne_u32_e32 vcc, v92, v93
	s_and_saveexec_b64 s[0:1], vcc
	s_xor_b64 s[0:1], exec, s[0:1]
	s_cbranch_execz .LBB100_919
; %bb.914:
	v_cmp_eq_u32_e32 vcc, 43, v92
	s_and_saveexec_b64 s[18:19], vcc
	s_cbranch_execz .LBB100_918
; %bb.915:
	v_cmp_ne_u32_e32 vcc, 43, v93
	s_xor_b64 s[20:21], s[6:7], -1
	s_and_b64 s[22:23], s[20:21], vcc
	s_and_saveexec_b64 s[20:21], s[22:23]
	s_cbranch_execz .LBB100_917
; %bb.916:
	buffer_load_dword v81, off, s[24:27], 0 offset:400 ; 4-byte Folded Reload
	buffer_load_dword v82, off, s[24:27], 0 offset:404 ; 4-byte Folded Reload
	v_ashrrev_i32_e32 v94, 31, v93
	v_lshlrev_b64 v[94:95], 2, v[93:94]
	s_waitcnt vmcnt(1)
	v_add_co_u32_e32 v94, vcc, v81, v94
	s_waitcnt vmcnt(0)
	v_addc_co_u32_e32 v95, vcc, v82, v95, vcc
	global_load_dword v0, v[94:95], off
	global_load_dword v92, v[81:82], off offset:172
	s_waitcnt vmcnt(1)
	global_store_dword v[81:82], v0, off offset:172
	s_waitcnt vmcnt(1)
	global_store_dword v[94:95], v92, off
.LBB100_917:
	s_or_b64 exec, exec, s[20:21]
	v_mov_b32_e32 v92, v93
	v_mov_b32_e32 v0, v93
.LBB100_918:
	s_or_b64 exec, exec, s[18:19]
.LBB100_919:
	s_andn2_saveexec_b64 s[0:1], s[0:1]
	s_cbranch_execz .LBB100_921
; %bb.920:
	v_mov_b32_e32 v92, 43
	ds_write2_b64 v90, v[21:22], v[23:24] offset0:88 offset1:89
	ds_write2_b64 v90, v[17:18], v[19:20] offset0:90 offset1:91
	;; [unrolled: 1-line block ×7, first 2 shown]
.LBB100_921:
	s_or_b64 exec, exec, s[0:1]
	v_cmp_lt_i32_e32 vcc, 43, v92
	s_waitcnt vmcnt(0) lgkmcnt(0)
	s_barrier
	s_and_saveexec_b64 s[0:1], vcc
	s_cbranch_execz .LBB100_923
; %bb.922:
	v_mul_f64 v[93:94], v[117:118], v[27:28]
	v_mul_f64 v[27:28], v[119:120], v[27:28]
	ds_read2_b64 v[95:98], v90 offset0:88 offset1:89
	v_fma_f64 v[93:94], v[119:120], v[25:26], v[93:94]
	v_fma_f64 v[25:26], v[117:118], v[25:26], -v[27:28]
	s_waitcnt lgkmcnt(0)
	v_mul_f64 v[27:28], v[97:98], v[93:94]
	v_fma_f64 v[27:28], v[95:96], v[25:26], -v[27:28]
	v_mul_f64 v[95:96], v[95:96], v[93:94]
	v_add_f64 v[21:22], v[21:22], -v[27:28]
	v_fma_f64 v[95:96], v[97:98], v[25:26], v[95:96]
	v_add_f64 v[23:24], v[23:24], -v[95:96]
	ds_read2_b64 v[95:98], v90 offset0:90 offset1:91
	s_waitcnt lgkmcnt(0)
	v_mul_f64 v[27:28], v[97:98], v[93:94]
	v_fma_f64 v[27:28], v[95:96], v[25:26], -v[27:28]
	v_mul_f64 v[95:96], v[95:96], v[93:94]
	v_add_f64 v[17:18], v[17:18], -v[27:28]
	v_fma_f64 v[95:96], v[97:98], v[25:26], v[95:96]
	v_add_f64 v[19:20], v[19:20], -v[95:96]
	ds_read2_b64 v[95:98], v90 offset0:92 offset1:93
	;; [unrolled: 8-line block ×6, first 2 shown]
	s_waitcnt lgkmcnt(0)
	v_mul_f64 v[27:28], v[97:98], v[93:94]
	v_fma_f64 v[27:28], v[95:96], v[25:26], -v[27:28]
	v_mul_f64 v[95:96], v[95:96], v[93:94]
	v_add_f64 v[121:122], v[121:122], -v[27:28]
	v_fma_f64 v[95:96], v[97:98], v[25:26], v[95:96]
	v_mov_b32_e32 v27, v93
	v_mov_b32_e32 v28, v94
	v_add_f64 v[123:124], v[123:124], -v[95:96]
.LBB100_923:
	s_or_b64 exec, exec, s[0:1]
	v_lshl_add_u32 v93, v92, 4, v90
	s_barrier
	ds_write2_b64 v93, v[21:22], v[23:24] offset1:1
	s_waitcnt lgkmcnt(0)
	s_barrier
	ds_read2_b64 v[117:120], v90 offset0:88 offset1:89
	s_cmp_lt_i32 s3, 46
	v_mov_b32_e32 v93, 44
	s_cbranch_scc1 .LBB100_926
; %bb.924:
	v_add_u32_e32 v94, 0x2d0, v90
	s_mov_b32 s0, 45
	v_mov_b32_e32 v93, 44
.LBB100_925:                            ; =>This Inner Loop Header: Depth=1
	s_waitcnt lgkmcnt(0)
	v_cmp_gt_f64_e32 vcc, 0, v[117:118]
	v_xor_b32_e32 v99, 0x80000000, v118
	ds_read2_b64 v[95:98], v94 offset1:1
	v_xor_b32_e32 v101, 0x80000000, v120
	v_add_u32_e32 v94, 16, v94
	s_waitcnt lgkmcnt(0)
	v_xor_b32_e32 v103, 0x80000000, v98
	v_cndmask_b32_e32 v100, v118, v99, vcc
	v_cmp_gt_f64_e32 vcc, 0, v[119:120]
	v_mov_b32_e32 v99, v117
	v_cndmask_b32_e32 v102, v120, v101, vcc
	v_cmp_gt_f64_e32 vcc, 0, v[95:96]
	v_mov_b32_e32 v101, v119
	v_add_f64 v[99:100], v[99:100], v[101:102]
	v_xor_b32_e32 v101, 0x80000000, v96
	v_cndmask_b32_e32 v102, v96, v101, vcc
	v_cmp_gt_f64_e32 vcc, 0, v[97:98]
	v_mov_b32_e32 v101, v95
	v_cndmask_b32_e32 v104, v98, v103, vcc
	v_mov_b32_e32 v103, v97
	v_add_f64 v[101:102], v[101:102], v[103:104]
	v_cmp_lt_f64_e32 vcc, v[99:100], v[101:102]
	v_cndmask_b32_e32 v117, v117, v95, vcc
	v_mov_b32_e32 v95, s0
	s_add_i32 s0, s0, 1
	v_cndmask_b32_e32 v118, v118, v96, vcc
	v_cndmask_b32_e32 v120, v120, v98, vcc
	;; [unrolled: 1-line block ×4, first 2 shown]
	s_cmp_lg_u32 s3, s0
	s_cbranch_scc1 .LBB100_925
.LBB100_926:
	s_waitcnt lgkmcnt(0)
	v_cmp_eq_f64_e32 vcc, 0, v[117:118]
	v_cmp_eq_f64_e64 s[0:1], 0, v[119:120]
	s_and_b64 s[0:1], vcc, s[0:1]
	s_and_saveexec_b64 s[18:19], s[0:1]
	s_xor_b64 s[0:1], exec, s[18:19]
; %bb.927:
	v_cmp_ne_u32_e32 vcc, 0, v91
	v_cndmask_b32_e32 v91, 45, v91, vcc
; %bb.928:
	s_andn2_saveexec_b64 s[0:1], s[0:1]
	s_cbranch_execz .LBB100_934
; %bb.929:
	v_cmp_ngt_f64_e64 s[18:19], |v[117:118]|, |v[119:120]|
	s_and_saveexec_b64 s[20:21], s[18:19]
	s_xor_b64 s[18:19], exec, s[20:21]
	s_cbranch_execz .LBB100_931
; %bb.930:
	v_div_scale_f64 v[94:95], s[20:21], v[119:120], v[119:120], v[117:118]
	v_rcp_f64_e32 v[96:97], v[94:95]
	v_fma_f64 v[98:99], -v[94:95], v[96:97], 1.0
	v_fma_f64 v[96:97], v[96:97], v[98:99], v[96:97]
	v_div_scale_f64 v[98:99], vcc, v[117:118], v[119:120], v[117:118]
	v_fma_f64 v[100:101], -v[94:95], v[96:97], 1.0
	v_fma_f64 v[96:97], v[96:97], v[100:101], v[96:97]
	v_mul_f64 v[100:101], v[98:99], v[96:97]
	v_fma_f64 v[94:95], -v[94:95], v[100:101], v[98:99]
	v_div_fmas_f64 v[94:95], v[94:95], v[96:97], v[100:101]
	v_div_fixup_f64 v[94:95], v[94:95], v[119:120], v[117:118]
	v_fma_f64 v[96:97], v[117:118], v[94:95], v[119:120]
	v_div_scale_f64 v[98:99], s[20:21], v[96:97], v[96:97], 1.0
	v_div_scale_f64 v[104:105], vcc, 1.0, v[96:97], 1.0
	v_rcp_f64_e32 v[100:101], v[98:99]
	v_fma_f64 v[102:103], -v[98:99], v[100:101], 1.0
	v_fma_f64 v[100:101], v[100:101], v[102:103], v[100:101]
	v_fma_f64 v[102:103], -v[98:99], v[100:101], 1.0
	v_fma_f64 v[100:101], v[100:101], v[102:103], v[100:101]
	v_mul_f64 v[102:103], v[104:105], v[100:101]
	v_fma_f64 v[98:99], -v[98:99], v[102:103], v[104:105]
	v_div_fmas_f64 v[98:99], v[98:99], v[100:101], v[102:103]
	v_div_fixup_f64 v[119:120], v[98:99], v[96:97], 1.0
	v_mul_f64 v[117:118], v[94:95], v[119:120]
	v_xor_b32_e32 v120, 0x80000000, v120
.LBB100_931:
	s_andn2_saveexec_b64 s[18:19], s[18:19]
	s_cbranch_execz .LBB100_933
; %bb.932:
	v_div_scale_f64 v[94:95], s[20:21], v[117:118], v[117:118], v[119:120]
	v_rcp_f64_e32 v[96:97], v[94:95]
	v_fma_f64 v[98:99], -v[94:95], v[96:97], 1.0
	v_fma_f64 v[96:97], v[96:97], v[98:99], v[96:97]
	v_div_scale_f64 v[98:99], vcc, v[119:120], v[117:118], v[119:120]
	v_fma_f64 v[100:101], -v[94:95], v[96:97], 1.0
	v_fma_f64 v[96:97], v[96:97], v[100:101], v[96:97]
	v_mul_f64 v[100:101], v[98:99], v[96:97]
	v_fma_f64 v[94:95], -v[94:95], v[100:101], v[98:99]
	v_div_fmas_f64 v[94:95], v[94:95], v[96:97], v[100:101]
	v_div_fixup_f64 v[94:95], v[94:95], v[117:118], v[119:120]
	v_fma_f64 v[96:97], v[119:120], v[94:95], v[117:118]
	v_div_scale_f64 v[98:99], s[20:21], v[96:97], v[96:97], 1.0
	v_div_scale_f64 v[104:105], vcc, 1.0, v[96:97], 1.0
	v_rcp_f64_e32 v[100:101], v[98:99]
	v_fma_f64 v[102:103], -v[98:99], v[100:101], 1.0
	v_fma_f64 v[100:101], v[100:101], v[102:103], v[100:101]
	v_fma_f64 v[102:103], -v[98:99], v[100:101], 1.0
	v_fma_f64 v[100:101], v[100:101], v[102:103], v[100:101]
	v_mul_f64 v[102:103], v[104:105], v[100:101]
	v_fma_f64 v[98:99], -v[98:99], v[102:103], v[104:105]
	v_div_fmas_f64 v[98:99], v[98:99], v[100:101], v[102:103]
	v_div_fixup_f64 v[117:118], v[98:99], v[96:97], 1.0
	v_mul_f64 v[119:120], v[94:95], -v[117:118]
.LBB100_933:
	s_or_b64 exec, exec, s[18:19]
.LBB100_934:
	s_or_b64 exec, exec, s[0:1]
	v_cmp_ne_u32_e32 vcc, v92, v93
	s_and_saveexec_b64 s[0:1], vcc
	s_xor_b64 s[0:1], exec, s[0:1]
	s_cbranch_execz .LBB100_940
; %bb.935:
	v_cmp_eq_u32_e32 vcc, 44, v92
	s_and_saveexec_b64 s[18:19], vcc
	s_cbranch_execz .LBB100_939
; %bb.936:
	v_cmp_ne_u32_e32 vcc, 44, v93
	s_xor_b64 s[20:21], s[6:7], -1
	s_and_b64 s[22:23], s[20:21], vcc
	s_and_saveexec_b64 s[20:21], s[22:23]
	s_cbranch_execz .LBB100_938
; %bb.937:
	buffer_load_dword v81, off, s[24:27], 0 offset:400 ; 4-byte Folded Reload
	buffer_load_dword v82, off, s[24:27], 0 offset:404 ; 4-byte Folded Reload
	v_ashrrev_i32_e32 v94, 31, v93
	v_lshlrev_b64 v[94:95], 2, v[93:94]
	s_waitcnt vmcnt(1)
	v_add_co_u32_e32 v94, vcc, v81, v94
	s_waitcnt vmcnt(0)
	v_addc_co_u32_e32 v95, vcc, v82, v95, vcc
	global_load_dword v0, v[94:95], off
	global_load_dword v92, v[81:82], off offset:176
	s_waitcnt vmcnt(1)
	global_store_dword v[81:82], v0, off offset:176
	s_waitcnt vmcnt(1)
	global_store_dword v[94:95], v92, off
.LBB100_938:
	s_or_b64 exec, exec, s[20:21]
	v_mov_b32_e32 v92, v93
	v_mov_b32_e32 v0, v93
.LBB100_939:
	s_or_b64 exec, exec, s[18:19]
.LBB100_940:
	s_andn2_saveexec_b64 s[0:1], s[0:1]
	s_cbranch_execz .LBB100_942
; %bb.941:
	v_mov_b32_e32 v92, 44
	ds_write2_b64 v90, v[17:18], v[19:20] offset0:90 offset1:91
	ds_write2_b64 v90, v[13:14], v[15:16] offset0:92 offset1:93
	;; [unrolled: 1-line block ×6, first 2 shown]
.LBB100_942:
	s_or_b64 exec, exec, s[0:1]
	v_cmp_lt_i32_e32 vcc, 44, v92
	s_waitcnt vmcnt(0) lgkmcnt(0)
	s_barrier
	s_and_saveexec_b64 s[0:1], vcc
	s_cbranch_execz .LBB100_944
; %bb.943:
	v_mul_f64 v[93:94], v[117:118], v[23:24]
	v_mul_f64 v[23:24], v[119:120], v[23:24]
	ds_read2_b64 v[95:98], v90 offset0:90 offset1:91
	v_fma_f64 v[93:94], v[119:120], v[21:22], v[93:94]
	v_fma_f64 v[21:22], v[117:118], v[21:22], -v[23:24]
	s_waitcnt lgkmcnt(0)
	v_mul_f64 v[23:24], v[97:98], v[93:94]
	v_fma_f64 v[23:24], v[95:96], v[21:22], -v[23:24]
	v_mul_f64 v[95:96], v[95:96], v[93:94]
	v_add_f64 v[17:18], v[17:18], -v[23:24]
	v_fma_f64 v[95:96], v[97:98], v[21:22], v[95:96]
	v_add_f64 v[19:20], v[19:20], -v[95:96]
	ds_read2_b64 v[95:98], v90 offset0:92 offset1:93
	s_waitcnt lgkmcnt(0)
	v_mul_f64 v[23:24], v[97:98], v[93:94]
	v_fma_f64 v[23:24], v[95:96], v[21:22], -v[23:24]
	v_mul_f64 v[95:96], v[95:96], v[93:94]
	v_add_f64 v[13:14], v[13:14], -v[23:24]
	v_fma_f64 v[95:96], v[97:98], v[21:22], v[95:96]
	v_add_f64 v[15:16], v[15:16], -v[95:96]
	ds_read2_b64 v[95:98], v90 offset0:94 offset1:95
	;; [unrolled: 8-line block ×5, first 2 shown]
	s_waitcnt lgkmcnt(0)
	v_mul_f64 v[23:24], v[97:98], v[93:94]
	v_fma_f64 v[23:24], v[95:96], v[21:22], -v[23:24]
	v_mul_f64 v[95:96], v[95:96], v[93:94]
	v_add_f64 v[121:122], v[121:122], -v[23:24]
	v_fma_f64 v[95:96], v[97:98], v[21:22], v[95:96]
	v_mov_b32_e32 v23, v93
	v_mov_b32_e32 v24, v94
	v_add_f64 v[123:124], v[123:124], -v[95:96]
.LBB100_944:
	s_or_b64 exec, exec, s[0:1]
	v_lshl_add_u32 v93, v92, 4, v90
	s_barrier
	ds_write2_b64 v93, v[17:18], v[19:20] offset1:1
	s_waitcnt lgkmcnt(0)
	s_barrier
	ds_read2_b64 v[117:120], v90 offset0:90 offset1:91
	s_cmp_lt_i32 s3, 47
	v_mov_b32_e32 v93, 45
	s_cbranch_scc1 .LBB100_947
; %bb.945:
	v_add_u32_e32 v94, 0x2e0, v90
	s_mov_b32 s0, 46
	v_mov_b32_e32 v93, 45
.LBB100_946:                            ; =>This Inner Loop Header: Depth=1
	s_waitcnt lgkmcnt(0)
	v_cmp_gt_f64_e32 vcc, 0, v[117:118]
	v_xor_b32_e32 v99, 0x80000000, v118
	ds_read2_b64 v[95:98], v94 offset1:1
	v_xor_b32_e32 v101, 0x80000000, v120
	v_add_u32_e32 v94, 16, v94
	s_waitcnt lgkmcnt(0)
	v_xor_b32_e32 v103, 0x80000000, v98
	v_cndmask_b32_e32 v100, v118, v99, vcc
	v_cmp_gt_f64_e32 vcc, 0, v[119:120]
	v_mov_b32_e32 v99, v117
	v_cndmask_b32_e32 v102, v120, v101, vcc
	v_cmp_gt_f64_e32 vcc, 0, v[95:96]
	v_mov_b32_e32 v101, v119
	v_add_f64 v[99:100], v[99:100], v[101:102]
	v_xor_b32_e32 v101, 0x80000000, v96
	v_cndmask_b32_e32 v102, v96, v101, vcc
	v_cmp_gt_f64_e32 vcc, 0, v[97:98]
	v_mov_b32_e32 v101, v95
	v_cndmask_b32_e32 v104, v98, v103, vcc
	v_mov_b32_e32 v103, v97
	v_add_f64 v[101:102], v[101:102], v[103:104]
	v_cmp_lt_f64_e32 vcc, v[99:100], v[101:102]
	v_cndmask_b32_e32 v117, v117, v95, vcc
	v_mov_b32_e32 v95, s0
	s_add_i32 s0, s0, 1
	v_cndmask_b32_e32 v118, v118, v96, vcc
	v_cndmask_b32_e32 v120, v120, v98, vcc
	;; [unrolled: 1-line block ×4, first 2 shown]
	s_cmp_lg_u32 s3, s0
	s_cbranch_scc1 .LBB100_946
.LBB100_947:
	s_waitcnt lgkmcnt(0)
	v_cmp_eq_f64_e32 vcc, 0, v[117:118]
	v_cmp_eq_f64_e64 s[0:1], 0, v[119:120]
	s_and_b64 s[0:1], vcc, s[0:1]
	s_and_saveexec_b64 s[18:19], s[0:1]
	s_xor_b64 s[0:1], exec, s[18:19]
; %bb.948:
	v_cmp_ne_u32_e32 vcc, 0, v91
	v_cndmask_b32_e32 v91, 46, v91, vcc
; %bb.949:
	s_andn2_saveexec_b64 s[0:1], s[0:1]
	s_cbranch_execz .LBB100_955
; %bb.950:
	v_cmp_ngt_f64_e64 s[18:19], |v[117:118]|, |v[119:120]|
	s_and_saveexec_b64 s[20:21], s[18:19]
	s_xor_b64 s[18:19], exec, s[20:21]
	s_cbranch_execz .LBB100_952
; %bb.951:
	v_div_scale_f64 v[94:95], s[20:21], v[119:120], v[119:120], v[117:118]
	v_rcp_f64_e32 v[96:97], v[94:95]
	v_fma_f64 v[98:99], -v[94:95], v[96:97], 1.0
	v_fma_f64 v[96:97], v[96:97], v[98:99], v[96:97]
	v_div_scale_f64 v[98:99], vcc, v[117:118], v[119:120], v[117:118]
	v_fma_f64 v[100:101], -v[94:95], v[96:97], 1.0
	v_fma_f64 v[96:97], v[96:97], v[100:101], v[96:97]
	v_mul_f64 v[100:101], v[98:99], v[96:97]
	v_fma_f64 v[94:95], -v[94:95], v[100:101], v[98:99]
	v_div_fmas_f64 v[94:95], v[94:95], v[96:97], v[100:101]
	v_div_fixup_f64 v[94:95], v[94:95], v[119:120], v[117:118]
	v_fma_f64 v[96:97], v[117:118], v[94:95], v[119:120]
	v_div_scale_f64 v[98:99], s[20:21], v[96:97], v[96:97], 1.0
	v_div_scale_f64 v[104:105], vcc, 1.0, v[96:97], 1.0
	v_rcp_f64_e32 v[100:101], v[98:99]
	v_fma_f64 v[102:103], -v[98:99], v[100:101], 1.0
	v_fma_f64 v[100:101], v[100:101], v[102:103], v[100:101]
	v_fma_f64 v[102:103], -v[98:99], v[100:101], 1.0
	v_fma_f64 v[100:101], v[100:101], v[102:103], v[100:101]
	v_mul_f64 v[102:103], v[104:105], v[100:101]
	v_fma_f64 v[98:99], -v[98:99], v[102:103], v[104:105]
	v_div_fmas_f64 v[98:99], v[98:99], v[100:101], v[102:103]
	v_div_fixup_f64 v[119:120], v[98:99], v[96:97], 1.0
	v_mul_f64 v[117:118], v[94:95], v[119:120]
	v_xor_b32_e32 v120, 0x80000000, v120
.LBB100_952:
	s_andn2_saveexec_b64 s[18:19], s[18:19]
	s_cbranch_execz .LBB100_954
; %bb.953:
	v_div_scale_f64 v[94:95], s[20:21], v[117:118], v[117:118], v[119:120]
	v_rcp_f64_e32 v[96:97], v[94:95]
	v_fma_f64 v[98:99], -v[94:95], v[96:97], 1.0
	v_fma_f64 v[96:97], v[96:97], v[98:99], v[96:97]
	v_div_scale_f64 v[98:99], vcc, v[119:120], v[117:118], v[119:120]
	v_fma_f64 v[100:101], -v[94:95], v[96:97], 1.0
	v_fma_f64 v[96:97], v[96:97], v[100:101], v[96:97]
	v_mul_f64 v[100:101], v[98:99], v[96:97]
	v_fma_f64 v[94:95], -v[94:95], v[100:101], v[98:99]
	v_div_fmas_f64 v[94:95], v[94:95], v[96:97], v[100:101]
	v_div_fixup_f64 v[94:95], v[94:95], v[117:118], v[119:120]
	v_fma_f64 v[96:97], v[119:120], v[94:95], v[117:118]
	v_div_scale_f64 v[98:99], s[20:21], v[96:97], v[96:97], 1.0
	v_div_scale_f64 v[104:105], vcc, 1.0, v[96:97], 1.0
	v_rcp_f64_e32 v[100:101], v[98:99]
	v_fma_f64 v[102:103], -v[98:99], v[100:101], 1.0
	v_fma_f64 v[100:101], v[100:101], v[102:103], v[100:101]
	v_fma_f64 v[102:103], -v[98:99], v[100:101], 1.0
	v_fma_f64 v[100:101], v[100:101], v[102:103], v[100:101]
	v_mul_f64 v[102:103], v[104:105], v[100:101]
	v_fma_f64 v[98:99], -v[98:99], v[102:103], v[104:105]
	v_div_fmas_f64 v[98:99], v[98:99], v[100:101], v[102:103]
	v_div_fixup_f64 v[117:118], v[98:99], v[96:97], 1.0
	v_mul_f64 v[119:120], v[94:95], -v[117:118]
.LBB100_954:
	s_or_b64 exec, exec, s[18:19]
.LBB100_955:
	s_or_b64 exec, exec, s[0:1]
	v_cmp_ne_u32_e32 vcc, v92, v93
	s_and_saveexec_b64 s[0:1], vcc
	s_xor_b64 s[0:1], exec, s[0:1]
	s_cbranch_execz .LBB100_961
; %bb.956:
	v_cmp_eq_u32_e32 vcc, 45, v92
	s_and_saveexec_b64 s[18:19], vcc
	s_cbranch_execz .LBB100_960
; %bb.957:
	v_cmp_ne_u32_e32 vcc, 45, v93
	s_xor_b64 s[20:21], s[6:7], -1
	s_and_b64 s[22:23], s[20:21], vcc
	s_and_saveexec_b64 s[20:21], s[22:23]
	s_cbranch_execz .LBB100_959
; %bb.958:
	buffer_load_dword v81, off, s[24:27], 0 offset:400 ; 4-byte Folded Reload
	buffer_load_dword v82, off, s[24:27], 0 offset:404 ; 4-byte Folded Reload
	v_ashrrev_i32_e32 v94, 31, v93
	v_lshlrev_b64 v[94:95], 2, v[93:94]
	s_waitcnt vmcnt(1)
	v_add_co_u32_e32 v94, vcc, v81, v94
	s_waitcnt vmcnt(0)
	v_addc_co_u32_e32 v95, vcc, v82, v95, vcc
	global_load_dword v0, v[94:95], off
	global_load_dword v92, v[81:82], off offset:180
	s_waitcnt vmcnt(1)
	global_store_dword v[81:82], v0, off offset:180
	s_waitcnt vmcnt(1)
	global_store_dword v[94:95], v92, off
.LBB100_959:
	s_or_b64 exec, exec, s[20:21]
	v_mov_b32_e32 v92, v93
	v_mov_b32_e32 v0, v93
.LBB100_960:
	s_or_b64 exec, exec, s[18:19]
.LBB100_961:
	s_andn2_saveexec_b64 s[0:1], s[0:1]
	s_cbranch_execz .LBB100_963
; %bb.962:
	v_mov_b32_e32 v92, 45
	ds_write2_b64 v90, v[13:14], v[15:16] offset0:92 offset1:93
	ds_write2_b64 v90, v[9:10], v[11:12] offset0:94 offset1:95
	ds_write2_b64 v90, v[5:6], v[7:8] offset0:96 offset1:97
	ds_write2_b64 v90, v[1:2], v[3:4] offset0:98 offset1:99
	ds_write2_b64 v90, v[121:122], v[123:124] offset0:100 offset1:101
.LBB100_963:
	s_or_b64 exec, exec, s[0:1]
	v_cmp_lt_i32_e32 vcc, 45, v92
	s_waitcnt vmcnt(0) lgkmcnt(0)
	s_barrier
	s_and_saveexec_b64 s[0:1], vcc
	s_cbranch_execz .LBB100_965
; %bb.964:
	v_mul_f64 v[93:94], v[117:118], v[19:20]
	v_mul_f64 v[19:20], v[119:120], v[19:20]
	v_fma_f64 v[97:98], v[119:120], v[17:18], v[93:94]
	ds_read2_b64 v[93:96], v90 offset0:92 offset1:93
	v_fma_f64 v[17:18], v[117:118], v[17:18], -v[19:20]
	s_waitcnt lgkmcnt(0)
	v_mul_f64 v[19:20], v[95:96], v[97:98]
	v_fma_f64 v[19:20], v[93:94], v[17:18], -v[19:20]
	v_mul_f64 v[93:94], v[93:94], v[97:98]
	v_add_f64 v[13:14], v[13:14], -v[19:20]
	v_fma_f64 v[93:94], v[95:96], v[17:18], v[93:94]
	v_add_f64 v[15:16], v[15:16], -v[93:94]
	ds_read2_b64 v[93:96], v90 offset0:94 offset1:95
	s_waitcnt lgkmcnt(0)
	v_mul_f64 v[19:20], v[95:96], v[97:98]
	v_fma_f64 v[19:20], v[93:94], v[17:18], -v[19:20]
	v_mul_f64 v[93:94], v[93:94], v[97:98]
	v_add_f64 v[9:10], v[9:10], -v[19:20]
	v_fma_f64 v[93:94], v[95:96], v[17:18], v[93:94]
	v_add_f64 v[11:12], v[11:12], -v[93:94]
	ds_read2_b64 v[93:96], v90 offset0:96 offset1:97
	;; [unrolled: 8-line block ×4, first 2 shown]
	s_waitcnt lgkmcnt(0)
	v_mul_f64 v[19:20], v[95:96], v[97:98]
	v_fma_f64 v[19:20], v[93:94], v[17:18], -v[19:20]
	v_mul_f64 v[93:94], v[93:94], v[97:98]
	v_add_f64 v[121:122], v[121:122], -v[19:20]
	v_fma_f64 v[93:94], v[95:96], v[17:18], v[93:94]
	v_mov_b32_e32 v19, v97
	v_mov_b32_e32 v20, v98
	v_add_f64 v[123:124], v[123:124], -v[93:94]
.LBB100_965:
	s_or_b64 exec, exec, s[0:1]
	v_lshl_add_u32 v93, v92, 4, v90
	s_barrier
	ds_write2_b64 v93, v[13:14], v[15:16] offset1:1
	s_waitcnt lgkmcnt(0)
	s_barrier
	ds_read2_b64 v[117:120], v90 offset0:92 offset1:93
	s_cmp_lt_i32 s3, 48
	v_mov_b32_e32 v93, 46
	s_cbranch_scc1 .LBB100_968
; %bb.966:
	v_add_u32_e32 v94, 0x2f0, v90
	s_mov_b32 s0, 47
	v_mov_b32_e32 v93, 46
.LBB100_967:                            ; =>This Inner Loop Header: Depth=1
	s_waitcnt lgkmcnt(0)
	v_cmp_gt_f64_e32 vcc, 0, v[117:118]
	v_xor_b32_e32 v99, 0x80000000, v118
	ds_read2_b64 v[95:98], v94 offset1:1
	v_xor_b32_e32 v101, 0x80000000, v120
	v_add_u32_e32 v94, 16, v94
	s_waitcnt lgkmcnt(0)
	v_xor_b32_e32 v103, 0x80000000, v98
	v_cndmask_b32_e32 v100, v118, v99, vcc
	v_cmp_gt_f64_e32 vcc, 0, v[119:120]
	v_mov_b32_e32 v99, v117
	v_cndmask_b32_e32 v102, v120, v101, vcc
	v_cmp_gt_f64_e32 vcc, 0, v[95:96]
	v_mov_b32_e32 v101, v119
	v_add_f64 v[99:100], v[99:100], v[101:102]
	v_xor_b32_e32 v101, 0x80000000, v96
	v_cndmask_b32_e32 v102, v96, v101, vcc
	v_cmp_gt_f64_e32 vcc, 0, v[97:98]
	v_mov_b32_e32 v101, v95
	v_cndmask_b32_e32 v104, v98, v103, vcc
	v_mov_b32_e32 v103, v97
	v_add_f64 v[101:102], v[101:102], v[103:104]
	v_cmp_lt_f64_e32 vcc, v[99:100], v[101:102]
	v_cndmask_b32_e32 v117, v117, v95, vcc
	v_mov_b32_e32 v95, s0
	s_add_i32 s0, s0, 1
	v_cndmask_b32_e32 v118, v118, v96, vcc
	v_cndmask_b32_e32 v120, v120, v98, vcc
	;; [unrolled: 1-line block ×4, first 2 shown]
	s_cmp_lg_u32 s3, s0
	s_cbranch_scc1 .LBB100_967
.LBB100_968:
	s_waitcnt lgkmcnt(0)
	v_cmp_eq_f64_e32 vcc, 0, v[117:118]
	v_cmp_eq_f64_e64 s[0:1], 0, v[119:120]
	s_and_b64 s[0:1], vcc, s[0:1]
	s_and_saveexec_b64 s[18:19], s[0:1]
	s_xor_b64 s[0:1], exec, s[18:19]
; %bb.969:
	v_cmp_ne_u32_e32 vcc, 0, v91
	v_cndmask_b32_e32 v91, 47, v91, vcc
; %bb.970:
	s_andn2_saveexec_b64 s[0:1], s[0:1]
	s_cbranch_execz .LBB100_976
; %bb.971:
	v_cmp_ngt_f64_e64 s[18:19], |v[117:118]|, |v[119:120]|
	s_and_saveexec_b64 s[20:21], s[18:19]
	s_xor_b64 s[18:19], exec, s[20:21]
	s_cbranch_execz .LBB100_973
; %bb.972:
	v_div_scale_f64 v[94:95], s[20:21], v[119:120], v[119:120], v[117:118]
	v_rcp_f64_e32 v[96:97], v[94:95]
	v_fma_f64 v[98:99], -v[94:95], v[96:97], 1.0
	v_fma_f64 v[96:97], v[96:97], v[98:99], v[96:97]
	v_div_scale_f64 v[98:99], vcc, v[117:118], v[119:120], v[117:118]
	v_fma_f64 v[100:101], -v[94:95], v[96:97], 1.0
	v_fma_f64 v[96:97], v[96:97], v[100:101], v[96:97]
	v_mul_f64 v[100:101], v[98:99], v[96:97]
	v_fma_f64 v[94:95], -v[94:95], v[100:101], v[98:99]
	v_div_fmas_f64 v[94:95], v[94:95], v[96:97], v[100:101]
	v_div_fixup_f64 v[94:95], v[94:95], v[119:120], v[117:118]
	v_fma_f64 v[96:97], v[117:118], v[94:95], v[119:120]
	v_div_scale_f64 v[98:99], s[20:21], v[96:97], v[96:97], 1.0
	v_div_scale_f64 v[104:105], vcc, 1.0, v[96:97], 1.0
	v_rcp_f64_e32 v[100:101], v[98:99]
	v_fma_f64 v[102:103], -v[98:99], v[100:101], 1.0
	v_fma_f64 v[100:101], v[100:101], v[102:103], v[100:101]
	v_fma_f64 v[102:103], -v[98:99], v[100:101], 1.0
	v_fma_f64 v[100:101], v[100:101], v[102:103], v[100:101]
	v_mul_f64 v[102:103], v[104:105], v[100:101]
	v_fma_f64 v[98:99], -v[98:99], v[102:103], v[104:105]
	v_div_fmas_f64 v[98:99], v[98:99], v[100:101], v[102:103]
	v_div_fixup_f64 v[119:120], v[98:99], v[96:97], 1.0
	v_mul_f64 v[117:118], v[94:95], v[119:120]
	v_xor_b32_e32 v120, 0x80000000, v120
.LBB100_973:
	s_andn2_saveexec_b64 s[18:19], s[18:19]
	s_cbranch_execz .LBB100_975
; %bb.974:
	v_div_scale_f64 v[94:95], s[20:21], v[117:118], v[117:118], v[119:120]
	v_rcp_f64_e32 v[96:97], v[94:95]
	v_fma_f64 v[98:99], -v[94:95], v[96:97], 1.0
	v_fma_f64 v[96:97], v[96:97], v[98:99], v[96:97]
	v_div_scale_f64 v[98:99], vcc, v[119:120], v[117:118], v[119:120]
	v_fma_f64 v[100:101], -v[94:95], v[96:97], 1.0
	v_fma_f64 v[96:97], v[96:97], v[100:101], v[96:97]
	v_mul_f64 v[100:101], v[98:99], v[96:97]
	v_fma_f64 v[94:95], -v[94:95], v[100:101], v[98:99]
	v_div_fmas_f64 v[94:95], v[94:95], v[96:97], v[100:101]
	v_div_fixup_f64 v[94:95], v[94:95], v[117:118], v[119:120]
	v_fma_f64 v[96:97], v[119:120], v[94:95], v[117:118]
	v_div_scale_f64 v[98:99], s[20:21], v[96:97], v[96:97], 1.0
	v_div_scale_f64 v[104:105], vcc, 1.0, v[96:97], 1.0
	v_rcp_f64_e32 v[100:101], v[98:99]
	v_fma_f64 v[102:103], -v[98:99], v[100:101], 1.0
	v_fma_f64 v[100:101], v[100:101], v[102:103], v[100:101]
	v_fma_f64 v[102:103], -v[98:99], v[100:101], 1.0
	v_fma_f64 v[100:101], v[100:101], v[102:103], v[100:101]
	v_mul_f64 v[102:103], v[104:105], v[100:101]
	v_fma_f64 v[98:99], -v[98:99], v[102:103], v[104:105]
	v_div_fmas_f64 v[98:99], v[98:99], v[100:101], v[102:103]
	v_div_fixup_f64 v[117:118], v[98:99], v[96:97], 1.0
	v_mul_f64 v[119:120], v[94:95], -v[117:118]
.LBB100_975:
	s_or_b64 exec, exec, s[18:19]
.LBB100_976:
	s_or_b64 exec, exec, s[0:1]
	v_cmp_ne_u32_e32 vcc, v92, v93
	s_and_saveexec_b64 s[0:1], vcc
	s_xor_b64 s[0:1], exec, s[0:1]
	s_cbranch_execz .LBB100_982
; %bb.977:
	v_cmp_eq_u32_e32 vcc, 46, v92
	s_and_saveexec_b64 s[18:19], vcc
	s_cbranch_execz .LBB100_981
; %bb.978:
	v_cmp_ne_u32_e32 vcc, 46, v93
	s_xor_b64 s[20:21], s[6:7], -1
	s_and_b64 s[22:23], s[20:21], vcc
	s_and_saveexec_b64 s[20:21], s[22:23]
	s_cbranch_execz .LBB100_980
; %bb.979:
	buffer_load_dword v81, off, s[24:27], 0 offset:400 ; 4-byte Folded Reload
	buffer_load_dword v82, off, s[24:27], 0 offset:404 ; 4-byte Folded Reload
	v_ashrrev_i32_e32 v94, 31, v93
	v_lshlrev_b64 v[94:95], 2, v[93:94]
	s_waitcnt vmcnt(1)
	v_add_co_u32_e32 v94, vcc, v81, v94
	s_waitcnt vmcnt(0)
	v_addc_co_u32_e32 v95, vcc, v82, v95, vcc
	global_load_dword v0, v[94:95], off
	global_load_dword v92, v[81:82], off offset:184
	s_waitcnt vmcnt(1)
	global_store_dword v[81:82], v0, off offset:184
	s_waitcnt vmcnt(1)
	global_store_dword v[94:95], v92, off
.LBB100_980:
	s_or_b64 exec, exec, s[20:21]
	v_mov_b32_e32 v92, v93
	v_mov_b32_e32 v0, v93
.LBB100_981:
	s_or_b64 exec, exec, s[18:19]
.LBB100_982:
	s_andn2_saveexec_b64 s[0:1], s[0:1]
	s_cbranch_execz .LBB100_984
; %bb.983:
	v_mov_b32_e32 v92, 46
	ds_write2_b64 v90, v[9:10], v[11:12] offset0:94 offset1:95
	ds_write2_b64 v90, v[5:6], v[7:8] offset0:96 offset1:97
	;; [unrolled: 1-line block ×4, first 2 shown]
.LBB100_984:
	s_or_b64 exec, exec, s[0:1]
	v_cmp_lt_i32_e32 vcc, 46, v92
	s_waitcnt vmcnt(0) lgkmcnt(0)
	s_barrier
	s_and_saveexec_b64 s[0:1], vcc
	s_cbranch_execz .LBB100_986
; %bb.985:
	v_mul_f64 v[93:94], v[117:118], v[15:16]
	v_mul_f64 v[15:16], v[119:120], v[15:16]
	v_fma_f64 v[97:98], v[119:120], v[13:14], v[93:94]
	ds_read2_b64 v[93:96], v90 offset0:94 offset1:95
	v_fma_f64 v[13:14], v[117:118], v[13:14], -v[15:16]
	s_waitcnt lgkmcnt(0)
	v_mul_f64 v[15:16], v[95:96], v[97:98]
	v_fma_f64 v[15:16], v[93:94], v[13:14], -v[15:16]
	v_mul_f64 v[93:94], v[93:94], v[97:98]
	v_add_f64 v[9:10], v[9:10], -v[15:16]
	v_fma_f64 v[93:94], v[95:96], v[13:14], v[93:94]
	v_add_f64 v[11:12], v[11:12], -v[93:94]
	ds_read2_b64 v[93:96], v90 offset0:96 offset1:97
	s_waitcnt lgkmcnt(0)
	v_mul_f64 v[15:16], v[95:96], v[97:98]
	v_fma_f64 v[15:16], v[93:94], v[13:14], -v[15:16]
	v_mul_f64 v[93:94], v[93:94], v[97:98]
	v_add_f64 v[5:6], v[5:6], -v[15:16]
	v_fma_f64 v[93:94], v[95:96], v[13:14], v[93:94]
	v_add_f64 v[7:8], v[7:8], -v[93:94]
	ds_read2_b64 v[93:96], v90 offset0:98 offset1:99
	;; [unrolled: 8-line block ×3, first 2 shown]
	s_waitcnt lgkmcnt(0)
	v_mul_f64 v[15:16], v[95:96], v[97:98]
	v_fma_f64 v[15:16], v[93:94], v[13:14], -v[15:16]
	v_mul_f64 v[93:94], v[93:94], v[97:98]
	v_add_f64 v[121:122], v[121:122], -v[15:16]
	v_fma_f64 v[93:94], v[95:96], v[13:14], v[93:94]
	v_mov_b32_e32 v15, v97
	v_mov_b32_e32 v16, v98
	v_add_f64 v[123:124], v[123:124], -v[93:94]
.LBB100_986:
	s_or_b64 exec, exec, s[0:1]
	v_lshl_add_u32 v93, v92, 4, v90
	s_barrier
	ds_write2_b64 v93, v[9:10], v[11:12] offset1:1
	s_waitcnt lgkmcnt(0)
	s_barrier
	ds_read2_b64 v[117:120], v90 offset0:94 offset1:95
	s_cmp_lt_i32 s3, 49
	v_mov_b32_e32 v93, 47
	s_cbranch_scc1 .LBB100_989
; %bb.987:
	v_add_u32_e32 v94, 0x300, v90
	s_mov_b32 s0, 48
	v_mov_b32_e32 v93, 47
.LBB100_988:                            ; =>This Inner Loop Header: Depth=1
	s_waitcnt lgkmcnt(0)
	v_cmp_gt_f64_e32 vcc, 0, v[117:118]
	v_xor_b32_e32 v99, 0x80000000, v118
	ds_read2_b64 v[95:98], v94 offset1:1
	v_xor_b32_e32 v101, 0x80000000, v120
	v_add_u32_e32 v94, 16, v94
	s_waitcnt lgkmcnt(0)
	v_xor_b32_e32 v103, 0x80000000, v98
	v_cndmask_b32_e32 v100, v118, v99, vcc
	v_cmp_gt_f64_e32 vcc, 0, v[119:120]
	v_mov_b32_e32 v99, v117
	v_cndmask_b32_e32 v102, v120, v101, vcc
	v_cmp_gt_f64_e32 vcc, 0, v[95:96]
	v_mov_b32_e32 v101, v119
	v_add_f64 v[99:100], v[99:100], v[101:102]
	v_xor_b32_e32 v101, 0x80000000, v96
	v_cndmask_b32_e32 v102, v96, v101, vcc
	v_cmp_gt_f64_e32 vcc, 0, v[97:98]
	v_mov_b32_e32 v101, v95
	v_cndmask_b32_e32 v104, v98, v103, vcc
	v_mov_b32_e32 v103, v97
	v_add_f64 v[101:102], v[101:102], v[103:104]
	v_cmp_lt_f64_e32 vcc, v[99:100], v[101:102]
	v_cndmask_b32_e32 v117, v117, v95, vcc
	v_mov_b32_e32 v95, s0
	s_add_i32 s0, s0, 1
	v_cndmask_b32_e32 v118, v118, v96, vcc
	v_cndmask_b32_e32 v120, v120, v98, vcc
	;; [unrolled: 1-line block ×4, first 2 shown]
	s_cmp_lg_u32 s3, s0
	s_cbranch_scc1 .LBB100_988
.LBB100_989:
	s_waitcnt lgkmcnt(0)
	v_cmp_eq_f64_e32 vcc, 0, v[117:118]
	v_cmp_eq_f64_e64 s[0:1], 0, v[119:120]
	s_and_b64 s[0:1], vcc, s[0:1]
	s_and_saveexec_b64 s[18:19], s[0:1]
	s_xor_b64 s[0:1], exec, s[18:19]
; %bb.990:
	v_cmp_ne_u32_e32 vcc, 0, v91
	v_cndmask_b32_e32 v91, 48, v91, vcc
; %bb.991:
	s_andn2_saveexec_b64 s[0:1], s[0:1]
	s_cbranch_execz .LBB100_997
; %bb.992:
	v_cmp_ngt_f64_e64 s[18:19], |v[117:118]|, |v[119:120]|
	s_and_saveexec_b64 s[20:21], s[18:19]
	s_xor_b64 s[18:19], exec, s[20:21]
	s_cbranch_execz .LBB100_994
; %bb.993:
	v_div_scale_f64 v[94:95], s[20:21], v[119:120], v[119:120], v[117:118]
	v_rcp_f64_e32 v[96:97], v[94:95]
	v_fma_f64 v[98:99], -v[94:95], v[96:97], 1.0
	v_fma_f64 v[96:97], v[96:97], v[98:99], v[96:97]
	v_div_scale_f64 v[98:99], vcc, v[117:118], v[119:120], v[117:118]
	v_fma_f64 v[100:101], -v[94:95], v[96:97], 1.0
	v_fma_f64 v[96:97], v[96:97], v[100:101], v[96:97]
	v_mul_f64 v[100:101], v[98:99], v[96:97]
	v_fma_f64 v[94:95], -v[94:95], v[100:101], v[98:99]
	v_div_fmas_f64 v[94:95], v[94:95], v[96:97], v[100:101]
	v_div_fixup_f64 v[94:95], v[94:95], v[119:120], v[117:118]
	v_fma_f64 v[96:97], v[117:118], v[94:95], v[119:120]
	v_div_scale_f64 v[98:99], s[20:21], v[96:97], v[96:97], 1.0
	v_div_scale_f64 v[104:105], vcc, 1.0, v[96:97], 1.0
	v_rcp_f64_e32 v[100:101], v[98:99]
	v_fma_f64 v[102:103], -v[98:99], v[100:101], 1.0
	v_fma_f64 v[100:101], v[100:101], v[102:103], v[100:101]
	v_fma_f64 v[102:103], -v[98:99], v[100:101], 1.0
	v_fma_f64 v[100:101], v[100:101], v[102:103], v[100:101]
	v_mul_f64 v[102:103], v[104:105], v[100:101]
	v_fma_f64 v[98:99], -v[98:99], v[102:103], v[104:105]
	v_div_fmas_f64 v[98:99], v[98:99], v[100:101], v[102:103]
	v_div_fixup_f64 v[119:120], v[98:99], v[96:97], 1.0
	v_mul_f64 v[117:118], v[94:95], v[119:120]
	v_xor_b32_e32 v120, 0x80000000, v120
.LBB100_994:
	s_andn2_saveexec_b64 s[18:19], s[18:19]
	s_cbranch_execz .LBB100_996
; %bb.995:
	v_div_scale_f64 v[94:95], s[20:21], v[117:118], v[117:118], v[119:120]
	v_rcp_f64_e32 v[96:97], v[94:95]
	v_fma_f64 v[98:99], -v[94:95], v[96:97], 1.0
	v_fma_f64 v[96:97], v[96:97], v[98:99], v[96:97]
	v_div_scale_f64 v[98:99], vcc, v[119:120], v[117:118], v[119:120]
	v_fma_f64 v[100:101], -v[94:95], v[96:97], 1.0
	v_fma_f64 v[96:97], v[96:97], v[100:101], v[96:97]
	v_mul_f64 v[100:101], v[98:99], v[96:97]
	v_fma_f64 v[94:95], -v[94:95], v[100:101], v[98:99]
	v_div_fmas_f64 v[94:95], v[94:95], v[96:97], v[100:101]
	v_div_fixup_f64 v[94:95], v[94:95], v[117:118], v[119:120]
	v_fma_f64 v[96:97], v[119:120], v[94:95], v[117:118]
	v_div_scale_f64 v[98:99], s[20:21], v[96:97], v[96:97], 1.0
	v_div_scale_f64 v[104:105], vcc, 1.0, v[96:97], 1.0
	v_rcp_f64_e32 v[100:101], v[98:99]
	v_fma_f64 v[102:103], -v[98:99], v[100:101], 1.0
	v_fma_f64 v[100:101], v[100:101], v[102:103], v[100:101]
	v_fma_f64 v[102:103], -v[98:99], v[100:101], 1.0
	v_fma_f64 v[100:101], v[100:101], v[102:103], v[100:101]
	v_mul_f64 v[102:103], v[104:105], v[100:101]
	v_fma_f64 v[98:99], -v[98:99], v[102:103], v[104:105]
	v_div_fmas_f64 v[98:99], v[98:99], v[100:101], v[102:103]
	v_div_fixup_f64 v[117:118], v[98:99], v[96:97], 1.0
	v_mul_f64 v[119:120], v[94:95], -v[117:118]
.LBB100_996:
	s_or_b64 exec, exec, s[18:19]
.LBB100_997:
	s_or_b64 exec, exec, s[0:1]
	v_cmp_ne_u32_e32 vcc, v92, v93
	s_and_saveexec_b64 s[0:1], vcc
	s_xor_b64 s[0:1], exec, s[0:1]
	s_cbranch_execz .LBB100_1003
; %bb.998:
	v_cmp_eq_u32_e32 vcc, 47, v92
	s_and_saveexec_b64 s[18:19], vcc
	s_cbranch_execz .LBB100_1002
; %bb.999:
	v_cmp_ne_u32_e32 vcc, 47, v93
	s_xor_b64 s[20:21], s[6:7], -1
	s_and_b64 s[22:23], s[20:21], vcc
	s_and_saveexec_b64 s[20:21], s[22:23]
	s_cbranch_execz .LBB100_1001
; %bb.1000:
	buffer_load_dword v81, off, s[24:27], 0 offset:400 ; 4-byte Folded Reload
	buffer_load_dword v82, off, s[24:27], 0 offset:404 ; 4-byte Folded Reload
	v_ashrrev_i32_e32 v94, 31, v93
	v_lshlrev_b64 v[94:95], 2, v[93:94]
	s_waitcnt vmcnt(1)
	v_add_co_u32_e32 v94, vcc, v81, v94
	s_waitcnt vmcnt(0)
	v_addc_co_u32_e32 v95, vcc, v82, v95, vcc
	global_load_dword v0, v[94:95], off
	global_load_dword v92, v[81:82], off offset:188
	s_waitcnt vmcnt(1)
	global_store_dword v[81:82], v0, off offset:188
	s_waitcnt vmcnt(1)
	global_store_dword v[94:95], v92, off
.LBB100_1001:
	s_or_b64 exec, exec, s[20:21]
	v_mov_b32_e32 v92, v93
	v_mov_b32_e32 v0, v93
.LBB100_1002:
	s_or_b64 exec, exec, s[18:19]
.LBB100_1003:
	s_andn2_saveexec_b64 s[0:1], s[0:1]
	s_cbranch_execz .LBB100_1005
; %bb.1004:
	v_mov_b32_e32 v92, 47
	ds_write2_b64 v90, v[5:6], v[7:8] offset0:96 offset1:97
	ds_write2_b64 v90, v[1:2], v[3:4] offset0:98 offset1:99
	;; [unrolled: 1-line block ×3, first 2 shown]
.LBB100_1005:
	s_or_b64 exec, exec, s[0:1]
	v_cmp_lt_i32_e32 vcc, 47, v92
	s_waitcnt vmcnt(0) lgkmcnt(0)
	s_barrier
	s_and_saveexec_b64 s[0:1], vcc
	s_cbranch_execz .LBB100_1007
; %bb.1006:
	v_mul_f64 v[93:94], v[117:118], v[11:12]
	v_mul_f64 v[11:12], v[119:120], v[11:12]
	v_fma_f64 v[97:98], v[119:120], v[9:10], v[93:94]
	ds_read2_b64 v[93:96], v90 offset0:96 offset1:97
	v_fma_f64 v[9:10], v[117:118], v[9:10], -v[11:12]
	s_waitcnt lgkmcnt(0)
	v_mul_f64 v[11:12], v[95:96], v[97:98]
	v_fma_f64 v[11:12], v[93:94], v[9:10], -v[11:12]
	v_mul_f64 v[93:94], v[93:94], v[97:98]
	v_add_f64 v[5:6], v[5:6], -v[11:12]
	v_fma_f64 v[93:94], v[95:96], v[9:10], v[93:94]
	v_add_f64 v[7:8], v[7:8], -v[93:94]
	ds_read2_b64 v[93:96], v90 offset0:98 offset1:99
	s_waitcnt lgkmcnt(0)
	v_mul_f64 v[11:12], v[95:96], v[97:98]
	v_fma_f64 v[11:12], v[93:94], v[9:10], -v[11:12]
	v_mul_f64 v[93:94], v[93:94], v[97:98]
	v_add_f64 v[1:2], v[1:2], -v[11:12]
	v_fma_f64 v[93:94], v[95:96], v[9:10], v[93:94]
	v_add_f64 v[3:4], v[3:4], -v[93:94]
	ds_read2_b64 v[93:96], v90 offset0:100 offset1:101
	s_waitcnt lgkmcnt(0)
	v_mul_f64 v[11:12], v[95:96], v[97:98]
	v_fma_f64 v[11:12], v[93:94], v[9:10], -v[11:12]
	v_mul_f64 v[93:94], v[93:94], v[97:98]
	v_add_f64 v[121:122], v[121:122], -v[11:12]
	v_fma_f64 v[93:94], v[95:96], v[9:10], v[93:94]
	v_mov_b32_e32 v11, v97
	v_mov_b32_e32 v12, v98
	v_add_f64 v[123:124], v[123:124], -v[93:94]
.LBB100_1007:
	s_or_b64 exec, exec, s[0:1]
	v_lshl_add_u32 v93, v92, 4, v90
	s_barrier
	ds_write2_b64 v93, v[5:6], v[7:8] offset1:1
	s_waitcnt lgkmcnt(0)
	s_barrier
	ds_read2_b64 v[117:120], v90 offset0:96 offset1:97
	s_cmp_lt_i32 s3, 50
	v_mov_b32_e32 v93, 48
	s_cbranch_scc1 .LBB100_1010
; %bb.1008:
	v_add_u32_e32 v94, 0x310, v90
	s_mov_b32 s0, 49
	v_mov_b32_e32 v93, 48
.LBB100_1009:                           ; =>This Inner Loop Header: Depth=1
	s_waitcnt lgkmcnt(0)
	v_cmp_gt_f64_e32 vcc, 0, v[117:118]
	v_xor_b32_e32 v99, 0x80000000, v118
	ds_read2_b64 v[95:98], v94 offset1:1
	v_xor_b32_e32 v101, 0x80000000, v120
	v_add_u32_e32 v94, 16, v94
	s_waitcnt lgkmcnt(0)
	v_xor_b32_e32 v103, 0x80000000, v98
	v_cndmask_b32_e32 v100, v118, v99, vcc
	v_cmp_gt_f64_e32 vcc, 0, v[119:120]
	v_mov_b32_e32 v99, v117
	v_cndmask_b32_e32 v102, v120, v101, vcc
	v_cmp_gt_f64_e32 vcc, 0, v[95:96]
	v_mov_b32_e32 v101, v119
	v_add_f64 v[99:100], v[99:100], v[101:102]
	v_xor_b32_e32 v101, 0x80000000, v96
	v_cndmask_b32_e32 v102, v96, v101, vcc
	v_cmp_gt_f64_e32 vcc, 0, v[97:98]
	v_mov_b32_e32 v101, v95
	v_cndmask_b32_e32 v104, v98, v103, vcc
	v_mov_b32_e32 v103, v97
	v_add_f64 v[101:102], v[101:102], v[103:104]
	v_cmp_lt_f64_e32 vcc, v[99:100], v[101:102]
	v_cndmask_b32_e32 v117, v117, v95, vcc
	v_mov_b32_e32 v95, s0
	s_add_i32 s0, s0, 1
	v_cndmask_b32_e32 v118, v118, v96, vcc
	v_cndmask_b32_e32 v120, v120, v98, vcc
	;; [unrolled: 1-line block ×4, first 2 shown]
	s_cmp_lg_u32 s3, s0
	s_cbranch_scc1 .LBB100_1009
.LBB100_1010:
	s_waitcnt lgkmcnt(0)
	v_cmp_eq_f64_e32 vcc, 0, v[117:118]
	v_cmp_eq_f64_e64 s[0:1], 0, v[119:120]
	s_and_b64 s[0:1], vcc, s[0:1]
	s_and_saveexec_b64 s[18:19], s[0:1]
	s_xor_b64 s[0:1], exec, s[18:19]
; %bb.1011:
	v_cmp_ne_u32_e32 vcc, 0, v91
	v_cndmask_b32_e32 v91, 49, v91, vcc
; %bb.1012:
	s_andn2_saveexec_b64 s[0:1], s[0:1]
	s_cbranch_execz .LBB100_1018
; %bb.1013:
	v_cmp_ngt_f64_e64 s[18:19], |v[117:118]|, |v[119:120]|
	s_and_saveexec_b64 s[20:21], s[18:19]
	s_xor_b64 s[18:19], exec, s[20:21]
	s_cbranch_execz .LBB100_1015
; %bb.1014:
	v_div_scale_f64 v[94:95], s[20:21], v[119:120], v[119:120], v[117:118]
	v_rcp_f64_e32 v[96:97], v[94:95]
	v_fma_f64 v[98:99], -v[94:95], v[96:97], 1.0
	v_fma_f64 v[96:97], v[96:97], v[98:99], v[96:97]
	v_div_scale_f64 v[98:99], vcc, v[117:118], v[119:120], v[117:118]
	v_fma_f64 v[100:101], -v[94:95], v[96:97], 1.0
	v_fma_f64 v[96:97], v[96:97], v[100:101], v[96:97]
	v_mul_f64 v[100:101], v[98:99], v[96:97]
	v_fma_f64 v[94:95], -v[94:95], v[100:101], v[98:99]
	v_div_fmas_f64 v[94:95], v[94:95], v[96:97], v[100:101]
	v_div_fixup_f64 v[94:95], v[94:95], v[119:120], v[117:118]
	v_fma_f64 v[96:97], v[117:118], v[94:95], v[119:120]
	v_div_scale_f64 v[98:99], s[20:21], v[96:97], v[96:97], 1.0
	v_div_scale_f64 v[104:105], vcc, 1.0, v[96:97], 1.0
	v_rcp_f64_e32 v[100:101], v[98:99]
	v_fma_f64 v[102:103], -v[98:99], v[100:101], 1.0
	v_fma_f64 v[100:101], v[100:101], v[102:103], v[100:101]
	v_fma_f64 v[102:103], -v[98:99], v[100:101], 1.0
	v_fma_f64 v[100:101], v[100:101], v[102:103], v[100:101]
	v_mul_f64 v[102:103], v[104:105], v[100:101]
	v_fma_f64 v[98:99], -v[98:99], v[102:103], v[104:105]
	v_div_fmas_f64 v[98:99], v[98:99], v[100:101], v[102:103]
	v_div_fixup_f64 v[119:120], v[98:99], v[96:97], 1.0
	v_mul_f64 v[117:118], v[94:95], v[119:120]
	v_xor_b32_e32 v120, 0x80000000, v120
.LBB100_1015:
	s_andn2_saveexec_b64 s[18:19], s[18:19]
	s_cbranch_execz .LBB100_1017
; %bb.1016:
	v_div_scale_f64 v[94:95], s[20:21], v[117:118], v[117:118], v[119:120]
	v_rcp_f64_e32 v[96:97], v[94:95]
	v_fma_f64 v[98:99], -v[94:95], v[96:97], 1.0
	v_fma_f64 v[96:97], v[96:97], v[98:99], v[96:97]
	v_div_scale_f64 v[98:99], vcc, v[119:120], v[117:118], v[119:120]
	v_fma_f64 v[100:101], -v[94:95], v[96:97], 1.0
	v_fma_f64 v[96:97], v[96:97], v[100:101], v[96:97]
	v_mul_f64 v[100:101], v[98:99], v[96:97]
	v_fma_f64 v[94:95], -v[94:95], v[100:101], v[98:99]
	v_div_fmas_f64 v[94:95], v[94:95], v[96:97], v[100:101]
	v_div_fixup_f64 v[94:95], v[94:95], v[117:118], v[119:120]
	v_fma_f64 v[96:97], v[119:120], v[94:95], v[117:118]
	v_div_scale_f64 v[98:99], s[20:21], v[96:97], v[96:97], 1.0
	v_div_scale_f64 v[104:105], vcc, 1.0, v[96:97], 1.0
	v_rcp_f64_e32 v[100:101], v[98:99]
	v_fma_f64 v[102:103], -v[98:99], v[100:101], 1.0
	v_fma_f64 v[100:101], v[100:101], v[102:103], v[100:101]
	v_fma_f64 v[102:103], -v[98:99], v[100:101], 1.0
	v_fma_f64 v[100:101], v[100:101], v[102:103], v[100:101]
	v_mul_f64 v[102:103], v[104:105], v[100:101]
	v_fma_f64 v[98:99], -v[98:99], v[102:103], v[104:105]
	v_div_fmas_f64 v[98:99], v[98:99], v[100:101], v[102:103]
	v_div_fixup_f64 v[117:118], v[98:99], v[96:97], 1.0
	v_mul_f64 v[119:120], v[94:95], -v[117:118]
.LBB100_1017:
	s_or_b64 exec, exec, s[18:19]
.LBB100_1018:
	s_or_b64 exec, exec, s[0:1]
	v_cmp_ne_u32_e32 vcc, v92, v93
	s_and_saveexec_b64 s[0:1], vcc
	s_xor_b64 s[0:1], exec, s[0:1]
	s_cbranch_execz .LBB100_1024
; %bb.1019:
	v_cmp_eq_u32_e32 vcc, 48, v92
	s_and_saveexec_b64 s[18:19], vcc
	s_cbranch_execz .LBB100_1023
; %bb.1020:
	v_cmp_ne_u32_e32 vcc, 48, v93
	s_xor_b64 s[20:21], s[6:7], -1
	s_and_b64 s[22:23], s[20:21], vcc
	s_and_saveexec_b64 s[20:21], s[22:23]
	s_cbranch_execz .LBB100_1022
; %bb.1021:
	buffer_load_dword v81, off, s[24:27], 0 offset:400 ; 4-byte Folded Reload
	buffer_load_dword v82, off, s[24:27], 0 offset:404 ; 4-byte Folded Reload
	v_ashrrev_i32_e32 v94, 31, v93
	v_lshlrev_b64 v[94:95], 2, v[93:94]
	s_waitcnt vmcnt(1)
	v_add_co_u32_e32 v94, vcc, v81, v94
	s_waitcnt vmcnt(0)
	v_addc_co_u32_e32 v95, vcc, v82, v95, vcc
	global_load_dword v0, v[94:95], off
	global_load_dword v92, v[81:82], off offset:192
	s_waitcnt vmcnt(1)
	global_store_dword v[81:82], v0, off offset:192
	s_waitcnt vmcnt(1)
	global_store_dword v[94:95], v92, off
.LBB100_1022:
	s_or_b64 exec, exec, s[20:21]
	v_mov_b32_e32 v92, v93
	v_mov_b32_e32 v0, v93
.LBB100_1023:
	s_or_b64 exec, exec, s[18:19]
.LBB100_1024:
	s_andn2_saveexec_b64 s[0:1], s[0:1]
	s_cbranch_execz .LBB100_1026
; %bb.1025:
	v_mov_b32_e32 v92, 48
	ds_write2_b64 v90, v[1:2], v[3:4] offset0:98 offset1:99
	ds_write2_b64 v90, v[121:122], v[123:124] offset0:100 offset1:101
.LBB100_1026:
	s_or_b64 exec, exec, s[0:1]
	v_cmp_lt_i32_e32 vcc, 48, v92
	s_waitcnt vmcnt(0) lgkmcnt(0)
	s_barrier
	s_and_saveexec_b64 s[0:1], vcc
	s_cbranch_execz .LBB100_1028
; %bb.1027:
	v_mul_f64 v[93:94], v[117:118], v[7:8]
	v_mul_f64 v[7:8], v[119:120], v[7:8]
	v_fma_f64 v[97:98], v[119:120], v[5:6], v[93:94]
	ds_read2_b64 v[93:96], v90 offset0:98 offset1:99
	v_fma_f64 v[5:6], v[117:118], v[5:6], -v[7:8]
	s_waitcnt lgkmcnt(0)
	v_mul_f64 v[7:8], v[95:96], v[97:98]
	v_fma_f64 v[7:8], v[93:94], v[5:6], -v[7:8]
	v_mul_f64 v[93:94], v[93:94], v[97:98]
	v_add_f64 v[1:2], v[1:2], -v[7:8]
	v_fma_f64 v[93:94], v[95:96], v[5:6], v[93:94]
	v_add_f64 v[3:4], v[3:4], -v[93:94]
	ds_read2_b64 v[93:96], v90 offset0:100 offset1:101
	s_waitcnt lgkmcnt(0)
	v_mul_f64 v[7:8], v[95:96], v[97:98]
	v_fma_f64 v[7:8], v[93:94], v[5:6], -v[7:8]
	v_mul_f64 v[93:94], v[93:94], v[97:98]
	v_add_f64 v[121:122], v[121:122], -v[7:8]
	v_fma_f64 v[93:94], v[95:96], v[5:6], v[93:94]
	v_mov_b32_e32 v7, v97
	v_mov_b32_e32 v8, v98
	v_add_f64 v[123:124], v[123:124], -v[93:94]
.LBB100_1028:
	s_or_b64 exec, exec, s[0:1]
	v_lshl_add_u32 v93, v92, 4, v90
	s_barrier
	ds_write2_b64 v93, v[1:2], v[3:4] offset1:1
	s_waitcnt lgkmcnt(0)
	s_barrier
	ds_read2_b64 v[117:120], v90 offset0:98 offset1:99
	s_cmp_lt_i32 s3, 51
	v_mov_b32_e32 v93, 49
	s_cbranch_scc1 .LBB100_1031
; %bb.1029:
	v_add_u32_e32 v94, 0x320, v90
	s_mov_b32 s0, 50
	v_mov_b32_e32 v93, 49
.LBB100_1030:                           ; =>This Inner Loop Header: Depth=1
	s_waitcnt lgkmcnt(0)
	v_cmp_gt_f64_e32 vcc, 0, v[117:118]
	v_xor_b32_e32 v99, 0x80000000, v118
	ds_read2_b64 v[95:98], v94 offset1:1
	v_xor_b32_e32 v101, 0x80000000, v120
	v_add_u32_e32 v94, 16, v94
	s_waitcnt lgkmcnt(0)
	v_xor_b32_e32 v103, 0x80000000, v98
	v_cndmask_b32_e32 v100, v118, v99, vcc
	v_cmp_gt_f64_e32 vcc, 0, v[119:120]
	v_mov_b32_e32 v99, v117
	v_cndmask_b32_e32 v102, v120, v101, vcc
	v_cmp_gt_f64_e32 vcc, 0, v[95:96]
	v_mov_b32_e32 v101, v119
	v_add_f64 v[99:100], v[99:100], v[101:102]
	v_xor_b32_e32 v101, 0x80000000, v96
	v_cndmask_b32_e32 v102, v96, v101, vcc
	v_cmp_gt_f64_e32 vcc, 0, v[97:98]
	v_mov_b32_e32 v101, v95
	v_cndmask_b32_e32 v104, v98, v103, vcc
	v_mov_b32_e32 v103, v97
	v_add_f64 v[101:102], v[101:102], v[103:104]
	v_cmp_lt_f64_e32 vcc, v[99:100], v[101:102]
	v_cndmask_b32_e32 v117, v117, v95, vcc
	v_mov_b32_e32 v95, s0
	s_add_i32 s0, s0, 1
	v_cndmask_b32_e32 v118, v118, v96, vcc
	v_cndmask_b32_e32 v120, v120, v98, vcc
	;; [unrolled: 1-line block ×4, first 2 shown]
	s_cmp_lg_u32 s3, s0
	s_cbranch_scc1 .LBB100_1030
.LBB100_1031:
	s_waitcnt lgkmcnt(0)
	v_cmp_eq_f64_e32 vcc, 0, v[117:118]
	v_cmp_eq_f64_e64 s[0:1], 0, v[119:120]
	s_and_b64 s[0:1], vcc, s[0:1]
	s_and_saveexec_b64 s[18:19], s[0:1]
	s_xor_b64 s[0:1], exec, s[18:19]
; %bb.1032:
	v_cmp_ne_u32_e32 vcc, 0, v91
	v_cndmask_b32_e32 v91, 50, v91, vcc
; %bb.1033:
	s_andn2_saveexec_b64 s[0:1], s[0:1]
	s_cbranch_execz .LBB100_1039
; %bb.1034:
	v_cmp_ngt_f64_e64 s[18:19], |v[117:118]|, |v[119:120]|
	s_and_saveexec_b64 s[20:21], s[18:19]
	s_xor_b64 s[18:19], exec, s[20:21]
	s_cbranch_execz .LBB100_1036
; %bb.1035:
	v_div_scale_f64 v[94:95], s[20:21], v[119:120], v[119:120], v[117:118]
	v_rcp_f64_e32 v[96:97], v[94:95]
	v_fma_f64 v[98:99], -v[94:95], v[96:97], 1.0
	v_fma_f64 v[96:97], v[96:97], v[98:99], v[96:97]
	v_div_scale_f64 v[98:99], vcc, v[117:118], v[119:120], v[117:118]
	v_fma_f64 v[100:101], -v[94:95], v[96:97], 1.0
	v_fma_f64 v[96:97], v[96:97], v[100:101], v[96:97]
	v_mul_f64 v[100:101], v[98:99], v[96:97]
	v_fma_f64 v[94:95], -v[94:95], v[100:101], v[98:99]
	v_div_fmas_f64 v[94:95], v[94:95], v[96:97], v[100:101]
	v_div_fixup_f64 v[94:95], v[94:95], v[119:120], v[117:118]
	v_fma_f64 v[96:97], v[117:118], v[94:95], v[119:120]
	v_div_scale_f64 v[98:99], s[20:21], v[96:97], v[96:97], 1.0
	v_div_scale_f64 v[104:105], vcc, 1.0, v[96:97], 1.0
	v_rcp_f64_e32 v[100:101], v[98:99]
	v_fma_f64 v[102:103], -v[98:99], v[100:101], 1.0
	v_fma_f64 v[100:101], v[100:101], v[102:103], v[100:101]
	v_fma_f64 v[102:103], -v[98:99], v[100:101], 1.0
	v_fma_f64 v[100:101], v[100:101], v[102:103], v[100:101]
	v_mul_f64 v[102:103], v[104:105], v[100:101]
	v_fma_f64 v[98:99], -v[98:99], v[102:103], v[104:105]
	v_div_fmas_f64 v[98:99], v[98:99], v[100:101], v[102:103]
	v_div_fixup_f64 v[119:120], v[98:99], v[96:97], 1.0
	v_mul_f64 v[117:118], v[94:95], v[119:120]
	v_xor_b32_e32 v120, 0x80000000, v120
.LBB100_1036:
	s_andn2_saveexec_b64 s[18:19], s[18:19]
	s_cbranch_execz .LBB100_1038
; %bb.1037:
	v_div_scale_f64 v[94:95], s[20:21], v[117:118], v[117:118], v[119:120]
	v_rcp_f64_e32 v[96:97], v[94:95]
	v_fma_f64 v[98:99], -v[94:95], v[96:97], 1.0
	v_fma_f64 v[96:97], v[96:97], v[98:99], v[96:97]
	v_div_scale_f64 v[98:99], vcc, v[119:120], v[117:118], v[119:120]
	v_fma_f64 v[100:101], -v[94:95], v[96:97], 1.0
	v_fma_f64 v[96:97], v[96:97], v[100:101], v[96:97]
	v_mul_f64 v[100:101], v[98:99], v[96:97]
	v_fma_f64 v[94:95], -v[94:95], v[100:101], v[98:99]
	v_div_fmas_f64 v[94:95], v[94:95], v[96:97], v[100:101]
	v_div_fixup_f64 v[94:95], v[94:95], v[117:118], v[119:120]
	v_fma_f64 v[96:97], v[119:120], v[94:95], v[117:118]
	v_div_scale_f64 v[98:99], s[20:21], v[96:97], v[96:97], 1.0
	v_div_scale_f64 v[104:105], vcc, 1.0, v[96:97], 1.0
	v_rcp_f64_e32 v[100:101], v[98:99]
	v_fma_f64 v[102:103], -v[98:99], v[100:101], 1.0
	v_fma_f64 v[100:101], v[100:101], v[102:103], v[100:101]
	v_fma_f64 v[102:103], -v[98:99], v[100:101], 1.0
	v_fma_f64 v[100:101], v[100:101], v[102:103], v[100:101]
	v_mul_f64 v[102:103], v[104:105], v[100:101]
	v_fma_f64 v[98:99], -v[98:99], v[102:103], v[104:105]
	v_div_fmas_f64 v[98:99], v[98:99], v[100:101], v[102:103]
	v_div_fixup_f64 v[117:118], v[98:99], v[96:97], 1.0
	v_mul_f64 v[119:120], v[94:95], -v[117:118]
.LBB100_1038:
	s_or_b64 exec, exec, s[18:19]
.LBB100_1039:
	s_or_b64 exec, exec, s[0:1]
	v_cmp_ne_u32_e32 vcc, v92, v93
	s_and_saveexec_b64 s[0:1], vcc
	s_xor_b64 s[0:1], exec, s[0:1]
	s_cbranch_execz .LBB100_1045
; %bb.1040:
	v_cmp_eq_u32_e32 vcc, 49, v92
	s_and_saveexec_b64 s[18:19], vcc
	s_cbranch_execz .LBB100_1044
; %bb.1041:
	v_cmp_ne_u32_e32 vcc, 49, v93
	s_xor_b64 s[20:21], s[6:7], -1
	s_and_b64 s[22:23], s[20:21], vcc
	s_and_saveexec_b64 s[20:21], s[22:23]
	s_cbranch_execz .LBB100_1043
; %bb.1042:
	buffer_load_dword v81, off, s[24:27], 0 offset:400 ; 4-byte Folded Reload
	buffer_load_dword v82, off, s[24:27], 0 offset:404 ; 4-byte Folded Reload
	v_ashrrev_i32_e32 v94, 31, v93
	v_lshlrev_b64 v[94:95], 2, v[93:94]
	s_waitcnt vmcnt(1)
	v_add_co_u32_e32 v94, vcc, v81, v94
	s_waitcnt vmcnt(0)
	v_addc_co_u32_e32 v95, vcc, v82, v95, vcc
	global_load_dword v0, v[94:95], off
	global_load_dword v92, v[81:82], off offset:196
	s_waitcnt vmcnt(1)
	global_store_dword v[81:82], v0, off offset:196
	s_waitcnt vmcnt(1)
	global_store_dword v[94:95], v92, off
.LBB100_1043:
	s_or_b64 exec, exec, s[20:21]
	v_mov_b32_e32 v92, v93
	v_mov_b32_e32 v0, v93
.LBB100_1044:
	s_or_b64 exec, exec, s[18:19]
.LBB100_1045:
	s_andn2_saveexec_b64 s[0:1], s[0:1]
; %bb.1046:
	v_mov_b32_e32 v92, 49
	ds_write2_b64 v90, v[121:122], v[123:124] offset0:100 offset1:101
; %bb.1047:
	s_or_b64 exec, exec, s[0:1]
	v_cmp_lt_i32_e32 vcc, 49, v92
	s_waitcnt vmcnt(0) lgkmcnt(0)
	s_barrier
	s_and_saveexec_b64 s[0:1], vcc
	s_cbranch_execz .LBB100_1049
; %bb.1048:
	v_mul_f64 v[93:94], v[117:118], v[3:4]
	v_mul_f64 v[3:4], v[119:120], v[3:4]
	v_fma_f64 v[97:98], v[119:120], v[1:2], v[93:94]
	ds_read2_b64 v[93:96], v90 offset0:100 offset1:101
	v_fma_f64 v[1:2], v[117:118], v[1:2], -v[3:4]
	s_waitcnt lgkmcnt(0)
	v_mul_f64 v[3:4], v[95:96], v[97:98]
	v_fma_f64 v[3:4], v[93:94], v[1:2], -v[3:4]
	v_mul_f64 v[93:94], v[93:94], v[97:98]
	v_add_f64 v[121:122], v[121:122], -v[3:4]
	v_fma_f64 v[93:94], v[95:96], v[1:2], v[93:94]
	v_mov_b32_e32 v3, v97
	v_mov_b32_e32 v4, v98
	v_add_f64 v[123:124], v[123:124], -v[93:94]
.LBB100_1049:
	s_or_b64 exec, exec, s[0:1]
	v_lshl_add_u32 v93, v92, 4, v90
	s_barrier
	ds_write2_b64 v93, v[121:122], v[123:124] offset1:1
	s_waitcnt lgkmcnt(0)
	s_barrier
	ds_read2_b64 v[117:120], v90 offset0:100 offset1:101
	s_cmp_lt_i32 s3, 52
	v_mov_b32_e32 v93, 50
	s_cbranch_scc1 .LBB100_1052
; %bb.1050:
	v_add_u32_e32 v90, 0x330, v90
	s_mov_b32 s0, 51
	v_mov_b32_e32 v93, 50
.LBB100_1051:                           ; =>This Inner Loop Header: Depth=1
	s_waitcnt lgkmcnt(0)
	v_cmp_gt_f64_e32 vcc, 0, v[117:118]
	v_xor_b32_e32 v98, 0x80000000, v118
	ds_read2_b64 v[94:97], v90 offset1:1
	v_xor_b32_e32 v100, 0x80000000, v120
	v_add_u32_e32 v90, 16, v90
	s_waitcnt lgkmcnt(0)
	v_xor_b32_e32 v102, 0x80000000, v97
	v_cndmask_b32_e32 v99, v118, v98, vcc
	v_cmp_gt_f64_e32 vcc, 0, v[119:120]
	v_mov_b32_e32 v98, v117
	v_cndmask_b32_e32 v101, v120, v100, vcc
	v_cmp_gt_f64_e32 vcc, 0, v[94:95]
	v_mov_b32_e32 v100, v119
	v_add_f64 v[98:99], v[98:99], v[100:101]
	v_xor_b32_e32 v100, 0x80000000, v95
	v_cndmask_b32_e32 v101, v95, v100, vcc
	v_cmp_gt_f64_e32 vcc, 0, v[96:97]
	v_mov_b32_e32 v100, v94
	v_cndmask_b32_e32 v103, v97, v102, vcc
	v_mov_b32_e32 v102, v96
	v_add_f64 v[100:101], v[100:101], v[102:103]
	v_cmp_lt_f64_e32 vcc, v[98:99], v[100:101]
	v_cndmask_b32_e32 v117, v117, v94, vcc
	v_mov_b32_e32 v94, s0
	s_add_i32 s0, s0, 1
	v_cndmask_b32_e32 v118, v118, v95, vcc
	v_cndmask_b32_e32 v120, v120, v97, vcc
	;; [unrolled: 1-line block ×4, first 2 shown]
	s_cmp_lg_u32 s3, s0
	s_cbranch_scc1 .LBB100_1051
.LBB100_1052:
	s_waitcnt lgkmcnt(0)
	v_cmp_eq_f64_e32 vcc, 0, v[117:118]
	v_cmp_eq_f64_e64 s[0:1], 0, v[119:120]
	s_and_b64 s[0:1], vcc, s[0:1]
	s_and_saveexec_b64 s[18:19], s[0:1]
	s_xor_b64 s[0:1], exec, s[18:19]
; %bb.1053:
	v_cmp_ne_u32_e32 vcc, 0, v91
	v_cndmask_b32_e32 v91, 51, v91, vcc
; %bb.1054:
	s_andn2_saveexec_b64 s[0:1], s[0:1]
	s_cbranch_execz .LBB100_1060
; %bb.1055:
	v_cmp_ngt_f64_e64 s[18:19], |v[117:118]|, |v[119:120]|
	s_and_saveexec_b64 s[20:21], s[18:19]
	s_xor_b64 s[18:19], exec, s[20:21]
	s_cbranch_execz .LBB100_1057
; %bb.1056:
	v_div_scale_f64 v[94:95], s[20:21], v[119:120], v[119:120], v[117:118]
	v_rcp_f64_e32 v[96:97], v[94:95]
	v_fma_f64 v[98:99], -v[94:95], v[96:97], 1.0
	v_fma_f64 v[96:97], v[96:97], v[98:99], v[96:97]
	v_div_scale_f64 v[98:99], vcc, v[117:118], v[119:120], v[117:118]
	v_fma_f64 v[100:101], -v[94:95], v[96:97], 1.0
	v_fma_f64 v[96:97], v[96:97], v[100:101], v[96:97]
	v_mul_f64 v[100:101], v[98:99], v[96:97]
	v_fma_f64 v[94:95], -v[94:95], v[100:101], v[98:99]
	v_div_fmas_f64 v[94:95], v[94:95], v[96:97], v[100:101]
	v_div_fixup_f64 v[94:95], v[94:95], v[119:120], v[117:118]
	v_fma_f64 v[96:97], v[117:118], v[94:95], v[119:120]
	v_div_scale_f64 v[98:99], s[20:21], v[96:97], v[96:97], 1.0
	v_div_scale_f64 v[104:105], vcc, 1.0, v[96:97], 1.0
	v_rcp_f64_e32 v[100:101], v[98:99]
	v_fma_f64 v[102:103], -v[98:99], v[100:101], 1.0
	v_fma_f64 v[100:101], v[100:101], v[102:103], v[100:101]
	v_fma_f64 v[102:103], -v[98:99], v[100:101], 1.0
	v_fma_f64 v[100:101], v[100:101], v[102:103], v[100:101]
	v_mul_f64 v[102:103], v[104:105], v[100:101]
	v_fma_f64 v[98:99], -v[98:99], v[102:103], v[104:105]
	v_div_fmas_f64 v[98:99], v[98:99], v[100:101], v[102:103]
	v_div_fixup_f64 v[119:120], v[98:99], v[96:97], 1.0
	v_mul_f64 v[117:118], v[94:95], v[119:120]
	v_xor_b32_e32 v120, 0x80000000, v120
.LBB100_1057:
	s_andn2_saveexec_b64 s[18:19], s[18:19]
	s_cbranch_execz .LBB100_1059
; %bb.1058:
	v_div_scale_f64 v[94:95], s[20:21], v[117:118], v[117:118], v[119:120]
	v_rcp_f64_e32 v[96:97], v[94:95]
	v_fma_f64 v[98:99], -v[94:95], v[96:97], 1.0
	v_fma_f64 v[96:97], v[96:97], v[98:99], v[96:97]
	v_div_scale_f64 v[98:99], vcc, v[119:120], v[117:118], v[119:120]
	v_fma_f64 v[100:101], -v[94:95], v[96:97], 1.0
	v_fma_f64 v[96:97], v[96:97], v[100:101], v[96:97]
	v_mul_f64 v[100:101], v[98:99], v[96:97]
	v_fma_f64 v[94:95], -v[94:95], v[100:101], v[98:99]
	v_div_fmas_f64 v[94:95], v[94:95], v[96:97], v[100:101]
	v_div_fixup_f64 v[94:95], v[94:95], v[117:118], v[119:120]
	v_fma_f64 v[96:97], v[119:120], v[94:95], v[117:118]
	v_div_scale_f64 v[98:99], s[20:21], v[96:97], v[96:97], 1.0
	v_div_scale_f64 v[104:105], vcc, 1.0, v[96:97], 1.0
	v_rcp_f64_e32 v[100:101], v[98:99]
	v_fma_f64 v[102:103], -v[98:99], v[100:101], 1.0
	v_fma_f64 v[100:101], v[100:101], v[102:103], v[100:101]
	v_fma_f64 v[102:103], -v[98:99], v[100:101], 1.0
	v_fma_f64 v[100:101], v[100:101], v[102:103], v[100:101]
	v_mul_f64 v[102:103], v[104:105], v[100:101]
	v_fma_f64 v[98:99], -v[98:99], v[102:103], v[104:105]
	v_div_fmas_f64 v[98:99], v[98:99], v[100:101], v[102:103]
	v_div_fixup_f64 v[117:118], v[98:99], v[96:97], 1.0
	v_mul_f64 v[119:120], v[94:95], -v[117:118]
.LBB100_1059:
	s_or_b64 exec, exec, s[18:19]
.LBB100_1060:
	s_or_b64 exec, exec, s[0:1]
	v_cmp_ne_u32_e32 vcc, v92, v93
	v_mov_b32_e32 v94, 50
	s_and_saveexec_b64 s[0:1], vcc
	s_cbranch_execz .LBB100_1066
; %bb.1061:
	v_cmp_eq_u32_e32 vcc, 50, v92
	s_and_saveexec_b64 s[18:19], vcc
	s_cbranch_execz .LBB100_1065
; %bb.1062:
	v_cmp_ne_u32_e32 vcc, 50, v93
	s_xor_b64 s[6:7], s[6:7], -1
	s_and_b64 s[20:21], s[6:7], vcc
	s_and_saveexec_b64 s[6:7], s[20:21]
	s_cbranch_execz .LBB100_1064
; %bb.1063:
	buffer_load_dword v81, off, s[24:27], 0 offset:400 ; 4-byte Folded Reload
	buffer_load_dword v82, off, s[24:27], 0 offset:404 ; 4-byte Folded Reload
	v_ashrrev_i32_e32 v94, 31, v93
	v_lshlrev_b64 v[94:95], 2, v[93:94]
	s_waitcnt vmcnt(1)
	v_add_co_u32_e32 v94, vcc, v81, v94
	s_waitcnt vmcnt(0)
	v_addc_co_u32_e32 v95, vcc, v82, v95, vcc
	global_load_dword v0, v[94:95], off
	global_load_dword v90, v[81:82], off offset:200
	s_waitcnt vmcnt(1)
	global_store_dword v[81:82], v0, off offset:200
	s_waitcnt vmcnt(1)
	global_store_dword v[94:95], v90, off
.LBB100_1064:
	s_or_b64 exec, exec, s[6:7]
	v_mov_b32_e32 v92, v93
	v_mov_b32_e32 v0, v93
.LBB100_1065:
	s_or_b64 exec, exec, s[18:19]
	v_mov_b32_e32 v94, v92
.LBB100_1066:
	s_or_b64 exec, exec, s[0:1]
	v_cmp_gt_i32_e32 vcc, 51, v94
	v_ashrrev_i32_e32 v95, 31, v94
	s_waitcnt vmcnt(0)
	s_barrier
	s_barrier
	s_and_saveexec_b64 s[0:1], vcc
	s_cbranch_execz .LBB100_1068
; %bb.1067:
	v_mul_lo_u32 v90, s15, v109
	v_mul_lo_u32 v96, s14, v110
	v_mad_u64_u32 v[92:93], s[6:7], s14, v109, 0
	s_lshl_b64 s[6:7], s[12:13], 2
	v_add3_u32 v0, v0, s17, 1
	v_add3_u32 v93, v93, v96, v90
	v_lshlrev_b64 v[92:93], 2, v[92:93]
	v_mov_b32_e32 v90, s11
	v_add_co_u32_e32 v92, vcc, s10, v92
	v_addc_co_u32_e32 v90, vcc, v90, v93, vcc
	v_mov_b32_e32 v93, s7
	v_add_co_u32_e32 v96, vcc, s6, v92
	v_addc_co_u32_e32 v90, vcc, v90, v93, vcc
	v_lshlrev_b64 v[92:93], 2, v[94:95]
	v_add_co_u32_e32 v92, vcc, v96, v92
	v_addc_co_u32_e32 v93, vcc, v90, v93, vcc
	global_store_dword v[92:93], v0, off
.LBB100_1068:
	s_or_b64 exec, exec, s[0:1]
	v_mov_b32_e32 v81, v85
	v_mov_b32_e32 v82, v86
	v_mov_b32_e32 v83, v87
	v_mov_b32_e32 v84, v88
	v_cmp_eq_u32_e32 vcc, 0, v94
	s_and_saveexec_b64 s[6:7], vcc
	s_cbranch_execz .LBB100_1071
; %bb.1069:
	v_lshlrev_b64 v[92:93], 2, v[109:110]
	v_mov_b32_e32 v0, s5
	v_add_co_u32_e32 v96, vcc, s4, v92
	v_addc_co_u32_e32 v97, vcc, v0, v93, vcc
	global_load_dword v0, v[96:97], off
	v_cmp_ne_u32_e64 s[0:1], 0, v91
	s_waitcnt vmcnt(0)
	v_cmp_eq_u32_e32 vcc, 0, v0
	s_and_b64 s[0:1], vcc, s[0:1]
	s_and_b64 exec, exec, s[0:1]
	s_cbranch_execz .LBB100_1071
; %bb.1070:
	v_add_u32_e32 v0, s17, v91
	global_store_dword v[96:97], v0, off
.LBB100_1071:
	s_or_b64 exec, exec, s[6:7]
	buffer_load_dword v85, off, s[24:27], 0 offset:440 ; 4-byte Folded Reload
	buffer_load_dword v86, off, s[24:27], 0 offset:444 ; 4-byte Folded Reload
	;; [unrolled: 1-line block ×4, first 2 shown]
	v_mul_f64 v[90:91], v[117:118], v[123:124]
	v_mul_f64 v[92:93], v[119:120], v[123:124]
	v_cmp_lt_i32_e32 vcc, 50, v94
	v_mov_b32_e32 v0, s9
	v_fma_f64 v[90:91], v[119:120], v[121:122], v[90:91]
	v_fma_f64 v[92:93], v[117:118], v[121:122], -v[92:93]
	v_cndmask_b32_e32 v120, v124, v91, vcc
	v_cndmask_b32_e32 v119, v123, v90, vcc
	v_lshlrev_b64 v[90:91], 4, v[94:95]
	v_cndmask_b32_e32 v118, v122, v93, vcc
	v_cndmask_b32_e32 v117, v121, v92, vcc
	v_add_co_u32_e32 v90, vcc, v127, v90
	v_addc_co_u32_e32 v91, vcc, v89, v91, vcc
	s_waitcnt vmcnt(0)
	global_store_dwordx4 v[90:91], v[85:88], off
	buffer_load_dword v85, off, s[24:27], 0 offset:424 ; 4-byte Folded Reload
	s_nop 0
	buffer_load_dword v86, off, s[24:27], 0 offset:428 ; 4-byte Folded Reload
	buffer_load_dword v87, off, s[24:27], 0 offset:432 ; 4-byte Folded Reload
	buffer_load_dword v88, off, s[24:27], 0 offset:436 ; 4-byte Folded Reload
	v_add_co_u32_e32 v90, vcc, s8, v90
	v_addc_co_u32_e32 v91, vcc, v91, v0, vcc
	s_waitcnt vmcnt(0)
	global_store_dwordx4 v[90:91], v[85:88], off
	buffer_load_dword v85, off, s[24:27], 0 offset:408 ; 4-byte Folded Reload
	s_nop 0
	buffer_load_dword v86, off, s[24:27], 0 offset:412 ; 4-byte Folded Reload
	buffer_load_dword v87, off, s[24:27], 0 offset:416 ; 4-byte Folded Reload
	;; [unrolled: 1-line block ×3, first 2 shown]
	v_add_u32_e32 v90, s16, v94
	v_ashrrev_i32_e32 v91, 31, v90
	v_lshlrev_b64 v[91:92], 4, v[90:91]
	v_add_u32_e32 v90, s2, v90
	v_add_co_u32_e32 v91, vcc, v127, v91
	v_addc_co_u32_e32 v92, vcc, v89, v92, vcc
	s_waitcnt vmcnt(0)
	global_store_dwordx4 v[91:92], v[85:88], off
	buffer_load_dword v85, off, s[24:27], 0 offset:384 ; 4-byte Folded Reload
	s_nop 0
	buffer_load_dword v86, off, s[24:27], 0 offset:388 ; 4-byte Folded Reload
	buffer_load_dword v87, off, s[24:27], 0 offset:392 ; 4-byte Folded Reload
	buffer_load_dword v88, off, s[24:27], 0 offset:396 ; 4-byte Folded Reload
	v_ashrrev_i32_e32 v91, 31, v90
	v_lshlrev_b64 v[91:92], 4, v[90:91]
	v_add_u32_e32 v90, s2, v90
	v_add_co_u32_e32 v91, vcc, v127, v91
	v_addc_co_u32_e32 v92, vcc, v89, v92, vcc
	s_waitcnt vmcnt(0)
	global_store_dwordx4 v[91:92], v[85:88], off
	buffer_load_dword v85, off, s[24:27], 0 offset:368 ; 4-byte Folded Reload
	s_nop 0
	buffer_load_dword v86, off, s[24:27], 0 offset:372 ; 4-byte Folded Reload
	buffer_load_dword v87, off, s[24:27], 0 offset:376 ; 4-byte Folded Reload
	buffer_load_dword v88, off, s[24:27], 0 offset:380 ; 4-byte Folded Reload
	v_ashrrev_i32_e32 v91, 31, v90
	v_lshlrev_b64 v[91:92], 4, v[90:91]
	v_add_u32_e32 v90, s2, v90
	v_add_co_u32_e32 v91, vcc, v127, v91
	v_addc_co_u32_e32 v92, vcc, v89, v92, vcc
	s_waitcnt vmcnt(0)
	global_store_dwordx4 v[91:92], v[85:88], off
	buffer_load_dword v85, off, s[24:27], 0 offset:352 ; 4-byte Folded Reload
	s_nop 0
	buffer_load_dword v86, off, s[24:27], 0 offset:356 ; 4-byte Folded Reload
	buffer_load_dword v87, off, s[24:27], 0 offset:360 ; 4-byte Folded Reload
	buffer_load_dword v88, off, s[24:27], 0 offset:364 ; 4-byte Folded Reload
	v_ashrrev_i32_e32 v91, 31, v90
	v_lshlrev_b64 v[91:92], 4, v[90:91]
	v_add_u32_e32 v90, s2, v90
	v_add_co_u32_e32 v91, vcc, v127, v91
	v_addc_co_u32_e32 v92, vcc, v89, v92, vcc
	s_waitcnt vmcnt(0)
	global_store_dwordx4 v[91:92], v[85:88], off
	buffer_load_dword v85, off, s[24:27], 0 offset:336 ; 4-byte Folded Reload
	s_nop 0
	buffer_load_dword v86, off, s[24:27], 0 offset:340 ; 4-byte Folded Reload
	buffer_load_dword v87, off, s[24:27], 0 offset:344 ; 4-byte Folded Reload
	buffer_load_dword v88, off, s[24:27], 0 offset:348 ; 4-byte Folded Reload
	v_ashrrev_i32_e32 v91, 31, v90
	v_lshlrev_b64 v[91:92], 4, v[90:91]
	v_add_u32_e32 v90, s2, v90
	v_add_co_u32_e32 v91, vcc, v127, v91
	v_addc_co_u32_e32 v92, vcc, v89, v92, vcc
	s_waitcnt vmcnt(0)
	global_store_dwordx4 v[91:92], v[85:88], off
	buffer_load_dword v85, off, s[24:27], 0 offset:320 ; 4-byte Folded Reload
	s_nop 0
	buffer_load_dword v86, off, s[24:27], 0 offset:324 ; 4-byte Folded Reload
	buffer_load_dword v87, off, s[24:27], 0 offset:328 ; 4-byte Folded Reload
	buffer_load_dword v88, off, s[24:27], 0 offset:332 ; 4-byte Folded Reload
	v_ashrrev_i32_e32 v91, 31, v90
	v_lshlrev_b64 v[91:92], 4, v[90:91]
	v_add_u32_e32 v90, s2, v90
	v_add_co_u32_e32 v91, vcc, v127, v91
	v_addc_co_u32_e32 v92, vcc, v89, v92, vcc
	s_waitcnt vmcnt(0)
	global_store_dwordx4 v[91:92], v[85:88], off
	buffer_load_dword v85, off, s[24:27], 0 offset:304 ; 4-byte Folded Reload
	s_nop 0
	buffer_load_dword v86, off, s[24:27], 0 offset:308 ; 4-byte Folded Reload
	buffer_load_dword v87, off, s[24:27], 0 offset:312 ; 4-byte Folded Reload
	buffer_load_dword v88, off, s[24:27], 0 offset:316 ; 4-byte Folded Reload
	v_ashrrev_i32_e32 v91, 31, v90
	v_lshlrev_b64 v[91:92], 4, v[90:91]
	v_add_u32_e32 v90, s2, v90
	v_add_co_u32_e32 v91, vcc, v127, v91
	v_addc_co_u32_e32 v92, vcc, v89, v92, vcc
	s_waitcnt vmcnt(0)
	global_store_dwordx4 v[91:92], v[85:88], off
	buffer_load_dword v85, off, s[24:27], 0 offset:288 ; 4-byte Folded Reload
	s_nop 0
	buffer_load_dword v86, off, s[24:27], 0 offset:292 ; 4-byte Folded Reload
	buffer_load_dword v87, off, s[24:27], 0 offset:296 ; 4-byte Folded Reload
	buffer_load_dword v88, off, s[24:27], 0 offset:300 ; 4-byte Folded Reload
	v_ashrrev_i32_e32 v91, 31, v90
	v_lshlrev_b64 v[91:92], 4, v[90:91]
	v_add_u32_e32 v90, s2, v90
	v_add_co_u32_e32 v91, vcc, v127, v91
	v_addc_co_u32_e32 v92, vcc, v89, v92, vcc
	s_waitcnt vmcnt(0)
	global_store_dwordx4 v[91:92], v[85:88], off
	buffer_load_dword v85, off, s[24:27], 0 offset:272 ; 4-byte Folded Reload
	s_nop 0
	buffer_load_dword v86, off, s[24:27], 0 offset:276 ; 4-byte Folded Reload
	buffer_load_dword v87, off, s[24:27], 0 offset:280 ; 4-byte Folded Reload
	buffer_load_dword v88, off, s[24:27], 0 offset:284 ; 4-byte Folded Reload
	v_ashrrev_i32_e32 v91, 31, v90
	v_lshlrev_b64 v[91:92], 4, v[90:91]
	v_add_u32_e32 v90, s2, v90
	v_add_co_u32_e32 v91, vcc, v127, v91
	v_addc_co_u32_e32 v92, vcc, v89, v92, vcc
	s_waitcnt vmcnt(0)
	global_store_dwordx4 v[91:92], v[85:88], off
	buffer_load_dword v85, off, s[24:27], 0 offset:256 ; 4-byte Folded Reload
	s_nop 0
	buffer_load_dword v86, off, s[24:27], 0 offset:260 ; 4-byte Folded Reload
	buffer_load_dword v87, off, s[24:27], 0 offset:264 ; 4-byte Folded Reload
	buffer_load_dword v88, off, s[24:27], 0 offset:268 ; 4-byte Folded Reload
	v_ashrrev_i32_e32 v91, 31, v90
	v_lshlrev_b64 v[91:92], 4, v[90:91]
	v_add_u32_e32 v90, s2, v90
	v_add_co_u32_e32 v91, vcc, v127, v91
	v_addc_co_u32_e32 v92, vcc, v89, v92, vcc
	s_waitcnt vmcnt(0)
	global_store_dwordx4 v[91:92], v[85:88], off
	buffer_load_dword v85, off, s[24:27], 0 offset:240 ; 4-byte Folded Reload
	s_nop 0
	buffer_load_dword v86, off, s[24:27], 0 offset:244 ; 4-byte Folded Reload
	buffer_load_dword v87, off, s[24:27], 0 offset:248 ; 4-byte Folded Reload
	buffer_load_dword v88, off, s[24:27], 0 offset:252 ; 4-byte Folded Reload
	v_ashrrev_i32_e32 v91, 31, v90
	v_lshlrev_b64 v[91:92], 4, v[90:91]
	v_add_u32_e32 v90, s2, v90
	v_add_co_u32_e32 v91, vcc, v127, v91
	v_addc_co_u32_e32 v92, vcc, v89, v92, vcc
	s_waitcnt vmcnt(0)
	global_store_dwordx4 v[91:92], v[85:88], off
	buffer_load_dword v85, off, s[24:27], 0 offset:224 ; 4-byte Folded Reload
	s_nop 0
	buffer_load_dword v86, off, s[24:27], 0 offset:228 ; 4-byte Folded Reload
	buffer_load_dword v87, off, s[24:27], 0 offset:232 ; 4-byte Folded Reload
	buffer_load_dword v88, off, s[24:27], 0 offset:236 ; 4-byte Folded Reload
	v_ashrrev_i32_e32 v91, 31, v90
	v_lshlrev_b64 v[91:92], 4, v[90:91]
	v_add_u32_e32 v90, s2, v90
	v_add_co_u32_e32 v91, vcc, v127, v91
	v_addc_co_u32_e32 v92, vcc, v89, v92, vcc
	s_waitcnt vmcnt(0)
	global_store_dwordx4 v[91:92], v[85:88], off
	buffer_load_dword v85, off, s[24:27], 0 offset:208 ; 4-byte Folded Reload
	s_nop 0
	buffer_load_dword v86, off, s[24:27], 0 offset:212 ; 4-byte Folded Reload
	buffer_load_dword v87, off, s[24:27], 0 offset:216 ; 4-byte Folded Reload
	buffer_load_dword v88, off, s[24:27], 0 offset:220 ; 4-byte Folded Reload
	v_ashrrev_i32_e32 v91, 31, v90
	v_lshlrev_b64 v[91:92], 4, v[90:91]
	v_add_u32_e32 v90, s2, v90
	v_add_co_u32_e32 v91, vcc, v127, v91
	v_addc_co_u32_e32 v92, vcc, v89, v92, vcc
	s_waitcnt vmcnt(0)
	global_store_dwordx4 v[91:92], v[85:88], off
	buffer_load_dword v85, off, s[24:27], 0 offset:192 ; 4-byte Folded Reload
	s_nop 0
	buffer_load_dword v86, off, s[24:27], 0 offset:196 ; 4-byte Folded Reload
	buffer_load_dword v87, off, s[24:27], 0 offset:200 ; 4-byte Folded Reload
	buffer_load_dword v88, off, s[24:27], 0 offset:204 ; 4-byte Folded Reload
	v_ashrrev_i32_e32 v91, 31, v90
	v_lshlrev_b64 v[91:92], 4, v[90:91]
	v_add_u32_e32 v90, s2, v90
	v_add_co_u32_e32 v91, vcc, v127, v91
	v_addc_co_u32_e32 v92, vcc, v89, v92, vcc
	s_waitcnt vmcnt(0)
	global_store_dwordx4 v[91:92], v[85:88], off
	buffer_load_dword v85, off, s[24:27], 0 offset:176 ; 4-byte Folded Reload
	s_nop 0
	buffer_load_dword v86, off, s[24:27], 0 offset:180 ; 4-byte Folded Reload
	buffer_load_dword v87, off, s[24:27], 0 offset:184 ; 4-byte Folded Reload
	buffer_load_dword v88, off, s[24:27], 0 offset:188 ; 4-byte Folded Reload
	v_ashrrev_i32_e32 v91, 31, v90
	v_lshlrev_b64 v[91:92], 4, v[90:91]
	v_add_u32_e32 v90, s2, v90
	v_add_co_u32_e32 v91, vcc, v127, v91
	v_addc_co_u32_e32 v92, vcc, v89, v92, vcc
	s_waitcnt vmcnt(0)
	global_store_dwordx4 v[91:92], v[85:88], off
	buffer_load_dword v85, off, s[24:27], 0 offset:160 ; 4-byte Folded Reload
	s_nop 0
	buffer_load_dword v86, off, s[24:27], 0 offset:164 ; 4-byte Folded Reload
	buffer_load_dword v87, off, s[24:27], 0 offset:168 ; 4-byte Folded Reload
	buffer_load_dword v88, off, s[24:27], 0 offset:172 ; 4-byte Folded Reload
	v_ashrrev_i32_e32 v91, 31, v90
	v_lshlrev_b64 v[91:92], 4, v[90:91]
	v_add_u32_e32 v90, s2, v90
	v_add_co_u32_e32 v91, vcc, v127, v91
	v_addc_co_u32_e32 v92, vcc, v89, v92, vcc
	s_waitcnt vmcnt(0)
	global_store_dwordx4 v[91:92], v[85:88], off
	buffer_load_dword v85, off, s[24:27], 0 offset:144 ; 4-byte Folded Reload
	s_nop 0
	buffer_load_dword v86, off, s[24:27], 0 offset:148 ; 4-byte Folded Reload
	buffer_load_dword v87, off, s[24:27], 0 offset:152 ; 4-byte Folded Reload
	buffer_load_dword v88, off, s[24:27], 0 offset:156 ; 4-byte Folded Reload
	v_ashrrev_i32_e32 v91, 31, v90
	v_lshlrev_b64 v[91:92], 4, v[90:91]
	v_add_u32_e32 v90, s2, v90
	v_add_co_u32_e32 v91, vcc, v127, v91
	v_addc_co_u32_e32 v92, vcc, v89, v92, vcc
	s_waitcnt vmcnt(0)
	global_store_dwordx4 v[91:92], v[85:88], off
	buffer_load_dword v85, off, s[24:27], 0 offset:128 ; 4-byte Folded Reload
	s_nop 0
	buffer_load_dword v86, off, s[24:27], 0 offset:132 ; 4-byte Folded Reload
	buffer_load_dword v87, off, s[24:27], 0 offset:136 ; 4-byte Folded Reload
	buffer_load_dword v88, off, s[24:27], 0 offset:140 ; 4-byte Folded Reload
	v_ashrrev_i32_e32 v91, 31, v90
	v_lshlrev_b64 v[91:92], 4, v[90:91]
	v_add_u32_e32 v90, s2, v90
	v_add_co_u32_e32 v91, vcc, v127, v91
	v_addc_co_u32_e32 v92, vcc, v89, v92, vcc
	s_waitcnt vmcnt(0)
	global_store_dwordx4 v[91:92], v[85:88], off
	buffer_load_dword v85, off, s[24:27], 0 offset:112 ; 4-byte Folded Reload
	s_nop 0
	buffer_load_dword v86, off, s[24:27], 0 offset:116 ; 4-byte Folded Reload
	buffer_load_dword v87, off, s[24:27], 0 offset:120 ; 4-byte Folded Reload
	buffer_load_dword v88, off, s[24:27], 0 offset:124 ; 4-byte Folded Reload
	v_ashrrev_i32_e32 v91, 31, v90
	v_lshlrev_b64 v[91:92], 4, v[90:91]
	v_add_u32_e32 v90, s2, v90
	v_add_co_u32_e32 v91, vcc, v127, v91
	v_addc_co_u32_e32 v92, vcc, v89, v92, vcc
	s_waitcnt vmcnt(0)
	global_store_dwordx4 v[91:92], v[85:88], off
	buffer_load_dword v85, off, s[24:27], 0 offset:96 ; 4-byte Folded Reload
	s_nop 0
	buffer_load_dword v86, off, s[24:27], 0 offset:100 ; 4-byte Folded Reload
	buffer_load_dword v87, off, s[24:27], 0 offset:104 ; 4-byte Folded Reload
	buffer_load_dword v88, off, s[24:27], 0 offset:108 ; 4-byte Folded Reload
	v_ashrrev_i32_e32 v91, 31, v90
	v_lshlrev_b64 v[91:92], 4, v[90:91]
	v_add_u32_e32 v90, s2, v90
	v_add_co_u32_e32 v91, vcc, v127, v91
	v_addc_co_u32_e32 v92, vcc, v89, v92, vcc
	s_waitcnt vmcnt(0)
	global_store_dwordx4 v[91:92], v[85:88], off
	buffer_load_dword v85, off, s[24:27], 0 offset:80 ; 4-byte Folded Reload
	s_nop 0
	buffer_load_dword v86, off, s[24:27], 0 offset:84 ; 4-byte Folded Reload
	buffer_load_dword v87, off, s[24:27], 0 offset:88 ; 4-byte Folded Reload
	buffer_load_dword v88, off, s[24:27], 0 offset:92 ; 4-byte Folded Reload
	v_ashrrev_i32_e32 v91, 31, v90
	v_lshlrev_b64 v[91:92], 4, v[90:91]
	v_add_u32_e32 v90, s2, v90
	v_add_co_u32_e32 v91, vcc, v127, v91
	v_addc_co_u32_e32 v92, vcc, v89, v92, vcc
	s_waitcnt vmcnt(0)
	global_store_dwordx4 v[91:92], v[85:88], off
	buffer_load_dword v85, off, s[24:27], 0 offset:64 ; 4-byte Folded Reload
	s_nop 0
	buffer_load_dword v86, off, s[24:27], 0 offset:68 ; 4-byte Folded Reload
	buffer_load_dword v87, off, s[24:27], 0 offset:72 ; 4-byte Folded Reload
	buffer_load_dword v88, off, s[24:27], 0 offset:76 ; 4-byte Folded Reload
	v_ashrrev_i32_e32 v91, 31, v90
	v_lshlrev_b64 v[91:92], 4, v[90:91]
	v_add_u32_e32 v90, s2, v90
	v_add_co_u32_e32 v91, vcc, v127, v91
	v_addc_co_u32_e32 v92, vcc, v89, v92, vcc
	s_waitcnt vmcnt(0)
	global_store_dwordx4 v[91:92], v[85:88], off
	buffer_load_dword v85, off, s[24:27], 0 offset:48 ; 4-byte Folded Reload
	s_nop 0
	buffer_load_dword v86, off, s[24:27], 0 offset:52 ; 4-byte Folded Reload
	buffer_load_dword v87, off, s[24:27], 0 offset:56 ; 4-byte Folded Reload
	buffer_load_dword v88, off, s[24:27], 0 offset:60 ; 4-byte Folded Reload
	v_ashrrev_i32_e32 v91, 31, v90
	v_lshlrev_b64 v[91:92], 4, v[90:91]
	v_add_u32_e32 v90, s2, v90
	v_add_co_u32_e32 v91, vcc, v127, v91
	v_addc_co_u32_e32 v92, vcc, v89, v92, vcc
	s_waitcnt vmcnt(0)
	global_store_dwordx4 v[91:92], v[85:88], off
	buffer_load_dword v85, off, s[24:27], 0 offset:32 ; 4-byte Folded Reload
	s_nop 0
	buffer_load_dword v86, off, s[24:27], 0 offset:36 ; 4-byte Folded Reload
	buffer_load_dword v87, off, s[24:27], 0 offset:40 ; 4-byte Folded Reload
	buffer_load_dword v88, off, s[24:27], 0 offset:44 ; 4-byte Folded Reload
	v_ashrrev_i32_e32 v91, 31, v90
	v_lshlrev_b64 v[91:92], 4, v[90:91]
	v_add_u32_e32 v90, s2, v90
	v_add_co_u32_e32 v91, vcc, v127, v91
	v_addc_co_u32_e32 v92, vcc, v89, v92, vcc
	s_waitcnt vmcnt(0)
	global_store_dwordx4 v[91:92], v[85:88], off
	buffer_load_dword v85, off, s[24:27], 0 offset:16 ; 4-byte Folded Reload
	s_nop 0
	buffer_load_dword v86, off, s[24:27], 0 offset:20 ; 4-byte Folded Reload
	buffer_load_dword v87, off, s[24:27], 0 offset:24 ; 4-byte Folded Reload
	buffer_load_dword v88, off, s[24:27], 0 offset:28 ; 4-byte Folded Reload
	v_ashrrev_i32_e32 v91, 31, v90
	v_lshlrev_b64 v[91:92], 4, v[90:91]
	v_add_u32_e32 v90, s2, v90
	v_add_co_u32_e32 v91, vcc, v127, v91
	v_addc_co_u32_e32 v92, vcc, v89, v92, vcc
	s_waitcnt vmcnt(0)
	global_store_dwordx4 v[91:92], v[85:88], off
	buffer_load_dword v85, off, s[24:27], 0 ; 4-byte Folded Reload
	s_nop 0
	buffer_load_dword v86, off, s[24:27], 0 offset:4 ; 4-byte Folded Reload
	buffer_load_dword v87, off, s[24:27], 0 offset:8 ; 4-byte Folded Reload
	;; [unrolled: 1-line block ×3, first 2 shown]
	v_ashrrev_i32_e32 v91, 31, v90
	v_lshlrev_b64 v[91:92], 4, v[90:91]
	v_add_u32_e32 v90, s2, v90
	v_add_co_u32_e32 v91, vcc, v127, v91
	v_addc_co_u32_e32 v92, vcc, v89, v92, vcc
	s_waitcnt vmcnt(0)
	global_store_dwordx4 v[91:92], v[85:88], off
	v_ashrrev_i32_e32 v91, 31, v90
	v_lshlrev_b64 v[91:92], 4, v[90:91]
	v_add_u32_e32 v85, s2, v90
	v_ashrrev_i32_e32 v86, 31, v85
	v_add_co_u32_e32 v91, vcc, v127, v91
	v_lshlrev_b64 v[86:87], 4, v[85:86]
	v_addc_co_u32_e32 v92, vcc, v89, v92, vcc
	v_add_co_u32_e32 v86, vcc, v127, v86
	v_addc_co_u32_e32 v87, vcc, v89, v87, vcc
	global_store_dwordx4 v[91:92], v[111:114], off
	global_store_dwordx4 v[86:87], v[81:84], off
	s_nop 0
	v_add_u32_e32 v81, s2, v85
	v_ashrrev_i32_e32 v82, 31, v81
	v_lshlrev_b64 v[82:83], 4, v[81:82]
	v_add_co_u32_e32 v82, vcc, v127, v82
	v_addc_co_u32_e32 v83, vcc, v89, v83, vcc
	global_store_dwordx4 v[82:83], v[77:80], off
	s_nop 0
	v_add_u32_e32 v77, s2, v81
	v_ashrrev_i32_e32 v78, 31, v77
	v_lshlrev_b64 v[78:79], 4, v[77:78]
	v_add_co_u32_e32 v78, vcc, v127, v78
	v_addc_co_u32_e32 v79, vcc, v89, v79, vcc
	global_store_dwordx4 v[78:79], v[73:76], off
	s_nop 0
	v_add_u32_e32 v73, s2, v77
	v_ashrrev_i32_e32 v74, 31, v73
	v_lshlrev_b64 v[74:75], 4, v[73:74]
	v_add_co_u32_e32 v74, vcc, v127, v74
	v_addc_co_u32_e32 v75, vcc, v89, v75, vcc
	global_store_dwordx4 v[74:75], v[69:72], off
	s_nop 0
	v_add_u32_e32 v69, s2, v73
	v_ashrrev_i32_e32 v70, 31, v69
	v_lshlrev_b64 v[70:71], 4, v[69:70]
	v_add_co_u32_e32 v70, vcc, v127, v70
	v_addc_co_u32_e32 v71, vcc, v89, v71, vcc
	global_store_dwordx4 v[70:71], v[65:68], off
	s_nop 0
	v_add_u32_e32 v65, s2, v69
	v_ashrrev_i32_e32 v66, 31, v65
	v_lshlrev_b64 v[66:67], 4, v[65:66]
	v_add_co_u32_e32 v66, vcc, v127, v66
	v_addc_co_u32_e32 v67, vcc, v89, v67, vcc
	global_store_dwordx4 v[66:67], v[61:64], off
	s_nop 0
	v_add_u32_e32 v61, s2, v65
	v_ashrrev_i32_e32 v62, 31, v61
	v_lshlrev_b64 v[62:63], 4, v[61:62]
	v_add_co_u32_e32 v62, vcc, v127, v62
	v_addc_co_u32_e32 v63, vcc, v89, v63, vcc
	global_store_dwordx4 v[62:63], v[57:60], off
	s_nop 0
	v_add_u32_e32 v57, s2, v61
	v_ashrrev_i32_e32 v58, 31, v57
	v_lshlrev_b64 v[58:59], 4, v[57:58]
	v_add_co_u32_e32 v58, vcc, v127, v58
	v_addc_co_u32_e32 v59, vcc, v89, v59, vcc
	global_store_dwordx4 v[58:59], v[53:56], off
	s_nop 0
	v_add_u32_e32 v53, s2, v57
	v_ashrrev_i32_e32 v54, 31, v53
	v_lshlrev_b64 v[54:55], 4, v[53:54]
	v_add_co_u32_e32 v54, vcc, v127, v54
	v_addc_co_u32_e32 v55, vcc, v89, v55, vcc
	global_store_dwordx4 v[54:55], v[49:52], off
	s_nop 0
	v_add_u32_e32 v49, s2, v53
	v_ashrrev_i32_e32 v50, 31, v49
	v_lshlrev_b64 v[50:51], 4, v[49:50]
	v_add_co_u32_e32 v50, vcc, v127, v50
	v_addc_co_u32_e32 v51, vcc, v89, v51, vcc
	global_store_dwordx4 v[50:51], v[45:48], off
	s_nop 0
	v_add_u32_e32 v45, s2, v49
	v_ashrrev_i32_e32 v46, 31, v45
	v_lshlrev_b64 v[46:47], 4, v[45:46]
	v_add_co_u32_e32 v46, vcc, v127, v46
	v_addc_co_u32_e32 v47, vcc, v89, v47, vcc
	global_store_dwordx4 v[46:47], v[41:44], off
	s_nop 0
	v_add_u32_e32 v41, s2, v45
	v_ashrrev_i32_e32 v42, 31, v41
	v_lshlrev_b64 v[42:43], 4, v[41:42]
	v_add_co_u32_e32 v42, vcc, v127, v42
	v_addc_co_u32_e32 v43, vcc, v89, v43, vcc
	global_store_dwordx4 v[42:43], v[37:40], off
	s_nop 0
	v_add_u32_e32 v37, s2, v41
	v_ashrrev_i32_e32 v38, 31, v37
	v_lshlrev_b64 v[38:39], 4, v[37:38]
	v_add_co_u32_e32 v38, vcc, v127, v38
	v_addc_co_u32_e32 v39, vcc, v89, v39, vcc
	global_store_dwordx4 v[38:39], v[33:36], off
	s_nop 0
	v_add_u32_e32 v33, s2, v37
	v_ashrrev_i32_e32 v34, 31, v33
	v_lshlrev_b64 v[34:35], 4, v[33:34]
	v_add_co_u32_e32 v34, vcc, v127, v34
	v_addc_co_u32_e32 v35, vcc, v89, v35, vcc
	global_store_dwordx4 v[34:35], v[29:32], off
	s_nop 0
	v_add_u32_e32 v29, s2, v33
	v_ashrrev_i32_e32 v30, 31, v29
	v_lshlrev_b64 v[30:31], 4, v[29:30]
	v_add_co_u32_e32 v30, vcc, v127, v30
	v_addc_co_u32_e32 v31, vcc, v89, v31, vcc
	global_store_dwordx4 v[30:31], v[25:28], off
	s_nop 0
	v_add_u32_e32 v25, s2, v29
	v_ashrrev_i32_e32 v26, 31, v25
	v_lshlrev_b64 v[26:27], 4, v[25:26]
	v_add_co_u32_e32 v26, vcc, v127, v26
	v_addc_co_u32_e32 v27, vcc, v89, v27, vcc
	global_store_dwordx4 v[26:27], v[21:24], off
	s_nop 0
	v_add_u32_e32 v21, s2, v25
	v_ashrrev_i32_e32 v22, 31, v21
	v_lshlrev_b64 v[22:23], 4, v[21:22]
	v_add_co_u32_e32 v22, vcc, v127, v22
	v_addc_co_u32_e32 v23, vcc, v89, v23, vcc
	global_store_dwordx4 v[22:23], v[17:20], off
	s_nop 0
	v_add_u32_e32 v17, s2, v21
	v_ashrrev_i32_e32 v18, 31, v17
	v_lshlrev_b64 v[18:19], 4, v[17:18]
	v_add_co_u32_e32 v18, vcc, v127, v18
	v_addc_co_u32_e32 v19, vcc, v89, v19, vcc
	global_store_dwordx4 v[18:19], v[13:16], off
	s_nop 0
	v_add_u32_e32 v13, s2, v17
	v_ashrrev_i32_e32 v14, 31, v13
	v_lshlrev_b64 v[14:15], 4, v[13:14]
	v_add_co_u32_e32 v14, vcc, v127, v14
	v_addc_co_u32_e32 v15, vcc, v89, v15, vcc
	global_store_dwordx4 v[14:15], v[9:12], off
	s_nop 0
	v_add_u32_e32 v9, s2, v13
	v_ashrrev_i32_e32 v10, 31, v9
	v_lshlrev_b64 v[10:11], 4, v[9:10]
	v_add_co_u32_e32 v10, vcc, v127, v10
	v_addc_co_u32_e32 v11, vcc, v89, v11, vcc
	global_store_dwordx4 v[10:11], v[5:8], off
	s_nop 0
	v_add_u32_e32 v5, s2, v9
	v_ashrrev_i32_e32 v6, 31, v5
	v_lshlrev_b64 v[6:7], 4, v[5:6]
	v_add_u32_e32 v0, s2, v5
	v_add_co_u32_e32 v6, vcc, v127, v6
	v_addc_co_u32_e32 v7, vcc, v89, v7, vcc
	global_store_dwordx4 v[6:7], v[1:4], off
	s_nop 0
	v_ashrrev_i32_e32 v1, 31, v0
	v_lshlrev_b64 v[0:1], 4, v[0:1]
	v_add_co_u32_e32 v0, vcc, v127, v0
	v_addc_co_u32_e32 v1, vcc, v89, v1, vcc
	global_store_dwordx4 v[0:1], v[117:120], off
.LBB100_1072:
	s_endpgm
	.section	.rodata,"a",@progbits
	.p2align	6, 0x0
	.amdhsa_kernel _ZN9rocsolver6v33100L18getf2_small_kernelILi51E19rocblas_complex_numIdEiiPS3_EEvT1_T3_lS5_lPS5_llPT2_S5_S5_S7_l
		.amdhsa_group_segment_fixed_size 0
		.amdhsa_private_segment_fixed_size 468
		.amdhsa_kernarg_size 352
		.amdhsa_user_sgpr_count 6
		.amdhsa_user_sgpr_private_segment_buffer 1
		.amdhsa_user_sgpr_dispatch_ptr 0
		.amdhsa_user_sgpr_queue_ptr 0
		.amdhsa_user_sgpr_kernarg_segment_ptr 1
		.amdhsa_user_sgpr_dispatch_id 0
		.amdhsa_user_sgpr_flat_scratch_init 0
		.amdhsa_user_sgpr_private_segment_size 0
		.amdhsa_uses_dynamic_stack 0
		.amdhsa_system_sgpr_private_segment_wavefront_offset 1
		.amdhsa_system_sgpr_workgroup_id_x 1
		.amdhsa_system_sgpr_workgroup_id_y 1
		.amdhsa_system_sgpr_workgroup_id_z 0
		.amdhsa_system_sgpr_workgroup_info 0
		.amdhsa_system_vgpr_workitem_id 1
		.amdhsa_next_free_vgpr 128
		.amdhsa_next_free_sgpr 30
		.amdhsa_reserve_vcc 1
		.amdhsa_reserve_flat_scratch 0
		.amdhsa_float_round_mode_32 0
		.amdhsa_float_round_mode_16_64 0
		.amdhsa_float_denorm_mode_32 3
		.amdhsa_float_denorm_mode_16_64 3
		.amdhsa_dx10_clamp 1
		.amdhsa_ieee_mode 1
		.amdhsa_fp16_overflow 0
		.amdhsa_exception_fp_ieee_invalid_op 0
		.amdhsa_exception_fp_denorm_src 0
		.amdhsa_exception_fp_ieee_div_zero 0
		.amdhsa_exception_fp_ieee_overflow 0
		.amdhsa_exception_fp_ieee_underflow 0
		.amdhsa_exception_fp_ieee_inexact 0
		.amdhsa_exception_int_div_zero 0
	.end_amdhsa_kernel
	.section	.text._ZN9rocsolver6v33100L18getf2_small_kernelILi51E19rocblas_complex_numIdEiiPS3_EEvT1_T3_lS5_lPS5_llPT2_S5_S5_S7_l,"axG",@progbits,_ZN9rocsolver6v33100L18getf2_small_kernelILi51E19rocblas_complex_numIdEiiPS3_EEvT1_T3_lS5_lPS5_llPT2_S5_S5_S7_l,comdat
.Lfunc_end100:
	.size	_ZN9rocsolver6v33100L18getf2_small_kernelILi51E19rocblas_complex_numIdEiiPS3_EEvT1_T3_lS5_lPS5_llPT2_S5_S5_S7_l, .Lfunc_end100-_ZN9rocsolver6v33100L18getf2_small_kernelILi51E19rocblas_complex_numIdEiiPS3_EEvT1_T3_lS5_lPS5_llPT2_S5_S5_S7_l
                                        ; -- End function
	.set _ZN9rocsolver6v33100L18getf2_small_kernelILi51E19rocblas_complex_numIdEiiPS3_EEvT1_T3_lS5_lPS5_llPT2_S5_S5_S7_l.num_vgpr, 128
	.set _ZN9rocsolver6v33100L18getf2_small_kernelILi51E19rocblas_complex_numIdEiiPS3_EEvT1_T3_lS5_lPS5_llPT2_S5_S5_S7_l.num_agpr, 0
	.set _ZN9rocsolver6v33100L18getf2_small_kernelILi51E19rocblas_complex_numIdEiiPS3_EEvT1_T3_lS5_lPS5_llPT2_S5_S5_S7_l.numbered_sgpr, 30
	.set _ZN9rocsolver6v33100L18getf2_small_kernelILi51E19rocblas_complex_numIdEiiPS3_EEvT1_T3_lS5_lPS5_llPT2_S5_S5_S7_l.num_named_barrier, 0
	.set _ZN9rocsolver6v33100L18getf2_small_kernelILi51E19rocblas_complex_numIdEiiPS3_EEvT1_T3_lS5_lPS5_llPT2_S5_S5_S7_l.private_seg_size, 468
	.set _ZN9rocsolver6v33100L18getf2_small_kernelILi51E19rocblas_complex_numIdEiiPS3_EEvT1_T3_lS5_lPS5_llPT2_S5_S5_S7_l.uses_vcc, 1
	.set _ZN9rocsolver6v33100L18getf2_small_kernelILi51E19rocblas_complex_numIdEiiPS3_EEvT1_T3_lS5_lPS5_llPT2_S5_S5_S7_l.uses_flat_scratch, 0
	.set _ZN9rocsolver6v33100L18getf2_small_kernelILi51E19rocblas_complex_numIdEiiPS3_EEvT1_T3_lS5_lPS5_llPT2_S5_S5_S7_l.has_dyn_sized_stack, 0
	.set _ZN9rocsolver6v33100L18getf2_small_kernelILi51E19rocblas_complex_numIdEiiPS3_EEvT1_T3_lS5_lPS5_llPT2_S5_S5_S7_l.has_recursion, 0
	.set _ZN9rocsolver6v33100L18getf2_small_kernelILi51E19rocblas_complex_numIdEiiPS3_EEvT1_T3_lS5_lPS5_llPT2_S5_S5_S7_l.has_indirect_call, 0
	.section	.AMDGPU.csdata,"",@progbits
; Kernel info:
; codeLenInByte = 184420
; TotalNumSgprs: 34
; NumVgprs: 128
; ScratchSize: 468
; MemoryBound: 0
; FloatMode: 240
; IeeeMode: 1
; LDSByteSize: 0 bytes/workgroup (compile time only)
; SGPRBlocks: 4
; VGPRBlocks: 31
; NumSGPRsForWavesPerEU: 34
; NumVGPRsForWavesPerEU: 128
; Occupancy: 2
; WaveLimiterHint : 0
; COMPUTE_PGM_RSRC2:SCRATCH_EN: 1
; COMPUTE_PGM_RSRC2:USER_SGPR: 6
; COMPUTE_PGM_RSRC2:TRAP_HANDLER: 0
; COMPUTE_PGM_RSRC2:TGID_X_EN: 1
; COMPUTE_PGM_RSRC2:TGID_Y_EN: 1
; COMPUTE_PGM_RSRC2:TGID_Z_EN: 0
; COMPUTE_PGM_RSRC2:TIDIG_COMP_CNT: 1
	.section	.text._ZN9rocsolver6v33100L23getf2_npvt_small_kernelILi51E19rocblas_complex_numIdEiiPS3_EEvT1_T3_lS5_lPT2_S5_S5_,"axG",@progbits,_ZN9rocsolver6v33100L23getf2_npvt_small_kernelILi51E19rocblas_complex_numIdEiiPS3_EEvT1_T3_lS5_lPT2_S5_S5_,comdat
	.globl	_ZN9rocsolver6v33100L23getf2_npvt_small_kernelILi51E19rocblas_complex_numIdEiiPS3_EEvT1_T3_lS5_lPT2_S5_S5_ ; -- Begin function _ZN9rocsolver6v33100L23getf2_npvt_small_kernelILi51E19rocblas_complex_numIdEiiPS3_EEvT1_T3_lS5_lPT2_S5_S5_
	.p2align	8
	.type	_ZN9rocsolver6v33100L23getf2_npvt_small_kernelILi51E19rocblas_complex_numIdEiiPS3_EEvT1_T3_lS5_lPT2_S5_S5_,@function
_ZN9rocsolver6v33100L23getf2_npvt_small_kernelILi51E19rocblas_complex_numIdEiiPS3_EEvT1_T3_lS5_lPT2_S5_S5_: ; @_ZN9rocsolver6v33100L23getf2_npvt_small_kernelILi51E19rocblas_complex_numIdEiiPS3_EEvT1_T3_lS5_lPT2_S5_S5_
; %bb.0:
	s_mov_b64 s[22:23], s[2:3]
	s_mov_b64 s[20:21], s[0:1]
	s_load_dword s0, s[4:5], 0x44
	s_load_dwordx2 s[12:13], s[4:5], 0x30
	s_add_u32 s20, s20, s8
	s_addc_u32 s21, s21, 0
	s_waitcnt lgkmcnt(0)
	s_lshr_b32 s2, s0, 16
	s_mul_i32 s7, s7, s2
	v_add_u32_e32 v87, s7, v1
	v_cmp_gt_i32_e32 vcc, s12, v87
	s_and_saveexec_b64 s[0:1], vcc
	s_cbranch_execnz .LBB101_1
; %bb.463:
	s_getpc_b64 s[0:1]
.Lpost_getpc15:
	s_add_u32 s0, s0, (.LBB101_462-.Lpost_getpc15)&4294967295
	s_addc_u32 s1, s1, (.LBB101_462-.Lpost_getpc15)>>32
	s_setpc_b64 s[0:1]
.LBB101_1:
	s_load_dwordx4 s[8:11], s[4:5], 0x20
	s_load_dwordx4 s[16:19], s[4:5], 0x8
	v_ashrrev_i32_e32 v88, 31, v87
	s_mulk_i32 s2, 0x330
	s_waitcnt lgkmcnt(0)
	v_mul_lo_u32 v4, s9, v87
	v_mul_lo_u32 v5, s8, v88
	v_mad_u64_u32 v[2:3], s[0:1], s8, v87, 0
	s_load_dword s0, s[4:5], 0x18
	v_mov_b32_e32 v6, s17
	v_add3_u32 v3, v3, v5, v4
	v_lshlrev_b64 v[2:3], 4, v[2:3]
	s_lshl_b64 s[4:5], s[18:19], 4
	v_add_co_u32_e32 v2, vcc, s16, v2
	v_addc_co_u32_e32 v3, vcc, v6, v3, vcc
	v_mov_b32_e32 v4, s5
	v_add_co_u32_e32 v2, vcc, s4, v2
	s_waitcnt lgkmcnt(0)
	s_add_i32 s1, s0, s0
	v_addc_co_u32_e32 v3, vcc, v3, v4, vcc
	v_add_u32_e32 v4, s1, v0
	v_ashrrev_i32_e32 v5, 31, v4
	v_lshlrev_b64 v[5:6], 4, v[4:5]
	v_add_u32_e32 v4, s0, v4
	v_add_co_u32_e32 v91, vcc, v2, v5
	v_ashrrev_i32_e32 v5, 31, v4
	v_addc_co_u32_e32 v92, vcc, v3, v6, vcc
	v_lshlrev_b64 v[5:6], 4, v[4:5]
	v_add_u32_e32 v4, s0, v4
	v_add_co_u32_e32 v63, vcc, v2, v5
	v_ashrrev_i32_e32 v5, 31, v4
	v_addc_co_u32_e32 v64, vcc, v3, v6, vcc
	;; [unrolled: 5-line block ×47, first 2 shown]
	v_lshlrev_b64 v[5:6], 4, v[4:5]
	v_add_u32_e32 v4, s0, v4
	v_add_co_u32_e32 v121, vcc, v2, v5
	v_ashrrev_i32_e32 v5, 31, v4
	v_lshlrev_b64 v[4:5], 4, v[4:5]
	v_addc_co_u32_e32 v122, vcc, v3, v6, vcc
	v_add_co_u32_e32 v123, vcc, v2, v4
	v_addc_co_u32_e32 v124, vcc, v3, v5, vcc
	v_lshlrev_b32_e32 v4, 4, v0
	v_add_co_u32_e32 v4, vcc, v2, v4
	s_ashr_i32 s1, s0, 31
	v_addc_co_u32_e32 v5, vcc, 0, v3, vcc
	s_lshl_b64 s[0:1], s[0:1], 4
	v_mov_b32_e32 v2, s1
	v_add_co_u32_e32 v67, vcc, s0, v4
	v_addc_co_u32_e32 v68, vcc, v5, v2, vcc
	buffer_store_dword v4, off, s[20:23], 0 offset:832 ; 4-byte Folded Spill
	s_nop 0
	buffer_store_dword v5, off, s[20:23], 0 offset:836 ; 4-byte Folded Spill
	s_movk_i32 s0, 0x330
	s_add_i32 s1, s2, 0
	v_mad_u32_u24 v125, v1, s0, 0
	v_lshl_add_u32 v127, v1, 4, s1
	v_cmp_ne_u32_e64 s[2:3], 0, v0
	v_cmp_eq_u32_e64 s[0:1], 0, v0
	global_load_dwordx4 v[1:4], v[4:5], off
	s_waitcnt vmcnt(0)
	buffer_store_dword v1, off, s[20:23], 0 offset:432 ; 4-byte Folded Spill
	s_nop 0
	buffer_store_dword v2, off, s[20:23], 0 offset:436 ; 4-byte Folded Spill
	buffer_store_dword v3, off, s[20:23], 0 offset:440 ; 4-byte Folded Spill
	;; [unrolled: 1-line block ×4, first 2 shown]
	s_nop 0
	buffer_store_dword v68, off, s[20:23], 0 offset:844 ; 4-byte Folded Spill
	global_load_dwordx4 v[1:4], v[67:68], off
	s_waitcnt vmcnt(0)
	buffer_store_dword v1, off, s[20:23], 0 offset:416 ; 4-byte Folded Spill
	s_nop 0
	buffer_store_dword v2, off, s[20:23], 0 offset:420 ; 4-byte Folded Spill
	buffer_store_dword v3, off, s[20:23], 0 offset:424 ; 4-byte Folded Spill
	;; [unrolled: 1-line block ×3, first 2 shown]
	global_load_dwordx4 v[1:4], v[91:92], off
	s_waitcnt vmcnt(0)
	buffer_store_dword v1, off, s[20:23], 0 offset:400 ; 4-byte Folded Spill
	s_nop 0
	buffer_store_dword v2, off, s[20:23], 0 offset:404 ; 4-byte Folded Spill
	buffer_store_dword v3, off, s[20:23], 0 offset:408 ; 4-byte Folded Spill
	buffer_store_dword v4, off, s[20:23], 0 offset:412 ; 4-byte Folded Spill
	buffer_store_dword v63, off, s[20:23], 0 offset:824 ; 4-byte Folded Spill
	s_nop 0
	buffer_store_dword v64, off, s[20:23], 0 offset:828 ; 4-byte Folded Spill
	global_load_dwordx4 v[1:4], v[63:64], off
	s_waitcnt vmcnt(0)
	buffer_store_dword v1, off, s[20:23], 0 offset:384 ; 4-byte Folded Spill
	s_nop 0
	buffer_store_dword v2, off, s[20:23], 0 offset:388 ; 4-byte Folded Spill
	buffer_store_dword v3, off, s[20:23], 0 offset:392 ; 4-byte Folded Spill
	buffer_store_dword v4, off, s[20:23], 0 offset:396 ; 4-byte Folded Spill
	buffer_store_dword v65, off, s[20:23], 0 offset:816 ; 4-byte Folded Spill
	s_nop 0
	buffer_store_dword v66, off, s[20:23], 0 offset:820 ; 4-byte Folded Spill
	;; [unrolled: 10-line block ×3, first 2 shown]
	global_load_dwordx4 v[1:4], v[7:8], off
	s_waitcnt vmcnt(0)
	buffer_store_dword v1, off, s[20:23], 0 offset:352 ; 4-byte Folded Spill
	s_nop 0
	buffer_store_dword v2, off, s[20:23], 0 offset:356 ; 4-byte Folded Spill
	buffer_store_dword v3, off, s[20:23], 0 offset:360 ; 4-byte Folded Spill
	;; [unrolled: 1-line block ×3, first 2 shown]
	global_load_dwordx4 v[1:4], v[85:86], off
	s_waitcnt vmcnt(0)
	buffer_store_dword v1, off, s[20:23], 0 offset:336 ; 4-byte Folded Spill
	s_nop 0
	buffer_store_dword v2, off, s[20:23], 0 offset:340 ; 4-byte Folded Spill
	buffer_store_dword v3, off, s[20:23], 0 offset:344 ; 4-byte Folded Spill
	buffer_store_dword v4, off, s[20:23], 0 offset:348 ; 4-byte Folded Spill
	buffer_store_dword v9, off, s[20:23], 0 offset:472 ; 4-byte Folded Spill
	s_nop 0
	buffer_store_dword v10, off, s[20:23], 0 offset:476 ; 4-byte Folded Spill
	global_load_dwordx4 v[1:4], v[9:10], off
	s_waitcnt vmcnt(0)
	buffer_store_dword v1, off, s[20:23], 0 offset:320 ; 4-byte Folded Spill
	s_nop 0
	buffer_store_dword v2, off, s[20:23], 0 offset:324 ; 4-byte Folded Spill
	buffer_store_dword v3, off, s[20:23], 0 offset:328 ; 4-byte Folded Spill
	buffer_store_dword v4, off, s[20:23], 0 offset:332 ; 4-byte Folded Spill
	buffer_store_dword v11, off, s[20:23], 0 offset:480 ; 4-byte Folded Spill
	s_nop 0
	buffer_store_dword v12, off, s[20:23], 0 offset:484 ; 4-byte Folded Spill
	;; [unrolled: 10-line block ×17, first 2 shown]
	global_load_dwordx4 v[1:4], v[41:42], off
	s_waitcnt vmcnt(0)
	buffer_store_dword v1, off, s[20:23], 0 offset:64 ; 4-byte Folded Spill
	s_nop 0
	buffer_store_dword v2, off, s[20:23], 0 offset:68 ; 4-byte Folded Spill
	buffer_store_dword v3, off, s[20:23], 0 offset:72 ; 4-byte Folded Spill
	buffer_store_dword v4, off, s[20:23], 0 offset:76 ; 4-byte Folded Spill
	global_load_dwordx4 v[1:4], v[81:82], off
	s_waitcnt vmcnt(0)
	buffer_store_dword v1, off, s[20:23], 0 offset:48 ; 4-byte Folded Spill
	s_nop 0
	buffer_store_dword v2, off, s[20:23], 0 offset:52 ; 4-byte Folded Spill
	buffer_store_dword v3, off, s[20:23], 0 offset:56 ; 4-byte Folded Spill
	;; [unrolled: 1-line block ×4, first 2 shown]
	s_nop 0
	buffer_store_dword v44, off, s[20:23], 0 offset:612 ; 4-byte Folded Spill
	global_load_dwordx4 v[69:72], v[43:44], off
	s_nop 0
	buffer_store_dword v45, off, s[20:23], 0 offset:616 ; 4-byte Folded Spill
	s_nop 0
	buffer_store_dword v46, off, s[20:23], 0 offset:620 ; 4-byte Folded Spill
	global_load_dwordx4 v[117:120], v[45:46], off
	s_nop 0
	buffer_store_dword v47, off, s[20:23], 0 offset:624 ; 4-byte Folded Spill
	;; [unrolled: 5-line block ×5, first 2 shown]
	s_nop 0
	buffer_store_dword v54, off, s[20:23], 0 offset:652 ; 4-byte Folded Spill
	global_load_dwordx4 v[5:8], v[53:54], off
	s_waitcnt vmcnt(0)
	buffer_store_dword v5, off, s[20:23], 0 offset:32 ; 4-byte Folded Spill
	s_nop 0
	buffer_store_dword v6, off, s[20:23], 0 offset:36 ; 4-byte Folded Spill
	buffer_store_dword v7, off, s[20:23], 0 offset:40 ; 4-byte Folded Spill
	;; [unrolled: 1-line block ×4, first 2 shown]
	s_nop 0
	buffer_store_dword v56, off, s[20:23], 0 offset:660 ; 4-byte Folded Spill
	global_load_dwordx4 v[5:8], v[55:56], off
	s_waitcnt vmcnt(0)
	buffer_store_dword v5, off, s[20:23], 0 offset:16 ; 4-byte Folded Spill
	s_nop 0
	buffer_store_dword v6, off, s[20:23], 0 offset:20 ; 4-byte Folded Spill
	buffer_store_dword v7, off, s[20:23], 0 offset:24 ; 4-byte Folded Spill
	;; [unrolled: 1-line block ×4, first 2 shown]
	s_nop 0
	buffer_store_dword v58, off, s[20:23], 0 offset:668 ; 4-byte Folded Spill
	global_load_dwordx4 v[5:8], v[57:58], off
	s_waitcnt vmcnt(0)
	buffer_store_dword v5, off, s[20:23], 0 ; 4-byte Folded Spill
	s_nop 0
	buffer_store_dword v6, off, s[20:23], 0 offset:4 ; 4-byte Folded Spill
	buffer_store_dword v7, off, s[20:23], 0 offset:8 ; 4-byte Folded Spill
	;; [unrolled: 1-line block ×4, first 2 shown]
	s_nop 0
	buffer_store_dword v60, off, s[20:23], 0 offset:676 ; 4-byte Folded Spill
	global_load_dwordx4 v[65:68], v[59:60], off
	s_nop 0
	buffer_store_dword v61, off, s[20:23], 0 offset:680 ; 4-byte Folded Spill
	s_nop 0
	buffer_store_dword v62, off, s[20:23], 0 offset:684 ; 4-byte Folded Spill
	global_load_dwordx4 v[61:64], v[61:62], off
	s_nop 0
	buffer_store_dword v83, off, s[20:23], 0 offset:688 ; 4-byte Folded Spill
	;; [unrolled: 5-line block ×6, first 2 shown]
	s_nop 0
	buffer_store_dword v98, off, s[20:23], 0 offset:724 ; 4-byte Folded Spill
	v_mov_b32_e32 v96, v4
	v_mov_b32_e32 v95, v3
	v_mov_b32_e32 v94, v2
	v_mov_b32_e32 v93, v1
	global_load_dwordx4 v[41:44], v[97:98], off
	s_nop 0
	buffer_store_dword v99, off, s[20:23], 0 offset:728 ; 4-byte Folded Spill
	s_nop 0
	buffer_store_dword v100, off, s[20:23], 0 offset:732 ; 4-byte Folded Spill
	global_load_dwordx4 v[1:4], v[99:100], off
	s_nop 0
	buffer_store_dword v101, off, s[20:23], 0 offset:736 ; 4-byte Folded Spill
	s_nop 0
	buffer_store_dword v102, off, s[20:23], 0 offset:740 ; 4-byte Folded Spill
	;; [unrolled: 5-line block ×8, first 2 shown]
	v_mov_b32_e32 v112, v12
	v_mov_b32_e32 v111, v11
	;; [unrolled: 1-line block ×4, first 2 shown]
	global_load_dwordx4 v[9:12], v[113:114], off
	s_nop 0
	buffer_store_dword v115, off, s[20:23], 0 offset:792 ; 4-byte Folded Spill
	s_nop 0
	buffer_store_dword v116, off, s[20:23], 0 offset:796 ; 4-byte Folded Spill
	global_load_dwordx4 v[5:8], v[115:116], off
	s_nop 0
	buffer_store_dword v121, off, s[20:23], 0 offset:800 ; 4-byte Folded Spill
	s_nop 0
	buffer_store_dword v122, off, s[20:23], 0 offset:804 ; 4-byte Folded Spill
	v_mov_b32_e32 v116, v40
	v_mov_b32_e32 v115, v39
	;; [unrolled: 1-line block ×4, first 2 shown]
	s_waitcnt vmcnt(26)
	v_mov_b32_e32 v40, v4
	v_mov_b32_e32 v39, v3
	;; [unrolled: 1-line block ×4, first 2 shown]
	global_load_dwordx4 v[1:4], v[121:122], off
	s_nop 0
	buffer_store_dword v123, off, s[20:23], 0 offset:808 ; 4-byte Folded Spill
	s_nop 0
	buffer_store_dword v124, off, s[20:23], 0 offset:812 ; 4-byte Folded Spill
	global_load_dwordx4 v[73:76], v[123:124], off
	v_mov_b32_e32 v124, v72
	v_mov_b32_e32 v123, v71
	;; [unrolled: 1-line block ×4, first 2 shown]
	s_and_saveexec_b64 s[6:7], s[0:1]
	s_cbranch_execz .LBB101_8
; %bb.2:
	buffer_load_dword v69, off, s[20:23], 0 offset:432 ; 4-byte Folded Reload
	buffer_load_dword v70, off, s[20:23], 0 offset:436 ; 4-byte Folded Reload
	;; [unrolled: 1-line block ×4, first 2 shown]
	s_waitcnt vmcnt(0)
	ds_write2_b64 v127, v[69:70], v[71:72] offset1:1
	buffer_load_dword v69, off, s[20:23], 0 offset:416 ; 4-byte Folded Reload
	buffer_load_dword v70, off, s[20:23], 0 offset:420 ; 4-byte Folded Reload
	buffer_load_dword v71, off, s[20:23], 0 offset:424 ; 4-byte Folded Reload
	buffer_load_dword v72, off, s[20:23], 0 offset:428 ; 4-byte Folded Reload
	s_waitcnt vmcnt(0)
	ds_write2_b64 v125, v[69:70], v[71:72] offset0:2 offset1:3
	buffer_load_dword v69, off, s[20:23], 0 offset:400 ; 4-byte Folded Reload
	buffer_load_dword v70, off, s[20:23], 0 offset:404 ; 4-byte Folded Reload
	buffer_load_dword v71, off, s[20:23], 0 offset:408 ; 4-byte Folded Reload
	buffer_load_dword v72, off, s[20:23], 0 offset:412 ; 4-byte Folded Reload
	s_waitcnt vmcnt(0)
	ds_write2_b64 v125, v[69:70], v[71:72] offset0:4 offset1:5
	;; [unrolled: 6-line block ×24, first 2 shown]
	ds_write2_b64 v125, v[121:122], v[123:124] offset0:50 offset1:51
	ds_write2_b64 v125, v[117:118], v[119:120] offset0:52 offset1:53
	;; [unrolled: 1-line block ×5, first 2 shown]
	buffer_load_dword v77, off, s[20:23], 0 offset:32 ; 4-byte Folded Reload
	buffer_load_dword v78, off, s[20:23], 0 offset:36 ; 4-byte Folded Reload
	;; [unrolled: 1-line block ×4, first 2 shown]
	v_mov_b32_e32 v69, v73
	v_mov_b32_e32 v70, v74
	;; [unrolled: 1-line block ×4, first 2 shown]
	s_waitcnt vmcnt(0)
	ds_write2_b64 v125, v[77:78], v[79:80] offset0:60 offset1:61
	buffer_load_dword v73, off, s[20:23], 0 offset:16 ; 4-byte Folded Reload
	buffer_load_dword v74, off, s[20:23], 0 offset:20 ; 4-byte Folded Reload
	;; [unrolled: 1-line block ×4, first 2 shown]
	s_waitcnt vmcnt(0)
	ds_write2_b64 v125, v[73:74], v[75:76] offset0:62 offset1:63
	v_mov_b32_e32 v76, v72
	v_mov_b32_e32 v75, v71
	;; [unrolled: 1-line block ×4, first 2 shown]
	buffer_load_dword v69, off, s[20:23], 0 ; 4-byte Folded Reload
	buffer_load_dword v70, off, s[20:23], 0 offset:4 ; 4-byte Folded Reload
	buffer_load_dword v71, off, s[20:23], 0 offset:8 ; 4-byte Folded Reload
	;; [unrolled: 1-line block ×3, first 2 shown]
	s_waitcnt vmcnt(0)
	ds_write2_b64 v125, v[69:70], v[71:72] offset0:64 offset1:65
	ds_write2_b64 v125, v[65:66], v[67:68] offset0:66 offset1:67
	;; [unrolled: 1-line block ×19, first 2 shown]
	ds_read2_b64 v[97:100], v127 offset1:1
	s_waitcnt lgkmcnt(0)
	v_cmp_neq_f64_e32 vcc, 0, v[97:98]
	v_cmp_neq_f64_e64 s[4:5], 0, v[99:100]
	s_or_b64 s[4:5], vcc, s[4:5]
	s_and_b64 exec, exec, s[4:5]
	s_cbranch_execz .LBB101_8
; %bb.3:
	v_cmp_ngt_f64_e64 s[4:5], |v[97:98]|, |v[99:100]|
                                        ; implicit-def: $vgpr101_vgpr102
	s_and_saveexec_b64 s[8:9], s[4:5]
	s_xor_b64 s[4:5], exec, s[8:9]
                                        ; implicit-def: $vgpr103_vgpr104
	s_cbranch_execz .LBB101_5
; %bb.4:
	v_div_scale_f64 v[101:102], s[8:9], v[99:100], v[99:100], v[97:98]
	v_rcp_f64_e32 v[103:104], v[101:102]
	v_fma_f64 v[105:106], -v[101:102], v[103:104], 1.0
	v_fma_f64 v[103:104], v[103:104], v[105:106], v[103:104]
	v_div_scale_f64 v[105:106], vcc, v[97:98], v[99:100], v[97:98]
	v_fma_f64 v[107:108], -v[101:102], v[103:104], 1.0
	v_fma_f64 v[103:104], v[103:104], v[107:108], v[103:104]
	v_mul_f64 v[107:108], v[105:106], v[103:104]
	v_fma_f64 v[101:102], -v[101:102], v[107:108], v[105:106]
	v_div_fmas_f64 v[101:102], v[101:102], v[103:104], v[107:108]
	v_div_fixup_f64 v[101:102], v[101:102], v[99:100], v[97:98]
	v_fma_f64 v[97:98], v[97:98], v[101:102], v[99:100]
	v_div_scale_f64 v[99:100], s[8:9], v[97:98], v[97:98], 1.0
	v_div_scale_f64 v[107:108], vcc, 1.0, v[97:98], 1.0
	v_rcp_f64_e32 v[103:104], v[99:100]
	v_fma_f64 v[105:106], -v[99:100], v[103:104], 1.0
	v_fma_f64 v[103:104], v[103:104], v[105:106], v[103:104]
	v_fma_f64 v[105:106], -v[99:100], v[103:104], 1.0
	v_fma_f64 v[103:104], v[103:104], v[105:106], v[103:104]
	v_mul_f64 v[105:106], v[107:108], v[103:104]
	v_fma_f64 v[99:100], -v[99:100], v[105:106], v[107:108]
	v_div_fmas_f64 v[99:100], v[99:100], v[103:104], v[105:106]
	v_div_fixup_f64 v[103:104], v[99:100], v[97:98], 1.0
                                        ; implicit-def: $vgpr97_vgpr98
	v_mul_f64 v[101:102], v[101:102], v[103:104]
	v_xor_b32_e32 v104, 0x80000000, v104
.LBB101_5:
	s_andn2_saveexec_b64 s[4:5], s[4:5]
	s_cbranch_execz .LBB101_7
; %bb.6:
	v_div_scale_f64 v[101:102], s[8:9], v[97:98], v[97:98], v[99:100]
	v_rcp_f64_e32 v[103:104], v[101:102]
	v_fma_f64 v[105:106], -v[101:102], v[103:104], 1.0
	v_fma_f64 v[103:104], v[103:104], v[105:106], v[103:104]
	v_div_scale_f64 v[105:106], vcc, v[99:100], v[97:98], v[99:100]
	v_fma_f64 v[107:108], -v[101:102], v[103:104], 1.0
	v_fma_f64 v[103:104], v[103:104], v[107:108], v[103:104]
	v_mul_f64 v[107:108], v[105:106], v[103:104]
	v_fma_f64 v[101:102], -v[101:102], v[107:108], v[105:106]
	v_div_fmas_f64 v[101:102], v[101:102], v[103:104], v[107:108]
	v_div_fixup_f64 v[103:104], v[101:102], v[97:98], v[99:100]
	v_fma_f64 v[97:98], v[99:100], v[103:104], v[97:98]
	v_div_scale_f64 v[99:100], s[8:9], v[97:98], v[97:98], 1.0
	v_div_scale_f64 v[107:108], vcc, 1.0, v[97:98], 1.0
	v_rcp_f64_e32 v[101:102], v[99:100]
	v_fma_f64 v[105:106], -v[99:100], v[101:102], 1.0
	v_fma_f64 v[101:102], v[101:102], v[105:106], v[101:102]
	v_fma_f64 v[105:106], -v[99:100], v[101:102], 1.0
	v_fma_f64 v[101:102], v[101:102], v[105:106], v[101:102]
	v_mul_f64 v[105:106], v[107:108], v[101:102]
	v_fma_f64 v[99:100], -v[99:100], v[105:106], v[107:108]
	v_div_fmas_f64 v[99:100], v[99:100], v[101:102], v[105:106]
	v_div_fixup_f64 v[101:102], v[99:100], v[97:98], 1.0
	v_mul_f64 v[103:104], v[103:104], -v[101:102]
.LBB101_7:
	s_or_b64 exec, exec, s[4:5]
	ds_write2_b64 v127, v[101:102], v[103:104] offset1:1
.LBB101_8:
	s_or_b64 exec, exec, s[6:7]
	s_waitcnt vmcnt(0) lgkmcnt(0)
	s_barrier
	ds_read2_b64 v[69:72], v127 offset1:1
	s_waitcnt lgkmcnt(0)
	buffer_store_dword v69, off, s[20:23], 0 offset:848 ; 4-byte Folded Spill
	s_nop 0
	buffer_store_dword v70, off, s[20:23], 0 offset:852 ; 4-byte Folded Spill
	buffer_store_dword v71, off, s[20:23], 0 offset:856 ; 4-byte Folded Spill
	;; [unrolled: 1-line block ×3, first 2 shown]
	s_and_saveexec_b64 s[4:5], s[2:3]
	s_cbranch_execz .LBB101_10
; %bb.9:
	buffer_load_dword v103, off, s[20:23], 0 offset:432 ; 4-byte Folded Reload
	buffer_load_dword v104, off, s[20:23], 0 offset:436 ; 4-byte Folded Reload
	;; [unrolled: 1-line block ×8, first 2 shown]
	s_waitcnt vmcnt(2)
	v_mul_f64 v[99:100], v[69:70], v[105:106]
	s_waitcnt vmcnt(0)
	v_mul_f64 v[97:98], v[71:72], v[105:106]
	v_fma_f64 v[105:106], v[71:72], v[103:104], v[99:100]
	ds_read2_b64 v[99:102], v125 offset0:2 offset1:3
	v_fma_f64 v[97:98], v[69:70], v[103:104], -v[97:98]
	buffer_load_dword v69, off, s[20:23], 0 offset:416 ; 4-byte Folded Reload
	buffer_load_dword v70, off, s[20:23], 0 offset:420 ; 4-byte Folded Reload
	buffer_load_dword v71, off, s[20:23], 0 offset:424 ; 4-byte Folded Reload
	buffer_load_dword v72, off, s[20:23], 0 offset:428 ; 4-byte Folded Reload
	s_waitcnt lgkmcnt(0)
	v_mul_f64 v[103:104], v[101:102], v[105:106]
	v_fma_f64 v[103:104], v[99:100], v[97:98], -v[103:104]
	v_mul_f64 v[99:100], v[99:100], v[105:106]
	v_fma_f64 v[99:100], v[101:102], v[97:98], v[99:100]
	s_waitcnt vmcnt(2)
	v_add_f64 v[69:70], v[69:70], -v[103:104]
	s_waitcnt vmcnt(0)
	v_add_f64 v[71:72], v[71:72], -v[99:100]
	buffer_store_dword v69, off, s[20:23], 0 offset:416 ; 4-byte Folded Spill
	s_nop 0
	buffer_store_dword v70, off, s[20:23], 0 offset:420 ; 4-byte Folded Spill
	buffer_store_dword v71, off, s[20:23], 0 offset:424 ; 4-byte Folded Spill
	buffer_store_dword v72, off, s[20:23], 0 offset:428 ; 4-byte Folded Spill
	ds_read2_b64 v[99:102], v125 offset0:4 offset1:5
	buffer_load_dword v69, off, s[20:23], 0 offset:400 ; 4-byte Folded Reload
	buffer_load_dword v70, off, s[20:23], 0 offset:404 ; 4-byte Folded Reload
	buffer_load_dword v71, off, s[20:23], 0 offset:408 ; 4-byte Folded Reload
	buffer_load_dword v72, off, s[20:23], 0 offset:412 ; 4-byte Folded Reload
	s_waitcnt lgkmcnt(0)
	v_mul_f64 v[103:104], v[101:102], v[105:106]
	v_fma_f64 v[103:104], v[99:100], v[97:98], -v[103:104]
	v_mul_f64 v[99:100], v[99:100], v[105:106]
	v_fma_f64 v[99:100], v[101:102], v[97:98], v[99:100]
	s_waitcnt vmcnt(2)
	v_add_f64 v[69:70], v[69:70], -v[103:104]
	s_waitcnt vmcnt(0)
	v_add_f64 v[71:72], v[71:72], -v[99:100]
	buffer_store_dword v69, off, s[20:23], 0 offset:400 ; 4-byte Folded Spill
	s_nop 0
	buffer_store_dword v70, off, s[20:23], 0 offset:404 ; 4-byte Folded Spill
	buffer_store_dword v71, off, s[20:23], 0 offset:408 ; 4-byte Folded Spill
	buffer_store_dword v72, off, s[20:23], 0 offset:412 ; 4-byte Folded Spill
	ds_read2_b64 v[99:102], v125 offset0:6 offset1:7
	;; [unrolled: 19-line block ×24, first 2 shown]
	v_mov_b32_e32 v69, v73
	v_mov_b32_e32 v70, v74
	;; [unrolled: 1-line block ×4, first 2 shown]
	s_waitcnt lgkmcnt(0)
	v_mul_f64 v[103:104], v[101:102], v[105:106]
	v_fma_f64 v[103:104], v[99:100], v[97:98], -v[103:104]
	v_mul_f64 v[99:100], v[99:100], v[105:106]
	v_add_f64 v[121:122], v[121:122], -v[103:104]
	v_fma_f64 v[99:100], v[101:102], v[97:98], v[99:100]
	v_add_f64 v[123:124], v[123:124], -v[99:100]
	ds_read2_b64 v[99:102], v125 offset0:52 offset1:53
	s_waitcnt lgkmcnt(0)
	v_mul_f64 v[103:104], v[101:102], v[105:106]
	v_fma_f64 v[103:104], v[99:100], v[97:98], -v[103:104]
	v_mul_f64 v[99:100], v[99:100], v[105:106]
	v_add_f64 v[117:118], v[117:118], -v[103:104]
	v_fma_f64 v[99:100], v[101:102], v[97:98], v[99:100]
	v_add_f64 v[119:120], v[119:120], -v[99:100]
	ds_read2_b64 v[99:102], v125 offset0:54 offset1:55
	;; [unrolled: 8-line block ×5, first 2 shown]
	buffer_load_dword v77, off, s[20:23], 0 offset:32 ; 4-byte Folded Reload
	buffer_load_dword v78, off, s[20:23], 0 offset:36 ; 4-byte Folded Reload
	buffer_load_dword v79, off, s[20:23], 0 offset:40 ; 4-byte Folded Reload
	buffer_load_dword v80, off, s[20:23], 0 offset:44 ; 4-byte Folded Reload
	s_waitcnt lgkmcnt(0)
	v_mul_f64 v[103:104], v[101:102], v[105:106]
	v_fma_f64 v[103:104], v[99:100], v[97:98], -v[103:104]
	v_mul_f64 v[99:100], v[99:100], v[105:106]
	v_fma_f64 v[99:100], v[101:102], v[97:98], v[99:100]
	s_waitcnt vmcnt(2)
	v_add_f64 v[77:78], v[77:78], -v[103:104]
	s_waitcnt vmcnt(0)
	v_add_f64 v[79:80], v[79:80], -v[99:100]
	buffer_store_dword v77, off, s[20:23], 0 offset:32 ; 4-byte Folded Spill
	s_nop 0
	buffer_store_dword v78, off, s[20:23], 0 offset:36 ; 4-byte Folded Spill
	buffer_store_dword v79, off, s[20:23], 0 offset:40 ; 4-byte Folded Spill
	;; [unrolled: 1-line block ×3, first 2 shown]
	ds_read2_b64 v[99:102], v125 offset0:62 offset1:63
	buffer_load_dword v73, off, s[20:23], 0 offset:16 ; 4-byte Folded Reload
	buffer_load_dword v74, off, s[20:23], 0 offset:20 ; 4-byte Folded Reload
	;; [unrolled: 1-line block ×4, first 2 shown]
	s_waitcnt lgkmcnt(0)
	v_mul_f64 v[103:104], v[101:102], v[105:106]
	v_fma_f64 v[103:104], v[99:100], v[97:98], -v[103:104]
	v_mul_f64 v[99:100], v[99:100], v[105:106]
	v_fma_f64 v[99:100], v[101:102], v[97:98], v[99:100]
	s_waitcnt vmcnt(2)
	v_add_f64 v[73:74], v[73:74], -v[103:104]
	s_waitcnt vmcnt(0)
	v_add_f64 v[75:76], v[75:76], -v[99:100]
	buffer_store_dword v73, off, s[20:23], 0 offset:16 ; 4-byte Folded Spill
	s_nop 0
	buffer_store_dword v74, off, s[20:23], 0 offset:20 ; 4-byte Folded Spill
	buffer_store_dword v75, off, s[20:23], 0 offset:24 ; 4-byte Folded Spill
	;; [unrolled: 1-line block ×3, first 2 shown]
	v_mov_b32_e32 v76, v72
	v_mov_b32_e32 v75, v71
	;; [unrolled: 1-line block ×4, first 2 shown]
	ds_read2_b64 v[99:102], v125 offset0:64 offset1:65
	buffer_load_dword v69, off, s[20:23], 0 ; 4-byte Folded Reload
	buffer_load_dword v70, off, s[20:23], 0 offset:4 ; 4-byte Folded Reload
	buffer_load_dword v71, off, s[20:23], 0 offset:8 ; 4-byte Folded Reload
	buffer_load_dword v72, off, s[20:23], 0 offset:12 ; 4-byte Folded Reload
	s_waitcnt lgkmcnt(0)
	v_mul_f64 v[103:104], v[101:102], v[105:106]
	v_fma_f64 v[103:104], v[99:100], v[97:98], -v[103:104]
	v_mul_f64 v[99:100], v[99:100], v[105:106]
	v_fma_f64 v[99:100], v[101:102], v[97:98], v[99:100]
	s_waitcnt vmcnt(2)
	v_add_f64 v[69:70], v[69:70], -v[103:104]
	s_waitcnt vmcnt(0)
	v_add_f64 v[71:72], v[71:72], -v[99:100]
	buffer_store_dword v69, off, s[20:23], 0 ; 4-byte Folded Spill
	s_nop 0
	buffer_store_dword v70, off, s[20:23], 0 offset:4 ; 4-byte Folded Spill
	buffer_store_dword v71, off, s[20:23], 0 offset:8 ; 4-byte Folded Spill
	;; [unrolled: 1-line block ×3, first 2 shown]
	ds_read2_b64 v[99:102], v125 offset0:66 offset1:67
	s_waitcnt lgkmcnt(0)
	v_mul_f64 v[103:104], v[101:102], v[105:106]
	v_fma_f64 v[103:104], v[99:100], v[97:98], -v[103:104]
	v_mul_f64 v[99:100], v[99:100], v[105:106]
	v_add_f64 v[65:66], v[65:66], -v[103:104]
	v_fma_f64 v[99:100], v[101:102], v[97:98], v[99:100]
	v_add_f64 v[67:68], v[67:68], -v[99:100]
	ds_read2_b64 v[99:102], v125 offset0:68 offset1:69
	s_waitcnt lgkmcnt(0)
	v_mul_f64 v[103:104], v[101:102], v[105:106]
	v_fma_f64 v[103:104], v[99:100], v[97:98], -v[103:104]
	v_mul_f64 v[99:100], v[99:100], v[105:106]
	v_add_f64 v[61:62], v[61:62], -v[103:104]
	v_fma_f64 v[99:100], v[101:102], v[97:98], v[99:100]
	v_add_f64 v[63:64], v[63:64], -v[99:100]
	;; [unrolled: 8-line block ×16, first 2 shown]
	ds_read2_b64 v[99:102], v125 offset0:98 offset1:99
	s_waitcnt lgkmcnt(0)
	v_mul_f64 v[103:104], v[101:102], v[105:106]
	v_fma_f64 v[103:104], v[99:100], v[97:98], -v[103:104]
	v_mul_f64 v[99:100], v[99:100], v[105:106]
	v_add_f64 v[1:2], v[1:2], -v[103:104]
	v_fma_f64 v[99:100], v[101:102], v[97:98], v[99:100]
	ds_read2_b64 v[101:104], v125 offset0:100 offset1:101
	v_add_f64 v[3:4], v[3:4], -v[99:100]
	s_waitcnt lgkmcnt(0)
	v_mul_f64 v[99:100], v[103:104], v[105:106]
	v_fma_f64 v[99:100], v[101:102], v[97:98], -v[99:100]
	v_mul_f64 v[101:102], v[101:102], v[105:106]
	v_add_f64 v[73:74], v[73:74], -v[99:100]
	v_fma_f64 v[101:102], v[103:104], v[97:98], v[101:102]
	v_mov_b32_e32 v104, v98
	v_mov_b32_e32 v103, v97
	buffer_store_dword v103, off, s[20:23], 0 offset:432 ; 4-byte Folded Spill
	s_nop 0
	buffer_store_dword v104, off, s[20:23], 0 offset:436 ; 4-byte Folded Spill
	buffer_store_dword v105, off, s[20:23], 0 offset:440 ; 4-byte Folded Spill
	;; [unrolled: 1-line block ×3, first 2 shown]
	v_add_f64 v[75:76], v[75:76], -v[101:102]
.LBB101_10:
	s_or_b64 exec, exec, s[4:5]
	v_cmp_eq_u32_e32 vcc, 1, v0
	s_waitcnt vmcnt(0)
	s_barrier
	s_and_saveexec_b64 s[4:5], vcc
	s_cbranch_execz .LBB101_17
; %bb.11:
	buffer_load_dword v69, off, s[20:23], 0 offset:416 ; 4-byte Folded Reload
	buffer_load_dword v70, off, s[20:23], 0 offset:420 ; 4-byte Folded Reload
	;; [unrolled: 1-line block ×4, first 2 shown]
	s_waitcnt vmcnt(0)
	ds_write2_b64 v127, v[69:70], v[71:72] offset1:1
	buffer_load_dword v69, off, s[20:23], 0 offset:400 ; 4-byte Folded Reload
	buffer_load_dword v70, off, s[20:23], 0 offset:404 ; 4-byte Folded Reload
	buffer_load_dword v71, off, s[20:23], 0 offset:408 ; 4-byte Folded Reload
	buffer_load_dword v72, off, s[20:23], 0 offset:412 ; 4-byte Folded Reload
	s_waitcnt vmcnt(0)
	ds_write2_b64 v125, v[69:70], v[71:72] offset0:4 offset1:5
	buffer_load_dword v69, off, s[20:23], 0 offset:384 ; 4-byte Folded Reload
	buffer_load_dword v70, off, s[20:23], 0 offset:388 ; 4-byte Folded Reload
	buffer_load_dword v71, off, s[20:23], 0 offset:392 ; 4-byte Folded Reload
	buffer_load_dword v72, off, s[20:23], 0 offset:396 ; 4-byte Folded Reload
	s_waitcnt vmcnt(0)
	ds_write2_b64 v125, v[69:70], v[71:72] offset0:6 offset1:7
	;; [unrolled: 6-line block ×23, first 2 shown]
	ds_write2_b64 v125, v[121:122], v[123:124] offset0:50 offset1:51
	ds_write2_b64 v125, v[117:118], v[119:120] offset0:52 offset1:53
	;; [unrolled: 1-line block ×5, first 2 shown]
	buffer_load_dword v77, off, s[20:23], 0 offset:32 ; 4-byte Folded Reload
	buffer_load_dword v78, off, s[20:23], 0 offset:36 ; 4-byte Folded Reload
	;; [unrolled: 1-line block ×4, first 2 shown]
	v_mov_b32_e32 v69, v73
	v_mov_b32_e32 v70, v74
	;; [unrolled: 1-line block ×4, first 2 shown]
	s_waitcnt vmcnt(0)
	ds_write2_b64 v125, v[77:78], v[79:80] offset0:60 offset1:61
	buffer_load_dword v73, off, s[20:23], 0 offset:16 ; 4-byte Folded Reload
	buffer_load_dword v74, off, s[20:23], 0 offset:20 ; 4-byte Folded Reload
	;; [unrolled: 1-line block ×4, first 2 shown]
	s_waitcnt vmcnt(0)
	ds_write2_b64 v125, v[73:74], v[75:76] offset0:62 offset1:63
	v_mov_b32_e32 v76, v72
	v_mov_b32_e32 v75, v71
	;; [unrolled: 1-line block ×4, first 2 shown]
	buffer_load_dword v69, off, s[20:23], 0 ; 4-byte Folded Reload
	buffer_load_dword v70, off, s[20:23], 0 offset:4 ; 4-byte Folded Reload
	buffer_load_dword v71, off, s[20:23], 0 offset:8 ; 4-byte Folded Reload
	;; [unrolled: 1-line block ×3, first 2 shown]
	s_waitcnt vmcnt(0)
	ds_write2_b64 v125, v[69:70], v[71:72] offset0:64 offset1:65
	ds_write2_b64 v125, v[65:66], v[67:68] offset0:66 offset1:67
	;; [unrolled: 1-line block ×19, first 2 shown]
	ds_read2_b64 v[97:100], v127 offset1:1
	s_waitcnt lgkmcnt(0)
	v_cmp_neq_f64_e32 vcc, 0, v[97:98]
	v_cmp_neq_f64_e64 s[2:3], 0, v[99:100]
	s_or_b64 s[2:3], vcc, s[2:3]
	s_and_b64 exec, exec, s[2:3]
	s_cbranch_execz .LBB101_17
; %bb.12:
	v_cmp_ngt_f64_e64 s[2:3], |v[97:98]|, |v[99:100]|
                                        ; implicit-def: $vgpr101_vgpr102
	s_and_saveexec_b64 s[6:7], s[2:3]
	s_xor_b64 s[2:3], exec, s[6:7]
                                        ; implicit-def: $vgpr103_vgpr104
	s_cbranch_execz .LBB101_14
; %bb.13:
	v_div_scale_f64 v[101:102], s[6:7], v[99:100], v[99:100], v[97:98]
	v_rcp_f64_e32 v[103:104], v[101:102]
	v_fma_f64 v[105:106], -v[101:102], v[103:104], 1.0
	v_fma_f64 v[103:104], v[103:104], v[105:106], v[103:104]
	v_div_scale_f64 v[105:106], vcc, v[97:98], v[99:100], v[97:98]
	v_fma_f64 v[107:108], -v[101:102], v[103:104], 1.0
	v_fma_f64 v[103:104], v[103:104], v[107:108], v[103:104]
	v_mul_f64 v[107:108], v[105:106], v[103:104]
	v_fma_f64 v[101:102], -v[101:102], v[107:108], v[105:106]
	v_div_fmas_f64 v[101:102], v[101:102], v[103:104], v[107:108]
	v_div_fixup_f64 v[101:102], v[101:102], v[99:100], v[97:98]
	v_fma_f64 v[97:98], v[97:98], v[101:102], v[99:100]
	v_div_scale_f64 v[99:100], s[6:7], v[97:98], v[97:98], 1.0
	v_div_scale_f64 v[107:108], vcc, 1.0, v[97:98], 1.0
	v_rcp_f64_e32 v[103:104], v[99:100]
	v_fma_f64 v[105:106], -v[99:100], v[103:104], 1.0
	v_fma_f64 v[103:104], v[103:104], v[105:106], v[103:104]
	v_fma_f64 v[105:106], -v[99:100], v[103:104], 1.0
	v_fma_f64 v[103:104], v[103:104], v[105:106], v[103:104]
	v_mul_f64 v[105:106], v[107:108], v[103:104]
	v_fma_f64 v[99:100], -v[99:100], v[105:106], v[107:108]
	v_div_fmas_f64 v[99:100], v[99:100], v[103:104], v[105:106]
	v_div_fixup_f64 v[103:104], v[99:100], v[97:98], 1.0
                                        ; implicit-def: $vgpr97_vgpr98
	v_mul_f64 v[101:102], v[101:102], v[103:104]
	v_xor_b32_e32 v104, 0x80000000, v104
.LBB101_14:
	s_andn2_saveexec_b64 s[2:3], s[2:3]
	s_cbranch_execz .LBB101_16
; %bb.15:
	v_div_scale_f64 v[101:102], s[6:7], v[97:98], v[97:98], v[99:100]
	v_rcp_f64_e32 v[103:104], v[101:102]
	v_fma_f64 v[105:106], -v[101:102], v[103:104], 1.0
	v_fma_f64 v[103:104], v[103:104], v[105:106], v[103:104]
	v_div_scale_f64 v[105:106], vcc, v[99:100], v[97:98], v[99:100]
	v_fma_f64 v[107:108], -v[101:102], v[103:104], 1.0
	v_fma_f64 v[103:104], v[103:104], v[107:108], v[103:104]
	v_mul_f64 v[107:108], v[105:106], v[103:104]
	v_fma_f64 v[101:102], -v[101:102], v[107:108], v[105:106]
	v_div_fmas_f64 v[101:102], v[101:102], v[103:104], v[107:108]
	v_div_fixup_f64 v[103:104], v[101:102], v[97:98], v[99:100]
	v_fma_f64 v[97:98], v[99:100], v[103:104], v[97:98]
	v_div_scale_f64 v[99:100], s[6:7], v[97:98], v[97:98], 1.0
	v_div_scale_f64 v[107:108], vcc, 1.0, v[97:98], 1.0
	v_rcp_f64_e32 v[101:102], v[99:100]
	v_fma_f64 v[105:106], -v[99:100], v[101:102], 1.0
	v_fma_f64 v[101:102], v[101:102], v[105:106], v[101:102]
	v_fma_f64 v[105:106], -v[99:100], v[101:102], 1.0
	v_fma_f64 v[101:102], v[101:102], v[105:106], v[101:102]
	v_mul_f64 v[105:106], v[107:108], v[101:102]
	v_fma_f64 v[99:100], -v[99:100], v[105:106], v[107:108]
	v_div_fmas_f64 v[99:100], v[99:100], v[101:102], v[105:106]
	v_div_fixup_f64 v[101:102], v[99:100], v[97:98], 1.0
	v_mul_f64 v[103:104], v[103:104], -v[101:102]
.LBB101_16:
	s_or_b64 exec, exec, s[2:3]
	ds_write2_b64 v127, v[101:102], v[103:104] offset1:1
.LBB101_17:
	s_or_b64 exec, exec, s[4:5]
	s_waitcnt lgkmcnt(0)
	s_barrier
	ds_read2_b64 v[69:72], v127 offset1:1
	v_cmp_lt_u32_e32 vcc, 1, v0
	s_waitcnt lgkmcnt(0)
	buffer_store_dword v69, off, s[20:23], 0 offset:864 ; 4-byte Folded Spill
	s_nop 0
	buffer_store_dword v70, off, s[20:23], 0 offset:868 ; 4-byte Folded Spill
	buffer_store_dword v71, off, s[20:23], 0 offset:872 ; 4-byte Folded Spill
	;; [unrolled: 1-line block ×3, first 2 shown]
	s_and_saveexec_b64 s[2:3], vcc
	s_cbranch_execz .LBB101_19
; %bb.18:
	buffer_load_dword v103, off, s[20:23], 0 offset:416 ; 4-byte Folded Reload
	buffer_load_dword v104, off, s[20:23], 0 offset:420 ; 4-byte Folded Reload
	;; [unrolled: 1-line block ×8, first 2 shown]
	s_waitcnt vmcnt(2)
	v_mul_f64 v[99:100], v[69:70], v[105:106]
	s_waitcnt vmcnt(0)
	v_mul_f64 v[97:98], v[71:72], v[105:106]
	v_fma_f64 v[105:106], v[71:72], v[103:104], v[99:100]
	ds_read2_b64 v[99:102], v125 offset0:4 offset1:5
	v_fma_f64 v[97:98], v[69:70], v[103:104], -v[97:98]
	buffer_load_dword v69, off, s[20:23], 0 offset:400 ; 4-byte Folded Reload
	buffer_load_dword v70, off, s[20:23], 0 offset:404 ; 4-byte Folded Reload
	buffer_load_dword v71, off, s[20:23], 0 offset:408 ; 4-byte Folded Reload
	buffer_load_dword v72, off, s[20:23], 0 offset:412 ; 4-byte Folded Reload
	s_waitcnt lgkmcnt(0)
	v_mul_f64 v[103:104], v[101:102], v[105:106]
	v_fma_f64 v[103:104], v[99:100], v[97:98], -v[103:104]
	v_mul_f64 v[99:100], v[99:100], v[105:106]
	v_fma_f64 v[99:100], v[101:102], v[97:98], v[99:100]
	s_waitcnt vmcnt(2)
	v_add_f64 v[69:70], v[69:70], -v[103:104]
	s_waitcnt vmcnt(0)
	v_add_f64 v[71:72], v[71:72], -v[99:100]
	buffer_store_dword v69, off, s[20:23], 0 offset:400 ; 4-byte Folded Spill
	s_nop 0
	buffer_store_dword v70, off, s[20:23], 0 offset:404 ; 4-byte Folded Spill
	buffer_store_dword v71, off, s[20:23], 0 offset:408 ; 4-byte Folded Spill
	buffer_store_dword v72, off, s[20:23], 0 offset:412 ; 4-byte Folded Spill
	ds_read2_b64 v[99:102], v125 offset0:6 offset1:7
	buffer_load_dword v69, off, s[20:23], 0 offset:384 ; 4-byte Folded Reload
	buffer_load_dword v70, off, s[20:23], 0 offset:388 ; 4-byte Folded Reload
	buffer_load_dword v71, off, s[20:23], 0 offset:392 ; 4-byte Folded Reload
	buffer_load_dword v72, off, s[20:23], 0 offset:396 ; 4-byte Folded Reload
	s_waitcnt lgkmcnt(0)
	v_mul_f64 v[103:104], v[101:102], v[105:106]
	v_fma_f64 v[103:104], v[99:100], v[97:98], -v[103:104]
	v_mul_f64 v[99:100], v[99:100], v[105:106]
	v_fma_f64 v[99:100], v[101:102], v[97:98], v[99:100]
	s_waitcnt vmcnt(2)
	v_add_f64 v[69:70], v[69:70], -v[103:104]
	s_waitcnt vmcnt(0)
	v_add_f64 v[71:72], v[71:72], -v[99:100]
	buffer_store_dword v69, off, s[20:23], 0 offset:384 ; 4-byte Folded Spill
	s_nop 0
	buffer_store_dword v70, off, s[20:23], 0 offset:388 ; 4-byte Folded Spill
	buffer_store_dword v71, off, s[20:23], 0 offset:392 ; 4-byte Folded Spill
	buffer_store_dword v72, off, s[20:23], 0 offset:396 ; 4-byte Folded Spill
	ds_read2_b64 v[99:102], v125 offset0:8 offset1:9
	;; [unrolled: 19-line block ×23, first 2 shown]
	v_mov_b32_e32 v69, v73
	v_mov_b32_e32 v70, v74
	;; [unrolled: 1-line block ×4, first 2 shown]
	s_waitcnt lgkmcnt(0)
	v_mul_f64 v[103:104], v[101:102], v[105:106]
	v_fma_f64 v[103:104], v[99:100], v[97:98], -v[103:104]
	v_mul_f64 v[99:100], v[99:100], v[105:106]
	v_add_f64 v[121:122], v[121:122], -v[103:104]
	v_fma_f64 v[99:100], v[101:102], v[97:98], v[99:100]
	v_add_f64 v[123:124], v[123:124], -v[99:100]
	ds_read2_b64 v[99:102], v125 offset0:52 offset1:53
	s_waitcnt lgkmcnt(0)
	v_mul_f64 v[103:104], v[101:102], v[105:106]
	v_fma_f64 v[103:104], v[99:100], v[97:98], -v[103:104]
	v_mul_f64 v[99:100], v[99:100], v[105:106]
	v_add_f64 v[117:118], v[117:118], -v[103:104]
	v_fma_f64 v[99:100], v[101:102], v[97:98], v[99:100]
	v_add_f64 v[119:120], v[119:120], -v[99:100]
	ds_read2_b64 v[99:102], v125 offset0:54 offset1:55
	;; [unrolled: 8-line block ×5, first 2 shown]
	buffer_load_dword v77, off, s[20:23], 0 offset:32 ; 4-byte Folded Reload
	buffer_load_dword v78, off, s[20:23], 0 offset:36 ; 4-byte Folded Reload
	;; [unrolled: 1-line block ×4, first 2 shown]
	s_waitcnt lgkmcnt(0)
	v_mul_f64 v[103:104], v[101:102], v[105:106]
	v_fma_f64 v[103:104], v[99:100], v[97:98], -v[103:104]
	v_mul_f64 v[99:100], v[99:100], v[105:106]
	v_fma_f64 v[99:100], v[101:102], v[97:98], v[99:100]
	s_waitcnt vmcnt(2)
	v_add_f64 v[77:78], v[77:78], -v[103:104]
	s_waitcnt vmcnt(0)
	v_add_f64 v[79:80], v[79:80], -v[99:100]
	buffer_store_dword v77, off, s[20:23], 0 offset:32 ; 4-byte Folded Spill
	s_nop 0
	buffer_store_dword v78, off, s[20:23], 0 offset:36 ; 4-byte Folded Spill
	buffer_store_dword v79, off, s[20:23], 0 offset:40 ; 4-byte Folded Spill
	;; [unrolled: 1-line block ×3, first 2 shown]
	ds_read2_b64 v[99:102], v125 offset0:62 offset1:63
	buffer_load_dword v73, off, s[20:23], 0 offset:16 ; 4-byte Folded Reload
	buffer_load_dword v74, off, s[20:23], 0 offset:20 ; 4-byte Folded Reload
	;; [unrolled: 1-line block ×4, first 2 shown]
	s_waitcnt lgkmcnt(0)
	v_mul_f64 v[103:104], v[101:102], v[105:106]
	v_fma_f64 v[103:104], v[99:100], v[97:98], -v[103:104]
	v_mul_f64 v[99:100], v[99:100], v[105:106]
	v_fma_f64 v[99:100], v[101:102], v[97:98], v[99:100]
	s_waitcnt vmcnt(2)
	v_add_f64 v[73:74], v[73:74], -v[103:104]
	s_waitcnt vmcnt(0)
	v_add_f64 v[75:76], v[75:76], -v[99:100]
	buffer_store_dword v73, off, s[20:23], 0 offset:16 ; 4-byte Folded Spill
	s_nop 0
	buffer_store_dword v74, off, s[20:23], 0 offset:20 ; 4-byte Folded Spill
	buffer_store_dword v75, off, s[20:23], 0 offset:24 ; 4-byte Folded Spill
	;; [unrolled: 1-line block ×3, first 2 shown]
	v_mov_b32_e32 v76, v72
	v_mov_b32_e32 v75, v71
	;; [unrolled: 1-line block ×4, first 2 shown]
	ds_read2_b64 v[99:102], v125 offset0:64 offset1:65
	buffer_load_dword v69, off, s[20:23], 0 ; 4-byte Folded Reload
	buffer_load_dword v70, off, s[20:23], 0 offset:4 ; 4-byte Folded Reload
	buffer_load_dword v71, off, s[20:23], 0 offset:8 ; 4-byte Folded Reload
	;; [unrolled: 1-line block ×3, first 2 shown]
	s_waitcnt lgkmcnt(0)
	v_mul_f64 v[103:104], v[101:102], v[105:106]
	v_fma_f64 v[103:104], v[99:100], v[97:98], -v[103:104]
	v_mul_f64 v[99:100], v[99:100], v[105:106]
	v_fma_f64 v[99:100], v[101:102], v[97:98], v[99:100]
	s_waitcnt vmcnt(2)
	v_add_f64 v[69:70], v[69:70], -v[103:104]
	s_waitcnt vmcnt(0)
	v_add_f64 v[71:72], v[71:72], -v[99:100]
	buffer_store_dword v69, off, s[20:23], 0 ; 4-byte Folded Spill
	s_nop 0
	buffer_store_dword v70, off, s[20:23], 0 offset:4 ; 4-byte Folded Spill
	buffer_store_dword v71, off, s[20:23], 0 offset:8 ; 4-byte Folded Spill
	;; [unrolled: 1-line block ×3, first 2 shown]
	ds_read2_b64 v[99:102], v125 offset0:66 offset1:67
	s_waitcnt lgkmcnt(0)
	v_mul_f64 v[103:104], v[101:102], v[105:106]
	v_fma_f64 v[103:104], v[99:100], v[97:98], -v[103:104]
	v_mul_f64 v[99:100], v[99:100], v[105:106]
	v_add_f64 v[65:66], v[65:66], -v[103:104]
	v_fma_f64 v[99:100], v[101:102], v[97:98], v[99:100]
	v_add_f64 v[67:68], v[67:68], -v[99:100]
	ds_read2_b64 v[99:102], v125 offset0:68 offset1:69
	s_waitcnt lgkmcnt(0)
	v_mul_f64 v[103:104], v[101:102], v[105:106]
	v_fma_f64 v[103:104], v[99:100], v[97:98], -v[103:104]
	v_mul_f64 v[99:100], v[99:100], v[105:106]
	v_add_f64 v[61:62], v[61:62], -v[103:104]
	v_fma_f64 v[99:100], v[101:102], v[97:98], v[99:100]
	v_add_f64 v[63:64], v[63:64], -v[99:100]
	;; [unrolled: 8-line block ×16, first 2 shown]
	ds_read2_b64 v[99:102], v125 offset0:98 offset1:99
	s_waitcnt lgkmcnt(0)
	v_mul_f64 v[103:104], v[101:102], v[105:106]
	v_fma_f64 v[103:104], v[99:100], v[97:98], -v[103:104]
	v_mul_f64 v[99:100], v[99:100], v[105:106]
	v_add_f64 v[1:2], v[1:2], -v[103:104]
	v_fma_f64 v[99:100], v[101:102], v[97:98], v[99:100]
	ds_read2_b64 v[101:104], v125 offset0:100 offset1:101
	v_add_f64 v[3:4], v[3:4], -v[99:100]
	s_waitcnt lgkmcnt(0)
	v_mul_f64 v[99:100], v[103:104], v[105:106]
	v_fma_f64 v[99:100], v[101:102], v[97:98], -v[99:100]
	v_mul_f64 v[101:102], v[101:102], v[105:106]
	v_add_f64 v[73:74], v[73:74], -v[99:100]
	v_fma_f64 v[101:102], v[103:104], v[97:98], v[101:102]
	v_mov_b32_e32 v104, v98
	v_mov_b32_e32 v103, v97
	buffer_store_dword v103, off, s[20:23], 0 offset:416 ; 4-byte Folded Spill
	s_nop 0
	buffer_store_dword v104, off, s[20:23], 0 offset:420 ; 4-byte Folded Spill
	buffer_store_dword v105, off, s[20:23], 0 offset:424 ; 4-byte Folded Spill
	;; [unrolled: 1-line block ×3, first 2 shown]
	v_add_f64 v[75:76], v[75:76], -v[101:102]
.LBB101_19:
	s_or_b64 exec, exec, s[2:3]
	v_cmp_eq_u32_e32 vcc, 2, v0
	s_waitcnt vmcnt(0)
	s_barrier
	s_and_saveexec_b64 s[4:5], vcc
	s_cbranch_execz .LBB101_26
; %bb.20:
	buffer_load_dword v69, off, s[20:23], 0 offset:400 ; 4-byte Folded Reload
	buffer_load_dword v70, off, s[20:23], 0 offset:404 ; 4-byte Folded Reload
	;; [unrolled: 1-line block ×4, first 2 shown]
	s_waitcnt vmcnt(0)
	ds_write2_b64 v127, v[69:70], v[71:72] offset1:1
	buffer_load_dword v69, off, s[20:23], 0 offset:384 ; 4-byte Folded Reload
	buffer_load_dword v70, off, s[20:23], 0 offset:388 ; 4-byte Folded Reload
	buffer_load_dword v71, off, s[20:23], 0 offset:392 ; 4-byte Folded Reload
	buffer_load_dword v72, off, s[20:23], 0 offset:396 ; 4-byte Folded Reload
	s_waitcnt vmcnt(0)
	ds_write2_b64 v125, v[69:70], v[71:72] offset0:6 offset1:7
	buffer_load_dword v69, off, s[20:23], 0 offset:368 ; 4-byte Folded Reload
	buffer_load_dword v70, off, s[20:23], 0 offset:372 ; 4-byte Folded Reload
	buffer_load_dword v71, off, s[20:23], 0 offset:376 ; 4-byte Folded Reload
	buffer_load_dword v72, off, s[20:23], 0 offset:380 ; 4-byte Folded Reload
	s_waitcnt vmcnt(0)
	ds_write2_b64 v125, v[69:70], v[71:72] offset0:8 offset1:9
	;; [unrolled: 6-line block ×22, first 2 shown]
	ds_write2_b64 v125, v[121:122], v[123:124] offset0:50 offset1:51
	ds_write2_b64 v125, v[117:118], v[119:120] offset0:52 offset1:53
	;; [unrolled: 1-line block ×5, first 2 shown]
	buffer_load_dword v77, off, s[20:23], 0 offset:32 ; 4-byte Folded Reload
	buffer_load_dword v78, off, s[20:23], 0 offset:36 ; 4-byte Folded Reload
	;; [unrolled: 1-line block ×4, first 2 shown]
	v_mov_b32_e32 v69, v73
	v_mov_b32_e32 v70, v74
	;; [unrolled: 1-line block ×4, first 2 shown]
	s_waitcnt vmcnt(0)
	ds_write2_b64 v125, v[77:78], v[79:80] offset0:60 offset1:61
	buffer_load_dword v73, off, s[20:23], 0 offset:16 ; 4-byte Folded Reload
	buffer_load_dword v74, off, s[20:23], 0 offset:20 ; 4-byte Folded Reload
	;; [unrolled: 1-line block ×4, first 2 shown]
	s_waitcnt vmcnt(0)
	ds_write2_b64 v125, v[73:74], v[75:76] offset0:62 offset1:63
	v_mov_b32_e32 v76, v72
	v_mov_b32_e32 v75, v71
	;; [unrolled: 1-line block ×4, first 2 shown]
	buffer_load_dword v69, off, s[20:23], 0 ; 4-byte Folded Reload
	buffer_load_dword v70, off, s[20:23], 0 offset:4 ; 4-byte Folded Reload
	buffer_load_dword v71, off, s[20:23], 0 offset:8 ; 4-byte Folded Reload
	;; [unrolled: 1-line block ×3, first 2 shown]
	s_waitcnt vmcnt(0)
	ds_write2_b64 v125, v[69:70], v[71:72] offset0:64 offset1:65
	ds_write2_b64 v125, v[65:66], v[67:68] offset0:66 offset1:67
	;; [unrolled: 1-line block ×19, first 2 shown]
	ds_read2_b64 v[97:100], v127 offset1:1
	s_waitcnt lgkmcnt(0)
	v_cmp_neq_f64_e32 vcc, 0, v[97:98]
	v_cmp_neq_f64_e64 s[2:3], 0, v[99:100]
	s_or_b64 s[2:3], vcc, s[2:3]
	s_and_b64 exec, exec, s[2:3]
	s_cbranch_execz .LBB101_26
; %bb.21:
	v_cmp_ngt_f64_e64 s[2:3], |v[97:98]|, |v[99:100]|
                                        ; implicit-def: $vgpr101_vgpr102
	s_and_saveexec_b64 s[6:7], s[2:3]
	s_xor_b64 s[2:3], exec, s[6:7]
                                        ; implicit-def: $vgpr103_vgpr104
	s_cbranch_execz .LBB101_23
; %bb.22:
	v_div_scale_f64 v[101:102], s[6:7], v[99:100], v[99:100], v[97:98]
	v_rcp_f64_e32 v[103:104], v[101:102]
	v_fma_f64 v[105:106], -v[101:102], v[103:104], 1.0
	v_fma_f64 v[103:104], v[103:104], v[105:106], v[103:104]
	v_div_scale_f64 v[105:106], vcc, v[97:98], v[99:100], v[97:98]
	v_fma_f64 v[107:108], -v[101:102], v[103:104], 1.0
	v_fma_f64 v[103:104], v[103:104], v[107:108], v[103:104]
	v_mul_f64 v[107:108], v[105:106], v[103:104]
	v_fma_f64 v[101:102], -v[101:102], v[107:108], v[105:106]
	v_div_fmas_f64 v[101:102], v[101:102], v[103:104], v[107:108]
	v_div_fixup_f64 v[101:102], v[101:102], v[99:100], v[97:98]
	v_fma_f64 v[97:98], v[97:98], v[101:102], v[99:100]
	v_div_scale_f64 v[99:100], s[6:7], v[97:98], v[97:98], 1.0
	v_div_scale_f64 v[107:108], vcc, 1.0, v[97:98], 1.0
	v_rcp_f64_e32 v[103:104], v[99:100]
	v_fma_f64 v[105:106], -v[99:100], v[103:104], 1.0
	v_fma_f64 v[103:104], v[103:104], v[105:106], v[103:104]
	v_fma_f64 v[105:106], -v[99:100], v[103:104], 1.0
	v_fma_f64 v[103:104], v[103:104], v[105:106], v[103:104]
	v_mul_f64 v[105:106], v[107:108], v[103:104]
	v_fma_f64 v[99:100], -v[99:100], v[105:106], v[107:108]
	v_div_fmas_f64 v[99:100], v[99:100], v[103:104], v[105:106]
	v_div_fixup_f64 v[103:104], v[99:100], v[97:98], 1.0
                                        ; implicit-def: $vgpr97_vgpr98
	v_mul_f64 v[101:102], v[101:102], v[103:104]
	v_xor_b32_e32 v104, 0x80000000, v104
.LBB101_23:
	s_andn2_saveexec_b64 s[2:3], s[2:3]
	s_cbranch_execz .LBB101_25
; %bb.24:
	v_div_scale_f64 v[101:102], s[6:7], v[97:98], v[97:98], v[99:100]
	v_rcp_f64_e32 v[103:104], v[101:102]
	v_fma_f64 v[105:106], -v[101:102], v[103:104], 1.0
	v_fma_f64 v[103:104], v[103:104], v[105:106], v[103:104]
	v_div_scale_f64 v[105:106], vcc, v[99:100], v[97:98], v[99:100]
	v_fma_f64 v[107:108], -v[101:102], v[103:104], 1.0
	v_fma_f64 v[103:104], v[103:104], v[107:108], v[103:104]
	v_mul_f64 v[107:108], v[105:106], v[103:104]
	v_fma_f64 v[101:102], -v[101:102], v[107:108], v[105:106]
	v_div_fmas_f64 v[101:102], v[101:102], v[103:104], v[107:108]
	v_div_fixup_f64 v[103:104], v[101:102], v[97:98], v[99:100]
	v_fma_f64 v[97:98], v[99:100], v[103:104], v[97:98]
	v_div_scale_f64 v[99:100], s[6:7], v[97:98], v[97:98], 1.0
	v_div_scale_f64 v[107:108], vcc, 1.0, v[97:98], 1.0
	v_rcp_f64_e32 v[101:102], v[99:100]
	v_fma_f64 v[105:106], -v[99:100], v[101:102], 1.0
	v_fma_f64 v[101:102], v[101:102], v[105:106], v[101:102]
	v_fma_f64 v[105:106], -v[99:100], v[101:102], 1.0
	v_fma_f64 v[101:102], v[101:102], v[105:106], v[101:102]
	v_mul_f64 v[105:106], v[107:108], v[101:102]
	v_fma_f64 v[99:100], -v[99:100], v[105:106], v[107:108]
	v_div_fmas_f64 v[99:100], v[99:100], v[101:102], v[105:106]
	v_div_fixup_f64 v[101:102], v[99:100], v[97:98], 1.0
	v_mul_f64 v[103:104], v[103:104], -v[101:102]
.LBB101_25:
	s_or_b64 exec, exec, s[2:3]
	ds_write2_b64 v127, v[101:102], v[103:104] offset1:1
.LBB101_26:
	s_or_b64 exec, exec, s[4:5]
	s_waitcnt lgkmcnt(0)
	s_barrier
	ds_read2_b64 v[69:72], v127 offset1:1
	v_cmp_lt_u32_e32 vcc, 2, v0
	s_waitcnt lgkmcnt(0)
	buffer_store_dword v69, off, s[20:23], 0 offset:880 ; 4-byte Folded Spill
	s_nop 0
	buffer_store_dword v70, off, s[20:23], 0 offset:884 ; 4-byte Folded Spill
	buffer_store_dword v71, off, s[20:23], 0 offset:888 ; 4-byte Folded Spill
	;; [unrolled: 1-line block ×3, first 2 shown]
	s_and_saveexec_b64 s[2:3], vcc
	s_cbranch_execz .LBB101_28
; %bb.27:
	buffer_load_dword v103, off, s[20:23], 0 offset:400 ; 4-byte Folded Reload
	buffer_load_dword v104, off, s[20:23], 0 offset:404 ; 4-byte Folded Reload
	;; [unrolled: 1-line block ×8, first 2 shown]
	s_waitcnt vmcnt(2)
	v_mul_f64 v[99:100], v[69:70], v[105:106]
	s_waitcnt vmcnt(0)
	v_mul_f64 v[97:98], v[71:72], v[105:106]
	v_fma_f64 v[105:106], v[71:72], v[103:104], v[99:100]
	ds_read2_b64 v[99:102], v125 offset0:6 offset1:7
	v_fma_f64 v[97:98], v[69:70], v[103:104], -v[97:98]
	buffer_load_dword v69, off, s[20:23], 0 offset:384 ; 4-byte Folded Reload
	buffer_load_dword v70, off, s[20:23], 0 offset:388 ; 4-byte Folded Reload
	buffer_load_dword v71, off, s[20:23], 0 offset:392 ; 4-byte Folded Reload
	buffer_load_dword v72, off, s[20:23], 0 offset:396 ; 4-byte Folded Reload
	s_waitcnt lgkmcnt(0)
	v_mul_f64 v[103:104], v[101:102], v[105:106]
	v_fma_f64 v[103:104], v[99:100], v[97:98], -v[103:104]
	v_mul_f64 v[99:100], v[99:100], v[105:106]
	v_fma_f64 v[99:100], v[101:102], v[97:98], v[99:100]
	s_waitcnt vmcnt(2)
	v_add_f64 v[69:70], v[69:70], -v[103:104]
	s_waitcnt vmcnt(0)
	v_add_f64 v[71:72], v[71:72], -v[99:100]
	buffer_store_dword v69, off, s[20:23], 0 offset:384 ; 4-byte Folded Spill
	s_nop 0
	buffer_store_dword v70, off, s[20:23], 0 offset:388 ; 4-byte Folded Spill
	buffer_store_dword v71, off, s[20:23], 0 offset:392 ; 4-byte Folded Spill
	buffer_store_dword v72, off, s[20:23], 0 offset:396 ; 4-byte Folded Spill
	ds_read2_b64 v[99:102], v125 offset0:8 offset1:9
	buffer_load_dword v69, off, s[20:23], 0 offset:368 ; 4-byte Folded Reload
	buffer_load_dword v70, off, s[20:23], 0 offset:372 ; 4-byte Folded Reload
	buffer_load_dword v71, off, s[20:23], 0 offset:376 ; 4-byte Folded Reload
	buffer_load_dword v72, off, s[20:23], 0 offset:380 ; 4-byte Folded Reload
	s_waitcnt lgkmcnt(0)
	v_mul_f64 v[103:104], v[101:102], v[105:106]
	v_fma_f64 v[103:104], v[99:100], v[97:98], -v[103:104]
	v_mul_f64 v[99:100], v[99:100], v[105:106]
	v_fma_f64 v[99:100], v[101:102], v[97:98], v[99:100]
	s_waitcnt vmcnt(2)
	v_add_f64 v[69:70], v[69:70], -v[103:104]
	s_waitcnt vmcnt(0)
	v_add_f64 v[71:72], v[71:72], -v[99:100]
	buffer_store_dword v69, off, s[20:23], 0 offset:368 ; 4-byte Folded Spill
	s_nop 0
	buffer_store_dword v70, off, s[20:23], 0 offset:372 ; 4-byte Folded Spill
	buffer_store_dword v71, off, s[20:23], 0 offset:376 ; 4-byte Folded Spill
	buffer_store_dword v72, off, s[20:23], 0 offset:380 ; 4-byte Folded Spill
	ds_read2_b64 v[99:102], v125 offset0:10 offset1:11
	;; [unrolled: 19-line block ×22, first 2 shown]
	v_mov_b32_e32 v69, v73
	v_mov_b32_e32 v70, v74
	;; [unrolled: 1-line block ×4, first 2 shown]
	s_waitcnt lgkmcnt(0)
	v_mul_f64 v[103:104], v[101:102], v[105:106]
	v_fma_f64 v[103:104], v[99:100], v[97:98], -v[103:104]
	v_mul_f64 v[99:100], v[99:100], v[105:106]
	v_add_f64 v[121:122], v[121:122], -v[103:104]
	v_fma_f64 v[99:100], v[101:102], v[97:98], v[99:100]
	v_add_f64 v[123:124], v[123:124], -v[99:100]
	ds_read2_b64 v[99:102], v125 offset0:52 offset1:53
	s_waitcnt lgkmcnt(0)
	v_mul_f64 v[103:104], v[101:102], v[105:106]
	v_fma_f64 v[103:104], v[99:100], v[97:98], -v[103:104]
	v_mul_f64 v[99:100], v[99:100], v[105:106]
	v_add_f64 v[117:118], v[117:118], -v[103:104]
	v_fma_f64 v[99:100], v[101:102], v[97:98], v[99:100]
	v_add_f64 v[119:120], v[119:120], -v[99:100]
	ds_read2_b64 v[99:102], v125 offset0:54 offset1:55
	;; [unrolled: 8-line block ×5, first 2 shown]
	buffer_load_dword v77, off, s[20:23], 0 offset:32 ; 4-byte Folded Reload
	buffer_load_dword v78, off, s[20:23], 0 offset:36 ; 4-byte Folded Reload
	;; [unrolled: 1-line block ×4, first 2 shown]
	s_waitcnt lgkmcnt(0)
	v_mul_f64 v[103:104], v[101:102], v[105:106]
	v_fma_f64 v[103:104], v[99:100], v[97:98], -v[103:104]
	v_mul_f64 v[99:100], v[99:100], v[105:106]
	v_fma_f64 v[99:100], v[101:102], v[97:98], v[99:100]
	s_waitcnt vmcnt(2)
	v_add_f64 v[77:78], v[77:78], -v[103:104]
	s_waitcnt vmcnt(0)
	v_add_f64 v[79:80], v[79:80], -v[99:100]
	buffer_store_dword v77, off, s[20:23], 0 offset:32 ; 4-byte Folded Spill
	s_nop 0
	buffer_store_dword v78, off, s[20:23], 0 offset:36 ; 4-byte Folded Spill
	buffer_store_dword v79, off, s[20:23], 0 offset:40 ; 4-byte Folded Spill
	;; [unrolled: 1-line block ×3, first 2 shown]
	ds_read2_b64 v[99:102], v125 offset0:62 offset1:63
	buffer_load_dword v73, off, s[20:23], 0 offset:16 ; 4-byte Folded Reload
	buffer_load_dword v74, off, s[20:23], 0 offset:20 ; 4-byte Folded Reload
	;; [unrolled: 1-line block ×4, first 2 shown]
	s_waitcnt lgkmcnt(0)
	v_mul_f64 v[103:104], v[101:102], v[105:106]
	v_fma_f64 v[103:104], v[99:100], v[97:98], -v[103:104]
	v_mul_f64 v[99:100], v[99:100], v[105:106]
	v_fma_f64 v[99:100], v[101:102], v[97:98], v[99:100]
	s_waitcnt vmcnt(2)
	v_add_f64 v[73:74], v[73:74], -v[103:104]
	s_waitcnt vmcnt(0)
	v_add_f64 v[75:76], v[75:76], -v[99:100]
	buffer_store_dword v73, off, s[20:23], 0 offset:16 ; 4-byte Folded Spill
	s_nop 0
	buffer_store_dword v74, off, s[20:23], 0 offset:20 ; 4-byte Folded Spill
	buffer_store_dword v75, off, s[20:23], 0 offset:24 ; 4-byte Folded Spill
	;; [unrolled: 1-line block ×3, first 2 shown]
	v_mov_b32_e32 v76, v72
	v_mov_b32_e32 v75, v71
	v_mov_b32_e32 v74, v70
	v_mov_b32_e32 v73, v69
	ds_read2_b64 v[99:102], v125 offset0:64 offset1:65
	buffer_load_dword v69, off, s[20:23], 0 ; 4-byte Folded Reload
	buffer_load_dword v70, off, s[20:23], 0 offset:4 ; 4-byte Folded Reload
	buffer_load_dword v71, off, s[20:23], 0 offset:8 ; 4-byte Folded Reload
	;; [unrolled: 1-line block ×3, first 2 shown]
	s_waitcnt lgkmcnt(0)
	v_mul_f64 v[103:104], v[101:102], v[105:106]
	v_fma_f64 v[103:104], v[99:100], v[97:98], -v[103:104]
	v_mul_f64 v[99:100], v[99:100], v[105:106]
	v_fma_f64 v[99:100], v[101:102], v[97:98], v[99:100]
	s_waitcnt vmcnt(2)
	v_add_f64 v[69:70], v[69:70], -v[103:104]
	s_waitcnt vmcnt(0)
	v_add_f64 v[71:72], v[71:72], -v[99:100]
	buffer_store_dword v69, off, s[20:23], 0 ; 4-byte Folded Spill
	s_nop 0
	buffer_store_dword v70, off, s[20:23], 0 offset:4 ; 4-byte Folded Spill
	buffer_store_dword v71, off, s[20:23], 0 offset:8 ; 4-byte Folded Spill
	;; [unrolled: 1-line block ×3, first 2 shown]
	ds_read2_b64 v[99:102], v125 offset0:66 offset1:67
	s_waitcnt lgkmcnt(0)
	v_mul_f64 v[103:104], v[101:102], v[105:106]
	v_fma_f64 v[103:104], v[99:100], v[97:98], -v[103:104]
	v_mul_f64 v[99:100], v[99:100], v[105:106]
	v_add_f64 v[65:66], v[65:66], -v[103:104]
	v_fma_f64 v[99:100], v[101:102], v[97:98], v[99:100]
	v_add_f64 v[67:68], v[67:68], -v[99:100]
	ds_read2_b64 v[99:102], v125 offset0:68 offset1:69
	s_waitcnt lgkmcnt(0)
	v_mul_f64 v[103:104], v[101:102], v[105:106]
	v_fma_f64 v[103:104], v[99:100], v[97:98], -v[103:104]
	v_mul_f64 v[99:100], v[99:100], v[105:106]
	v_add_f64 v[61:62], v[61:62], -v[103:104]
	v_fma_f64 v[99:100], v[101:102], v[97:98], v[99:100]
	v_add_f64 v[63:64], v[63:64], -v[99:100]
	;; [unrolled: 8-line block ×16, first 2 shown]
	ds_read2_b64 v[99:102], v125 offset0:98 offset1:99
	s_waitcnt lgkmcnt(0)
	v_mul_f64 v[103:104], v[101:102], v[105:106]
	v_fma_f64 v[103:104], v[99:100], v[97:98], -v[103:104]
	v_mul_f64 v[99:100], v[99:100], v[105:106]
	v_add_f64 v[1:2], v[1:2], -v[103:104]
	v_fma_f64 v[99:100], v[101:102], v[97:98], v[99:100]
	ds_read2_b64 v[101:104], v125 offset0:100 offset1:101
	v_add_f64 v[3:4], v[3:4], -v[99:100]
	s_waitcnt lgkmcnt(0)
	v_mul_f64 v[99:100], v[103:104], v[105:106]
	v_fma_f64 v[99:100], v[101:102], v[97:98], -v[99:100]
	v_mul_f64 v[101:102], v[101:102], v[105:106]
	v_add_f64 v[73:74], v[73:74], -v[99:100]
	v_fma_f64 v[101:102], v[103:104], v[97:98], v[101:102]
	v_mov_b32_e32 v104, v98
	v_mov_b32_e32 v103, v97
	buffer_store_dword v103, off, s[20:23], 0 offset:400 ; 4-byte Folded Spill
	s_nop 0
	buffer_store_dword v104, off, s[20:23], 0 offset:404 ; 4-byte Folded Spill
	buffer_store_dword v105, off, s[20:23], 0 offset:408 ; 4-byte Folded Spill
	;; [unrolled: 1-line block ×3, first 2 shown]
	v_add_f64 v[75:76], v[75:76], -v[101:102]
.LBB101_28:
	s_or_b64 exec, exec, s[2:3]
	v_cmp_eq_u32_e32 vcc, 3, v0
	s_waitcnt vmcnt(0)
	s_barrier
	s_and_saveexec_b64 s[4:5], vcc
	s_cbranch_execz .LBB101_35
; %bb.29:
	buffer_load_dword v69, off, s[20:23], 0 offset:384 ; 4-byte Folded Reload
	buffer_load_dword v70, off, s[20:23], 0 offset:388 ; 4-byte Folded Reload
	;; [unrolled: 1-line block ×4, first 2 shown]
	s_waitcnt vmcnt(0)
	ds_write2_b64 v127, v[69:70], v[71:72] offset1:1
	buffer_load_dword v69, off, s[20:23], 0 offset:368 ; 4-byte Folded Reload
	buffer_load_dword v70, off, s[20:23], 0 offset:372 ; 4-byte Folded Reload
	buffer_load_dword v71, off, s[20:23], 0 offset:376 ; 4-byte Folded Reload
	buffer_load_dword v72, off, s[20:23], 0 offset:380 ; 4-byte Folded Reload
	s_waitcnt vmcnt(0)
	ds_write2_b64 v125, v[69:70], v[71:72] offset0:8 offset1:9
	buffer_load_dword v69, off, s[20:23], 0 offset:352 ; 4-byte Folded Reload
	buffer_load_dword v70, off, s[20:23], 0 offset:356 ; 4-byte Folded Reload
	buffer_load_dword v71, off, s[20:23], 0 offset:360 ; 4-byte Folded Reload
	buffer_load_dword v72, off, s[20:23], 0 offset:364 ; 4-byte Folded Reload
	s_waitcnt vmcnt(0)
	ds_write2_b64 v125, v[69:70], v[71:72] offset0:10 offset1:11
	;; [unrolled: 6-line block ×21, first 2 shown]
	ds_write2_b64 v125, v[121:122], v[123:124] offset0:50 offset1:51
	ds_write2_b64 v125, v[117:118], v[119:120] offset0:52 offset1:53
	;; [unrolled: 1-line block ×5, first 2 shown]
	buffer_load_dword v77, off, s[20:23], 0 offset:32 ; 4-byte Folded Reload
	buffer_load_dword v78, off, s[20:23], 0 offset:36 ; 4-byte Folded Reload
	buffer_load_dword v79, off, s[20:23], 0 offset:40 ; 4-byte Folded Reload
	buffer_load_dword v80, off, s[20:23], 0 offset:44 ; 4-byte Folded Reload
	v_mov_b32_e32 v69, v73
	v_mov_b32_e32 v70, v74
	;; [unrolled: 1-line block ×4, first 2 shown]
	s_waitcnt vmcnt(0)
	ds_write2_b64 v125, v[77:78], v[79:80] offset0:60 offset1:61
	buffer_load_dword v73, off, s[20:23], 0 offset:16 ; 4-byte Folded Reload
	buffer_load_dword v74, off, s[20:23], 0 offset:20 ; 4-byte Folded Reload
	;; [unrolled: 1-line block ×4, first 2 shown]
	s_waitcnt vmcnt(0)
	ds_write2_b64 v125, v[73:74], v[75:76] offset0:62 offset1:63
	v_mov_b32_e32 v76, v72
	v_mov_b32_e32 v75, v71
	;; [unrolled: 1-line block ×4, first 2 shown]
	buffer_load_dword v69, off, s[20:23], 0 ; 4-byte Folded Reload
	buffer_load_dword v70, off, s[20:23], 0 offset:4 ; 4-byte Folded Reload
	buffer_load_dword v71, off, s[20:23], 0 offset:8 ; 4-byte Folded Reload
	;; [unrolled: 1-line block ×3, first 2 shown]
	s_waitcnt vmcnt(0)
	ds_write2_b64 v125, v[69:70], v[71:72] offset0:64 offset1:65
	ds_write2_b64 v125, v[65:66], v[67:68] offset0:66 offset1:67
	;; [unrolled: 1-line block ×19, first 2 shown]
	ds_read2_b64 v[97:100], v127 offset1:1
	s_waitcnt lgkmcnt(0)
	v_cmp_neq_f64_e32 vcc, 0, v[97:98]
	v_cmp_neq_f64_e64 s[2:3], 0, v[99:100]
	s_or_b64 s[2:3], vcc, s[2:3]
	s_and_b64 exec, exec, s[2:3]
	s_cbranch_execz .LBB101_35
; %bb.30:
	v_cmp_ngt_f64_e64 s[2:3], |v[97:98]|, |v[99:100]|
                                        ; implicit-def: $vgpr101_vgpr102
	s_and_saveexec_b64 s[6:7], s[2:3]
	s_xor_b64 s[2:3], exec, s[6:7]
                                        ; implicit-def: $vgpr103_vgpr104
	s_cbranch_execz .LBB101_32
; %bb.31:
	v_div_scale_f64 v[101:102], s[6:7], v[99:100], v[99:100], v[97:98]
	v_rcp_f64_e32 v[103:104], v[101:102]
	v_fma_f64 v[105:106], -v[101:102], v[103:104], 1.0
	v_fma_f64 v[103:104], v[103:104], v[105:106], v[103:104]
	v_div_scale_f64 v[105:106], vcc, v[97:98], v[99:100], v[97:98]
	v_fma_f64 v[107:108], -v[101:102], v[103:104], 1.0
	v_fma_f64 v[103:104], v[103:104], v[107:108], v[103:104]
	v_mul_f64 v[107:108], v[105:106], v[103:104]
	v_fma_f64 v[101:102], -v[101:102], v[107:108], v[105:106]
	v_div_fmas_f64 v[101:102], v[101:102], v[103:104], v[107:108]
	v_div_fixup_f64 v[101:102], v[101:102], v[99:100], v[97:98]
	v_fma_f64 v[97:98], v[97:98], v[101:102], v[99:100]
	v_div_scale_f64 v[99:100], s[6:7], v[97:98], v[97:98], 1.0
	v_div_scale_f64 v[107:108], vcc, 1.0, v[97:98], 1.0
	v_rcp_f64_e32 v[103:104], v[99:100]
	v_fma_f64 v[105:106], -v[99:100], v[103:104], 1.0
	v_fma_f64 v[103:104], v[103:104], v[105:106], v[103:104]
	v_fma_f64 v[105:106], -v[99:100], v[103:104], 1.0
	v_fma_f64 v[103:104], v[103:104], v[105:106], v[103:104]
	v_mul_f64 v[105:106], v[107:108], v[103:104]
	v_fma_f64 v[99:100], -v[99:100], v[105:106], v[107:108]
	v_div_fmas_f64 v[99:100], v[99:100], v[103:104], v[105:106]
	v_div_fixup_f64 v[103:104], v[99:100], v[97:98], 1.0
                                        ; implicit-def: $vgpr97_vgpr98
	v_mul_f64 v[101:102], v[101:102], v[103:104]
	v_xor_b32_e32 v104, 0x80000000, v104
.LBB101_32:
	s_andn2_saveexec_b64 s[2:3], s[2:3]
	s_cbranch_execz .LBB101_34
; %bb.33:
	v_div_scale_f64 v[101:102], s[6:7], v[97:98], v[97:98], v[99:100]
	v_rcp_f64_e32 v[103:104], v[101:102]
	v_fma_f64 v[105:106], -v[101:102], v[103:104], 1.0
	v_fma_f64 v[103:104], v[103:104], v[105:106], v[103:104]
	v_div_scale_f64 v[105:106], vcc, v[99:100], v[97:98], v[99:100]
	v_fma_f64 v[107:108], -v[101:102], v[103:104], 1.0
	v_fma_f64 v[103:104], v[103:104], v[107:108], v[103:104]
	v_mul_f64 v[107:108], v[105:106], v[103:104]
	v_fma_f64 v[101:102], -v[101:102], v[107:108], v[105:106]
	v_div_fmas_f64 v[101:102], v[101:102], v[103:104], v[107:108]
	v_div_fixup_f64 v[103:104], v[101:102], v[97:98], v[99:100]
	v_fma_f64 v[97:98], v[99:100], v[103:104], v[97:98]
	v_div_scale_f64 v[99:100], s[6:7], v[97:98], v[97:98], 1.0
	v_div_scale_f64 v[107:108], vcc, 1.0, v[97:98], 1.0
	v_rcp_f64_e32 v[101:102], v[99:100]
	v_fma_f64 v[105:106], -v[99:100], v[101:102], 1.0
	v_fma_f64 v[101:102], v[101:102], v[105:106], v[101:102]
	v_fma_f64 v[105:106], -v[99:100], v[101:102], 1.0
	v_fma_f64 v[101:102], v[101:102], v[105:106], v[101:102]
	v_mul_f64 v[105:106], v[107:108], v[101:102]
	v_fma_f64 v[99:100], -v[99:100], v[105:106], v[107:108]
	v_div_fmas_f64 v[99:100], v[99:100], v[101:102], v[105:106]
	v_div_fixup_f64 v[101:102], v[99:100], v[97:98], 1.0
	v_mul_f64 v[103:104], v[103:104], -v[101:102]
.LBB101_34:
	s_or_b64 exec, exec, s[2:3]
	ds_write2_b64 v127, v[101:102], v[103:104] offset1:1
.LBB101_35:
	s_or_b64 exec, exec, s[4:5]
	s_waitcnt lgkmcnt(0)
	s_barrier
	ds_read2_b64 v[69:72], v127 offset1:1
	v_cmp_lt_u32_e32 vcc, 3, v0
	s_waitcnt lgkmcnt(0)
	buffer_store_dword v69, off, s[20:23], 0 offset:896 ; 4-byte Folded Spill
	s_nop 0
	buffer_store_dword v70, off, s[20:23], 0 offset:900 ; 4-byte Folded Spill
	buffer_store_dword v71, off, s[20:23], 0 offset:904 ; 4-byte Folded Spill
	;; [unrolled: 1-line block ×3, first 2 shown]
	s_and_saveexec_b64 s[2:3], vcc
	s_cbranch_execz .LBB101_37
; %bb.36:
	buffer_load_dword v103, off, s[20:23], 0 offset:384 ; 4-byte Folded Reload
	buffer_load_dword v104, off, s[20:23], 0 offset:388 ; 4-byte Folded Reload
	;; [unrolled: 1-line block ×8, first 2 shown]
	s_waitcnt vmcnt(2)
	v_mul_f64 v[99:100], v[69:70], v[105:106]
	s_waitcnt vmcnt(0)
	v_mul_f64 v[97:98], v[71:72], v[105:106]
	v_fma_f64 v[105:106], v[71:72], v[103:104], v[99:100]
	ds_read2_b64 v[99:102], v125 offset0:8 offset1:9
	v_fma_f64 v[97:98], v[69:70], v[103:104], -v[97:98]
	buffer_load_dword v69, off, s[20:23], 0 offset:368 ; 4-byte Folded Reload
	buffer_load_dword v70, off, s[20:23], 0 offset:372 ; 4-byte Folded Reload
	buffer_load_dword v71, off, s[20:23], 0 offset:376 ; 4-byte Folded Reload
	buffer_load_dword v72, off, s[20:23], 0 offset:380 ; 4-byte Folded Reload
	s_waitcnt lgkmcnt(0)
	v_mul_f64 v[103:104], v[101:102], v[105:106]
	v_fma_f64 v[103:104], v[99:100], v[97:98], -v[103:104]
	v_mul_f64 v[99:100], v[99:100], v[105:106]
	v_fma_f64 v[99:100], v[101:102], v[97:98], v[99:100]
	s_waitcnt vmcnt(2)
	v_add_f64 v[69:70], v[69:70], -v[103:104]
	s_waitcnt vmcnt(0)
	v_add_f64 v[71:72], v[71:72], -v[99:100]
	buffer_store_dword v69, off, s[20:23], 0 offset:368 ; 4-byte Folded Spill
	s_nop 0
	buffer_store_dword v70, off, s[20:23], 0 offset:372 ; 4-byte Folded Spill
	buffer_store_dword v71, off, s[20:23], 0 offset:376 ; 4-byte Folded Spill
	buffer_store_dword v72, off, s[20:23], 0 offset:380 ; 4-byte Folded Spill
	ds_read2_b64 v[99:102], v125 offset0:10 offset1:11
	buffer_load_dword v69, off, s[20:23], 0 offset:352 ; 4-byte Folded Reload
	buffer_load_dword v70, off, s[20:23], 0 offset:356 ; 4-byte Folded Reload
	buffer_load_dword v71, off, s[20:23], 0 offset:360 ; 4-byte Folded Reload
	buffer_load_dword v72, off, s[20:23], 0 offset:364 ; 4-byte Folded Reload
	s_waitcnt lgkmcnt(0)
	v_mul_f64 v[103:104], v[101:102], v[105:106]
	v_fma_f64 v[103:104], v[99:100], v[97:98], -v[103:104]
	v_mul_f64 v[99:100], v[99:100], v[105:106]
	v_fma_f64 v[99:100], v[101:102], v[97:98], v[99:100]
	s_waitcnt vmcnt(2)
	v_add_f64 v[69:70], v[69:70], -v[103:104]
	s_waitcnt vmcnt(0)
	v_add_f64 v[71:72], v[71:72], -v[99:100]
	buffer_store_dword v69, off, s[20:23], 0 offset:352 ; 4-byte Folded Spill
	s_nop 0
	buffer_store_dword v70, off, s[20:23], 0 offset:356 ; 4-byte Folded Spill
	buffer_store_dword v71, off, s[20:23], 0 offset:360 ; 4-byte Folded Spill
	buffer_store_dword v72, off, s[20:23], 0 offset:364 ; 4-byte Folded Spill
	ds_read2_b64 v[99:102], v125 offset0:12 offset1:13
	;; [unrolled: 19-line block ×21, first 2 shown]
	v_mov_b32_e32 v69, v73
	v_mov_b32_e32 v70, v74
	;; [unrolled: 1-line block ×4, first 2 shown]
	s_waitcnt lgkmcnt(0)
	v_mul_f64 v[103:104], v[101:102], v[105:106]
	v_fma_f64 v[103:104], v[99:100], v[97:98], -v[103:104]
	v_mul_f64 v[99:100], v[99:100], v[105:106]
	v_add_f64 v[121:122], v[121:122], -v[103:104]
	v_fma_f64 v[99:100], v[101:102], v[97:98], v[99:100]
	v_add_f64 v[123:124], v[123:124], -v[99:100]
	ds_read2_b64 v[99:102], v125 offset0:52 offset1:53
	s_waitcnt lgkmcnt(0)
	v_mul_f64 v[103:104], v[101:102], v[105:106]
	v_fma_f64 v[103:104], v[99:100], v[97:98], -v[103:104]
	v_mul_f64 v[99:100], v[99:100], v[105:106]
	v_add_f64 v[117:118], v[117:118], -v[103:104]
	v_fma_f64 v[99:100], v[101:102], v[97:98], v[99:100]
	v_add_f64 v[119:120], v[119:120], -v[99:100]
	ds_read2_b64 v[99:102], v125 offset0:54 offset1:55
	;; [unrolled: 8-line block ×5, first 2 shown]
	buffer_load_dword v77, off, s[20:23], 0 offset:32 ; 4-byte Folded Reload
	buffer_load_dword v78, off, s[20:23], 0 offset:36 ; 4-byte Folded Reload
	;; [unrolled: 1-line block ×4, first 2 shown]
	s_waitcnt lgkmcnt(0)
	v_mul_f64 v[103:104], v[101:102], v[105:106]
	v_fma_f64 v[103:104], v[99:100], v[97:98], -v[103:104]
	v_mul_f64 v[99:100], v[99:100], v[105:106]
	v_fma_f64 v[99:100], v[101:102], v[97:98], v[99:100]
	s_waitcnt vmcnt(2)
	v_add_f64 v[77:78], v[77:78], -v[103:104]
	s_waitcnt vmcnt(0)
	v_add_f64 v[79:80], v[79:80], -v[99:100]
	buffer_store_dword v77, off, s[20:23], 0 offset:32 ; 4-byte Folded Spill
	s_nop 0
	buffer_store_dword v78, off, s[20:23], 0 offset:36 ; 4-byte Folded Spill
	buffer_store_dword v79, off, s[20:23], 0 offset:40 ; 4-byte Folded Spill
	;; [unrolled: 1-line block ×3, first 2 shown]
	ds_read2_b64 v[99:102], v125 offset0:62 offset1:63
	buffer_load_dword v73, off, s[20:23], 0 offset:16 ; 4-byte Folded Reload
	buffer_load_dword v74, off, s[20:23], 0 offset:20 ; 4-byte Folded Reload
	;; [unrolled: 1-line block ×4, first 2 shown]
	s_waitcnt lgkmcnt(0)
	v_mul_f64 v[103:104], v[101:102], v[105:106]
	v_fma_f64 v[103:104], v[99:100], v[97:98], -v[103:104]
	v_mul_f64 v[99:100], v[99:100], v[105:106]
	v_fma_f64 v[99:100], v[101:102], v[97:98], v[99:100]
	s_waitcnt vmcnt(2)
	v_add_f64 v[73:74], v[73:74], -v[103:104]
	s_waitcnt vmcnt(0)
	v_add_f64 v[75:76], v[75:76], -v[99:100]
	buffer_store_dword v73, off, s[20:23], 0 offset:16 ; 4-byte Folded Spill
	s_nop 0
	buffer_store_dword v74, off, s[20:23], 0 offset:20 ; 4-byte Folded Spill
	buffer_store_dword v75, off, s[20:23], 0 offset:24 ; 4-byte Folded Spill
	;; [unrolled: 1-line block ×3, first 2 shown]
	v_mov_b32_e32 v76, v72
	v_mov_b32_e32 v75, v71
	;; [unrolled: 1-line block ×4, first 2 shown]
	ds_read2_b64 v[99:102], v125 offset0:64 offset1:65
	buffer_load_dword v69, off, s[20:23], 0 ; 4-byte Folded Reload
	buffer_load_dword v70, off, s[20:23], 0 offset:4 ; 4-byte Folded Reload
	buffer_load_dword v71, off, s[20:23], 0 offset:8 ; 4-byte Folded Reload
	;; [unrolled: 1-line block ×3, first 2 shown]
	s_waitcnt lgkmcnt(0)
	v_mul_f64 v[103:104], v[101:102], v[105:106]
	v_fma_f64 v[103:104], v[99:100], v[97:98], -v[103:104]
	v_mul_f64 v[99:100], v[99:100], v[105:106]
	v_fma_f64 v[99:100], v[101:102], v[97:98], v[99:100]
	s_waitcnt vmcnt(2)
	v_add_f64 v[69:70], v[69:70], -v[103:104]
	s_waitcnt vmcnt(0)
	v_add_f64 v[71:72], v[71:72], -v[99:100]
	buffer_store_dword v69, off, s[20:23], 0 ; 4-byte Folded Spill
	s_nop 0
	buffer_store_dword v70, off, s[20:23], 0 offset:4 ; 4-byte Folded Spill
	buffer_store_dword v71, off, s[20:23], 0 offset:8 ; 4-byte Folded Spill
	;; [unrolled: 1-line block ×3, first 2 shown]
	ds_read2_b64 v[99:102], v125 offset0:66 offset1:67
	s_waitcnt lgkmcnt(0)
	v_mul_f64 v[103:104], v[101:102], v[105:106]
	v_fma_f64 v[103:104], v[99:100], v[97:98], -v[103:104]
	v_mul_f64 v[99:100], v[99:100], v[105:106]
	v_add_f64 v[65:66], v[65:66], -v[103:104]
	v_fma_f64 v[99:100], v[101:102], v[97:98], v[99:100]
	v_add_f64 v[67:68], v[67:68], -v[99:100]
	ds_read2_b64 v[99:102], v125 offset0:68 offset1:69
	s_waitcnt lgkmcnt(0)
	v_mul_f64 v[103:104], v[101:102], v[105:106]
	v_fma_f64 v[103:104], v[99:100], v[97:98], -v[103:104]
	v_mul_f64 v[99:100], v[99:100], v[105:106]
	v_add_f64 v[61:62], v[61:62], -v[103:104]
	v_fma_f64 v[99:100], v[101:102], v[97:98], v[99:100]
	v_add_f64 v[63:64], v[63:64], -v[99:100]
	;; [unrolled: 8-line block ×16, first 2 shown]
	ds_read2_b64 v[99:102], v125 offset0:98 offset1:99
	s_waitcnt lgkmcnt(0)
	v_mul_f64 v[103:104], v[101:102], v[105:106]
	v_fma_f64 v[103:104], v[99:100], v[97:98], -v[103:104]
	v_mul_f64 v[99:100], v[99:100], v[105:106]
	v_add_f64 v[1:2], v[1:2], -v[103:104]
	v_fma_f64 v[99:100], v[101:102], v[97:98], v[99:100]
	ds_read2_b64 v[101:104], v125 offset0:100 offset1:101
	v_add_f64 v[3:4], v[3:4], -v[99:100]
	s_waitcnt lgkmcnt(0)
	v_mul_f64 v[99:100], v[103:104], v[105:106]
	v_fma_f64 v[99:100], v[101:102], v[97:98], -v[99:100]
	v_mul_f64 v[101:102], v[101:102], v[105:106]
	v_add_f64 v[73:74], v[73:74], -v[99:100]
	v_fma_f64 v[101:102], v[103:104], v[97:98], v[101:102]
	v_mov_b32_e32 v104, v98
	v_mov_b32_e32 v103, v97
	buffer_store_dword v103, off, s[20:23], 0 offset:384 ; 4-byte Folded Spill
	s_nop 0
	buffer_store_dword v104, off, s[20:23], 0 offset:388 ; 4-byte Folded Spill
	buffer_store_dword v105, off, s[20:23], 0 offset:392 ; 4-byte Folded Spill
	;; [unrolled: 1-line block ×3, first 2 shown]
	v_add_f64 v[75:76], v[75:76], -v[101:102]
.LBB101_37:
	s_or_b64 exec, exec, s[2:3]
	v_cmp_eq_u32_e32 vcc, 4, v0
	s_waitcnt vmcnt(0)
	s_barrier
	s_and_saveexec_b64 s[4:5], vcc
	s_cbranch_execz .LBB101_44
; %bb.38:
	buffer_load_dword v69, off, s[20:23], 0 offset:368 ; 4-byte Folded Reload
	buffer_load_dword v70, off, s[20:23], 0 offset:372 ; 4-byte Folded Reload
	;; [unrolled: 1-line block ×4, first 2 shown]
	s_waitcnt vmcnt(0)
	ds_write2_b64 v127, v[69:70], v[71:72] offset1:1
	buffer_load_dword v69, off, s[20:23], 0 offset:352 ; 4-byte Folded Reload
	buffer_load_dword v70, off, s[20:23], 0 offset:356 ; 4-byte Folded Reload
	buffer_load_dword v71, off, s[20:23], 0 offset:360 ; 4-byte Folded Reload
	buffer_load_dword v72, off, s[20:23], 0 offset:364 ; 4-byte Folded Reload
	s_waitcnt vmcnt(0)
	ds_write2_b64 v125, v[69:70], v[71:72] offset0:10 offset1:11
	buffer_load_dword v69, off, s[20:23], 0 offset:336 ; 4-byte Folded Reload
	buffer_load_dword v70, off, s[20:23], 0 offset:340 ; 4-byte Folded Reload
	buffer_load_dword v71, off, s[20:23], 0 offset:344 ; 4-byte Folded Reload
	buffer_load_dword v72, off, s[20:23], 0 offset:348 ; 4-byte Folded Reload
	s_waitcnt vmcnt(0)
	ds_write2_b64 v125, v[69:70], v[71:72] offset0:12 offset1:13
	;; [unrolled: 6-line block ×20, first 2 shown]
	ds_write2_b64 v125, v[121:122], v[123:124] offset0:50 offset1:51
	ds_write2_b64 v125, v[117:118], v[119:120] offset0:52 offset1:53
	ds_write2_b64 v125, v[109:110], v[111:112] offset0:54 offset1:55
	ds_write2_b64 v125, v[113:114], v[115:116] offset0:56 offset1:57
	ds_write2_b64 v125, v[93:94], v[95:96] offset0:58 offset1:59
	buffer_load_dword v77, off, s[20:23], 0 offset:32 ; 4-byte Folded Reload
	buffer_load_dword v78, off, s[20:23], 0 offset:36 ; 4-byte Folded Reload
	;; [unrolled: 1-line block ×4, first 2 shown]
	v_mov_b32_e32 v69, v73
	v_mov_b32_e32 v70, v74
	;; [unrolled: 1-line block ×4, first 2 shown]
	s_waitcnt vmcnt(0)
	ds_write2_b64 v125, v[77:78], v[79:80] offset0:60 offset1:61
	buffer_load_dword v73, off, s[20:23], 0 offset:16 ; 4-byte Folded Reload
	buffer_load_dword v74, off, s[20:23], 0 offset:20 ; 4-byte Folded Reload
	;; [unrolled: 1-line block ×4, first 2 shown]
	s_waitcnt vmcnt(0)
	ds_write2_b64 v125, v[73:74], v[75:76] offset0:62 offset1:63
	v_mov_b32_e32 v76, v72
	v_mov_b32_e32 v75, v71
	;; [unrolled: 1-line block ×4, first 2 shown]
	buffer_load_dword v69, off, s[20:23], 0 ; 4-byte Folded Reload
	buffer_load_dword v70, off, s[20:23], 0 offset:4 ; 4-byte Folded Reload
	buffer_load_dword v71, off, s[20:23], 0 offset:8 ; 4-byte Folded Reload
	;; [unrolled: 1-line block ×3, first 2 shown]
	s_waitcnt vmcnt(0)
	ds_write2_b64 v125, v[69:70], v[71:72] offset0:64 offset1:65
	ds_write2_b64 v125, v[65:66], v[67:68] offset0:66 offset1:67
	;; [unrolled: 1-line block ×19, first 2 shown]
	ds_read2_b64 v[97:100], v127 offset1:1
	s_waitcnt lgkmcnt(0)
	v_cmp_neq_f64_e32 vcc, 0, v[97:98]
	v_cmp_neq_f64_e64 s[2:3], 0, v[99:100]
	s_or_b64 s[2:3], vcc, s[2:3]
	s_and_b64 exec, exec, s[2:3]
	s_cbranch_execz .LBB101_44
; %bb.39:
	v_cmp_ngt_f64_e64 s[2:3], |v[97:98]|, |v[99:100]|
                                        ; implicit-def: $vgpr101_vgpr102
	s_and_saveexec_b64 s[6:7], s[2:3]
	s_xor_b64 s[2:3], exec, s[6:7]
                                        ; implicit-def: $vgpr103_vgpr104
	s_cbranch_execz .LBB101_41
; %bb.40:
	v_div_scale_f64 v[101:102], s[6:7], v[99:100], v[99:100], v[97:98]
	v_rcp_f64_e32 v[103:104], v[101:102]
	v_fma_f64 v[105:106], -v[101:102], v[103:104], 1.0
	v_fma_f64 v[103:104], v[103:104], v[105:106], v[103:104]
	v_div_scale_f64 v[105:106], vcc, v[97:98], v[99:100], v[97:98]
	v_fma_f64 v[107:108], -v[101:102], v[103:104], 1.0
	v_fma_f64 v[103:104], v[103:104], v[107:108], v[103:104]
	v_mul_f64 v[107:108], v[105:106], v[103:104]
	v_fma_f64 v[101:102], -v[101:102], v[107:108], v[105:106]
	v_div_fmas_f64 v[101:102], v[101:102], v[103:104], v[107:108]
	v_div_fixup_f64 v[101:102], v[101:102], v[99:100], v[97:98]
	v_fma_f64 v[97:98], v[97:98], v[101:102], v[99:100]
	v_div_scale_f64 v[99:100], s[6:7], v[97:98], v[97:98], 1.0
	v_div_scale_f64 v[107:108], vcc, 1.0, v[97:98], 1.0
	v_rcp_f64_e32 v[103:104], v[99:100]
	v_fma_f64 v[105:106], -v[99:100], v[103:104], 1.0
	v_fma_f64 v[103:104], v[103:104], v[105:106], v[103:104]
	v_fma_f64 v[105:106], -v[99:100], v[103:104], 1.0
	v_fma_f64 v[103:104], v[103:104], v[105:106], v[103:104]
	v_mul_f64 v[105:106], v[107:108], v[103:104]
	v_fma_f64 v[99:100], -v[99:100], v[105:106], v[107:108]
	v_div_fmas_f64 v[99:100], v[99:100], v[103:104], v[105:106]
	v_div_fixup_f64 v[103:104], v[99:100], v[97:98], 1.0
                                        ; implicit-def: $vgpr97_vgpr98
	v_mul_f64 v[101:102], v[101:102], v[103:104]
	v_xor_b32_e32 v104, 0x80000000, v104
.LBB101_41:
	s_andn2_saveexec_b64 s[2:3], s[2:3]
	s_cbranch_execz .LBB101_43
; %bb.42:
	v_div_scale_f64 v[101:102], s[6:7], v[97:98], v[97:98], v[99:100]
	v_rcp_f64_e32 v[103:104], v[101:102]
	v_fma_f64 v[105:106], -v[101:102], v[103:104], 1.0
	v_fma_f64 v[103:104], v[103:104], v[105:106], v[103:104]
	v_div_scale_f64 v[105:106], vcc, v[99:100], v[97:98], v[99:100]
	v_fma_f64 v[107:108], -v[101:102], v[103:104], 1.0
	v_fma_f64 v[103:104], v[103:104], v[107:108], v[103:104]
	v_mul_f64 v[107:108], v[105:106], v[103:104]
	v_fma_f64 v[101:102], -v[101:102], v[107:108], v[105:106]
	v_div_fmas_f64 v[101:102], v[101:102], v[103:104], v[107:108]
	v_div_fixup_f64 v[103:104], v[101:102], v[97:98], v[99:100]
	v_fma_f64 v[97:98], v[99:100], v[103:104], v[97:98]
	v_div_scale_f64 v[99:100], s[6:7], v[97:98], v[97:98], 1.0
	v_div_scale_f64 v[107:108], vcc, 1.0, v[97:98], 1.0
	v_rcp_f64_e32 v[101:102], v[99:100]
	v_fma_f64 v[105:106], -v[99:100], v[101:102], 1.0
	v_fma_f64 v[101:102], v[101:102], v[105:106], v[101:102]
	v_fma_f64 v[105:106], -v[99:100], v[101:102], 1.0
	v_fma_f64 v[101:102], v[101:102], v[105:106], v[101:102]
	v_mul_f64 v[105:106], v[107:108], v[101:102]
	v_fma_f64 v[99:100], -v[99:100], v[105:106], v[107:108]
	v_div_fmas_f64 v[99:100], v[99:100], v[101:102], v[105:106]
	v_div_fixup_f64 v[101:102], v[99:100], v[97:98], 1.0
	v_mul_f64 v[103:104], v[103:104], -v[101:102]
.LBB101_43:
	s_or_b64 exec, exec, s[2:3]
	ds_write2_b64 v127, v[101:102], v[103:104] offset1:1
.LBB101_44:
	s_or_b64 exec, exec, s[4:5]
	s_waitcnt lgkmcnt(0)
	s_barrier
	ds_read2_b64 v[69:72], v127 offset1:1
	v_cmp_lt_u32_e32 vcc, 4, v0
	s_waitcnt lgkmcnt(0)
	buffer_store_dword v69, off, s[20:23], 0 offset:912 ; 4-byte Folded Spill
	s_nop 0
	buffer_store_dword v70, off, s[20:23], 0 offset:916 ; 4-byte Folded Spill
	buffer_store_dword v71, off, s[20:23], 0 offset:920 ; 4-byte Folded Spill
	;; [unrolled: 1-line block ×3, first 2 shown]
	s_and_saveexec_b64 s[2:3], vcc
	s_cbranch_execz .LBB101_46
; %bb.45:
	buffer_load_dword v103, off, s[20:23], 0 offset:368 ; 4-byte Folded Reload
	buffer_load_dword v104, off, s[20:23], 0 offset:372 ; 4-byte Folded Reload
	;; [unrolled: 1-line block ×8, first 2 shown]
	s_waitcnt vmcnt(2)
	v_mul_f64 v[99:100], v[69:70], v[105:106]
	s_waitcnt vmcnt(0)
	v_mul_f64 v[97:98], v[71:72], v[105:106]
	v_fma_f64 v[105:106], v[71:72], v[103:104], v[99:100]
	ds_read2_b64 v[99:102], v125 offset0:10 offset1:11
	v_fma_f64 v[97:98], v[69:70], v[103:104], -v[97:98]
	buffer_load_dword v69, off, s[20:23], 0 offset:352 ; 4-byte Folded Reload
	buffer_load_dword v70, off, s[20:23], 0 offset:356 ; 4-byte Folded Reload
	buffer_load_dword v71, off, s[20:23], 0 offset:360 ; 4-byte Folded Reload
	buffer_load_dword v72, off, s[20:23], 0 offset:364 ; 4-byte Folded Reload
	s_waitcnt lgkmcnt(0)
	v_mul_f64 v[103:104], v[101:102], v[105:106]
	v_fma_f64 v[103:104], v[99:100], v[97:98], -v[103:104]
	v_mul_f64 v[99:100], v[99:100], v[105:106]
	v_fma_f64 v[99:100], v[101:102], v[97:98], v[99:100]
	s_waitcnt vmcnt(2)
	v_add_f64 v[69:70], v[69:70], -v[103:104]
	s_waitcnt vmcnt(0)
	v_add_f64 v[71:72], v[71:72], -v[99:100]
	buffer_store_dword v69, off, s[20:23], 0 offset:352 ; 4-byte Folded Spill
	s_nop 0
	buffer_store_dword v70, off, s[20:23], 0 offset:356 ; 4-byte Folded Spill
	buffer_store_dword v71, off, s[20:23], 0 offset:360 ; 4-byte Folded Spill
	buffer_store_dword v72, off, s[20:23], 0 offset:364 ; 4-byte Folded Spill
	ds_read2_b64 v[99:102], v125 offset0:12 offset1:13
	buffer_load_dword v69, off, s[20:23], 0 offset:336 ; 4-byte Folded Reload
	buffer_load_dword v70, off, s[20:23], 0 offset:340 ; 4-byte Folded Reload
	buffer_load_dword v71, off, s[20:23], 0 offset:344 ; 4-byte Folded Reload
	buffer_load_dword v72, off, s[20:23], 0 offset:348 ; 4-byte Folded Reload
	s_waitcnt lgkmcnt(0)
	v_mul_f64 v[103:104], v[101:102], v[105:106]
	v_fma_f64 v[103:104], v[99:100], v[97:98], -v[103:104]
	v_mul_f64 v[99:100], v[99:100], v[105:106]
	v_fma_f64 v[99:100], v[101:102], v[97:98], v[99:100]
	s_waitcnt vmcnt(2)
	v_add_f64 v[69:70], v[69:70], -v[103:104]
	s_waitcnt vmcnt(0)
	v_add_f64 v[71:72], v[71:72], -v[99:100]
	buffer_store_dword v69, off, s[20:23], 0 offset:336 ; 4-byte Folded Spill
	s_nop 0
	buffer_store_dword v70, off, s[20:23], 0 offset:340 ; 4-byte Folded Spill
	buffer_store_dword v71, off, s[20:23], 0 offset:344 ; 4-byte Folded Spill
	buffer_store_dword v72, off, s[20:23], 0 offset:348 ; 4-byte Folded Spill
	ds_read2_b64 v[99:102], v125 offset0:14 offset1:15
	;; [unrolled: 19-line block ×20, first 2 shown]
	v_mov_b32_e32 v69, v73
	v_mov_b32_e32 v70, v74
	;; [unrolled: 1-line block ×4, first 2 shown]
	s_waitcnt lgkmcnt(0)
	v_mul_f64 v[103:104], v[101:102], v[105:106]
	v_fma_f64 v[103:104], v[99:100], v[97:98], -v[103:104]
	v_mul_f64 v[99:100], v[99:100], v[105:106]
	v_add_f64 v[121:122], v[121:122], -v[103:104]
	v_fma_f64 v[99:100], v[101:102], v[97:98], v[99:100]
	v_add_f64 v[123:124], v[123:124], -v[99:100]
	ds_read2_b64 v[99:102], v125 offset0:52 offset1:53
	s_waitcnt lgkmcnt(0)
	v_mul_f64 v[103:104], v[101:102], v[105:106]
	v_fma_f64 v[103:104], v[99:100], v[97:98], -v[103:104]
	v_mul_f64 v[99:100], v[99:100], v[105:106]
	v_add_f64 v[117:118], v[117:118], -v[103:104]
	v_fma_f64 v[99:100], v[101:102], v[97:98], v[99:100]
	v_add_f64 v[119:120], v[119:120], -v[99:100]
	ds_read2_b64 v[99:102], v125 offset0:54 offset1:55
	;; [unrolled: 8-line block ×5, first 2 shown]
	buffer_load_dword v77, off, s[20:23], 0 offset:32 ; 4-byte Folded Reload
	buffer_load_dword v78, off, s[20:23], 0 offset:36 ; 4-byte Folded Reload
	;; [unrolled: 1-line block ×4, first 2 shown]
	s_waitcnt lgkmcnt(0)
	v_mul_f64 v[103:104], v[101:102], v[105:106]
	v_fma_f64 v[103:104], v[99:100], v[97:98], -v[103:104]
	v_mul_f64 v[99:100], v[99:100], v[105:106]
	v_fma_f64 v[99:100], v[101:102], v[97:98], v[99:100]
	s_waitcnt vmcnt(2)
	v_add_f64 v[77:78], v[77:78], -v[103:104]
	s_waitcnt vmcnt(0)
	v_add_f64 v[79:80], v[79:80], -v[99:100]
	buffer_store_dword v77, off, s[20:23], 0 offset:32 ; 4-byte Folded Spill
	s_nop 0
	buffer_store_dword v78, off, s[20:23], 0 offset:36 ; 4-byte Folded Spill
	buffer_store_dword v79, off, s[20:23], 0 offset:40 ; 4-byte Folded Spill
	;; [unrolled: 1-line block ×3, first 2 shown]
	ds_read2_b64 v[99:102], v125 offset0:62 offset1:63
	buffer_load_dword v73, off, s[20:23], 0 offset:16 ; 4-byte Folded Reload
	buffer_load_dword v74, off, s[20:23], 0 offset:20 ; 4-byte Folded Reload
	;; [unrolled: 1-line block ×4, first 2 shown]
	s_waitcnt lgkmcnt(0)
	v_mul_f64 v[103:104], v[101:102], v[105:106]
	v_fma_f64 v[103:104], v[99:100], v[97:98], -v[103:104]
	v_mul_f64 v[99:100], v[99:100], v[105:106]
	v_fma_f64 v[99:100], v[101:102], v[97:98], v[99:100]
	s_waitcnt vmcnt(2)
	v_add_f64 v[73:74], v[73:74], -v[103:104]
	s_waitcnt vmcnt(0)
	v_add_f64 v[75:76], v[75:76], -v[99:100]
	buffer_store_dword v73, off, s[20:23], 0 offset:16 ; 4-byte Folded Spill
	s_nop 0
	buffer_store_dword v74, off, s[20:23], 0 offset:20 ; 4-byte Folded Spill
	buffer_store_dword v75, off, s[20:23], 0 offset:24 ; 4-byte Folded Spill
	;; [unrolled: 1-line block ×3, first 2 shown]
	v_mov_b32_e32 v76, v72
	v_mov_b32_e32 v75, v71
	;; [unrolled: 1-line block ×4, first 2 shown]
	ds_read2_b64 v[99:102], v125 offset0:64 offset1:65
	buffer_load_dword v69, off, s[20:23], 0 ; 4-byte Folded Reload
	buffer_load_dword v70, off, s[20:23], 0 offset:4 ; 4-byte Folded Reload
	buffer_load_dword v71, off, s[20:23], 0 offset:8 ; 4-byte Folded Reload
	;; [unrolled: 1-line block ×3, first 2 shown]
	s_waitcnt lgkmcnt(0)
	v_mul_f64 v[103:104], v[101:102], v[105:106]
	v_fma_f64 v[103:104], v[99:100], v[97:98], -v[103:104]
	v_mul_f64 v[99:100], v[99:100], v[105:106]
	v_fma_f64 v[99:100], v[101:102], v[97:98], v[99:100]
	s_waitcnt vmcnt(2)
	v_add_f64 v[69:70], v[69:70], -v[103:104]
	s_waitcnt vmcnt(0)
	v_add_f64 v[71:72], v[71:72], -v[99:100]
	buffer_store_dword v69, off, s[20:23], 0 ; 4-byte Folded Spill
	s_nop 0
	buffer_store_dword v70, off, s[20:23], 0 offset:4 ; 4-byte Folded Spill
	buffer_store_dword v71, off, s[20:23], 0 offset:8 ; 4-byte Folded Spill
	;; [unrolled: 1-line block ×3, first 2 shown]
	ds_read2_b64 v[99:102], v125 offset0:66 offset1:67
	s_waitcnt lgkmcnt(0)
	v_mul_f64 v[103:104], v[101:102], v[105:106]
	v_fma_f64 v[103:104], v[99:100], v[97:98], -v[103:104]
	v_mul_f64 v[99:100], v[99:100], v[105:106]
	v_add_f64 v[65:66], v[65:66], -v[103:104]
	v_fma_f64 v[99:100], v[101:102], v[97:98], v[99:100]
	v_add_f64 v[67:68], v[67:68], -v[99:100]
	ds_read2_b64 v[99:102], v125 offset0:68 offset1:69
	s_waitcnt lgkmcnt(0)
	v_mul_f64 v[103:104], v[101:102], v[105:106]
	v_fma_f64 v[103:104], v[99:100], v[97:98], -v[103:104]
	v_mul_f64 v[99:100], v[99:100], v[105:106]
	v_add_f64 v[61:62], v[61:62], -v[103:104]
	v_fma_f64 v[99:100], v[101:102], v[97:98], v[99:100]
	v_add_f64 v[63:64], v[63:64], -v[99:100]
	;; [unrolled: 8-line block ×16, first 2 shown]
	ds_read2_b64 v[99:102], v125 offset0:98 offset1:99
	s_waitcnt lgkmcnt(0)
	v_mul_f64 v[103:104], v[101:102], v[105:106]
	v_fma_f64 v[103:104], v[99:100], v[97:98], -v[103:104]
	v_mul_f64 v[99:100], v[99:100], v[105:106]
	v_add_f64 v[1:2], v[1:2], -v[103:104]
	v_fma_f64 v[99:100], v[101:102], v[97:98], v[99:100]
	ds_read2_b64 v[101:104], v125 offset0:100 offset1:101
	v_add_f64 v[3:4], v[3:4], -v[99:100]
	s_waitcnt lgkmcnt(0)
	v_mul_f64 v[99:100], v[103:104], v[105:106]
	v_fma_f64 v[99:100], v[101:102], v[97:98], -v[99:100]
	v_mul_f64 v[101:102], v[101:102], v[105:106]
	v_add_f64 v[73:74], v[73:74], -v[99:100]
	v_fma_f64 v[101:102], v[103:104], v[97:98], v[101:102]
	v_mov_b32_e32 v104, v98
	v_mov_b32_e32 v103, v97
	buffer_store_dword v103, off, s[20:23], 0 offset:368 ; 4-byte Folded Spill
	s_nop 0
	buffer_store_dword v104, off, s[20:23], 0 offset:372 ; 4-byte Folded Spill
	buffer_store_dword v105, off, s[20:23], 0 offset:376 ; 4-byte Folded Spill
	;; [unrolled: 1-line block ×3, first 2 shown]
	v_add_f64 v[75:76], v[75:76], -v[101:102]
.LBB101_46:
	s_or_b64 exec, exec, s[2:3]
	v_cmp_eq_u32_e32 vcc, 5, v0
	s_waitcnt vmcnt(0)
	s_barrier
	s_and_saveexec_b64 s[4:5], vcc
	s_cbranch_execz .LBB101_53
; %bb.47:
	buffer_load_dword v69, off, s[20:23], 0 offset:352 ; 4-byte Folded Reload
	buffer_load_dword v70, off, s[20:23], 0 offset:356 ; 4-byte Folded Reload
	;; [unrolled: 1-line block ×4, first 2 shown]
	s_waitcnt vmcnt(0)
	ds_write2_b64 v127, v[69:70], v[71:72] offset1:1
	buffer_load_dword v69, off, s[20:23], 0 offset:336 ; 4-byte Folded Reload
	buffer_load_dword v70, off, s[20:23], 0 offset:340 ; 4-byte Folded Reload
	buffer_load_dword v71, off, s[20:23], 0 offset:344 ; 4-byte Folded Reload
	buffer_load_dword v72, off, s[20:23], 0 offset:348 ; 4-byte Folded Reload
	s_waitcnt vmcnt(0)
	ds_write2_b64 v125, v[69:70], v[71:72] offset0:12 offset1:13
	buffer_load_dword v69, off, s[20:23], 0 offset:320 ; 4-byte Folded Reload
	buffer_load_dword v70, off, s[20:23], 0 offset:324 ; 4-byte Folded Reload
	buffer_load_dword v71, off, s[20:23], 0 offset:328 ; 4-byte Folded Reload
	buffer_load_dword v72, off, s[20:23], 0 offset:332 ; 4-byte Folded Reload
	s_waitcnt vmcnt(0)
	ds_write2_b64 v125, v[69:70], v[71:72] offset0:14 offset1:15
	;; [unrolled: 6-line block ×19, first 2 shown]
	ds_write2_b64 v125, v[121:122], v[123:124] offset0:50 offset1:51
	ds_write2_b64 v125, v[117:118], v[119:120] offset0:52 offset1:53
	;; [unrolled: 1-line block ×5, first 2 shown]
	buffer_load_dword v77, off, s[20:23], 0 offset:32 ; 4-byte Folded Reload
	buffer_load_dword v78, off, s[20:23], 0 offset:36 ; 4-byte Folded Reload
	;; [unrolled: 1-line block ×4, first 2 shown]
	v_mov_b32_e32 v69, v73
	v_mov_b32_e32 v70, v74
	;; [unrolled: 1-line block ×4, first 2 shown]
	s_waitcnt vmcnt(0)
	ds_write2_b64 v125, v[77:78], v[79:80] offset0:60 offset1:61
	buffer_load_dword v73, off, s[20:23], 0 offset:16 ; 4-byte Folded Reload
	buffer_load_dword v74, off, s[20:23], 0 offset:20 ; 4-byte Folded Reload
	;; [unrolled: 1-line block ×4, first 2 shown]
	s_waitcnt vmcnt(0)
	ds_write2_b64 v125, v[73:74], v[75:76] offset0:62 offset1:63
	v_mov_b32_e32 v76, v72
	v_mov_b32_e32 v75, v71
	;; [unrolled: 1-line block ×4, first 2 shown]
	buffer_load_dword v69, off, s[20:23], 0 ; 4-byte Folded Reload
	buffer_load_dword v70, off, s[20:23], 0 offset:4 ; 4-byte Folded Reload
	buffer_load_dword v71, off, s[20:23], 0 offset:8 ; 4-byte Folded Reload
	;; [unrolled: 1-line block ×3, first 2 shown]
	s_waitcnt vmcnt(0)
	ds_write2_b64 v125, v[69:70], v[71:72] offset0:64 offset1:65
	ds_write2_b64 v125, v[65:66], v[67:68] offset0:66 offset1:67
	;; [unrolled: 1-line block ×19, first 2 shown]
	ds_read2_b64 v[97:100], v127 offset1:1
	s_waitcnt lgkmcnt(0)
	v_cmp_neq_f64_e32 vcc, 0, v[97:98]
	v_cmp_neq_f64_e64 s[2:3], 0, v[99:100]
	s_or_b64 s[2:3], vcc, s[2:3]
	s_and_b64 exec, exec, s[2:3]
	s_cbranch_execz .LBB101_53
; %bb.48:
	v_cmp_ngt_f64_e64 s[2:3], |v[97:98]|, |v[99:100]|
                                        ; implicit-def: $vgpr101_vgpr102
	s_and_saveexec_b64 s[6:7], s[2:3]
	s_xor_b64 s[2:3], exec, s[6:7]
                                        ; implicit-def: $vgpr103_vgpr104
	s_cbranch_execz .LBB101_50
; %bb.49:
	v_div_scale_f64 v[101:102], s[6:7], v[99:100], v[99:100], v[97:98]
	v_rcp_f64_e32 v[103:104], v[101:102]
	v_fma_f64 v[105:106], -v[101:102], v[103:104], 1.0
	v_fma_f64 v[103:104], v[103:104], v[105:106], v[103:104]
	v_div_scale_f64 v[105:106], vcc, v[97:98], v[99:100], v[97:98]
	v_fma_f64 v[107:108], -v[101:102], v[103:104], 1.0
	v_fma_f64 v[103:104], v[103:104], v[107:108], v[103:104]
	v_mul_f64 v[107:108], v[105:106], v[103:104]
	v_fma_f64 v[101:102], -v[101:102], v[107:108], v[105:106]
	v_div_fmas_f64 v[101:102], v[101:102], v[103:104], v[107:108]
	v_div_fixup_f64 v[101:102], v[101:102], v[99:100], v[97:98]
	v_fma_f64 v[97:98], v[97:98], v[101:102], v[99:100]
	v_div_scale_f64 v[99:100], s[6:7], v[97:98], v[97:98], 1.0
	v_div_scale_f64 v[107:108], vcc, 1.0, v[97:98], 1.0
	v_rcp_f64_e32 v[103:104], v[99:100]
	v_fma_f64 v[105:106], -v[99:100], v[103:104], 1.0
	v_fma_f64 v[103:104], v[103:104], v[105:106], v[103:104]
	v_fma_f64 v[105:106], -v[99:100], v[103:104], 1.0
	v_fma_f64 v[103:104], v[103:104], v[105:106], v[103:104]
	v_mul_f64 v[105:106], v[107:108], v[103:104]
	v_fma_f64 v[99:100], -v[99:100], v[105:106], v[107:108]
	v_div_fmas_f64 v[99:100], v[99:100], v[103:104], v[105:106]
	v_div_fixup_f64 v[103:104], v[99:100], v[97:98], 1.0
                                        ; implicit-def: $vgpr97_vgpr98
	v_mul_f64 v[101:102], v[101:102], v[103:104]
	v_xor_b32_e32 v104, 0x80000000, v104
.LBB101_50:
	s_andn2_saveexec_b64 s[2:3], s[2:3]
	s_cbranch_execz .LBB101_52
; %bb.51:
	v_div_scale_f64 v[101:102], s[6:7], v[97:98], v[97:98], v[99:100]
	v_rcp_f64_e32 v[103:104], v[101:102]
	v_fma_f64 v[105:106], -v[101:102], v[103:104], 1.0
	v_fma_f64 v[103:104], v[103:104], v[105:106], v[103:104]
	v_div_scale_f64 v[105:106], vcc, v[99:100], v[97:98], v[99:100]
	v_fma_f64 v[107:108], -v[101:102], v[103:104], 1.0
	v_fma_f64 v[103:104], v[103:104], v[107:108], v[103:104]
	v_mul_f64 v[107:108], v[105:106], v[103:104]
	v_fma_f64 v[101:102], -v[101:102], v[107:108], v[105:106]
	v_div_fmas_f64 v[101:102], v[101:102], v[103:104], v[107:108]
	v_div_fixup_f64 v[103:104], v[101:102], v[97:98], v[99:100]
	v_fma_f64 v[97:98], v[99:100], v[103:104], v[97:98]
	v_div_scale_f64 v[99:100], s[6:7], v[97:98], v[97:98], 1.0
	v_div_scale_f64 v[107:108], vcc, 1.0, v[97:98], 1.0
	v_rcp_f64_e32 v[101:102], v[99:100]
	v_fma_f64 v[105:106], -v[99:100], v[101:102], 1.0
	v_fma_f64 v[101:102], v[101:102], v[105:106], v[101:102]
	v_fma_f64 v[105:106], -v[99:100], v[101:102], 1.0
	v_fma_f64 v[101:102], v[101:102], v[105:106], v[101:102]
	v_mul_f64 v[105:106], v[107:108], v[101:102]
	v_fma_f64 v[99:100], -v[99:100], v[105:106], v[107:108]
	v_div_fmas_f64 v[99:100], v[99:100], v[101:102], v[105:106]
	v_div_fixup_f64 v[101:102], v[99:100], v[97:98], 1.0
	v_mul_f64 v[103:104], v[103:104], -v[101:102]
.LBB101_52:
	s_or_b64 exec, exec, s[2:3]
	ds_write2_b64 v127, v[101:102], v[103:104] offset1:1
.LBB101_53:
	s_or_b64 exec, exec, s[4:5]
	s_waitcnt lgkmcnt(0)
	s_barrier
	ds_read2_b64 v[69:72], v127 offset1:1
	v_cmp_lt_u32_e32 vcc, 5, v0
	s_waitcnt lgkmcnt(0)
	buffer_store_dword v69, off, s[20:23], 0 offset:928 ; 4-byte Folded Spill
	s_nop 0
	buffer_store_dword v70, off, s[20:23], 0 offset:932 ; 4-byte Folded Spill
	buffer_store_dword v71, off, s[20:23], 0 offset:936 ; 4-byte Folded Spill
	;; [unrolled: 1-line block ×3, first 2 shown]
	s_and_saveexec_b64 s[2:3], vcc
	s_cbranch_execz .LBB101_55
; %bb.54:
	buffer_load_dword v103, off, s[20:23], 0 offset:352 ; 4-byte Folded Reload
	buffer_load_dword v104, off, s[20:23], 0 offset:356 ; 4-byte Folded Reload
	;; [unrolled: 1-line block ×8, first 2 shown]
	s_waitcnt vmcnt(2)
	v_mul_f64 v[99:100], v[69:70], v[105:106]
	s_waitcnt vmcnt(0)
	v_mul_f64 v[97:98], v[71:72], v[105:106]
	v_fma_f64 v[105:106], v[71:72], v[103:104], v[99:100]
	ds_read2_b64 v[99:102], v125 offset0:12 offset1:13
	v_fma_f64 v[97:98], v[69:70], v[103:104], -v[97:98]
	buffer_load_dword v69, off, s[20:23], 0 offset:336 ; 4-byte Folded Reload
	buffer_load_dword v70, off, s[20:23], 0 offset:340 ; 4-byte Folded Reload
	buffer_load_dword v71, off, s[20:23], 0 offset:344 ; 4-byte Folded Reload
	buffer_load_dword v72, off, s[20:23], 0 offset:348 ; 4-byte Folded Reload
	s_waitcnt lgkmcnt(0)
	v_mul_f64 v[103:104], v[101:102], v[105:106]
	v_fma_f64 v[103:104], v[99:100], v[97:98], -v[103:104]
	v_mul_f64 v[99:100], v[99:100], v[105:106]
	v_fma_f64 v[99:100], v[101:102], v[97:98], v[99:100]
	s_waitcnt vmcnt(2)
	v_add_f64 v[69:70], v[69:70], -v[103:104]
	s_waitcnt vmcnt(0)
	v_add_f64 v[71:72], v[71:72], -v[99:100]
	buffer_store_dword v69, off, s[20:23], 0 offset:336 ; 4-byte Folded Spill
	s_nop 0
	buffer_store_dword v70, off, s[20:23], 0 offset:340 ; 4-byte Folded Spill
	buffer_store_dword v71, off, s[20:23], 0 offset:344 ; 4-byte Folded Spill
	buffer_store_dword v72, off, s[20:23], 0 offset:348 ; 4-byte Folded Spill
	ds_read2_b64 v[99:102], v125 offset0:14 offset1:15
	buffer_load_dword v69, off, s[20:23], 0 offset:320 ; 4-byte Folded Reload
	buffer_load_dword v70, off, s[20:23], 0 offset:324 ; 4-byte Folded Reload
	buffer_load_dword v71, off, s[20:23], 0 offset:328 ; 4-byte Folded Reload
	buffer_load_dword v72, off, s[20:23], 0 offset:332 ; 4-byte Folded Reload
	s_waitcnt lgkmcnt(0)
	v_mul_f64 v[103:104], v[101:102], v[105:106]
	v_fma_f64 v[103:104], v[99:100], v[97:98], -v[103:104]
	v_mul_f64 v[99:100], v[99:100], v[105:106]
	v_fma_f64 v[99:100], v[101:102], v[97:98], v[99:100]
	s_waitcnt vmcnt(2)
	v_add_f64 v[69:70], v[69:70], -v[103:104]
	s_waitcnt vmcnt(0)
	v_add_f64 v[71:72], v[71:72], -v[99:100]
	buffer_store_dword v69, off, s[20:23], 0 offset:320 ; 4-byte Folded Spill
	s_nop 0
	buffer_store_dword v70, off, s[20:23], 0 offset:324 ; 4-byte Folded Spill
	buffer_store_dword v71, off, s[20:23], 0 offset:328 ; 4-byte Folded Spill
	buffer_store_dword v72, off, s[20:23], 0 offset:332 ; 4-byte Folded Spill
	ds_read2_b64 v[99:102], v125 offset0:16 offset1:17
	;; [unrolled: 19-line block ×19, first 2 shown]
	v_mov_b32_e32 v69, v73
	v_mov_b32_e32 v70, v74
	;; [unrolled: 1-line block ×4, first 2 shown]
	s_waitcnt lgkmcnt(0)
	v_mul_f64 v[103:104], v[101:102], v[105:106]
	v_fma_f64 v[103:104], v[99:100], v[97:98], -v[103:104]
	v_mul_f64 v[99:100], v[99:100], v[105:106]
	v_add_f64 v[121:122], v[121:122], -v[103:104]
	v_fma_f64 v[99:100], v[101:102], v[97:98], v[99:100]
	v_add_f64 v[123:124], v[123:124], -v[99:100]
	ds_read2_b64 v[99:102], v125 offset0:52 offset1:53
	s_waitcnt lgkmcnt(0)
	v_mul_f64 v[103:104], v[101:102], v[105:106]
	v_fma_f64 v[103:104], v[99:100], v[97:98], -v[103:104]
	v_mul_f64 v[99:100], v[99:100], v[105:106]
	v_add_f64 v[117:118], v[117:118], -v[103:104]
	v_fma_f64 v[99:100], v[101:102], v[97:98], v[99:100]
	v_add_f64 v[119:120], v[119:120], -v[99:100]
	ds_read2_b64 v[99:102], v125 offset0:54 offset1:55
	;; [unrolled: 8-line block ×5, first 2 shown]
	buffer_load_dword v77, off, s[20:23], 0 offset:32 ; 4-byte Folded Reload
	buffer_load_dword v78, off, s[20:23], 0 offset:36 ; 4-byte Folded Reload
	;; [unrolled: 1-line block ×4, first 2 shown]
	s_waitcnt lgkmcnt(0)
	v_mul_f64 v[103:104], v[101:102], v[105:106]
	v_fma_f64 v[103:104], v[99:100], v[97:98], -v[103:104]
	v_mul_f64 v[99:100], v[99:100], v[105:106]
	v_fma_f64 v[99:100], v[101:102], v[97:98], v[99:100]
	s_waitcnt vmcnt(2)
	v_add_f64 v[77:78], v[77:78], -v[103:104]
	s_waitcnt vmcnt(0)
	v_add_f64 v[79:80], v[79:80], -v[99:100]
	buffer_store_dword v77, off, s[20:23], 0 offset:32 ; 4-byte Folded Spill
	s_nop 0
	buffer_store_dword v78, off, s[20:23], 0 offset:36 ; 4-byte Folded Spill
	buffer_store_dword v79, off, s[20:23], 0 offset:40 ; 4-byte Folded Spill
	;; [unrolled: 1-line block ×3, first 2 shown]
	ds_read2_b64 v[99:102], v125 offset0:62 offset1:63
	buffer_load_dword v73, off, s[20:23], 0 offset:16 ; 4-byte Folded Reload
	buffer_load_dword v74, off, s[20:23], 0 offset:20 ; 4-byte Folded Reload
	;; [unrolled: 1-line block ×4, first 2 shown]
	s_waitcnt lgkmcnt(0)
	v_mul_f64 v[103:104], v[101:102], v[105:106]
	v_fma_f64 v[103:104], v[99:100], v[97:98], -v[103:104]
	v_mul_f64 v[99:100], v[99:100], v[105:106]
	v_fma_f64 v[99:100], v[101:102], v[97:98], v[99:100]
	s_waitcnt vmcnt(2)
	v_add_f64 v[73:74], v[73:74], -v[103:104]
	s_waitcnt vmcnt(0)
	v_add_f64 v[75:76], v[75:76], -v[99:100]
	buffer_store_dword v73, off, s[20:23], 0 offset:16 ; 4-byte Folded Spill
	s_nop 0
	buffer_store_dword v74, off, s[20:23], 0 offset:20 ; 4-byte Folded Spill
	buffer_store_dword v75, off, s[20:23], 0 offset:24 ; 4-byte Folded Spill
	;; [unrolled: 1-line block ×3, first 2 shown]
	v_mov_b32_e32 v76, v72
	v_mov_b32_e32 v75, v71
	v_mov_b32_e32 v74, v70
	v_mov_b32_e32 v73, v69
	ds_read2_b64 v[99:102], v125 offset0:64 offset1:65
	buffer_load_dword v69, off, s[20:23], 0 ; 4-byte Folded Reload
	buffer_load_dword v70, off, s[20:23], 0 offset:4 ; 4-byte Folded Reload
	buffer_load_dword v71, off, s[20:23], 0 offset:8 ; 4-byte Folded Reload
	;; [unrolled: 1-line block ×3, first 2 shown]
	s_waitcnt lgkmcnt(0)
	v_mul_f64 v[103:104], v[101:102], v[105:106]
	v_fma_f64 v[103:104], v[99:100], v[97:98], -v[103:104]
	v_mul_f64 v[99:100], v[99:100], v[105:106]
	v_fma_f64 v[99:100], v[101:102], v[97:98], v[99:100]
	s_waitcnt vmcnt(2)
	v_add_f64 v[69:70], v[69:70], -v[103:104]
	s_waitcnt vmcnt(0)
	v_add_f64 v[71:72], v[71:72], -v[99:100]
	buffer_store_dword v69, off, s[20:23], 0 ; 4-byte Folded Spill
	s_nop 0
	buffer_store_dword v70, off, s[20:23], 0 offset:4 ; 4-byte Folded Spill
	buffer_store_dword v71, off, s[20:23], 0 offset:8 ; 4-byte Folded Spill
	;; [unrolled: 1-line block ×3, first 2 shown]
	ds_read2_b64 v[99:102], v125 offset0:66 offset1:67
	s_waitcnt lgkmcnt(0)
	v_mul_f64 v[103:104], v[101:102], v[105:106]
	v_fma_f64 v[103:104], v[99:100], v[97:98], -v[103:104]
	v_mul_f64 v[99:100], v[99:100], v[105:106]
	v_add_f64 v[65:66], v[65:66], -v[103:104]
	v_fma_f64 v[99:100], v[101:102], v[97:98], v[99:100]
	v_add_f64 v[67:68], v[67:68], -v[99:100]
	ds_read2_b64 v[99:102], v125 offset0:68 offset1:69
	s_waitcnt lgkmcnt(0)
	v_mul_f64 v[103:104], v[101:102], v[105:106]
	v_fma_f64 v[103:104], v[99:100], v[97:98], -v[103:104]
	v_mul_f64 v[99:100], v[99:100], v[105:106]
	v_add_f64 v[61:62], v[61:62], -v[103:104]
	v_fma_f64 v[99:100], v[101:102], v[97:98], v[99:100]
	v_add_f64 v[63:64], v[63:64], -v[99:100]
	;; [unrolled: 8-line block ×16, first 2 shown]
	ds_read2_b64 v[99:102], v125 offset0:98 offset1:99
	s_waitcnt lgkmcnt(0)
	v_mul_f64 v[103:104], v[101:102], v[105:106]
	v_fma_f64 v[103:104], v[99:100], v[97:98], -v[103:104]
	v_mul_f64 v[99:100], v[99:100], v[105:106]
	v_add_f64 v[1:2], v[1:2], -v[103:104]
	v_fma_f64 v[99:100], v[101:102], v[97:98], v[99:100]
	ds_read2_b64 v[101:104], v125 offset0:100 offset1:101
	v_add_f64 v[3:4], v[3:4], -v[99:100]
	s_waitcnt lgkmcnt(0)
	v_mul_f64 v[99:100], v[103:104], v[105:106]
	v_fma_f64 v[99:100], v[101:102], v[97:98], -v[99:100]
	v_mul_f64 v[101:102], v[101:102], v[105:106]
	v_add_f64 v[73:74], v[73:74], -v[99:100]
	v_fma_f64 v[101:102], v[103:104], v[97:98], v[101:102]
	v_mov_b32_e32 v104, v98
	v_mov_b32_e32 v103, v97
	buffer_store_dword v103, off, s[20:23], 0 offset:352 ; 4-byte Folded Spill
	s_nop 0
	buffer_store_dword v104, off, s[20:23], 0 offset:356 ; 4-byte Folded Spill
	buffer_store_dword v105, off, s[20:23], 0 offset:360 ; 4-byte Folded Spill
	;; [unrolled: 1-line block ×3, first 2 shown]
	v_add_f64 v[75:76], v[75:76], -v[101:102]
.LBB101_55:
	s_or_b64 exec, exec, s[2:3]
	v_cmp_eq_u32_e32 vcc, 6, v0
	s_waitcnt vmcnt(0)
	s_barrier
	s_and_saveexec_b64 s[4:5], vcc
	s_cbranch_execz .LBB101_62
; %bb.56:
	buffer_load_dword v69, off, s[20:23], 0 offset:336 ; 4-byte Folded Reload
	buffer_load_dword v70, off, s[20:23], 0 offset:340 ; 4-byte Folded Reload
	;; [unrolled: 1-line block ×4, first 2 shown]
	s_waitcnt vmcnt(0)
	ds_write2_b64 v127, v[69:70], v[71:72] offset1:1
	buffer_load_dword v69, off, s[20:23], 0 offset:320 ; 4-byte Folded Reload
	buffer_load_dword v70, off, s[20:23], 0 offset:324 ; 4-byte Folded Reload
	buffer_load_dword v71, off, s[20:23], 0 offset:328 ; 4-byte Folded Reload
	buffer_load_dword v72, off, s[20:23], 0 offset:332 ; 4-byte Folded Reload
	s_waitcnt vmcnt(0)
	ds_write2_b64 v125, v[69:70], v[71:72] offset0:14 offset1:15
	buffer_load_dword v69, off, s[20:23], 0 offset:304 ; 4-byte Folded Reload
	buffer_load_dword v70, off, s[20:23], 0 offset:308 ; 4-byte Folded Reload
	buffer_load_dword v71, off, s[20:23], 0 offset:312 ; 4-byte Folded Reload
	buffer_load_dword v72, off, s[20:23], 0 offset:316 ; 4-byte Folded Reload
	s_waitcnt vmcnt(0)
	ds_write2_b64 v125, v[69:70], v[71:72] offset0:16 offset1:17
	;; [unrolled: 6-line block ×18, first 2 shown]
	ds_write2_b64 v125, v[121:122], v[123:124] offset0:50 offset1:51
	ds_write2_b64 v125, v[117:118], v[119:120] offset0:52 offset1:53
	;; [unrolled: 1-line block ×5, first 2 shown]
	buffer_load_dword v77, off, s[20:23], 0 offset:32 ; 4-byte Folded Reload
	buffer_load_dword v78, off, s[20:23], 0 offset:36 ; 4-byte Folded Reload
	;; [unrolled: 1-line block ×4, first 2 shown]
	v_mov_b32_e32 v69, v73
	v_mov_b32_e32 v70, v74
	;; [unrolled: 1-line block ×4, first 2 shown]
	s_waitcnt vmcnt(0)
	ds_write2_b64 v125, v[77:78], v[79:80] offset0:60 offset1:61
	buffer_load_dword v73, off, s[20:23], 0 offset:16 ; 4-byte Folded Reload
	buffer_load_dword v74, off, s[20:23], 0 offset:20 ; 4-byte Folded Reload
	buffer_load_dword v75, off, s[20:23], 0 offset:24 ; 4-byte Folded Reload
	buffer_load_dword v76, off, s[20:23], 0 offset:28 ; 4-byte Folded Reload
	s_waitcnt vmcnt(0)
	ds_write2_b64 v125, v[73:74], v[75:76] offset0:62 offset1:63
	v_mov_b32_e32 v76, v72
	v_mov_b32_e32 v75, v71
	;; [unrolled: 1-line block ×4, first 2 shown]
	buffer_load_dword v69, off, s[20:23], 0 ; 4-byte Folded Reload
	buffer_load_dword v70, off, s[20:23], 0 offset:4 ; 4-byte Folded Reload
	buffer_load_dword v71, off, s[20:23], 0 offset:8 ; 4-byte Folded Reload
	;; [unrolled: 1-line block ×3, first 2 shown]
	s_waitcnt vmcnt(0)
	ds_write2_b64 v125, v[69:70], v[71:72] offset0:64 offset1:65
	ds_write2_b64 v125, v[65:66], v[67:68] offset0:66 offset1:67
	;; [unrolled: 1-line block ×19, first 2 shown]
	ds_read2_b64 v[97:100], v127 offset1:1
	s_waitcnt lgkmcnt(0)
	v_cmp_neq_f64_e32 vcc, 0, v[97:98]
	v_cmp_neq_f64_e64 s[2:3], 0, v[99:100]
	s_or_b64 s[2:3], vcc, s[2:3]
	s_and_b64 exec, exec, s[2:3]
	s_cbranch_execz .LBB101_62
; %bb.57:
	v_cmp_ngt_f64_e64 s[2:3], |v[97:98]|, |v[99:100]|
                                        ; implicit-def: $vgpr101_vgpr102
	s_and_saveexec_b64 s[6:7], s[2:3]
	s_xor_b64 s[2:3], exec, s[6:7]
                                        ; implicit-def: $vgpr103_vgpr104
	s_cbranch_execz .LBB101_59
; %bb.58:
	v_div_scale_f64 v[101:102], s[6:7], v[99:100], v[99:100], v[97:98]
	v_rcp_f64_e32 v[103:104], v[101:102]
	v_fma_f64 v[105:106], -v[101:102], v[103:104], 1.0
	v_fma_f64 v[103:104], v[103:104], v[105:106], v[103:104]
	v_div_scale_f64 v[105:106], vcc, v[97:98], v[99:100], v[97:98]
	v_fma_f64 v[107:108], -v[101:102], v[103:104], 1.0
	v_fma_f64 v[103:104], v[103:104], v[107:108], v[103:104]
	v_mul_f64 v[107:108], v[105:106], v[103:104]
	v_fma_f64 v[101:102], -v[101:102], v[107:108], v[105:106]
	v_div_fmas_f64 v[101:102], v[101:102], v[103:104], v[107:108]
	v_div_fixup_f64 v[101:102], v[101:102], v[99:100], v[97:98]
	v_fma_f64 v[97:98], v[97:98], v[101:102], v[99:100]
	v_div_scale_f64 v[99:100], s[6:7], v[97:98], v[97:98], 1.0
	v_div_scale_f64 v[107:108], vcc, 1.0, v[97:98], 1.0
	v_rcp_f64_e32 v[103:104], v[99:100]
	v_fma_f64 v[105:106], -v[99:100], v[103:104], 1.0
	v_fma_f64 v[103:104], v[103:104], v[105:106], v[103:104]
	v_fma_f64 v[105:106], -v[99:100], v[103:104], 1.0
	v_fma_f64 v[103:104], v[103:104], v[105:106], v[103:104]
	v_mul_f64 v[105:106], v[107:108], v[103:104]
	v_fma_f64 v[99:100], -v[99:100], v[105:106], v[107:108]
	v_div_fmas_f64 v[99:100], v[99:100], v[103:104], v[105:106]
	v_div_fixup_f64 v[103:104], v[99:100], v[97:98], 1.0
                                        ; implicit-def: $vgpr97_vgpr98
	v_mul_f64 v[101:102], v[101:102], v[103:104]
	v_xor_b32_e32 v104, 0x80000000, v104
.LBB101_59:
	s_andn2_saveexec_b64 s[2:3], s[2:3]
	s_cbranch_execz .LBB101_61
; %bb.60:
	v_div_scale_f64 v[101:102], s[6:7], v[97:98], v[97:98], v[99:100]
	v_rcp_f64_e32 v[103:104], v[101:102]
	v_fma_f64 v[105:106], -v[101:102], v[103:104], 1.0
	v_fma_f64 v[103:104], v[103:104], v[105:106], v[103:104]
	v_div_scale_f64 v[105:106], vcc, v[99:100], v[97:98], v[99:100]
	v_fma_f64 v[107:108], -v[101:102], v[103:104], 1.0
	v_fma_f64 v[103:104], v[103:104], v[107:108], v[103:104]
	v_mul_f64 v[107:108], v[105:106], v[103:104]
	v_fma_f64 v[101:102], -v[101:102], v[107:108], v[105:106]
	v_div_fmas_f64 v[101:102], v[101:102], v[103:104], v[107:108]
	v_div_fixup_f64 v[103:104], v[101:102], v[97:98], v[99:100]
	v_fma_f64 v[97:98], v[99:100], v[103:104], v[97:98]
	v_div_scale_f64 v[99:100], s[6:7], v[97:98], v[97:98], 1.0
	v_div_scale_f64 v[107:108], vcc, 1.0, v[97:98], 1.0
	v_rcp_f64_e32 v[101:102], v[99:100]
	v_fma_f64 v[105:106], -v[99:100], v[101:102], 1.0
	v_fma_f64 v[101:102], v[101:102], v[105:106], v[101:102]
	v_fma_f64 v[105:106], -v[99:100], v[101:102], 1.0
	v_fma_f64 v[101:102], v[101:102], v[105:106], v[101:102]
	v_mul_f64 v[105:106], v[107:108], v[101:102]
	v_fma_f64 v[99:100], -v[99:100], v[105:106], v[107:108]
	v_div_fmas_f64 v[99:100], v[99:100], v[101:102], v[105:106]
	v_div_fixup_f64 v[101:102], v[99:100], v[97:98], 1.0
	v_mul_f64 v[103:104], v[103:104], -v[101:102]
.LBB101_61:
	s_or_b64 exec, exec, s[2:3]
	ds_write2_b64 v127, v[101:102], v[103:104] offset1:1
.LBB101_62:
	s_or_b64 exec, exec, s[4:5]
	s_waitcnt lgkmcnt(0)
	s_barrier
	ds_read2_b64 v[69:72], v127 offset1:1
	v_cmp_lt_u32_e32 vcc, 6, v0
	s_waitcnt lgkmcnt(0)
	buffer_store_dword v69, off, s[20:23], 0 offset:944 ; 4-byte Folded Spill
	s_nop 0
	buffer_store_dword v70, off, s[20:23], 0 offset:948 ; 4-byte Folded Spill
	buffer_store_dword v71, off, s[20:23], 0 offset:952 ; 4-byte Folded Spill
	;; [unrolled: 1-line block ×3, first 2 shown]
	s_and_saveexec_b64 s[2:3], vcc
	s_cbranch_execz .LBB101_64
; %bb.63:
	buffer_load_dword v103, off, s[20:23], 0 offset:336 ; 4-byte Folded Reload
	buffer_load_dword v104, off, s[20:23], 0 offset:340 ; 4-byte Folded Reload
	;; [unrolled: 1-line block ×8, first 2 shown]
	s_waitcnt vmcnt(2)
	v_mul_f64 v[99:100], v[69:70], v[105:106]
	s_waitcnt vmcnt(0)
	v_mul_f64 v[97:98], v[71:72], v[105:106]
	v_fma_f64 v[105:106], v[71:72], v[103:104], v[99:100]
	ds_read2_b64 v[99:102], v125 offset0:14 offset1:15
	v_fma_f64 v[97:98], v[69:70], v[103:104], -v[97:98]
	buffer_load_dword v69, off, s[20:23], 0 offset:320 ; 4-byte Folded Reload
	buffer_load_dword v70, off, s[20:23], 0 offset:324 ; 4-byte Folded Reload
	buffer_load_dword v71, off, s[20:23], 0 offset:328 ; 4-byte Folded Reload
	buffer_load_dword v72, off, s[20:23], 0 offset:332 ; 4-byte Folded Reload
	s_waitcnt lgkmcnt(0)
	v_mul_f64 v[103:104], v[101:102], v[105:106]
	v_fma_f64 v[103:104], v[99:100], v[97:98], -v[103:104]
	v_mul_f64 v[99:100], v[99:100], v[105:106]
	v_fma_f64 v[99:100], v[101:102], v[97:98], v[99:100]
	s_waitcnt vmcnt(2)
	v_add_f64 v[69:70], v[69:70], -v[103:104]
	s_waitcnt vmcnt(0)
	v_add_f64 v[71:72], v[71:72], -v[99:100]
	buffer_store_dword v69, off, s[20:23], 0 offset:320 ; 4-byte Folded Spill
	s_nop 0
	buffer_store_dword v70, off, s[20:23], 0 offset:324 ; 4-byte Folded Spill
	buffer_store_dword v71, off, s[20:23], 0 offset:328 ; 4-byte Folded Spill
	buffer_store_dword v72, off, s[20:23], 0 offset:332 ; 4-byte Folded Spill
	ds_read2_b64 v[99:102], v125 offset0:16 offset1:17
	buffer_load_dword v69, off, s[20:23], 0 offset:304 ; 4-byte Folded Reload
	buffer_load_dword v70, off, s[20:23], 0 offset:308 ; 4-byte Folded Reload
	buffer_load_dword v71, off, s[20:23], 0 offset:312 ; 4-byte Folded Reload
	buffer_load_dword v72, off, s[20:23], 0 offset:316 ; 4-byte Folded Reload
	s_waitcnt lgkmcnt(0)
	v_mul_f64 v[103:104], v[101:102], v[105:106]
	v_fma_f64 v[103:104], v[99:100], v[97:98], -v[103:104]
	v_mul_f64 v[99:100], v[99:100], v[105:106]
	v_fma_f64 v[99:100], v[101:102], v[97:98], v[99:100]
	s_waitcnt vmcnt(2)
	v_add_f64 v[69:70], v[69:70], -v[103:104]
	s_waitcnt vmcnt(0)
	v_add_f64 v[71:72], v[71:72], -v[99:100]
	buffer_store_dword v69, off, s[20:23], 0 offset:304 ; 4-byte Folded Spill
	s_nop 0
	buffer_store_dword v70, off, s[20:23], 0 offset:308 ; 4-byte Folded Spill
	buffer_store_dword v71, off, s[20:23], 0 offset:312 ; 4-byte Folded Spill
	buffer_store_dword v72, off, s[20:23], 0 offset:316 ; 4-byte Folded Spill
	ds_read2_b64 v[99:102], v125 offset0:18 offset1:19
	;; [unrolled: 19-line block ×18, first 2 shown]
	v_mov_b32_e32 v69, v73
	v_mov_b32_e32 v70, v74
	;; [unrolled: 1-line block ×4, first 2 shown]
	s_waitcnt lgkmcnt(0)
	v_mul_f64 v[103:104], v[101:102], v[105:106]
	v_fma_f64 v[103:104], v[99:100], v[97:98], -v[103:104]
	v_mul_f64 v[99:100], v[99:100], v[105:106]
	v_add_f64 v[121:122], v[121:122], -v[103:104]
	v_fma_f64 v[99:100], v[101:102], v[97:98], v[99:100]
	v_add_f64 v[123:124], v[123:124], -v[99:100]
	ds_read2_b64 v[99:102], v125 offset0:52 offset1:53
	s_waitcnt lgkmcnt(0)
	v_mul_f64 v[103:104], v[101:102], v[105:106]
	v_fma_f64 v[103:104], v[99:100], v[97:98], -v[103:104]
	v_mul_f64 v[99:100], v[99:100], v[105:106]
	v_add_f64 v[117:118], v[117:118], -v[103:104]
	v_fma_f64 v[99:100], v[101:102], v[97:98], v[99:100]
	v_add_f64 v[119:120], v[119:120], -v[99:100]
	ds_read2_b64 v[99:102], v125 offset0:54 offset1:55
	;; [unrolled: 8-line block ×5, first 2 shown]
	buffer_load_dword v77, off, s[20:23], 0 offset:32 ; 4-byte Folded Reload
	buffer_load_dword v78, off, s[20:23], 0 offset:36 ; 4-byte Folded Reload
	;; [unrolled: 1-line block ×4, first 2 shown]
	s_waitcnt lgkmcnt(0)
	v_mul_f64 v[103:104], v[101:102], v[105:106]
	v_fma_f64 v[103:104], v[99:100], v[97:98], -v[103:104]
	v_mul_f64 v[99:100], v[99:100], v[105:106]
	v_fma_f64 v[99:100], v[101:102], v[97:98], v[99:100]
	s_waitcnt vmcnt(2)
	v_add_f64 v[77:78], v[77:78], -v[103:104]
	s_waitcnt vmcnt(0)
	v_add_f64 v[79:80], v[79:80], -v[99:100]
	buffer_store_dword v77, off, s[20:23], 0 offset:32 ; 4-byte Folded Spill
	s_nop 0
	buffer_store_dword v78, off, s[20:23], 0 offset:36 ; 4-byte Folded Spill
	buffer_store_dword v79, off, s[20:23], 0 offset:40 ; 4-byte Folded Spill
	;; [unrolled: 1-line block ×3, first 2 shown]
	ds_read2_b64 v[99:102], v125 offset0:62 offset1:63
	buffer_load_dword v73, off, s[20:23], 0 offset:16 ; 4-byte Folded Reload
	buffer_load_dword v74, off, s[20:23], 0 offset:20 ; 4-byte Folded Reload
	;; [unrolled: 1-line block ×4, first 2 shown]
	s_waitcnt lgkmcnt(0)
	v_mul_f64 v[103:104], v[101:102], v[105:106]
	v_fma_f64 v[103:104], v[99:100], v[97:98], -v[103:104]
	v_mul_f64 v[99:100], v[99:100], v[105:106]
	v_fma_f64 v[99:100], v[101:102], v[97:98], v[99:100]
	s_waitcnt vmcnt(2)
	v_add_f64 v[73:74], v[73:74], -v[103:104]
	s_waitcnt vmcnt(0)
	v_add_f64 v[75:76], v[75:76], -v[99:100]
	buffer_store_dword v73, off, s[20:23], 0 offset:16 ; 4-byte Folded Spill
	s_nop 0
	buffer_store_dword v74, off, s[20:23], 0 offset:20 ; 4-byte Folded Spill
	buffer_store_dword v75, off, s[20:23], 0 offset:24 ; 4-byte Folded Spill
	;; [unrolled: 1-line block ×3, first 2 shown]
	v_mov_b32_e32 v76, v72
	v_mov_b32_e32 v75, v71
	;; [unrolled: 1-line block ×4, first 2 shown]
	ds_read2_b64 v[99:102], v125 offset0:64 offset1:65
	buffer_load_dword v69, off, s[20:23], 0 ; 4-byte Folded Reload
	buffer_load_dword v70, off, s[20:23], 0 offset:4 ; 4-byte Folded Reload
	buffer_load_dword v71, off, s[20:23], 0 offset:8 ; 4-byte Folded Reload
	;; [unrolled: 1-line block ×3, first 2 shown]
	s_waitcnt lgkmcnt(0)
	v_mul_f64 v[103:104], v[101:102], v[105:106]
	v_fma_f64 v[103:104], v[99:100], v[97:98], -v[103:104]
	v_mul_f64 v[99:100], v[99:100], v[105:106]
	v_fma_f64 v[99:100], v[101:102], v[97:98], v[99:100]
	s_waitcnt vmcnt(2)
	v_add_f64 v[69:70], v[69:70], -v[103:104]
	s_waitcnt vmcnt(0)
	v_add_f64 v[71:72], v[71:72], -v[99:100]
	buffer_store_dword v69, off, s[20:23], 0 ; 4-byte Folded Spill
	s_nop 0
	buffer_store_dword v70, off, s[20:23], 0 offset:4 ; 4-byte Folded Spill
	buffer_store_dword v71, off, s[20:23], 0 offset:8 ; 4-byte Folded Spill
	;; [unrolled: 1-line block ×3, first 2 shown]
	ds_read2_b64 v[99:102], v125 offset0:66 offset1:67
	s_waitcnt lgkmcnt(0)
	v_mul_f64 v[103:104], v[101:102], v[105:106]
	v_fma_f64 v[103:104], v[99:100], v[97:98], -v[103:104]
	v_mul_f64 v[99:100], v[99:100], v[105:106]
	v_add_f64 v[65:66], v[65:66], -v[103:104]
	v_fma_f64 v[99:100], v[101:102], v[97:98], v[99:100]
	v_add_f64 v[67:68], v[67:68], -v[99:100]
	ds_read2_b64 v[99:102], v125 offset0:68 offset1:69
	s_waitcnt lgkmcnt(0)
	v_mul_f64 v[103:104], v[101:102], v[105:106]
	v_fma_f64 v[103:104], v[99:100], v[97:98], -v[103:104]
	v_mul_f64 v[99:100], v[99:100], v[105:106]
	v_add_f64 v[61:62], v[61:62], -v[103:104]
	v_fma_f64 v[99:100], v[101:102], v[97:98], v[99:100]
	v_add_f64 v[63:64], v[63:64], -v[99:100]
	;; [unrolled: 8-line block ×16, first 2 shown]
	ds_read2_b64 v[99:102], v125 offset0:98 offset1:99
	s_waitcnt lgkmcnt(0)
	v_mul_f64 v[103:104], v[101:102], v[105:106]
	v_fma_f64 v[103:104], v[99:100], v[97:98], -v[103:104]
	v_mul_f64 v[99:100], v[99:100], v[105:106]
	v_add_f64 v[1:2], v[1:2], -v[103:104]
	v_fma_f64 v[99:100], v[101:102], v[97:98], v[99:100]
	ds_read2_b64 v[101:104], v125 offset0:100 offset1:101
	v_add_f64 v[3:4], v[3:4], -v[99:100]
	s_waitcnt lgkmcnt(0)
	v_mul_f64 v[99:100], v[103:104], v[105:106]
	v_fma_f64 v[99:100], v[101:102], v[97:98], -v[99:100]
	v_mul_f64 v[101:102], v[101:102], v[105:106]
	v_add_f64 v[73:74], v[73:74], -v[99:100]
	v_fma_f64 v[101:102], v[103:104], v[97:98], v[101:102]
	v_mov_b32_e32 v104, v98
	v_mov_b32_e32 v103, v97
	buffer_store_dword v103, off, s[20:23], 0 offset:336 ; 4-byte Folded Spill
	s_nop 0
	buffer_store_dword v104, off, s[20:23], 0 offset:340 ; 4-byte Folded Spill
	buffer_store_dword v105, off, s[20:23], 0 offset:344 ; 4-byte Folded Spill
	;; [unrolled: 1-line block ×3, first 2 shown]
	v_add_f64 v[75:76], v[75:76], -v[101:102]
.LBB101_64:
	s_or_b64 exec, exec, s[2:3]
	v_cmp_eq_u32_e32 vcc, 7, v0
	s_waitcnt vmcnt(0)
	s_barrier
	s_and_saveexec_b64 s[4:5], vcc
	s_cbranch_execz .LBB101_71
; %bb.65:
	buffer_load_dword v69, off, s[20:23], 0 offset:320 ; 4-byte Folded Reload
	buffer_load_dword v70, off, s[20:23], 0 offset:324 ; 4-byte Folded Reload
	;; [unrolled: 1-line block ×4, first 2 shown]
	s_waitcnt vmcnt(0)
	ds_write2_b64 v127, v[69:70], v[71:72] offset1:1
	buffer_load_dword v69, off, s[20:23], 0 offset:304 ; 4-byte Folded Reload
	buffer_load_dword v70, off, s[20:23], 0 offset:308 ; 4-byte Folded Reload
	buffer_load_dword v71, off, s[20:23], 0 offset:312 ; 4-byte Folded Reload
	buffer_load_dword v72, off, s[20:23], 0 offset:316 ; 4-byte Folded Reload
	s_waitcnt vmcnt(0)
	ds_write2_b64 v125, v[69:70], v[71:72] offset0:16 offset1:17
	buffer_load_dword v69, off, s[20:23], 0 offset:288 ; 4-byte Folded Reload
	buffer_load_dword v70, off, s[20:23], 0 offset:292 ; 4-byte Folded Reload
	buffer_load_dword v71, off, s[20:23], 0 offset:296 ; 4-byte Folded Reload
	buffer_load_dword v72, off, s[20:23], 0 offset:300 ; 4-byte Folded Reload
	s_waitcnt vmcnt(0)
	ds_write2_b64 v125, v[69:70], v[71:72] offset0:18 offset1:19
	;; [unrolled: 6-line block ×17, first 2 shown]
	ds_write2_b64 v125, v[121:122], v[123:124] offset0:50 offset1:51
	ds_write2_b64 v125, v[117:118], v[119:120] offset0:52 offset1:53
	;; [unrolled: 1-line block ×5, first 2 shown]
	buffer_load_dword v77, off, s[20:23], 0 offset:32 ; 4-byte Folded Reload
	buffer_load_dword v78, off, s[20:23], 0 offset:36 ; 4-byte Folded Reload
	;; [unrolled: 1-line block ×4, first 2 shown]
	v_mov_b32_e32 v69, v73
	v_mov_b32_e32 v70, v74
	;; [unrolled: 1-line block ×4, first 2 shown]
	s_waitcnt vmcnt(0)
	ds_write2_b64 v125, v[77:78], v[79:80] offset0:60 offset1:61
	buffer_load_dword v73, off, s[20:23], 0 offset:16 ; 4-byte Folded Reload
	buffer_load_dword v74, off, s[20:23], 0 offset:20 ; 4-byte Folded Reload
	;; [unrolled: 1-line block ×4, first 2 shown]
	s_waitcnt vmcnt(0)
	ds_write2_b64 v125, v[73:74], v[75:76] offset0:62 offset1:63
	v_mov_b32_e32 v76, v72
	v_mov_b32_e32 v75, v71
	;; [unrolled: 1-line block ×4, first 2 shown]
	buffer_load_dword v69, off, s[20:23], 0 ; 4-byte Folded Reload
	buffer_load_dword v70, off, s[20:23], 0 offset:4 ; 4-byte Folded Reload
	buffer_load_dword v71, off, s[20:23], 0 offset:8 ; 4-byte Folded Reload
	;; [unrolled: 1-line block ×3, first 2 shown]
	s_waitcnt vmcnt(0)
	ds_write2_b64 v125, v[69:70], v[71:72] offset0:64 offset1:65
	ds_write2_b64 v125, v[65:66], v[67:68] offset0:66 offset1:67
	;; [unrolled: 1-line block ×19, first 2 shown]
	ds_read2_b64 v[97:100], v127 offset1:1
	s_waitcnt lgkmcnt(0)
	v_cmp_neq_f64_e32 vcc, 0, v[97:98]
	v_cmp_neq_f64_e64 s[2:3], 0, v[99:100]
	s_or_b64 s[2:3], vcc, s[2:3]
	s_and_b64 exec, exec, s[2:3]
	s_cbranch_execz .LBB101_71
; %bb.66:
	v_cmp_ngt_f64_e64 s[2:3], |v[97:98]|, |v[99:100]|
                                        ; implicit-def: $vgpr101_vgpr102
	s_and_saveexec_b64 s[6:7], s[2:3]
	s_xor_b64 s[2:3], exec, s[6:7]
                                        ; implicit-def: $vgpr103_vgpr104
	s_cbranch_execz .LBB101_68
; %bb.67:
	v_div_scale_f64 v[101:102], s[6:7], v[99:100], v[99:100], v[97:98]
	v_rcp_f64_e32 v[103:104], v[101:102]
	v_fma_f64 v[105:106], -v[101:102], v[103:104], 1.0
	v_fma_f64 v[103:104], v[103:104], v[105:106], v[103:104]
	v_div_scale_f64 v[105:106], vcc, v[97:98], v[99:100], v[97:98]
	v_fma_f64 v[107:108], -v[101:102], v[103:104], 1.0
	v_fma_f64 v[103:104], v[103:104], v[107:108], v[103:104]
	v_mul_f64 v[107:108], v[105:106], v[103:104]
	v_fma_f64 v[101:102], -v[101:102], v[107:108], v[105:106]
	v_div_fmas_f64 v[101:102], v[101:102], v[103:104], v[107:108]
	v_div_fixup_f64 v[101:102], v[101:102], v[99:100], v[97:98]
	v_fma_f64 v[97:98], v[97:98], v[101:102], v[99:100]
	v_div_scale_f64 v[99:100], s[6:7], v[97:98], v[97:98], 1.0
	v_div_scale_f64 v[107:108], vcc, 1.0, v[97:98], 1.0
	v_rcp_f64_e32 v[103:104], v[99:100]
	v_fma_f64 v[105:106], -v[99:100], v[103:104], 1.0
	v_fma_f64 v[103:104], v[103:104], v[105:106], v[103:104]
	v_fma_f64 v[105:106], -v[99:100], v[103:104], 1.0
	v_fma_f64 v[103:104], v[103:104], v[105:106], v[103:104]
	v_mul_f64 v[105:106], v[107:108], v[103:104]
	v_fma_f64 v[99:100], -v[99:100], v[105:106], v[107:108]
	v_div_fmas_f64 v[99:100], v[99:100], v[103:104], v[105:106]
	v_div_fixup_f64 v[103:104], v[99:100], v[97:98], 1.0
                                        ; implicit-def: $vgpr97_vgpr98
	v_mul_f64 v[101:102], v[101:102], v[103:104]
	v_xor_b32_e32 v104, 0x80000000, v104
.LBB101_68:
	s_andn2_saveexec_b64 s[2:3], s[2:3]
	s_cbranch_execz .LBB101_70
; %bb.69:
	v_div_scale_f64 v[101:102], s[6:7], v[97:98], v[97:98], v[99:100]
	v_rcp_f64_e32 v[103:104], v[101:102]
	v_fma_f64 v[105:106], -v[101:102], v[103:104], 1.0
	v_fma_f64 v[103:104], v[103:104], v[105:106], v[103:104]
	v_div_scale_f64 v[105:106], vcc, v[99:100], v[97:98], v[99:100]
	v_fma_f64 v[107:108], -v[101:102], v[103:104], 1.0
	v_fma_f64 v[103:104], v[103:104], v[107:108], v[103:104]
	v_mul_f64 v[107:108], v[105:106], v[103:104]
	v_fma_f64 v[101:102], -v[101:102], v[107:108], v[105:106]
	v_div_fmas_f64 v[101:102], v[101:102], v[103:104], v[107:108]
	v_div_fixup_f64 v[103:104], v[101:102], v[97:98], v[99:100]
	v_fma_f64 v[97:98], v[99:100], v[103:104], v[97:98]
	v_div_scale_f64 v[99:100], s[6:7], v[97:98], v[97:98], 1.0
	v_div_scale_f64 v[107:108], vcc, 1.0, v[97:98], 1.0
	v_rcp_f64_e32 v[101:102], v[99:100]
	v_fma_f64 v[105:106], -v[99:100], v[101:102], 1.0
	v_fma_f64 v[101:102], v[101:102], v[105:106], v[101:102]
	v_fma_f64 v[105:106], -v[99:100], v[101:102], 1.0
	v_fma_f64 v[101:102], v[101:102], v[105:106], v[101:102]
	v_mul_f64 v[105:106], v[107:108], v[101:102]
	v_fma_f64 v[99:100], -v[99:100], v[105:106], v[107:108]
	v_div_fmas_f64 v[99:100], v[99:100], v[101:102], v[105:106]
	v_div_fixup_f64 v[101:102], v[99:100], v[97:98], 1.0
	v_mul_f64 v[103:104], v[103:104], -v[101:102]
.LBB101_70:
	s_or_b64 exec, exec, s[2:3]
	ds_write2_b64 v127, v[101:102], v[103:104] offset1:1
.LBB101_71:
	s_or_b64 exec, exec, s[4:5]
	s_waitcnt lgkmcnt(0)
	s_barrier
	ds_read2_b64 v[69:72], v127 offset1:1
	v_cmp_lt_u32_e32 vcc, 7, v0
	s_waitcnt lgkmcnt(0)
	buffer_store_dword v69, off, s[20:23], 0 offset:960 ; 4-byte Folded Spill
	s_nop 0
	buffer_store_dword v70, off, s[20:23], 0 offset:964 ; 4-byte Folded Spill
	buffer_store_dword v71, off, s[20:23], 0 offset:968 ; 4-byte Folded Spill
	buffer_store_dword v72, off, s[20:23], 0 offset:972 ; 4-byte Folded Spill
	s_and_saveexec_b64 s[2:3], vcc
	s_cbranch_execz .LBB101_73
; %bb.72:
	buffer_load_dword v103, off, s[20:23], 0 offset:320 ; 4-byte Folded Reload
	buffer_load_dword v104, off, s[20:23], 0 offset:324 ; 4-byte Folded Reload
	;; [unrolled: 1-line block ×8, first 2 shown]
	s_waitcnt vmcnt(2)
	v_mul_f64 v[99:100], v[69:70], v[105:106]
	s_waitcnt vmcnt(0)
	v_mul_f64 v[97:98], v[71:72], v[105:106]
	v_fma_f64 v[105:106], v[71:72], v[103:104], v[99:100]
	ds_read2_b64 v[99:102], v125 offset0:16 offset1:17
	v_fma_f64 v[97:98], v[69:70], v[103:104], -v[97:98]
	buffer_load_dword v69, off, s[20:23], 0 offset:304 ; 4-byte Folded Reload
	buffer_load_dword v70, off, s[20:23], 0 offset:308 ; 4-byte Folded Reload
	buffer_load_dword v71, off, s[20:23], 0 offset:312 ; 4-byte Folded Reload
	buffer_load_dword v72, off, s[20:23], 0 offset:316 ; 4-byte Folded Reload
	s_waitcnt lgkmcnt(0)
	v_mul_f64 v[103:104], v[101:102], v[105:106]
	v_fma_f64 v[103:104], v[99:100], v[97:98], -v[103:104]
	v_mul_f64 v[99:100], v[99:100], v[105:106]
	v_fma_f64 v[99:100], v[101:102], v[97:98], v[99:100]
	s_waitcnt vmcnt(2)
	v_add_f64 v[69:70], v[69:70], -v[103:104]
	s_waitcnt vmcnt(0)
	v_add_f64 v[71:72], v[71:72], -v[99:100]
	buffer_store_dword v69, off, s[20:23], 0 offset:304 ; 4-byte Folded Spill
	s_nop 0
	buffer_store_dword v70, off, s[20:23], 0 offset:308 ; 4-byte Folded Spill
	buffer_store_dword v71, off, s[20:23], 0 offset:312 ; 4-byte Folded Spill
	buffer_store_dword v72, off, s[20:23], 0 offset:316 ; 4-byte Folded Spill
	ds_read2_b64 v[99:102], v125 offset0:18 offset1:19
	buffer_load_dword v69, off, s[20:23], 0 offset:288 ; 4-byte Folded Reload
	buffer_load_dword v70, off, s[20:23], 0 offset:292 ; 4-byte Folded Reload
	buffer_load_dword v71, off, s[20:23], 0 offset:296 ; 4-byte Folded Reload
	buffer_load_dword v72, off, s[20:23], 0 offset:300 ; 4-byte Folded Reload
	s_waitcnt lgkmcnt(0)
	v_mul_f64 v[103:104], v[101:102], v[105:106]
	v_fma_f64 v[103:104], v[99:100], v[97:98], -v[103:104]
	v_mul_f64 v[99:100], v[99:100], v[105:106]
	v_fma_f64 v[99:100], v[101:102], v[97:98], v[99:100]
	s_waitcnt vmcnt(2)
	v_add_f64 v[69:70], v[69:70], -v[103:104]
	s_waitcnt vmcnt(0)
	v_add_f64 v[71:72], v[71:72], -v[99:100]
	buffer_store_dword v69, off, s[20:23], 0 offset:288 ; 4-byte Folded Spill
	s_nop 0
	buffer_store_dword v70, off, s[20:23], 0 offset:292 ; 4-byte Folded Spill
	buffer_store_dword v71, off, s[20:23], 0 offset:296 ; 4-byte Folded Spill
	buffer_store_dword v72, off, s[20:23], 0 offset:300 ; 4-byte Folded Spill
	ds_read2_b64 v[99:102], v125 offset0:20 offset1:21
	;; [unrolled: 19-line block ×17, first 2 shown]
	v_mov_b32_e32 v69, v73
	v_mov_b32_e32 v70, v74
	;; [unrolled: 1-line block ×4, first 2 shown]
	s_waitcnt lgkmcnt(0)
	v_mul_f64 v[103:104], v[101:102], v[105:106]
	v_fma_f64 v[103:104], v[99:100], v[97:98], -v[103:104]
	v_mul_f64 v[99:100], v[99:100], v[105:106]
	v_add_f64 v[121:122], v[121:122], -v[103:104]
	v_fma_f64 v[99:100], v[101:102], v[97:98], v[99:100]
	v_add_f64 v[123:124], v[123:124], -v[99:100]
	ds_read2_b64 v[99:102], v125 offset0:52 offset1:53
	s_waitcnt lgkmcnt(0)
	v_mul_f64 v[103:104], v[101:102], v[105:106]
	v_fma_f64 v[103:104], v[99:100], v[97:98], -v[103:104]
	v_mul_f64 v[99:100], v[99:100], v[105:106]
	v_add_f64 v[117:118], v[117:118], -v[103:104]
	v_fma_f64 v[99:100], v[101:102], v[97:98], v[99:100]
	v_add_f64 v[119:120], v[119:120], -v[99:100]
	ds_read2_b64 v[99:102], v125 offset0:54 offset1:55
	s_waitcnt lgkmcnt(0)
	v_mul_f64 v[103:104], v[101:102], v[105:106]
	v_fma_f64 v[103:104], v[99:100], v[97:98], -v[103:104]
	v_mul_f64 v[99:100], v[99:100], v[105:106]
	v_add_f64 v[109:110], v[109:110], -v[103:104]
	v_fma_f64 v[99:100], v[101:102], v[97:98], v[99:100]
	v_add_f64 v[111:112], v[111:112], -v[99:100]
	ds_read2_b64 v[99:102], v125 offset0:56 offset1:57
	s_waitcnt lgkmcnt(0)
	v_mul_f64 v[103:104], v[101:102], v[105:106]
	v_fma_f64 v[103:104], v[99:100], v[97:98], -v[103:104]
	v_mul_f64 v[99:100], v[99:100], v[105:106]
	v_add_f64 v[113:114], v[113:114], -v[103:104]
	v_fma_f64 v[99:100], v[101:102], v[97:98], v[99:100]
	v_add_f64 v[115:116], v[115:116], -v[99:100]
	ds_read2_b64 v[99:102], v125 offset0:58 offset1:59
	s_waitcnt lgkmcnt(0)
	v_mul_f64 v[103:104], v[101:102], v[105:106]
	v_fma_f64 v[103:104], v[99:100], v[97:98], -v[103:104]
	v_mul_f64 v[99:100], v[99:100], v[105:106]
	v_add_f64 v[93:94], v[93:94], -v[103:104]
	v_fma_f64 v[99:100], v[101:102], v[97:98], v[99:100]
	v_add_f64 v[95:96], v[95:96], -v[99:100]
	ds_read2_b64 v[99:102], v125 offset0:60 offset1:61
	buffer_load_dword v77, off, s[20:23], 0 offset:32 ; 4-byte Folded Reload
	buffer_load_dword v78, off, s[20:23], 0 offset:36 ; 4-byte Folded Reload
	;; [unrolled: 1-line block ×4, first 2 shown]
	s_waitcnt lgkmcnt(0)
	v_mul_f64 v[103:104], v[101:102], v[105:106]
	v_fma_f64 v[103:104], v[99:100], v[97:98], -v[103:104]
	v_mul_f64 v[99:100], v[99:100], v[105:106]
	v_fma_f64 v[99:100], v[101:102], v[97:98], v[99:100]
	s_waitcnt vmcnt(2)
	v_add_f64 v[77:78], v[77:78], -v[103:104]
	s_waitcnt vmcnt(0)
	v_add_f64 v[79:80], v[79:80], -v[99:100]
	buffer_store_dword v77, off, s[20:23], 0 offset:32 ; 4-byte Folded Spill
	s_nop 0
	buffer_store_dword v78, off, s[20:23], 0 offset:36 ; 4-byte Folded Spill
	buffer_store_dword v79, off, s[20:23], 0 offset:40 ; 4-byte Folded Spill
	buffer_store_dword v80, off, s[20:23], 0 offset:44 ; 4-byte Folded Spill
	ds_read2_b64 v[99:102], v125 offset0:62 offset1:63
	buffer_load_dword v73, off, s[20:23], 0 offset:16 ; 4-byte Folded Reload
	buffer_load_dword v74, off, s[20:23], 0 offset:20 ; 4-byte Folded Reload
	;; [unrolled: 1-line block ×4, first 2 shown]
	s_waitcnt lgkmcnt(0)
	v_mul_f64 v[103:104], v[101:102], v[105:106]
	v_fma_f64 v[103:104], v[99:100], v[97:98], -v[103:104]
	v_mul_f64 v[99:100], v[99:100], v[105:106]
	v_fma_f64 v[99:100], v[101:102], v[97:98], v[99:100]
	s_waitcnt vmcnt(2)
	v_add_f64 v[73:74], v[73:74], -v[103:104]
	s_waitcnt vmcnt(0)
	v_add_f64 v[75:76], v[75:76], -v[99:100]
	buffer_store_dword v73, off, s[20:23], 0 offset:16 ; 4-byte Folded Spill
	s_nop 0
	buffer_store_dword v74, off, s[20:23], 0 offset:20 ; 4-byte Folded Spill
	buffer_store_dword v75, off, s[20:23], 0 offset:24 ; 4-byte Folded Spill
	buffer_store_dword v76, off, s[20:23], 0 offset:28 ; 4-byte Folded Spill
	v_mov_b32_e32 v76, v72
	v_mov_b32_e32 v75, v71
	;; [unrolled: 1-line block ×4, first 2 shown]
	ds_read2_b64 v[99:102], v125 offset0:64 offset1:65
	buffer_load_dword v69, off, s[20:23], 0 ; 4-byte Folded Reload
	buffer_load_dword v70, off, s[20:23], 0 offset:4 ; 4-byte Folded Reload
	buffer_load_dword v71, off, s[20:23], 0 offset:8 ; 4-byte Folded Reload
	;; [unrolled: 1-line block ×3, first 2 shown]
	s_waitcnt lgkmcnt(0)
	v_mul_f64 v[103:104], v[101:102], v[105:106]
	v_fma_f64 v[103:104], v[99:100], v[97:98], -v[103:104]
	v_mul_f64 v[99:100], v[99:100], v[105:106]
	v_fma_f64 v[99:100], v[101:102], v[97:98], v[99:100]
	s_waitcnt vmcnt(2)
	v_add_f64 v[69:70], v[69:70], -v[103:104]
	s_waitcnt vmcnt(0)
	v_add_f64 v[71:72], v[71:72], -v[99:100]
	buffer_store_dword v69, off, s[20:23], 0 ; 4-byte Folded Spill
	s_nop 0
	buffer_store_dword v70, off, s[20:23], 0 offset:4 ; 4-byte Folded Spill
	buffer_store_dword v71, off, s[20:23], 0 offset:8 ; 4-byte Folded Spill
	;; [unrolled: 1-line block ×3, first 2 shown]
	ds_read2_b64 v[99:102], v125 offset0:66 offset1:67
	s_waitcnt lgkmcnt(0)
	v_mul_f64 v[103:104], v[101:102], v[105:106]
	v_fma_f64 v[103:104], v[99:100], v[97:98], -v[103:104]
	v_mul_f64 v[99:100], v[99:100], v[105:106]
	v_add_f64 v[65:66], v[65:66], -v[103:104]
	v_fma_f64 v[99:100], v[101:102], v[97:98], v[99:100]
	v_add_f64 v[67:68], v[67:68], -v[99:100]
	ds_read2_b64 v[99:102], v125 offset0:68 offset1:69
	s_waitcnt lgkmcnt(0)
	v_mul_f64 v[103:104], v[101:102], v[105:106]
	v_fma_f64 v[103:104], v[99:100], v[97:98], -v[103:104]
	v_mul_f64 v[99:100], v[99:100], v[105:106]
	v_add_f64 v[61:62], v[61:62], -v[103:104]
	v_fma_f64 v[99:100], v[101:102], v[97:98], v[99:100]
	v_add_f64 v[63:64], v[63:64], -v[99:100]
	;; [unrolled: 8-line block ×16, first 2 shown]
	ds_read2_b64 v[99:102], v125 offset0:98 offset1:99
	s_waitcnt lgkmcnt(0)
	v_mul_f64 v[103:104], v[101:102], v[105:106]
	v_fma_f64 v[103:104], v[99:100], v[97:98], -v[103:104]
	v_mul_f64 v[99:100], v[99:100], v[105:106]
	v_add_f64 v[1:2], v[1:2], -v[103:104]
	v_fma_f64 v[99:100], v[101:102], v[97:98], v[99:100]
	ds_read2_b64 v[101:104], v125 offset0:100 offset1:101
	v_add_f64 v[3:4], v[3:4], -v[99:100]
	s_waitcnt lgkmcnt(0)
	v_mul_f64 v[99:100], v[103:104], v[105:106]
	v_fma_f64 v[99:100], v[101:102], v[97:98], -v[99:100]
	v_mul_f64 v[101:102], v[101:102], v[105:106]
	v_add_f64 v[73:74], v[73:74], -v[99:100]
	v_fma_f64 v[101:102], v[103:104], v[97:98], v[101:102]
	v_mov_b32_e32 v104, v98
	v_mov_b32_e32 v103, v97
	buffer_store_dword v103, off, s[20:23], 0 offset:320 ; 4-byte Folded Spill
	s_nop 0
	buffer_store_dword v104, off, s[20:23], 0 offset:324 ; 4-byte Folded Spill
	buffer_store_dword v105, off, s[20:23], 0 offset:328 ; 4-byte Folded Spill
	buffer_store_dword v106, off, s[20:23], 0 offset:332 ; 4-byte Folded Spill
	v_add_f64 v[75:76], v[75:76], -v[101:102]
.LBB101_73:
	s_or_b64 exec, exec, s[2:3]
	v_cmp_eq_u32_e32 vcc, 8, v0
	s_waitcnt vmcnt(0)
	s_barrier
	s_and_saveexec_b64 s[4:5], vcc
	s_cbranch_execz .LBB101_80
; %bb.74:
	buffer_load_dword v69, off, s[20:23], 0 offset:304 ; 4-byte Folded Reload
	buffer_load_dword v70, off, s[20:23], 0 offset:308 ; 4-byte Folded Reload
	;; [unrolled: 1-line block ×4, first 2 shown]
	s_waitcnt vmcnt(0)
	ds_write2_b64 v127, v[69:70], v[71:72] offset1:1
	buffer_load_dword v69, off, s[20:23], 0 offset:288 ; 4-byte Folded Reload
	buffer_load_dword v70, off, s[20:23], 0 offset:292 ; 4-byte Folded Reload
	buffer_load_dword v71, off, s[20:23], 0 offset:296 ; 4-byte Folded Reload
	buffer_load_dword v72, off, s[20:23], 0 offset:300 ; 4-byte Folded Reload
	s_waitcnt vmcnt(0)
	ds_write2_b64 v125, v[69:70], v[71:72] offset0:18 offset1:19
	buffer_load_dword v69, off, s[20:23], 0 offset:272 ; 4-byte Folded Reload
	buffer_load_dword v70, off, s[20:23], 0 offset:276 ; 4-byte Folded Reload
	buffer_load_dword v71, off, s[20:23], 0 offset:280 ; 4-byte Folded Reload
	buffer_load_dword v72, off, s[20:23], 0 offset:284 ; 4-byte Folded Reload
	s_waitcnt vmcnt(0)
	ds_write2_b64 v125, v[69:70], v[71:72] offset0:20 offset1:21
	;; [unrolled: 6-line block ×16, first 2 shown]
	ds_write2_b64 v125, v[121:122], v[123:124] offset0:50 offset1:51
	ds_write2_b64 v125, v[117:118], v[119:120] offset0:52 offset1:53
	;; [unrolled: 1-line block ×5, first 2 shown]
	buffer_load_dword v77, off, s[20:23], 0 offset:32 ; 4-byte Folded Reload
	buffer_load_dword v78, off, s[20:23], 0 offset:36 ; 4-byte Folded Reload
	;; [unrolled: 1-line block ×4, first 2 shown]
	v_mov_b32_e32 v69, v73
	v_mov_b32_e32 v70, v74
	;; [unrolled: 1-line block ×4, first 2 shown]
	s_waitcnt vmcnt(0)
	ds_write2_b64 v125, v[77:78], v[79:80] offset0:60 offset1:61
	buffer_load_dword v73, off, s[20:23], 0 offset:16 ; 4-byte Folded Reload
	buffer_load_dword v74, off, s[20:23], 0 offset:20 ; 4-byte Folded Reload
	;; [unrolled: 1-line block ×4, first 2 shown]
	s_waitcnt vmcnt(0)
	ds_write2_b64 v125, v[73:74], v[75:76] offset0:62 offset1:63
	v_mov_b32_e32 v76, v72
	v_mov_b32_e32 v75, v71
	;; [unrolled: 1-line block ×4, first 2 shown]
	buffer_load_dword v69, off, s[20:23], 0 ; 4-byte Folded Reload
	buffer_load_dword v70, off, s[20:23], 0 offset:4 ; 4-byte Folded Reload
	buffer_load_dword v71, off, s[20:23], 0 offset:8 ; 4-byte Folded Reload
	;; [unrolled: 1-line block ×3, first 2 shown]
	s_waitcnt vmcnt(0)
	ds_write2_b64 v125, v[69:70], v[71:72] offset0:64 offset1:65
	ds_write2_b64 v125, v[65:66], v[67:68] offset0:66 offset1:67
	;; [unrolled: 1-line block ×19, first 2 shown]
	ds_read2_b64 v[97:100], v127 offset1:1
	s_waitcnt lgkmcnt(0)
	v_cmp_neq_f64_e32 vcc, 0, v[97:98]
	v_cmp_neq_f64_e64 s[2:3], 0, v[99:100]
	s_or_b64 s[2:3], vcc, s[2:3]
	s_and_b64 exec, exec, s[2:3]
	s_cbranch_execz .LBB101_80
; %bb.75:
	v_cmp_ngt_f64_e64 s[2:3], |v[97:98]|, |v[99:100]|
                                        ; implicit-def: $vgpr101_vgpr102
	s_and_saveexec_b64 s[6:7], s[2:3]
	s_xor_b64 s[2:3], exec, s[6:7]
                                        ; implicit-def: $vgpr103_vgpr104
	s_cbranch_execz .LBB101_77
; %bb.76:
	v_div_scale_f64 v[101:102], s[6:7], v[99:100], v[99:100], v[97:98]
	v_rcp_f64_e32 v[103:104], v[101:102]
	v_fma_f64 v[105:106], -v[101:102], v[103:104], 1.0
	v_fma_f64 v[103:104], v[103:104], v[105:106], v[103:104]
	v_div_scale_f64 v[105:106], vcc, v[97:98], v[99:100], v[97:98]
	v_fma_f64 v[107:108], -v[101:102], v[103:104], 1.0
	v_fma_f64 v[103:104], v[103:104], v[107:108], v[103:104]
	v_mul_f64 v[107:108], v[105:106], v[103:104]
	v_fma_f64 v[101:102], -v[101:102], v[107:108], v[105:106]
	v_div_fmas_f64 v[101:102], v[101:102], v[103:104], v[107:108]
	v_div_fixup_f64 v[101:102], v[101:102], v[99:100], v[97:98]
	v_fma_f64 v[97:98], v[97:98], v[101:102], v[99:100]
	v_div_scale_f64 v[99:100], s[6:7], v[97:98], v[97:98], 1.0
	v_div_scale_f64 v[107:108], vcc, 1.0, v[97:98], 1.0
	v_rcp_f64_e32 v[103:104], v[99:100]
	v_fma_f64 v[105:106], -v[99:100], v[103:104], 1.0
	v_fma_f64 v[103:104], v[103:104], v[105:106], v[103:104]
	v_fma_f64 v[105:106], -v[99:100], v[103:104], 1.0
	v_fma_f64 v[103:104], v[103:104], v[105:106], v[103:104]
	v_mul_f64 v[105:106], v[107:108], v[103:104]
	v_fma_f64 v[99:100], -v[99:100], v[105:106], v[107:108]
	v_div_fmas_f64 v[99:100], v[99:100], v[103:104], v[105:106]
	v_div_fixup_f64 v[103:104], v[99:100], v[97:98], 1.0
                                        ; implicit-def: $vgpr97_vgpr98
	v_mul_f64 v[101:102], v[101:102], v[103:104]
	v_xor_b32_e32 v104, 0x80000000, v104
.LBB101_77:
	s_andn2_saveexec_b64 s[2:3], s[2:3]
	s_cbranch_execz .LBB101_79
; %bb.78:
	v_div_scale_f64 v[101:102], s[6:7], v[97:98], v[97:98], v[99:100]
	v_rcp_f64_e32 v[103:104], v[101:102]
	v_fma_f64 v[105:106], -v[101:102], v[103:104], 1.0
	v_fma_f64 v[103:104], v[103:104], v[105:106], v[103:104]
	v_div_scale_f64 v[105:106], vcc, v[99:100], v[97:98], v[99:100]
	v_fma_f64 v[107:108], -v[101:102], v[103:104], 1.0
	v_fma_f64 v[103:104], v[103:104], v[107:108], v[103:104]
	v_mul_f64 v[107:108], v[105:106], v[103:104]
	v_fma_f64 v[101:102], -v[101:102], v[107:108], v[105:106]
	v_div_fmas_f64 v[101:102], v[101:102], v[103:104], v[107:108]
	v_div_fixup_f64 v[103:104], v[101:102], v[97:98], v[99:100]
	v_fma_f64 v[97:98], v[99:100], v[103:104], v[97:98]
	v_div_scale_f64 v[99:100], s[6:7], v[97:98], v[97:98], 1.0
	v_div_scale_f64 v[107:108], vcc, 1.0, v[97:98], 1.0
	v_rcp_f64_e32 v[101:102], v[99:100]
	v_fma_f64 v[105:106], -v[99:100], v[101:102], 1.0
	v_fma_f64 v[101:102], v[101:102], v[105:106], v[101:102]
	v_fma_f64 v[105:106], -v[99:100], v[101:102], 1.0
	v_fma_f64 v[101:102], v[101:102], v[105:106], v[101:102]
	v_mul_f64 v[105:106], v[107:108], v[101:102]
	v_fma_f64 v[99:100], -v[99:100], v[105:106], v[107:108]
	v_div_fmas_f64 v[99:100], v[99:100], v[101:102], v[105:106]
	v_div_fixup_f64 v[101:102], v[99:100], v[97:98], 1.0
	v_mul_f64 v[103:104], v[103:104], -v[101:102]
.LBB101_79:
	s_or_b64 exec, exec, s[2:3]
	ds_write2_b64 v127, v[101:102], v[103:104] offset1:1
.LBB101_80:
	s_or_b64 exec, exec, s[4:5]
	s_waitcnt lgkmcnt(0)
	s_barrier
	ds_read2_b64 v[69:72], v127 offset1:1
	v_cmp_lt_u32_e32 vcc, 8, v0
	s_waitcnt lgkmcnt(0)
	buffer_store_dword v69, off, s[20:23], 0 offset:976 ; 4-byte Folded Spill
	s_nop 0
	buffer_store_dword v70, off, s[20:23], 0 offset:980 ; 4-byte Folded Spill
	buffer_store_dword v71, off, s[20:23], 0 offset:984 ; 4-byte Folded Spill
	;; [unrolled: 1-line block ×3, first 2 shown]
	s_and_saveexec_b64 s[2:3], vcc
	s_cbranch_execz .LBB101_82
; %bb.81:
	buffer_load_dword v103, off, s[20:23], 0 offset:304 ; 4-byte Folded Reload
	buffer_load_dword v104, off, s[20:23], 0 offset:308 ; 4-byte Folded Reload
	;; [unrolled: 1-line block ×8, first 2 shown]
	s_waitcnt vmcnt(2)
	v_mul_f64 v[99:100], v[69:70], v[105:106]
	s_waitcnt vmcnt(0)
	v_mul_f64 v[97:98], v[71:72], v[105:106]
	v_fma_f64 v[105:106], v[71:72], v[103:104], v[99:100]
	ds_read2_b64 v[99:102], v125 offset0:18 offset1:19
	v_fma_f64 v[97:98], v[69:70], v[103:104], -v[97:98]
	buffer_load_dword v69, off, s[20:23], 0 offset:288 ; 4-byte Folded Reload
	buffer_load_dword v70, off, s[20:23], 0 offset:292 ; 4-byte Folded Reload
	buffer_load_dword v71, off, s[20:23], 0 offset:296 ; 4-byte Folded Reload
	buffer_load_dword v72, off, s[20:23], 0 offset:300 ; 4-byte Folded Reload
	s_waitcnt lgkmcnt(0)
	v_mul_f64 v[103:104], v[101:102], v[105:106]
	v_fma_f64 v[103:104], v[99:100], v[97:98], -v[103:104]
	v_mul_f64 v[99:100], v[99:100], v[105:106]
	v_fma_f64 v[99:100], v[101:102], v[97:98], v[99:100]
	s_waitcnt vmcnt(2)
	v_add_f64 v[69:70], v[69:70], -v[103:104]
	s_waitcnt vmcnt(0)
	v_add_f64 v[71:72], v[71:72], -v[99:100]
	buffer_store_dword v69, off, s[20:23], 0 offset:288 ; 4-byte Folded Spill
	s_nop 0
	buffer_store_dword v70, off, s[20:23], 0 offset:292 ; 4-byte Folded Spill
	buffer_store_dword v71, off, s[20:23], 0 offset:296 ; 4-byte Folded Spill
	buffer_store_dword v72, off, s[20:23], 0 offset:300 ; 4-byte Folded Spill
	ds_read2_b64 v[99:102], v125 offset0:20 offset1:21
	buffer_load_dword v69, off, s[20:23], 0 offset:272 ; 4-byte Folded Reload
	buffer_load_dword v70, off, s[20:23], 0 offset:276 ; 4-byte Folded Reload
	buffer_load_dword v71, off, s[20:23], 0 offset:280 ; 4-byte Folded Reload
	buffer_load_dword v72, off, s[20:23], 0 offset:284 ; 4-byte Folded Reload
	s_waitcnt lgkmcnt(0)
	v_mul_f64 v[103:104], v[101:102], v[105:106]
	v_fma_f64 v[103:104], v[99:100], v[97:98], -v[103:104]
	v_mul_f64 v[99:100], v[99:100], v[105:106]
	v_fma_f64 v[99:100], v[101:102], v[97:98], v[99:100]
	s_waitcnt vmcnt(2)
	v_add_f64 v[69:70], v[69:70], -v[103:104]
	s_waitcnt vmcnt(0)
	v_add_f64 v[71:72], v[71:72], -v[99:100]
	buffer_store_dword v69, off, s[20:23], 0 offset:272 ; 4-byte Folded Spill
	s_nop 0
	buffer_store_dword v70, off, s[20:23], 0 offset:276 ; 4-byte Folded Spill
	buffer_store_dword v71, off, s[20:23], 0 offset:280 ; 4-byte Folded Spill
	buffer_store_dword v72, off, s[20:23], 0 offset:284 ; 4-byte Folded Spill
	ds_read2_b64 v[99:102], v125 offset0:22 offset1:23
	;; [unrolled: 19-line block ×16, first 2 shown]
	v_mov_b32_e32 v69, v73
	v_mov_b32_e32 v70, v74
	;; [unrolled: 1-line block ×4, first 2 shown]
	s_waitcnt lgkmcnt(0)
	v_mul_f64 v[103:104], v[101:102], v[105:106]
	v_fma_f64 v[103:104], v[99:100], v[97:98], -v[103:104]
	v_mul_f64 v[99:100], v[99:100], v[105:106]
	v_add_f64 v[121:122], v[121:122], -v[103:104]
	v_fma_f64 v[99:100], v[101:102], v[97:98], v[99:100]
	v_add_f64 v[123:124], v[123:124], -v[99:100]
	ds_read2_b64 v[99:102], v125 offset0:52 offset1:53
	s_waitcnt lgkmcnt(0)
	v_mul_f64 v[103:104], v[101:102], v[105:106]
	v_fma_f64 v[103:104], v[99:100], v[97:98], -v[103:104]
	v_mul_f64 v[99:100], v[99:100], v[105:106]
	v_add_f64 v[117:118], v[117:118], -v[103:104]
	v_fma_f64 v[99:100], v[101:102], v[97:98], v[99:100]
	v_add_f64 v[119:120], v[119:120], -v[99:100]
	ds_read2_b64 v[99:102], v125 offset0:54 offset1:55
	s_waitcnt lgkmcnt(0)
	v_mul_f64 v[103:104], v[101:102], v[105:106]
	v_fma_f64 v[103:104], v[99:100], v[97:98], -v[103:104]
	v_mul_f64 v[99:100], v[99:100], v[105:106]
	v_add_f64 v[109:110], v[109:110], -v[103:104]
	v_fma_f64 v[99:100], v[101:102], v[97:98], v[99:100]
	v_add_f64 v[111:112], v[111:112], -v[99:100]
	ds_read2_b64 v[99:102], v125 offset0:56 offset1:57
	s_waitcnt lgkmcnt(0)
	v_mul_f64 v[103:104], v[101:102], v[105:106]
	v_fma_f64 v[103:104], v[99:100], v[97:98], -v[103:104]
	v_mul_f64 v[99:100], v[99:100], v[105:106]
	v_add_f64 v[113:114], v[113:114], -v[103:104]
	v_fma_f64 v[99:100], v[101:102], v[97:98], v[99:100]
	v_add_f64 v[115:116], v[115:116], -v[99:100]
	ds_read2_b64 v[99:102], v125 offset0:58 offset1:59
	s_waitcnt lgkmcnt(0)
	v_mul_f64 v[103:104], v[101:102], v[105:106]
	v_fma_f64 v[103:104], v[99:100], v[97:98], -v[103:104]
	v_mul_f64 v[99:100], v[99:100], v[105:106]
	v_add_f64 v[93:94], v[93:94], -v[103:104]
	v_fma_f64 v[99:100], v[101:102], v[97:98], v[99:100]
	v_add_f64 v[95:96], v[95:96], -v[99:100]
	ds_read2_b64 v[99:102], v125 offset0:60 offset1:61
	buffer_load_dword v77, off, s[20:23], 0 offset:32 ; 4-byte Folded Reload
	buffer_load_dword v78, off, s[20:23], 0 offset:36 ; 4-byte Folded Reload
	;; [unrolled: 1-line block ×4, first 2 shown]
	s_waitcnt lgkmcnt(0)
	v_mul_f64 v[103:104], v[101:102], v[105:106]
	v_fma_f64 v[103:104], v[99:100], v[97:98], -v[103:104]
	v_mul_f64 v[99:100], v[99:100], v[105:106]
	v_fma_f64 v[99:100], v[101:102], v[97:98], v[99:100]
	s_waitcnt vmcnt(2)
	v_add_f64 v[77:78], v[77:78], -v[103:104]
	s_waitcnt vmcnt(0)
	v_add_f64 v[79:80], v[79:80], -v[99:100]
	buffer_store_dword v77, off, s[20:23], 0 offset:32 ; 4-byte Folded Spill
	s_nop 0
	buffer_store_dword v78, off, s[20:23], 0 offset:36 ; 4-byte Folded Spill
	buffer_store_dword v79, off, s[20:23], 0 offset:40 ; 4-byte Folded Spill
	;; [unrolled: 1-line block ×3, first 2 shown]
	ds_read2_b64 v[99:102], v125 offset0:62 offset1:63
	buffer_load_dword v73, off, s[20:23], 0 offset:16 ; 4-byte Folded Reload
	buffer_load_dword v74, off, s[20:23], 0 offset:20 ; 4-byte Folded Reload
	;; [unrolled: 1-line block ×4, first 2 shown]
	s_waitcnt lgkmcnt(0)
	v_mul_f64 v[103:104], v[101:102], v[105:106]
	v_fma_f64 v[103:104], v[99:100], v[97:98], -v[103:104]
	v_mul_f64 v[99:100], v[99:100], v[105:106]
	v_fma_f64 v[99:100], v[101:102], v[97:98], v[99:100]
	s_waitcnt vmcnt(2)
	v_add_f64 v[73:74], v[73:74], -v[103:104]
	s_waitcnt vmcnt(0)
	v_add_f64 v[75:76], v[75:76], -v[99:100]
	buffer_store_dword v73, off, s[20:23], 0 offset:16 ; 4-byte Folded Spill
	s_nop 0
	buffer_store_dword v74, off, s[20:23], 0 offset:20 ; 4-byte Folded Spill
	buffer_store_dword v75, off, s[20:23], 0 offset:24 ; 4-byte Folded Spill
	;; [unrolled: 1-line block ×3, first 2 shown]
	v_mov_b32_e32 v76, v72
	v_mov_b32_e32 v75, v71
	;; [unrolled: 1-line block ×4, first 2 shown]
	ds_read2_b64 v[99:102], v125 offset0:64 offset1:65
	buffer_load_dword v69, off, s[20:23], 0 ; 4-byte Folded Reload
	buffer_load_dword v70, off, s[20:23], 0 offset:4 ; 4-byte Folded Reload
	buffer_load_dword v71, off, s[20:23], 0 offset:8 ; 4-byte Folded Reload
	;; [unrolled: 1-line block ×3, first 2 shown]
	s_waitcnt lgkmcnt(0)
	v_mul_f64 v[103:104], v[101:102], v[105:106]
	v_fma_f64 v[103:104], v[99:100], v[97:98], -v[103:104]
	v_mul_f64 v[99:100], v[99:100], v[105:106]
	v_fma_f64 v[99:100], v[101:102], v[97:98], v[99:100]
	s_waitcnt vmcnt(2)
	v_add_f64 v[69:70], v[69:70], -v[103:104]
	s_waitcnt vmcnt(0)
	v_add_f64 v[71:72], v[71:72], -v[99:100]
	buffer_store_dword v69, off, s[20:23], 0 ; 4-byte Folded Spill
	s_nop 0
	buffer_store_dword v70, off, s[20:23], 0 offset:4 ; 4-byte Folded Spill
	buffer_store_dword v71, off, s[20:23], 0 offset:8 ; 4-byte Folded Spill
	;; [unrolled: 1-line block ×3, first 2 shown]
	ds_read2_b64 v[99:102], v125 offset0:66 offset1:67
	s_waitcnt lgkmcnt(0)
	v_mul_f64 v[103:104], v[101:102], v[105:106]
	v_fma_f64 v[103:104], v[99:100], v[97:98], -v[103:104]
	v_mul_f64 v[99:100], v[99:100], v[105:106]
	v_add_f64 v[65:66], v[65:66], -v[103:104]
	v_fma_f64 v[99:100], v[101:102], v[97:98], v[99:100]
	v_add_f64 v[67:68], v[67:68], -v[99:100]
	ds_read2_b64 v[99:102], v125 offset0:68 offset1:69
	s_waitcnt lgkmcnt(0)
	v_mul_f64 v[103:104], v[101:102], v[105:106]
	v_fma_f64 v[103:104], v[99:100], v[97:98], -v[103:104]
	v_mul_f64 v[99:100], v[99:100], v[105:106]
	v_add_f64 v[61:62], v[61:62], -v[103:104]
	v_fma_f64 v[99:100], v[101:102], v[97:98], v[99:100]
	v_add_f64 v[63:64], v[63:64], -v[99:100]
	;; [unrolled: 8-line block ×17, first 2 shown]
	ds_read2_b64 v[99:102], v125 offset0:100 offset1:101
	s_waitcnt lgkmcnt(0)
	v_mul_f64 v[103:104], v[101:102], v[105:106]
	v_fma_f64 v[103:104], v[99:100], v[97:98], -v[103:104]
	v_mul_f64 v[99:100], v[99:100], v[105:106]
	v_add_f64 v[73:74], v[73:74], -v[103:104]
	v_fma_f64 v[99:100], v[101:102], v[97:98], v[99:100]
	v_mov_b32_e32 v104, v98
	v_mov_b32_e32 v103, v97
	buffer_store_dword v103, off, s[20:23], 0 offset:304 ; 4-byte Folded Spill
	s_nop 0
	buffer_store_dword v104, off, s[20:23], 0 offset:308 ; 4-byte Folded Spill
	buffer_store_dword v105, off, s[20:23], 0 offset:312 ; 4-byte Folded Spill
	;; [unrolled: 1-line block ×3, first 2 shown]
	v_add_f64 v[75:76], v[75:76], -v[99:100]
.LBB101_82:
	s_or_b64 exec, exec, s[2:3]
	v_cmp_eq_u32_e32 vcc, 9, v0
	s_waitcnt vmcnt(0)
	s_barrier
	s_and_saveexec_b64 s[4:5], vcc
	s_cbranch_execz .LBB101_89
; %bb.83:
	buffer_load_dword v69, off, s[20:23], 0 offset:288 ; 4-byte Folded Reload
	buffer_load_dword v70, off, s[20:23], 0 offset:292 ; 4-byte Folded Reload
	;; [unrolled: 1-line block ×4, first 2 shown]
	s_waitcnt vmcnt(0)
	ds_write2_b64 v127, v[69:70], v[71:72] offset1:1
	buffer_load_dword v69, off, s[20:23], 0 offset:272 ; 4-byte Folded Reload
	buffer_load_dword v70, off, s[20:23], 0 offset:276 ; 4-byte Folded Reload
	buffer_load_dword v71, off, s[20:23], 0 offset:280 ; 4-byte Folded Reload
	buffer_load_dword v72, off, s[20:23], 0 offset:284 ; 4-byte Folded Reload
	s_waitcnt vmcnt(0)
	ds_write2_b64 v125, v[69:70], v[71:72] offset0:20 offset1:21
	buffer_load_dword v69, off, s[20:23], 0 offset:256 ; 4-byte Folded Reload
	buffer_load_dword v70, off, s[20:23], 0 offset:260 ; 4-byte Folded Reload
	buffer_load_dword v71, off, s[20:23], 0 offset:264 ; 4-byte Folded Reload
	buffer_load_dword v72, off, s[20:23], 0 offset:268 ; 4-byte Folded Reload
	s_waitcnt vmcnt(0)
	ds_write2_b64 v125, v[69:70], v[71:72] offset0:22 offset1:23
	;; [unrolled: 6-line block ×15, first 2 shown]
	ds_write2_b64 v125, v[121:122], v[123:124] offset0:50 offset1:51
	ds_write2_b64 v125, v[117:118], v[119:120] offset0:52 offset1:53
	;; [unrolled: 1-line block ×5, first 2 shown]
	buffer_load_dword v77, off, s[20:23], 0 offset:32 ; 4-byte Folded Reload
	buffer_load_dword v78, off, s[20:23], 0 offset:36 ; 4-byte Folded Reload
	;; [unrolled: 1-line block ×4, first 2 shown]
	v_mov_b32_e32 v69, v73
	v_mov_b32_e32 v70, v74
	;; [unrolled: 1-line block ×4, first 2 shown]
	s_waitcnt vmcnt(0)
	ds_write2_b64 v125, v[77:78], v[79:80] offset0:60 offset1:61
	buffer_load_dword v73, off, s[20:23], 0 offset:16 ; 4-byte Folded Reload
	buffer_load_dword v74, off, s[20:23], 0 offset:20 ; 4-byte Folded Reload
	;; [unrolled: 1-line block ×4, first 2 shown]
	s_waitcnt vmcnt(0)
	ds_write2_b64 v125, v[73:74], v[75:76] offset0:62 offset1:63
	v_mov_b32_e32 v76, v72
	v_mov_b32_e32 v75, v71
	;; [unrolled: 1-line block ×4, first 2 shown]
	buffer_load_dword v69, off, s[20:23], 0 ; 4-byte Folded Reload
	buffer_load_dword v70, off, s[20:23], 0 offset:4 ; 4-byte Folded Reload
	buffer_load_dword v71, off, s[20:23], 0 offset:8 ; 4-byte Folded Reload
	buffer_load_dword v72, off, s[20:23], 0 offset:12 ; 4-byte Folded Reload
	s_waitcnt vmcnt(0)
	ds_write2_b64 v125, v[69:70], v[71:72] offset0:64 offset1:65
	ds_write2_b64 v125, v[65:66], v[67:68] offset0:66 offset1:67
	;; [unrolled: 1-line block ×19, first 2 shown]
	ds_read2_b64 v[97:100], v127 offset1:1
	s_waitcnt lgkmcnt(0)
	v_cmp_neq_f64_e32 vcc, 0, v[97:98]
	v_cmp_neq_f64_e64 s[2:3], 0, v[99:100]
	s_or_b64 s[2:3], vcc, s[2:3]
	s_and_b64 exec, exec, s[2:3]
	s_cbranch_execz .LBB101_89
; %bb.84:
	v_cmp_ngt_f64_e64 s[2:3], |v[97:98]|, |v[99:100]|
                                        ; implicit-def: $vgpr101_vgpr102
	s_and_saveexec_b64 s[6:7], s[2:3]
	s_xor_b64 s[2:3], exec, s[6:7]
                                        ; implicit-def: $vgpr103_vgpr104
	s_cbranch_execz .LBB101_86
; %bb.85:
	v_div_scale_f64 v[101:102], s[6:7], v[99:100], v[99:100], v[97:98]
	v_rcp_f64_e32 v[103:104], v[101:102]
	v_fma_f64 v[105:106], -v[101:102], v[103:104], 1.0
	v_fma_f64 v[103:104], v[103:104], v[105:106], v[103:104]
	v_div_scale_f64 v[105:106], vcc, v[97:98], v[99:100], v[97:98]
	v_fma_f64 v[107:108], -v[101:102], v[103:104], 1.0
	v_fma_f64 v[103:104], v[103:104], v[107:108], v[103:104]
	v_mul_f64 v[107:108], v[105:106], v[103:104]
	v_fma_f64 v[101:102], -v[101:102], v[107:108], v[105:106]
	v_div_fmas_f64 v[101:102], v[101:102], v[103:104], v[107:108]
	v_div_fixup_f64 v[101:102], v[101:102], v[99:100], v[97:98]
	v_fma_f64 v[97:98], v[97:98], v[101:102], v[99:100]
	v_div_scale_f64 v[99:100], s[6:7], v[97:98], v[97:98], 1.0
	v_div_scale_f64 v[107:108], vcc, 1.0, v[97:98], 1.0
	v_rcp_f64_e32 v[103:104], v[99:100]
	v_fma_f64 v[105:106], -v[99:100], v[103:104], 1.0
	v_fma_f64 v[103:104], v[103:104], v[105:106], v[103:104]
	v_fma_f64 v[105:106], -v[99:100], v[103:104], 1.0
	v_fma_f64 v[103:104], v[103:104], v[105:106], v[103:104]
	v_mul_f64 v[105:106], v[107:108], v[103:104]
	v_fma_f64 v[99:100], -v[99:100], v[105:106], v[107:108]
	v_div_fmas_f64 v[99:100], v[99:100], v[103:104], v[105:106]
	v_div_fixup_f64 v[103:104], v[99:100], v[97:98], 1.0
                                        ; implicit-def: $vgpr97_vgpr98
	v_mul_f64 v[101:102], v[101:102], v[103:104]
	v_xor_b32_e32 v104, 0x80000000, v104
.LBB101_86:
	s_andn2_saveexec_b64 s[2:3], s[2:3]
	s_cbranch_execz .LBB101_88
; %bb.87:
	v_div_scale_f64 v[101:102], s[6:7], v[97:98], v[97:98], v[99:100]
	v_rcp_f64_e32 v[103:104], v[101:102]
	v_fma_f64 v[105:106], -v[101:102], v[103:104], 1.0
	v_fma_f64 v[103:104], v[103:104], v[105:106], v[103:104]
	v_div_scale_f64 v[105:106], vcc, v[99:100], v[97:98], v[99:100]
	v_fma_f64 v[107:108], -v[101:102], v[103:104], 1.0
	v_fma_f64 v[103:104], v[103:104], v[107:108], v[103:104]
	v_mul_f64 v[107:108], v[105:106], v[103:104]
	v_fma_f64 v[101:102], -v[101:102], v[107:108], v[105:106]
	v_div_fmas_f64 v[101:102], v[101:102], v[103:104], v[107:108]
	v_div_fixup_f64 v[103:104], v[101:102], v[97:98], v[99:100]
	v_fma_f64 v[97:98], v[99:100], v[103:104], v[97:98]
	v_div_scale_f64 v[99:100], s[6:7], v[97:98], v[97:98], 1.0
	v_div_scale_f64 v[107:108], vcc, 1.0, v[97:98], 1.0
	v_rcp_f64_e32 v[101:102], v[99:100]
	v_fma_f64 v[105:106], -v[99:100], v[101:102], 1.0
	v_fma_f64 v[101:102], v[101:102], v[105:106], v[101:102]
	v_fma_f64 v[105:106], -v[99:100], v[101:102], 1.0
	v_fma_f64 v[101:102], v[101:102], v[105:106], v[101:102]
	v_mul_f64 v[105:106], v[107:108], v[101:102]
	v_fma_f64 v[99:100], -v[99:100], v[105:106], v[107:108]
	v_div_fmas_f64 v[99:100], v[99:100], v[101:102], v[105:106]
	v_div_fixup_f64 v[101:102], v[99:100], v[97:98], 1.0
	v_mul_f64 v[103:104], v[103:104], -v[101:102]
.LBB101_88:
	s_or_b64 exec, exec, s[2:3]
	ds_write2_b64 v127, v[101:102], v[103:104] offset1:1
.LBB101_89:
	s_or_b64 exec, exec, s[4:5]
	s_waitcnt lgkmcnt(0)
	s_barrier
	ds_read2_b64 v[69:72], v127 offset1:1
	v_cmp_lt_u32_e32 vcc, 9, v0
	s_waitcnt lgkmcnt(0)
	buffer_store_dword v69, off, s[20:23], 0 offset:992 ; 4-byte Folded Spill
	s_nop 0
	buffer_store_dword v70, off, s[20:23], 0 offset:996 ; 4-byte Folded Spill
	buffer_store_dword v71, off, s[20:23], 0 offset:1000 ; 4-byte Folded Spill
	;; [unrolled: 1-line block ×3, first 2 shown]
	s_and_saveexec_b64 s[2:3], vcc
	s_cbranch_execz .LBB101_91
; %bb.90:
	buffer_load_dword v103, off, s[20:23], 0 offset:288 ; 4-byte Folded Reload
	buffer_load_dword v104, off, s[20:23], 0 offset:292 ; 4-byte Folded Reload
	;; [unrolled: 1-line block ×8, first 2 shown]
	s_waitcnt vmcnt(2)
	v_mul_f64 v[99:100], v[69:70], v[105:106]
	s_waitcnt vmcnt(0)
	v_mul_f64 v[97:98], v[71:72], v[105:106]
	v_fma_f64 v[105:106], v[71:72], v[103:104], v[99:100]
	ds_read2_b64 v[99:102], v125 offset0:20 offset1:21
	v_fma_f64 v[97:98], v[69:70], v[103:104], -v[97:98]
	buffer_load_dword v69, off, s[20:23], 0 offset:272 ; 4-byte Folded Reload
	buffer_load_dword v70, off, s[20:23], 0 offset:276 ; 4-byte Folded Reload
	buffer_load_dword v71, off, s[20:23], 0 offset:280 ; 4-byte Folded Reload
	buffer_load_dword v72, off, s[20:23], 0 offset:284 ; 4-byte Folded Reload
	s_waitcnt lgkmcnt(0)
	v_mul_f64 v[103:104], v[101:102], v[105:106]
	v_fma_f64 v[103:104], v[99:100], v[97:98], -v[103:104]
	v_mul_f64 v[99:100], v[99:100], v[105:106]
	v_fma_f64 v[99:100], v[101:102], v[97:98], v[99:100]
	s_waitcnt vmcnt(2)
	v_add_f64 v[69:70], v[69:70], -v[103:104]
	s_waitcnt vmcnt(0)
	v_add_f64 v[71:72], v[71:72], -v[99:100]
	buffer_store_dword v69, off, s[20:23], 0 offset:272 ; 4-byte Folded Spill
	s_nop 0
	buffer_store_dword v70, off, s[20:23], 0 offset:276 ; 4-byte Folded Spill
	buffer_store_dword v71, off, s[20:23], 0 offset:280 ; 4-byte Folded Spill
	buffer_store_dword v72, off, s[20:23], 0 offset:284 ; 4-byte Folded Spill
	ds_read2_b64 v[99:102], v125 offset0:22 offset1:23
	buffer_load_dword v69, off, s[20:23], 0 offset:256 ; 4-byte Folded Reload
	buffer_load_dword v70, off, s[20:23], 0 offset:260 ; 4-byte Folded Reload
	buffer_load_dword v71, off, s[20:23], 0 offset:264 ; 4-byte Folded Reload
	buffer_load_dword v72, off, s[20:23], 0 offset:268 ; 4-byte Folded Reload
	s_waitcnt lgkmcnt(0)
	v_mul_f64 v[103:104], v[101:102], v[105:106]
	v_fma_f64 v[103:104], v[99:100], v[97:98], -v[103:104]
	v_mul_f64 v[99:100], v[99:100], v[105:106]
	v_fma_f64 v[99:100], v[101:102], v[97:98], v[99:100]
	s_waitcnt vmcnt(2)
	v_add_f64 v[69:70], v[69:70], -v[103:104]
	s_waitcnt vmcnt(0)
	v_add_f64 v[71:72], v[71:72], -v[99:100]
	buffer_store_dword v69, off, s[20:23], 0 offset:256 ; 4-byte Folded Spill
	s_nop 0
	buffer_store_dword v70, off, s[20:23], 0 offset:260 ; 4-byte Folded Spill
	buffer_store_dword v71, off, s[20:23], 0 offset:264 ; 4-byte Folded Spill
	buffer_store_dword v72, off, s[20:23], 0 offset:268 ; 4-byte Folded Spill
	ds_read2_b64 v[99:102], v125 offset0:24 offset1:25
	;; [unrolled: 19-line block ×15, first 2 shown]
	v_mov_b32_e32 v69, v73
	v_mov_b32_e32 v70, v74
	;; [unrolled: 1-line block ×4, first 2 shown]
	s_waitcnt lgkmcnt(0)
	v_mul_f64 v[103:104], v[101:102], v[105:106]
	v_fma_f64 v[103:104], v[99:100], v[97:98], -v[103:104]
	v_mul_f64 v[99:100], v[99:100], v[105:106]
	v_add_f64 v[121:122], v[121:122], -v[103:104]
	v_fma_f64 v[99:100], v[101:102], v[97:98], v[99:100]
	v_add_f64 v[123:124], v[123:124], -v[99:100]
	ds_read2_b64 v[99:102], v125 offset0:52 offset1:53
	s_waitcnt lgkmcnt(0)
	v_mul_f64 v[103:104], v[101:102], v[105:106]
	v_fma_f64 v[103:104], v[99:100], v[97:98], -v[103:104]
	v_mul_f64 v[99:100], v[99:100], v[105:106]
	v_add_f64 v[117:118], v[117:118], -v[103:104]
	v_fma_f64 v[99:100], v[101:102], v[97:98], v[99:100]
	v_add_f64 v[119:120], v[119:120], -v[99:100]
	ds_read2_b64 v[99:102], v125 offset0:54 offset1:55
	;; [unrolled: 8-line block ×5, first 2 shown]
	buffer_load_dword v77, off, s[20:23], 0 offset:32 ; 4-byte Folded Reload
	buffer_load_dword v78, off, s[20:23], 0 offset:36 ; 4-byte Folded Reload
	;; [unrolled: 1-line block ×4, first 2 shown]
	s_waitcnt lgkmcnt(0)
	v_mul_f64 v[103:104], v[101:102], v[105:106]
	v_fma_f64 v[103:104], v[99:100], v[97:98], -v[103:104]
	v_mul_f64 v[99:100], v[99:100], v[105:106]
	v_fma_f64 v[99:100], v[101:102], v[97:98], v[99:100]
	s_waitcnt vmcnt(2)
	v_add_f64 v[77:78], v[77:78], -v[103:104]
	s_waitcnt vmcnt(0)
	v_add_f64 v[79:80], v[79:80], -v[99:100]
	buffer_store_dword v77, off, s[20:23], 0 offset:32 ; 4-byte Folded Spill
	s_nop 0
	buffer_store_dword v78, off, s[20:23], 0 offset:36 ; 4-byte Folded Spill
	buffer_store_dword v79, off, s[20:23], 0 offset:40 ; 4-byte Folded Spill
	buffer_store_dword v80, off, s[20:23], 0 offset:44 ; 4-byte Folded Spill
	ds_read2_b64 v[99:102], v125 offset0:62 offset1:63
	buffer_load_dword v73, off, s[20:23], 0 offset:16 ; 4-byte Folded Reload
	buffer_load_dword v74, off, s[20:23], 0 offset:20 ; 4-byte Folded Reload
	;; [unrolled: 1-line block ×4, first 2 shown]
	s_waitcnt lgkmcnt(0)
	v_mul_f64 v[103:104], v[101:102], v[105:106]
	v_fma_f64 v[103:104], v[99:100], v[97:98], -v[103:104]
	v_mul_f64 v[99:100], v[99:100], v[105:106]
	v_fma_f64 v[99:100], v[101:102], v[97:98], v[99:100]
	s_waitcnt vmcnt(2)
	v_add_f64 v[73:74], v[73:74], -v[103:104]
	s_waitcnt vmcnt(0)
	v_add_f64 v[75:76], v[75:76], -v[99:100]
	buffer_store_dword v73, off, s[20:23], 0 offset:16 ; 4-byte Folded Spill
	s_nop 0
	buffer_store_dword v74, off, s[20:23], 0 offset:20 ; 4-byte Folded Spill
	buffer_store_dword v75, off, s[20:23], 0 offset:24 ; 4-byte Folded Spill
	;; [unrolled: 1-line block ×3, first 2 shown]
	v_mov_b32_e32 v76, v72
	v_mov_b32_e32 v75, v71
	;; [unrolled: 1-line block ×4, first 2 shown]
	ds_read2_b64 v[99:102], v125 offset0:64 offset1:65
	buffer_load_dword v69, off, s[20:23], 0 ; 4-byte Folded Reload
	buffer_load_dword v70, off, s[20:23], 0 offset:4 ; 4-byte Folded Reload
	buffer_load_dword v71, off, s[20:23], 0 offset:8 ; 4-byte Folded Reload
	;; [unrolled: 1-line block ×3, first 2 shown]
	s_waitcnt lgkmcnt(0)
	v_mul_f64 v[103:104], v[101:102], v[105:106]
	v_fma_f64 v[103:104], v[99:100], v[97:98], -v[103:104]
	v_mul_f64 v[99:100], v[99:100], v[105:106]
	v_fma_f64 v[99:100], v[101:102], v[97:98], v[99:100]
	s_waitcnt vmcnt(2)
	v_add_f64 v[69:70], v[69:70], -v[103:104]
	s_waitcnt vmcnt(0)
	v_add_f64 v[71:72], v[71:72], -v[99:100]
	buffer_store_dword v69, off, s[20:23], 0 ; 4-byte Folded Spill
	s_nop 0
	buffer_store_dword v70, off, s[20:23], 0 offset:4 ; 4-byte Folded Spill
	buffer_store_dword v71, off, s[20:23], 0 offset:8 ; 4-byte Folded Spill
	;; [unrolled: 1-line block ×3, first 2 shown]
	ds_read2_b64 v[99:102], v125 offset0:66 offset1:67
	s_waitcnt lgkmcnt(0)
	v_mul_f64 v[103:104], v[101:102], v[105:106]
	v_fma_f64 v[103:104], v[99:100], v[97:98], -v[103:104]
	v_mul_f64 v[99:100], v[99:100], v[105:106]
	v_add_f64 v[65:66], v[65:66], -v[103:104]
	v_fma_f64 v[99:100], v[101:102], v[97:98], v[99:100]
	v_add_f64 v[67:68], v[67:68], -v[99:100]
	ds_read2_b64 v[99:102], v125 offset0:68 offset1:69
	s_waitcnt lgkmcnt(0)
	v_mul_f64 v[103:104], v[101:102], v[105:106]
	v_fma_f64 v[103:104], v[99:100], v[97:98], -v[103:104]
	v_mul_f64 v[99:100], v[99:100], v[105:106]
	v_add_f64 v[61:62], v[61:62], -v[103:104]
	v_fma_f64 v[99:100], v[101:102], v[97:98], v[99:100]
	v_add_f64 v[63:64], v[63:64], -v[99:100]
	;; [unrolled: 8-line block ×17, first 2 shown]
	ds_read2_b64 v[99:102], v125 offset0:100 offset1:101
	s_waitcnt lgkmcnt(0)
	v_mul_f64 v[103:104], v[101:102], v[105:106]
	v_fma_f64 v[103:104], v[99:100], v[97:98], -v[103:104]
	v_mul_f64 v[99:100], v[99:100], v[105:106]
	v_add_f64 v[73:74], v[73:74], -v[103:104]
	v_fma_f64 v[99:100], v[101:102], v[97:98], v[99:100]
	v_mov_b32_e32 v104, v98
	v_mov_b32_e32 v103, v97
	buffer_store_dword v103, off, s[20:23], 0 offset:288 ; 4-byte Folded Spill
	s_nop 0
	buffer_store_dword v104, off, s[20:23], 0 offset:292 ; 4-byte Folded Spill
	buffer_store_dword v105, off, s[20:23], 0 offset:296 ; 4-byte Folded Spill
	;; [unrolled: 1-line block ×3, first 2 shown]
	v_add_f64 v[75:76], v[75:76], -v[99:100]
.LBB101_91:
	s_or_b64 exec, exec, s[2:3]
	v_cmp_eq_u32_e32 vcc, 10, v0
	s_waitcnt vmcnt(0)
	s_barrier
	s_and_saveexec_b64 s[4:5], vcc
	s_cbranch_execz .LBB101_98
; %bb.92:
	buffer_load_dword v69, off, s[20:23], 0 offset:272 ; 4-byte Folded Reload
	buffer_load_dword v70, off, s[20:23], 0 offset:276 ; 4-byte Folded Reload
	;; [unrolled: 1-line block ×4, first 2 shown]
	s_waitcnt vmcnt(0)
	ds_write2_b64 v127, v[69:70], v[71:72] offset1:1
	buffer_load_dword v69, off, s[20:23], 0 offset:256 ; 4-byte Folded Reload
	buffer_load_dword v70, off, s[20:23], 0 offset:260 ; 4-byte Folded Reload
	buffer_load_dword v71, off, s[20:23], 0 offset:264 ; 4-byte Folded Reload
	buffer_load_dword v72, off, s[20:23], 0 offset:268 ; 4-byte Folded Reload
	s_waitcnt vmcnt(0)
	ds_write2_b64 v125, v[69:70], v[71:72] offset0:22 offset1:23
	buffer_load_dword v69, off, s[20:23], 0 offset:240 ; 4-byte Folded Reload
	buffer_load_dword v70, off, s[20:23], 0 offset:244 ; 4-byte Folded Reload
	buffer_load_dword v71, off, s[20:23], 0 offset:248 ; 4-byte Folded Reload
	buffer_load_dword v72, off, s[20:23], 0 offset:252 ; 4-byte Folded Reload
	s_waitcnt vmcnt(0)
	ds_write2_b64 v125, v[69:70], v[71:72] offset0:24 offset1:25
	;; [unrolled: 6-line block ×14, first 2 shown]
	ds_write2_b64 v125, v[121:122], v[123:124] offset0:50 offset1:51
	ds_write2_b64 v125, v[117:118], v[119:120] offset0:52 offset1:53
	;; [unrolled: 1-line block ×5, first 2 shown]
	buffer_load_dword v77, off, s[20:23], 0 offset:32 ; 4-byte Folded Reload
	buffer_load_dword v78, off, s[20:23], 0 offset:36 ; 4-byte Folded Reload
	;; [unrolled: 1-line block ×4, first 2 shown]
	v_mov_b32_e32 v69, v73
	v_mov_b32_e32 v70, v74
	;; [unrolled: 1-line block ×4, first 2 shown]
	s_waitcnt vmcnt(0)
	ds_write2_b64 v125, v[77:78], v[79:80] offset0:60 offset1:61
	buffer_load_dword v73, off, s[20:23], 0 offset:16 ; 4-byte Folded Reload
	buffer_load_dword v74, off, s[20:23], 0 offset:20 ; 4-byte Folded Reload
	;; [unrolled: 1-line block ×4, first 2 shown]
	s_waitcnt vmcnt(0)
	ds_write2_b64 v125, v[73:74], v[75:76] offset0:62 offset1:63
	v_mov_b32_e32 v76, v72
	v_mov_b32_e32 v75, v71
	;; [unrolled: 1-line block ×4, first 2 shown]
	buffer_load_dword v69, off, s[20:23], 0 ; 4-byte Folded Reload
	buffer_load_dword v70, off, s[20:23], 0 offset:4 ; 4-byte Folded Reload
	buffer_load_dword v71, off, s[20:23], 0 offset:8 ; 4-byte Folded Reload
	;; [unrolled: 1-line block ×3, first 2 shown]
	s_waitcnt vmcnt(0)
	ds_write2_b64 v125, v[69:70], v[71:72] offset0:64 offset1:65
	ds_write2_b64 v125, v[65:66], v[67:68] offset0:66 offset1:67
	;; [unrolled: 1-line block ×19, first 2 shown]
	ds_read2_b64 v[97:100], v127 offset1:1
	s_waitcnt lgkmcnt(0)
	v_cmp_neq_f64_e32 vcc, 0, v[97:98]
	v_cmp_neq_f64_e64 s[2:3], 0, v[99:100]
	s_or_b64 s[2:3], vcc, s[2:3]
	s_and_b64 exec, exec, s[2:3]
	s_cbranch_execz .LBB101_98
; %bb.93:
	v_cmp_ngt_f64_e64 s[2:3], |v[97:98]|, |v[99:100]|
                                        ; implicit-def: $vgpr101_vgpr102
	s_and_saveexec_b64 s[6:7], s[2:3]
	s_xor_b64 s[2:3], exec, s[6:7]
                                        ; implicit-def: $vgpr103_vgpr104
	s_cbranch_execz .LBB101_95
; %bb.94:
	v_div_scale_f64 v[101:102], s[6:7], v[99:100], v[99:100], v[97:98]
	v_rcp_f64_e32 v[103:104], v[101:102]
	v_fma_f64 v[105:106], -v[101:102], v[103:104], 1.0
	v_fma_f64 v[103:104], v[103:104], v[105:106], v[103:104]
	v_div_scale_f64 v[105:106], vcc, v[97:98], v[99:100], v[97:98]
	v_fma_f64 v[107:108], -v[101:102], v[103:104], 1.0
	v_fma_f64 v[103:104], v[103:104], v[107:108], v[103:104]
	v_mul_f64 v[107:108], v[105:106], v[103:104]
	v_fma_f64 v[101:102], -v[101:102], v[107:108], v[105:106]
	v_div_fmas_f64 v[101:102], v[101:102], v[103:104], v[107:108]
	v_div_fixup_f64 v[101:102], v[101:102], v[99:100], v[97:98]
	v_fma_f64 v[97:98], v[97:98], v[101:102], v[99:100]
	v_div_scale_f64 v[99:100], s[6:7], v[97:98], v[97:98], 1.0
	v_div_scale_f64 v[107:108], vcc, 1.0, v[97:98], 1.0
	v_rcp_f64_e32 v[103:104], v[99:100]
	v_fma_f64 v[105:106], -v[99:100], v[103:104], 1.0
	v_fma_f64 v[103:104], v[103:104], v[105:106], v[103:104]
	v_fma_f64 v[105:106], -v[99:100], v[103:104], 1.0
	v_fma_f64 v[103:104], v[103:104], v[105:106], v[103:104]
	v_mul_f64 v[105:106], v[107:108], v[103:104]
	v_fma_f64 v[99:100], -v[99:100], v[105:106], v[107:108]
	v_div_fmas_f64 v[99:100], v[99:100], v[103:104], v[105:106]
	v_div_fixup_f64 v[103:104], v[99:100], v[97:98], 1.0
                                        ; implicit-def: $vgpr97_vgpr98
	v_mul_f64 v[101:102], v[101:102], v[103:104]
	v_xor_b32_e32 v104, 0x80000000, v104
.LBB101_95:
	s_andn2_saveexec_b64 s[2:3], s[2:3]
	s_cbranch_execz .LBB101_97
; %bb.96:
	v_div_scale_f64 v[101:102], s[6:7], v[97:98], v[97:98], v[99:100]
	v_rcp_f64_e32 v[103:104], v[101:102]
	v_fma_f64 v[105:106], -v[101:102], v[103:104], 1.0
	v_fma_f64 v[103:104], v[103:104], v[105:106], v[103:104]
	v_div_scale_f64 v[105:106], vcc, v[99:100], v[97:98], v[99:100]
	v_fma_f64 v[107:108], -v[101:102], v[103:104], 1.0
	v_fma_f64 v[103:104], v[103:104], v[107:108], v[103:104]
	v_mul_f64 v[107:108], v[105:106], v[103:104]
	v_fma_f64 v[101:102], -v[101:102], v[107:108], v[105:106]
	v_div_fmas_f64 v[101:102], v[101:102], v[103:104], v[107:108]
	v_div_fixup_f64 v[103:104], v[101:102], v[97:98], v[99:100]
	v_fma_f64 v[97:98], v[99:100], v[103:104], v[97:98]
	v_div_scale_f64 v[99:100], s[6:7], v[97:98], v[97:98], 1.0
	v_div_scale_f64 v[107:108], vcc, 1.0, v[97:98], 1.0
	v_rcp_f64_e32 v[101:102], v[99:100]
	v_fma_f64 v[105:106], -v[99:100], v[101:102], 1.0
	v_fma_f64 v[101:102], v[101:102], v[105:106], v[101:102]
	v_fma_f64 v[105:106], -v[99:100], v[101:102], 1.0
	v_fma_f64 v[101:102], v[101:102], v[105:106], v[101:102]
	v_mul_f64 v[105:106], v[107:108], v[101:102]
	v_fma_f64 v[99:100], -v[99:100], v[105:106], v[107:108]
	v_div_fmas_f64 v[99:100], v[99:100], v[101:102], v[105:106]
	v_div_fixup_f64 v[101:102], v[99:100], v[97:98], 1.0
	v_mul_f64 v[103:104], v[103:104], -v[101:102]
.LBB101_97:
	s_or_b64 exec, exec, s[2:3]
	ds_write2_b64 v127, v[101:102], v[103:104] offset1:1
.LBB101_98:
	s_or_b64 exec, exec, s[4:5]
	s_waitcnt lgkmcnt(0)
	s_barrier
	ds_read2_b64 v[69:72], v127 offset1:1
	v_cmp_lt_u32_e32 vcc, 10, v0
	s_waitcnt lgkmcnt(0)
	buffer_store_dword v69, off, s[20:23], 0 offset:1008 ; 4-byte Folded Spill
	s_nop 0
	buffer_store_dword v70, off, s[20:23], 0 offset:1012 ; 4-byte Folded Spill
	buffer_store_dword v71, off, s[20:23], 0 offset:1016 ; 4-byte Folded Spill
	;; [unrolled: 1-line block ×3, first 2 shown]
	s_and_saveexec_b64 s[2:3], vcc
	s_cbranch_execz .LBB101_100
; %bb.99:
	buffer_load_dword v103, off, s[20:23], 0 offset:272 ; 4-byte Folded Reload
	buffer_load_dword v104, off, s[20:23], 0 offset:276 ; 4-byte Folded Reload
	;; [unrolled: 1-line block ×8, first 2 shown]
	s_waitcnt vmcnt(2)
	v_mul_f64 v[99:100], v[69:70], v[105:106]
	s_waitcnt vmcnt(0)
	v_mul_f64 v[97:98], v[71:72], v[105:106]
	v_fma_f64 v[105:106], v[71:72], v[103:104], v[99:100]
	ds_read2_b64 v[99:102], v125 offset0:22 offset1:23
	v_fma_f64 v[97:98], v[69:70], v[103:104], -v[97:98]
	buffer_load_dword v69, off, s[20:23], 0 offset:256 ; 4-byte Folded Reload
	buffer_load_dword v70, off, s[20:23], 0 offset:260 ; 4-byte Folded Reload
	buffer_load_dword v71, off, s[20:23], 0 offset:264 ; 4-byte Folded Reload
	buffer_load_dword v72, off, s[20:23], 0 offset:268 ; 4-byte Folded Reload
	s_waitcnt lgkmcnt(0)
	v_mul_f64 v[103:104], v[101:102], v[105:106]
	v_fma_f64 v[103:104], v[99:100], v[97:98], -v[103:104]
	v_mul_f64 v[99:100], v[99:100], v[105:106]
	v_fma_f64 v[99:100], v[101:102], v[97:98], v[99:100]
	s_waitcnt vmcnt(2)
	v_add_f64 v[69:70], v[69:70], -v[103:104]
	s_waitcnt vmcnt(0)
	v_add_f64 v[71:72], v[71:72], -v[99:100]
	buffer_store_dword v69, off, s[20:23], 0 offset:256 ; 4-byte Folded Spill
	s_nop 0
	buffer_store_dword v70, off, s[20:23], 0 offset:260 ; 4-byte Folded Spill
	buffer_store_dword v71, off, s[20:23], 0 offset:264 ; 4-byte Folded Spill
	buffer_store_dword v72, off, s[20:23], 0 offset:268 ; 4-byte Folded Spill
	ds_read2_b64 v[99:102], v125 offset0:24 offset1:25
	buffer_load_dword v69, off, s[20:23], 0 offset:240 ; 4-byte Folded Reload
	buffer_load_dword v70, off, s[20:23], 0 offset:244 ; 4-byte Folded Reload
	buffer_load_dword v71, off, s[20:23], 0 offset:248 ; 4-byte Folded Reload
	buffer_load_dword v72, off, s[20:23], 0 offset:252 ; 4-byte Folded Reload
	s_waitcnt lgkmcnt(0)
	v_mul_f64 v[103:104], v[101:102], v[105:106]
	v_fma_f64 v[103:104], v[99:100], v[97:98], -v[103:104]
	v_mul_f64 v[99:100], v[99:100], v[105:106]
	v_fma_f64 v[99:100], v[101:102], v[97:98], v[99:100]
	s_waitcnt vmcnt(2)
	v_add_f64 v[69:70], v[69:70], -v[103:104]
	s_waitcnt vmcnt(0)
	v_add_f64 v[71:72], v[71:72], -v[99:100]
	buffer_store_dword v69, off, s[20:23], 0 offset:240 ; 4-byte Folded Spill
	s_nop 0
	buffer_store_dword v70, off, s[20:23], 0 offset:244 ; 4-byte Folded Spill
	buffer_store_dword v71, off, s[20:23], 0 offset:248 ; 4-byte Folded Spill
	buffer_store_dword v72, off, s[20:23], 0 offset:252 ; 4-byte Folded Spill
	ds_read2_b64 v[99:102], v125 offset0:26 offset1:27
	;; [unrolled: 19-line block ×14, first 2 shown]
	v_mov_b32_e32 v69, v73
	v_mov_b32_e32 v70, v74
	;; [unrolled: 1-line block ×4, first 2 shown]
	s_waitcnt lgkmcnt(0)
	v_mul_f64 v[103:104], v[101:102], v[105:106]
	v_fma_f64 v[103:104], v[99:100], v[97:98], -v[103:104]
	v_mul_f64 v[99:100], v[99:100], v[105:106]
	v_add_f64 v[121:122], v[121:122], -v[103:104]
	v_fma_f64 v[99:100], v[101:102], v[97:98], v[99:100]
	v_add_f64 v[123:124], v[123:124], -v[99:100]
	ds_read2_b64 v[99:102], v125 offset0:52 offset1:53
	s_waitcnt lgkmcnt(0)
	v_mul_f64 v[103:104], v[101:102], v[105:106]
	v_fma_f64 v[103:104], v[99:100], v[97:98], -v[103:104]
	v_mul_f64 v[99:100], v[99:100], v[105:106]
	v_add_f64 v[117:118], v[117:118], -v[103:104]
	v_fma_f64 v[99:100], v[101:102], v[97:98], v[99:100]
	v_add_f64 v[119:120], v[119:120], -v[99:100]
	ds_read2_b64 v[99:102], v125 offset0:54 offset1:55
	;; [unrolled: 8-line block ×5, first 2 shown]
	buffer_load_dword v77, off, s[20:23], 0 offset:32 ; 4-byte Folded Reload
	buffer_load_dword v78, off, s[20:23], 0 offset:36 ; 4-byte Folded Reload
	;; [unrolled: 1-line block ×4, first 2 shown]
	s_waitcnt lgkmcnt(0)
	v_mul_f64 v[103:104], v[101:102], v[105:106]
	v_fma_f64 v[103:104], v[99:100], v[97:98], -v[103:104]
	v_mul_f64 v[99:100], v[99:100], v[105:106]
	v_fma_f64 v[99:100], v[101:102], v[97:98], v[99:100]
	s_waitcnt vmcnt(2)
	v_add_f64 v[77:78], v[77:78], -v[103:104]
	s_waitcnt vmcnt(0)
	v_add_f64 v[79:80], v[79:80], -v[99:100]
	buffer_store_dword v77, off, s[20:23], 0 offset:32 ; 4-byte Folded Spill
	s_nop 0
	buffer_store_dword v78, off, s[20:23], 0 offset:36 ; 4-byte Folded Spill
	buffer_store_dword v79, off, s[20:23], 0 offset:40 ; 4-byte Folded Spill
	;; [unrolled: 1-line block ×3, first 2 shown]
	ds_read2_b64 v[99:102], v125 offset0:62 offset1:63
	buffer_load_dword v73, off, s[20:23], 0 offset:16 ; 4-byte Folded Reload
	buffer_load_dword v74, off, s[20:23], 0 offset:20 ; 4-byte Folded Reload
	;; [unrolled: 1-line block ×4, first 2 shown]
	s_waitcnt lgkmcnt(0)
	v_mul_f64 v[103:104], v[101:102], v[105:106]
	v_fma_f64 v[103:104], v[99:100], v[97:98], -v[103:104]
	v_mul_f64 v[99:100], v[99:100], v[105:106]
	v_fma_f64 v[99:100], v[101:102], v[97:98], v[99:100]
	s_waitcnt vmcnt(2)
	v_add_f64 v[73:74], v[73:74], -v[103:104]
	s_waitcnt vmcnt(0)
	v_add_f64 v[75:76], v[75:76], -v[99:100]
	buffer_store_dword v73, off, s[20:23], 0 offset:16 ; 4-byte Folded Spill
	s_nop 0
	buffer_store_dword v74, off, s[20:23], 0 offset:20 ; 4-byte Folded Spill
	buffer_store_dword v75, off, s[20:23], 0 offset:24 ; 4-byte Folded Spill
	;; [unrolled: 1-line block ×3, first 2 shown]
	v_mov_b32_e32 v76, v72
	v_mov_b32_e32 v75, v71
	;; [unrolled: 1-line block ×4, first 2 shown]
	ds_read2_b64 v[99:102], v125 offset0:64 offset1:65
	buffer_load_dword v69, off, s[20:23], 0 ; 4-byte Folded Reload
	buffer_load_dword v70, off, s[20:23], 0 offset:4 ; 4-byte Folded Reload
	buffer_load_dword v71, off, s[20:23], 0 offset:8 ; 4-byte Folded Reload
	buffer_load_dword v72, off, s[20:23], 0 offset:12 ; 4-byte Folded Reload
	s_waitcnt lgkmcnt(0)
	v_mul_f64 v[103:104], v[101:102], v[105:106]
	v_fma_f64 v[103:104], v[99:100], v[97:98], -v[103:104]
	v_mul_f64 v[99:100], v[99:100], v[105:106]
	v_fma_f64 v[99:100], v[101:102], v[97:98], v[99:100]
	s_waitcnt vmcnt(2)
	v_add_f64 v[69:70], v[69:70], -v[103:104]
	s_waitcnt vmcnt(0)
	v_add_f64 v[71:72], v[71:72], -v[99:100]
	buffer_store_dword v69, off, s[20:23], 0 ; 4-byte Folded Spill
	s_nop 0
	buffer_store_dword v70, off, s[20:23], 0 offset:4 ; 4-byte Folded Spill
	buffer_store_dword v71, off, s[20:23], 0 offset:8 ; 4-byte Folded Spill
	;; [unrolled: 1-line block ×3, first 2 shown]
	ds_read2_b64 v[99:102], v125 offset0:66 offset1:67
	s_waitcnt lgkmcnt(0)
	v_mul_f64 v[103:104], v[101:102], v[105:106]
	v_fma_f64 v[103:104], v[99:100], v[97:98], -v[103:104]
	v_mul_f64 v[99:100], v[99:100], v[105:106]
	v_add_f64 v[65:66], v[65:66], -v[103:104]
	v_fma_f64 v[99:100], v[101:102], v[97:98], v[99:100]
	v_add_f64 v[67:68], v[67:68], -v[99:100]
	ds_read2_b64 v[99:102], v125 offset0:68 offset1:69
	s_waitcnt lgkmcnt(0)
	v_mul_f64 v[103:104], v[101:102], v[105:106]
	v_fma_f64 v[103:104], v[99:100], v[97:98], -v[103:104]
	v_mul_f64 v[99:100], v[99:100], v[105:106]
	v_add_f64 v[61:62], v[61:62], -v[103:104]
	v_fma_f64 v[99:100], v[101:102], v[97:98], v[99:100]
	v_add_f64 v[63:64], v[63:64], -v[99:100]
	;; [unrolled: 8-line block ×17, first 2 shown]
	ds_read2_b64 v[99:102], v125 offset0:100 offset1:101
	s_waitcnt lgkmcnt(0)
	v_mul_f64 v[103:104], v[101:102], v[105:106]
	v_fma_f64 v[103:104], v[99:100], v[97:98], -v[103:104]
	v_mul_f64 v[99:100], v[99:100], v[105:106]
	v_add_f64 v[73:74], v[73:74], -v[103:104]
	v_fma_f64 v[99:100], v[101:102], v[97:98], v[99:100]
	v_mov_b32_e32 v104, v98
	v_mov_b32_e32 v103, v97
	buffer_store_dword v103, off, s[20:23], 0 offset:272 ; 4-byte Folded Spill
	s_nop 0
	buffer_store_dword v104, off, s[20:23], 0 offset:276 ; 4-byte Folded Spill
	buffer_store_dword v105, off, s[20:23], 0 offset:280 ; 4-byte Folded Spill
	buffer_store_dword v106, off, s[20:23], 0 offset:284 ; 4-byte Folded Spill
	v_add_f64 v[75:76], v[75:76], -v[99:100]
.LBB101_100:
	s_or_b64 exec, exec, s[2:3]
	v_cmp_eq_u32_e32 vcc, 11, v0
	s_waitcnt vmcnt(0)
	s_barrier
	s_and_saveexec_b64 s[4:5], vcc
	s_cbranch_execz .LBB101_107
; %bb.101:
	buffer_load_dword v69, off, s[20:23], 0 offset:256 ; 4-byte Folded Reload
	buffer_load_dword v70, off, s[20:23], 0 offset:260 ; 4-byte Folded Reload
	;; [unrolled: 1-line block ×4, first 2 shown]
	s_waitcnt vmcnt(0)
	ds_write2_b64 v127, v[69:70], v[71:72] offset1:1
	buffer_load_dword v69, off, s[20:23], 0 offset:240 ; 4-byte Folded Reload
	buffer_load_dword v70, off, s[20:23], 0 offset:244 ; 4-byte Folded Reload
	buffer_load_dword v71, off, s[20:23], 0 offset:248 ; 4-byte Folded Reload
	buffer_load_dword v72, off, s[20:23], 0 offset:252 ; 4-byte Folded Reload
	s_waitcnt vmcnt(0)
	ds_write2_b64 v125, v[69:70], v[71:72] offset0:24 offset1:25
	buffer_load_dword v69, off, s[20:23], 0 offset:224 ; 4-byte Folded Reload
	buffer_load_dword v70, off, s[20:23], 0 offset:228 ; 4-byte Folded Reload
	buffer_load_dword v71, off, s[20:23], 0 offset:232 ; 4-byte Folded Reload
	buffer_load_dword v72, off, s[20:23], 0 offset:236 ; 4-byte Folded Reload
	s_waitcnt vmcnt(0)
	ds_write2_b64 v125, v[69:70], v[71:72] offset0:26 offset1:27
	;; [unrolled: 6-line block ×13, first 2 shown]
	ds_write2_b64 v125, v[121:122], v[123:124] offset0:50 offset1:51
	ds_write2_b64 v125, v[117:118], v[119:120] offset0:52 offset1:53
	;; [unrolled: 1-line block ×5, first 2 shown]
	buffer_load_dword v77, off, s[20:23], 0 offset:32 ; 4-byte Folded Reload
	buffer_load_dword v78, off, s[20:23], 0 offset:36 ; 4-byte Folded Reload
	;; [unrolled: 1-line block ×4, first 2 shown]
	v_mov_b32_e32 v69, v73
	v_mov_b32_e32 v70, v74
	;; [unrolled: 1-line block ×4, first 2 shown]
	s_waitcnt vmcnt(0)
	ds_write2_b64 v125, v[77:78], v[79:80] offset0:60 offset1:61
	buffer_load_dword v73, off, s[20:23], 0 offset:16 ; 4-byte Folded Reload
	buffer_load_dword v74, off, s[20:23], 0 offset:20 ; 4-byte Folded Reload
	;; [unrolled: 1-line block ×4, first 2 shown]
	s_waitcnt vmcnt(0)
	ds_write2_b64 v125, v[73:74], v[75:76] offset0:62 offset1:63
	v_mov_b32_e32 v76, v72
	v_mov_b32_e32 v75, v71
	;; [unrolled: 1-line block ×4, first 2 shown]
	buffer_load_dword v69, off, s[20:23], 0 ; 4-byte Folded Reload
	buffer_load_dword v70, off, s[20:23], 0 offset:4 ; 4-byte Folded Reload
	buffer_load_dword v71, off, s[20:23], 0 offset:8 ; 4-byte Folded Reload
	;; [unrolled: 1-line block ×3, first 2 shown]
	s_waitcnt vmcnt(0)
	ds_write2_b64 v125, v[69:70], v[71:72] offset0:64 offset1:65
	ds_write2_b64 v125, v[65:66], v[67:68] offset0:66 offset1:67
	;; [unrolled: 1-line block ×19, first 2 shown]
	ds_read2_b64 v[97:100], v127 offset1:1
	s_waitcnt lgkmcnt(0)
	v_cmp_neq_f64_e32 vcc, 0, v[97:98]
	v_cmp_neq_f64_e64 s[2:3], 0, v[99:100]
	s_or_b64 s[2:3], vcc, s[2:3]
	s_and_b64 exec, exec, s[2:3]
	s_cbranch_execz .LBB101_107
; %bb.102:
	v_cmp_ngt_f64_e64 s[2:3], |v[97:98]|, |v[99:100]|
                                        ; implicit-def: $vgpr101_vgpr102
	s_and_saveexec_b64 s[6:7], s[2:3]
	s_xor_b64 s[2:3], exec, s[6:7]
                                        ; implicit-def: $vgpr103_vgpr104
	s_cbranch_execz .LBB101_104
; %bb.103:
	v_div_scale_f64 v[101:102], s[6:7], v[99:100], v[99:100], v[97:98]
	v_rcp_f64_e32 v[103:104], v[101:102]
	v_fma_f64 v[105:106], -v[101:102], v[103:104], 1.0
	v_fma_f64 v[103:104], v[103:104], v[105:106], v[103:104]
	v_div_scale_f64 v[105:106], vcc, v[97:98], v[99:100], v[97:98]
	v_fma_f64 v[107:108], -v[101:102], v[103:104], 1.0
	v_fma_f64 v[103:104], v[103:104], v[107:108], v[103:104]
	v_mul_f64 v[107:108], v[105:106], v[103:104]
	v_fma_f64 v[101:102], -v[101:102], v[107:108], v[105:106]
	v_div_fmas_f64 v[101:102], v[101:102], v[103:104], v[107:108]
	v_div_fixup_f64 v[101:102], v[101:102], v[99:100], v[97:98]
	v_fma_f64 v[97:98], v[97:98], v[101:102], v[99:100]
	v_div_scale_f64 v[99:100], s[6:7], v[97:98], v[97:98], 1.0
	v_div_scale_f64 v[107:108], vcc, 1.0, v[97:98], 1.0
	v_rcp_f64_e32 v[103:104], v[99:100]
	v_fma_f64 v[105:106], -v[99:100], v[103:104], 1.0
	v_fma_f64 v[103:104], v[103:104], v[105:106], v[103:104]
	v_fma_f64 v[105:106], -v[99:100], v[103:104], 1.0
	v_fma_f64 v[103:104], v[103:104], v[105:106], v[103:104]
	v_mul_f64 v[105:106], v[107:108], v[103:104]
	v_fma_f64 v[99:100], -v[99:100], v[105:106], v[107:108]
	v_div_fmas_f64 v[99:100], v[99:100], v[103:104], v[105:106]
	v_div_fixup_f64 v[103:104], v[99:100], v[97:98], 1.0
                                        ; implicit-def: $vgpr97_vgpr98
	v_mul_f64 v[101:102], v[101:102], v[103:104]
	v_xor_b32_e32 v104, 0x80000000, v104
.LBB101_104:
	s_andn2_saveexec_b64 s[2:3], s[2:3]
	s_cbranch_execz .LBB101_106
; %bb.105:
	v_div_scale_f64 v[101:102], s[6:7], v[97:98], v[97:98], v[99:100]
	v_rcp_f64_e32 v[103:104], v[101:102]
	v_fma_f64 v[105:106], -v[101:102], v[103:104], 1.0
	v_fma_f64 v[103:104], v[103:104], v[105:106], v[103:104]
	v_div_scale_f64 v[105:106], vcc, v[99:100], v[97:98], v[99:100]
	v_fma_f64 v[107:108], -v[101:102], v[103:104], 1.0
	v_fma_f64 v[103:104], v[103:104], v[107:108], v[103:104]
	v_mul_f64 v[107:108], v[105:106], v[103:104]
	v_fma_f64 v[101:102], -v[101:102], v[107:108], v[105:106]
	v_div_fmas_f64 v[101:102], v[101:102], v[103:104], v[107:108]
	v_div_fixup_f64 v[103:104], v[101:102], v[97:98], v[99:100]
	v_fma_f64 v[97:98], v[99:100], v[103:104], v[97:98]
	v_div_scale_f64 v[99:100], s[6:7], v[97:98], v[97:98], 1.0
	v_div_scale_f64 v[107:108], vcc, 1.0, v[97:98], 1.0
	v_rcp_f64_e32 v[101:102], v[99:100]
	v_fma_f64 v[105:106], -v[99:100], v[101:102], 1.0
	v_fma_f64 v[101:102], v[101:102], v[105:106], v[101:102]
	v_fma_f64 v[105:106], -v[99:100], v[101:102], 1.0
	v_fma_f64 v[101:102], v[101:102], v[105:106], v[101:102]
	v_mul_f64 v[105:106], v[107:108], v[101:102]
	v_fma_f64 v[99:100], -v[99:100], v[105:106], v[107:108]
	v_div_fmas_f64 v[99:100], v[99:100], v[101:102], v[105:106]
	v_div_fixup_f64 v[101:102], v[99:100], v[97:98], 1.0
	v_mul_f64 v[103:104], v[103:104], -v[101:102]
.LBB101_106:
	s_or_b64 exec, exec, s[2:3]
	ds_write2_b64 v127, v[101:102], v[103:104] offset1:1
.LBB101_107:
	s_or_b64 exec, exec, s[4:5]
	s_waitcnt lgkmcnt(0)
	s_barrier
	ds_read2_b64 v[69:72], v127 offset1:1
	v_cmp_lt_u32_e32 vcc, 11, v0
	s_waitcnt lgkmcnt(0)
	buffer_store_dword v69, off, s[20:23], 0 offset:1024 ; 4-byte Folded Spill
	s_nop 0
	buffer_store_dword v70, off, s[20:23], 0 offset:1028 ; 4-byte Folded Spill
	buffer_store_dword v71, off, s[20:23], 0 offset:1032 ; 4-byte Folded Spill
	;; [unrolled: 1-line block ×3, first 2 shown]
	s_and_saveexec_b64 s[2:3], vcc
	s_cbranch_execz .LBB101_109
; %bb.108:
	buffer_load_dword v103, off, s[20:23], 0 offset:256 ; 4-byte Folded Reload
	buffer_load_dword v104, off, s[20:23], 0 offset:260 ; 4-byte Folded Reload
	;; [unrolled: 1-line block ×8, first 2 shown]
	s_waitcnt vmcnt(2)
	v_mul_f64 v[99:100], v[69:70], v[105:106]
	s_waitcnt vmcnt(0)
	v_mul_f64 v[97:98], v[71:72], v[105:106]
	v_fma_f64 v[105:106], v[71:72], v[103:104], v[99:100]
	ds_read2_b64 v[99:102], v125 offset0:24 offset1:25
	v_fma_f64 v[97:98], v[69:70], v[103:104], -v[97:98]
	buffer_load_dword v69, off, s[20:23], 0 offset:240 ; 4-byte Folded Reload
	buffer_load_dword v70, off, s[20:23], 0 offset:244 ; 4-byte Folded Reload
	buffer_load_dword v71, off, s[20:23], 0 offset:248 ; 4-byte Folded Reload
	buffer_load_dword v72, off, s[20:23], 0 offset:252 ; 4-byte Folded Reload
	s_waitcnt lgkmcnt(0)
	v_mul_f64 v[103:104], v[101:102], v[105:106]
	v_fma_f64 v[103:104], v[99:100], v[97:98], -v[103:104]
	v_mul_f64 v[99:100], v[99:100], v[105:106]
	v_fma_f64 v[99:100], v[101:102], v[97:98], v[99:100]
	s_waitcnt vmcnt(2)
	v_add_f64 v[69:70], v[69:70], -v[103:104]
	s_waitcnt vmcnt(0)
	v_add_f64 v[71:72], v[71:72], -v[99:100]
	buffer_store_dword v69, off, s[20:23], 0 offset:240 ; 4-byte Folded Spill
	s_nop 0
	buffer_store_dword v70, off, s[20:23], 0 offset:244 ; 4-byte Folded Spill
	buffer_store_dword v71, off, s[20:23], 0 offset:248 ; 4-byte Folded Spill
	buffer_store_dword v72, off, s[20:23], 0 offset:252 ; 4-byte Folded Spill
	ds_read2_b64 v[99:102], v125 offset0:26 offset1:27
	buffer_load_dword v69, off, s[20:23], 0 offset:224 ; 4-byte Folded Reload
	buffer_load_dword v70, off, s[20:23], 0 offset:228 ; 4-byte Folded Reload
	buffer_load_dword v71, off, s[20:23], 0 offset:232 ; 4-byte Folded Reload
	buffer_load_dword v72, off, s[20:23], 0 offset:236 ; 4-byte Folded Reload
	s_waitcnt lgkmcnt(0)
	v_mul_f64 v[103:104], v[101:102], v[105:106]
	v_fma_f64 v[103:104], v[99:100], v[97:98], -v[103:104]
	v_mul_f64 v[99:100], v[99:100], v[105:106]
	v_fma_f64 v[99:100], v[101:102], v[97:98], v[99:100]
	s_waitcnt vmcnt(2)
	v_add_f64 v[69:70], v[69:70], -v[103:104]
	s_waitcnt vmcnt(0)
	v_add_f64 v[71:72], v[71:72], -v[99:100]
	buffer_store_dword v69, off, s[20:23], 0 offset:224 ; 4-byte Folded Spill
	s_nop 0
	buffer_store_dword v70, off, s[20:23], 0 offset:228 ; 4-byte Folded Spill
	buffer_store_dword v71, off, s[20:23], 0 offset:232 ; 4-byte Folded Spill
	buffer_store_dword v72, off, s[20:23], 0 offset:236 ; 4-byte Folded Spill
	ds_read2_b64 v[99:102], v125 offset0:28 offset1:29
	;; [unrolled: 19-line block ×13, first 2 shown]
	v_mov_b32_e32 v69, v73
	v_mov_b32_e32 v70, v74
	;; [unrolled: 1-line block ×4, first 2 shown]
	s_waitcnt lgkmcnt(0)
	v_mul_f64 v[103:104], v[101:102], v[105:106]
	v_fma_f64 v[103:104], v[99:100], v[97:98], -v[103:104]
	v_mul_f64 v[99:100], v[99:100], v[105:106]
	v_add_f64 v[121:122], v[121:122], -v[103:104]
	v_fma_f64 v[99:100], v[101:102], v[97:98], v[99:100]
	v_add_f64 v[123:124], v[123:124], -v[99:100]
	ds_read2_b64 v[99:102], v125 offset0:52 offset1:53
	s_waitcnt lgkmcnt(0)
	v_mul_f64 v[103:104], v[101:102], v[105:106]
	v_fma_f64 v[103:104], v[99:100], v[97:98], -v[103:104]
	v_mul_f64 v[99:100], v[99:100], v[105:106]
	v_add_f64 v[117:118], v[117:118], -v[103:104]
	v_fma_f64 v[99:100], v[101:102], v[97:98], v[99:100]
	v_add_f64 v[119:120], v[119:120], -v[99:100]
	ds_read2_b64 v[99:102], v125 offset0:54 offset1:55
	;; [unrolled: 8-line block ×5, first 2 shown]
	buffer_load_dword v77, off, s[20:23], 0 offset:32 ; 4-byte Folded Reload
	buffer_load_dword v78, off, s[20:23], 0 offset:36 ; 4-byte Folded Reload
	;; [unrolled: 1-line block ×4, first 2 shown]
	s_waitcnt lgkmcnt(0)
	v_mul_f64 v[103:104], v[101:102], v[105:106]
	v_fma_f64 v[103:104], v[99:100], v[97:98], -v[103:104]
	v_mul_f64 v[99:100], v[99:100], v[105:106]
	v_fma_f64 v[99:100], v[101:102], v[97:98], v[99:100]
	s_waitcnt vmcnt(2)
	v_add_f64 v[77:78], v[77:78], -v[103:104]
	s_waitcnt vmcnt(0)
	v_add_f64 v[79:80], v[79:80], -v[99:100]
	buffer_store_dword v77, off, s[20:23], 0 offset:32 ; 4-byte Folded Spill
	s_nop 0
	buffer_store_dword v78, off, s[20:23], 0 offset:36 ; 4-byte Folded Spill
	buffer_store_dword v79, off, s[20:23], 0 offset:40 ; 4-byte Folded Spill
	;; [unrolled: 1-line block ×3, first 2 shown]
	ds_read2_b64 v[99:102], v125 offset0:62 offset1:63
	buffer_load_dword v73, off, s[20:23], 0 offset:16 ; 4-byte Folded Reload
	buffer_load_dword v74, off, s[20:23], 0 offset:20 ; 4-byte Folded Reload
	;; [unrolled: 1-line block ×4, first 2 shown]
	s_waitcnt lgkmcnt(0)
	v_mul_f64 v[103:104], v[101:102], v[105:106]
	v_fma_f64 v[103:104], v[99:100], v[97:98], -v[103:104]
	v_mul_f64 v[99:100], v[99:100], v[105:106]
	v_fma_f64 v[99:100], v[101:102], v[97:98], v[99:100]
	s_waitcnt vmcnt(2)
	v_add_f64 v[73:74], v[73:74], -v[103:104]
	s_waitcnt vmcnt(0)
	v_add_f64 v[75:76], v[75:76], -v[99:100]
	buffer_store_dword v73, off, s[20:23], 0 offset:16 ; 4-byte Folded Spill
	s_nop 0
	buffer_store_dword v74, off, s[20:23], 0 offset:20 ; 4-byte Folded Spill
	buffer_store_dword v75, off, s[20:23], 0 offset:24 ; 4-byte Folded Spill
	;; [unrolled: 1-line block ×3, first 2 shown]
	v_mov_b32_e32 v76, v72
	v_mov_b32_e32 v75, v71
	;; [unrolled: 1-line block ×4, first 2 shown]
	ds_read2_b64 v[99:102], v125 offset0:64 offset1:65
	buffer_load_dword v69, off, s[20:23], 0 ; 4-byte Folded Reload
	buffer_load_dword v70, off, s[20:23], 0 offset:4 ; 4-byte Folded Reload
	buffer_load_dword v71, off, s[20:23], 0 offset:8 ; 4-byte Folded Reload
	;; [unrolled: 1-line block ×3, first 2 shown]
	s_waitcnt lgkmcnt(0)
	v_mul_f64 v[103:104], v[101:102], v[105:106]
	v_fma_f64 v[103:104], v[99:100], v[97:98], -v[103:104]
	v_mul_f64 v[99:100], v[99:100], v[105:106]
	v_fma_f64 v[99:100], v[101:102], v[97:98], v[99:100]
	s_waitcnt vmcnt(2)
	v_add_f64 v[69:70], v[69:70], -v[103:104]
	s_waitcnt vmcnt(0)
	v_add_f64 v[71:72], v[71:72], -v[99:100]
	buffer_store_dword v69, off, s[20:23], 0 ; 4-byte Folded Spill
	s_nop 0
	buffer_store_dword v70, off, s[20:23], 0 offset:4 ; 4-byte Folded Spill
	buffer_store_dword v71, off, s[20:23], 0 offset:8 ; 4-byte Folded Spill
	;; [unrolled: 1-line block ×3, first 2 shown]
	ds_read2_b64 v[99:102], v125 offset0:66 offset1:67
	s_waitcnt lgkmcnt(0)
	v_mul_f64 v[103:104], v[101:102], v[105:106]
	v_fma_f64 v[103:104], v[99:100], v[97:98], -v[103:104]
	v_mul_f64 v[99:100], v[99:100], v[105:106]
	v_add_f64 v[65:66], v[65:66], -v[103:104]
	v_fma_f64 v[99:100], v[101:102], v[97:98], v[99:100]
	v_add_f64 v[67:68], v[67:68], -v[99:100]
	ds_read2_b64 v[99:102], v125 offset0:68 offset1:69
	s_waitcnt lgkmcnt(0)
	v_mul_f64 v[103:104], v[101:102], v[105:106]
	v_fma_f64 v[103:104], v[99:100], v[97:98], -v[103:104]
	v_mul_f64 v[99:100], v[99:100], v[105:106]
	v_add_f64 v[61:62], v[61:62], -v[103:104]
	v_fma_f64 v[99:100], v[101:102], v[97:98], v[99:100]
	v_add_f64 v[63:64], v[63:64], -v[99:100]
	;; [unrolled: 8-line block ×17, first 2 shown]
	ds_read2_b64 v[99:102], v125 offset0:100 offset1:101
	s_waitcnt lgkmcnt(0)
	v_mul_f64 v[103:104], v[101:102], v[105:106]
	v_fma_f64 v[103:104], v[99:100], v[97:98], -v[103:104]
	v_mul_f64 v[99:100], v[99:100], v[105:106]
	v_add_f64 v[73:74], v[73:74], -v[103:104]
	v_fma_f64 v[99:100], v[101:102], v[97:98], v[99:100]
	v_mov_b32_e32 v104, v98
	v_mov_b32_e32 v103, v97
	buffer_store_dword v103, off, s[20:23], 0 offset:256 ; 4-byte Folded Spill
	s_nop 0
	buffer_store_dword v104, off, s[20:23], 0 offset:260 ; 4-byte Folded Spill
	buffer_store_dword v105, off, s[20:23], 0 offset:264 ; 4-byte Folded Spill
	;; [unrolled: 1-line block ×3, first 2 shown]
	v_add_f64 v[75:76], v[75:76], -v[99:100]
.LBB101_109:
	s_or_b64 exec, exec, s[2:3]
	v_cmp_eq_u32_e32 vcc, 12, v0
	s_waitcnt vmcnt(0)
	s_barrier
	s_and_saveexec_b64 s[4:5], vcc
	s_cbranch_execz .LBB101_116
; %bb.110:
	buffer_load_dword v69, off, s[20:23], 0 offset:240 ; 4-byte Folded Reload
	buffer_load_dword v70, off, s[20:23], 0 offset:244 ; 4-byte Folded Reload
	;; [unrolled: 1-line block ×4, first 2 shown]
	s_waitcnt vmcnt(0)
	ds_write2_b64 v127, v[69:70], v[71:72] offset1:1
	buffer_load_dword v69, off, s[20:23], 0 offset:224 ; 4-byte Folded Reload
	buffer_load_dword v70, off, s[20:23], 0 offset:228 ; 4-byte Folded Reload
	buffer_load_dword v71, off, s[20:23], 0 offset:232 ; 4-byte Folded Reload
	buffer_load_dword v72, off, s[20:23], 0 offset:236 ; 4-byte Folded Reload
	s_waitcnt vmcnt(0)
	ds_write2_b64 v125, v[69:70], v[71:72] offset0:26 offset1:27
	buffer_load_dword v69, off, s[20:23], 0 offset:208 ; 4-byte Folded Reload
	buffer_load_dword v70, off, s[20:23], 0 offset:212 ; 4-byte Folded Reload
	buffer_load_dword v71, off, s[20:23], 0 offset:216 ; 4-byte Folded Reload
	buffer_load_dword v72, off, s[20:23], 0 offset:220 ; 4-byte Folded Reload
	s_waitcnt vmcnt(0)
	ds_write2_b64 v125, v[69:70], v[71:72] offset0:28 offset1:29
	;; [unrolled: 6-line block ×12, first 2 shown]
	ds_write2_b64 v125, v[121:122], v[123:124] offset0:50 offset1:51
	ds_write2_b64 v125, v[117:118], v[119:120] offset0:52 offset1:53
	;; [unrolled: 1-line block ×5, first 2 shown]
	buffer_load_dword v77, off, s[20:23], 0 offset:32 ; 4-byte Folded Reload
	buffer_load_dword v78, off, s[20:23], 0 offset:36 ; 4-byte Folded Reload
	;; [unrolled: 1-line block ×4, first 2 shown]
	v_mov_b32_e32 v69, v73
	v_mov_b32_e32 v70, v74
	;; [unrolled: 1-line block ×4, first 2 shown]
	s_waitcnt vmcnt(0)
	ds_write2_b64 v125, v[77:78], v[79:80] offset0:60 offset1:61
	buffer_load_dword v73, off, s[20:23], 0 offset:16 ; 4-byte Folded Reload
	buffer_load_dword v74, off, s[20:23], 0 offset:20 ; 4-byte Folded Reload
	;; [unrolled: 1-line block ×4, first 2 shown]
	s_waitcnt vmcnt(0)
	ds_write2_b64 v125, v[73:74], v[75:76] offset0:62 offset1:63
	v_mov_b32_e32 v76, v72
	v_mov_b32_e32 v75, v71
	;; [unrolled: 1-line block ×4, first 2 shown]
	buffer_load_dword v69, off, s[20:23], 0 ; 4-byte Folded Reload
	buffer_load_dword v70, off, s[20:23], 0 offset:4 ; 4-byte Folded Reload
	buffer_load_dword v71, off, s[20:23], 0 offset:8 ; 4-byte Folded Reload
	;; [unrolled: 1-line block ×3, first 2 shown]
	s_waitcnt vmcnt(0)
	ds_write2_b64 v125, v[69:70], v[71:72] offset0:64 offset1:65
	ds_write2_b64 v125, v[65:66], v[67:68] offset0:66 offset1:67
	;; [unrolled: 1-line block ×19, first 2 shown]
	ds_read2_b64 v[97:100], v127 offset1:1
	s_waitcnt lgkmcnt(0)
	v_cmp_neq_f64_e32 vcc, 0, v[97:98]
	v_cmp_neq_f64_e64 s[2:3], 0, v[99:100]
	s_or_b64 s[2:3], vcc, s[2:3]
	s_and_b64 exec, exec, s[2:3]
	s_cbranch_execz .LBB101_116
; %bb.111:
	v_cmp_ngt_f64_e64 s[2:3], |v[97:98]|, |v[99:100]|
                                        ; implicit-def: $vgpr101_vgpr102
	s_and_saveexec_b64 s[6:7], s[2:3]
	s_xor_b64 s[2:3], exec, s[6:7]
                                        ; implicit-def: $vgpr103_vgpr104
	s_cbranch_execz .LBB101_113
; %bb.112:
	v_div_scale_f64 v[101:102], s[6:7], v[99:100], v[99:100], v[97:98]
	v_rcp_f64_e32 v[103:104], v[101:102]
	v_fma_f64 v[105:106], -v[101:102], v[103:104], 1.0
	v_fma_f64 v[103:104], v[103:104], v[105:106], v[103:104]
	v_div_scale_f64 v[105:106], vcc, v[97:98], v[99:100], v[97:98]
	v_fma_f64 v[107:108], -v[101:102], v[103:104], 1.0
	v_fma_f64 v[103:104], v[103:104], v[107:108], v[103:104]
	v_mul_f64 v[107:108], v[105:106], v[103:104]
	v_fma_f64 v[101:102], -v[101:102], v[107:108], v[105:106]
	v_div_fmas_f64 v[101:102], v[101:102], v[103:104], v[107:108]
	v_div_fixup_f64 v[101:102], v[101:102], v[99:100], v[97:98]
	v_fma_f64 v[97:98], v[97:98], v[101:102], v[99:100]
	v_div_scale_f64 v[99:100], s[6:7], v[97:98], v[97:98], 1.0
	v_div_scale_f64 v[107:108], vcc, 1.0, v[97:98], 1.0
	v_rcp_f64_e32 v[103:104], v[99:100]
	v_fma_f64 v[105:106], -v[99:100], v[103:104], 1.0
	v_fma_f64 v[103:104], v[103:104], v[105:106], v[103:104]
	v_fma_f64 v[105:106], -v[99:100], v[103:104], 1.0
	v_fma_f64 v[103:104], v[103:104], v[105:106], v[103:104]
	v_mul_f64 v[105:106], v[107:108], v[103:104]
	v_fma_f64 v[99:100], -v[99:100], v[105:106], v[107:108]
	v_div_fmas_f64 v[99:100], v[99:100], v[103:104], v[105:106]
	v_div_fixup_f64 v[103:104], v[99:100], v[97:98], 1.0
                                        ; implicit-def: $vgpr97_vgpr98
	v_mul_f64 v[101:102], v[101:102], v[103:104]
	v_xor_b32_e32 v104, 0x80000000, v104
.LBB101_113:
	s_andn2_saveexec_b64 s[2:3], s[2:3]
	s_cbranch_execz .LBB101_115
; %bb.114:
	v_div_scale_f64 v[101:102], s[6:7], v[97:98], v[97:98], v[99:100]
	v_rcp_f64_e32 v[103:104], v[101:102]
	v_fma_f64 v[105:106], -v[101:102], v[103:104], 1.0
	v_fma_f64 v[103:104], v[103:104], v[105:106], v[103:104]
	v_div_scale_f64 v[105:106], vcc, v[99:100], v[97:98], v[99:100]
	v_fma_f64 v[107:108], -v[101:102], v[103:104], 1.0
	v_fma_f64 v[103:104], v[103:104], v[107:108], v[103:104]
	v_mul_f64 v[107:108], v[105:106], v[103:104]
	v_fma_f64 v[101:102], -v[101:102], v[107:108], v[105:106]
	v_div_fmas_f64 v[101:102], v[101:102], v[103:104], v[107:108]
	v_div_fixup_f64 v[103:104], v[101:102], v[97:98], v[99:100]
	v_fma_f64 v[97:98], v[99:100], v[103:104], v[97:98]
	v_div_scale_f64 v[99:100], s[6:7], v[97:98], v[97:98], 1.0
	v_div_scale_f64 v[107:108], vcc, 1.0, v[97:98], 1.0
	v_rcp_f64_e32 v[101:102], v[99:100]
	v_fma_f64 v[105:106], -v[99:100], v[101:102], 1.0
	v_fma_f64 v[101:102], v[101:102], v[105:106], v[101:102]
	v_fma_f64 v[105:106], -v[99:100], v[101:102], 1.0
	v_fma_f64 v[101:102], v[101:102], v[105:106], v[101:102]
	v_mul_f64 v[105:106], v[107:108], v[101:102]
	v_fma_f64 v[99:100], -v[99:100], v[105:106], v[107:108]
	v_div_fmas_f64 v[99:100], v[99:100], v[101:102], v[105:106]
	v_div_fixup_f64 v[101:102], v[99:100], v[97:98], 1.0
	v_mul_f64 v[103:104], v[103:104], -v[101:102]
.LBB101_115:
	s_or_b64 exec, exec, s[2:3]
	ds_write2_b64 v127, v[101:102], v[103:104] offset1:1
.LBB101_116:
	s_or_b64 exec, exec, s[4:5]
	s_waitcnt lgkmcnt(0)
	s_barrier
	ds_read2_b64 v[69:72], v127 offset1:1
	v_cmp_lt_u32_e32 vcc, 12, v0
	s_waitcnt lgkmcnt(0)
	buffer_store_dword v69, off, s[20:23], 0 offset:1040 ; 4-byte Folded Spill
	s_nop 0
	buffer_store_dword v70, off, s[20:23], 0 offset:1044 ; 4-byte Folded Spill
	buffer_store_dword v71, off, s[20:23], 0 offset:1048 ; 4-byte Folded Spill
	;; [unrolled: 1-line block ×3, first 2 shown]
	s_and_saveexec_b64 s[2:3], vcc
	s_cbranch_execz .LBB101_118
; %bb.117:
	buffer_load_dword v103, off, s[20:23], 0 offset:240 ; 4-byte Folded Reload
	buffer_load_dword v104, off, s[20:23], 0 offset:244 ; 4-byte Folded Reload
	;; [unrolled: 1-line block ×8, first 2 shown]
	s_waitcnt vmcnt(2)
	v_mul_f64 v[99:100], v[69:70], v[105:106]
	s_waitcnt vmcnt(0)
	v_mul_f64 v[97:98], v[71:72], v[105:106]
	v_fma_f64 v[105:106], v[71:72], v[103:104], v[99:100]
	ds_read2_b64 v[99:102], v125 offset0:26 offset1:27
	v_fma_f64 v[97:98], v[69:70], v[103:104], -v[97:98]
	buffer_load_dword v69, off, s[20:23], 0 offset:224 ; 4-byte Folded Reload
	buffer_load_dword v70, off, s[20:23], 0 offset:228 ; 4-byte Folded Reload
	buffer_load_dword v71, off, s[20:23], 0 offset:232 ; 4-byte Folded Reload
	buffer_load_dword v72, off, s[20:23], 0 offset:236 ; 4-byte Folded Reload
	s_waitcnt lgkmcnt(0)
	v_mul_f64 v[103:104], v[101:102], v[105:106]
	v_fma_f64 v[103:104], v[99:100], v[97:98], -v[103:104]
	v_mul_f64 v[99:100], v[99:100], v[105:106]
	v_fma_f64 v[99:100], v[101:102], v[97:98], v[99:100]
	s_waitcnt vmcnt(2)
	v_add_f64 v[69:70], v[69:70], -v[103:104]
	s_waitcnt vmcnt(0)
	v_add_f64 v[71:72], v[71:72], -v[99:100]
	buffer_store_dword v69, off, s[20:23], 0 offset:224 ; 4-byte Folded Spill
	s_nop 0
	buffer_store_dword v70, off, s[20:23], 0 offset:228 ; 4-byte Folded Spill
	buffer_store_dword v71, off, s[20:23], 0 offset:232 ; 4-byte Folded Spill
	buffer_store_dword v72, off, s[20:23], 0 offset:236 ; 4-byte Folded Spill
	ds_read2_b64 v[99:102], v125 offset0:28 offset1:29
	buffer_load_dword v69, off, s[20:23], 0 offset:208 ; 4-byte Folded Reload
	buffer_load_dword v70, off, s[20:23], 0 offset:212 ; 4-byte Folded Reload
	buffer_load_dword v71, off, s[20:23], 0 offset:216 ; 4-byte Folded Reload
	buffer_load_dword v72, off, s[20:23], 0 offset:220 ; 4-byte Folded Reload
	s_waitcnt lgkmcnt(0)
	v_mul_f64 v[103:104], v[101:102], v[105:106]
	v_fma_f64 v[103:104], v[99:100], v[97:98], -v[103:104]
	v_mul_f64 v[99:100], v[99:100], v[105:106]
	v_fma_f64 v[99:100], v[101:102], v[97:98], v[99:100]
	s_waitcnt vmcnt(2)
	v_add_f64 v[69:70], v[69:70], -v[103:104]
	s_waitcnt vmcnt(0)
	v_add_f64 v[71:72], v[71:72], -v[99:100]
	buffer_store_dword v69, off, s[20:23], 0 offset:208 ; 4-byte Folded Spill
	s_nop 0
	buffer_store_dword v70, off, s[20:23], 0 offset:212 ; 4-byte Folded Spill
	buffer_store_dword v71, off, s[20:23], 0 offset:216 ; 4-byte Folded Spill
	buffer_store_dword v72, off, s[20:23], 0 offset:220 ; 4-byte Folded Spill
	ds_read2_b64 v[99:102], v125 offset0:30 offset1:31
	;; [unrolled: 19-line block ×12, first 2 shown]
	v_mov_b32_e32 v69, v73
	v_mov_b32_e32 v70, v74
	;; [unrolled: 1-line block ×4, first 2 shown]
	s_waitcnt lgkmcnt(0)
	v_mul_f64 v[103:104], v[101:102], v[105:106]
	v_fma_f64 v[103:104], v[99:100], v[97:98], -v[103:104]
	v_mul_f64 v[99:100], v[99:100], v[105:106]
	v_add_f64 v[121:122], v[121:122], -v[103:104]
	v_fma_f64 v[99:100], v[101:102], v[97:98], v[99:100]
	v_add_f64 v[123:124], v[123:124], -v[99:100]
	ds_read2_b64 v[99:102], v125 offset0:52 offset1:53
	s_waitcnt lgkmcnt(0)
	v_mul_f64 v[103:104], v[101:102], v[105:106]
	v_fma_f64 v[103:104], v[99:100], v[97:98], -v[103:104]
	v_mul_f64 v[99:100], v[99:100], v[105:106]
	v_add_f64 v[117:118], v[117:118], -v[103:104]
	v_fma_f64 v[99:100], v[101:102], v[97:98], v[99:100]
	v_add_f64 v[119:120], v[119:120], -v[99:100]
	ds_read2_b64 v[99:102], v125 offset0:54 offset1:55
	;; [unrolled: 8-line block ×5, first 2 shown]
	buffer_load_dword v77, off, s[20:23], 0 offset:32 ; 4-byte Folded Reload
	buffer_load_dword v78, off, s[20:23], 0 offset:36 ; 4-byte Folded Reload
	;; [unrolled: 1-line block ×4, first 2 shown]
	s_waitcnt lgkmcnt(0)
	v_mul_f64 v[103:104], v[101:102], v[105:106]
	v_fma_f64 v[103:104], v[99:100], v[97:98], -v[103:104]
	v_mul_f64 v[99:100], v[99:100], v[105:106]
	v_fma_f64 v[99:100], v[101:102], v[97:98], v[99:100]
	s_waitcnt vmcnt(2)
	v_add_f64 v[77:78], v[77:78], -v[103:104]
	s_waitcnt vmcnt(0)
	v_add_f64 v[79:80], v[79:80], -v[99:100]
	buffer_store_dword v77, off, s[20:23], 0 offset:32 ; 4-byte Folded Spill
	s_nop 0
	buffer_store_dword v78, off, s[20:23], 0 offset:36 ; 4-byte Folded Spill
	buffer_store_dword v79, off, s[20:23], 0 offset:40 ; 4-byte Folded Spill
	;; [unrolled: 1-line block ×3, first 2 shown]
	ds_read2_b64 v[99:102], v125 offset0:62 offset1:63
	buffer_load_dword v73, off, s[20:23], 0 offset:16 ; 4-byte Folded Reload
	buffer_load_dword v74, off, s[20:23], 0 offset:20 ; 4-byte Folded Reload
	;; [unrolled: 1-line block ×4, first 2 shown]
	s_waitcnt lgkmcnt(0)
	v_mul_f64 v[103:104], v[101:102], v[105:106]
	v_fma_f64 v[103:104], v[99:100], v[97:98], -v[103:104]
	v_mul_f64 v[99:100], v[99:100], v[105:106]
	v_fma_f64 v[99:100], v[101:102], v[97:98], v[99:100]
	s_waitcnt vmcnt(2)
	v_add_f64 v[73:74], v[73:74], -v[103:104]
	s_waitcnt vmcnt(0)
	v_add_f64 v[75:76], v[75:76], -v[99:100]
	buffer_store_dword v73, off, s[20:23], 0 offset:16 ; 4-byte Folded Spill
	s_nop 0
	buffer_store_dword v74, off, s[20:23], 0 offset:20 ; 4-byte Folded Spill
	buffer_store_dword v75, off, s[20:23], 0 offset:24 ; 4-byte Folded Spill
	;; [unrolled: 1-line block ×3, first 2 shown]
	v_mov_b32_e32 v76, v72
	v_mov_b32_e32 v75, v71
	;; [unrolled: 1-line block ×4, first 2 shown]
	ds_read2_b64 v[99:102], v125 offset0:64 offset1:65
	buffer_load_dword v69, off, s[20:23], 0 ; 4-byte Folded Reload
	buffer_load_dword v70, off, s[20:23], 0 offset:4 ; 4-byte Folded Reload
	buffer_load_dword v71, off, s[20:23], 0 offset:8 ; 4-byte Folded Reload
	;; [unrolled: 1-line block ×3, first 2 shown]
	s_waitcnt lgkmcnt(0)
	v_mul_f64 v[103:104], v[101:102], v[105:106]
	v_fma_f64 v[103:104], v[99:100], v[97:98], -v[103:104]
	v_mul_f64 v[99:100], v[99:100], v[105:106]
	v_fma_f64 v[99:100], v[101:102], v[97:98], v[99:100]
	s_waitcnt vmcnt(2)
	v_add_f64 v[69:70], v[69:70], -v[103:104]
	s_waitcnt vmcnt(0)
	v_add_f64 v[71:72], v[71:72], -v[99:100]
	buffer_store_dword v69, off, s[20:23], 0 ; 4-byte Folded Spill
	s_nop 0
	buffer_store_dword v70, off, s[20:23], 0 offset:4 ; 4-byte Folded Spill
	buffer_store_dword v71, off, s[20:23], 0 offset:8 ; 4-byte Folded Spill
	;; [unrolled: 1-line block ×3, first 2 shown]
	ds_read2_b64 v[99:102], v125 offset0:66 offset1:67
	s_waitcnt lgkmcnt(0)
	v_mul_f64 v[103:104], v[101:102], v[105:106]
	v_fma_f64 v[103:104], v[99:100], v[97:98], -v[103:104]
	v_mul_f64 v[99:100], v[99:100], v[105:106]
	v_add_f64 v[65:66], v[65:66], -v[103:104]
	v_fma_f64 v[99:100], v[101:102], v[97:98], v[99:100]
	v_add_f64 v[67:68], v[67:68], -v[99:100]
	ds_read2_b64 v[99:102], v125 offset0:68 offset1:69
	s_waitcnt lgkmcnt(0)
	v_mul_f64 v[103:104], v[101:102], v[105:106]
	v_fma_f64 v[103:104], v[99:100], v[97:98], -v[103:104]
	v_mul_f64 v[99:100], v[99:100], v[105:106]
	v_add_f64 v[61:62], v[61:62], -v[103:104]
	v_fma_f64 v[99:100], v[101:102], v[97:98], v[99:100]
	v_add_f64 v[63:64], v[63:64], -v[99:100]
	;; [unrolled: 8-line block ×17, first 2 shown]
	ds_read2_b64 v[99:102], v125 offset0:100 offset1:101
	s_waitcnt lgkmcnt(0)
	v_mul_f64 v[103:104], v[101:102], v[105:106]
	v_fma_f64 v[103:104], v[99:100], v[97:98], -v[103:104]
	v_mul_f64 v[99:100], v[99:100], v[105:106]
	v_add_f64 v[73:74], v[73:74], -v[103:104]
	v_fma_f64 v[99:100], v[101:102], v[97:98], v[99:100]
	v_mov_b32_e32 v104, v98
	v_mov_b32_e32 v103, v97
	buffer_store_dword v103, off, s[20:23], 0 offset:240 ; 4-byte Folded Spill
	s_nop 0
	buffer_store_dword v104, off, s[20:23], 0 offset:244 ; 4-byte Folded Spill
	buffer_store_dword v105, off, s[20:23], 0 offset:248 ; 4-byte Folded Spill
	buffer_store_dword v106, off, s[20:23], 0 offset:252 ; 4-byte Folded Spill
	v_add_f64 v[75:76], v[75:76], -v[99:100]
.LBB101_118:
	s_or_b64 exec, exec, s[2:3]
	v_cmp_eq_u32_e32 vcc, 13, v0
	s_waitcnt vmcnt(0)
	s_barrier
	s_and_saveexec_b64 s[4:5], vcc
	s_cbranch_execz .LBB101_125
; %bb.119:
	buffer_load_dword v69, off, s[20:23], 0 offset:224 ; 4-byte Folded Reload
	buffer_load_dword v70, off, s[20:23], 0 offset:228 ; 4-byte Folded Reload
	;; [unrolled: 1-line block ×4, first 2 shown]
	s_waitcnt vmcnt(0)
	ds_write2_b64 v127, v[69:70], v[71:72] offset1:1
	buffer_load_dword v69, off, s[20:23], 0 offset:208 ; 4-byte Folded Reload
	buffer_load_dword v70, off, s[20:23], 0 offset:212 ; 4-byte Folded Reload
	buffer_load_dword v71, off, s[20:23], 0 offset:216 ; 4-byte Folded Reload
	buffer_load_dword v72, off, s[20:23], 0 offset:220 ; 4-byte Folded Reload
	s_waitcnt vmcnt(0)
	ds_write2_b64 v125, v[69:70], v[71:72] offset0:28 offset1:29
	buffer_load_dword v69, off, s[20:23], 0 offset:192 ; 4-byte Folded Reload
	buffer_load_dword v70, off, s[20:23], 0 offset:196 ; 4-byte Folded Reload
	buffer_load_dword v71, off, s[20:23], 0 offset:200 ; 4-byte Folded Reload
	buffer_load_dword v72, off, s[20:23], 0 offset:204 ; 4-byte Folded Reload
	s_waitcnt vmcnt(0)
	ds_write2_b64 v125, v[69:70], v[71:72] offset0:30 offset1:31
	;; [unrolled: 6-line block ×11, first 2 shown]
	ds_write2_b64 v125, v[121:122], v[123:124] offset0:50 offset1:51
	ds_write2_b64 v125, v[117:118], v[119:120] offset0:52 offset1:53
	;; [unrolled: 1-line block ×5, first 2 shown]
	buffer_load_dword v77, off, s[20:23], 0 offset:32 ; 4-byte Folded Reload
	buffer_load_dword v78, off, s[20:23], 0 offset:36 ; 4-byte Folded Reload
	;; [unrolled: 1-line block ×4, first 2 shown]
	v_mov_b32_e32 v69, v73
	v_mov_b32_e32 v70, v74
	;; [unrolled: 1-line block ×4, first 2 shown]
	s_waitcnt vmcnt(0)
	ds_write2_b64 v125, v[77:78], v[79:80] offset0:60 offset1:61
	buffer_load_dword v73, off, s[20:23], 0 offset:16 ; 4-byte Folded Reload
	buffer_load_dword v74, off, s[20:23], 0 offset:20 ; 4-byte Folded Reload
	;; [unrolled: 1-line block ×4, first 2 shown]
	s_waitcnt vmcnt(0)
	ds_write2_b64 v125, v[73:74], v[75:76] offset0:62 offset1:63
	v_mov_b32_e32 v76, v72
	v_mov_b32_e32 v75, v71
	v_mov_b32_e32 v74, v70
	v_mov_b32_e32 v73, v69
	buffer_load_dword v69, off, s[20:23], 0 ; 4-byte Folded Reload
	buffer_load_dword v70, off, s[20:23], 0 offset:4 ; 4-byte Folded Reload
	buffer_load_dword v71, off, s[20:23], 0 offset:8 ; 4-byte Folded Reload
	;; [unrolled: 1-line block ×3, first 2 shown]
	s_waitcnt vmcnt(0)
	ds_write2_b64 v125, v[69:70], v[71:72] offset0:64 offset1:65
	ds_write2_b64 v125, v[65:66], v[67:68] offset0:66 offset1:67
	;; [unrolled: 1-line block ×19, first 2 shown]
	ds_read2_b64 v[97:100], v127 offset1:1
	s_waitcnt lgkmcnt(0)
	v_cmp_neq_f64_e32 vcc, 0, v[97:98]
	v_cmp_neq_f64_e64 s[2:3], 0, v[99:100]
	s_or_b64 s[2:3], vcc, s[2:3]
	s_and_b64 exec, exec, s[2:3]
	s_cbranch_execz .LBB101_125
; %bb.120:
	v_cmp_ngt_f64_e64 s[2:3], |v[97:98]|, |v[99:100]|
                                        ; implicit-def: $vgpr101_vgpr102
	s_and_saveexec_b64 s[6:7], s[2:3]
	s_xor_b64 s[2:3], exec, s[6:7]
                                        ; implicit-def: $vgpr103_vgpr104
	s_cbranch_execz .LBB101_122
; %bb.121:
	v_div_scale_f64 v[101:102], s[6:7], v[99:100], v[99:100], v[97:98]
	v_rcp_f64_e32 v[103:104], v[101:102]
	v_fma_f64 v[105:106], -v[101:102], v[103:104], 1.0
	v_fma_f64 v[103:104], v[103:104], v[105:106], v[103:104]
	v_div_scale_f64 v[105:106], vcc, v[97:98], v[99:100], v[97:98]
	v_fma_f64 v[107:108], -v[101:102], v[103:104], 1.0
	v_fma_f64 v[103:104], v[103:104], v[107:108], v[103:104]
	v_mul_f64 v[107:108], v[105:106], v[103:104]
	v_fma_f64 v[101:102], -v[101:102], v[107:108], v[105:106]
	v_div_fmas_f64 v[101:102], v[101:102], v[103:104], v[107:108]
	v_div_fixup_f64 v[101:102], v[101:102], v[99:100], v[97:98]
	v_fma_f64 v[97:98], v[97:98], v[101:102], v[99:100]
	v_div_scale_f64 v[99:100], s[6:7], v[97:98], v[97:98], 1.0
	v_div_scale_f64 v[107:108], vcc, 1.0, v[97:98], 1.0
	v_rcp_f64_e32 v[103:104], v[99:100]
	v_fma_f64 v[105:106], -v[99:100], v[103:104], 1.0
	v_fma_f64 v[103:104], v[103:104], v[105:106], v[103:104]
	v_fma_f64 v[105:106], -v[99:100], v[103:104], 1.0
	v_fma_f64 v[103:104], v[103:104], v[105:106], v[103:104]
	v_mul_f64 v[105:106], v[107:108], v[103:104]
	v_fma_f64 v[99:100], -v[99:100], v[105:106], v[107:108]
	v_div_fmas_f64 v[99:100], v[99:100], v[103:104], v[105:106]
	v_div_fixup_f64 v[103:104], v[99:100], v[97:98], 1.0
                                        ; implicit-def: $vgpr97_vgpr98
	v_mul_f64 v[101:102], v[101:102], v[103:104]
	v_xor_b32_e32 v104, 0x80000000, v104
.LBB101_122:
	s_andn2_saveexec_b64 s[2:3], s[2:3]
	s_cbranch_execz .LBB101_124
; %bb.123:
	v_div_scale_f64 v[101:102], s[6:7], v[97:98], v[97:98], v[99:100]
	v_rcp_f64_e32 v[103:104], v[101:102]
	v_fma_f64 v[105:106], -v[101:102], v[103:104], 1.0
	v_fma_f64 v[103:104], v[103:104], v[105:106], v[103:104]
	v_div_scale_f64 v[105:106], vcc, v[99:100], v[97:98], v[99:100]
	v_fma_f64 v[107:108], -v[101:102], v[103:104], 1.0
	v_fma_f64 v[103:104], v[103:104], v[107:108], v[103:104]
	v_mul_f64 v[107:108], v[105:106], v[103:104]
	v_fma_f64 v[101:102], -v[101:102], v[107:108], v[105:106]
	v_div_fmas_f64 v[101:102], v[101:102], v[103:104], v[107:108]
	v_div_fixup_f64 v[103:104], v[101:102], v[97:98], v[99:100]
	v_fma_f64 v[97:98], v[99:100], v[103:104], v[97:98]
	v_div_scale_f64 v[99:100], s[6:7], v[97:98], v[97:98], 1.0
	v_div_scale_f64 v[107:108], vcc, 1.0, v[97:98], 1.0
	v_rcp_f64_e32 v[101:102], v[99:100]
	v_fma_f64 v[105:106], -v[99:100], v[101:102], 1.0
	v_fma_f64 v[101:102], v[101:102], v[105:106], v[101:102]
	v_fma_f64 v[105:106], -v[99:100], v[101:102], 1.0
	v_fma_f64 v[101:102], v[101:102], v[105:106], v[101:102]
	v_mul_f64 v[105:106], v[107:108], v[101:102]
	v_fma_f64 v[99:100], -v[99:100], v[105:106], v[107:108]
	v_div_fmas_f64 v[99:100], v[99:100], v[101:102], v[105:106]
	v_div_fixup_f64 v[101:102], v[99:100], v[97:98], 1.0
	v_mul_f64 v[103:104], v[103:104], -v[101:102]
.LBB101_124:
	s_or_b64 exec, exec, s[2:3]
	ds_write2_b64 v127, v[101:102], v[103:104] offset1:1
.LBB101_125:
	s_or_b64 exec, exec, s[4:5]
	s_waitcnt lgkmcnt(0)
	s_barrier
	ds_read2_b64 v[69:72], v127 offset1:1
	v_cmp_lt_u32_e32 vcc, 13, v0
	s_waitcnt lgkmcnt(0)
	buffer_store_dword v69, off, s[20:23], 0 offset:1056 ; 4-byte Folded Spill
	s_nop 0
	buffer_store_dword v70, off, s[20:23], 0 offset:1060 ; 4-byte Folded Spill
	buffer_store_dword v71, off, s[20:23], 0 offset:1064 ; 4-byte Folded Spill
	;; [unrolled: 1-line block ×3, first 2 shown]
	s_and_saveexec_b64 s[2:3], vcc
	s_cbranch_execz .LBB101_127
; %bb.126:
	buffer_load_dword v103, off, s[20:23], 0 offset:224 ; 4-byte Folded Reload
	buffer_load_dword v104, off, s[20:23], 0 offset:228 ; 4-byte Folded Reload
	;; [unrolled: 1-line block ×8, first 2 shown]
	s_waitcnt vmcnt(2)
	v_mul_f64 v[99:100], v[69:70], v[105:106]
	s_waitcnt vmcnt(0)
	v_mul_f64 v[97:98], v[71:72], v[105:106]
	v_fma_f64 v[105:106], v[71:72], v[103:104], v[99:100]
	ds_read2_b64 v[99:102], v125 offset0:28 offset1:29
	v_fma_f64 v[97:98], v[69:70], v[103:104], -v[97:98]
	buffer_load_dword v69, off, s[20:23], 0 offset:208 ; 4-byte Folded Reload
	buffer_load_dword v70, off, s[20:23], 0 offset:212 ; 4-byte Folded Reload
	buffer_load_dword v71, off, s[20:23], 0 offset:216 ; 4-byte Folded Reload
	buffer_load_dword v72, off, s[20:23], 0 offset:220 ; 4-byte Folded Reload
	s_waitcnt lgkmcnt(0)
	v_mul_f64 v[103:104], v[101:102], v[105:106]
	v_fma_f64 v[103:104], v[99:100], v[97:98], -v[103:104]
	v_mul_f64 v[99:100], v[99:100], v[105:106]
	v_fma_f64 v[99:100], v[101:102], v[97:98], v[99:100]
	s_waitcnt vmcnt(2)
	v_add_f64 v[69:70], v[69:70], -v[103:104]
	s_waitcnt vmcnt(0)
	v_add_f64 v[71:72], v[71:72], -v[99:100]
	buffer_store_dword v69, off, s[20:23], 0 offset:208 ; 4-byte Folded Spill
	s_nop 0
	buffer_store_dword v70, off, s[20:23], 0 offset:212 ; 4-byte Folded Spill
	buffer_store_dword v71, off, s[20:23], 0 offset:216 ; 4-byte Folded Spill
	buffer_store_dword v72, off, s[20:23], 0 offset:220 ; 4-byte Folded Spill
	ds_read2_b64 v[99:102], v125 offset0:30 offset1:31
	buffer_load_dword v69, off, s[20:23], 0 offset:192 ; 4-byte Folded Reload
	buffer_load_dword v70, off, s[20:23], 0 offset:196 ; 4-byte Folded Reload
	buffer_load_dword v71, off, s[20:23], 0 offset:200 ; 4-byte Folded Reload
	buffer_load_dword v72, off, s[20:23], 0 offset:204 ; 4-byte Folded Reload
	s_waitcnt lgkmcnt(0)
	v_mul_f64 v[103:104], v[101:102], v[105:106]
	v_fma_f64 v[103:104], v[99:100], v[97:98], -v[103:104]
	v_mul_f64 v[99:100], v[99:100], v[105:106]
	v_fma_f64 v[99:100], v[101:102], v[97:98], v[99:100]
	s_waitcnt vmcnt(2)
	v_add_f64 v[69:70], v[69:70], -v[103:104]
	s_waitcnt vmcnt(0)
	v_add_f64 v[71:72], v[71:72], -v[99:100]
	buffer_store_dword v69, off, s[20:23], 0 offset:192 ; 4-byte Folded Spill
	s_nop 0
	buffer_store_dword v70, off, s[20:23], 0 offset:196 ; 4-byte Folded Spill
	buffer_store_dword v71, off, s[20:23], 0 offset:200 ; 4-byte Folded Spill
	buffer_store_dword v72, off, s[20:23], 0 offset:204 ; 4-byte Folded Spill
	ds_read2_b64 v[99:102], v125 offset0:32 offset1:33
	;; [unrolled: 19-line block ×11, first 2 shown]
	v_mov_b32_e32 v69, v73
	v_mov_b32_e32 v70, v74
	;; [unrolled: 1-line block ×4, first 2 shown]
	s_waitcnt lgkmcnt(0)
	v_mul_f64 v[103:104], v[101:102], v[105:106]
	v_fma_f64 v[103:104], v[99:100], v[97:98], -v[103:104]
	v_mul_f64 v[99:100], v[99:100], v[105:106]
	v_add_f64 v[121:122], v[121:122], -v[103:104]
	v_fma_f64 v[99:100], v[101:102], v[97:98], v[99:100]
	v_add_f64 v[123:124], v[123:124], -v[99:100]
	ds_read2_b64 v[99:102], v125 offset0:52 offset1:53
	s_waitcnt lgkmcnt(0)
	v_mul_f64 v[103:104], v[101:102], v[105:106]
	v_fma_f64 v[103:104], v[99:100], v[97:98], -v[103:104]
	v_mul_f64 v[99:100], v[99:100], v[105:106]
	v_add_f64 v[117:118], v[117:118], -v[103:104]
	v_fma_f64 v[99:100], v[101:102], v[97:98], v[99:100]
	v_add_f64 v[119:120], v[119:120], -v[99:100]
	ds_read2_b64 v[99:102], v125 offset0:54 offset1:55
	;; [unrolled: 8-line block ×5, first 2 shown]
	buffer_load_dword v77, off, s[20:23], 0 offset:32 ; 4-byte Folded Reload
	buffer_load_dword v78, off, s[20:23], 0 offset:36 ; 4-byte Folded Reload
	;; [unrolled: 1-line block ×4, first 2 shown]
	s_waitcnt lgkmcnt(0)
	v_mul_f64 v[103:104], v[101:102], v[105:106]
	v_fma_f64 v[103:104], v[99:100], v[97:98], -v[103:104]
	v_mul_f64 v[99:100], v[99:100], v[105:106]
	v_fma_f64 v[99:100], v[101:102], v[97:98], v[99:100]
	s_waitcnt vmcnt(2)
	v_add_f64 v[77:78], v[77:78], -v[103:104]
	s_waitcnt vmcnt(0)
	v_add_f64 v[79:80], v[79:80], -v[99:100]
	buffer_store_dword v77, off, s[20:23], 0 offset:32 ; 4-byte Folded Spill
	s_nop 0
	buffer_store_dword v78, off, s[20:23], 0 offset:36 ; 4-byte Folded Spill
	buffer_store_dword v79, off, s[20:23], 0 offset:40 ; 4-byte Folded Spill
	;; [unrolled: 1-line block ×3, first 2 shown]
	ds_read2_b64 v[99:102], v125 offset0:62 offset1:63
	buffer_load_dword v73, off, s[20:23], 0 offset:16 ; 4-byte Folded Reload
	buffer_load_dword v74, off, s[20:23], 0 offset:20 ; 4-byte Folded Reload
	;; [unrolled: 1-line block ×4, first 2 shown]
	s_waitcnt lgkmcnt(0)
	v_mul_f64 v[103:104], v[101:102], v[105:106]
	v_fma_f64 v[103:104], v[99:100], v[97:98], -v[103:104]
	v_mul_f64 v[99:100], v[99:100], v[105:106]
	v_fma_f64 v[99:100], v[101:102], v[97:98], v[99:100]
	s_waitcnt vmcnt(2)
	v_add_f64 v[73:74], v[73:74], -v[103:104]
	s_waitcnt vmcnt(0)
	v_add_f64 v[75:76], v[75:76], -v[99:100]
	buffer_store_dword v73, off, s[20:23], 0 offset:16 ; 4-byte Folded Spill
	s_nop 0
	buffer_store_dword v74, off, s[20:23], 0 offset:20 ; 4-byte Folded Spill
	buffer_store_dword v75, off, s[20:23], 0 offset:24 ; 4-byte Folded Spill
	;; [unrolled: 1-line block ×3, first 2 shown]
	v_mov_b32_e32 v76, v72
	v_mov_b32_e32 v75, v71
	;; [unrolled: 1-line block ×4, first 2 shown]
	ds_read2_b64 v[99:102], v125 offset0:64 offset1:65
	buffer_load_dword v69, off, s[20:23], 0 ; 4-byte Folded Reload
	buffer_load_dword v70, off, s[20:23], 0 offset:4 ; 4-byte Folded Reload
	buffer_load_dword v71, off, s[20:23], 0 offset:8 ; 4-byte Folded Reload
	;; [unrolled: 1-line block ×3, first 2 shown]
	s_waitcnt lgkmcnt(0)
	v_mul_f64 v[103:104], v[101:102], v[105:106]
	v_fma_f64 v[103:104], v[99:100], v[97:98], -v[103:104]
	v_mul_f64 v[99:100], v[99:100], v[105:106]
	v_fma_f64 v[99:100], v[101:102], v[97:98], v[99:100]
	s_waitcnt vmcnt(2)
	v_add_f64 v[69:70], v[69:70], -v[103:104]
	s_waitcnt vmcnt(0)
	v_add_f64 v[71:72], v[71:72], -v[99:100]
	buffer_store_dword v69, off, s[20:23], 0 ; 4-byte Folded Spill
	s_nop 0
	buffer_store_dword v70, off, s[20:23], 0 offset:4 ; 4-byte Folded Spill
	buffer_store_dword v71, off, s[20:23], 0 offset:8 ; 4-byte Folded Spill
	buffer_store_dword v72, off, s[20:23], 0 offset:12 ; 4-byte Folded Spill
	ds_read2_b64 v[99:102], v125 offset0:66 offset1:67
	s_waitcnt lgkmcnt(0)
	v_mul_f64 v[103:104], v[101:102], v[105:106]
	v_fma_f64 v[103:104], v[99:100], v[97:98], -v[103:104]
	v_mul_f64 v[99:100], v[99:100], v[105:106]
	v_add_f64 v[65:66], v[65:66], -v[103:104]
	v_fma_f64 v[99:100], v[101:102], v[97:98], v[99:100]
	v_add_f64 v[67:68], v[67:68], -v[99:100]
	ds_read2_b64 v[99:102], v125 offset0:68 offset1:69
	s_waitcnt lgkmcnt(0)
	v_mul_f64 v[103:104], v[101:102], v[105:106]
	v_fma_f64 v[103:104], v[99:100], v[97:98], -v[103:104]
	v_mul_f64 v[99:100], v[99:100], v[105:106]
	v_add_f64 v[61:62], v[61:62], -v[103:104]
	v_fma_f64 v[99:100], v[101:102], v[97:98], v[99:100]
	v_add_f64 v[63:64], v[63:64], -v[99:100]
	;; [unrolled: 8-line block ×17, first 2 shown]
	ds_read2_b64 v[99:102], v125 offset0:100 offset1:101
	s_waitcnt lgkmcnt(0)
	v_mul_f64 v[103:104], v[101:102], v[105:106]
	v_fma_f64 v[103:104], v[99:100], v[97:98], -v[103:104]
	v_mul_f64 v[99:100], v[99:100], v[105:106]
	v_add_f64 v[73:74], v[73:74], -v[103:104]
	v_fma_f64 v[99:100], v[101:102], v[97:98], v[99:100]
	v_mov_b32_e32 v104, v98
	v_mov_b32_e32 v103, v97
	buffer_store_dword v103, off, s[20:23], 0 offset:224 ; 4-byte Folded Spill
	s_nop 0
	buffer_store_dword v104, off, s[20:23], 0 offset:228 ; 4-byte Folded Spill
	buffer_store_dword v105, off, s[20:23], 0 offset:232 ; 4-byte Folded Spill
	;; [unrolled: 1-line block ×3, first 2 shown]
	v_add_f64 v[75:76], v[75:76], -v[99:100]
.LBB101_127:
	s_or_b64 exec, exec, s[2:3]
	v_cmp_eq_u32_e32 vcc, 14, v0
	s_waitcnt vmcnt(0)
	s_barrier
	s_and_saveexec_b64 s[4:5], vcc
	s_cbranch_execz .LBB101_134
; %bb.128:
	buffer_load_dword v69, off, s[20:23], 0 offset:208 ; 4-byte Folded Reload
	buffer_load_dword v70, off, s[20:23], 0 offset:212 ; 4-byte Folded Reload
	;; [unrolled: 1-line block ×4, first 2 shown]
	s_waitcnt vmcnt(0)
	ds_write2_b64 v127, v[69:70], v[71:72] offset1:1
	buffer_load_dword v69, off, s[20:23], 0 offset:192 ; 4-byte Folded Reload
	buffer_load_dword v70, off, s[20:23], 0 offset:196 ; 4-byte Folded Reload
	buffer_load_dword v71, off, s[20:23], 0 offset:200 ; 4-byte Folded Reload
	buffer_load_dword v72, off, s[20:23], 0 offset:204 ; 4-byte Folded Reload
	s_waitcnt vmcnt(0)
	ds_write2_b64 v125, v[69:70], v[71:72] offset0:30 offset1:31
	buffer_load_dword v69, off, s[20:23], 0 offset:176 ; 4-byte Folded Reload
	buffer_load_dword v70, off, s[20:23], 0 offset:180 ; 4-byte Folded Reload
	buffer_load_dword v71, off, s[20:23], 0 offset:184 ; 4-byte Folded Reload
	buffer_load_dword v72, off, s[20:23], 0 offset:188 ; 4-byte Folded Reload
	s_waitcnt vmcnt(0)
	ds_write2_b64 v125, v[69:70], v[71:72] offset0:32 offset1:33
	;; [unrolled: 6-line block ×10, first 2 shown]
	ds_write2_b64 v125, v[121:122], v[123:124] offset0:50 offset1:51
	ds_write2_b64 v125, v[117:118], v[119:120] offset0:52 offset1:53
	;; [unrolled: 1-line block ×5, first 2 shown]
	buffer_load_dword v77, off, s[20:23], 0 offset:32 ; 4-byte Folded Reload
	buffer_load_dword v78, off, s[20:23], 0 offset:36 ; 4-byte Folded Reload
	;; [unrolled: 1-line block ×4, first 2 shown]
	v_mov_b32_e32 v69, v73
	v_mov_b32_e32 v70, v74
	;; [unrolled: 1-line block ×4, first 2 shown]
	s_waitcnt vmcnt(0)
	ds_write2_b64 v125, v[77:78], v[79:80] offset0:60 offset1:61
	buffer_load_dword v73, off, s[20:23], 0 offset:16 ; 4-byte Folded Reload
	buffer_load_dword v74, off, s[20:23], 0 offset:20 ; 4-byte Folded Reload
	;; [unrolled: 1-line block ×4, first 2 shown]
	s_waitcnt vmcnt(0)
	ds_write2_b64 v125, v[73:74], v[75:76] offset0:62 offset1:63
	v_mov_b32_e32 v76, v72
	v_mov_b32_e32 v75, v71
	;; [unrolled: 1-line block ×4, first 2 shown]
	buffer_load_dword v69, off, s[20:23], 0 ; 4-byte Folded Reload
	buffer_load_dword v70, off, s[20:23], 0 offset:4 ; 4-byte Folded Reload
	buffer_load_dword v71, off, s[20:23], 0 offset:8 ; 4-byte Folded Reload
	;; [unrolled: 1-line block ×3, first 2 shown]
	s_waitcnt vmcnt(0)
	ds_write2_b64 v125, v[69:70], v[71:72] offset0:64 offset1:65
	ds_write2_b64 v125, v[65:66], v[67:68] offset0:66 offset1:67
	;; [unrolled: 1-line block ×19, first 2 shown]
	ds_read2_b64 v[97:100], v127 offset1:1
	s_waitcnt lgkmcnt(0)
	v_cmp_neq_f64_e32 vcc, 0, v[97:98]
	v_cmp_neq_f64_e64 s[2:3], 0, v[99:100]
	s_or_b64 s[2:3], vcc, s[2:3]
	s_and_b64 exec, exec, s[2:3]
	s_cbranch_execz .LBB101_134
; %bb.129:
	v_cmp_ngt_f64_e64 s[2:3], |v[97:98]|, |v[99:100]|
                                        ; implicit-def: $vgpr101_vgpr102
	s_and_saveexec_b64 s[6:7], s[2:3]
	s_xor_b64 s[2:3], exec, s[6:7]
                                        ; implicit-def: $vgpr103_vgpr104
	s_cbranch_execz .LBB101_131
; %bb.130:
	v_div_scale_f64 v[101:102], s[6:7], v[99:100], v[99:100], v[97:98]
	v_rcp_f64_e32 v[103:104], v[101:102]
	v_fma_f64 v[105:106], -v[101:102], v[103:104], 1.0
	v_fma_f64 v[103:104], v[103:104], v[105:106], v[103:104]
	v_div_scale_f64 v[105:106], vcc, v[97:98], v[99:100], v[97:98]
	v_fma_f64 v[107:108], -v[101:102], v[103:104], 1.0
	v_fma_f64 v[103:104], v[103:104], v[107:108], v[103:104]
	v_mul_f64 v[107:108], v[105:106], v[103:104]
	v_fma_f64 v[101:102], -v[101:102], v[107:108], v[105:106]
	v_div_fmas_f64 v[101:102], v[101:102], v[103:104], v[107:108]
	v_div_fixup_f64 v[101:102], v[101:102], v[99:100], v[97:98]
	v_fma_f64 v[97:98], v[97:98], v[101:102], v[99:100]
	v_div_scale_f64 v[99:100], s[6:7], v[97:98], v[97:98], 1.0
	v_div_scale_f64 v[107:108], vcc, 1.0, v[97:98], 1.0
	v_rcp_f64_e32 v[103:104], v[99:100]
	v_fma_f64 v[105:106], -v[99:100], v[103:104], 1.0
	v_fma_f64 v[103:104], v[103:104], v[105:106], v[103:104]
	v_fma_f64 v[105:106], -v[99:100], v[103:104], 1.0
	v_fma_f64 v[103:104], v[103:104], v[105:106], v[103:104]
	v_mul_f64 v[105:106], v[107:108], v[103:104]
	v_fma_f64 v[99:100], -v[99:100], v[105:106], v[107:108]
	v_div_fmas_f64 v[99:100], v[99:100], v[103:104], v[105:106]
	v_div_fixup_f64 v[103:104], v[99:100], v[97:98], 1.0
                                        ; implicit-def: $vgpr97_vgpr98
	v_mul_f64 v[101:102], v[101:102], v[103:104]
	v_xor_b32_e32 v104, 0x80000000, v104
.LBB101_131:
	s_andn2_saveexec_b64 s[2:3], s[2:3]
	s_cbranch_execz .LBB101_133
; %bb.132:
	v_div_scale_f64 v[101:102], s[6:7], v[97:98], v[97:98], v[99:100]
	v_rcp_f64_e32 v[103:104], v[101:102]
	v_fma_f64 v[105:106], -v[101:102], v[103:104], 1.0
	v_fma_f64 v[103:104], v[103:104], v[105:106], v[103:104]
	v_div_scale_f64 v[105:106], vcc, v[99:100], v[97:98], v[99:100]
	v_fma_f64 v[107:108], -v[101:102], v[103:104], 1.0
	v_fma_f64 v[103:104], v[103:104], v[107:108], v[103:104]
	v_mul_f64 v[107:108], v[105:106], v[103:104]
	v_fma_f64 v[101:102], -v[101:102], v[107:108], v[105:106]
	v_div_fmas_f64 v[101:102], v[101:102], v[103:104], v[107:108]
	v_div_fixup_f64 v[103:104], v[101:102], v[97:98], v[99:100]
	v_fma_f64 v[97:98], v[99:100], v[103:104], v[97:98]
	v_div_scale_f64 v[99:100], s[6:7], v[97:98], v[97:98], 1.0
	v_div_scale_f64 v[107:108], vcc, 1.0, v[97:98], 1.0
	v_rcp_f64_e32 v[101:102], v[99:100]
	v_fma_f64 v[105:106], -v[99:100], v[101:102], 1.0
	v_fma_f64 v[101:102], v[101:102], v[105:106], v[101:102]
	v_fma_f64 v[105:106], -v[99:100], v[101:102], 1.0
	v_fma_f64 v[101:102], v[101:102], v[105:106], v[101:102]
	v_mul_f64 v[105:106], v[107:108], v[101:102]
	v_fma_f64 v[99:100], -v[99:100], v[105:106], v[107:108]
	v_div_fmas_f64 v[99:100], v[99:100], v[101:102], v[105:106]
	v_div_fixup_f64 v[101:102], v[99:100], v[97:98], 1.0
	v_mul_f64 v[103:104], v[103:104], -v[101:102]
.LBB101_133:
	s_or_b64 exec, exec, s[2:3]
	ds_write2_b64 v127, v[101:102], v[103:104] offset1:1
.LBB101_134:
	s_or_b64 exec, exec, s[4:5]
	s_waitcnt lgkmcnt(0)
	s_barrier
	ds_read2_b64 v[69:72], v127 offset1:1
	v_cmp_lt_u32_e32 vcc, 14, v0
	s_waitcnt lgkmcnt(0)
	buffer_store_dword v69, off, s[20:23], 0 offset:1072 ; 4-byte Folded Spill
	s_nop 0
	buffer_store_dword v70, off, s[20:23], 0 offset:1076 ; 4-byte Folded Spill
	buffer_store_dword v71, off, s[20:23], 0 offset:1080 ; 4-byte Folded Spill
	;; [unrolled: 1-line block ×3, first 2 shown]
	s_and_saveexec_b64 s[2:3], vcc
	s_cbranch_execz .LBB101_136
; %bb.135:
	buffer_load_dword v103, off, s[20:23], 0 offset:208 ; 4-byte Folded Reload
	buffer_load_dword v104, off, s[20:23], 0 offset:212 ; 4-byte Folded Reload
	;; [unrolled: 1-line block ×8, first 2 shown]
	s_waitcnt vmcnt(2)
	v_mul_f64 v[99:100], v[69:70], v[105:106]
	s_waitcnt vmcnt(0)
	v_mul_f64 v[97:98], v[71:72], v[105:106]
	v_fma_f64 v[105:106], v[71:72], v[103:104], v[99:100]
	ds_read2_b64 v[99:102], v125 offset0:30 offset1:31
	v_fma_f64 v[97:98], v[69:70], v[103:104], -v[97:98]
	buffer_load_dword v69, off, s[20:23], 0 offset:192 ; 4-byte Folded Reload
	buffer_load_dword v70, off, s[20:23], 0 offset:196 ; 4-byte Folded Reload
	buffer_load_dword v71, off, s[20:23], 0 offset:200 ; 4-byte Folded Reload
	buffer_load_dword v72, off, s[20:23], 0 offset:204 ; 4-byte Folded Reload
	s_waitcnt lgkmcnt(0)
	v_mul_f64 v[103:104], v[101:102], v[105:106]
	v_fma_f64 v[103:104], v[99:100], v[97:98], -v[103:104]
	v_mul_f64 v[99:100], v[99:100], v[105:106]
	v_fma_f64 v[99:100], v[101:102], v[97:98], v[99:100]
	s_waitcnt vmcnt(2)
	v_add_f64 v[69:70], v[69:70], -v[103:104]
	s_waitcnt vmcnt(0)
	v_add_f64 v[71:72], v[71:72], -v[99:100]
	buffer_store_dword v69, off, s[20:23], 0 offset:192 ; 4-byte Folded Spill
	s_nop 0
	buffer_store_dword v70, off, s[20:23], 0 offset:196 ; 4-byte Folded Spill
	buffer_store_dword v71, off, s[20:23], 0 offset:200 ; 4-byte Folded Spill
	buffer_store_dword v72, off, s[20:23], 0 offset:204 ; 4-byte Folded Spill
	ds_read2_b64 v[99:102], v125 offset0:32 offset1:33
	buffer_load_dword v69, off, s[20:23], 0 offset:176 ; 4-byte Folded Reload
	buffer_load_dword v70, off, s[20:23], 0 offset:180 ; 4-byte Folded Reload
	buffer_load_dword v71, off, s[20:23], 0 offset:184 ; 4-byte Folded Reload
	buffer_load_dword v72, off, s[20:23], 0 offset:188 ; 4-byte Folded Reload
	s_waitcnt lgkmcnt(0)
	v_mul_f64 v[103:104], v[101:102], v[105:106]
	v_fma_f64 v[103:104], v[99:100], v[97:98], -v[103:104]
	v_mul_f64 v[99:100], v[99:100], v[105:106]
	v_fma_f64 v[99:100], v[101:102], v[97:98], v[99:100]
	s_waitcnt vmcnt(2)
	v_add_f64 v[69:70], v[69:70], -v[103:104]
	s_waitcnt vmcnt(0)
	v_add_f64 v[71:72], v[71:72], -v[99:100]
	buffer_store_dword v69, off, s[20:23], 0 offset:176 ; 4-byte Folded Spill
	s_nop 0
	buffer_store_dword v70, off, s[20:23], 0 offset:180 ; 4-byte Folded Spill
	buffer_store_dword v71, off, s[20:23], 0 offset:184 ; 4-byte Folded Spill
	buffer_store_dword v72, off, s[20:23], 0 offset:188 ; 4-byte Folded Spill
	ds_read2_b64 v[99:102], v125 offset0:34 offset1:35
	;; [unrolled: 19-line block ×10, first 2 shown]
	v_mov_b32_e32 v69, v73
	v_mov_b32_e32 v70, v74
	;; [unrolled: 1-line block ×4, first 2 shown]
	s_waitcnt lgkmcnt(0)
	v_mul_f64 v[103:104], v[101:102], v[105:106]
	v_fma_f64 v[103:104], v[99:100], v[97:98], -v[103:104]
	v_mul_f64 v[99:100], v[99:100], v[105:106]
	v_add_f64 v[121:122], v[121:122], -v[103:104]
	v_fma_f64 v[99:100], v[101:102], v[97:98], v[99:100]
	v_add_f64 v[123:124], v[123:124], -v[99:100]
	ds_read2_b64 v[99:102], v125 offset0:52 offset1:53
	s_waitcnt lgkmcnt(0)
	v_mul_f64 v[103:104], v[101:102], v[105:106]
	v_fma_f64 v[103:104], v[99:100], v[97:98], -v[103:104]
	v_mul_f64 v[99:100], v[99:100], v[105:106]
	v_add_f64 v[117:118], v[117:118], -v[103:104]
	v_fma_f64 v[99:100], v[101:102], v[97:98], v[99:100]
	v_add_f64 v[119:120], v[119:120], -v[99:100]
	ds_read2_b64 v[99:102], v125 offset0:54 offset1:55
	s_waitcnt lgkmcnt(0)
	v_mul_f64 v[103:104], v[101:102], v[105:106]
	v_fma_f64 v[103:104], v[99:100], v[97:98], -v[103:104]
	v_mul_f64 v[99:100], v[99:100], v[105:106]
	v_add_f64 v[109:110], v[109:110], -v[103:104]
	v_fma_f64 v[99:100], v[101:102], v[97:98], v[99:100]
	v_add_f64 v[111:112], v[111:112], -v[99:100]
	ds_read2_b64 v[99:102], v125 offset0:56 offset1:57
	s_waitcnt lgkmcnt(0)
	v_mul_f64 v[103:104], v[101:102], v[105:106]
	v_fma_f64 v[103:104], v[99:100], v[97:98], -v[103:104]
	v_mul_f64 v[99:100], v[99:100], v[105:106]
	v_add_f64 v[113:114], v[113:114], -v[103:104]
	v_fma_f64 v[99:100], v[101:102], v[97:98], v[99:100]
	v_add_f64 v[115:116], v[115:116], -v[99:100]
	ds_read2_b64 v[99:102], v125 offset0:58 offset1:59
	s_waitcnt lgkmcnt(0)
	v_mul_f64 v[103:104], v[101:102], v[105:106]
	v_fma_f64 v[103:104], v[99:100], v[97:98], -v[103:104]
	v_mul_f64 v[99:100], v[99:100], v[105:106]
	v_add_f64 v[93:94], v[93:94], -v[103:104]
	v_fma_f64 v[99:100], v[101:102], v[97:98], v[99:100]
	v_add_f64 v[95:96], v[95:96], -v[99:100]
	ds_read2_b64 v[99:102], v125 offset0:60 offset1:61
	buffer_load_dword v77, off, s[20:23], 0 offset:32 ; 4-byte Folded Reload
	buffer_load_dword v78, off, s[20:23], 0 offset:36 ; 4-byte Folded Reload
	;; [unrolled: 1-line block ×4, first 2 shown]
	s_waitcnt lgkmcnt(0)
	v_mul_f64 v[103:104], v[101:102], v[105:106]
	v_fma_f64 v[103:104], v[99:100], v[97:98], -v[103:104]
	v_mul_f64 v[99:100], v[99:100], v[105:106]
	v_fma_f64 v[99:100], v[101:102], v[97:98], v[99:100]
	s_waitcnt vmcnt(2)
	v_add_f64 v[77:78], v[77:78], -v[103:104]
	s_waitcnt vmcnt(0)
	v_add_f64 v[79:80], v[79:80], -v[99:100]
	buffer_store_dword v77, off, s[20:23], 0 offset:32 ; 4-byte Folded Spill
	s_nop 0
	buffer_store_dword v78, off, s[20:23], 0 offset:36 ; 4-byte Folded Spill
	buffer_store_dword v79, off, s[20:23], 0 offset:40 ; 4-byte Folded Spill
	;; [unrolled: 1-line block ×3, first 2 shown]
	ds_read2_b64 v[99:102], v125 offset0:62 offset1:63
	buffer_load_dword v73, off, s[20:23], 0 offset:16 ; 4-byte Folded Reload
	buffer_load_dword v74, off, s[20:23], 0 offset:20 ; 4-byte Folded Reload
	;; [unrolled: 1-line block ×4, first 2 shown]
	s_waitcnt lgkmcnt(0)
	v_mul_f64 v[103:104], v[101:102], v[105:106]
	v_fma_f64 v[103:104], v[99:100], v[97:98], -v[103:104]
	v_mul_f64 v[99:100], v[99:100], v[105:106]
	v_fma_f64 v[99:100], v[101:102], v[97:98], v[99:100]
	s_waitcnt vmcnt(2)
	v_add_f64 v[73:74], v[73:74], -v[103:104]
	s_waitcnt vmcnt(0)
	v_add_f64 v[75:76], v[75:76], -v[99:100]
	buffer_store_dword v73, off, s[20:23], 0 offset:16 ; 4-byte Folded Spill
	s_nop 0
	buffer_store_dword v74, off, s[20:23], 0 offset:20 ; 4-byte Folded Spill
	buffer_store_dword v75, off, s[20:23], 0 offset:24 ; 4-byte Folded Spill
	;; [unrolled: 1-line block ×3, first 2 shown]
	v_mov_b32_e32 v76, v72
	v_mov_b32_e32 v75, v71
	;; [unrolled: 1-line block ×4, first 2 shown]
	ds_read2_b64 v[99:102], v125 offset0:64 offset1:65
	buffer_load_dword v69, off, s[20:23], 0 ; 4-byte Folded Reload
	buffer_load_dword v70, off, s[20:23], 0 offset:4 ; 4-byte Folded Reload
	buffer_load_dword v71, off, s[20:23], 0 offset:8 ; 4-byte Folded Reload
	buffer_load_dword v72, off, s[20:23], 0 offset:12 ; 4-byte Folded Reload
	s_waitcnt lgkmcnt(0)
	v_mul_f64 v[103:104], v[101:102], v[105:106]
	v_fma_f64 v[103:104], v[99:100], v[97:98], -v[103:104]
	v_mul_f64 v[99:100], v[99:100], v[105:106]
	v_fma_f64 v[99:100], v[101:102], v[97:98], v[99:100]
	s_waitcnt vmcnt(2)
	v_add_f64 v[69:70], v[69:70], -v[103:104]
	s_waitcnt vmcnt(0)
	v_add_f64 v[71:72], v[71:72], -v[99:100]
	buffer_store_dword v69, off, s[20:23], 0 ; 4-byte Folded Spill
	s_nop 0
	buffer_store_dword v70, off, s[20:23], 0 offset:4 ; 4-byte Folded Spill
	buffer_store_dword v71, off, s[20:23], 0 offset:8 ; 4-byte Folded Spill
	;; [unrolled: 1-line block ×3, first 2 shown]
	ds_read2_b64 v[99:102], v125 offset0:66 offset1:67
	s_waitcnt lgkmcnt(0)
	v_mul_f64 v[103:104], v[101:102], v[105:106]
	v_fma_f64 v[103:104], v[99:100], v[97:98], -v[103:104]
	v_mul_f64 v[99:100], v[99:100], v[105:106]
	v_add_f64 v[65:66], v[65:66], -v[103:104]
	v_fma_f64 v[99:100], v[101:102], v[97:98], v[99:100]
	v_add_f64 v[67:68], v[67:68], -v[99:100]
	ds_read2_b64 v[99:102], v125 offset0:68 offset1:69
	s_waitcnt lgkmcnt(0)
	v_mul_f64 v[103:104], v[101:102], v[105:106]
	v_fma_f64 v[103:104], v[99:100], v[97:98], -v[103:104]
	v_mul_f64 v[99:100], v[99:100], v[105:106]
	v_add_f64 v[61:62], v[61:62], -v[103:104]
	v_fma_f64 v[99:100], v[101:102], v[97:98], v[99:100]
	v_add_f64 v[63:64], v[63:64], -v[99:100]
	;; [unrolled: 8-line block ×17, first 2 shown]
	ds_read2_b64 v[99:102], v125 offset0:100 offset1:101
	s_waitcnt lgkmcnt(0)
	v_mul_f64 v[103:104], v[101:102], v[105:106]
	v_fma_f64 v[103:104], v[99:100], v[97:98], -v[103:104]
	v_mul_f64 v[99:100], v[99:100], v[105:106]
	v_add_f64 v[73:74], v[73:74], -v[103:104]
	v_fma_f64 v[99:100], v[101:102], v[97:98], v[99:100]
	v_mov_b32_e32 v104, v98
	v_mov_b32_e32 v103, v97
	buffer_store_dword v103, off, s[20:23], 0 offset:208 ; 4-byte Folded Spill
	s_nop 0
	buffer_store_dword v104, off, s[20:23], 0 offset:212 ; 4-byte Folded Spill
	buffer_store_dword v105, off, s[20:23], 0 offset:216 ; 4-byte Folded Spill
	;; [unrolled: 1-line block ×3, first 2 shown]
	v_add_f64 v[75:76], v[75:76], -v[99:100]
.LBB101_136:
	s_or_b64 exec, exec, s[2:3]
	v_cmp_eq_u32_e32 vcc, 15, v0
	s_waitcnt vmcnt(0)
	s_barrier
	s_and_saveexec_b64 s[4:5], vcc
	s_cbranch_execz .LBB101_143
; %bb.137:
	buffer_load_dword v69, off, s[20:23], 0 offset:192 ; 4-byte Folded Reload
	buffer_load_dword v70, off, s[20:23], 0 offset:196 ; 4-byte Folded Reload
	;; [unrolled: 1-line block ×4, first 2 shown]
	s_waitcnt vmcnt(0)
	ds_write2_b64 v127, v[69:70], v[71:72] offset1:1
	buffer_load_dword v69, off, s[20:23], 0 offset:176 ; 4-byte Folded Reload
	buffer_load_dword v70, off, s[20:23], 0 offset:180 ; 4-byte Folded Reload
	buffer_load_dword v71, off, s[20:23], 0 offset:184 ; 4-byte Folded Reload
	buffer_load_dword v72, off, s[20:23], 0 offset:188 ; 4-byte Folded Reload
	s_waitcnt vmcnt(0)
	ds_write2_b64 v125, v[69:70], v[71:72] offset0:32 offset1:33
	buffer_load_dword v69, off, s[20:23], 0 offset:160 ; 4-byte Folded Reload
	buffer_load_dword v70, off, s[20:23], 0 offset:164 ; 4-byte Folded Reload
	buffer_load_dword v71, off, s[20:23], 0 offset:168 ; 4-byte Folded Reload
	buffer_load_dword v72, off, s[20:23], 0 offset:172 ; 4-byte Folded Reload
	s_waitcnt vmcnt(0)
	ds_write2_b64 v125, v[69:70], v[71:72] offset0:34 offset1:35
	;; [unrolled: 6-line block ×9, first 2 shown]
	ds_write2_b64 v125, v[121:122], v[123:124] offset0:50 offset1:51
	ds_write2_b64 v125, v[117:118], v[119:120] offset0:52 offset1:53
	;; [unrolled: 1-line block ×5, first 2 shown]
	buffer_load_dword v77, off, s[20:23], 0 offset:32 ; 4-byte Folded Reload
	buffer_load_dword v78, off, s[20:23], 0 offset:36 ; 4-byte Folded Reload
	;; [unrolled: 1-line block ×4, first 2 shown]
	v_mov_b32_e32 v69, v73
	v_mov_b32_e32 v70, v74
	;; [unrolled: 1-line block ×4, first 2 shown]
	s_waitcnt vmcnt(0)
	ds_write2_b64 v125, v[77:78], v[79:80] offset0:60 offset1:61
	buffer_load_dword v73, off, s[20:23], 0 offset:16 ; 4-byte Folded Reload
	buffer_load_dword v74, off, s[20:23], 0 offset:20 ; 4-byte Folded Reload
	;; [unrolled: 1-line block ×4, first 2 shown]
	s_waitcnt vmcnt(0)
	ds_write2_b64 v125, v[73:74], v[75:76] offset0:62 offset1:63
	v_mov_b32_e32 v76, v72
	v_mov_b32_e32 v75, v71
	;; [unrolled: 1-line block ×4, first 2 shown]
	buffer_load_dword v69, off, s[20:23], 0 ; 4-byte Folded Reload
	buffer_load_dword v70, off, s[20:23], 0 offset:4 ; 4-byte Folded Reload
	buffer_load_dword v71, off, s[20:23], 0 offset:8 ; 4-byte Folded Reload
	;; [unrolled: 1-line block ×3, first 2 shown]
	s_waitcnt vmcnt(0)
	ds_write2_b64 v125, v[69:70], v[71:72] offset0:64 offset1:65
	ds_write2_b64 v125, v[65:66], v[67:68] offset0:66 offset1:67
	;; [unrolled: 1-line block ×19, first 2 shown]
	ds_read2_b64 v[97:100], v127 offset1:1
	s_waitcnt lgkmcnt(0)
	v_cmp_neq_f64_e32 vcc, 0, v[97:98]
	v_cmp_neq_f64_e64 s[2:3], 0, v[99:100]
	s_or_b64 s[2:3], vcc, s[2:3]
	s_and_b64 exec, exec, s[2:3]
	s_cbranch_execz .LBB101_143
; %bb.138:
	v_cmp_ngt_f64_e64 s[2:3], |v[97:98]|, |v[99:100]|
                                        ; implicit-def: $vgpr101_vgpr102
	s_and_saveexec_b64 s[6:7], s[2:3]
	s_xor_b64 s[2:3], exec, s[6:7]
                                        ; implicit-def: $vgpr103_vgpr104
	s_cbranch_execz .LBB101_140
; %bb.139:
	v_div_scale_f64 v[101:102], s[6:7], v[99:100], v[99:100], v[97:98]
	v_rcp_f64_e32 v[103:104], v[101:102]
	v_fma_f64 v[105:106], -v[101:102], v[103:104], 1.0
	v_fma_f64 v[103:104], v[103:104], v[105:106], v[103:104]
	v_div_scale_f64 v[105:106], vcc, v[97:98], v[99:100], v[97:98]
	v_fma_f64 v[107:108], -v[101:102], v[103:104], 1.0
	v_fma_f64 v[103:104], v[103:104], v[107:108], v[103:104]
	v_mul_f64 v[107:108], v[105:106], v[103:104]
	v_fma_f64 v[101:102], -v[101:102], v[107:108], v[105:106]
	v_div_fmas_f64 v[101:102], v[101:102], v[103:104], v[107:108]
	v_div_fixup_f64 v[101:102], v[101:102], v[99:100], v[97:98]
	v_fma_f64 v[97:98], v[97:98], v[101:102], v[99:100]
	v_div_scale_f64 v[99:100], s[6:7], v[97:98], v[97:98], 1.0
	v_div_scale_f64 v[107:108], vcc, 1.0, v[97:98], 1.0
	v_rcp_f64_e32 v[103:104], v[99:100]
	v_fma_f64 v[105:106], -v[99:100], v[103:104], 1.0
	v_fma_f64 v[103:104], v[103:104], v[105:106], v[103:104]
	v_fma_f64 v[105:106], -v[99:100], v[103:104], 1.0
	v_fma_f64 v[103:104], v[103:104], v[105:106], v[103:104]
	v_mul_f64 v[105:106], v[107:108], v[103:104]
	v_fma_f64 v[99:100], -v[99:100], v[105:106], v[107:108]
	v_div_fmas_f64 v[99:100], v[99:100], v[103:104], v[105:106]
	v_div_fixup_f64 v[103:104], v[99:100], v[97:98], 1.0
                                        ; implicit-def: $vgpr97_vgpr98
	v_mul_f64 v[101:102], v[101:102], v[103:104]
	v_xor_b32_e32 v104, 0x80000000, v104
.LBB101_140:
	s_andn2_saveexec_b64 s[2:3], s[2:3]
	s_cbranch_execz .LBB101_142
; %bb.141:
	v_div_scale_f64 v[101:102], s[6:7], v[97:98], v[97:98], v[99:100]
	v_rcp_f64_e32 v[103:104], v[101:102]
	v_fma_f64 v[105:106], -v[101:102], v[103:104], 1.0
	v_fma_f64 v[103:104], v[103:104], v[105:106], v[103:104]
	v_div_scale_f64 v[105:106], vcc, v[99:100], v[97:98], v[99:100]
	v_fma_f64 v[107:108], -v[101:102], v[103:104], 1.0
	v_fma_f64 v[103:104], v[103:104], v[107:108], v[103:104]
	v_mul_f64 v[107:108], v[105:106], v[103:104]
	v_fma_f64 v[101:102], -v[101:102], v[107:108], v[105:106]
	v_div_fmas_f64 v[101:102], v[101:102], v[103:104], v[107:108]
	v_div_fixup_f64 v[103:104], v[101:102], v[97:98], v[99:100]
	v_fma_f64 v[97:98], v[99:100], v[103:104], v[97:98]
	v_div_scale_f64 v[99:100], s[6:7], v[97:98], v[97:98], 1.0
	v_div_scale_f64 v[107:108], vcc, 1.0, v[97:98], 1.0
	v_rcp_f64_e32 v[101:102], v[99:100]
	v_fma_f64 v[105:106], -v[99:100], v[101:102], 1.0
	v_fma_f64 v[101:102], v[101:102], v[105:106], v[101:102]
	v_fma_f64 v[105:106], -v[99:100], v[101:102], 1.0
	v_fma_f64 v[101:102], v[101:102], v[105:106], v[101:102]
	v_mul_f64 v[105:106], v[107:108], v[101:102]
	v_fma_f64 v[99:100], -v[99:100], v[105:106], v[107:108]
	v_div_fmas_f64 v[99:100], v[99:100], v[101:102], v[105:106]
	v_div_fixup_f64 v[101:102], v[99:100], v[97:98], 1.0
	v_mul_f64 v[103:104], v[103:104], -v[101:102]
.LBB101_142:
	s_or_b64 exec, exec, s[2:3]
	ds_write2_b64 v127, v[101:102], v[103:104] offset1:1
.LBB101_143:
	s_or_b64 exec, exec, s[4:5]
	s_waitcnt lgkmcnt(0)
	s_barrier
	ds_read2_b64 v[69:72], v127 offset1:1
	v_cmp_lt_u32_e32 vcc, 15, v0
	s_waitcnt lgkmcnt(0)
	buffer_store_dword v69, off, s[20:23], 0 offset:1088 ; 4-byte Folded Spill
	s_nop 0
	buffer_store_dword v70, off, s[20:23], 0 offset:1092 ; 4-byte Folded Spill
	buffer_store_dword v71, off, s[20:23], 0 offset:1096 ; 4-byte Folded Spill
	;; [unrolled: 1-line block ×3, first 2 shown]
	s_and_saveexec_b64 s[2:3], vcc
	s_cbranch_execz .LBB101_145
; %bb.144:
	buffer_load_dword v103, off, s[20:23], 0 offset:192 ; 4-byte Folded Reload
	buffer_load_dword v104, off, s[20:23], 0 offset:196 ; 4-byte Folded Reload
	;; [unrolled: 1-line block ×8, first 2 shown]
	s_waitcnt vmcnt(2)
	v_mul_f64 v[99:100], v[69:70], v[105:106]
	s_waitcnt vmcnt(0)
	v_mul_f64 v[97:98], v[71:72], v[105:106]
	v_fma_f64 v[105:106], v[71:72], v[103:104], v[99:100]
	ds_read2_b64 v[99:102], v125 offset0:32 offset1:33
	v_fma_f64 v[97:98], v[69:70], v[103:104], -v[97:98]
	buffer_load_dword v69, off, s[20:23], 0 offset:176 ; 4-byte Folded Reload
	buffer_load_dword v70, off, s[20:23], 0 offset:180 ; 4-byte Folded Reload
	buffer_load_dword v71, off, s[20:23], 0 offset:184 ; 4-byte Folded Reload
	buffer_load_dword v72, off, s[20:23], 0 offset:188 ; 4-byte Folded Reload
	s_waitcnt lgkmcnt(0)
	v_mul_f64 v[103:104], v[101:102], v[105:106]
	v_fma_f64 v[103:104], v[99:100], v[97:98], -v[103:104]
	v_mul_f64 v[99:100], v[99:100], v[105:106]
	v_fma_f64 v[99:100], v[101:102], v[97:98], v[99:100]
	s_waitcnt vmcnt(2)
	v_add_f64 v[69:70], v[69:70], -v[103:104]
	s_waitcnt vmcnt(0)
	v_add_f64 v[71:72], v[71:72], -v[99:100]
	buffer_store_dword v69, off, s[20:23], 0 offset:176 ; 4-byte Folded Spill
	s_nop 0
	buffer_store_dword v70, off, s[20:23], 0 offset:180 ; 4-byte Folded Spill
	buffer_store_dword v71, off, s[20:23], 0 offset:184 ; 4-byte Folded Spill
	buffer_store_dword v72, off, s[20:23], 0 offset:188 ; 4-byte Folded Spill
	ds_read2_b64 v[99:102], v125 offset0:34 offset1:35
	buffer_load_dword v69, off, s[20:23], 0 offset:160 ; 4-byte Folded Reload
	buffer_load_dword v70, off, s[20:23], 0 offset:164 ; 4-byte Folded Reload
	buffer_load_dword v71, off, s[20:23], 0 offset:168 ; 4-byte Folded Reload
	buffer_load_dword v72, off, s[20:23], 0 offset:172 ; 4-byte Folded Reload
	s_waitcnt lgkmcnt(0)
	v_mul_f64 v[103:104], v[101:102], v[105:106]
	v_fma_f64 v[103:104], v[99:100], v[97:98], -v[103:104]
	v_mul_f64 v[99:100], v[99:100], v[105:106]
	v_fma_f64 v[99:100], v[101:102], v[97:98], v[99:100]
	s_waitcnt vmcnt(2)
	v_add_f64 v[69:70], v[69:70], -v[103:104]
	s_waitcnt vmcnt(0)
	v_add_f64 v[71:72], v[71:72], -v[99:100]
	buffer_store_dword v69, off, s[20:23], 0 offset:160 ; 4-byte Folded Spill
	s_nop 0
	buffer_store_dword v70, off, s[20:23], 0 offset:164 ; 4-byte Folded Spill
	buffer_store_dword v71, off, s[20:23], 0 offset:168 ; 4-byte Folded Spill
	buffer_store_dword v72, off, s[20:23], 0 offset:172 ; 4-byte Folded Spill
	ds_read2_b64 v[99:102], v125 offset0:36 offset1:37
	;; [unrolled: 19-line block ×9, first 2 shown]
	v_mov_b32_e32 v69, v73
	v_mov_b32_e32 v70, v74
	;; [unrolled: 1-line block ×4, first 2 shown]
	s_waitcnt lgkmcnt(0)
	v_mul_f64 v[103:104], v[101:102], v[105:106]
	v_fma_f64 v[103:104], v[99:100], v[97:98], -v[103:104]
	v_mul_f64 v[99:100], v[99:100], v[105:106]
	v_add_f64 v[121:122], v[121:122], -v[103:104]
	v_fma_f64 v[99:100], v[101:102], v[97:98], v[99:100]
	v_add_f64 v[123:124], v[123:124], -v[99:100]
	ds_read2_b64 v[99:102], v125 offset0:52 offset1:53
	s_waitcnt lgkmcnt(0)
	v_mul_f64 v[103:104], v[101:102], v[105:106]
	v_fma_f64 v[103:104], v[99:100], v[97:98], -v[103:104]
	v_mul_f64 v[99:100], v[99:100], v[105:106]
	v_add_f64 v[117:118], v[117:118], -v[103:104]
	v_fma_f64 v[99:100], v[101:102], v[97:98], v[99:100]
	v_add_f64 v[119:120], v[119:120], -v[99:100]
	ds_read2_b64 v[99:102], v125 offset0:54 offset1:55
	;; [unrolled: 8-line block ×5, first 2 shown]
	buffer_load_dword v77, off, s[20:23], 0 offset:32 ; 4-byte Folded Reload
	buffer_load_dword v78, off, s[20:23], 0 offset:36 ; 4-byte Folded Reload
	buffer_load_dword v79, off, s[20:23], 0 offset:40 ; 4-byte Folded Reload
	buffer_load_dword v80, off, s[20:23], 0 offset:44 ; 4-byte Folded Reload
	s_waitcnt lgkmcnt(0)
	v_mul_f64 v[103:104], v[101:102], v[105:106]
	v_fma_f64 v[103:104], v[99:100], v[97:98], -v[103:104]
	v_mul_f64 v[99:100], v[99:100], v[105:106]
	v_fma_f64 v[99:100], v[101:102], v[97:98], v[99:100]
	s_waitcnt vmcnt(2)
	v_add_f64 v[77:78], v[77:78], -v[103:104]
	s_waitcnt vmcnt(0)
	v_add_f64 v[79:80], v[79:80], -v[99:100]
	buffer_store_dword v77, off, s[20:23], 0 offset:32 ; 4-byte Folded Spill
	s_nop 0
	buffer_store_dword v78, off, s[20:23], 0 offset:36 ; 4-byte Folded Spill
	buffer_store_dword v79, off, s[20:23], 0 offset:40 ; 4-byte Folded Spill
	;; [unrolled: 1-line block ×3, first 2 shown]
	ds_read2_b64 v[99:102], v125 offset0:62 offset1:63
	buffer_load_dword v73, off, s[20:23], 0 offset:16 ; 4-byte Folded Reload
	buffer_load_dword v74, off, s[20:23], 0 offset:20 ; 4-byte Folded Reload
	;; [unrolled: 1-line block ×4, first 2 shown]
	s_waitcnt lgkmcnt(0)
	v_mul_f64 v[103:104], v[101:102], v[105:106]
	v_fma_f64 v[103:104], v[99:100], v[97:98], -v[103:104]
	v_mul_f64 v[99:100], v[99:100], v[105:106]
	v_fma_f64 v[99:100], v[101:102], v[97:98], v[99:100]
	s_waitcnt vmcnt(2)
	v_add_f64 v[73:74], v[73:74], -v[103:104]
	s_waitcnt vmcnt(0)
	v_add_f64 v[75:76], v[75:76], -v[99:100]
	buffer_store_dword v73, off, s[20:23], 0 offset:16 ; 4-byte Folded Spill
	s_nop 0
	buffer_store_dword v74, off, s[20:23], 0 offset:20 ; 4-byte Folded Spill
	buffer_store_dword v75, off, s[20:23], 0 offset:24 ; 4-byte Folded Spill
	;; [unrolled: 1-line block ×3, first 2 shown]
	v_mov_b32_e32 v76, v72
	v_mov_b32_e32 v75, v71
	;; [unrolled: 1-line block ×4, first 2 shown]
	ds_read2_b64 v[99:102], v125 offset0:64 offset1:65
	buffer_load_dword v69, off, s[20:23], 0 ; 4-byte Folded Reload
	buffer_load_dword v70, off, s[20:23], 0 offset:4 ; 4-byte Folded Reload
	buffer_load_dword v71, off, s[20:23], 0 offset:8 ; 4-byte Folded Reload
	;; [unrolled: 1-line block ×3, first 2 shown]
	s_waitcnt lgkmcnt(0)
	v_mul_f64 v[103:104], v[101:102], v[105:106]
	v_fma_f64 v[103:104], v[99:100], v[97:98], -v[103:104]
	v_mul_f64 v[99:100], v[99:100], v[105:106]
	v_fma_f64 v[99:100], v[101:102], v[97:98], v[99:100]
	s_waitcnt vmcnt(2)
	v_add_f64 v[69:70], v[69:70], -v[103:104]
	s_waitcnt vmcnt(0)
	v_add_f64 v[71:72], v[71:72], -v[99:100]
	buffer_store_dword v69, off, s[20:23], 0 ; 4-byte Folded Spill
	s_nop 0
	buffer_store_dword v70, off, s[20:23], 0 offset:4 ; 4-byte Folded Spill
	buffer_store_dword v71, off, s[20:23], 0 offset:8 ; 4-byte Folded Spill
	;; [unrolled: 1-line block ×3, first 2 shown]
	ds_read2_b64 v[99:102], v125 offset0:66 offset1:67
	s_waitcnt lgkmcnt(0)
	v_mul_f64 v[103:104], v[101:102], v[105:106]
	v_fma_f64 v[103:104], v[99:100], v[97:98], -v[103:104]
	v_mul_f64 v[99:100], v[99:100], v[105:106]
	v_add_f64 v[65:66], v[65:66], -v[103:104]
	v_fma_f64 v[99:100], v[101:102], v[97:98], v[99:100]
	v_add_f64 v[67:68], v[67:68], -v[99:100]
	ds_read2_b64 v[99:102], v125 offset0:68 offset1:69
	s_waitcnt lgkmcnt(0)
	v_mul_f64 v[103:104], v[101:102], v[105:106]
	v_fma_f64 v[103:104], v[99:100], v[97:98], -v[103:104]
	v_mul_f64 v[99:100], v[99:100], v[105:106]
	v_add_f64 v[61:62], v[61:62], -v[103:104]
	v_fma_f64 v[99:100], v[101:102], v[97:98], v[99:100]
	v_add_f64 v[63:64], v[63:64], -v[99:100]
	;; [unrolled: 8-line block ×17, first 2 shown]
	ds_read2_b64 v[99:102], v125 offset0:100 offset1:101
	s_waitcnt lgkmcnt(0)
	v_mul_f64 v[103:104], v[101:102], v[105:106]
	v_fma_f64 v[103:104], v[99:100], v[97:98], -v[103:104]
	v_mul_f64 v[99:100], v[99:100], v[105:106]
	v_add_f64 v[73:74], v[73:74], -v[103:104]
	v_fma_f64 v[99:100], v[101:102], v[97:98], v[99:100]
	v_mov_b32_e32 v104, v98
	v_mov_b32_e32 v103, v97
	buffer_store_dword v103, off, s[20:23], 0 offset:192 ; 4-byte Folded Spill
	s_nop 0
	buffer_store_dword v104, off, s[20:23], 0 offset:196 ; 4-byte Folded Spill
	buffer_store_dword v105, off, s[20:23], 0 offset:200 ; 4-byte Folded Spill
	;; [unrolled: 1-line block ×3, first 2 shown]
	v_add_f64 v[75:76], v[75:76], -v[99:100]
.LBB101_145:
	s_or_b64 exec, exec, s[2:3]
	v_cmp_eq_u32_e32 vcc, 16, v0
	s_waitcnt vmcnt(0)
	s_barrier
	s_and_saveexec_b64 s[4:5], vcc
	s_cbranch_execz .LBB101_152
; %bb.146:
	buffer_load_dword v69, off, s[20:23], 0 offset:176 ; 4-byte Folded Reload
	buffer_load_dword v70, off, s[20:23], 0 offset:180 ; 4-byte Folded Reload
	;; [unrolled: 1-line block ×4, first 2 shown]
	s_waitcnt vmcnt(0)
	ds_write2_b64 v127, v[69:70], v[71:72] offset1:1
	buffer_load_dword v69, off, s[20:23], 0 offset:160 ; 4-byte Folded Reload
	buffer_load_dword v70, off, s[20:23], 0 offset:164 ; 4-byte Folded Reload
	buffer_load_dword v71, off, s[20:23], 0 offset:168 ; 4-byte Folded Reload
	buffer_load_dword v72, off, s[20:23], 0 offset:172 ; 4-byte Folded Reload
	s_waitcnt vmcnt(0)
	ds_write2_b64 v125, v[69:70], v[71:72] offset0:34 offset1:35
	buffer_load_dword v69, off, s[20:23], 0 offset:144 ; 4-byte Folded Reload
	buffer_load_dword v70, off, s[20:23], 0 offset:148 ; 4-byte Folded Reload
	buffer_load_dword v71, off, s[20:23], 0 offset:152 ; 4-byte Folded Reload
	buffer_load_dword v72, off, s[20:23], 0 offset:156 ; 4-byte Folded Reload
	s_waitcnt vmcnt(0)
	ds_write2_b64 v125, v[69:70], v[71:72] offset0:36 offset1:37
	;; [unrolled: 6-line block ×8, first 2 shown]
	ds_write2_b64 v125, v[121:122], v[123:124] offset0:50 offset1:51
	ds_write2_b64 v125, v[117:118], v[119:120] offset0:52 offset1:53
	;; [unrolled: 1-line block ×5, first 2 shown]
	buffer_load_dword v77, off, s[20:23], 0 offset:32 ; 4-byte Folded Reload
	buffer_load_dword v78, off, s[20:23], 0 offset:36 ; 4-byte Folded Reload
	buffer_load_dword v79, off, s[20:23], 0 offset:40 ; 4-byte Folded Reload
	buffer_load_dword v80, off, s[20:23], 0 offset:44 ; 4-byte Folded Reload
	v_mov_b32_e32 v69, v73
	v_mov_b32_e32 v70, v74
	;; [unrolled: 1-line block ×4, first 2 shown]
	s_waitcnt vmcnt(0)
	ds_write2_b64 v125, v[77:78], v[79:80] offset0:60 offset1:61
	buffer_load_dword v73, off, s[20:23], 0 offset:16 ; 4-byte Folded Reload
	buffer_load_dword v74, off, s[20:23], 0 offset:20 ; 4-byte Folded Reload
	;; [unrolled: 1-line block ×4, first 2 shown]
	s_waitcnt vmcnt(0)
	ds_write2_b64 v125, v[73:74], v[75:76] offset0:62 offset1:63
	v_mov_b32_e32 v76, v72
	v_mov_b32_e32 v75, v71
	;; [unrolled: 1-line block ×4, first 2 shown]
	buffer_load_dword v69, off, s[20:23], 0 ; 4-byte Folded Reload
	buffer_load_dword v70, off, s[20:23], 0 offset:4 ; 4-byte Folded Reload
	buffer_load_dword v71, off, s[20:23], 0 offset:8 ; 4-byte Folded Reload
	;; [unrolled: 1-line block ×3, first 2 shown]
	s_waitcnt vmcnt(0)
	ds_write2_b64 v125, v[69:70], v[71:72] offset0:64 offset1:65
	ds_write2_b64 v125, v[65:66], v[67:68] offset0:66 offset1:67
	;; [unrolled: 1-line block ×19, first 2 shown]
	ds_read2_b64 v[97:100], v127 offset1:1
	s_waitcnt lgkmcnt(0)
	v_cmp_neq_f64_e32 vcc, 0, v[97:98]
	v_cmp_neq_f64_e64 s[2:3], 0, v[99:100]
	s_or_b64 s[2:3], vcc, s[2:3]
	s_and_b64 exec, exec, s[2:3]
	s_cbranch_execz .LBB101_152
; %bb.147:
	v_cmp_ngt_f64_e64 s[2:3], |v[97:98]|, |v[99:100]|
                                        ; implicit-def: $vgpr101_vgpr102
	s_and_saveexec_b64 s[6:7], s[2:3]
	s_xor_b64 s[2:3], exec, s[6:7]
                                        ; implicit-def: $vgpr103_vgpr104
	s_cbranch_execz .LBB101_149
; %bb.148:
	v_div_scale_f64 v[101:102], s[6:7], v[99:100], v[99:100], v[97:98]
	v_rcp_f64_e32 v[103:104], v[101:102]
	v_fma_f64 v[105:106], -v[101:102], v[103:104], 1.0
	v_fma_f64 v[103:104], v[103:104], v[105:106], v[103:104]
	v_div_scale_f64 v[105:106], vcc, v[97:98], v[99:100], v[97:98]
	v_fma_f64 v[107:108], -v[101:102], v[103:104], 1.0
	v_fma_f64 v[103:104], v[103:104], v[107:108], v[103:104]
	v_mul_f64 v[107:108], v[105:106], v[103:104]
	v_fma_f64 v[101:102], -v[101:102], v[107:108], v[105:106]
	v_div_fmas_f64 v[101:102], v[101:102], v[103:104], v[107:108]
	v_div_fixup_f64 v[101:102], v[101:102], v[99:100], v[97:98]
	v_fma_f64 v[97:98], v[97:98], v[101:102], v[99:100]
	v_div_scale_f64 v[99:100], s[6:7], v[97:98], v[97:98], 1.0
	v_div_scale_f64 v[107:108], vcc, 1.0, v[97:98], 1.0
	v_rcp_f64_e32 v[103:104], v[99:100]
	v_fma_f64 v[105:106], -v[99:100], v[103:104], 1.0
	v_fma_f64 v[103:104], v[103:104], v[105:106], v[103:104]
	v_fma_f64 v[105:106], -v[99:100], v[103:104], 1.0
	v_fma_f64 v[103:104], v[103:104], v[105:106], v[103:104]
	v_mul_f64 v[105:106], v[107:108], v[103:104]
	v_fma_f64 v[99:100], -v[99:100], v[105:106], v[107:108]
	v_div_fmas_f64 v[99:100], v[99:100], v[103:104], v[105:106]
	v_div_fixup_f64 v[103:104], v[99:100], v[97:98], 1.0
                                        ; implicit-def: $vgpr97_vgpr98
	v_mul_f64 v[101:102], v[101:102], v[103:104]
	v_xor_b32_e32 v104, 0x80000000, v104
.LBB101_149:
	s_andn2_saveexec_b64 s[2:3], s[2:3]
	s_cbranch_execz .LBB101_151
; %bb.150:
	v_div_scale_f64 v[101:102], s[6:7], v[97:98], v[97:98], v[99:100]
	v_rcp_f64_e32 v[103:104], v[101:102]
	v_fma_f64 v[105:106], -v[101:102], v[103:104], 1.0
	v_fma_f64 v[103:104], v[103:104], v[105:106], v[103:104]
	v_div_scale_f64 v[105:106], vcc, v[99:100], v[97:98], v[99:100]
	v_fma_f64 v[107:108], -v[101:102], v[103:104], 1.0
	v_fma_f64 v[103:104], v[103:104], v[107:108], v[103:104]
	v_mul_f64 v[107:108], v[105:106], v[103:104]
	v_fma_f64 v[101:102], -v[101:102], v[107:108], v[105:106]
	v_div_fmas_f64 v[101:102], v[101:102], v[103:104], v[107:108]
	v_div_fixup_f64 v[103:104], v[101:102], v[97:98], v[99:100]
	v_fma_f64 v[97:98], v[99:100], v[103:104], v[97:98]
	v_div_scale_f64 v[99:100], s[6:7], v[97:98], v[97:98], 1.0
	v_div_scale_f64 v[107:108], vcc, 1.0, v[97:98], 1.0
	v_rcp_f64_e32 v[101:102], v[99:100]
	v_fma_f64 v[105:106], -v[99:100], v[101:102], 1.0
	v_fma_f64 v[101:102], v[101:102], v[105:106], v[101:102]
	v_fma_f64 v[105:106], -v[99:100], v[101:102], 1.0
	v_fma_f64 v[101:102], v[101:102], v[105:106], v[101:102]
	v_mul_f64 v[105:106], v[107:108], v[101:102]
	v_fma_f64 v[99:100], -v[99:100], v[105:106], v[107:108]
	v_div_fmas_f64 v[99:100], v[99:100], v[101:102], v[105:106]
	v_div_fixup_f64 v[101:102], v[99:100], v[97:98], 1.0
	v_mul_f64 v[103:104], v[103:104], -v[101:102]
.LBB101_151:
	s_or_b64 exec, exec, s[2:3]
	ds_write2_b64 v127, v[101:102], v[103:104] offset1:1
.LBB101_152:
	s_or_b64 exec, exec, s[4:5]
	s_waitcnt lgkmcnt(0)
	s_barrier
	ds_read2_b64 v[69:72], v127 offset1:1
	v_cmp_lt_u32_e32 vcc, 16, v0
	s_waitcnt lgkmcnt(0)
	buffer_store_dword v69, off, s[20:23], 0 offset:1104 ; 4-byte Folded Spill
	s_nop 0
	buffer_store_dword v70, off, s[20:23], 0 offset:1108 ; 4-byte Folded Spill
	buffer_store_dword v71, off, s[20:23], 0 offset:1112 ; 4-byte Folded Spill
	;; [unrolled: 1-line block ×3, first 2 shown]
	s_and_saveexec_b64 s[2:3], vcc
	s_cbranch_execz .LBB101_154
; %bb.153:
	buffer_load_dword v103, off, s[20:23], 0 offset:176 ; 4-byte Folded Reload
	buffer_load_dword v104, off, s[20:23], 0 offset:180 ; 4-byte Folded Reload
	;; [unrolled: 1-line block ×8, first 2 shown]
	s_waitcnt vmcnt(2)
	v_mul_f64 v[99:100], v[69:70], v[105:106]
	s_waitcnt vmcnt(0)
	v_mul_f64 v[97:98], v[71:72], v[105:106]
	v_fma_f64 v[105:106], v[71:72], v[103:104], v[99:100]
	ds_read2_b64 v[99:102], v125 offset0:34 offset1:35
	v_fma_f64 v[97:98], v[69:70], v[103:104], -v[97:98]
	buffer_load_dword v69, off, s[20:23], 0 offset:160 ; 4-byte Folded Reload
	buffer_load_dword v70, off, s[20:23], 0 offset:164 ; 4-byte Folded Reload
	buffer_load_dword v71, off, s[20:23], 0 offset:168 ; 4-byte Folded Reload
	buffer_load_dword v72, off, s[20:23], 0 offset:172 ; 4-byte Folded Reload
	s_waitcnt lgkmcnt(0)
	v_mul_f64 v[103:104], v[101:102], v[105:106]
	v_fma_f64 v[103:104], v[99:100], v[97:98], -v[103:104]
	v_mul_f64 v[99:100], v[99:100], v[105:106]
	v_fma_f64 v[99:100], v[101:102], v[97:98], v[99:100]
	s_waitcnt vmcnt(2)
	v_add_f64 v[69:70], v[69:70], -v[103:104]
	s_waitcnt vmcnt(0)
	v_add_f64 v[71:72], v[71:72], -v[99:100]
	buffer_store_dword v69, off, s[20:23], 0 offset:160 ; 4-byte Folded Spill
	s_nop 0
	buffer_store_dword v70, off, s[20:23], 0 offset:164 ; 4-byte Folded Spill
	buffer_store_dword v71, off, s[20:23], 0 offset:168 ; 4-byte Folded Spill
	buffer_store_dword v72, off, s[20:23], 0 offset:172 ; 4-byte Folded Spill
	ds_read2_b64 v[99:102], v125 offset0:36 offset1:37
	buffer_load_dword v69, off, s[20:23], 0 offset:144 ; 4-byte Folded Reload
	buffer_load_dword v70, off, s[20:23], 0 offset:148 ; 4-byte Folded Reload
	buffer_load_dword v71, off, s[20:23], 0 offset:152 ; 4-byte Folded Reload
	buffer_load_dword v72, off, s[20:23], 0 offset:156 ; 4-byte Folded Reload
	s_waitcnt lgkmcnt(0)
	v_mul_f64 v[103:104], v[101:102], v[105:106]
	v_fma_f64 v[103:104], v[99:100], v[97:98], -v[103:104]
	v_mul_f64 v[99:100], v[99:100], v[105:106]
	v_fma_f64 v[99:100], v[101:102], v[97:98], v[99:100]
	s_waitcnt vmcnt(2)
	v_add_f64 v[69:70], v[69:70], -v[103:104]
	s_waitcnt vmcnt(0)
	v_add_f64 v[71:72], v[71:72], -v[99:100]
	buffer_store_dword v69, off, s[20:23], 0 offset:144 ; 4-byte Folded Spill
	s_nop 0
	buffer_store_dword v70, off, s[20:23], 0 offset:148 ; 4-byte Folded Spill
	buffer_store_dword v71, off, s[20:23], 0 offset:152 ; 4-byte Folded Spill
	buffer_store_dword v72, off, s[20:23], 0 offset:156 ; 4-byte Folded Spill
	ds_read2_b64 v[99:102], v125 offset0:38 offset1:39
	buffer_load_dword v69, off, s[20:23], 0 offset:128 ; 4-byte Folded Reload
	buffer_load_dword v70, off, s[20:23], 0 offset:132 ; 4-byte Folded Reload
	buffer_load_dword v71, off, s[20:23], 0 offset:136 ; 4-byte Folded Reload
	buffer_load_dword v72, off, s[20:23], 0 offset:140 ; 4-byte Folded Reload
	s_waitcnt lgkmcnt(0)
	v_mul_f64 v[103:104], v[101:102], v[105:106]
	v_fma_f64 v[103:104], v[99:100], v[97:98], -v[103:104]
	v_mul_f64 v[99:100], v[99:100], v[105:106]
	v_fma_f64 v[99:100], v[101:102], v[97:98], v[99:100]
	s_waitcnt vmcnt(2)
	v_add_f64 v[69:70], v[69:70], -v[103:104]
	s_waitcnt vmcnt(0)
	v_add_f64 v[71:72], v[71:72], -v[99:100]
	buffer_store_dword v69, off, s[20:23], 0 offset:128 ; 4-byte Folded Spill
	s_nop 0
	buffer_store_dword v70, off, s[20:23], 0 offset:132 ; 4-byte Folded Spill
	buffer_store_dword v71, off, s[20:23], 0 offset:136 ; 4-byte Folded Spill
	buffer_store_dword v72, off, s[20:23], 0 offset:140 ; 4-byte Folded Spill
	ds_read2_b64 v[99:102], v125 offset0:40 offset1:41
	buffer_load_dword v69, off, s[20:23], 0 offset:112 ; 4-byte Folded Reload
	buffer_load_dword v70, off, s[20:23], 0 offset:116 ; 4-byte Folded Reload
	buffer_load_dword v71, off, s[20:23], 0 offset:120 ; 4-byte Folded Reload
	buffer_load_dword v72, off, s[20:23], 0 offset:124 ; 4-byte Folded Reload
	s_waitcnt lgkmcnt(0)
	v_mul_f64 v[103:104], v[101:102], v[105:106]
	v_fma_f64 v[103:104], v[99:100], v[97:98], -v[103:104]
	v_mul_f64 v[99:100], v[99:100], v[105:106]
	v_fma_f64 v[99:100], v[101:102], v[97:98], v[99:100]
	s_waitcnt vmcnt(2)
	v_add_f64 v[69:70], v[69:70], -v[103:104]
	s_waitcnt vmcnt(0)
	v_add_f64 v[71:72], v[71:72], -v[99:100]
	buffer_store_dword v69, off, s[20:23], 0 offset:112 ; 4-byte Folded Spill
	s_nop 0
	buffer_store_dword v70, off, s[20:23], 0 offset:116 ; 4-byte Folded Spill
	buffer_store_dword v71, off, s[20:23], 0 offset:120 ; 4-byte Folded Spill
	buffer_store_dword v72, off, s[20:23], 0 offset:124 ; 4-byte Folded Spill
	ds_read2_b64 v[99:102], v125 offset0:42 offset1:43
	buffer_load_dword v69, off, s[20:23], 0 offset:96 ; 4-byte Folded Reload
	buffer_load_dword v70, off, s[20:23], 0 offset:100 ; 4-byte Folded Reload
	buffer_load_dword v71, off, s[20:23], 0 offset:104 ; 4-byte Folded Reload
	buffer_load_dword v72, off, s[20:23], 0 offset:108 ; 4-byte Folded Reload
	s_waitcnt lgkmcnt(0)
	v_mul_f64 v[103:104], v[101:102], v[105:106]
	v_fma_f64 v[103:104], v[99:100], v[97:98], -v[103:104]
	v_mul_f64 v[99:100], v[99:100], v[105:106]
	v_fma_f64 v[99:100], v[101:102], v[97:98], v[99:100]
	s_waitcnt vmcnt(2)
	v_add_f64 v[69:70], v[69:70], -v[103:104]
	s_waitcnt vmcnt(0)
	v_add_f64 v[71:72], v[71:72], -v[99:100]
	buffer_store_dword v69, off, s[20:23], 0 offset:96 ; 4-byte Folded Spill
	s_nop 0
	buffer_store_dword v70, off, s[20:23], 0 offset:100 ; 4-byte Folded Spill
	buffer_store_dword v71, off, s[20:23], 0 offset:104 ; 4-byte Folded Spill
	buffer_store_dword v72, off, s[20:23], 0 offset:108 ; 4-byte Folded Spill
	ds_read2_b64 v[99:102], v125 offset0:44 offset1:45
	buffer_load_dword v69, off, s[20:23], 0 offset:80 ; 4-byte Folded Reload
	buffer_load_dword v70, off, s[20:23], 0 offset:84 ; 4-byte Folded Reload
	buffer_load_dword v71, off, s[20:23], 0 offset:88 ; 4-byte Folded Reload
	buffer_load_dword v72, off, s[20:23], 0 offset:92 ; 4-byte Folded Reload
	s_waitcnt lgkmcnt(0)
	v_mul_f64 v[103:104], v[101:102], v[105:106]
	v_fma_f64 v[103:104], v[99:100], v[97:98], -v[103:104]
	v_mul_f64 v[99:100], v[99:100], v[105:106]
	v_fma_f64 v[99:100], v[101:102], v[97:98], v[99:100]
	s_waitcnt vmcnt(2)
	v_add_f64 v[69:70], v[69:70], -v[103:104]
	s_waitcnt vmcnt(0)
	v_add_f64 v[71:72], v[71:72], -v[99:100]
	buffer_store_dword v69, off, s[20:23], 0 offset:80 ; 4-byte Folded Spill
	s_nop 0
	buffer_store_dword v70, off, s[20:23], 0 offset:84 ; 4-byte Folded Spill
	buffer_store_dword v71, off, s[20:23], 0 offset:88 ; 4-byte Folded Spill
	buffer_store_dword v72, off, s[20:23], 0 offset:92 ; 4-byte Folded Spill
	ds_read2_b64 v[99:102], v125 offset0:46 offset1:47
	buffer_load_dword v69, off, s[20:23], 0 offset:64 ; 4-byte Folded Reload
	buffer_load_dword v70, off, s[20:23], 0 offset:68 ; 4-byte Folded Reload
	buffer_load_dword v71, off, s[20:23], 0 offset:72 ; 4-byte Folded Reload
	buffer_load_dword v72, off, s[20:23], 0 offset:76 ; 4-byte Folded Reload
	s_waitcnt lgkmcnt(0)
	v_mul_f64 v[103:104], v[101:102], v[105:106]
	v_fma_f64 v[103:104], v[99:100], v[97:98], -v[103:104]
	v_mul_f64 v[99:100], v[99:100], v[105:106]
	v_fma_f64 v[99:100], v[101:102], v[97:98], v[99:100]
	s_waitcnt vmcnt(2)
	v_add_f64 v[69:70], v[69:70], -v[103:104]
	s_waitcnt vmcnt(0)
	v_add_f64 v[71:72], v[71:72], -v[99:100]
	buffer_store_dword v69, off, s[20:23], 0 offset:64 ; 4-byte Folded Spill
	s_nop 0
	buffer_store_dword v70, off, s[20:23], 0 offset:68 ; 4-byte Folded Spill
	buffer_store_dword v71, off, s[20:23], 0 offset:72 ; 4-byte Folded Spill
	buffer_store_dword v72, off, s[20:23], 0 offset:76 ; 4-byte Folded Spill
	ds_read2_b64 v[99:102], v125 offset0:48 offset1:49
	buffer_load_dword v69, off, s[20:23], 0 offset:48 ; 4-byte Folded Reload
	buffer_load_dword v70, off, s[20:23], 0 offset:52 ; 4-byte Folded Reload
	buffer_load_dword v71, off, s[20:23], 0 offset:56 ; 4-byte Folded Reload
	buffer_load_dword v72, off, s[20:23], 0 offset:60 ; 4-byte Folded Reload
	s_waitcnt lgkmcnt(0)
	v_mul_f64 v[103:104], v[101:102], v[105:106]
	v_fma_f64 v[103:104], v[99:100], v[97:98], -v[103:104]
	v_mul_f64 v[99:100], v[99:100], v[105:106]
	v_fma_f64 v[99:100], v[101:102], v[97:98], v[99:100]
	s_waitcnt vmcnt(2)
	v_add_f64 v[69:70], v[69:70], -v[103:104]
	s_waitcnt vmcnt(0)
	v_add_f64 v[71:72], v[71:72], -v[99:100]
	buffer_store_dword v69, off, s[20:23], 0 offset:48 ; 4-byte Folded Spill
	s_nop 0
	buffer_store_dword v70, off, s[20:23], 0 offset:52 ; 4-byte Folded Spill
	buffer_store_dword v71, off, s[20:23], 0 offset:56 ; 4-byte Folded Spill
	buffer_store_dword v72, off, s[20:23], 0 offset:60 ; 4-byte Folded Spill
	ds_read2_b64 v[99:102], v125 offset0:50 offset1:51
	v_mov_b32_e32 v69, v73
	v_mov_b32_e32 v70, v74
	;; [unrolled: 1-line block ×4, first 2 shown]
	s_waitcnt lgkmcnt(0)
	v_mul_f64 v[103:104], v[101:102], v[105:106]
	v_fma_f64 v[103:104], v[99:100], v[97:98], -v[103:104]
	v_mul_f64 v[99:100], v[99:100], v[105:106]
	v_add_f64 v[121:122], v[121:122], -v[103:104]
	v_fma_f64 v[99:100], v[101:102], v[97:98], v[99:100]
	v_add_f64 v[123:124], v[123:124], -v[99:100]
	ds_read2_b64 v[99:102], v125 offset0:52 offset1:53
	s_waitcnt lgkmcnt(0)
	v_mul_f64 v[103:104], v[101:102], v[105:106]
	v_fma_f64 v[103:104], v[99:100], v[97:98], -v[103:104]
	v_mul_f64 v[99:100], v[99:100], v[105:106]
	v_add_f64 v[117:118], v[117:118], -v[103:104]
	v_fma_f64 v[99:100], v[101:102], v[97:98], v[99:100]
	v_add_f64 v[119:120], v[119:120], -v[99:100]
	ds_read2_b64 v[99:102], v125 offset0:54 offset1:55
	;; [unrolled: 8-line block ×5, first 2 shown]
	buffer_load_dword v77, off, s[20:23], 0 offset:32 ; 4-byte Folded Reload
	buffer_load_dword v78, off, s[20:23], 0 offset:36 ; 4-byte Folded Reload
	;; [unrolled: 1-line block ×4, first 2 shown]
	s_waitcnt lgkmcnt(0)
	v_mul_f64 v[103:104], v[101:102], v[105:106]
	v_fma_f64 v[103:104], v[99:100], v[97:98], -v[103:104]
	v_mul_f64 v[99:100], v[99:100], v[105:106]
	v_fma_f64 v[99:100], v[101:102], v[97:98], v[99:100]
	s_waitcnt vmcnt(2)
	v_add_f64 v[77:78], v[77:78], -v[103:104]
	s_waitcnt vmcnt(0)
	v_add_f64 v[79:80], v[79:80], -v[99:100]
	buffer_store_dword v77, off, s[20:23], 0 offset:32 ; 4-byte Folded Spill
	s_nop 0
	buffer_store_dword v78, off, s[20:23], 0 offset:36 ; 4-byte Folded Spill
	buffer_store_dword v79, off, s[20:23], 0 offset:40 ; 4-byte Folded Spill
	;; [unrolled: 1-line block ×3, first 2 shown]
	ds_read2_b64 v[99:102], v125 offset0:62 offset1:63
	buffer_load_dword v73, off, s[20:23], 0 offset:16 ; 4-byte Folded Reload
	buffer_load_dword v74, off, s[20:23], 0 offset:20 ; 4-byte Folded Reload
	;; [unrolled: 1-line block ×4, first 2 shown]
	s_waitcnt lgkmcnt(0)
	v_mul_f64 v[103:104], v[101:102], v[105:106]
	v_fma_f64 v[103:104], v[99:100], v[97:98], -v[103:104]
	v_mul_f64 v[99:100], v[99:100], v[105:106]
	v_fma_f64 v[99:100], v[101:102], v[97:98], v[99:100]
	s_waitcnt vmcnt(2)
	v_add_f64 v[73:74], v[73:74], -v[103:104]
	s_waitcnt vmcnt(0)
	v_add_f64 v[75:76], v[75:76], -v[99:100]
	buffer_store_dword v73, off, s[20:23], 0 offset:16 ; 4-byte Folded Spill
	s_nop 0
	buffer_store_dword v74, off, s[20:23], 0 offset:20 ; 4-byte Folded Spill
	buffer_store_dword v75, off, s[20:23], 0 offset:24 ; 4-byte Folded Spill
	;; [unrolled: 1-line block ×3, first 2 shown]
	v_mov_b32_e32 v76, v72
	v_mov_b32_e32 v75, v71
	;; [unrolled: 1-line block ×4, first 2 shown]
	ds_read2_b64 v[99:102], v125 offset0:64 offset1:65
	buffer_load_dword v69, off, s[20:23], 0 ; 4-byte Folded Reload
	buffer_load_dword v70, off, s[20:23], 0 offset:4 ; 4-byte Folded Reload
	buffer_load_dword v71, off, s[20:23], 0 offset:8 ; 4-byte Folded Reload
	;; [unrolled: 1-line block ×3, first 2 shown]
	s_waitcnt lgkmcnt(0)
	v_mul_f64 v[103:104], v[101:102], v[105:106]
	v_fma_f64 v[103:104], v[99:100], v[97:98], -v[103:104]
	v_mul_f64 v[99:100], v[99:100], v[105:106]
	v_fma_f64 v[99:100], v[101:102], v[97:98], v[99:100]
	s_waitcnt vmcnt(2)
	v_add_f64 v[69:70], v[69:70], -v[103:104]
	s_waitcnt vmcnt(0)
	v_add_f64 v[71:72], v[71:72], -v[99:100]
	buffer_store_dword v69, off, s[20:23], 0 ; 4-byte Folded Spill
	s_nop 0
	buffer_store_dword v70, off, s[20:23], 0 offset:4 ; 4-byte Folded Spill
	buffer_store_dword v71, off, s[20:23], 0 offset:8 ; 4-byte Folded Spill
	;; [unrolled: 1-line block ×3, first 2 shown]
	ds_read2_b64 v[99:102], v125 offset0:66 offset1:67
	s_waitcnt lgkmcnt(0)
	v_mul_f64 v[103:104], v[101:102], v[105:106]
	v_fma_f64 v[103:104], v[99:100], v[97:98], -v[103:104]
	v_mul_f64 v[99:100], v[99:100], v[105:106]
	v_add_f64 v[65:66], v[65:66], -v[103:104]
	v_fma_f64 v[99:100], v[101:102], v[97:98], v[99:100]
	v_add_f64 v[67:68], v[67:68], -v[99:100]
	ds_read2_b64 v[99:102], v125 offset0:68 offset1:69
	s_waitcnt lgkmcnt(0)
	v_mul_f64 v[103:104], v[101:102], v[105:106]
	v_fma_f64 v[103:104], v[99:100], v[97:98], -v[103:104]
	v_mul_f64 v[99:100], v[99:100], v[105:106]
	v_add_f64 v[61:62], v[61:62], -v[103:104]
	v_fma_f64 v[99:100], v[101:102], v[97:98], v[99:100]
	v_add_f64 v[63:64], v[63:64], -v[99:100]
	;; [unrolled: 8-line block ×17, first 2 shown]
	ds_read2_b64 v[99:102], v125 offset0:100 offset1:101
	s_waitcnt lgkmcnt(0)
	v_mul_f64 v[103:104], v[101:102], v[105:106]
	v_fma_f64 v[103:104], v[99:100], v[97:98], -v[103:104]
	v_mul_f64 v[99:100], v[99:100], v[105:106]
	v_add_f64 v[73:74], v[73:74], -v[103:104]
	v_fma_f64 v[99:100], v[101:102], v[97:98], v[99:100]
	v_mov_b32_e32 v104, v98
	v_mov_b32_e32 v103, v97
	buffer_store_dword v103, off, s[20:23], 0 offset:176 ; 4-byte Folded Spill
	s_nop 0
	buffer_store_dword v104, off, s[20:23], 0 offset:180 ; 4-byte Folded Spill
	buffer_store_dword v105, off, s[20:23], 0 offset:184 ; 4-byte Folded Spill
	;; [unrolled: 1-line block ×3, first 2 shown]
	v_add_f64 v[75:76], v[75:76], -v[99:100]
.LBB101_154:
	s_or_b64 exec, exec, s[2:3]
	v_cmp_eq_u32_e32 vcc, 17, v0
	s_waitcnt vmcnt(0)
	s_barrier
	s_and_saveexec_b64 s[4:5], vcc
	s_cbranch_execz .LBB101_161
; %bb.155:
	buffer_load_dword v69, off, s[20:23], 0 offset:160 ; 4-byte Folded Reload
	buffer_load_dword v70, off, s[20:23], 0 offset:164 ; 4-byte Folded Reload
	;; [unrolled: 1-line block ×4, first 2 shown]
	s_waitcnt vmcnt(0)
	ds_write2_b64 v127, v[69:70], v[71:72] offset1:1
	buffer_load_dword v69, off, s[20:23], 0 offset:144 ; 4-byte Folded Reload
	buffer_load_dword v70, off, s[20:23], 0 offset:148 ; 4-byte Folded Reload
	buffer_load_dword v71, off, s[20:23], 0 offset:152 ; 4-byte Folded Reload
	buffer_load_dword v72, off, s[20:23], 0 offset:156 ; 4-byte Folded Reload
	s_waitcnt vmcnt(0)
	ds_write2_b64 v125, v[69:70], v[71:72] offset0:36 offset1:37
	buffer_load_dword v69, off, s[20:23], 0 offset:128 ; 4-byte Folded Reload
	buffer_load_dword v70, off, s[20:23], 0 offset:132 ; 4-byte Folded Reload
	buffer_load_dword v71, off, s[20:23], 0 offset:136 ; 4-byte Folded Reload
	buffer_load_dword v72, off, s[20:23], 0 offset:140 ; 4-byte Folded Reload
	s_waitcnt vmcnt(0)
	ds_write2_b64 v125, v[69:70], v[71:72] offset0:38 offset1:39
	;; [unrolled: 6-line block ×7, first 2 shown]
	ds_write2_b64 v125, v[121:122], v[123:124] offset0:50 offset1:51
	ds_write2_b64 v125, v[117:118], v[119:120] offset0:52 offset1:53
	;; [unrolled: 1-line block ×5, first 2 shown]
	buffer_load_dword v77, off, s[20:23], 0 offset:32 ; 4-byte Folded Reload
	buffer_load_dword v78, off, s[20:23], 0 offset:36 ; 4-byte Folded Reload
	;; [unrolled: 1-line block ×4, first 2 shown]
	v_mov_b32_e32 v69, v73
	v_mov_b32_e32 v70, v74
	;; [unrolled: 1-line block ×4, first 2 shown]
	s_waitcnt vmcnt(0)
	ds_write2_b64 v125, v[77:78], v[79:80] offset0:60 offset1:61
	buffer_load_dword v73, off, s[20:23], 0 offset:16 ; 4-byte Folded Reload
	buffer_load_dword v74, off, s[20:23], 0 offset:20 ; 4-byte Folded Reload
	;; [unrolled: 1-line block ×4, first 2 shown]
	s_waitcnt vmcnt(0)
	ds_write2_b64 v125, v[73:74], v[75:76] offset0:62 offset1:63
	v_mov_b32_e32 v76, v72
	v_mov_b32_e32 v75, v71
	;; [unrolled: 1-line block ×4, first 2 shown]
	buffer_load_dword v69, off, s[20:23], 0 ; 4-byte Folded Reload
	buffer_load_dword v70, off, s[20:23], 0 offset:4 ; 4-byte Folded Reload
	buffer_load_dword v71, off, s[20:23], 0 offset:8 ; 4-byte Folded Reload
	;; [unrolled: 1-line block ×3, first 2 shown]
	s_waitcnt vmcnt(0)
	ds_write2_b64 v125, v[69:70], v[71:72] offset0:64 offset1:65
	ds_write2_b64 v125, v[65:66], v[67:68] offset0:66 offset1:67
	;; [unrolled: 1-line block ×19, first 2 shown]
	ds_read2_b64 v[97:100], v127 offset1:1
	s_waitcnt lgkmcnt(0)
	v_cmp_neq_f64_e32 vcc, 0, v[97:98]
	v_cmp_neq_f64_e64 s[2:3], 0, v[99:100]
	s_or_b64 s[2:3], vcc, s[2:3]
	s_and_b64 exec, exec, s[2:3]
	s_cbranch_execz .LBB101_161
; %bb.156:
	v_cmp_ngt_f64_e64 s[2:3], |v[97:98]|, |v[99:100]|
                                        ; implicit-def: $vgpr101_vgpr102
	s_and_saveexec_b64 s[6:7], s[2:3]
	s_xor_b64 s[2:3], exec, s[6:7]
                                        ; implicit-def: $vgpr103_vgpr104
	s_cbranch_execz .LBB101_158
; %bb.157:
	v_div_scale_f64 v[101:102], s[6:7], v[99:100], v[99:100], v[97:98]
	v_rcp_f64_e32 v[103:104], v[101:102]
	v_fma_f64 v[105:106], -v[101:102], v[103:104], 1.0
	v_fma_f64 v[103:104], v[103:104], v[105:106], v[103:104]
	v_div_scale_f64 v[105:106], vcc, v[97:98], v[99:100], v[97:98]
	v_fma_f64 v[107:108], -v[101:102], v[103:104], 1.0
	v_fma_f64 v[103:104], v[103:104], v[107:108], v[103:104]
	v_mul_f64 v[107:108], v[105:106], v[103:104]
	v_fma_f64 v[101:102], -v[101:102], v[107:108], v[105:106]
	v_div_fmas_f64 v[101:102], v[101:102], v[103:104], v[107:108]
	v_div_fixup_f64 v[101:102], v[101:102], v[99:100], v[97:98]
	v_fma_f64 v[97:98], v[97:98], v[101:102], v[99:100]
	v_div_scale_f64 v[99:100], s[6:7], v[97:98], v[97:98], 1.0
	v_div_scale_f64 v[107:108], vcc, 1.0, v[97:98], 1.0
	v_rcp_f64_e32 v[103:104], v[99:100]
	v_fma_f64 v[105:106], -v[99:100], v[103:104], 1.0
	v_fma_f64 v[103:104], v[103:104], v[105:106], v[103:104]
	v_fma_f64 v[105:106], -v[99:100], v[103:104], 1.0
	v_fma_f64 v[103:104], v[103:104], v[105:106], v[103:104]
	v_mul_f64 v[105:106], v[107:108], v[103:104]
	v_fma_f64 v[99:100], -v[99:100], v[105:106], v[107:108]
	v_div_fmas_f64 v[99:100], v[99:100], v[103:104], v[105:106]
	v_div_fixup_f64 v[103:104], v[99:100], v[97:98], 1.0
                                        ; implicit-def: $vgpr97_vgpr98
	v_mul_f64 v[101:102], v[101:102], v[103:104]
	v_xor_b32_e32 v104, 0x80000000, v104
.LBB101_158:
	s_andn2_saveexec_b64 s[2:3], s[2:3]
	s_cbranch_execz .LBB101_160
; %bb.159:
	v_div_scale_f64 v[101:102], s[6:7], v[97:98], v[97:98], v[99:100]
	v_rcp_f64_e32 v[103:104], v[101:102]
	v_fma_f64 v[105:106], -v[101:102], v[103:104], 1.0
	v_fma_f64 v[103:104], v[103:104], v[105:106], v[103:104]
	v_div_scale_f64 v[105:106], vcc, v[99:100], v[97:98], v[99:100]
	v_fma_f64 v[107:108], -v[101:102], v[103:104], 1.0
	v_fma_f64 v[103:104], v[103:104], v[107:108], v[103:104]
	v_mul_f64 v[107:108], v[105:106], v[103:104]
	v_fma_f64 v[101:102], -v[101:102], v[107:108], v[105:106]
	v_div_fmas_f64 v[101:102], v[101:102], v[103:104], v[107:108]
	v_div_fixup_f64 v[103:104], v[101:102], v[97:98], v[99:100]
	v_fma_f64 v[97:98], v[99:100], v[103:104], v[97:98]
	v_div_scale_f64 v[99:100], s[6:7], v[97:98], v[97:98], 1.0
	v_div_scale_f64 v[107:108], vcc, 1.0, v[97:98], 1.0
	v_rcp_f64_e32 v[101:102], v[99:100]
	v_fma_f64 v[105:106], -v[99:100], v[101:102], 1.0
	v_fma_f64 v[101:102], v[101:102], v[105:106], v[101:102]
	v_fma_f64 v[105:106], -v[99:100], v[101:102], 1.0
	v_fma_f64 v[101:102], v[101:102], v[105:106], v[101:102]
	v_mul_f64 v[105:106], v[107:108], v[101:102]
	v_fma_f64 v[99:100], -v[99:100], v[105:106], v[107:108]
	v_div_fmas_f64 v[99:100], v[99:100], v[101:102], v[105:106]
	v_div_fixup_f64 v[101:102], v[99:100], v[97:98], 1.0
	v_mul_f64 v[103:104], v[103:104], -v[101:102]
.LBB101_160:
	s_or_b64 exec, exec, s[2:3]
	ds_write2_b64 v127, v[101:102], v[103:104] offset1:1
.LBB101_161:
	s_or_b64 exec, exec, s[4:5]
	s_waitcnt lgkmcnt(0)
	s_barrier
	ds_read2_b64 v[69:72], v127 offset1:1
	v_cmp_lt_u32_e32 vcc, 17, v0
	s_waitcnt lgkmcnt(0)
	buffer_store_dword v69, off, s[20:23], 0 offset:1120 ; 4-byte Folded Spill
	s_nop 0
	buffer_store_dword v70, off, s[20:23], 0 offset:1124 ; 4-byte Folded Spill
	buffer_store_dword v71, off, s[20:23], 0 offset:1128 ; 4-byte Folded Spill
	;; [unrolled: 1-line block ×3, first 2 shown]
	s_and_saveexec_b64 s[2:3], vcc
	s_cbranch_execz .LBB101_163
; %bb.162:
	buffer_load_dword v103, off, s[20:23], 0 offset:160 ; 4-byte Folded Reload
	buffer_load_dword v104, off, s[20:23], 0 offset:164 ; 4-byte Folded Reload
	;; [unrolled: 1-line block ×8, first 2 shown]
	s_waitcnt vmcnt(2)
	v_mul_f64 v[99:100], v[69:70], v[105:106]
	s_waitcnt vmcnt(0)
	v_mul_f64 v[97:98], v[71:72], v[105:106]
	v_fma_f64 v[105:106], v[71:72], v[103:104], v[99:100]
	ds_read2_b64 v[99:102], v125 offset0:36 offset1:37
	v_fma_f64 v[97:98], v[69:70], v[103:104], -v[97:98]
	buffer_load_dword v69, off, s[20:23], 0 offset:144 ; 4-byte Folded Reload
	buffer_load_dword v70, off, s[20:23], 0 offset:148 ; 4-byte Folded Reload
	buffer_load_dword v71, off, s[20:23], 0 offset:152 ; 4-byte Folded Reload
	buffer_load_dword v72, off, s[20:23], 0 offset:156 ; 4-byte Folded Reload
	s_waitcnt lgkmcnt(0)
	v_mul_f64 v[103:104], v[101:102], v[105:106]
	v_fma_f64 v[103:104], v[99:100], v[97:98], -v[103:104]
	v_mul_f64 v[99:100], v[99:100], v[105:106]
	v_fma_f64 v[99:100], v[101:102], v[97:98], v[99:100]
	s_waitcnt vmcnt(2)
	v_add_f64 v[69:70], v[69:70], -v[103:104]
	s_waitcnt vmcnt(0)
	v_add_f64 v[71:72], v[71:72], -v[99:100]
	buffer_store_dword v69, off, s[20:23], 0 offset:144 ; 4-byte Folded Spill
	s_nop 0
	buffer_store_dword v70, off, s[20:23], 0 offset:148 ; 4-byte Folded Spill
	buffer_store_dword v71, off, s[20:23], 0 offset:152 ; 4-byte Folded Spill
	buffer_store_dword v72, off, s[20:23], 0 offset:156 ; 4-byte Folded Spill
	ds_read2_b64 v[99:102], v125 offset0:38 offset1:39
	buffer_load_dword v69, off, s[20:23], 0 offset:128 ; 4-byte Folded Reload
	buffer_load_dword v70, off, s[20:23], 0 offset:132 ; 4-byte Folded Reload
	buffer_load_dword v71, off, s[20:23], 0 offset:136 ; 4-byte Folded Reload
	buffer_load_dword v72, off, s[20:23], 0 offset:140 ; 4-byte Folded Reload
	s_waitcnt lgkmcnt(0)
	v_mul_f64 v[103:104], v[101:102], v[105:106]
	v_fma_f64 v[103:104], v[99:100], v[97:98], -v[103:104]
	v_mul_f64 v[99:100], v[99:100], v[105:106]
	v_fma_f64 v[99:100], v[101:102], v[97:98], v[99:100]
	s_waitcnt vmcnt(2)
	v_add_f64 v[69:70], v[69:70], -v[103:104]
	s_waitcnt vmcnt(0)
	v_add_f64 v[71:72], v[71:72], -v[99:100]
	buffer_store_dword v69, off, s[20:23], 0 offset:128 ; 4-byte Folded Spill
	s_nop 0
	buffer_store_dword v70, off, s[20:23], 0 offset:132 ; 4-byte Folded Spill
	buffer_store_dword v71, off, s[20:23], 0 offset:136 ; 4-byte Folded Spill
	buffer_store_dword v72, off, s[20:23], 0 offset:140 ; 4-byte Folded Spill
	ds_read2_b64 v[99:102], v125 offset0:40 offset1:41
	;; [unrolled: 19-line block ×7, first 2 shown]
	v_mov_b32_e32 v69, v73
	v_mov_b32_e32 v70, v74
	;; [unrolled: 1-line block ×4, first 2 shown]
	s_waitcnt lgkmcnt(0)
	v_mul_f64 v[103:104], v[101:102], v[105:106]
	v_fma_f64 v[103:104], v[99:100], v[97:98], -v[103:104]
	v_mul_f64 v[99:100], v[99:100], v[105:106]
	v_add_f64 v[121:122], v[121:122], -v[103:104]
	v_fma_f64 v[99:100], v[101:102], v[97:98], v[99:100]
	v_add_f64 v[123:124], v[123:124], -v[99:100]
	ds_read2_b64 v[99:102], v125 offset0:52 offset1:53
	s_waitcnt lgkmcnt(0)
	v_mul_f64 v[103:104], v[101:102], v[105:106]
	v_fma_f64 v[103:104], v[99:100], v[97:98], -v[103:104]
	v_mul_f64 v[99:100], v[99:100], v[105:106]
	v_add_f64 v[117:118], v[117:118], -v[103:104]
	v_fma_f64 v[99:100], v[101:102], v[97:98], v[99:100]
	v_add_f64 v[119:120], v[119:120], -v[99:100]
	ds_read2_b64 v[99:102], v125 offset0:54 offset1:55
	;; [unrolled: 8-line block ×5, first 2 shown]
	buffer_load_dword v77, off, s[20:23], 0 offset:32 ; 4-byte Folded Reload
	buffer_load_dword v78, off, s[20:23], 0 offset:36 ; 4-byte Folded Reload
	;; [unrolled: 1-line block ×4, first 2 shown]
	s_waitcnt lgkmcnt(0)
	v_mul_f64 v[103:104], v[101:102], v[105:106]
	v_fma_f64 v[103:104], v[99:100], v[97:98], -v[103:104]
	v_mul_f64 v[99:100], v[99:100], v[105:106]
	v_fma_f64 v[99:100], v[101:102], v[97:98], v[99:100]
	s_waitcnt vmcnt(2)
	v_add_f64 v[77:78], v[77:78], -v[103:104]
	s_waitcnt vmcnt(0)
	v_add_f64 v[79:80], v[79:80], -v[99:100]
	buffer_store_dword v77, off, s[20:23], 0 offset:32 ; 4-byte Folded Spill
	s_nop 0
	buffer_store_dword v78, off, s[20:23], 0 offset:36 ; 4-byte Folded Spill
	buffer_store_dword v79, off, s[20:23], 0 offset:40 ; 4-byte Folded Spill
	;; [unrolled: 1-line block ×3, first 2 shown]
	ds_read2_b64 v[99:102], v125 offset0:62 offset1:63
	buffer_load_dword v73, off, s[20:23], 0 offset:16 ; 4-byte Folded Reload
	buffer_load_dword v74, off, s[20:23], 0 offset:20 ; 4-byte Folded Reload
	;; [unrolled: 1-line block ×4, first 2 shown]
	s_waitcnt lgkmcnt(0)
	v_mul_f64 v[103:104], v[101:102], v[105:106]
	v_fma_f64 v[103:104], v[99:100], v[97:98], -v[103:104]
	v_mul_f64 v[99:100], v[99:100], v[105:106]
	v_fma_f64 v[99:100], v[101:102], v[97:98], v[99:100]
	s_waitcnt vmcnt(2)
	v_add_f64 v[73:74], v[73:74], -v[103:104]
	s_waitcnt vmcnt(0)
	v_add_f64 v[75:76], v[75:76], -v[99:100]
	buffer_store_dword v73, off, s[20:23], 0 offset:16 ; 4-byte Folded Spill
	s_nop 0
	buffer_store_dword v74, off, s[20:23], 0 offset:20 ; 4-byte Folded Spill
	buffer_store_dword v75, off, s[20:23], 0 offset:24 ; 4-byte Folded Spill
	buffer_store_dword v76, off, s[20:23], 0 offset:28 ; 4-byte Folded Spill
	v_mov_b32_e32 v76, v72
	v_mov_b32_e32 v75, v71
	;; [unrolled: 1-line block ×4, first 2 shown]
	ds_read2_b64 v[99:102], v125 offset0:64 offset1:65
	buffer_load_dword v69, off, s[20:23], 0 ; 4-byte Folded Reload
	buffer_load_dword v70, off, s[20:23], 0 offset:4 ; 4-byte Folded Reload
	buffer_load_dword v71, off, s[20:23], 0 offset:8 ; 4-byte Folded Reload
	;; [unrolled: 1-line block ×3, first 2 shown]
	s_waitcnt lgkmcnt(0)
	v_mul_f64 v[103:104], v[101:102], v[105:106]
	v_fma_f64 v[103:104], v[99:100], v[97:98], -v[103:104]
	v_mul_f64 v[99:100], v[99:100], v[105:106]
	v_fma_f64 v[99:100], v[101:102], v[97:98], v[99:100]
	s_waitcnt vmcnt(2)
	v_add_f64 v[69:70], v[69:70], -v[103:104]
	s_waitcnt vmcnt(0)
	v_add_f64 v[71:72], v[71:72], -v[99:100]
	buffer_store_dword v69, off, s[20:23], 0 ; 4-byte Folded Spill
	s_nop 0
	buffer_store_dword v70, off, s[20:23], 0 offset:4 ; 4-byte Folded Spill
	buffer_store_dword v71, off, s[20:23], 0 offset:8 ; 4-byte Folded Spill
	;; [unrolled: 1-line block ×3, first 2 shown]
	ds_read2_b64 v[99:102], v125 offset0:66 offset1:67
	s_waitcnt lgkmcnt(0)
	v_mul_f64 v[103:104], v[101:102], v[105:106]
	v_fma_f64 v[103:104], v[99:100], v[97:98], -v[103:104]
	v_mul_f64 v[99:100], v[99:100], v[105:106]
	v_add_f64 v[65:66], v[65:66], -v[103:104]
	v_fma_f64 v[99:100], v[101:102], v[97:98], v[99:100]
	v_add_f64 v[67:68], v[67:68], -v[99:100]
	ds_read2_b64 v[99:102], v125 offset0:68 offset1:69
	s_waitcnt lgkmcnt(0)
	v_mul_f64 v[103:104], v[101:102], v[105:106]
	v_fma_f64 v[103:104], v[99:100], v[97:98], -v[103:104]
	v_mul_f64 v[99:100], v[99:100], v[105:106]
	v_add_f64 v[61:62], v[61:62], -v[103:104]
	v_fma_f64 v[99:100], v[101:102], v[97:98], v[99:100]
	v_add_f64 v[63:64], v[63:64], -v[99:100]
	;; [unrolled: 8-line block ×17, first 2 shown]
	ds_read2_b64 v[99:102], v125 offset0:100 offset1:101
	s_waitcnt lgkmcnt(0)
	v_mul_f64 v[103:104], v[101:102], v[105:106]
	v_fma_f64 v[103:104], v[99:100], v[97:98], -v[103:104]
	v_mul_f64 v[99:100], v[99:100], v[105:106]
	v_add_f64 v[73:74], v[73:74], -v[103:104]
	v_fma_f64 v[99:100], v[101:102], v[97:98], v[99:100]
	v_mov_b32_e32 v104, v98
	v_mov_b32_e32 v103, v97
	buffer_store_dword v103, off, s[20:23], 0 offset:160 ; 4-byte Folded Spill
	s_nop 0
	buffer_store_dword v104, off, s[20:23], 0 offset:164 ; 4-byte Folded Spill
	buffer_store_dword v105, off, s[20:23], 0 offset:168 ; 4-byte Folded Spill
	buffer_store_dword v106, off, s[20:23], 0 offset:172 ; 4-byte Folded Spill
	v_add_f64 v[75:76], v[75:76], -v[99:100]
.LBB101_163:
	s_or_b64 exec, exec, s[2:3]
	v_cmp_eq_u32_e32 vcc, 18, v0
	s_waitcnt vmcnt(0)
	s_barrier
	s_and_saveexec_b64 s[4:5], vcc
	s_cbranch_execz .LBB101_170
; %bb.164:
	buffer_load_dword v69, off, s[20:23], 0 offset:144 ; 4-byte Folded Reload
	buffer_load_dword v70, off, s[20:23], 0 offset:148 ; 4-byte Folded Reload
	;; [unrolled: 1-line block ×4, first 2 shown]
	s_waitcnt vmcnt(0)
	ds_write2_b64 v127, v[69:70], v[71:72] offset1:1
	buffer_load_dword v69, off, s[20:23], 0 offset:128 ; 4-byte Folded Reload
	buffer_load_dword v70, off, s[20:23], 0 offset:132 ; 4-byte Folded Reload
	buffer_load_dword v71, off, s[20:23], 0 offset:136 ; 4-byte Folded Reload
	buffer_load_dword v72, off, s[20:23], 0 offset:140 ; 4-byte Folded Reload
	s_waitcnt vmcnt(0)
	ds_write2_b64 v125, v[69:70], v[71:72] offset0:38 offset1:39
	buffer_load_dword v69, off, s[20:23], 0 offset:112 ; 4-byte Folded Reload
	buffer_load_dword v70, off, s[20:23], 0 offset:116 ; 4-byte Folded Reload
	buffer_load_dword v71, off, s[20:23], 0 offset:120 ; 4-byte Folded Reload
	buffer_load_dword v72, off, s[20:23], 0 offset:124 ; 4-byte Folded Reload
	s_waitcnt vmcnt(0)
	ds_write2_b64 v125, v[69:70], v[71:72] offset0:40 offset1:41
	;; [unrolled: 6-line block ×6, first 2 shown]
	ds_write2_b64 v125, v[121:122], v[123:124] offset0:50 offset1:51
	ds_write2_b64 v125, v[117:118], v[119:120] offset0:52 offset1:53
	;; [unrolled: 1-line block ×5, first 2 shown]
	buffer_load_dword v77, off, s[20:23], 0 offset:32 ; 4-byte Folded Reload
	buffer_load_dword v78, off, s[20:23], 0 offset:36 ; 4-byte Folded Reload
	;; [unrolled: 1-line block ×4, first 2 shown]
	v_mov_b32_e32 v69, v73
	v_mov_b32_e32 v70, v74
	;; [unrolled: 1-line block ×4, first 2 shown]
	s_waitcnt vmcnt(0)
	ds_write2_b64 v125, v[77:78], v[79:80] offset0:60 offset1:61
	buffer_load_dword v73, off, s[20:23], 0 offset:16 ; 4-byte Folded Reload
	buffer_load_dword v74, off, s[20:23], 0 offset:20 ; 4-byte Folded Reload
	;; [unrolled: 1-line block ×4, first 2 shown]
	s_waitcnt vmcnt(0)
	ds_write2_b64 v125, v[73:74], v[75:76] offset0:62 offset1:63
	v_mov_b32_e32 v76, v72
	v_mov_b32_e32 v75, v71
	;; [unrolled: 1-line block ×4, first 2 shown]
	buffer_load_dword v69, off, s[20:23], 0 ; 4-byte Folded Reload
	buffer_load_dword v70, off, s[20:23], 0 offset:4 ; 4-byte Folded Reload
	buffer_load_dword v71, off, s[20:23], 0 offset:8 ; 4-byte Folded Reload
	;; [unrolled: 1-line block ×3, first 2 shown]
	s_waitcnt vmcnt(0)
	ds_write2_b64 v125, v[69:70], v[71:72] offset0:64 offset1:65
	ds_write2_b64 v125, v[65:66], v[67:68] offset0:66 offset1:67
	;; [unrolled: 1-line block ×19, first 2 shown]
	ds_read2_b64 v[97:100], v127 offset1:1
	s_waitcnt lgkmcnt(0)
	v_cmp_neq_f64_e32 vcc, 0, v[97:98]
	v_cmp_neq_f64_e64 s[2:3], 0, v[99:100]
	s_or_b64 s[2:3], vcc, s[2:3]
	s_and_b64 exec, exec, s[2:3]
	s_cbranch_execz .LBB101_170
; %bb.165:
	v_cmp_ngt_f64_e64 s[2:3], |v[97:98]|, |v[99:100]|
                                        ; implicit-def: $vgpr101_vgpr102
	s_and_saveexec_b64 s[6:7], s[2:3]
	s_xor_b64 s[2:3], exec, s[6:7]
                                        ; implicit-def: $vgpr103_vgpr104
	s_cbranch_execz .LBB101_167
; %bb.166:
	v_div_scale_f64 v[101:102], s[6:7], v[99:100], v[99:100], v[97:98]
	v_rcp_f64_e32 v[103:104], v[101:102]
	v_fma_f64 v[105:106], -v[101:102], v[103:104], 1.0
	v_fma_f64 v[103:104], v[103:104], v[105:106], v[103:104]
	v_div_scale_f64 v[105:106], vcc, v[97:98], v[99:100], v[97:98]
	v_fma_f64 v[107:108], -v[101:102], v[103:104], 1.0
	v_fma_f64 v[103:104], v[103:104], v[107:108], v[103:104]
	v_mul_f64 v[107:108], v[105:106], v[103:104]
	v_fma_f64 v[101:102], -v[101:102], v[107:108], v[105:106]
	v_div_fmas_f64 v[101:102], v[101:102], v[103:104], v[107:108]
	v_div_fixup_f64 v[101:102], v[101:102], v[99:100], v[97:98]
	v_fma_f64 v[97:98], v[97:98], v[101:102], v[99:100]
	v_div_scale_f64 v[99:100], s[6:7], v[97:98], v[97:98], 1.0
	v_div_scale_f64 v[107:108], vcc, 1.0, v[97:98], 1.0
	v_rcp_f64_e32 v[103:104], v[99:100]
	v_fma_f64 v[105:106], -v[99:100], v[103:104], 1.0
	v_fma_f64 v[103:104], v[103:104], v[105:106], v[103:104]
	v_fma_f64 v[105:106], -v[99:100], v[103:104], 1.0
	v_fma_f64 v[103:104], v[103:104], v[105:106], v[103:104]
	v_mul_f64 v[105:106], v[107:108], v[103:104]
	v_fma_f64 v[99:100], -v[99:100], v[105:106], v[107:108]
	v_div_fmas_f64 v[99:100], v[99:100], v[103:104], v[105:106]
	v_div_fixup_f64 v[103:104], v[99:100], v[97:98], 1.0
                                        ; implicit-def: $vgpr97_vgpr98
	v_mul_f64 v[101:102], v[101:102], v[103:104]
	v_xor_b32_e32 v104, 0x80000000, v104
.LBB101_167:
	s_andn2_saveexec_b64 s[2:3], s[2:3]
	s_cbranch_execz .LBB101_169
; %bb.168:
	v_div_scale_f64 v[101:102], s[6:7], v[97:98], v[97:98], v[99:100]
	v_rcp_f64_e32 v[103:104], v[101:102]
	v_fma_f64 v[105:106], -v[101:102], v[103:104], 1.0
	v_fma_f64 v[103:104], v[103:104], v[105:106], v[103:104]
	v_div_scale_f64 v[105:106], vcc, v[99:100], v[97:98], v[99:100]
	v_fma_f64 v[107:108], -v[101:102], v[103:104], 1.0
	v_fma_f64 v[103:104], v[103:104], v[107:108], v[103:104]
	v_mul_f64 v[107:108], v[105:106], v[103:104]
	v_fma_f64 v[101:102], -v[101:102], v[107:108], v[105:106]
	v_div_fmas_f64 v[101:102], v[101:102], v[103:104], v[107:108]
	v_div_fixup_f64 v[103:104], v[101:102], v[97:98], v[99:100]
	v_fma_f64 v[97:98], v[99:100], v[103:104], v[97:98]
	v_div_scale_f64 v[99:100], s[6:7], v[97:98], v[97:98], 1.0
	v_div_scale_f64 v[107:108], vcc, 1.0, v[97:98], 1.0
	v_rcp_f64_e32 v[101:102], v[99:100]
	v_fma_f64 v[105:106], -v[99:100], v[101:102], 1.0
	v_fma_f64 v[101:102], v[101:102], v[105:106], v[101:102]
	v_fma_f64 v[105:106], -v[99:100], v[101:102], 1.0
	v_fma_f64 v[101:102], v[101:102], v[105:106], v[101:102]
	v_mul_f64 v[105:106], v[107:108], v[101:102]
	v_fma_f64 v[99:100], -v[99:100], v[105:106], v[107:108]
	v_div_fmas_f64 v[99:100], v[99:100], v[101:102], v[105:106]
	v_div_fixup_f64 v[101:102], v[99:100], v[97:98], 1.0
	v_mul_f64 v[103:104], v[103:104], -v[101:102]
.LBB101_169:
	s_or_b64 exec, exec, s[2:3]
	ds_write2_b64 v127, v[101:102], v[103:104] offset1:1
.LBB101_170:
	s_or_b64 exec, exec, s[4:5]
	s_waitcnt lgkmcnt(0)
	s_barrier
	ds_read2_b64 v[69:72], v127 offset1:1
	v_cmp_lt_u32_e32 vcc, 18, v0
	s_waitcnt lgkmcnt(0)
	buffer_store_dword v69, off, s[20:23], 0 offset:1136 ; 4-byte Folded Spill
	s_nop 0
	buffer_store_dword v70, off, s[20:23], 0 offset:1140 ; 4-byte Folded Spill
	buffer_store_dword v71, off, s[20:23], 0 offset:1144 ; 4-byte Folded Spill
	;; [unrolled: 1-line block ×3, first 2 shown]
	s_and_saveexec_b64 s[2:3], vcc
	s_cbranch_execz .LBB101_172
; %bb.171:
	buffer_load_dword v103, off, s[20:23], 0 offset:144 ; 4-byte Folded Reload
	buffer_load_dword v104, off, s[20:23], 0 offset:148 ; 4-byte Folded Reload
	;; [unrolled: 1-line block ×8, first 2 shown]
	s_waitcnt vmcnt(2)
	v_mul_f64 v[99:100], v[69:70], v[105:106]
	s_waitcnt vmcnt(0)
	v_mul_f64 v[97:98], v[71:72], v[105:106]
	v_fma_f64 v[105:106], v[71:72], v[103:104], v[99:100]
	ds_read2_b64 v[99:102], v125 offset0:38 offset1:39
	v_fma_f64 v[97:98], v[69:70], v[103:104], -v[97:98]
	buffer_load_dword v69, off, s[20:23], 0 offset:128 ; 4-byte Folded Reload
	buffer_load_dword v70, off, s[20:23], 0 offset:132 ; 4-byte Folded Reload
	buffer_load_dword v71, off, s[20:23], 0 offset:136 ; 4-byte Folded Reload
	buffer_load_dword v72, off, s[20:23], 0 offset:140 ; 4-byte Folded Reload
	s_waitcnt lgkmcnt(0)
	v_mul_f64 v[103:104], v[101:102], v[105:106]
	v_fma_f64 v[103:104], v[99:100], v[97:98], -v[103:104]
	v_mul_f64 v[99:100], v[99:100], v[105:106]
	v_fma_f64 v[99:100], v[101:102], v[97:98], v[99:100]
	s_waitcnt vmcnt(2)
	v_add_f64 v[69:70], v[69:70], -v[103:104]
	s_waitcnt vmcnt(0)
	v_add_f64 v[71:72], v[71:72], -v[99:100]
	buffer_store_dword v69, off, s[20:23], 0 offset:128 ; 4-byte Folded Spill
	s_nop 0
	buffer_store_dword v70, off, s[20:23], 0 offset:132 ; 4-byte Folded Spill
	buffer_store_dword v71, off, s[20:23], 0 offset:136 ; 4-byte Folded Spill
	buffer_store_dword v72, off, s[20:23], 0 offset:140 ; 4-byte Folded Spill
	ds_read2_b64 v[99:102], v125 offset0:40 offset1:41
	buffer_load_dword v69, off, s[20:23], 0 offset:112 ; 4-byte Folded Reload
	buffer_load_dword v70, off, s[20:23], 0 offset:116 ; 4-byte Folded Reload
	buffer_load_dword v71, off, s[20:23], 0 offset:120 ; 4-byte Folded Reload
	buffer_load_dword v72, off, s[20:23], 0 offset:124 ; 4-byte Folded Reload
	s_waitcnt lgkmcnt(0)
	v_mul_f64 v[103:104], v[101:102], v[105:106]
	v_fma_f64 v[103:104], v[99:100], v[97:98], -v[103:104]
	v_mul_f64 v[99:100], v[99:100], v[105:106]
	v_fma_f64 v[99:100], v[101:102], v[97:98], v[99:100]
	s_waitcnt vmcnt(2)
	v_add_f64 v[69:70], v[69:70], -v[103:104]
	s_waitcnt vmcnt(0)
	v_add_f64 v[71:72], v[71:72], -v[99:100]
	buffer_store_dword v69, off, s[20:23], 0 offset:112 ; 4-byte Folded Spill
	s_nop 0
	buffer_store_dword v70, off, s[20:23], 0 offset:116 ; 4-byte Folded Spill
	buffer_store_dword v71, off, s[20:23], 0 offset:120 ; 4-byte Folded Spill
	buffer_store_dword v72, off, s[20:23], 0 offset:124 ; 4-byte Folded Spill
	ds_read2_b64 v[99:102], v125 offset0:42 offset1:43
	;; [unrolled: 19-line block ×6, first 2 shown]
	v_mov_b32_e32 v69, v73
	v_mov_b32_e32 v70, v74
	;; [unrolled: 1-line block ×4, first 2 shown]
	s_waitcnt lgkmcnt(0)
	v_mul_f64 v[103:104], v[101:102], v[105:106]
	v_fma_f64 v[103:104], v[99:100], v[97:98], -v[103:104]
	v_mul_f64 v[99:100], v[99:100], v[105:106]
	v_add_f64 v[121:122], v[121:122], -v[103:104]
	v_fma_f64 v[99:100], v[101:102], v[97:98], v[99:100]
	v_add_f64 v[123:124], v[123:124], -v[99:100]
	ds_read2_b64 v[99:102], v125 offset0:52 offset1:53
	s_waitcnt lgkmcnt(0)
	v_mul_f64 v[103:104], v[101:102], v[105:106]
	v_fma_f64 v[103:104], v[99:100], v[97:98], -v[103:104]
	v_mul_f64 v[99:100], v[99:100], v[105:106]
	v_add_f64 v[117:118], v[117:118], -v[103:104]
	v_fma_f64 v[99:100], v[101:102], v[97:98], v[99:100]
	v_add_f64 v[119:120], v[119:120], -v[99:100]
	ds_read2_b64 v[99:102], v125 offset0:54 offset1:55
	s_waitcnt lgkmcnt(0)
	v_mul_f64 v[103:104], v[101:102], v[105:106]
	v_fma_f64 v[103:104], v[99:100], v[97:98], -v[103:104]
	v_mul_f64 v[99:100], v[99:100], v[105:106]
	v_add_f64 v[109:110], v[109:110], -v[103:104]
	v_fma_f64 v[99:100], v[101:102], v[97:98], v[99:100]
	v_add_f64 v[111:112], v[111:112], -v[99:100]
	ds_read2_b64 v[99:102], v125 offset0:56 offset1:57
	s_waitcnt lgkmcnt(0)
	v_mul_f64 v[103:104], v[101:102], v[105:106]
	v_fma_f64 v[103:104], v[99:100], v[97:98], -v[103:104]
	v_mul_f64 v[99:100], v[99:100], v[105:106]
	v_add_f64 v[113:114], v[113:114], -v[103:104]
	v_fma_f64 v[99:100], v[101:102], v[97:98], v[99:100]
	v_add_f64 v[115:116], v[115:116], -v[99:100]
	ds_read2_b64 v[99:102], v125 offset0:58 offset1:59
	s_waitcnt lgkmcnt(0)
	v_mul_f64 v[103:104], v[101:102], v[105:106]
	v_fma_f64 v[103:104], v[99:100], v[97:98], -v[103:104]
	v_mul_f64 v[99:100], v[99:100], v[105:106]
	v_add_f64 v[93:94], v[93:94], -v[103:104]
	v_fma_f64 v[99:100], v[101:102], v[97:98], v[99:100]
	v_add_f64 v[95:96], v[95:96], -v[99:100]
	ds_read2_b64 v[99:102], v125 offset0:60 offset1:61
	buffer_load_dword v77, off, s[20:23], 0 offset:32 ; 4-byte Folded Reload
	buffer_load_dword v78, off, s[20:23], 0 offset:36 ; 4-byte Folded Reload
	;; [unrolled: 1-line block ×4, first 2 shown]
	s_waitcnt lgkmcnt(0)
	v_mul_f64 v[103:104], v[101:102], v[105:106]
	v_fma_f64 v[103:104], v[99:100], v[97:98], -v[103:104]
	v_mul_f64 v[99:100], v[99:100], v[105:106]
	v_fma_f64 v[99:100], v[101:102], v[97:98], v[99:100]
	s_waitcnt vmcnt(2)
	v_add_f64 v[77:78], v[77:78], -v[103:104]
	s_waitcnt vmcnt(0)
	v_add_f64 v[79:80], v[79:80], -v[99:100]
	buffer_store_dword v77, off, s[20:23], 0 offset:32 ; 4-byte Folded Spill
	s_nop 0
	buffer_store_dword v78, off, s[20:23], 0 offset:36 ; 4-byte Folded Spill
	buffer_store_dword v79, off, s[20:23], 0 offset:40 ; 4-byte Folded Spill
	;; [unrolled: 1-line block ×3, first 2 shown]
	ds_read2_b64 v[99:102], v125 offset0:62 offset1:63
	buffer_load_dword v73, off, s[20:23], 0 offset:16 ; 4-byte Folded Reload
	buffer_load_dword v74, off, s[20:23], 0 offset:20 ; 4-byte Folded Reload
	;; [unrolled: 1-line block ×4, first 2 shown]
	s_waitcnt lgkmcnt(0)
	v_mul_f64 v[103:104], v[101:102], v[105:106]
	v_fma_f64 v[103:104], v[99:100], v[97:98], -v[103:104]
	v_mul_f64 v[99:100], v[99:100], v[105:106]
	v_fma_f64 v[99:100], v[101:102], v[97:98], v[99:100]
	s_waitcnt vmcnt(2)
	v_add_f64 v[73:74], v[73:74], -v[103:104]
	s_waitcnt vmcnt(0)
	v_add_f64 v[75:76], v[75:76], -v[99:100]
	buffer_store_dword v73, off, s[20:23], 0 offset:16 ; 4-byte Folded Spill
	s_nop 0
	buffer_store_dword v74, off, s[20:23], 0 offset:20 ; 4-byte Folded Spill
	buffer_store_dword v75, off, s[20:23], 0 offset:24 ; 4-byte Folded Spill
	;; [unrolled: 1-line block ×3, first 2 shown]
	v_mov_b32_e32 v76, v72
	v_mov_b32_e32 v75, v71
	;; [unrolled: 1-line block ×4, first 2 shown]
	ds_read2_b64 v[99:102], v125 offset0:64 offset1:65
	buffer_load_dword v69, off, s[20:23], 0 ; 4-byte Folded Reload
	buffer_load_dword v70, off, s[20:23], 0 offset:4 ; 4-byte Folded Reload
	buffer_load_dword v71, off, s[20:23], 0 offset:8 ; 4-byte Folded Reload
	;; [unrolled: 1-line block ×3, first 2 shown]
	s_waitcnt lgkmcnt(0)
	v_mul_f64 v[103:104], v[101:102], v[105:106]
	v_fma_f64 v[103:104], v[99:100], v[97:98], -v[103:104]
	v_mul_f64 v[99:100], v[99:100], v[105:106]
	v_fma_f64 v[99:100], v[101:102], v[97:98], v[99:100]
	s_waitcnt vmcnt(2)
	v_add_f64 v[69:70], v[69:70], -v[103:104]
	s_waitcnt vmcnt(0)
	v_add_f64 v[71:72], v[71:72], -v[99:100]
	buffer_store_dword v69, off, s[20:23], 0 ; 4-byte Folded Spill
	s_nop 0
	buffer_store_dword v70, off, s[20:23], 0 offset:4 ; 4-byte Folded Spill
	buffer_store_dword v71, off, s[20:23], 0 offset:8 ; 4-byte Folded Spill
	;; [unrolled: 1-line block ×3, first 2 shown]
	ds_read2_b64 v[99:102], v125 offset0:66 offset1:67
	s_waitcnt lgkmcnt(0)
	v_mul_f64 v[103:104], v[101:102], v[105:106]
	v_fma_f64 v[103:104], v[99:100], v[97:98], -v[103:104]
	v_mul_f64 v[99:100], v[99:100], v[105:106]
	v_add_f64 v[65:66], v[65:66], -v[103:104]
	v_fma_f64 v[99:100], v[101:102], v[97:98], v[99:100]
	v_add_f64 v[67:68], v[67:68], -v[99:100]
	ds_read2_b64 v[99:102], v125 offset0:68 offset1:69
	s_waitcnt lgkmcnt(0)
	v_mul_f64 v[103:104], v[101:102], v[105:106]
	v_fma_f64 v[103:104], v[99:100], v[97:98], -v[103:104]
	v_mul_f64 v[99:100], v[99:100], v[105:106]
	v_add_f64 v[61:62], v[61:62], -v[103:104]
	v_fma_f64 v[99:100], v[101:102], v[97:98], v[99:100]
	v_add_f64 v[63:64], v[63:64], -v[99:100]
	;; [unrolled: 8-line block ×17, first 2 shown]
	ds_read2_b64 v[99:102], v125 offset0:100 offset1:101
	s_waitcnt lgkmcnt(0)
	v_mul_f64 v[103:104], v[101:102], v[105:106]
	v_fma_f64 v[103:104], v[99:100], v[97:98], -v[103:104]
	v_mul_f64 v[99:100], v[99:100], v[105:106]
	v_add_f64 v[73:74], v[73:74], -v[103:104]
	v_fma_f64 v[99:100], v[101:102], v[97:98], v[99:100]
	v_mov_b32_e32 v104, v98
	v_mov_b32_e32 v103, v97
	buffer_store_dword v103, off, s[20:23], 0 offset:144 ; 4-byte Folded Spill
	s_nop 0
	buffer_store_dword v104, off, s[20:23], 0 offset:148 ; 4-byte Folded Spill
	buffer_store_dword v105, off, s[20:23], 0 offset:152 ; 4-byte Folded Spill
	;; [unrolled: 1-line block ×3, first 2 shown]
	v_add_f64 v[75:76], v[75:76], -v[99:100]
.LBB101_172:
	s_or_b64 exec, exec, s[2:3]
	v_cmp_eq_u32_e32 vcc, 19, v0
	s_waitcnt vmcnt(0)
	s_barrier
	s_and_saveexec_b64 s[4:5], vcc
	s_cbranch_execz .LBB101_179
; %bb.173:
	buffer_load_dword v69, off, s[20:23], 0 offset:128 ; 4-byte Folded Reload
	buffer_load_dword v70, off, s[20:23], 0 offset:132 ; 4-byte Folded Reload
	;; [unrolled: 1-line block ×4, first 2 shown]
	s_waitcnt vmcnt(0)
	ds_write2_b64 v127, v[69:70], v[71:72] offset1:1
	buffer_load_dword v69, off, s[20:23], 0 offset:112 ; 4-byte Folded Reload
	buffer_load_dword v70, off, s[20:23], 0 offset:116 ; 4-byte Folded Reload
	buffer_load_dword v71, off, s[20:23], 0 offset:120 ; 4-byte Folded Reload
	buffer_load_dword v72, off, s[20:23], 0 offset:124 ; 4-byte Folded Reload
	s_waitcnt vmcnt(0)
	ds_write2_b64 v125, v[69:70], v[71:72] offset0:40 offset1:41
	buffer_load_dword v69, off, s[20:23], 0 offset:96 ; 4-byte Folded Reload
	buffer_load_dword v70, off, s[20:23], 0 offset:100 ; 4-byte Folded Reload
	buffer_load_dword v71, off, s[20:23], 0 offset:104 ; 4-byte Folded Reload
	buffer_load_dword v72, off, s[20:23], 0 offset:108 ; 4-byte Folded Reload
	s_waitcnt vmcnt(0)
	ds_write2_b64 v125, v[69:70], v[71:72] offset0:42 offset1:43
	;; [unrolled: 6-line block ×5, first 2 shown]
	ds_write2_b64 v125, v[121:122], v[123:124] offset0:50 offset1:51
	ds_write2_b64 v125, v[117:118], v[119:120] offset0:52 offset1:53
	;; [unrolled: 1-line block ×5, first 2 shown]
	buffer_load_dword v77, off, s[20:23], 0 offset:32 ; 4-byte Folded Reload
	buffer_load_dword v78, off, s[20:23], 0 offset:36 ; 4-byte Folded Reload
	;; [unrolled: 1-line block ×4, first 2 shown]
	v_mov_b32_e32 v69, v73
	v_mov_b32_e32 v70, v74
	;; [unrolled: 1-line block ×4, first 2 shown]
	s_waitcnt vmcnt(0)
	ds_write2_b64 v125, v[77:78], v[79:80] offset0:60 offset1:61
	buffer_load_dword v73, off, s[20:23], 0 offset:16 ; 4-byte Folded Reload
	buffer_load_dword v74, off, s[20:23], 0 offset:20 ; 4-byte Folded Reload
	;; [unrolled: 1-line block ×4, first 2 shown]
	s_waitcnt vmcnt(0)
	ds_write2_b64 v125, v[73:74], v[75:76] offset0:62 offset1:63
	v_mov_b32_e32 v76, v72
	v_mov_b32_e32 v75, v71
	;; [unrolled: 1-line block ×4, first 2 shown]
	buffer_load_dword v69, off, s[20:23], 0 ; 4-byte Folded Reload
	buffer_load_dword v70, off, s[20:23], 0 offset:4 ; 4-byte Folded Reload
	buffer_load_dword v71, off, s[20:23], 0 offset:8 ; 4-byte Folded Reload
	;; [unrolled: 1-line block ×3, first 2 shown]
	s_waitcnt vmcnt(0)
	ds_write2_b64 v125, v[69:70], v[71:72] offset0:64 offset1:65
	ds_write2_b64 v125, v[65:66], v[67:68] offset0:66 offset1:67
	;; [unrolled: 1-line block ×19, first 2 shown]
	ds_read2_b64 v[97:100], v127 offset1:1
	s_waitcnt lgkmcnt(0)
	v_cmp_neq_f64_e32 vcc, 0, v[97:98]
	v_cmp_neq_f64_e64 s[2:3], 0, v[99:100]
	s_or_b64 s[2:3], vcc, s[2:3]
	s_and_b64 exec, exec, s[2:3]
	s_cbranch_execz .LBB101_179
; %bb.174:
	v_cmp_ngt_f64_e64 s[2:3], |v[97:98]|, |v[99:100]|
                                        ; implicit-def: $vgpr101_vgpr102
	s_and_saveexec_b64 s[6:7], s[2:3]
	s_xor_b64 s[2:3], exec, s[6:7]
                                        ; implicit-def: $vgpr103_vgpr104
	s_cbranch_execz .LBB101_176
; %bb.175:
	v_div_scale_f64 v[101:102], s[6:7], v[99:100], v[99:100], v[97:98]
	v_rcp_f64_e32 v[103:104], v[101:102]
	v_fma_f64 v[105:106], -v[101:102], v[103:104], 1.0
	v_fma_f64 v[103:104], v[103:104], v[105:106], v[103:104]
	v_div_scale_f64 v[105:106], vcc, v[97:98], v[99:100], v[97:98]
	v_fma_f64 v[107:108], -v[101:102], v[103:104], 1.0
	v_fma_f64 v[103:104], v[103:104], v[107:108], v[103:104]
	v_mul_f64 v[107:108], v[105:106], v[103:104]
	v_fma_f64 v[101:102], -v[101:102], v[107:108], v[105:106]
	v_div_fmas_f64 v[101:102], v[101:102], v[103:104], v[107:108]
	v_div_fixup_f64 v[101:102], v[101:102], v[99:100], v[97:98]
	v_fma_f64 v[97:98], v[97:98], v[101:102], v[99:100]
	v_div_scale_f64 v[99:100], s[6:7], v[97:98], v[97:98], 1.0
	v_div_scale_f64 v[107:108], vcc, 1.0, v[97:98], 1.0
	v_rcp_f64_e32 v[103:104], v[99:100]
	v_fma_f64 v[105:106], -v[99:100], v[103:104], 1.0
	v_fma_f64 v[103:104], v[103:104], v[105:106], v[103:104]
	v_fma_f64 v[105:106], -v[99:100], v[103:104], 1.0
	v_fma_f64 v[103:104], v[103:104], v[105:106], v[103:104]
	v_mul_f64 v[105:106], v[107:108], v[103:104]
	v_fma_f64 v[99:100], -v[99:100], v[105:106], v[107:108]
	v_div_fmas_f64 v[99:100], v[99:100], v[103:104], v[105:106]
	v_div_fixup_f64 v[103:104], v[99:100], v[97:98], 1.0
                                        ; implicit-def: $vgpr97_vgpr98
	v_mul_f64 v[101:102], v[101:102], v[103:104]
	v_xor_b32_e32 v104, 0x80000000, v104
.LBB101_176:
	s_andn2_saveexec_b64 s[2:3], s[2:3]
	s_cbranch_execz .LBB101_178
; %bb.177:
	v_div_scale_f64 v[101:102], s[6:7], v[97:98], v[97:98], v[99:100]
	v_rcp_f64_e32 v[103:104], v[101:102]
	v_fma_f64 v[105:106], -v[101:102], v[103:104], 1.0
	v_fma_f64 v[103:104], v[103:104], v[105:106], v[103:104]
	v_div_scale_f64 v[105:106], vcc, v[99:100], v[97:98], v[99:100]
	v_fma_f64 v[107:108], -v[101:102], v[103:104], 1.0
	v_fma_f64 v[103:104], v[103:104], v[107:108], v[103:104]
	v_mul_f64 v[107:108], v[105:106], v[103:104]
	v_fma_f64 v[101:102], -v[101:102], v[107:108], v[105:106]
	v_div_fmas_f64 v[101:102], v[101:102], v[103:104], v[107:108]
	v_div_fixup_f64 v[103:104], v[101:102], v[97:98], v[99:100]
	v_fma_f64 v[97:98], v[99:100], v[103:104], v[97:98]
	v_div_scale_f64 v[99:100], s[6:7], v[97:98], v[97:98], 1.0
	v_div_scale_f64 v[107:108], vcc, 1.0, v[97:98], 1.0
	v_rcp_f64_e32 v[101:102], v[99:100]
	v_fma_f64 v[105:106], -v[99:100], v[101:102], 1.0
	v_fma_f64 v[101:102], v[101:102], v[105:106], v[101:102]
	v_fma_f64 v[105:106], -v[99:100], v[101:102], 1.0
	v_fma_f64 v[101:102], v[101:102], v[105:106], v[101:102]
	v_mul_f64 v[105:106], v[107:108], v[101:102]
	v_fma_f64 v[99:100], -v[99:100], v[105:106], v[107:108]
	v_div_fmas_f64 v[99:100], v[99:100], v[101:102], v[105:106]
	v_div_fixup_f64 v[101:102], v[99:100], v[97:98], 1.0
	v_mul_f64 v[103:104], v[103:104], -v[101:102]
.LBB101_178:
	s_or_b64 exec, exec, s[2:3]
	ds_write2_b64 v127, v[101:102], v[103:104] offset1:1
.LBB101_179:
	s_or_b64 exec, exec, s[4:5]
	s_waitcnt lgkmcnt(0)
	s_barrier
	ds_read2_b64 v[69:72], v127 offset1:1
	v_cmp_lt_u32_e32 vcc, 19, v0
	s_waitcnt lgkmcnt(0)
	buffer_store_dword v69, off, s[20:23], 0 offset:1152 ; 4-byte Folded Spill
	s_nop 0
	buffer_store_dword v70, off, s[20:23], 0 offset:1156 ; 4-byte Folded Spill
	buffer_store_dword v71, off, s[20:23], 0 offset:1160 ; 4-byte Folded Spill
	;; [unrolled: 1-line block ×3, first 2 shown]
	s_and_saveexec_b64 s[2:3], vcc
	s_cbranch_execz .LBB101_181
; %bb.180:
	buffer_load_dword v103, off, s[20:23], 0 offset:128 ; 4-byte Folded Reload
	buffer_load_dword v104, off, s[20:23], 0 offset:132 ; 4-byte Folded Reload
	;; [unrolled: 1-line block ×8, first 2 shown]
	s_waitcnt vmcnt(2)
	v_mul_f64 v[99:100], v[69:70], v[105:106]
	s_waitcnt vmcnt(0)
	v_mul_f64 v[97:98], v[71:72], v[105:106]
	v_fma_f64 v[105:106], v[71:72], v[103:104], v[99:100]
	ds_read2_b64 v[99:102], v125 offset0:40 offset1:41
	v_fma_f64 v[97:98], v[69:70], v[103:104], -v[97:98]
	buffer_load_dword v69, off, s[20:23], 0 offset:112 ; 4-byte Folded Reload
	buffer_load_dword v70, off, s[20:23], 0 offset:116 ; 4-byte Folded Reload
	buffer_load_dword v71, off, s[20:23], 0 offset:120 ; 4-byte Folded Reload
	buffer_load_dword v72, off, s[20:23], 0 offset:124 ; 4-byte Folded Reload
	s_waitcnt lgkmcnt(0)
	v_mul_f64 v[103:104], v[101:102], v[105:106]
	v_fma_f64 v[103:104], v[99:100], v[97:98], -v[103:104]
	v_mul_f64 v[99:100], v[99:100], v[105:106]
	v_fma_f64 v[99:100], v[101:102], v[97:98], v[99:100]
	s_waitcnt vmcnt(2)
	v_add_f64 v[69:70], v[69:70], -v[103:104]
	s_waitcnt vmcnt(0)
	v_add_f64 v[71:72], v[71:72], -v[99:100]
	buffer_store_dword v69, off, s[20:23], 0 offset:112 ; 4-byte Folded Spill
	s_nop 0
	buffer_store_dword v70, off, s[20:23], 0 offset:116 ; 4-byte Folded Spill
	buffer_store_dword v71, off, s[20:23], 0 offset:120 ; 4-byte Folded Spill
	buffer_store_dword v72, off, s[20:23], 0 offset:124 ; 4-byte Folded Spill
	ds_read2_b64 v[99:102], v125 offset0:42 offset1:43
	buffer_load_dword v69, off, s[20:23], 0 offset:96 ; 4-byte Folded Reload
	buffer_load_dword v70, off, s[20:23], 0 offset:100 ; 4-byte Folded Reload
	buffer_load_dword v71, off, s[20:23], 0 offset:104 ; 4-byte Folded Reload
	buffer_load_dword v72, off, s[20:23], 0 offset:108 ; 4-byte Folded Reload
	s_waitcnt lgkmcnt(0)
	v_mul_f64 v[103:104], v[101:102], v[105:106]
	v_fma_f64 v[103:104], v[99:100], v[97:98], -v[103:104]
	v_mul_f64 v[99:100], v[99:100], v[105:106]
	v_fma_f64 v[99:100], v[101:102], v[97:98], v[99:100]
	s_waitcnt vmcnt(2)
	v_add_f64 v[69:70], v[69:70], -v[103:104]
	s_waitcnt vmcnt(0)
	v_add_f64 v[71:72], v[71:72], -v[99:100]
	buffer_store_dword v69, off, s[20:23], 0 offset:96 ; 4-byte Folded Spill
	s_nop 0
	buffer_store_dword v70, off, s[20:23], 0 offset:100 ; 4-byte Folded Spill
	buffer_store_dword v71, off, s[20:23], 0 offset:104 ; 4-byte Folded Spill
	buffer_store_dword v72, off, s[20:23], 0 offset:108 ; 4-byte Folded Spill
	ds_read2_b64 v[99:102], v125 offset0:44 offset1:45
	;; [unrolled: 19-line block ×5, first 2 shown]
	v_mov_b32_e32 v69, v73
	v_mov_b32_e32 v70, v74
	;; [unrolled: 1-line block ×4, first 2 shown]
	s_waitcnt lgkmcnt(0)
	v_mul_f64 v[103:104], v[101:102], v[105:106]
	v_fma_f64 v[103:104], v[99:100], v[97:98], -v[103:104]
	v_mul_f64 v[99:100], v[99:100], v[105:106]
	v_add_f64 v[121:122], v[121:122], -v[103:104]
	v_fma_f64 v[99:100], v[101:102], v[97:98], v[99:100]
	v_add_f64 v[123:124], v[123:124], -v[99:100]
	ds_read2_b64 v[99:102], v125 offset0:52 offset1:53
	s_waitcnt lgkmcnt(0)
	v_mul_f64 v[103:104], v[101:102], v[105:106]
	v_fma_f64 v[103:104], v[99:100], v[97:98], -v[103:104]
	v_mul_f64 v[99:100], v[99:100], v[105:106]
	v_add_f64 v[117:118], v[117:118], -v[103:104]
	v_fma_f64 v[99:100], v[101:102], v[97:98], v[99:100]
	v_add_f64 v[119:120], v[119:120], -v[99:100]
	ds_read2_b64 v[99:102], v125 offset0:54 offset1:55
	s_waitcnt lgkmcnt(0)
	v_mul_f64 v[103:104], v[101:102], v[105:106]
	v_fma_f64 v[103:104], v[99:100], v[97:98], -v[103:104]
	v_mul_f64 v[99:100], v[99:100], v[105:106]
	v_add_f64 v[109:110], v[109:110], -v[103:104]
	v_fma_f64 v[99:100], v[101:102], v[97:98], v[99:100]
	v_add_f64 v[111:112], v[111:112], -v[99:100]
	ds_read2_b64 v[99:102], v125 offset0:56 offset1:57
	s_waitcnt lgkmcnt(0)
	v_mul_f64 v[103:104], v[101:102], v[105:106]
	v_fma_f64 v[103:104], v[99:100], v[97:98], -v[103:104]
	v_mul_f64 v[99:100], v[99:100], v[105:106]
	v_add_f64 v[113:114], v[113:114], -v[103:104]
	v_fma_f64 v[99:100], v[101:102], v[97:98], v[99:100]
	v_add_f64 v[115:116], v[115:116], -v[99:100]
	ds_read2_b64 v[99:102], v125 offset0:58 offset1:59
	s_waitcnt lgkmcnt(0)
	v_mul_f64 v[103:104], v[101:102], v[105:106]
	v_fma_f64 v[103:104], v[99:100], v[97:98], -v[103:104]
	v_mul_f64 v[99:100], v[99:100], v[105:106]
	v_add_f64 v[93:94], v[93:94], -v[103:104]
	v_fma_f64 v[99:100], v[101:102], v[97:98], v[99:100]
	v_add_f64 v[95:96], v[95:96], -v[99:100]
	ds_read2_b64 v[99:102], v125 offset0:60 offset1:61
	buffer_load_dword v77, off, s[20:23], 0 offset:32 ; 4-byte Folded Reload
	buffer_load_dword v78, off, s[20:23], 0 offset:36 ; 4-byte Folded Reload
	;; [unrolled: 1-line block ×4, first 2 shown]
	s_waitcnt lgkmcnt(0)
	v_mul_f64 v[103:104], v[101:102], v[105:106]
	v_fma_f64 v[103:104], v[99:100], v[97:98], -v[103:104]
	v_mul_f64 v[99:100], v[99:100], v[105:106]
	v_fma_f64 v[99:100], v[101:102], v[97:98], v[99:100]
	s_waitcnt vmcnt(2)
	v_add_f64 v[77:78], v[77:78], -v[103:104]
	s_waitcnt vmcnt(0)
	v_add_f64 v[79:80], v[79:80], -v[99:100]
	buffer_store_dword v77, off, s[20:23], 0 offset:32 ; 4-byte Folded Spill
	s_nop 0
	buffer_store_dword v78, off, s[20:23], 0 offset:36 ; 4-byte Folded Spill
	buffer_store_dword v79, off, s[20:23], 0 offset:40 ; 4-byte Folded Spill
	;; [unrolled: 1-line block ×3, first 2 shown]
	ds_read2_b64 v[99:102], v125 offset0:62 offset1:63
	buffer_load_dword v73, off, s[20:23], 0 offset:16 ; 4-byte Folded Reload
	buffer_load_dword v74, off, s[20:23], 0 offset:20 ; 4-byte Folded Reload
	;; [unrolled: 1-line block ×4, first 2 shown]
	s_waitcnt lgkmcnt(0)
	v_mul_f64 v[103:104], v[101:102], v[105:106]
	v_fma_f64 v[103:104], v[99:100], v[97:98], -v[103:104]
	v_mul_f64 v[99:100], v[99:100], v[105:106]
	v_fma_f64 v[99:100], v[101:102], v[97:98], v[99:100]
	s_waitcnt vmcnt(2)
	v_add_f64 v[73:74], v[73:74], -v[103:104]
	s_waitcnt vmcnt(0)
	v_add_f64 v[75:76], v[75:76], -v[99:100]
	buffer_store_dword v73, off, s[20:23], 0 offset:16 ; 4-byte Folded Spill
	s_nop 0
	buffer_store_dword v74, off, s[20:23], 0 offset:20 ; 4-byte Folded Spill
	buffer_store_dword v75, off, s[20:23], 0 offset:24 ; 4-byte Folded Spill
	;; [unrolled: 1-line block ×3, first 2 shown]
	v_mov_b32_e32 v76, v72
	v_mov_b32_e32 v75, v71
	;; [unrolled: 1-line block ×4, first 2 shown]
	ds_read2_b64 v[99:102], v125 offset0:64 offset1:65
	buffer_load_dword v69, off, s[20:23], 0 ; 4-byte Folded Reload
	buffer_load_dword v70, off, s[20:23], 0 offset:4 ; 4-byte Folded Reload
	buffer_load_dword v71, off, s[20:23], 0 offset:8 ; 4-byte Folded Reload
	;; [unrolled: 1-line block ×3, first 2 shown]
	s_waitcnt lgkmcnt(0)
	v_mul_f64 v[103:104], v[101:102], v[105:106]
	v_fma_f64 v[103:104], v[99:100], v[97:98], -v[103:104]
	v_mul_f64 v[99:100], v[99:100], v[105:106]
	v_fma_f64 v[99:100], v[101:102], v[97:98], v[99:100]
	s_waitcnt vmcnt(2)
	v_add_f64 v[69:70], v[69:70], -v[103:104]
	s_waitcnt vmcnt(0)
	v_add_f64 v[71:72], v[71:72], -v[99:100]
	buffer_store_dword v69, off, s[20:23], 0 ; 4-byte Folded Spill
	s_nop 0
	buffer_store_dword v70, off, s[20:23], 0 offset:4 ; 4-byte Folded Spill
	buffer_store_dword v71, off, s[20:23], 0 offset:8 ; 4-byte Folded Spill
	;; [unrolled: 1-line block ×3, first 2 shown]
	ds_read2_b64 v[99:102], v125 offset0:66 offset1:67
	s_waitcnt lgkmcnt(0)
	v_mul_f64 v[103:104], v[101:102], v[105:106]
	v_fma_f64 v[103:104], v[99:100], v[97:98], -v[103:104]
	v_mul_f64 v[99:100], v[99:100], v[105:106]
	v_add_f64 v[65:66], v[65:66], -v[103:104]
	v_fma_f64 v[99:100], v[101:102], v[97:98], v[99:100]
	v_add_f64 v[67:68], v[67:68], -v[99:100]
	ds_read2_b64 v[99:102], v125 offset0:68 offset1:69
	s_waitcnt lgkmcnt(0)
	v_mul_f64 v[103:104], v[101:102], v[105:106]
	v_fma_f64 v[103:104], v[99:100], v[97:98], -v[103:104]
	v_mul_f64 v[99:100], v[99:100], v[105:106]
	v_add_f64 v[61:62], v[61:62], -v[103:104]
	v_fma_f64 v[99:100], v[101:102], v[97:98], v[99:100]
	v_add_f64 v[63:64], v[63:64], -v[99:100]
	;; [unrolled: 8-line block ×17, first 2 shown]
	ds_read2_b64 v[99:102], v125 offset0:100 offset1:101
	s_waitcnt lgkmcnt(0)
	v_mul_f64 v[103:104], v[101:102], v[105:106]
	v_fma_f64 v[103:104], v[99:100], v[97:98], -v[103:104]
	v_mul_f64 v[99:100], v[99:100], v[105:106]
	v_add_f64 v[73:74], v[73:74], -v[103:104]
	v_fma_f64 v[99:100], v[101:102], v[97:98], v[99:100]
	v_mov_b32_e32 v104, v98
	v_mov_b32_e32 v103, v97
	buffer_store_dword v103, off, s[20:23], 0 offset:128 ; 4-byte Folded Spill
	s_nop 0
	buffer_store_dword v104, off, s[20:23], 0 offset:132 ; 4-byte Folded Spill
	buffer_store_dword v105, off, s[20:23], 0 offset:136 ; 4-byte Folded Spill
	;; [unrolled: 1-line block ×3, first 2 shown]
	v_add_f64 v[75:76], v[75:76], -v[99:100]
.LBB101_181:
	s_or_b64 exec, exec, s[2:3]
	v_cmp_eq_u32_e32 vcc, 20, v0
	s_waitcnt vmcnt(0)
	s_barrier
	s_and_saveexec_b64 s[4:5], vcc
	s_cbranch_execz .LBB101_188
; %bb.182:
	buffer_load_dword v69, off, s[20:23], 0 offset:112 ; 4-byte Folded Reload
	buffer_load_dword v70, off, s[20:23], 0 offset:116 ; 4-byte Folded Reload
	;; [unrolled: 1-line block ×4, first 2 shown]
	s_waitcnt vmcnt(0)
	ds_write2_b64 v127, v[69:70], v[71:72] offset1:1
	buffer_load_dword v69, off, s[20:23], 0 offset:96 ; 4-byte Folded Reload
	buffer_load_dword v70, off, s[20:23], 0 offset:100 ; 4-byte Folded Reload
	buffer_load_dword v71, off, s[20:23], 0 offset:104 ; 4-byte Folded Reload
	buffer_load_dword v72, off, s[20:23], 0 offset:108 ; 4-byte Folded Reload
	s_waitcnt vmcnt(0)
	ds_write2_b64 v125, v[69:70], v[71:72] offset0:42 offset1:43
	buffer_load_dword v69, off, s[20:23], 0 offset:80 ; 4-byte Folded Reload
	buffer_load_dword v70, off, s[20:23], 0 offset:84 ; 4-byte Folded Reload
	buffer_load_dword v71, off, s[20:23], 0 offset:88 ; 4-byte Folded Reload
	buffer_load_dword v72, off, s[20:23], 0 offset:92 ; 4-byte Folded Reload
	s_waitcnt vmcnt(0)
	ds_write2_b64 v125, v[69:70], v[71:72] offset0:44 offset1:45
	;; [unrolled: 6-line block ×4, first 2 shown]
	ds_write2_b64 v125, v[121:122], v[123:124] offset0:50 offset1:51
	ds_write2_b64 v125, v[117:118], v[119:120] offset0:52 offset1:53
	;; [unrolled: 1-line block ×5, first 2 shown]
	buffer_load_dword v77, off, s[20:23], 0 offset:32 ; 4-byte Folded Reload
	buffer_load_dword v78, off, s[20:23], 0 offset:36 ; 4-byte Folded Reload
	;; [unrolled: 1-line block ×4, first 2 shown]
	v_mov_b32_e32 v69, v73
	v_mov_b32_e32 v70, v74
	;; [unrolled: 1-line block ×4, first 2 shown]
	s_waitcnt vmcnt(0)
	ds_write2_b64 v125, v[77:78], v[79:80] offset0:60 offset1:61
	buffer_load_dword v73, off, s[20:23], 0 offset:16 ; 4-byte Folded Reload
	buffer_load_dword v74, off, s[20:23], 0 offset:20 ; 4-byte Folded Reload
	;; [unrolled: 1-line block ×4, first 2 shown]
	s_waitcnt vmcnt(0)
	ds_write2_b64 v125, v[73:74], v[75:76] offset0:62 offset1:63
	v_mov_b32_e32 v76, v72
	v_mov_b32_e32 v75, v71
	;; [unrolled: 1-line block ×4, first 2 shown]
	buffer_load_dword v69, off, s[20:23], 0 ; 4-byte Folded Reload
	buffer_load_dword v70, off, s[20:23], 0 offset:4 ; 4-byte Folded Reload
	buffer_load_dword v71, off, s[20:23], 0 offset:8 ; 4-byte Folded Reload
	;; [unrolled: 1-line block ×3, first 2 shown]
	s_waitcnt vmcnt(0)
	ds_write2_b64 v125, v[69:70], v[71:72] offset0:64 offset1:65
	ds_write2_b64 v125, v[65:66], v[67:68] offset0:66 offset1:67
	;; [unrolled: 1-line block ×19, first 2 shown]
	ds_read2_b64 v[97:100], v127 offset1:1
	s_waitcnt lgkmcnt(0)
	v_cmp_neq_f64_e32 vcc, 0, v[97:98]
	v_cmp_neq_f64_e64 s[2:3], 0, v[99:100]
	s_or_b64 s[2:3], vcc, s[2:3]
	s_and_b64 exec, exec, s[2:3]
	s_cbranch_execz .LBB101_188
; %bb.183:
	v_cmp_ngt_f64_e64 s[2:3], |v[97:98]|, |v[99:100]|
                                        ; implicit-def: $vgpr101_vgpr102
	s_and_saveexec_b64 s[6:7], s[2:3]
	s_xor_b64 s[2:3], exec, s[6:7]
                                        ; implicit-def: $vgpr103_vgpr104
	s_cbranch_execz .LBB101_185
; %bb.184:
	v_div_scale_f64 v[101:102], s[6:7], v[99:100], v[99:100], v[97:98]
	v_rcp_f64_e32 v[103:104], v[101:102]
	v_fma_f64 v[105:106], -v[101:102], v[103:104], 1.0
	v_fma_f64 v[103:104], v[103:104], v[105:106], v[103:104]
	v_div_scale_f64 v[105:106], vcc, v[97:98], v[99:100], v[97:98]
	v_fma_f64 v[107:108], -v[101:102], v[103:104], 1.0
	v_fma_f64 v[103:104], v[103:104], v[107:108], v[103:104]
	v_mul_f64 v[107:108], v[105:106], v[103:104]
	v_fma_f64 v[101:102], -v[101:102], v[107:108], v[105:106]
	v_div_fmas_f64 v[101:102], v[101:102], v[103:104], v[107:108]
	v_div_fixup_f64 v[101:102], v[101:102], v[99:100], v[97:98]
	v_fma_f64 v[97:98], v[97:98], v[101:102], v[99:100]
	v_div_scale_f64 v[99:100], s[6:7], v[97:98], v[97:98], 1.0
	v_div_scale_f64 v[107:108], vcc, 1.0, v[97:98], 1.0
	v_rcp_f64_e32 v[103:104], v[99:100]
	v_fma_f64 v[105:106], -v[99:100], v[103:104], 1.0
	v_fma_f64 v[103:104], v[103:104], v[105:106], v[103:104]
	v_fma_f64 v[105:106], -v[99:100], v[103:104], 1.0
	v_fma_f64 v[103:104], v[103:104], v[105:106], v[103:104]
	v_mul_f64 v[105:106], v[107:108], v[103:104]
	v_fma_f64 v[99:100], -v[99:100], v[105:106], v[107:108]
	v_div_fmas_f64 v[99:100], v[99:100], v[103:104], v[105:106]
	v_div_fixup_f64 v[103:104], v[99:100], v[97:98], 1.0
                                        ; implicit-def: $vgpr97_vgpr98
	v_mul_f64 v[101:102], v[101:102], v[103:104]
	v_xor_b32_e32 v104, 0x80000000, v104
.LBB101_185:
	s_andn2_saveexec_b64 s[2:3], s[2:3]
	s_cbranch_execz .LBB101_187
; %bb.186:
	v_div_scale_f64 v[101:102], s[6:7], v[97:98], v[97:98], v[99:100]
	v_rcp_f64_e32 v[103:104], v[101:102]
	v_fma_f64 v[105:106], -v[101:102], v[103:104], 1.0
	v_fma_f64 v[103:104], v[103:104], v[105:106], v[103:104]
	v_div_scale_f64 v[105:106], vcc, v[99:100], v[97:98], v[99:100]
	v_fma_f64 v[107:108], -v[101:102], v[103:104], 1.0
	v_fma_f64 v[103:104], v[103:104], v[107:108], v[103:104]
	v_mul_f64 v[107:108], v[105:106], v[103:104]
	v_fma_f64 v[101:102], -v[101:102], v[107:108], v[105:106]
	v_div_fmas_f64 v[101:102], v[101:102], v[103:104], v[107:108]
	v_div_fixup_f64 v[103:104], v[101:102], v[97:98], v[99:100]
	v_fma_f64 v[97:98], v[99:100], v[103:104], v[97:98]
	v_div_scale_f64 v[99:100], s[6:7], v[97:98], v[97:98], 1.0
	v_div_scale_f64 v[107:108], vcc, 1.0, v[97:98], 1.0
	v_rcp_f64_e32 v[101:102], v[99:100]
	v_fma_f64 v[105:106], -v[99:100], v[101:102], 1.0
	v_fma_f64 v[101:102], v[101:102], v[105:106], v[101:102]
	v_fma_f64 v[105:106], -v[99:100], v[101:102], 1.0
	v_fma_f64 v[101:102], v[101:102], v[105:106], v[101:102]
	v_mul_f64 v[105:106], v[107:108], v[101:102]
	v_fma_f64 v[99:100], -v[99:100], v[105:106], v[107:108]
	v_div_fmas_f64 v[99:100], v[99:100], v[101:102], v[105:106]
	v_div_fixup_f64 v[101:102], v[99:100], v[97:98], 1.0
	v_mul_f64 v[103:104], v[103:104], -v[101:102]
.LBB101_187:
	s_or_b64 exec, exec, s[2:3]
	ds_write2_b64 v127, v[101:102], v[103:104] offset1:1
.LBB101_188:
	s_or_b64 exec, exec, s[4:5]
	s_waitcnt lgkmcnt(0)
	s_barrier
	ds_read2_b64 v[69:72], v127 offset1:1
	v_cmp_lt_u32_e32 vcc, 20, v0
	s_waitcnt lgkmcnt(0)
	buffer_store_dword v69, off, s[20:23], 0 offset:1168 ; 4-byte Folded Spill
	s_nop 0
	buffer_store_dword v70, off, s[20:23], 0 offset:1172 ; 4-byte Folded Spill
	buffer_store_dword v71, off, s[20:23], 0 offset:1176 ; 4-byte Folded Spill
	;; [unrolled: 1-line block ×3, first 2 shown]
	s_and_saveexec_b64 s[2:3], vcc
	s_cbranch_execz .LBB101_190
; %bb.189:
	buffer_load_dword v103, off, s[20:23], 0 offset:112 ; 4-byte Folded Reload
	buffer_load_dword v104, off, s[20:23], 0 offset:116 ; 4-byte Folded Reload
	buffer_load_dword v105, off, s[20:23], 0 offset:120 ; 4-byte Folded Reload
	buffer_load_dword v106, off, s[20:23], 0 offset:124 ; 4-byte Folded Reload
	buffer_load_dword v69, off, s[20:23], 0 offset:1168 ; 4-byte Folded Reload
	buffer_load_dword v70, off, s[20:23], 0 offset:1172 ; 4-byte Folded Reload
	buffer_load_dword v71, off, s[20:23], 0 offset:1176 ; 4-byte Folded Reload
	buffer_load_dword v72, off, s[20:23], 0 offset:1180 ; 4-byte Folded Reload
	s_waitcnt vmcnt(2)
	v_mul_f64 v[99:100], v[69:70], v[105:106]
	s_waitcnt vmcnt(0)
	v_mul_f64 v[97:98], v[71:72], v[105:106]
	v_fma_f64 v[105:106], v[71:72], v[103:104], v[99:100]
	ds_read2_b64 v[99:102], v125 offset0:42 offset1:43
	v_fma_f64 v[97:98], v[69:70], v[103:104], -v[97:98]
	buffer_load_dword v69, off, s[20:23], 0 offset:96 ; 4-byte Folded Reload
	buffer_load_dword v70, off, s[20:23], 0 offset:100 ; 4-byte Folded Reload
	buffer_load_dword v71, off, s[20:23], 0 offset:104 ; 4-byte Folded Reload
	buffer_load_dword v72, off, s[20:23], 0 offset:108 ; 4-byte Folded Reload
	s_waitcnt lgkmcnt(0)
	v_mul_f64 v[103:104], v[101:102], v[105:106]
	v_fma_f64 v[103:104], v[99:100], v[97:98], -v[103:104]
	v_mul_f64 v[99:100], v[99:100], v[105:106]
	v_fma_f64 v[99:100], v[101:102], v[97:98], v[99:100]
	s_waitcnt vmcnt(2)
	v_add_f64 v[69:70], v[69:70], -v[103:104]
	s_waitcnt vmcnt(0)
	v_add_f64 v[71:72], v[71:72], -v[99:100]
	buffer_store_dword v69, off, s[20:23], 0 offset:96 ; 4-byte Folded Spill
	s_nop 0
	buffer_store_dword v70, off, s[20:23], 0 offset:100 ; 4-byte Folded Spill
	buffer_store_dword v71, off, s[20:23], 0 offset:104 ; 4-byte Folded Spill
	buffer_store_dword v72, off, s[20:23], 0 offset:108 ; 4-byte Folded Spill
	ds_read2_b64 v[99:102], v125 offset0:44 offset1:45
	buffer_load_dword v69, off, s[20:23], 0 offset:80 ; 4-byte Folded Reload
	buffer_load_dword v70, off, s[20:23], 0 offset:84 ; 4-byte Folded Reload
	buffer_load_dword v71, off, s[20:23], 0 offset:88 ; 4-byte Folded Reload
	buffer_load_dword v72, off, s[20:23], 0 offset:92 ; 4-byte Folded Reload
	s_waitcnt lgkmcnt(0)
	v_mul_f64 v[103:104], v[101:102], v[105:106]
	v_fma_f64 v[103:104], v[99:100], v[97:98], -v[103:104]
	v_mul_f64 v[99:100], v[99:100], v[105:106]
	v_fma_f64 v[99:100], v[101:102], v[97:98], v[99:100]
	s_waitcnt vmcnt(2)
	v_add_f64 v[69:70], v[69:70], -v[103:104]
	s_waitcnt vmcnt(0)
	v_add_f64 v[71:72], v[71:72], -v[99:100]
	buffer_store_dword v69, off, s[20:23], 0 offset:80 ; 4-byte Folded Spill
	s_nop 0
	buffer_store_dword v70, off, s[20:23], 0 offset:84 ; 4-byte Folded Spill
	buffer_store_dword v71, off, s[20:23], 0 offset:88 ; 4-byte Folded Spill
	buffer_store_dword v72, off, s[20:23], 0 offset:92 ; 4-byte Folded Spill
	ds_read2_b64 v[99:102], v125 offset0:46 offset1:47
	;; [unrolled: 19-line block ×4, first 2 shown]
	v_mov_b32_e32 v69, v73
	v_mov_b32_e32 v70, v74
	;; [unrolled: 1-line block ×4, first 2 shown]
	s_waitcnt lgkmcnt(0)
	v_mul_f64 v[103:104], v[101:102], v[105:106]
	v_fma_f64 v[103:104], v[99:100], v[97:98], -v[103:104]
	v_mul_f64 v[99:100], v[99:100], v[105:106]
	v_add_f64 v[121:122], v[121:122], -v[103:104]
	v_fma_f64 v[99:100], v[101:102], v[97:98], v[99:100]
	v_add_f64 v[123:124], v[123:124], -v[99:100]
	ds_read2_b64 v[99:102], v125 offset0:52 offset1:53
	s_waitcnt lgkmcnt(0)
	v_mul_f64 v[103:104], v[101:102], v[105:106]
	v_fma_f64 v[103:104], v[99:100], v[97:98], -v[103:104]
	v_mul_f64 v[99:100], v[99:100], v[105:106]
	v_add_f64 v[117:118], v[117:118], -v[103:104]
	v_fma_f64 v[99:100], v[101:102], v[97:98], v[99:100]
	v_add_f64 v[119:120], v[119:120], -v[99:100]
	ds_read2_b64 v[99:102], v125 offset0:54 offset1:55
	;; [unrolled: 8-line block ×5, first 2 shown]
	buffer_load_dword v77, off, s[20:23], 0 offset:32 ; 4-byte Folded Reload
	buffer_load_dword v78, off, s[20:23], 0 offset:36 ; 4-byte Folded Reload
	;; [unrolled: 1-line block ×4, first 2 shown]
	s_waitcnt lgkmcnt(0)
	v_mul_f64 v[103:104], v[101:102], v[105:106]
	v_fma_f64 v[103:104], v[99:100], v[97:98], -v[103:104]
	v_mul_f64 v[99:100], v[99:100], v[105:106]
	v_fma_f64 v[99:100], v[101:102], v[97:98], v[99:100]
	s_waitcnt vmcnt(2)
	v_add_f64 v[77:78], v[77:78], -v[103:104]
	s_waitcnt vmcnt(0)
	v_add_f64 v[79:80], v[79:80], -v[99:100]
	buffer_store_dword v77, off, s[20:23], 0 offset:32 ; 4-byte Folded Spill
	s_nop 0
	buffer_store_dword v78, off, s[20:23], 0 offset:36 ; 4-byte Folded Spill
	buffer_store_dword v79, off, s[20:23], 0 offset:40 ; 4-byte Folded Spill
	;; [unrolled: 1-line block ×3, first 2 shown]
	ds_read2_b64 v[99:102], v125 offset0:62 offset1:63
	buffer_load_dword v73, off, s[20:23], 0 offset:16 ; 4-byte Folded Reload
	buffer_load_dword v74, off, s[20:23], 0 offset:20 ; 4-byte Folded Reload
	;; [unrolled: 1-line block ×4, first 2 shown]
	s_waitcnt lgkmcnt(0)
	v_mul_f64 v[103:104], v[101:102], v[105:106]
	v_fma_f64 v[103:104], v[99:100], v[97:98], -v[103:104]
	v_mul_f64 v[99:100], v[99:100], v[105:106]
	v_fma_f64 v[99:100], v[101:102], v[97:98], v[99:100]
	s_waitcnt vmcnt(2)
	v_add_f64 v[73:74], v[73:74], -v[103:104]
	s_waitcnt vmcnt(0)
	v_add_f64 v[75:76], v[75:76], -v[99:100]
	buffer_store_dword v73, off, s[20:23], 0 offset:16 ; 4-byte Folded Spill
	s_nop 0
	buffer_store_dword v74, off, s[20:23], 0 offset:20 ; 4-byte Folded Spill
	buffer_store_dword v75, off, s[20:23], 0 offset:24 ; 4-byte Folded Spill
	;; [unrolled: 1-line block ×3, first 2 shown]
	v_mov_b32_e32 v76, v72
	v_mov_b32_e32 v75, v71
	;; [unrolled: 1-line block ×4, first 2 shown]
	ds_read2_b64 v[99:102], v125 offset0:64 offset1:65
	buffer_load_dword v69, off, s[20:23], 0 ; 4-byte Folded Reload
	buffer_load_dword v70, off, s[20:23], 0 offset:4 ; 4-byte Folded Reload
	buffer_load_dword v71, off, s[20:23], 0 offset:8 ; 4-byte Folded Reload
	;; [unrolled: 1-line block ×3, first 2 shown]
	s_waitcnt lgkmcnt(0)
	v_mul_f64 v[103:104], v[101:102], v[105:106]
	v_fma_f64 v[103:104], v[99:100], v[97:98], -v[103:104]
	v_mul_f64 v[99:100], v[99:100], v[105:106]
	v_fma_f64 v[99:100], v[101:102], v[97:98], v[99:100]
	s_waitcnt vmcnt(2)
	v_add_f64 v[69:70], v[69:70], -v[103:104]
	s_waitcnt vmcnt(0)
	v_add_f64 v[71:72], v[71:72], -v[99:100]
	buffer_store_dword v69, off, s[20:23], 0 ; 4-byte Folded Spill
	s_nop 0
	buffer_store_dword v70, off, s[20:23], 0 offset:4 ; 4-byte Folded Spill
	buffer_store_dword v71, off, s[20:23], 0 offset:8 ; 4-byte Folded Spill
	;; [unrolled: 1-line block ×3, first 2 shown]
	ds_read2_b64 v[99:102], v125 offset0:66 offset1:67
	s_waitcnt lgkmcnt(0)
	v_mul_f64 v[103:104], v[101:102], v[105:106]
	v_fma_f64 v[103:104], v[99:100], v[97:98], -v[103:104]
	v_mul_f64 v[99:100], v[99:100], v[105:106]
	v_add_f64 v[65:66], v[65:66], -v[103:104]
	v_fma_f64 v[99:100], v[101:102], v[97:98], v[99:100]
	v_add_f64 v[67:68], v[67:68], -v[99:100]
	ds_read2_b64 v[99:102], v125 offset0:68 offset1:69
	s_waitcnt lgkmcnt(0)
	v_mul_f64 v[103:104], v[101:102], v[105:106]
	v_fma_f64 v[103:104], v[99:100], v[97:98], -v[103:104]
	v_mul_f64 v[99:100], v[99:100], v[105:106]
	v_add_f64 v[61:62], v[61:62], -v[103:104]
	v_fma_f64 v[99:100], v[101:102], v[97:98], v[99:100]
	v_add_f64 v[63:64], v[63:64], -v[99:100]
	ds_read2_b64 v[99:102], v125 offset0:70 offset1:71
	s_waitcnt lgkmcnt(0)
	v_mul_f64 v[103:104], v[101:102], v[105:106]
	v_fma_f64 v[103:104], v[99:100], v[97:98], -v[103:104]
	v_mul_f64 v[99:100], v[99:100], v[105:106]
	v_add_f64 v[57:58], v[57:58], -v[103:104]
	v_fma_f64 v[99:100], v[101:102], v[97:98], v[99:100]
	v_add_f64 v[59:60], v[59:60], -v[99:100]
	ds_read2_b64 v[99:102], v125 offset0:72 offset1:73
	s_waitcnt lgkmcnt(0)
	v_mul_f64 v[103:104], v[101:102], v[105:106]
	v_fma_f64 v[103:104], v[99:100], v[97:98], -v[103:104]
	v_mul_f64 v[99:100], v[99:100], v[105:106]
	v_add_f64 v[53:54], v[53:54], -v[103:104]
	v_fma_f64 v[99:100], v[101:102], v[97:98], v[99:100]
	v_add_f64 v[55:56], v[55:56], -v[99:100]
	ds_read2_b64 v[99:102], v125 offset0:74 offset1:75
	s_waitcnt lgkmcnt(0)
	v_mul_f64 v[103:104], v[101:102], v[105:106]
	v_fma_f64 v[103:104], v[99:100], v[97:98], -v[103:104]
	v_mul_f64 v[99:100], v[99:100], v[105:106]
	v_add_f64 v[49:50], v[49:50], -v[103:104]
	v_fma_f64 v[99:100], v[101:102], v[97:98], v[99:100]
	v_add_f64 v[51:52], v[51:52], -v[99:100]
	ds_read2_b64 v[99:102], v125 offset0:76 offset1:77
	s_waitcnt lgkmcnt(0)
	v_mul_f64 v[103:104], v[101:102], v[105:106]
	v_fma_f64 v[103:104], v[99:100], v[97:98], -v[103:104]
	v_mul_f64 v[99:100], v[99:100], v[105:106]
	v_add_f64 v[45:46], v[45:46], -v[103:104]
	v_fma_f64 v[99:100], v[101:102], v[97:98], v[99:100]
	v_add_f64 v[47:48], v[47:48], -v[99:100]
	ds_read2_b64 v[99:102], v125 offset0:78 offset1:79
	s_waitcnt lgkmcnt(0)
	v_mul_f64 v[103:104], v[101:102], v[105:106]
	v_fma_f64 v[103:104], v[99:100], v[97:98], -v[103:104]
	v_mul_f64 v[99:100], v[99:100], v[105:106]
	v_add_f64 v[41:42], v[41:42], -v[103:104]
	v_fma_f64 v[99:100], v[101:102], v[97:98], v[99:100]
	v_add_f64 v[43:44], v[43:44], -v[99:100]
	ds_read2_b64 v[99:102], v125 offset0:80 offset1:81
	s_waitcnt lgkmcnt(0)
	v_mul_f64 v[103:104], v[101:102], v[105:106]
	v_fma_f64 v[103:104], v[99:100], v[97:98], -v[103:104]
	v_mul_f64 v[99:100], v[99:100], v[105:106]
	v_add_f64 v[37:38], v[37:38], -v[103:104]
	v_fma_f64 v[99:100], v[101:102], v[97:98], v[99:100]
	v_add_f64 v[39:40], v[39:40], -v[99:100]
	ds_read2_b64 v[99:102], v125 offset0:82 offset1:83
	s_waitcnt lgkmcnt(0)
	v_mul_f64 v[103:104], v[101:102], v[105:106]
	v_fma_f64 v[103:104], v[99:100], v[97:98], -v[103:104]
	v_mul_f64 v[99:100], v[99:100], v[105:106]
	v_add_f64 v[33:34], v[33:34], -v[103:104]
	v_fma_f64 v[99:100], v[101:102], v[97:98], v[99:100]
	v_add_f64 v[35:36], v[35:36], -v[99:100]
	ds_read2_b64 v[99:102], v125 offset0:84 offset1:85
	s_waitcnt lgkmcnt(0)
	v_mul_f64 v[103:104], v[101:102], v[105:106]
	v_fma_f64 v[103:104], v[99:100], v[97:98], -v[103:104]
	v_mul_f64 v[99:100], v[99:100], v[105:106]
	v_add_f64 v[29:30], v[29:30], -v[103:104]
	v_fma_f64 v[99:100], v[101:102], v[97:98], v[99:100]
	v_add_f64 v[31:32], v[31:32], -v[99:100]
	ds_read2_b64 v[99:102], v125 offset0:86 offset1:87
	s_waitcnt lgkmcnt(0)
	v_mul_f64 v[103:104], v[101:102], v[105:106]
	v_fma_f64 v[103:104], v[99:100], v[97:98], -v[103:104]
	v_mul_f64 v[99:100], v[99:100], v[105:106]
	v_add_f64 v[25:26], v[25:26], -v[103:104]
	v_fma_f64 v[99:100], v[101:102], v[97:98], v[99:100]
	v_add_f64 v[27:28], v[27:28], -v[99:100]
	ds_read2_b64 v[99:102], v125 offset0:88 offset1:89
	s_waitcnt lgkmcnt(0)
	v_mul_f64 v[103:104], v[101:102], v[105:106]
	v_fma_f64 v[103:104], v[99:100], v[97:98], -v[103:104]
	v_mul_f64 v[99:100], v[99:100], v[105:106]
	v_add_f64 v[21:22], v[21:22], -v[103:104]
	v_fma_f64 v[99:100], v[101:102], v[97:98], v[99:100]
	v_add_f64 v[23:24], v[23:24], -v[99:100]
	ds_read2_b64 v[99:102], v125 offset0:90 offset1:91
	s_waitcnt lgkmcnt(0)
	v_mul_f64 v[103:104], v[101:102], v[105:106]
	v_fma_f64 v[103:104], v[99:100], v[97:98], -v[103:104]
	v_mul_f64 v[99:100], v[99:100], v[105:106]
	v_add_f64 v[17:18], v[17:18], -v[103:104]
	v_fma_f64 v[99:100], v[101:102], v[97:98], v[99:100]
	v_add_f64 v[19:20], v[19:20], -v[99:100]
	ds_read2_b64 v[99:102], v125 offset0:92 offset1:93
	s_waitcnt lgkmcnt(0)
	v_mul_f64 v[103:104], v[101:102], v[105:106]
	v_fma_f64 v[103:104], v[99:100], v[97:98], -v[103:104]
	v_mul_f64 v[99:100], v[99:100], v[105:106]
	v_add_f64 v[13:14], v[13:14], -v[103:104]
	v_fma_f64 v[99:100], v[101:102], v[97:98], v[99:100]
	v_add_f64 v[15:16], v[15:16], -v[99:100]
	ds_read2_b64 v[99:102], v125 offset0:94 offset1:95
	s_waitcnt lgkmcnt(0)
	v_mul_f64 v[103:104], v[101:102], v[105:106]
	v_fma_f64 v[103:104], v[99:100], v[97:98], -v[103:104]
	v_mul_f64 v[99:100], v[99:100], v[105:106]
	v_add_f64 v[9:10], v[9:10], -v[103:104]
	v_fma_f64 v[99:100], v[101:102], v[97:98], v[99:100]
	v_add_f64 v[11:12], v[11:12], -v[99:100]
	ds_read2_b64 v[99:102], v125 offset0:96 offset1:97
	s_waitcnt lgkmcnt(0)
	v_mul_f64 v[103:104], v[101:102], v[105:106]
	v_fma_f64 v[103:104], v[99:100], v[97:98], -v[103:104]
	v_mul_f64 v[99:100], v[99:100], v[105:106]
	v_add_f64 v[5:6], v[5:6], -v[103:104]
	v_fma_f64 v[99:100], v[101:102], v[97:98], v[99:100]
	v_add_f64 v[7:8], v[7:8], -v[99:100]
	ds_read2_b64 v[99:102], v125 offset0:98 offset1:99
	s_waitcnt lgkmcnt(0)
	v_mul_f64 v[103:104], v[101:102], v[105:106]
	v_fma_f64 v[103:104], v[99:100], v[97:98], -v[103:104]
	v_mul_f64 v[99:100], v[99:100], v[105:106]
	v_add_f64 v[1:2], v[1:2], -v[103:104]
	v_fma_f64 v[99:100], v[101:102], v[97:98], v[99:100]
	v_add_f64 v[3:4], v[3:4], -v[99:100]
	ds_read2_b64 v[99:102], v125 offset0:100 offset1:101
	s_waitcnt lgkmcnt(0)
	v_mul_f64 v[103:104], v[101:102], v[105:106]
	v_fma_f64 v[103:104], v[99:100], v[97:98], -v[103:104]
	v_mul_f64 v[99:100], v[99:100], v[105:106]
	v_add_f64 v[73:74], v[73:74], -v[103:104]
	v_fma_f64 v[99:100], v[101:102], v[97:98], v[99:100]
	v_mov_b32_e32 v104, v98
	v_mov_b32_e32 v103, v97
	buffer_store_dword v103, off, s[20:23], 0 offset:112 ; 4-byte Folded Spill
	s_nop 0
	buffer_store_dword v104, off, s[20:23], 0 offset:116 ; 4-byte Folded Spill
	buffer_store_dword v105, off, s[20:23], 0 offset:120 ; 4-byte Folded Spill
	;; [unrolled: 1-line block ×3, first 2 shown]
	v_add_f64 v[75:76], v[75:76], -v[99:100]
.LBB101_190:
	s_or_b64 exec, exec, s[2:3]
	v_cmp_eq_u32_e32 vcc, 21, v0
	s_waitcnt vmcnt(0)
	s_barrier
	s_and_saveexec_b64 s[4:5], vcc
	s_cbranch_execz .LBB101_197
; %bb.191:
	buffer_load_dword v69, off, s[20:23], 0 offset:96 ; 4-byte Folded Reload
	buffer_load_dword v70, off, s[20:23], 0 offset:100 ; 4-byte Folded Reload
	;; [unrolled: 1-line block ×4, first 2 shown]
	s_waitcnt vmcnt(0)
	ds_write2_b64 v127, v[69:70], v[71:72] offset1:1
	buffer_load_dword v69, off, s[20:23], 0 offset:80 ; 4-byte Folded Reload
	buffer_load_dword v70, off, s[20:23], 0 offset:84 ; 4-byte Folded Reload
	buffer_load_dword v71, off, s[20:23], 0 offset:88 ; 4-byte Folded Reload
	buffer_load_dword v72, off, s[20:23], 0 offset:92 ; 4-byte Folded Reload
	s_waitcnt vmcnt(0)
	ds_write2_b64 v125, v[69:70], v[71:72] offset0:44 offset1:45
	buffer_load_dword v69, off, s[20:23], 0 offset:64 ; 4-byte Folded Reload
	buffer_load_dword v70, off, s[20:23], 0 offset:68 ; 4-byte Folded Reload
	buffer_load_dword v71, off, s[20:23], 0 offset:72 ; 4-byte Folded Reload
	buffer_load_dword v72, off, s[20:23], 0 offset:76 ; 4-byte Folded Reload
	s_waitcnt vmcnt(0)
	ds_write2_b64 v125, v[69:70], v[71:72] offset0:46 offset1:47
	buffer_load_dword v69, off, s[20:23], 0 offset:48 ; 4-byte Folded Reload
	buffer_load_dword v70, off, s[20:23], 0 offset:52 ; 4-byte Folded Reload
	buffer_load_dword v71, off, s[20:23], 0 offset:56 ; 4-byte Folded Reload
	buffer_load_dword v72, off, s[20:23], 0 offset:60 ; 4-byte Folded Reload
	s_waitcnt vmcnt(0)
	ds_write2_b64 v125, v[69:70], v[71:72] offset0:48 offset1:49
	ds_write2_b64 v125, v[121:122], v[123:124] offset0:50 offset1:51
	ds_write2_b64 v125, v[117:118], v[119:120] offset0:52 offset1:53
	;; [unrolled: 1-line block ×5, first 2 shown]
	buffer_load_dword v77, off, s[20:23], 0 offset:32 ; 4-byte Folded Reload
	buffer_load_dword v78, off, s[20:23], 0 offset:36 ; 4-byte Folded Reload
	;; [unrolled: 1-line block ×4, first 2 shown]
	v_mov_b32_e32 v69, v73
	v_mov_b32_e32 v70, v74
	;; [unrolled: 1-line block ×4, first 2 shown]
	s_waitcnt vmcnt(0)
	ds_write2_b64 v125, v[77:78], v[79:80] offset0:60 offset1:61
	buffer_load_dword v73, off, s[20:23], 0 offset:16 ; 4-byte Folded Reload
	buffer_load_dword v74, off, s[20:23], 0 offset:20 ; 4-byte Folded Reload
	;; [unrolled: 1-line block ×4, first 2 shown]
	s_waitcnt vmcnt(0)
	ds_write2_b64 v125, v[73:74], v[75:76] offset0:62 offset1:63
	v_mov_b32_e32 v76, v72
	v_mov_b32_e32 v75, v71
	;; [unrolled: 1-line block ×4, first 2 shown]
	buffer_load_dword v69, off, s[20:23], 0 ; 4-byte Folded Reload
	buffer_load_dword v70, off, s[20:23], 0 offset:4 ; 4-byte Folded Reload
	buffer_load_dword v71, off, s[20:23], 0 offset:8 ; 4-byte Folded Reload
	buffer_load_dword v72, off, s[20:23], 0 offset:12 ; 4-byte Folded Reload
	s_waitcnt vmcnt(0)
	ds_write2_b64 v125, v[69:70], v[71:72] offset0:64 offset1:65
	ds_write2_b64 v125, v[65:66], v[67:68] offset0:66 offset1:67
	;; [unrolled: 1-line block ×19, first 2 shown]
	ds_read2_b64 v[97:100], v127 offset1:1
	s_waitcnt lgkmcnt(0)
	v_cmp_neq_f64_e32 vcc, 0, v[97:98]
	v_cmp_neq_f64_e64 s[2:3], 0, v[99:100]
	s_or_b64 s[2:3], vcc, s[2:3]
	s_and_b64 exec, exec, s[2:3]
	s_cbranch_execz .LBB101_197
; %bb.192:
	v_cmp_ngt_f64_e64 s[2:3], |v[97:98]|, |v[99:100]|
                                        ; implicit-def: $vgpr101_vgpr102
	s_and_saveexec_b64 s[6:7], s[2:3]
	s_xor_b64 s[2:3], exec, s[6:7]
                                        ; implicit-def: $vgpr103_vgpr104
	s_cbranch_execz .LBB101_194
; %bb.193:
	v_div_scale_f64 v[101:102], s[6:7], v[99:100], v[99:100], v[97:98]
	v_rcp_f64_e32 v[103:104], v[101:102]
	v_fma_f64 v[105:106], -v[101:102], v[103:104], 1.0
	v_fma_f64 v[103:104], v[103:104], v[105:106], v[103:104]
	v_div_scale_f64 v[105:106], vcc, v[97:98], v[99:100], v[97:98]
	v_fma_f64 v[107:108], -v[101:102], v[103:104], 1.0
	v_fma_f64 v[103:104], v[103:104], v[107:108], v[103:104]
	v_mul_f64 v[107:108], v[105:106], v[103:104]
	v_fma_f64 v[101:102], -v[101:102], v[107:108], v[105:106]
	v_div_fmas_f64 v[101:102], v[101:102], v[103:104], v[107:108]
	v_div_fixup_f64 v[101:102], v[101:102], v[99:100], v[97:98]
	v_fma_f64 v[97:98], v[97:98], v[101:102], v[99:100]
	v_div_scale_f64 v[99:100], s[6:7], v[97:98], v[97:98], 1.0
	v_div_scale_f64 v[107:108], vcc, 1.0, v[97:98], 1.0
	v_rcp_f64_e32 v[103:104], v[99:100]
	v_fma_f64 v[105:106], -v[99:100], v[103:104], 1.0
	v_fma_f64 v[103:104], v[103:104], v[105:106], v[103:104]
	v_fma_f64 v[105:106], -v[99:100], v[103:104], 1.0
	v_fma_f64 v[103:104], v[103:104], v[105:106], v[103:104]
	v_mul_f64 v[105:106], v[107:108], v[103:104]
	v_fma_f64 v[99:100], -v[99:100], v[105:106], v[107:108]
	v_div_fmas_f64 v[99:100], v[99:100], v[103:104], v[105:106]
	v_div_fixup_f64 v[103:104], v[99:100], v[97:98], 1.0
                                        ; implicit-def: $vgpr97_vgpr98
	v_mul_f64 v[101:102], v[101:102], v[103:104]
	v_xor_b32_e32 v104, 0x80000000, v104
.LBB101_194:
	s_andn2_saveexec_b64 s[2:3], s[2:3]
	s_cbranch_execz .LBB101_196
; %bb.195:
	v_div_scale_f64 v[101:102], s[6:7], v[97:98], v[97:98], v[99:100]
	v_rcp_f64_e32 v[103:104], v[101:102]
	v_fma_f64 v[105:106], -v[101:102], v[103:104], 1.0
	v_fma_f64 v[103:104], v[103:104], v[105:106], v[103:104]
	v_div_scale_f64 v[105:106], vcc, v[99:100], v[97:98], v[99:100]
	v_fma_f64 v[107:108], -v[101:102], v[103:104], 1.0
	v_fma_f64 v[103:104], v[103:104], v[107:108], v[103:104]
	v_mul_f64 v[107:108], v[105:106], v[103:104]
	v_fma_f64 v[101:102], -v[101:102], v[107:108], v[105:106]
	v_div_fmas_f64 v[101:102], v[101:102], v[103:104], v[107:108]
	v_div_fixup_f64 v[103:104], v[101:102], v[97:98], v[99:100]
	v_fma_f64 v[97:98], v[99:100], v[103:104], v[97:98]
	v_div_scale_f64 v[99:100], s[6:7], v[97:98], v[97:98], 1.0
	v_div_scale_f64 v[107:108], vcc, 1.0, v[97:98], 1.0
	v_rcp_f64_e32 v[101:102], v[99:100]
	v_fma_f64 v[105:106], -v[99:100], v[101:102], 1.0
	v_fma_f64 v[101:102], v[101:102], v[105:106], v[101:102]
	v_fma_f64 v[105:106], -v[99:100], v[101:102], 1.0
	v_fma_f64 v[101:102], v[101:102], v[105:106], v[101:102]
	v_mul_f64 v[105:106], v[107:108], v[101:102]
	v_fma_f64 v[99:100], -v[99:100], v[105:106], v[107:108]
	v_div_fmas_f64 v[99:100], v[99:100], v[101:102], v[105:106]
	v_div_fixup_f64 v[101:102], v[99:100], v[97:98], 1.0
	v_mul_f64 v[103:104], v[103:104], -v[101:102]
.LBB101_196:
	s_or_b64 exec, exec, s[2:3]
	ds_write2_b64 v127, v[101:102], v[103:104] offset1:1
.LBB101_197:
	s_or_b64 exec, exec, s[4:5]
	s_waitcnt lgkmcnt(0)
	s_barrier
	ds_read2_b64 v[69:72], v127 offset1:1
	v_cmp_lt_u32_e32 vcc, 21, v0
	s_waitcnt lgkmcnt(0)
	buffer_store_dword v69, off, s[20:23], 0 offset:1184 ; 4-byte Folded Spill
	s_nop 0
	buffer_store_dword v70, off, s[20:23], 0 offset:1188 ; 4-byte Folded Spill
	buffer_store_dword v71, off, s[20:23], 0 offset:1192 ; 4-byte Folded Spill
	;; [unrolled: 1-line block ×3, first 2 shown]
	s_and_saveexec_b64 s[2:3], vcc
	s_cbranch_execz .LBB101_199
; %bb.198:
	buffer_load_dword v103, off, s[20:23], 0 offset:96 ; 4-byte Folded Reload
	buffer_load_dword v104, off, s[20:23], 0 offset:100 ; 4-byte Folded Reload
	;; [unrolled: 1-line block ×8, first 2 shown]
	s_waitcnt vmcnt(2)
	v_mul_f64 v[99:100], v[69:70], v[105:106]
	s_waitcnt vmcnt(0)
	v_mul_f64 v[97:98], v[71:72], v[105:106]
	v_fma_f64 v[105:106], v[71:72], v[103:104], v[99:100]
	ds_read2_b64 v[99:102], v125 offset0:44 offset1:45
	v_fma_f64 v[97:98], v[69:70], v[103:104], -v[97:98]
	buffer_load_dword v69, off, s[20:23], 0 offset:80 ; 4-byte Folded Reload
	buffer_load_dword v70, off, s[20:23], 0 offset:84 ; 4-byte Folded Reload
	buffer_load_dword v71, off, s[20:23], 0 offset:88 ; 4-byte Folded Reload
	buffer_load_dword v72, off, s[20:23], 0 offset:92 ; 4-byte Folded Reload
	s_waitcnt lgkmcnt(0)
	v_mul_f64 v[103:104], v[101:102], v[105:106]
	v_fma_f64 v[103:104], v[99:100], v[97:98], -v[103:104]
	v_mul_f64 v[99:100], v[99:100], v[105:106]
	v_fma_f64 v[99:100], v[101:102], v[97:98], v[99:100]
	s_waitcnt vmcnt(2)
	v_add_f64 v[69:70], v[69:70], -v[103:104]
	s_waitcnt vmcnt(0)
	v_add_f64 v[71:72], v[71:72], -v[99:100]
	buffer_store_dword v69, off, s[20:23], 0 offset:80 ; 4-byte Folded Spill
	s_nop 0
	buffer_store_dword v70, off, s[20:23], 0 offset:84 ; 4-byte Folded Spill
	buffer_store_dword v71, off, s[20:23], 0 offset:88 ; 4-byte Folded Spill
	buffer_store_dword v72, off, s[20:23], 0 offset:92 ; 4-byte Folded Spill
	ds_read2_b64 v[99:102], v125 offset0:46 offset1:47
	buffer_load_dword v69, off, s[20:23], 0 offset:64 ; 4-byte Folded Reload
	buffer_load_dword v70, off, s[20:23], 0 offset:68 ; 4-byte Folded Reload
	buffer_load_dword v71, off, s[20:23], 0 offset:72 ; 4-byte Folded Reload
	buffer_load_dword v72, off, s[20:23], 0 offset:76 ; 4-byte Folded Reload
	s_waitcnt lgkmcnt(0)
	v_mul_f64 v[103:104], v[101:102], v[105:106]
	v_fma_f64 v[103:104], v[99:100], v[97:98], -v[103:104]
	v_mul_f64 v[99:100], v[99:100], v[105:106]
	v_fma_f64 v[99:100], v[101:102], v[97:98], v[99:100]
	s_waitcnt vmcnt(2)
	v_add_f64 v[69:70], v[69:70], -v[103:104]
	s_waitcnt vmcnt(0)
	v_add_f64 v[71:72], v[71:72], -v[99:100]
	buffer_store_dword v69, off, s[20:23], 0 offset:64 ; 4-byte Folded Spill
	s_nop 0
	buffer_store_dword v70, off, s[20:23], 0 offset:68 ; 4-byte Folded Spill
	buffer_store_dword v71, off, s[20:23], 0 offset:72 ; 4-byte Folded Spill
	buffer_store_dword v72, off, s[20:23], 0 offset:76 ; 4-byte Folded Spill
	ds_read2_b64 v[99:102], v125 offset0:48 offset1:49
	;; [unrolled: 19-line block ×3, first 2 shown]
	v_mov_b32_e32 v69, v73
	v_mov_b32_e32 v70, v74
	v_mov_b32_e32 v71, v75
	v_mov_b32_e32 v72, v76
	s_waitcnt lgkmcnt(0)
	v_mul_f64 v[103:104], v[101:102], v[105:106]
	v_fma_f64 v[103:104], v[99:100], v[97:98], -v[103:104]
	v_mul_f64 v[99:100], v[99:100], v[105:106]
	v_add_f64 v[121:122], v[121:122], -v[103:104]
	v_fma_f64 v[99:100], v[101:102], v[97:98], v[99:100]
	v_add_f64 v[123:124], v[123:124], -v[99:100]
	ds_read2_b64 v[99:102], v125 offset0:52 offset1:53
	s_waitcnt lgkmcnt(0)
	v_mul_f64 v[103:104], v[101:102], v[105:106]
	v_fma_f64 v[103:104], v[99:100], v[97:98], -v[103:104]
	v_mul_f64 v[99:100], v[99:100], v[105:106]
	v_add_f64 v[117:118], v[117:118], -v[103:104]
	v_fma_f64 v[99:100], v[101:102], v[97:98], v[99:100]
	v_add_f64 v[119:120], v[119:120], -v[99:100]
	ds_read2_b64 v[99:102], v125 offset0:54 offset1:55
	;; [unrolled: 8-line block ×5, first 2 shown]
	buffer_load_dword v77, off, s[20:23], 0 offset:32 ; 4-byte Folded Reload
	buffer_load_dword v78, off, s[20:23], 0 offset:36 ; 4-byte Folded Reload
	;; [unrolled: 1-line block ×4, first 2 shown]
	s_waitcnt lgkmcnt(0)
	v_mul_f64 v[103:104], v[101:102], v[105:106]
	v_fma_f64 v[103:104], v[99:100], v[97:98], -v[103:104]
	v_mul_f64 v[99:100], v[99:100], v[105:106]
	v_fma_f64 v[99:100], v[101:102], v[97:98], v[99:100]
	s_waitcnt vmcnt(2)
	v_add_f64 v[77:78], v[77:78], -v[103:104]
	s_waitcnt vmcnt(0)
	v_add_f64 v[79:80], v[79:80], -v[99:100]
	buffer_store_dword v77, off, s[20:23], 0 offset:32 ; 4-byte Folded Spill
	s_nop 0
	buffer_store_dword v78, off, s[20:23], 0 offset:36 ; 4-byte Folded Spill
	buffer_store_dword v79, off, s[20:23], 0 offset:40 ; 4-byte Folded Spill
	;; [unrolled: 1-line block ×3, first 2 shown]
	ds_read2_b64 v[99:102], v125 offset0:62 offset1:63
	buffer_load_dword v73, off, s[20:23], 0 offset:16 ; 4-byte Folded Reload
	buffer_load_dword v74, off, s[20:23], 0 offset:20 ; 4-byte Folded Reload
	;; [unrolled: 1-line block ×4, first 2 shown]
	s_waitcnt lgkmcnt(0)
	v_mul_f64 v[103:104], v[101:102], v[105:106]
	v_fma_f64 v[103:104], v[99:100], v[97:98], -v[103:104]
	v_mul_f64 v[99:100], v[99:100], v[105:106]
	v_fma_f64 v[99:100], v[101:102], v[97:98], v[99:100]
	s_waitcnt vmcnt(2)
	v_add_f64 v[73:74], v[73:74], -v[103:104]
	s_waitcnt vmcnt(0)
	v_add_f64 v[75:76], v[75:76], -v[99:100]
	buffer_store_dword v73, off, s[20:23], 0 offset:16 ; 4-byte Folded Spill
	s_nop 0
	buffer_store_dword v74, off, s[20:23], 0 offset:20 ; 4-byte Folded Spill
	buffer_store_dword v75, off, s[20:23], 0 offset:24 ; 4-byte Folded Spill
	;; [unrolled: 1-line block ×3, first 2 shown]
	v_mov_b32_e32 v76, v72
	v_mov_b32_e32 v75, v71
	;; [unrolled: 1-line block ×4, first 2 shown]
	ds_read2_b64 v[99:102], v125 offset0:64 offset1:65
	buffer_load_dword v69, off, s[20:23], 0 ; 4-byte Folded Reload
	buffer_load_dword v70, off, s[20:23], 0 offset:4 ; 4-byte Folded Reload
	buffer_load_dword v71, off, s[20:23], 0 offset:8 ; 4-byte Folded Reload
	;; [unrolled: 1-line block ×3, first 2 shown]
	s_waitcnt lgkmcnt(0)
	v_mul_f64 v[103:104], v[101:102], v[105:106]
	v_fma_f64 v[103:104], v[99:100], v[97:98], -v[103:104]
	v_mul_f64 v[99:100], v[99:100], v[105:106]
	v_fma_f64 v[99:100], v[101:102], v[97:98], v[99:100]
	s_waitcnt vmcnt(2)
	v_add_f64 v[69:70], v[69:70], -v[103:104]
	s_waitcnt vmcnt(0)
	v_add_f64 v[71:72], v[71:72], -v[99:100]
	buffer_store_dword v69, off, s[20:23], 0 ; 4-byte Folded Spill
	s_nop 0
	buffer_store_dword v70, off, s[20:23], 0 offset:4 ; 4-byte Folded Spill
	buffer_store_dword v71, off, s[20:23], 0 offset:8 ; 4-byte Folded Spill
	;; [unrolled: 1-line block ×3, first 2 shown]
	ds_read2_b64 v[99:102], v125 offset0:66 offset1:67
	s_waitcnt lgkmcnt(0)
	v_mul_f64 v[103:104], v[101:102], v[105:106]
	v_fma_f64 v[103:104], v[99:100], v[97:98], -v[103:104]
	v_mul_f64 v[99:100], v[99:100], v[105:106]
	v_add_f64 v[65:66], v[65:66], -v[103:104]
	v_fma_f64 v[99:100], v[101:102], v[97:98], v[99:100]
	v_add_f64 v[67:68], v[67:68], -v[99:100]
	ds_read2_b64 v[99:102], v125 offset0:68 offset1:69
	s_waitcnt lgkmcnt(0)
	v_mul_f64 v[103:104], v[101:102], v[105:106]
	v_fma_f64 v[103:104], v[99:100], v[97:98], -v[103:104]
	v_mul_f64 v[99:100], v[99:100], v[105:106]
	v_add_f64 v[61:62], v[61:62], -v[103:104]
	v_fma_f64 v[99:100], v[101:102], v[97:98], v[99:100]
	v_add_f64 v[63:64], v[63:64], -v[99:100]
	;; [unrolled: 8-line block ×17, first 2 shown]
	ds_read2_b64 v[99:102], v125 offset0:100 offset1:101
	s_waitcnt lgkmcnt(0)
	v_mul_f64 v[103:104], v[101:102], v[105:106]
	v_fma_f64 v[103:104], v[99:100], v[97:98], -v[103:104]
	v_mul_f64 v[99:100], v[99:100], v[105:106]
	v_add_f64 v[73:74], v[73:74], -v[103:104]
	v_fma_f64 v[99:100], v[101:102], v[97:98], v[99:100]
	v_mov_b32_e32 v104, v98
	v_mov_b32_e32 v103, v97
	buffer_store_dword v103, off, s[20:23], 0 offset:96 ; 4-byte Folded Spill
	s_nop 0
	buffer_store_dword v104, off, s[20:23], 0 offset:100 ; 4-byte Folded Spill
	buffer_store_dword v105, off, s[20:23], 0 offset:104 ; 4-byte Folded Spill
	;; [unrolled: 1-line block ×3, first 2 shown]
	v_add_f64 v[75:76], v[75:76], -v[99:100]
.LBB101_199:
	s_or_b64 exec, exec, s[2:3]
	v_cmp_eq_u32_e32 vcc, 22, v0
	s_waitcnt vmcnt(0)
	s_barrier
	s_and_saveexec_b64 s[4:5], vcc
	s_cbranch_execz .LBB101_206
; %bb.200:
	buffer_load_dword v69, off, s[20:23], 0 offset:80 ; 4-byte Folded Reload
	buffer_load_dword v70, off, s[20:23], 0 offset:84 ; 4-byte Folded Reload
	;; [unrolled: 1-line block ×4, first 2 shown]
	s_waitcnt vmcnt(0)
	ds_write2_b64 v127, v[69:70], v[71:72] offset1:1
	buffer_load_dword v69, off, s[20:23], 0 offset:64 ; 4-byte Folded Reload
	buffer_load_dword v70, off, s[20:23], 0 offset:68 ; 4-byte Folded Reload
	;; [unrolled: 1-line block ×4, first 2 shown]
	s_waitcnt vmcnt(0)
	ds_write2_b64 v125, v[69:70], v[71:72] offset0:46 offset1:47
	buffer_load_dword v69, off, s[20:23], 0 offset:48 ; 4-byte Folded Reload
	buffer_load_dword v70, off, s[20:23], 0 offset:52 ; 4-byte Folded Reload
	;; [unrolled: 1-line block ×4, first 2 shown]
	s_waitcnt vmcnt(0)
	ds_write2_b64 v125, v[69:70], v[71:72] offset0:48 offset1:49
	ds_write2_b64 v125, v[121:122], v[123:124] offset0:50 offset1:51
	;; [unrolled: 1-line block ×6, first 2 shown]
	buffer_load_dword v77, off, s[20:23], 0 offset:32 ; 4-byte Folded Reload
	buffer_load_dword v78, off, s[20:23], 0 offset:36 ; 4-byte Folded Reload
	;; [unrolled: 1-line block ×4, first 2 shown]
	v_mov_b32_e32 v69, v73
	v_mov_b32_e32 v70, v74
	;; [unrolled: 1-line block ×4, first 2 shown]
	s_waitcnt vmcnt(0)
	ds_write2_b64 v125, v[77:78], v[79:80] offset0:60 offset1:61
	buffer_load_dword v73, off, s[20:23], 0 offset:16 ; 4-byte Folded Reload
	buffer_load_dword v74, off, s[20:23], 0 offset:20 ; 4-byte Folded Reload
	;; [unrolled: 1-line block ×4, first 2 shown]
	s_waitcnt vmcnt(0)
	ds_write2_b64 v125, v[73:74], v[75:76] offset0:62 offset1:63
	v_mov_b32_e32 v76, v72
	v_mov_b32_e32 v75, v71
	;; [unrolled: 1-line block ×4, first 2 shown]
	buffer_load_dword v69, off, s[20:23], 0 ; 4-byte Folded Reload
	buffer_load_dword v70, off, s[20:23], 0 offset:4 ; 4-byte Folded Reload
	buffer_load_dword v71, off, s[20:23], 0 offset:8 ; 4-byte Folded Reload
	buffer_load_dword v72, off, s[20:23], 0 offset:12 ; 4-byte Folded Reload
	s_waitcnt vmcnt(0)
	ds_write2_b64 v125, v[69:70], v[71:72] offset0:64 offset1:65
	ds_write2_b64 v125, v[65:66], v[67:68] offset0:66 offset1:67
	;; [unrolled: 1-line block ×19, first 2 shown]
	ds_read2_b64 v[97:100], v127 offset1:1
	s_waitcnt lgkmcnt(0)
	v_cmp_neq_f64_e32 vcc, 0, v[97:98]
	v_cmp_neq_f64_e64 s[2:3], 0, v[99:100]
	s_or_b64 s[2:3], vcc, s[2:3]
	s_and_b64 exec, exec, s[2:3]
	s_cbranch_execz .LBB101_206
; %bb.201:
	v_cmp_ngt_f64_e64 s[2:3], |v[97:98]|, |v[99:100]|
                                        ; implicit-def: $vgpr101_vgpr102
	s_and_saveexec_b64 s[6:7], s[2:3]
	s_xor_b64 s[2:3], exec, s[6:7]
                                        ; implicit-def: $vgpr103_vgpr104
	s_cbranch_execz .LBB101_203
; %bb.202:
	v_div_scale_f64 v[101:102], s[6:7], v[99:100], v[99:100], v[97:98]
	v_rcp_f64_e32 v[103:104], v[101:102]
	v_fma_f64 v[105:106], -v[101:102], v[103:104], 1.0
	v_fma_f64 v[103:104], v[103:104], v[105:106], v[103:104]
	v_div_scale_f64 v[105:106], vcc, v[97:98], v[99:100], v[97:98]
	v_fma_f64 v[107:108], -v[101:102], v[103:104], 1.0
	v_fma_f64 v[103:104], v[103:104], v[107:108], v[103:104]
	v_mul_f64 v[107:108], v[105:106], v[103:104]
	v_fma_f64 v[101:102], -v[101:102], v[107:108], v[105:106]
	v_div_fmas_f64 v[101:102], v[101:102], v[103:104], v[107:108]
	v_div_fixup_f64 v[101:102], v[101:102], v[99:100], v[97:98]
	v_fma_f64 v[97:98], v[97:98], v[101:102], v[99:100]
	v_div_scale_f64 v[99:100], s[6:7], v[97:98], v[97:98], 1.0
	v_div_scale_f64 v[107:108], vcc, 1.0, v[97:98], 1.0
	v_rcp_f64_e32 v[103:104], v[99:100]
	v_fma_f64 v[105:106], -v[99:100], v[103:104], 1.0
	v_fma_f64 v[103:104], v[103:104], v[105:106], v[103:104]
	v_fma_f64 v[105:106], -v[99:100], v[103:104], 1.0
	v_fma_f64 v[103:104], v[103:104], v[105:106], v[103:104]
	v_mul_f64 v[105:106], v[107:108], v[103:104]
	v_fma_f64 v[99:100], -v[99:100], v[105:106], v[107:108]
	v_div_fmas_f64 v[99:100], v[99:100], v[103:104], v[105:106]
	v_div_fixup_f64 v[103:104], v[99:100], v[97:98], 1.0
                                        ; implicit-def: $vgpr97_vgpr98
	v_mul_f64 v[101:102], v[101:102], v[103:104]
	v_xor_b32_e32 v104, 0x80000000, v104
.LBB101_203:
	s_andn2_saveexec_b64 s[2:3], s[2:3]
	s_cbranch_execz .LBB101_205
; %bb.204:
	v_div_scale_f64 v[101:102], s[6:7], v[97:98], v[97:98], v[99:100]
	v_rcp_f64_e32 v[103:104], v[101:102]
	v_fma_f64 v[105:106], -v[101:102], v[103:104], 1.0
	v_fma_f64 v[103:104], v[103:104], v[105:106], v[103:104]
	v_div_scale_f64 v[105:106], vcc, v[99:100], v[97:98], v[99:100]
	v_fma_f64 v[107:108], -v[101:102], v[103:104], 1.0
	v_fma_f64 v[103:104], v[103:104], v[107:108], v[103:104]
	v_mul_f64 v[107:108], v[105:106], v[103:104]
	v_fma_f64 v[101:102], -v[101:102], v[107:108], v[105:106]
	v_div_fmas_f64 v[101:102], v[101:102], v[103:104], v[107:108]
	v_div_fixup_f64 v[103:104], v[101:102], v[97:98], v[99:100]
	v_fma_f64 v[97:98], v[99:100], v[103:104], v[97:98]
	v_div_scale_f64 v[99:100], s[6:7], v[97:98], v[97:98], 1.0
	v_div_scale_f64 v[107:108], vcc, 1.0, v[97:98], 1.0
	v_rcp_f64_e32 v[101:102], v[99:100]
	v_fma_f64 v[105:106], -v[99:100], v[101:102], 1.0
	v_fma_f64 v[101:102], v[101:102], v[105:106], v[101:102]
	v_fma_f64 v[105:106], -v[99:100], v[101:102], 1.0
	v_fma_f64 v[101:102], v[101:102], v[105:106], v[101:102]
	v_mul_f64 v[105:106], v[107:108], v[101:102]
	v_fma_f64 v[99:100], -v[99:100], v[105:106], v[107:108]
	v_div_fmas_f64 v[99:100], v[99:100], v[101:102], v[105:106]
	v_div_fixup_f64 v[101:102], v[99:100], v[97:98], 1.0
	v_mul_f64 v[103:104], v[103:104], -v[101:102]
.LBB101_205:
	s_or_b64 exec, exec, s[2:3]
	ds_write2_b64 v127, v[101:102], v[103:104] offset1:1
.LBB101_206:
	s_or_b64 exec, exec, s[4:5]
	s_waitcnt lgkmcnt(0)
	s_barrier
	ds_read2_b64 v[69:72], v127 offset1:1
	v_cmp_lt_u32_e32 vcc, 22, v0
	s_waitcnt lgkmcnt(0)
	buffer_store_dword v69, off, s[20:23], 0 offset:1200 ; 4-byte Folded Spill
	s_nop 0
	buffer_store_dword v70, off, s[20:23], 0 offset:1204 ; 4-byte Folded Spill
	buffer_store_dword v71, off, s[20:23], 0 offset:1208 ; 4-byte Folded Spill
	buffer_store_dword v72, off, s[20:23], 0 offset:1212 ; 4-byte Folded Spill
	s_and_saveexec_b64 s[2:3], vcc
	s_cbranch_execz .LBB101_208
; %bb.207:
	buffer_load_dword v103, off, s[20:23], 0 offset:80 ; 4-byte Folded Reload
	buffer_load_dword v104, off, s[20:23], 0 offset:84 ; 4-byte Folded Reload
	;; [unrolled: 1-line block ×8, first 2 shown]
	s_waitcnt vmcnt(2)
	v_mul_f64 v[99:100], v[69:70], v[105:106]
	s_waitcnt vmcnt(0)
	v_mul_f64 v[97:98], v[71:72], v[105:106]
	v_fma_f64 v[105:106], v[71:72], v[103:104], v[99:100]
	ds_read2_b64 v[99:102], v125 offset0:46 offset1:47
	v_fma_f64 v[97:98], v[69:70], v[103:104], -v[97:98]
	buffer_load_dword v69, off, s[20:23], 0 offset:64 ; 4-byte Folded Reload
	buffer_load_dword v70, off, s[20:23], 0 offset:68 ; 4-byte Folded Reload
	;; [unrolled: 1-line block ×4, first 2 shown]
	s_waitcnt lgkmcnt(0)
	v_mul_f64 v[103:104], v[101:102], v[105:106]
	v_fma_f64 v[103:104], v[99:100], v[97:98], -v[103:104]
	v_mul_f64 v[99:100], v[99:100], v[105:106]
	v_fma_f64 v[99:100], v[101:102], v[97:98], v[99:100]
	s_waitcnt vmcnt(2)
	v_add_f64 v[69:70], v[69:70], -v[103:104]
	s_waitcnt vmcnt(0)
	v_add_f64 v[71:72], v[71:72], -v[99:100]
	buffer_store_dword v69, off, s[20:23], 0 offset:64 ; 4-byte Folded Spill
	s_nop 0
	buffer_store_dword v70, off, s[20:23], 0 offset:68 ; 4-byte Folded Spill
	buffer_store_dword v71, off, s[20:23], 0 offset:72 ; 4-byte Folded Spill
	buffer_store_dword v72, off, s[20:23], 0 offset:76 ; 4-byte Folded Spill
	ds_read2_b64 v[99:102], v125 offset0:48 offset1:49
	buffer_load_dword v69, off, s[20:23], 0 offset:48 ; 4-byte Folded Reload
	buffer_load_dword v70, off, s[20:23], 0 offset:52 ; 4-byte Folded Reload
	;; [unrolled: 1-line block ×4, first 2 shown]
	s_waitcnt lgkmcnt(0)
	v_mul_f64 v[103:104], v[101:102], v[105:106]
	v_fma_f64 v[103:104], v[99:100], v[97:98], -v[103:104]
	v_mul_f64 v[99:100], v[99:100], v[105:106]
	v_fma_f64 v[99:100], v[101:102], v[97:98], v[99:100]
	s_waitcnt vmcnt(2)
	v_add_f64 v[69:70], v[69:70], -v[103:104]
	s_waitcnt vmcnt(0)
	v_add_f64 v[71:72], v[71:72], -v[99:100]
	buffer_store_dword v69, off, s[20:23], 0 offset:48 ; 4-byte Folded Spill
	s_nop 0
	buffer_store_dword v70, off, s[20:23], 0 offset:52 ; 4-byte Folded Spill
	buffer_store_dword v71, off, s[20:23], 0 offset:56 ; 4-byte Folded Spill
	;; [unrolled: 1-line block ×3, first 2 shown]
	ds_read2_b64 v[99:102], v125 offset0:50 offset1:51
	v_mov_b32_e32 v69, v73
	v_mov_b32_e32 v70, v74
	;; [unrolled: 1-line block ×4, first 2 shown]
	s_waitcnt lgkmcnt(0)
	v_mul_f64 v[103:104], v[101:102], v[105:106]
	v_fma_f64 v[103:104], v[99:100], v[97:98], -v[103:104]
	v_mul_f64 v[99:100], v[99:100], v[105:106]
	v_add_f64 v[121:122], v[121:122], -v[103:104]
	v_fma_f64 v[99:100], v[101:102], v[97:98], v[99:100]
	v_add_f64 v[123:124], v[123:124], -v[99:100]
	ds_read2_b64 v[99:102], v125 offset0:52 offset1:53
	s_waitcnt lgkmcnt(0)
	v_mul_f64 v[103:104], v[101:102], v[105:106]
	v_fma_f64 v[103:104], v[99:100], v[97:98], -v[103:104]
	v_mul_f64 v[99:100], v[99:100], v[105:106]
	v_add_f64 v[117:118], v[117:118], -v[103:104]
	v_fma_f64 v[99:100], v[101:102], v[97:98], v[99:100]
	v_add_f64 v[119:120], v[119:120], -v[99:100]
	ds_read2_b64 v[99:102], v125 offset0:54 offset1:55
	;; [unrolled: 8-line block ×5, first 2 shown]
	buffer_load_dword v77, off, s[20:23], 0 offset:32 ; 4-byte Folded Reload
	buffer_load_dword v78, off, s[20:23], 0 offset:36 ; 4-byte Folded Reload
	;; [unrolled: 1-line block ×4, first 2 shown]
	s_waitcnt lgkmcnt(0)
	v_mul_f64 v[103:104], v[101:102], v[105:106]
	v_fma_f64 v[103:104], v[99:100], v[97:98], -v[103:104]
	v_mul_f64 v[99:100], v[99:100], v[105:106]
	v_fma_f64 v[99:100], v[101:102], v[97:98], v[99:100]
	s_waitcnt vmcnt(2)
	v_add_f64 v[77:78], v[77:78], -v[103:104]
	s_waitcnt vmcnt(0)
	v_add_f64 v[79:80], v[79:80], -v[99:100]
	buffer_store_dword v77, off, s[20:23], 0 offset:32 ; 4-byte Folded Spill
	s_nop 0
	buffer_store_dword v78, off, s[20:23], 0 offset:36 ; 4-byte Folded Spill
	buffer_store_dword v79, off, s[20:23], 0 offset:40 ; 4-byte Folded Spill
	;; [unrolled: 1-line block ×3, first 2 shown]
	ds_read2_b64 v[99:102], v125 offset0:62 offset1:63
	buffer_load_dword v73, off, s[20:23], 0 offset:16 ; 4-byte Folded Reload
	buffer_load_dword v74, off, s[20:23], 0 offset:20 ; 4-byte Folded Reload
	;; [unrolled: 1-line block ×4, first 2 shown]
	s_waitcnt lgkmcnt(0)
	v_mul_f64 v[103:104], v[101:102], v[105:106]
	v_fma_f64 v[103:104], v[99:100], v[97:98], -v[103:104]
	v_mul_f64 v[99:100], v[99:100], v[105:106]
	v_fma_f64 v[99:100], v[101:102], v[97:98], v[99:100]
	s_waitcnt vmcnt(2)
	v_add_f64 v[73:74], v[73:74], -v[103:104]
	s_waitcnt vmcnt(0)
	v_add_f64 v[75:76], v[75:76], -v[99:100]
	buffer_store_dword v73, off, s[20:23], 0 offset:16 ; 4-byte Folded Spill
	s_nop 0
	buffer_store_dword v74, off, s[20:23], 0 offset:20 ; 4-byte Folded Spill
	buffer_store_dword v75, off, s[20:23], 0 offset:24 ; 4-byte Folded Spill
	;; [unrolled: 1-line block ×3, first 2 shown]
	v_mov_b32_e32 v76, v72
	v_mov_b32_e32 v75, v71
	;; [unrolled: 1-line block ×4, first 2 shown]
	ds_read2_b64 v[99:102], v125 offset0:64 offset1:65
	buffer_load_dword v69, off, s[20:23], 0 ; 4-byte Folded Reload
	buffer_load_dword v70, off, s[20:23], 0 offset:4 ; 4-byte Folded Reload
	buffer_load_dword v71, off, s[20:23], 0 offset:8 ; 4-byte Folded Reload
	;; [unrolled: 1-line block ×3, first 2 shown]
	s_waitcnt lgkmcnt(0)
	v_mul_f64 v[103:104], v[101:102], v[105:106]
	v_fma_f64 v[103:104], v[99:100], v[97:98], -v[103:104]
	v_mul_f64 v[99:100], v[99:100], v[105:106]
	v_fma_f64 v[99:100], v[101:102], v[97:98], v[99:100]
	s_waitcnt vmcnt(2)
	v_add_f64 v[69:70], v[69:70], -v[103:104]
	s_waitcnt vmcnt(0)
	v_add_f64 v[71:72], v[71:72], -v[99:100]
	buffer_store_dword v69, off, s[20:23], 0 ; 4-byte Folded Spill
	s_nop 0
	buffer_store_dword v70, off, s[20:23], 0 offset:4 ; 4-byte Folded Spill
	buffer_store_dword v71, off, s[20:23], 0 offset:8 ; 4-byte Folded Spill
	;; [unrolled: 1-line block ×3, first 2 shown]
	ds_read2_b64 v[99:102], v125 offset0:66 offset1:67
	s_waitcnt lgkmcnt(0)
	v_mul_f64 v[103:104], v[101:102], v[105:106]
	v_fma_f64 v[103:104], v[99:100], v[97:98], -v[103:104]
	v_mul_f64 v[99:100], v[99:100], v[105:106]
	v_add_f64 v[65:66], v[65:66], -v[103:104]
	v_fma_f64 v[99:100], v[101:102], v[97:98], v[99:100]
	v_add_f64 v[67:68], v[67:68], -v[99:100]
	ds_read2_b64 v[99:102], v125 offset0:68 offset1:69
	s_waitcnt lgkmcnt(0)
	v_mul_f64 v[103:104], v[101:102], v[105:106]
	v_fma_f64 v[103:104], v[99:100], v[97:98], -v[103:104]
	v_mul_f64 v[99:100], v[99:100], v[105:106]
	v_add_f64 v[61:62], v[61:62], -v[103:104]
	v_fma_f64 v[99:100], v[101:102], v[97:98], v[99:100]
	v_add_f64 v[63:64], v[63:64], -v[99:100]
	;; [unrolled: 8-line block ×17, first 2 shown]
	ds_read2_b64 v[99:102], v125 offset0:100 offset1:101
	s_waitcnt lgkmcnt(0)
	v_mul_f64 v[103:104], v[101:102], v[105:106]
	v_fma_f64 v[103:104], v[99:100], v[97:98], -v[103:104]
	v_mul_f64 v[99:100], v[99:100], v[105:106]
	v_add_f64 v[73:74], v[73:74], -v[103:104]
	v_fma_f64 v[99:100], v[101:102], v[97:98], v[99:100]
	v_mov_b32_e32 v104, v98
	v_mov_b32_e32 v103, v97
	buffer_store_dword v103, off, s[20:23], 0 offset:80 ; 4-byte Folded Spill
	s_nop 0
	buffer_store_dword v104, off, s[20:23], 0 offset:84 ; 4-byte Folded Spill
	buffer_store_dword v105, off, s[20:23], 0 offset:88 ; 4-byte Folded Spill
	;; [unrolled: 1-line block ×3, first 2 shown]
	v_add_f64 v[75:76], v[75:76], -v[99:100]
.LBB101_208:
	s_or_b64 exec, exec, s[2:3]
	v_cmp_eq_u32_e32 vcc, 23, v0
	s_waitcnt vmcnt(0)
	s_barrier
	s_and_saveexec_b64 s[4:5], vcc
	s_cbranch_execz .LBB101_215
; %bb.209:
	buffer_load_dword v69, off, s[20:23], 0 offset:64 ; 4-byte Folded Reload
	buffer_load_dword v70, off, s[20:23], 0 offset:68 ; 4-byte Folded Reload
	;; [unrolled: 1-line block ×4, first 2 shown]
	s_waitcnt vmcnt(0)
	ds_write2_b64 v127, v[69:70], v[71:72] offset1:1
	buffer_load_dword v69, off, s[20:23], 0 offset:48 ; 4-byte Folded Reload
	buffer_load_dword v70, off, s[20:23], 0 offset:52 ; 4-byte Folded Reload
	buffer_load_dword v71, off, s[20:23], 0 offset:56 ; 4-byte Folded Reload
	buffer_load_dword v72, off, s[20:23], 0 offset:60 ; 4-byte Folded Reload
	s_waitcnt vmcnt(0)
	ds_write2_b64 v125, v[69:70], v[71:72] offset0:48 offset1:49
	ds_write2_b64 v125, v[121:122], v[123:124] offset0:50 offset1:51
	;; [unrolled: 1-line block ×6, first 2 shown]
	buffer_load_dword v77, off, s[20:23], 0 offset:32 ; 4-byte Folded Reload
	buffer_load_dword v78, off, s[20:23], 0 offset:36 ; 4-byte Folded Reload
	;; [unrolled: 1-line block ×4, first 2 shown]
	v_mov_b32_e32 v69, v73
	v_mov_b32_e32 v70, v74
	;; [unrolled: 1-line block ×4, first 2 shown]
	s_waitcnt vmcnt(0)
	ds_write2_b64 v125, v[77:78], v[79:80] offset0:60 offset1:61
	buffer_load_dword v73, off, s[20:23], 0 offset:16 ; 4-byte Folded Reload
	buffer_load_dword v74, off, s[20:23], 0 offset:20 ; 4-byte Folded Reload
	;; [unrolled: 1-line block ×4, first 2 shown]
	s_waitcnt vmcnt(0)
	ds_write2_b64 v125, v[73:74], v[75:76] offset0:62 offset1:63
	v_mov_b32_e32 v76, v72
	v_mov_b32_e32 v75, v71
	v_mov_b32_e32 v74, v70
	v_mov_b32_e32 v73, v69
	buffer_load_dword v69, off, s[20:23], 0 ; 4-byte Folded Reload
	buffer_load_dword v70, off, s[20:23], 0 offset:4 ; 4-byte Folded Reload
	buffer_load_dword v71, off, s[20:23], 0 offset:8 ; 4-byte Folded Reload
	;; [unrolled: 1-line block ×3, first 2 shown]
	s_waitcnt vmcnt(0)
	ds_write2_b64 v125, v[69:70], v[71:72] offset0:64 offset1:65
	ds_write2_b64 v125, v[65:66], v[67:68] offset0:66 offset1:67
	;; [unrolled: 1-line block ×19, first 2 shown]
	ds_read2_b64 v[97:100], v127 offset1:1
	s_waitcnt lgkmcnt(0)
	v_cmp_neq_f64_e32 vcc, 0, v[97:98]
	v_cmp_neq_f64_e64 s[2:3], 0, v[99:100]
	s_or_b64 s[2:3], vcc, s[2:3]
	s_and_b64 exec, exec, s[2:3]
	s_cbranch_execz .LBB101_215
; %bb.210:
	v_cmp_ngt_f64_e64 s[2:3], |v[97:98]|, |v[99:100]|
                                        ; implicit-def: $vgpr101_vgpr102
	s_and_saveexec_b64 s[6:7], s[2:3]
	s_xor_b64 s[2:3], exec, s[6:7]
                                        ; implicit-def: $vgpr103_vgpr104
	s_cbranch_execz .LBB101_212
; %bb.211:
	v_div_scale_f64 v[101:102], s[6:7], v[99:100], v[99:100], v[97:98]
	v_rcp_f64_e32 v[103:104], v[101:102]
	v_fma_f64 v[105:106], -v[101:102], v[103:104], 1.0
	v_fma_f64 v[103:104], v[103:104], v[105:106], v[103:104]
	v_div_scale_f64 v[105:106], vcc, v[97:98], v[99:100], v[97:98]
	v_fma_f64 v[107:108], -v[101:102], v[103:104], 1.0
	v_fma_f64 v[103:104], v[103:104], v[107:108], v[103:104]
	v_mul_f64 v[107:108], v[105:106], v[103:104]
	v_fma_f64 v[101:102], -v[101:102], v[107:108], v[105:106]
	v_div_fmas_f64 v[101:102], v[101:102], v[103:104], v[107:108]
	v_div_fixup_f64 v[101:102], v[101:102], v[99:100], v[97:98]
	v_fma_f64 v[97:98], v[97:98], v[101:102], v[99:100]
	v_div_scale_f64 v[99:100], s[6:7], v[97:98], v[97:98], 1.0
	v_div_scale_f64 v[107:108], vcc, 1.0, v[97:98], 1.0
	v_rcp_f64_e32 v[103:104], v[99:100]
	v_fma_f64 v[105:106], -v[99:100], v[103:104], 1.0
	v_fma_f64 v[103:104], v[103:104], v[105:106], v[103:104]
	v_fma_f64 v[105:106], -v[99:100], v[103:104], 1.0
	v_fma_f64 v[103:104], v[103:104], v[105:106], v[103:104]
	v_mul_f64 v[105:106], v[107:108], v[103:104]
	v_fma_f64 v[99:100], -v[99:100], v[105:106], v[107:108]
	v_div_fmas_f64 v[99:100], v[99:100], v[103:104], v[105:106]
	v_div_fixup_f64 v[103:104], v[99:100], v[97:98], 1.0
                                        ; implicit-def: $vgpr97_vgpr98
	v_mul_f64 v[101:102], v[101:102], v[103:104]
	v_xor_b32_e32 v104, 0x80000000, v104
.LBB101_212:
	s_andn2_saveexec_b64 s[2:3], s[2:3]
	s_cbranch_execz .LBB101_214
; %bb.213:
	v_div_scale_f64 v[101:102], s[6:7], v[97:98], v[97:98], v[99:100]
	v_rcp_f64_e32 v[103:104], v[101:102]
	v_fma_f64 v[105:106], -v[101:102], v[103:104], 1.0
	v_fma_f64 v[103:104], v[103:104], v[105:106], v[103:104]
	v_div_scale_f64 v[105:106], vcc, v[99:100], v[97:98], v[99:100]
	v_fma_f64 v[107:108], -v[101:102], v[103:104], 1.0
	v_fma_f64 v[103:104], v[103:104], v[107:108], v[103:104]
	v_mul_f64 v[107:108], v[105:106], v[103:104]
	v_fma_f64 v[101:102], -v[101:102], v[107:108], v[105:106]
	v_div_fmas_f64 v[101:102], v[101:102], v[103:104], v[107:108]
	v_div_fixup_f64 v[103:104], v[101:102], v[97:98], v[99:100]
	v_fma_f64 v[97:98], v[99:100], v[103:104], v[97:98]
	v_div_scale_f64 v[99:100], s[6:7], v[97:98], v[97:98], 1.0
	v_div_scale_f64 v[107:108], vcc, 1.0, v[97:98], 1.0
	v_rcp_f64_e32 v[101:102], v[99:100]
	v_fma_f64 v[105:106], -v[99:100], v[101:102], 1.0
	v_fma_f64 v[101:102], v[101:102], v[105:106], v[101:102]
	v_fma_f64 v[105:106], -v[99:100], v[101:102], 1.0
	v_fma_f64 v[101:102], v[101:102], v[105:106], v[101:102]
	v_mul_f64 v[105:106], v[107:108], v[101:102]
	v_fma_f64 v[99:100], -v[99:100], v[105:106], v[107:108]
	v_div_fmas_f64 v[99:100], v[99:100], v[101:102], v[105:106]
	v_div_fixup_f64 v[101:102], v[99:100], v[97:98], 1.0
	v_mul_f64 v[103:104], v[103:104], -v[101:102]
.LBB101_214:
	s_or_b64 exec, exec, s[2:3]
	ds_write2_b64 v127, v[101:102], v[103:104] offset1:1
.LBB101_215:
	s_or_b64 exec, exec, s[4:5]
	s_waitcnt lgkmcnt(0)
	s_barrier
	ds_read2_b64 v[69:72], v127 offset1:1
	v_cmp_lt_u32_e32 vcc, 23, v0
	s_waitcnt lgkmcnt(0)
	buffer_store_dword v69, off, s[20:23], 0 offset:1216 ; 4-byte Folded Spill
	s_nop 0
	buffer_store_dword v70, off, s[20:23], 0 offset:1220 ; 4-byte Folded Spill
	buffer_store_dword v71, off, s[20:23], 0 offset:1224 ; 4-byte Folded Spill
	buffer_store_dword v72, off, s[20:23], 0 offset:1228 ; 4-byte Folded Spill
	s_and_saveexec_b64 s[2:3], vcc
	s_cbranch_execz .LBB101_217
; %bb.216:
	buffer_load_dword v103, off, s[20:23], 0 offset:64 ; 4-byte Folded Reload
	buffer_load_dword v104, off, s[20:23], 0 offset:68 ; 4-byte Folded Reload
	;; [unrolled: 1-line block ×8, first 2 shown]
	s_waitcnt vmcnt(2)
	v_mul_f64 v[99:100], v[69:70], v[105:106]
	s_waitcnt vmcnt(0)
	v_mul_f64 v[97:98], v[71:72], v[105:106]
	v_fma_f64 v[105:106], v[71:72], v[103:104], v[99:100]
	ds_read2_b64 v[99:102], v125 offset0:48 offset1:49
	v_fma_f64 v[97:98], v[69:70], v[103:104], -v[97:98]
	buffer_load_dword v69, off, s[20:23], 0 offset:48 ; 4-byte Folded Reload
	buffer_load_dword v70, off, s[20:23], 0 offset:52 ; 4-byte Folded Reload
	;; [unrolled: 1-line block ×4, first 2 shown]
	s_waitcnt lgkmcnt(0)
	v_mul_f64 v[103:104], v[101:102], v[105:106]
	v_fma_f64 v[103:104], v[99:100], v[97:98], -v[103:104]
	v_mul_f64 v[99:100], v[99:100], v[105:106]
	v_fma_f64 v[99:100], v[101:102], v[97:98], v[99:100]
	s_waitcnt vmcnt(2)
	v_add_f64 v[69:70], v[69:70], -v[103:104]
	s_waitcnt vmcnt(0)
	v_add_f64 v[71:72], v[71:72], -v[99:100]
	buffer_store_dword v69, off, s[20:23], 0 offset:48 ; 4-byte Folded Spill
	s_nop 0
	buffer_store_dword v70, off, s[20:23], 0 offset:52 ; 4-byte Folded Spill
	buffer_store_dword v71, off, s[20:23], 0 offset:56 ; 4-byte Folded Spill
	;; [unrolled: 1-line block ×3, first 2 shown]
	ds_read2_b64 v[99:102], v125 offset0:50 offset1:51
	v_mov_b32_e32 v69, v73
	v_mov_b32_e32 v70, v74
	;; [unrolled: 1-line block ×4, first 2 shown]
	s_waitcnt lgkmcnt(0)
	v_mul_f64 v[103:104], v[101:102], v[105:106]
	v_fma_f64 v[103:104], v[99:100], v[97:98], -v[103:104]
	v_mul_f64 v[99:100], v[99:100], v[105:106]
	v_add_f64 v[121:122], v[121:122], -v[103:104]
	v_fma_f64 v[99:100], v[101:102], v[97:98], v[99:100]
	v_add_f64 v[123:124], v[123:124], -v[99:100]
	ds_read2_b64 v[99:102], v125 offset0:52 offset1:53
	s_waitcnt lgkmcnt(0)
	v_mul_f64 v[103:104], v[101:102], v[105:106]
	v_fma_f64 v[103:104], v[99:100], v[97:98], -v[103:104]
	v_mul_f64 v[99:100], v[99:100], v[105:106]
	v_add_f64 v[117:118], v[117:118], -v[103:104]
	v_fma_f64 v[99:100], v[101:102], v[97:98], v[99:100]
	v_add_f64 v[119:120], v[119:120], -v[99:100]
	ds_read2_b64 v[99:102], v125 offset0:54 offset1:55
	;; [unrolled: 8-line block ×5, first 2 shown]
	buffer_load_dword v77, off, s[20:23], 0 offset:32 ; 4-byte Folded Reload
	buffer_load_dword v78, off, s[20:23], 0 offset:36 ; 4-byte Folded Reload
	;; [unrolled: 1-line block ×4, first 2 shown]
	s_waitcnt lgkmcnt(0)
	v_mul_f64 v[103:104], v[101:102], v[105:106]
	v_fma_f64 v[103:104], v[99:100], v[97:98], -v[103:104]
	v_mul_f64 v[99:100], v[99:100], v[105:106]
	v_fma_f64 v[99:100], v[101:102], v[97:98], v[99:100]
	s_waitcnt vmcnt(2)
	v_add_f64 v[77:78], v[77:78], -v[103:104]
	s_waitcnt vmcnt(0)
	v_add_f64 v[79:80], v[79:80], -v[99:100]
	buffer_store_dword v77, off, s[20:23], 0 offset:32 ; 4-byte Folded Spill
	s_nop 0
	buffer_store_dword v78, off, s[20:23], 0 offset:36 ; 4-byte Folded Spill
	buffer_store_dword v79, off, s[20:23], 0 offset:40 ; 4-byte Folded Spill
	buffer_store_dword v80, off, s[20:23], 0 offset:44 ; 4-byte Folded Spill
	ds_read2_b64 v[99:102], v125 offset0:62 offset1:63
	buffer_load_dword v73, off, s[20:23], 0 offset:16 ; 4-byte Folded Reload
	buffer_load_dword v74, off, s[20:23], 0 offset:20 ; 4-byte Folded Reload
	;; [unrolled: 1-line block ×4, first 2 shown]
	s_waitcnt lgkmcnt(0)
	v_mul_f64 v[103:104], v[101:102], v[105:106]
	v_fma_f64 v[103:104], v[99:100], v[97:98], -v[103:104]
	v_mul_f64 v[99:100], v[99:100], v[105:106]
	v_fma_f64 v[99:100], v[101:102], v[97:98], v[99:100]
	s_waitcnt vmcnt(2)
	v_add_f64 v[73:74], v[73:74], -v[103:104]
	s_waitcnt vmcnt(0)
	v_add_f64 v[75:76], v[75:76], -v[99:100]
	buffer_store_dword v73, off, s[20:23], 0 offset:16 ; 4-byte Folded Spill
	s_nop 0
	buffer_store_dword v74, off, s[20:23], 0 offset:20 ; 4-byte Folded Spill
	buffer_store_dword v75, off, s[20:23], 0 offset:24 ; 4-byte Folded Spill
	;; [unrolled: 1-line block ×3, first 2 shown]
	v_mov_b32_e32 v76, v72
	v_mov_b32_e32 v75, v71
	;; [unrolled: 1-line block ×4, first 2 shown]
	ds_read2_b64 v[99:102], v125 offset0:64 offset1:65
	buffer_load_dword v69, off, s[20:23], 0 ; 4-byte Folded Reload
	buffer_load_dword v70, off, s[20:23], 0 offset:4 ; 4-byte Folded Reload
	buffer_load_dword v71, off, s[20:23], 0 offset:8 ; 4-byte Folded Reload
	buffer_load_dword v72, off, s[20:23], 0 offset:12 ; 4-byte Folded Reload
	s_waitcnt lgkmcnt(0)
	v_mul_f64 v[103:104], v[101:102], v[105:106]
	v_fma_f64 v[103:104], v[99:100], v[97:98], -v[103:104]
	v_mul_f64 v[99:100], v[99:100], v[105:106]
	v_fma_f64 v[99:100], v[101:102], v[97:98], v[99:100]
	s_waitcnt vmcnt(2)
	v_add_f64 v[69:70], v[69:70], -v[103:104]
	s_waitcnt vmcnt(0)
	v_add_f64 v[71:72], v[71:72], -v[99:100]
	buffer_store_dword v69, off, s[20:23], 0 ; 4-byte Folded Spill
	s_nop 0
	buffer_store_dword v70, off, s[20:23], 0 offset:4 ; 4-byte Folded Spill
	buffer_store_dword v71, off, s[20:23], 0 offset:8 ; 4-byte Folded Spill
	;; [unrolled: 1-line block ×3, first 2 shown]
	ds_read2_b64 v[99:102], v125 offset0:66 offset1:67
	s_waitcnt lgkmcnt(0)
	v_mul_f64 v[103:104], v[101:102], v[105:106]
	v_fma_f64 v[103:104], v[99:100], v[97:98], -v[103:104]
	v_mul_f64 v[99:100], v[99:100], v[105:106]
	v_add_f64 v[65:66], v[65:66], -v[103:104]
	v_fma_f64 v[99:100], v[101:102], v[97:98], v[99:100]
	v_add_f64 v[67:68], v[67:68], -v[99:100]
	ds_read2_b64 v[99:102], v125 offset0:68 offset1:69
	s_waitcnt lgkmcnt(0)
	v_mul_f64 v[103:104], v[101:102], v[105:106]
	v_fma_f64 v[103:104], v[99:100], v[97:98], -v[103:104]
	v_mul_f64 v[99:100], v[99:100], v[105:106]
	v_add_f64 v[61:62], v[61:62], -v[103:104]
	v_fma_f64 v[99:100], v[101:102], v[97:98], v[99:100]
	v_add_f64 v[63:64], v[63:64], -v[99:100]
	;; [unrolled: 8-line block ×17, first 2 shown]
	ds_read2_b64 v[99:102], v125 offset0:100 offset1:101
	s_waitcnt lgkmcnt(0)
	v_mul_f64 v[103:104], v[101:102], v[105:106]
	v_fma_f64 v[103:104], v[99:100], v[97:98], -v[103:104]
	v_mul_f64 v[99:100], v[99:100], v[105:106]
	v_add_f64 v[73:74], v[73:74], -v[103:104]
	v_fma_f64 v[99:100], v[101:102], v[97:98], v[99:100]
	v_mov_b32_e32 v104, v98
	v_mov_b32_e32 v103, v97
	buffer_store_dword v103, off, s[20:23], 0 offset:64 ; 4-byte Folded Spill
	s_nop 0
	buffer_store_dword v104, off, s[20:23], 0 offset:68 ; 4-byte Folded Spill
	buffer_store_dword v105, off, s[20:23], 0 offset:72 ; 4-byte Folded Spill
	;; [unrolled: 1-line block ×3, first 2 shown]
	v_add_f64 v[75:76], v[75:76], -v[99:100]
.LBB101_217:
	s_or_b64 exec, exec, s[2:3]
	v_cmp_eq_u32_e32 vcc, 24, v0
	s_waitcnt vmcnt(0)
	s_barrier
	s_and_saveexec_b64 s[4:5], vcc
	s_cbranch_execz .LBB101_224
; %bb.218:
	buffer_load_dword v69, off, s[20:23], 0 offset:48 ; 4-byte Folded Reload
	buffer_load_dword v70, off, s[20:23], 0 offset:52 ; 4-byte Folded Reload
	;; [unrolled: 1-line block ×4, first 2 shown]
	s_waitcnt vmcnt(0)
	ds_write2_b64 v127, v[69:70], v[71:72] offset1:1
	ds_write2_b64 v125, v[121:122], v[123:124] offset0:50 offset1:51
	ds_write2_b64 v125, v[117:118], v[119:120] offset0:52 offset1:53
	;; [unrolled: 1-line block ×5, first 2 shown]
	buffer_load_dword v77, off, s[20:23], 0 offset:32 ; 4-byte Folded Reload
	buffer_load_dword v78, off, s[20:23], 0 offset:36 ; 4-byte Folded Reload
	;; [unrolled: 1-line block ×4, first 2 shown]
	v_mov_b32_e32 v69, v73
	v_mov_b32_e32 v70, v74
	;; [unrolled: 1-line block ×4, first 2 shown]
	s_waitcnt vmcnt(0)
	ds_write2_b64 v125, v[77:78], v[79:80] offset0:60 offset1:61
	buffer_load_dword v73, off, s[20:23], 0 offset:16 ; 4-byte Folded Reload
	buffer_load_dword v74, off, s[20:23], 0 offset:20 ; 4-byte Folded Reload
	;; [unrolled: 1-line block ×4, first 2 shown]
	s_waitcnt vmcnt(0)
	ds_write2_b64 v125, v[73:74], v[75:76] offset0:62 offset1:63
	v_mov_b32_e32 v76, v72
	v_mov_b32_e32 v75, v71
	;; [unrolled: 1-line block ×4, first 2 shown]
	buffer_load_dword v69, off, s[20:23], 0 ; 4-byte Folded Reload
	buffer_load_dword v70, off, s[20:23], 0 offset:4 ; 4-byte Folded Reload
	buffer_load_dword v71, off, s[20:23], 0 offset:8 ; 4-byte Folded Reload
	;; [unrolled: 1-line block ×3, first 2 shown]
	s_waitcnt vmcnt(0)
	ds_write2_b64 v125, v[69:70], v[71:72] offset0:64 offset1:65
	ds_write2_b64 v125, v[65:66], v[67:68] offset0:66 offset1:67
	;; [unrolled: 1-line block ×19, first 2 shown]
	ds_read2_b64 v[97:100], v127 offset1:1
	s_waitcnt lgkmcnt(0)
	v_cmp_neq_f64_e32 vcc, 0, v[97:98]
	v_cmp_neq_f64_e64 s[2:3], 0, v[99:100]
	s_or_b64 s[2:3], vcc, s[2:3]
	s_and_b64 exec, exec, s[2:3]
	s_cbranch_execz .LBB101_224
; %bb.219:
	v_cmp_ngt_f64_e64 s[2:3], |v[97:98]|, |v[99:100]|
                                        ; implicit-def: $vgpr101_vgpr102
	s_and_saveexec_b64 s[6:7], s[2:3]
	s_xor_b64 s[2:3], exec, s[6:7]
                                        ; implicit-def: $vgpr103_vgpr104
	s_cbranch_execz .LBB101_221
; %bb.220:
	v_div_scale_f64 v[101:102], s[6:7], v[99:100], v[99:100], v[97:98]
	v_rcp_f64_e32 v[103:104], v[101:102]
	v_fma_f64 v[105:106], -v[101:102], v[103:104], 1.0
	v_fma_f64 v[103:104], v[103:104], v[105:106], v[103:104]
	v_div_scale_f64 v[105:106], vcc, v[97:98], v[99:100], v[97:98]
	v_fma_f64 v[107:108], -v[101:102], v[103:104], 1.0
	v_fma_f64 v[103:104], v[103:104], v[107:108], v[103:104]
	v_mul_f64 v[107:108], v[105:106], v[103:104]
	v_fma_f64 v[101:102], -v[101:102], v[107:108], v[105:106]
	v_div_fmas_f64 v[101:102], v[101:102], v[103:104], v[107:108]
	v_div_fixup_f64 v[101:102], v[101:102], v[99:100], v[97:98]
	v_fma_f64 v[97:98], v[97:98], v[101:102], v[99:100]
	v_div_scale_f64 v[99:100], s[6:7], v[97:98], v[97:98], 1.0
	v_div_scale_f64 v[107:108], vcc, 1.0, v[97:98], 1.0
	v_rcp_f64_e32 v[103:104], v[99:100]
	v_fma_f64 v[105:106], -v[99:100], v[103:104], 1.0
	v_fma_f64 v[103:104], v[103:104], v[105:106], v[103:104]
	v_fma_f64 v[105:106], -v[99:100], v[103:104], 1.0
	v_fma_f64 v[103:104], v[103:104], v[105:106], v[103:104]
	v_mul_f64 v[105:106], v[107:108], v[103:104]
	v_fma_f64 v[99:100], -v[99:100], v[105:106], v[107:108]
	v_div_fmas_f64 v[99:100], v[99:100], v[103:104], v[105:106]
	v_div_fixup_f64 v[103:104], v[99:100], v[97:98], 1.0
                                        ; implicit-def: $vgpr97_vgpr98
	v_mul_f64 v[101:102], v[101:102], v[103:104]
	v_xor_b32_e32 v104, 0x80000000, v104
.LBB101_221:
	s_andn2_saveexec_b64 s[2:3], s[2:3]
	s_cbranch_execz .LBB101_223
; %bb.222:
	v_div_scale_f64 v[101:102], s[6:7], v[97:98], v[97:98], v[99:100]
	v_rcp_f64_e32 v[103:104], v[101:102]
	v_fma_f64 v[105:106], -v[101:102], v[103:104], 1.0
	v_fma_f64 v[103:104], v[103:104], v[105:106], v[103:104]
	v_div_scale_f64 v[105:106], vcc, v[99:100], v[97:98], v[99:100]
	v_fma_f64 v[107:108], -v[101:102], v[103:104], 1.0
	v_fma_f64 v[103:104], v[103:104], v[107:108], v[103:104]
	v_mul_f64 v[107:108], v[105:106], v[103:104]
	v_fma_f64 v[101:102], -v[101:102], v[107:108], v[105:106]
	v_div_fmas_f64 v[101:102], v[101:102], v[103:104], v[107:108]
	v_div_fixup_f64 v[103:104], v[101:102], v[97:98], v[99:100]
	v_fma_f64 v[97:98], v[99:100], v[103:104], v[97:98]
	v_div_scale_f64 v[99:100], s[6:7], v[97:98], v[97:98], 1.0
	v_div_scale_f64 v[107:108], vcc, 1.0, v[97:98], 1.0
	v_rcp_f64_e32 v[101:102], v[99:100]
	v_fma_f64 v[105:106], -v[99:100], v[101:102], 1.0
	v_fma_f64 v[101:102], v[101:102], v[105:106], v[101:102]
	v_fma_f64 v[105:106], -v[99:100], v[101:102], 1.0
	v_fma_f64 v[101:102], v[101:102], v[105:106], v[101:102]
	v_mul_f64 v[105:106], v[107:108], v[101:102]
	v_fma_f64 v[99:100], -v[99:100], v[105:106], v[107:108]
	v_div_fmas_f64 v[99:100], v[99:100], v[101:102], v[105:106]
	v_div_fixup_f64 v[101:102], v[99:100], v[97:98], 1.0
	v_mul_f64 v[103:104], v[103:104], -v[101:102]
.LBB101_223:
	s_or_b64 exec, exec, s[2:3]
	ds_write2_b64 v127, v[101:102], v[103:104] offset1:1
.LBB101_224:
	s_or_b64 exec, exec, s[4:5]
	s_waitcnt lgkmcnt(0)
	s_barrier
	ds_read2_b64 v[69:72], v127 offset1:1
	v_cmp_lt_u32_e32 vcc, 24, v0
	s_waitcnt lgkmcnt(0)
	buffer_store_dword v69, off, s[20:23], 0 offset:1232 ; 4-byte Folded Spill
	s_nop 0
	buffer_store_dword v70, off, s[20:23], 0 offset:1236 ; 4-byte Folded Spill
	buffer_store_dword v71, off, s[20:23], 0 offset:1240 ; 4-byte Folded Spill
	;; [unrolled: 1-line block ×3, first 2 shown]
	s_and_saveexec_b64 s[2:3], vcc
	s_cbranch_execz .LBB101_226
; %bb.225:
	buffer_load_dword v103, off, s[20:23], 0 offset:48 ; 4-byte Folded Reload
	buffer_load_dword v104, off, s[20:23], 0 offset:52 ; 4-byte Folded Reload
	buffer_load_dword v105, off, s[20:23], 0 offset:56 ; 4-byte Folded Reload
	buffer_load_dword v106, off, s[20:23], 0 offset:60 ; 4-byte Folded Reload
	buffer_load_dword v69, off, s[20:23], 0 offset:1232 ; 4-byte Folded Reload
	buffer_load_dword v70, off, s[20:23], 0 offset:1236 ; 4-byte Folded Reload
	buffer_load_dword v71, off, s[20:23], 0 offset:1240 ; 4-byte Folded Reload
	buffer_load_dword v72, off, s[20:23], 0 offset:1244 ; 4-byte Folded Reload
	s_waitcnt vmcnt(2)
	v_mul_f64 v[99:100], v[69:70], v[105:106]
	s_waitcnt vmcnt(0)
	v_mul_f64 v[97:98], v[71:72], v[105:106]
	v_fma_f64 v[105:106], v[71:72], v[103:104], v[99:100]
	ds_read2_b64 v[99:102], v125 offset0:50 offset1:51
	v_fma_f64 v[97:98], v[69:70], v[103:104], -v[97:98]
	v_mov_b32_e32 v69, v73
	v_mov_b32_e32 v70, v74
	;; [unrolled: 1-line block ×4, first 2 shown]
	s_waitcnt lgkmcnt(0)
	v_mul_f64 v[103:104], v[101:102], v[105:106]
	v_fma_f64 v[103:104], v[99:100], v[97:98], -v[103:104]
	v_mul_f64 v[99:100], v[99:100], v[105:106]
	v_add_f64 v[121:122], v[121:122], -v[103:104]
	v_fma_f64 v[99:100], v[101:102], v[97:98], v[99:100]
	v_add_f64 v[123:124], v[123:124], -v[99:100]
	ds_read2_b64 v[99:102], v125 offset0:52 offset1:53
	s_waitcnt lgkmcnt(0)
	v_mul_f64 v[103:104], v[101:102], v[105:106]
	v_fma_f64 v[103:104], v[99:100], v[97:98], -v[103:104]
	v_mul_f64 v[99:100], v[99:100], v[105:106]
	v_add_f64 v[117:118], v[117:118], -v[103:104]
	v_fma_f64 v[99:100], v[101:102], v[97:98], v[99:100]
	v_add_f64 v[119:120], v[119:120], -v[99:100]
	ds_read2_b64 v[99:102], v125 offset0:54 offset1:55
	;; [unrolled: 8-line block ×5, first 2 shown]
	buffer_load_dword v77, off, s[20:23], 0 offset:32 ; 4-byte Folded Reload
	buffer_load_dword v78, off, s[20:23], 0 offset:36 ; 4-byte Folded Reload
	;; [unrolled: 1-line block ×4, first 2 shown]
	s_waitcnt lgkmcnt(0)
	v_mul_f64 v[103:104], v[101:102], v[105:106]
	v_fma_f64 v[103:104], v[99:100], v[97:98], -v[103:104]
	v_mul_f64 v[99:100], v[99:100], v[105:106]
	v_fma_f64 v[99:100], v[101:102], v[97:98], v[99:100]
	s_waitcnt vmcnt(2)
	v_add_f64 v[77:78], v[77:78], -v[103:104]
	s_waitcnt vmcnt(0)
	v_add_f64 v[79:80], v[79:80], -v[99:100]
	buffer_store_dword v77, off, s[20:23], 0 offset:32 ; 4-byte Folded Spill
	s_nop 0
	buffer_store_dword v78, off, s[20:23], 0 offset:36 ; 4-byte Folded Spill
	buffer_store_dword v79, off, s[20:23], 0 offset:40 ; 4-byte Folded Spill
	;; [unrolled: 1-line block ×3, first 2 shown]
	ds_read2_b64 v[99:102], v125 offset0:62 offset1:63
	buffer_load_dword v73, off, s[20:23], 0 offset:16 ; 4-byte Folded Reload
	buffer_load_dword v74, off, s[20:23], 0 offset:20 ; 4-byte Folded Reload
	;; [unrolled: 1-line block ×4, first 2 shown]
	s_waitcnt lgkmcnt(0)
	v_mul_f64 v[103:104], v[101:102], v[105:106]
	v_fma_f64 v[103:104], v[99:100], v[97:98], -v[103:104]
	v_mul_f64 v[99:100], v[99:100], v[105:106]
	v_fma_f64 v[99:100], v[101:102], v[97:98], v[99:100]
	s_waitcnt vmcnt(2)
	v_add_f64 v[73:74], v[73:74], -v[103:104]
	s_waitcnt vmcnt(0)
	v_add_f64 v[75:76], v[75:76], -v[99:100]
	buffer_store_dword v73, off, s[20:23], 0 offset:16 ; 4-byte Folded Spill
	s_nop 0
	buffer_store_dword v74, off, s[20:23], 0 offset:20 ; 4-byte Folded Spill
	buffer_store_dword v75, off, s[20:23], 0 offset:24 ; 4-byte Folded Spill
	;; [unrolled: 1-line block ×3, first 2 shown]
	v_mov_b32_e32 v76, v72
	v_mov_b32_e32 v75, v71
	;; [unrolled: 1-line block ×4, first 2 shown]
	ds_read2_b64 v[99:102], v125 offset0:64 offset1:65
	buffer_load_dword v69, off, s[20:23], 0 ; 4-byte Folded Reload
	buffer_load_dword v70, off, s[20:23], 0 offset:4 ; 4-byte Folded Reload
	buffer_load_dword v71, off, s[20:23], 0 offset:8 ; 4-byte Folded Reload
	;; [unrolled: 1-line block ×3, first 2 shown]
	s_waitcnt lgkmcnt(0)
	v_mul_f64 v[103:104], v[101:102], v[105:106]
	v_fma_f64 v[103:104], v[99:100], v[97:98], -v[103:104]
	v_mul_f64 v[99:100], v[99:100], v[105:106]
	v_fma_f64 v[99:100], v[101:102], v[97:98], v[99:100]
	s_waitcnt vmcnt(2)
	v_add_f64 v[69:70], v[69:70], -v[103:104]
	s_waitcnt vmcnt(0)
	v_add_f64 v[71:72], v[71:72], -v[99:100]
	buffer_store_dword v69, off, s[20:23], 0 ; 4-byte Folded Spill
	s_nop 0
	buffer_store_dword v70, off, s[20:23], 0 offset:4 ; 4-byte Folded Spill
	buffer_store_dword v71, off, s[20:23], 0 offset:8 ; 4-byte Folded Spill
	;; [unrolled: 1-line block ×3, first 2 shown]
	ds_read2_b64 v[99:102], v125 offset0:66 offset1:67
	s_waitcnt lgkmcnt(0)
	v_mul_f64 v[103:104], v[101:102], v[105:106]
	v_fma_f64 v[103:104], v[99:100], v[97:98], -v[103:104]
	v_mul_f64 v[99:100], v[99:100], v[105:106]
	v_add_f64 v[65:66], v[65:66], -v[103:104]
	v_fma_f64 v[99:100], v[101:102], v[97:98], v[99:100]
	v_add_f64 v[67:68], v[67:68], -v[99:100]
	ds_read2_b64 v[99:102], v125 offset0:68 offset1:69
	s_waitcnt lgkmcnt(0)
	v_mul_f64 v[103:104], v[101:102], v[105:106]
	v_fma_f64 v[103:104], v[99:100], v[97:98], -v[103:104]
	v_mul_f64 v[99:100], v[99:100], v[105:106]
	v_add_f64 v[61:62], v[61:62], -v[103:104]
	v_fma_f64 v[99:100], v[101:102], v[97:98], v[99:100]
	v_add_f64 v[63:64], v[63:64], -v[99:100]
	;; [unrolled: 8-line block ×17, first 2 shown]
	ds_read2_b64 v[99:102], v125 offset0:100 offset1:101
	s_waitcnt lgkmcnt(0)
	v_mul_f64 v[103:104], v[101:102], v[105:106]
	v_fma_f64 v[103:104], v[99:100], v[97:98], -v[103:104]
	v_mul_f64 v[99:100], v[99:100], v[105:106]
	v_add_f64 v[73:74], v[73:74], -v[103:104]
	v_fma_f64 v[99:100], v[101:102], v[97:98], v[99:100]
	v_mov_b32_e32 v104, v98
	v_mov_b32_e32 v103, v97
	buffer_store_dword v103, off, s[20:23], 0 offset:48 ; 4-byte Folded Spill
	s_nop 0
	buffer_store_dword v104, off, s[20:23], 0 offset:52 ; 4-byte Folded Spill
	buffer_store_dword v105, off, s[20:23], 0 offset:56 ; 4-byte Folded Spill
	;; [unrolled: 1-line block ×3, first 2 shown]
	v_add_f64 v[75:76], v[75:76], -v[99:100]
.LBB101_226:
	s_or_b64 exec, exec, s[2:3]
	v_cmp_eq_u32_e32 vcc, 25, v0
	s_waitcnt vmcnt(0)
	s_barrier
	s_and_saveexec_b64 s[4:5], vcc
	s_cbranch_execz .LBB101_233
; %bb.227:
	ds_write2_b64 v127, v[121:122], v[123:124] offset1:1
	ds_write2_b64 v125, v[117:118], v[119:120] offset0:52 offset1:53
	ds_write2_b64 v125, v[109:110], v[111:112] offset0:54 offset1:55
	;; [unrolled: 1-line block ×4, first 2 shown]
	buffer_load_dword v77, off, s[20:23], 0 offset:32 ; 4-byte Folded Reload
	buffer_load_dword v78, off, s[20:23], 0 offset:36 ; 4-byte Folded Reload
	;; [unrolled: 1-line block ×4, first 2 shown]
	v_mov_b32_e32 v69, v73
	v_mov_b32_e32 v70, v74
	;; [unrolled: 1-line block ×4, first 2 shown]
	s_waitcnt vmcnt(0)
	ds_write2_b64 v125, v[77:78], v[79:80] offset0:60 offset1:61
	buffer_load_dword v73, off, s[20:23], 0 offset:16 ; 4-byte Folded Reload
	buffer_load_dword v74, off, s[20:23], 0 offset:20 ; 4-byte Folded Reload
	;; [unrolled: 1-line block ×4, first 2 shown]
	s_waitcnt vmcnt(0)
	ds_write2_b64 v125, v[73:74], v[75:76] offset0:62 offset1:63
	v_mov_b32_e32 v76, v72
	v_mov_b32_e32 v75, v71
	;; [unrolled: 1-line block ×4, first 2 shown]
	buffer_load_dword v69, off, s[20:23], 0 ; 4-byte Folded Reload
	buffer_load_dword v70, off, s[20:23], 0 offset:4 ; 4-byte Folded Reload
	buffer_load_dword v71, off, s[20:23], 0 offset:8 ; 4-byte Folded Reload
	;; [unrolled: 1-line block ×3, first 2 shown]
	s_waitcnt vmcnt(0)
	ds_write2_b64 v125, v[69:70], v[71:72] offset0:64 offset1:65
	ds_write2_b64 v125, v[65:66], v[67:68] offset0:66 offset1:67
	;; [unrolled: 1-line block ×19, first 2 shown]
	ds_read2_b64 v[97:100], v127 offset1:1
	s_waitcnt lgkmcnt(0)
	v_cmp_neq_f64_e32 vcc, 0, v[97:98]
	v_cmp_neq_f64_e64 s[2:3], 0, v[99:100]
	s_or_b64 s[2:3], vcc, s[2:3]
	s_and_b64 exec, exec, s[2:3]
	s_cbranch_execz .LBB101_233
; %bb.228:
	v_cmp_ngt_f64_e64 s[2:3], |v[97:98]|, |v[99:100]|
                                        ; implicit-def: $vgpr101_vgpr102
	s_and_saveexec_b64 s[6:7], s[2:3]
	s_xor_b64 s[2:3], exec, s[6:7]
                                        ; implicit-def: $vgpr103_vgpr104
	s_cbranch_execz .LBB101_230
; %bb.229:
	v_div_scale_f64 v[101:102], s[6:7], v[99:100], v[99:100], v[97:98]
	v_rcp_f64_e32 v[103:104], v[101:102]
	v_fma_f64 v[105:106], -v[101:102], v[103:104], 1.0
	v_fma_f64 v[103:104], v[103:104], v[105:106], v[103:104]
	v_div_scale_f64 v[105:106], vcc, v[97:98], v[99:100], v[97:98]
	v_fma_f64 v[107:108], -v[101:102], v[103:104], 1.0
	v_fma_f64 v[103:104], v[103:104], v[107:108], v[103:104]
	v_mul_f64 v[107:108], v[105:106], v[103:104]
	v_fma_f64 v[101:102], -v[101:102], v[107:108], v[105:106]
	v_div_fmas_f64 v[101:102], v[101:102], v[103:104], v[107:108]
	v_div_fixup_f64 v[101:102], v[101:102], v[99:100], v[97:98]
	v_fma_f64 v[97:98], v[97:98], v[101:102], v[99:100]
	v_div_scale_f64 v[99:100], s[6:7], v[97:98], v[97:98], 1.0
	v_div_scale_f64 v[107:108], vcc, 1.0, v[97:98], 1.0
	v_rcp_f64_e32 v[103:104], v[99:100]
	v_fma_f64 v[105:106], -v[99:100], v[103:104], 1.0
	v_fma_f64 v[103:104], v[103:104], v[105:106], v[103:104]
	v_fma_f64 v[105:106], -v[99:100], v[103:104], 1.0
	v_fma_f64 v[103:104], v[103:104], v[105:106], v[103:104]
	v_mul_f64 v[105:106], v[107:108], v[103:104]
	v_fma_f64 v[99:100], -v[99:100], v[105:106], v[107:108]
	v_div_fmas_f64 v[99:100], v[99:100], v[103:104], v[105:106]
	v_div_fixup_f64 v[103:104], v[99:100], v[97:98], 1.0
                                        ; implicit-def: $vgpr97_vgpr98
	v_mul_f64 v[101:102], v[101:102], v[103:104]
	v_xor_b32_e32 v104, 0x80000000, v104
.LBB101_230:
	s_andn2_saveexec_b64 s[2:3], s[2:3]
	s_cbranch_execz .LBB101_232
; %bb.231:
	v_div_scale_f64 v[101:102], s[6:7], v[97:98], v[97:98], v[99:100]
	v_rcp_f64_e32 v[103:104], v[101:102]
	v_fma_f64 v[105:106], -v[101:102], v[103:104], 1.0
	v_fma_f64 v[103:104], v[103:104], v[105:106], v[103:104]
	v_div_scale_f64 v[105:106], vcc, v[99:100], v[97:98], v[99:100]
	v_fma_f64 v[107:108], -v[101:102], v[103:104], 1.0
	v_fma_f64 v[103:104], v[103:104], v[107:108], v[103:104]
	v_mul_f64 v[107:108], v[105:106], v[103:104]
	v_fma_f64 v[101:102], -v[101:102], v[107:108], v[105:106]
	v_div_fmas_f64 v[101:102], v[101:102], v[103:104], v[107:108]
	v_div_fixup_f64 v[103:104], v[101:102], v[97:98], v[99:100]
	v_fma_f64 v[97:98], v[99:100], v[103:104], v[97:98]
	v_div_scale_f64 v[99:100], s[6:7], v[97:98], v[97:98], 1.0
	v_div_scale_f64 v[107:108], vcc, 1.0, v[97:98], 1.0
	v_rcp_f64_e32 v[101:102], v[99:100]
	v_fma_f64 v[105:106], -v[99:100], v[101:102], 1.0
	v_fma_f64 v[101:102], v[101:102], v[105:106], v[101:102]
	v_fma_f64 v[105:106], -v[99:100], v[101:102], 1.0
	v_fma_f64 v[101:102], v[101:102], v[105:106], v[101:102]
	v_mul_f64 v[105:106], v[107:108], v[101:102]
	v_fma_f64 v[99:100], -v[99:100], v[105:106], v[107:108]
	v_div_fmas_f64 v[99:100], v[99:100], v[101:102], v[105:106]
	v_div_fixup_f64 v[101:102], v[99:100], v[97:98], 1.0
	v_mul_f64 v[103:104], v[103:104], -v[101:102]
.LBB101_232:
	s_or_b64 exec, exec, s[2:3]
	ds_write2_b64 v127, v[101:102], v[103:104] offset1:1
.LBB101_233:
	s_or_b64 exec, exec, s[4:5]
	s_waitcnt lgkmcnt(0)
	s_barrier
	ds_read2_b64 v[69:72], v127 offset1:1
	v_cmp_lt_u32_e32 vcc, 25, v0
	s_waitcnt lgkmcnt(0)
	buffer_store_dword v69, off, s[20:23], 0 offset:1248 ; 4-byte Folded Spill
	s_nop 0
	buffer_store_dword v70, off, s[20:23], 0 offset:1252 ; 4-byte Folded Spill
	buffer_store_dword v71, off, s[20:23], 0 offset:1256 ; 4-byte Folded Spill
	;; [unrolled: 1-line block ×3, first 2 shown]
	s_and_saveexec_b64 s[2:3], vcc
	s_cbranch_execz .LBB101_235
; %bb.234:
	buffer_load_dword v69, off, s[20:23], 0 offset:1248 ; 4-byte Folded Reload
	buffer_load_dword v70, off, s[20:23], 0 offset:1252 ; 4-byte Folded Reload
	;; [unrolled: 1-line block ×4, first 2 shown]
	s_waitcnt vmcnt(2)
	v_mul_f64 v[99:100], v[69:70], v[123:124]
	s_waitcnt vmcnt(0)
	v_mul_f64 v[97:98], v[71:72], v[123:124]
	v_fma_f64 v[123:124], v[71:72], v[121:122], v[99:100]
	ds_read2_b64 v[99:102], v125 offset0:52 offset1:53
	v_fma_f64 v[97:98], v[69:70], v[121:122], -v[97:98]
	v_mov_b32_e32 v69, v73
	v_mov_b32_e32 v70, v74
	;; [unrolled: 1-line block ×4, first 2 shown]
	s_waitcnt lgkmcnt(0)
	v_mul_f64 v[103:104], v[101:102], v[123:124]
	v_mov_b32_e32 v122, v98
	v_mov_b32_e32 v121, v97
	v_fma_f64 v[103:104], v[99:100], v[97:98], -v[103:104]
	v_mul_f64 v[99:100], v[99:100], v[123:124]
	v_add_f64 v[117:118], v[117:118], -v[103:104]
	v_fma_f64 v[99:100], v[101:102], v[97:98], v[99:100]
	v_add_f64 v[119:120], v[119:120], -v[99:100]
	ds_read2_b64 v[99:102], v125 offset0:54 offset1:55
	s_waitcnt lgkmcnt(0)
	v_mul_f64 v[103:104], v[101:102], v[123:124]
	v_fma_f64 v[103:104], v[99:100], v[97:98], -v[103:104]
	v_mul_f64 v[99:100], v[99:100], v[123:124]
	v_add_f64 v[109:110], v[109:110], -v[103:104]
	v_fma_f64 v[99:100], v[101:102], v[97:98], v[99:100]
	v_add_f64 v[111:112], v[111:112], -v[99:100]
	ds_read2_b64 v[99:102], v125 offset0:56 offset1:57
	s_waitcnt lgkmcnt(0)
	v_mul_f64 v[103:104], v[101:102], v[123:124]
	;; [unrolled: 8-line block ×3, first 2 shown]
	v_fma_f64 v[103:104], v[99:100], v[97:98], -v[103:104]
	v_mul_f64 v[99:100], v[99:100], v[123:124]
	v_add_f64 v[93:94], v[93:94], -v[103:104]
	v_fma_f64 v[99:100], v[101:102], v[97:98], v[99:100]
	v_add_f64 v[95:96], v[95:96], -v[99:100]
	ds_read2_b64 v[99:102], v125 offset0:60 offset1:61
	buffer_load_dword v77, off, s[20:23], 0 offset:32 ; 4-byte Folded Reload
	buffer_load_dword v78, off, s[20:23], 0 offset:36 ; 4-byte Folded Reload
	;; [unrolled: 1-line block ×4, first 2 shown]
	s_waitcnt lgkmcnt(0)
	v_mul_f64 v[103:104], v[101:102], v[123:124]
	v_fma_f64 v[103:104], v[99:100], v[97:98], -v[103:104]
	v_mul_f64 v[99:100], v[99:100], v[123:124]
	v_fma_f64 v[99:100], v[101:102], v[97:98], v[99:100]
	s_waitcnt vmcnt(2)
	v_add_f64 v[77:78], v[77:78], -v[103:104]
	s_waitcnt vmcnt(0)
	v_add_f64 v[79:80], v[79:80], -v[99:100]
	buffer_store_dword v77, off, s[20:23], 0 offset:32 ; 4-byte Folded Spill
	s_nop 0
	buffer_store_dword v78, off, s[20:23], 0 offset:36 ; 4-byte Folded Spill
	buffer_store_dword v79, off, s[20:23], 0 offset:40 ; 4-byte Folded Spill
	;; [unrolled: 1-line block ×3, first 2 shown]
	ds_read2_b64 v[99:102], v125 offset0:62 offset1:63
	buffer_load_dword v73, off, s[20:23], 0 offset:16 ; 4-byte Folded Reload
	buffer_load_dword v74, off, s[20:23], 0 offset:20 ; 4-byte Folded Reload
	;; [unrolled: 1-line block ×4, first 2 shown]
	s_waitcnt lgkmcnt(0)
	v_mul_f64 v[103:104], v[101:102], v[123:124]
	v_fma_f64 v[103:104], v[99:100], v[97:98], -v[103:104]
	v_mul_f64 v[99:100], v[99:100], v[123:124]
	v_fma_f64 v[99:100], v[101:102], v[97:98], v[99:100]
	s_waitcnt vmcnt(2)
	v_add_f64 v[73:74], v[73:74], -v[103:104]
	s_waitcnt vmcnt(0)
	v_add_f64 v[75:76], v[75:76], -v[99:100]
	buffer_store_dword v73, off, s[20:23], 0 offset:16 ; 4-byte Folded Spill
	s_nop 0
	buffer_store_dword v74, off, s[20:23], 0 offset:20 ; 4-byte Folded Spill
	buffer_store_dword v75, off, s[20:23], 0 offset:24 ; 4-byte Folded Spill
	buffer_store_dword v76, off, s[20:23], 0 offset:28 ; 4-byte Folded Spill
	v_mov_b32_e32 v76, v72
	v_mov_b32_e32 v75, v71
	;; [unrolled: 1-line block ×4, first 2 shown]
	ds_read2_b64 v[99:102], v125 offset0:64 offset1:65
	buffer_load_dword v69, off, s[20:23], 0 ; 4-byte Folded Reload
	buffer_load_dword v70, off, s[20:23], 0 offset:4 ; 4-byte Folded Reload
	buffer_load_dword v71, off, s[20:23], 0 offset:8 ; 4-byte Folded Reload
	;; [unrolled: 1-line block ×3, first 2 shown]
	s_waitcnt lgkmcnt(0)
	v_mul_f64 v[103:104], v[101:102], v[123:124]
	v_fma_f64 v[103:104], v[99:100], v[97:98], -v[103:104]
	v_mul_f64 v[99:100], v[99:100], v[123:124]
	v_fma_f64 v[99:100], v[101:102], v[97:98], v[99:100]
	s_waitcnt vmcnt(2)
	v_add_f64 v[69:70], v[69:70], -v[103:104]
	s_waitcnt vmcnt(0)
	v_add_f64 v[71:72], v[71:72], -v[99:100]
	buffer_store_dword v69, off, s[20:23], 0 ; 4-byte Folded Spill
	s_nop 0
	buffer_store_dword v70, off, s[20:23], 0 offset:4 ; 4-byte Folded Spill
	buffer_store_dword v71, off, s[20:23], 0 offset:8 ; 4-byte Folded Spill
	;; [unrolled: 1-line block ×3, first 2 shown]
	ds_read2_b64 v[99:102], v125 offset0:66 offset1:67
	s_waitcnt lgkmcnt(0)
	v_mul_f64 v[103:104], v[101:102], v[123:124]
	v_fma_f64 v[103:104], v[99:100], v[97:98], -v[103:104]
	v_mul_f64 v[99:100], v[99:100], v[123:124]
	v_add_f64 v[65:66], v[65:66], -v[103:104]
	v_fma_f64 v[99:100], v[101:102], v[97:98], v[99:100]
	v_add_f64 v[67:68], v[67:68], -v[99:100]
	ds_read2_b64 v[99:102], v125 offset0:68 offset1:69
	s_waitcnt lgkmcnt(0)
	v_mul_f64 v[103:104], v[101:102], v[123:124]
	v_fma_f64 v[103:104], v[99:100], v[97:98], -v[103:104]
	v_mul_f64 v[99:100], v[99:100], v[123:124]
	v_add_f64 v[61:62], v[61:62], -v[103:104]
	v_fma_f64 v[99:100], v[101:102], v[97:98], v[99:100]
	v_add_f64 v[63:64], v[63:64], -v[99:100]
	;; [unrolled: 8-line block ×18, first 2 shown]
.LBB101_235:
	s_or_b64 exec, exec, s[2:3]
	v_cmp_eq_u32_e32 vcc, 26, v0
	s_waitcnt vmcnt(0)
	s_barrier
	s_and_saveexec_b64 s[4:5], vcc
	s_cbranch_execz .LBB101_242
; %bb.236:
	ds_write2_b64 v127, v[117:118], v[119:120] offset1:1
	ds_write2_b64 v125, v[109:110], v[111:112] offset0:54 offset1:55
	ds_write2_b64 v125, v[113:114], v[115:116] offset0:56 offset1:57
	;; [unrolled: 1-line block ×3, first 2 shown]
	buffer_load_dword v77, off, s[20:23], 0 offset:32 ; 4-byte Folded Reload
	buffer_load_dword v78, off, s[20:23], 0 offset:36 ; 4-byte Folded Reload
	;; [unrolled: 1-line block ×4, first 2 shown]
	v_mov_b32_e32 v69, v73
	v_mov_b32_e32 v70, v74
	;; [unrolled: 1-line block ×4, first 2 shown]
	s_waitcnt vmcnt(0)
	ds_write2_b64 v125, v[77:78], v[79:80] offset0:60 offset1:61
	buffer_load_dword v73, off, s[20:23], 0 offset:16 ; 4-byte Folded Reload
	buffer_load_dword v74, off, s[20:23], 0 offset:20 ; 4-byte Folded Reload
	;; [unrolled: 1-line block ×4, first 2 shown]
	s_waitcnt vmcnt(0)
	ds_write2_b64 v125, v[73:74], v[75:76] offset0:62 offset1:63
	v_mov_b32_e32 v76, v72
	v_mov_b32_e32 v75, v71
	;; [unrolled: 1-line block ×4, first 2 shown]
	buffer_load_dword v69, off, s[20:23], 0 ; 4-byte Folded Reload
	buffer_load_dword v70, off, s[20:23], 0 offset:4 ; 4-byte Folded Reload
	buffer_load_dword v71, off, s[20:23], 0 offset:8 ; 4-byte Folded Reload
	;; [unrolled: 1-line block ×3, first 2 shown]
	s_waitcnt vmcnt(0)
	ds_write2_b64 v125, v[69:70], v[71:72] offset0:64 offset1:65
	ds_write2_b64 v125, v[65:66], v[67:68] offset0:66 offset1:67
	ds_write2_b64 v125, v[61:62], v[63:64] offset0:68 offset1:69
	ds_write2_b64 v125, v[57:58], v[59:60] offset0:70 offset1:71
	ds_write2_b64 v125, v[53:54], v[55:56] offset0:72 offset1:73
	ds_write2_b64 v125, v[49:50], v[51:52] offset0:74 offset1:75
	ds_write2_b64 v125, v[45:46], v[47:48] offset0:76 offset1:77
	ds_write2_b64 v125, v[41:42], v[43:44] offset0:78 offset1:79
	ds_write2_b64 v125, v[37:38], v[39:40] offset0:80 offset1:81
	ds_write2_b64 v125, v[33:34], v[35:36] offset0:82 offset1:83
	ds_write2_b64 v125, v[29:30], v[31:32] offset0:84 offset1:85
	ds_write2_b64 v125, v[25:26], v[27:28] offset0:86 offset1:87
	ds_write2_b64 v125, v[21:22], v[23:24] offset0:88 offset1:89
	ds_write2_b64 v125, v[17:18], v[19:20] offset0:90 offset1:91
	ds_write2_b64 v125, v[13:14], v[15:16] offset0:92 offset1:93
	ds_write2_b64 v125, v[9:10], v[11:12] offset0:94 offset1:95
	ds_write2_b64 v125, v[5:6], v[7:8] offset0:96 offset1:97
	ds_write2_b64 v125, v[1:2], v[3:4] offset0:98 offset1:99
	ds_write2_b64 v125, v[73:74], v[75:76] offset0:100 offset1:101
	ds_read2_b64 v[97:100], v127 offset1:1
	s_waitcnt lgkmcnt(0)
	v_cmp_neq_f64_e32 vcc, 0, v[97:98]
	v_cmp_neq_f64_e64 s[2:3], 0, v[99:100]
	s_or_b64 s[2:3], vcc, s[2:3]
	s_and_b64 exec, exec, s[2:3]
	s_cbranch_execz .LBB101_242
; %bb.237:
	v_cmp_ngt_f64_e64 s[2:3], |v[97:98]|, |v[99:100]|
                                        ; implicit-def: $vgpr101_vgpr102
	s_and_saveexec_b64 s[6:7], s[2:3]
	s_xor_b64 s[2:3], exec, s[6:7]
                                        ; implicit-def: $vgpr103_vgpr104
	s_cbranch_execz .LBB101_239
; %bb.238:
	v_div_scale_f64 v[101:102], s[6:7], v[99:100], v[99:100], v[97:98]
	v_rcp_f64_e32 v[103:104], v[101:102]
	v_fma_f64 v[105:106], -v[101:102], v[103:104], 1.0
	v_fma_f64 v[103:104], v[103:104], v[105:106], v[103:104]
	v_div_scale_f64 v[105:106], vcc, v[97:98], v[99:100], v[97:98]
	v_fma_f64 v[107:108], -v[101:102], v[103:104], 1.0
	v_fma_f64 v[103:104], v[103:104], v[107:108], v[103:104]
	v_mul_f64 v[107:108], v[105:106], v[103:104]
	v_fma_f64 v[101:102], -v[101:102], v[107:108], v[105:106]
	v_div_fmas_f64 v[101:102], v[101:102], v[103:104], v[107:108]
	v_div_fixup_f64 v[101:102], v[101:102], v[99:100], v[97:98]
	v_fma_f64 v[97:98], v[97:98], v[101:102], v[99:100]
	v_div_scale_f64 v[99:100], s[6:7], v[97:98], v[97:98], 1.0
	v_div_scale_f64 v[107:108], vcc, 1.0, v[97:98], 1.0
	v_rcp_f64_e32 v[103:104], v[99:100]
	v_fma_f64 v[105:106], -v[99:100], v[103:104], 1.0
	v_fma_f64 v[103:104], v[103:104], v[105:106], v[103:104]
	v_fma_f64 v[105:106], -v[99:100], v[103:104], 1.0
	v_fma_f64 v[103:104], v[103:104], v[105:106], v[103:104]
	v_mul_f64 v[105:106], v[107:108], v[103:104]
	v_fma_f64 v[99:100], -v[99:100], v[105:106], v[107:108]
	v_div_fmas_f64 v[99:100], v[99:100], v[103:104], v[105:106]
	v_div_fixup_f64 v[103:104], v[99:100], v[97:98], 1.0
                                        ; implicit-def: $vgpr97_vgpr98
	v_mul_f64 v[101:102], v[101:102], v[103:104]
	v_xor_b32_e32 v104, 0x80000000, v104
.LBB101_239:
	s_andn2_saveexec_b64 s[2:3], s[2:3]
	s_cbranch_execz .LBB101_241
; %bb.240:
	v_div_scale_f64 v[101:102], s[6:7], v[97:98], v[97:98], v[99:100]
	v_rcp_f64_e32 v[103:104], v[101:102]
	v_fma_f64 v[105:106], -v[101:102], v[103:104], 1.0
	v_fma_f64 v[103:104], v[103:104], v[105:106], v[103:104]
	v_div_scale_f64 v[105:106], vcc, v[99:100], v[97:98], v[99:100]
	v_fma_f64 v[107:108], -v[101:102], v[103:104], 1.0
	v_fma_f64 v[103:104], v[103:104], v[107:108], v[103:104]
	v_mul_f64 v[107:108], v[105:106], v[103:104]
	v_fma_f64 v[101:102], -v[101:102], v[107:108], v[105:106]
	v_div_fmas_f64 v[101:102], v[101:102], v[103:104], v[107:108]
	v_div_fixup_f64 v[103:104], v[101:102], v[97:98], v[99:100]
	v_fma_f64 v[97:98], v[99:100], v[103:104], v[97:98]
	v_div_scale_f64 v[99:100], s[6:7], v[97:98], v[97:98], 1.0
	v_div_scale_f64 v[107:108], vcc, 1.0, v[97:98], 1.0
	v_rcp_f64_e32 v[101:102], v[99:100]
	v_fma_f64 v[105:106], -v[99:100], v[101:102], 1.0
	v_fma_f64 v[101:102], v[101:102], v[105:106], v[101:102]
	v_fma_f64 v[105:106], -v[99:100], v[101:102], 1.0
	v_fma_f64 v[101:102], v[101:102], v[105:106], v[101:102]
	v_mul_f64 v[105:106], v[107:108], v[101:102]
	v_fma_f64 v[99:100], -v[99:100], v[105:106], v[107:108]
	v_div_fmas_f64 v[99:100], v[99:100], v[101:102], v[105:106]
	v_div_fixup_f64 v[101:102], v[99:100], v[97:98], 1.0
	v_mul_f64 v[103:104], v[103:104], -v[101:102]
.LBB101_241:
	s_or_b64 exec, exec, s[2:3]
	ds_write2_b64 v127, v[101:102], v[103:104] offset1:1
.LBB101_242:
	s_or_b64 exec, exec, s[4:5]
	s_waitcnt lgkmcnt(0)
	s_barrier
	ds_read2_b64 v[69:72], v127 offset1:1
	v_cmp_lt_u32_e32 vcc, 26, v0
	s_waitcnt lgkmcnt(0)
	buffer_store_dword v69, off, s[20:23], 0 offset:1264 ; 4-byte Folded Spill
	s_nop 0
	buffer_store_dword v70, off, s[20:23], 0 offset:1268 ; 4-byte Folded Spill
	buffer_store_dword v71, off, s[20:23], 0 offset:1272 ; 4-byte Folded Spill
	;; [unrolled: 1-line block ×3, first 2 shown]
	s_and_saveexec_b64 s[2:3], vcc
	s_cbranch_execz .LBB101_244
; %bb.243:
	buffer_load_dword v69, off, s[20:23], 0 offset:1264 ; 4-byte Folded Reload
	buffer_load_dword v70, off, s[20:23], 0 offset:1268 ; 4-byte Folded Reload
	;; [unrolled: 1-line block ×4, first 2 shown]
	v_mov_b32_e32 v106, v96
	v_mov_b32_e32 v105, v95
	;; [unrolled: 1-line block ×4, first 2 shown]
	ds_read2_b64 v[99:102], v125 offset0:54 offset1:55
	s_waitcnt vmcnt(2)
	v_mul_f64 v[95:96], v[69:70], v[119:120]
	s_waitcnt vmcnt(0)
	v_mul_f64 v[97:98], v[71:72], v[119:120]
	v_fma_f64 v[119:120], v[71:72], v[117:118], v[95:96]
	v_fma_f64 v[97:98], v[69:70], v[117:118], -v[97:98]
	v_mov_b32_e32 v69, v73
	v_mov_b32_e32 v70, v74
	;; [unrolled: 1-line block ×4, first 2 shown]
	s_waitcnt lgkmcnt(0)
	v_mul_f64 v[93:94], v[101:102], v[119:120]
	v_mov_b32_e32 v118, v98
	v_mov_b32_e32 v117, v97
	v_fma_f64 v[93:94], v[99:100], v[97:98], -v[93:94]
	v_mul_f64 v[99:100], v[99:100], v[119:120]
	v_add_f64 v[109:110], v[109:110], -v[93:94]
	v_fma_f64 v[99:100], v[101:102], v[97:98], v[99:100]
	v_add_f64 v[111:112], v[111:112], -v[99:100]
	ds_read2_b64 v[99:102], v125 offset0:56 offset1:57
	s_waitcnt lgkmcnt(0)
	v_mul_f64 v[93:94], v[101:102], v[119:120]
	v_fma_f64 v[93:94], v[99:100], v[97:98], -v[93:94]
	v_mul_f64 v[99:100], v[99:100], v[119:120]
	v_add_f64 v[113:114], v[113:114], -v[93:94]
	v_fma_f64 v[99:100], v[101:102], v[97:98], v[99:100]
	v_add_f64 v[115:116], v[115:116], -v[99:100]
	ds_read2_b64 v[99:102], v125 offset0:58 offset1:59
	s_waitcnt lgkmcnt(0)
	v_mul_f64 v[93:94], v[101:102], v[119:120]
	v_fma_f64 v[93:94], v[99:100], v[97:98], -v[93:94]
	v_mul_f64 v[99:100], v[99:100], v[119:120]
	v_add_f64 v[103:104], v[103:104], -v[93:94]
	v_fma_f64 v[99:100], v[101:102], v[97:98], v[99:100]
	v_add_f64 v[105:106], v[105:106], -v[99:100]
	ds_read2_b64 v[99:102], v125 offset0:60 offset1:61
	buffer_load_dword v77, off, s[20:23], 0 offset:32 ; 4-byte Folded Reload
	buffer_load_dword v78, off, s[20:23], 0 offset:36 ; 4-byte Folded Reload
	;; [unrolled: 1-line block ×4, first 2 shown]
	s_waitcnt lgkmcnt(0)
	v_mul_f64 v[93:94], v[101:102], v[119:120]
	v_fma_f64 v[93:94], v[99:100], v[97:98], -v[93:94]
	v_mul_f64 v[99:100], v[99:100], v[119:120]
	v_fma_f64 v[99:100], v[101:102], v[97:98], v[99:100]
	s_waitcnt vmcnt(2)
	v_add_f64 v[77:78], v[77:78], -v[93:94]
	s_waitcnt vmcnt(0)
	v_add_f64 v[79:80], v[79:80], -v[99:100]
	buffer_store_dword v77, off, s[20:23], 0 offset:32 ; 4-byte Folded Spill
	s_nop 0
	buffer_store_dword v78, off, s[20:23], 0 offset:36 ; 4-byte Folded Spill
	buffer_store_dword v79, off, s[20:23], 0 offset:40 ; 4-byte Folded Spill
	buffer_store_dword v80, off, s[20:23], 0 offset:44 ; 4-byte Folded Spill
	ds_read2_b64 v[99:102], v125 offset0:62 offset1:63
	buffer_load_dword v73, off, s[20:23], 0 offset:16 ; 4-byte Folded Reload
	buffer_load_dword v74, off, s[20:23], 0 offset:20 ; 4-byte Folded Reload
	;; [unrolled: 1-line block ×4, first 2 shown]
	s_waitcnt lgkmcnt(0)
	v_mul_f64 v[93:94], v[101:102], v[119:120]
	v_fma_f64 v[93:94], v[99:100], v[97:98], -v[93:94]
	v_mul_f64 v[99:100], v[99:100], v[119:120]
	v_fma_f64 v[99:100], v[101:102], v[97:98], v[99:100]
	s_waitcnt vmcnt(2)
	v_add_f64 v[73:74], v[73:74], -v[93:94]
	s_waitcnt vmcnt(0)
	v_add_f64 v[75:76], v[75:76], -v[99:100]
	buffer_store_dword v73, off, s[20:23], 0 offset:16 ; 4-byte Folded Spill
	s_nop 0
	buffer_store_dword v74, off, s[20:23], 0 offset:20 ; 4-byte Folded Spill
	buffer_store_dword v75, off, s[20:23], 0 offset:24 ; 4-byte Folded Spill
	;; [unrolled: 1-line block ×3, first 2 shown]
	v_mov_b32_e32 v76, v72
	v_mov_b32_e32 v75, v71
	;; [unrolled: 1-line block ×4, first 2 shown]
	ds_read2_b64 v[99:102], v125 offset0:64 offset1:65
	buffer_load_dword v69, off, s[20:23], 0 ; 4-byte Folded Reload
	buffer_load_dword v70, off, s[20:23], 0 offset:4 ; 4-byte Folded Reload
	buffer_load_dword v71, off, s[20:23], 0 offset:8 ; 4-byte Folded Reload
	;; [unrolled: 1-line block ×3, first 2 shown]
	s_waitcnt lgkmcnt(0)
	v_mul_f64 v[93:94], v[101:102], v[119:120]
	v_fma_f64 v[93:94], v[99:100], v[97:98], -v[93:94]
	v_mul_f64 v[99:100], v[99:100], v[119:120]
	v_fma_f64 v[99:100], v[101:102], v[97:98], v[99:100]
	s_waitcnt vmcnt(2)
	v_add_f64 v[69:70], v[69:70], -v[93:94]
	s_waitcnt vmcnt(0)
	v_add_f64 v[71:72], v[71:72], -v[99:100]
	buffer_store_dword v69, off, s[20:23], 0 ; 4-byte Folded Spill
	s_nop 0
	buffer_store_dword v70, off, s[20:23], 0 offset:4 ; 4-byte Folded Spill
	buffer_store_dword v71, off, s[20:23], 0 offset:8 ; 4-byte Folded Spill
	;; [unrolled: 1-line block ×3, first 2 shown]
	ds_read2_b64 v[99:102], v125 offset0:66 offset1:67
	s_waitcnt lgkmcnt(0)
	v_mul_f64 v[93:94], v[101:102], v[119:120]
	v_fma_f64 v[93:94], v[99:100], v[97:98], -v[93:94]
	v_mul_f64 v[99:100], v[99:100], v[119:120]
	v_add_f64 v[65:66], v[65:66], -v[93:94]
	v_fma_f64 v[99:100], v[101:102], v[97:98], v[99:100]
	v_add_f64 v[67:68], v[67:68], -v[99:100]
	ds_read2_b64 v[99:102], v125 offset0:68 offset1:69
	s_waitcnt lgkmcnt(0)
	v_mul_f64 v[93:94], v[101:102], v[119:120]
	v_fma_f64 v[93:94], v[99:100], v[97:98], -v[93:94]
	v_mul_f64 v[99:100], v[99:100], v[119:120]
	v_add_f64 v[61:62], v[61:62], -v[93:94]
	v_fma_f64 v[99:100], v[101:102], v[97:98], v[99:100]
	v_add_f64 v[63:64], v[63:64], -v[99:100]
	;; [unrolled: 8-line block ×17, first 2 shown]
	ds_read2_b64 v[99:102], v125 offset0:100 offset1:101
	s_waitcnt lgkmcnt(0)
	v_mul_f64 v[93:94], v[101:102], v[119:120]
	v_fma_f64 v[93:94], v[99:100], v[97:98], -v[93:94]
	v_mul_f64 v[99:100], v[99:100], v[119:120]
	v_add_f64 v[73:74], v[73:74], -v[93:94]
	v_fma_f64 v[99:100], v[101:102], v[97:98], v[99:100]
	v_mov_b32_e32 v93, v103
	v_mov_b32_e32 v94, v104
	;; [unrolled: 1-line block ×4, first 2 shown]
	v_add_f64 v[75:76], v[75:76], -v[99:100]
.LBB101_244:
	s_or_b64 exec, exec, s[2:3]
	v_cmp_eq_u32_e32 vcc, 27, v0
	s_waitcnt vmcnt(0)
	s_barrier
	s_and_saveexec_b64 s[4:5], vcc
	s_cbranch_execz .LBB101_251
; %bb.245:
	ds_write2_b64 v127, v[109:110], v[111:112] offset1:1
	ds_write2_b64 v125, v[113:114], v[115:116] offset0:56 offset1:57
	ds_write2_b64 v125, v[93:94], v[95:96] offset0:58 offset1:59
	buffer_load_dword v77, off, s[20:23], 0 offset:32 ; 4-byte Folded Reload
	buffer_load_dword v78, off, s[20:23], 0 offset:36 ; 4-byte Folded Reload
	;; [unrolled: 1-line block ×4, first 2 shown]
	v_mov_b32_e32 v69, v73
	v_mov_b32_e32 v70, v74
	;; [unrolled: 1-line block ×4, first 2 shown]
	s_waitcnt vmcnt(0)
	ds_write2_b64 v125, v[77:78], v[79:80] offset0:60 offset1:61
	buffer_load_dword v73, off, s[20:23], 0 offset:16 ; 4-byte Folded Reload
	buffer_load_dword v74, off, s[20:23], 0 offset:20 ; 4-byte Folded Reload
	;; [unrolled: 1-line block ×4, first 2 shown]
	s_waitcnt vmcnt(0)
	ds_write2_b64 v125, v[73:74], v[75:76] offset0:62 offset1:63
	v_mov_b32_e32 v76, v72
	v_mov_b32_e32 v75, v71
	;; [unrolled: 1-line block ×4, first 2 shown]
	buffer_load_dword v69, off, s[20:23], 0 ; 4-byte Folded Reload
	buffer_load_dword v70, off, s[20:23], 0 offset:4 ; 4-byte Folded Reload
	buffer_load_dword v71, off, s[20:23], 0 offset:8 ; 4-byte Folded Reload
	;; [unrolled: 1-line block ×3, first 2 shown]
	s_waitcnt vmcnt(0)
	ds_write2_b64 v125, v[69:70], v[71:72] offset0:64 offset1:65
	ds_write2_b64 v125, v[65:66], v[67:68] offset0:66 offset1:67
	;; [unrolled: 1-line block ×19, first 2 shown]
	ds_read2_b64 v[97:100], v127 offset1:1
	s_waitcnt lgkmcnt(0)
	v_cmp_neq_f64_e32 vcc, 0, v[97:98]
	v_cmp_neq_f64_e64 s[2:3], 0, v[99:100]
	s_or_b64 s[2:3], vcc, s[2:3]
	s_and_b64 exec, exec, s[2:3]
	s_cbranch_execz .LBB101_251
; %bb.246:
	v_cmp_ngt_f64_e64 s[2:3], |v[97:98]|, |v[99:100]|
                                        ; implicit-def: $vgpr101_vgpr102
	s_and_saveexec_b64 s[6:7], s[2:3]
	s_xor_b64 s[2:3], exec, s[6:7]
                                        ; implicit-def: $vgpr103_vgpr104
	s_cbranch_execz .LBB101_248
; %bb.247:
	v_div_scale_f64 v[101:102], s[6:7], v[99:100], v[99:100], v[97:98]
	v_rcp_f64_e32 v[103:104], v[101:102]
	v_fma_f64 v[105:106], -v[101:102], v[103:104], 1.0
	v_fma_f64 v[103:104], v[103:104], v[105:106], v[103:104]
	v_div_scale_f64 v[105:106], vcc, v[97:98], v[99:100], v[97:98]
	v_fma_f64 v[107:108], -v[101:102], v[103:104], 1.0
	v_fma_f64 v[103:104], v[103:104], v[107:108], v[103:104]
	v_mul_f64 v[107:108], v[105:106], v[103:104]
	v_fma_f64 v[101:102], -v[101:102], v[107:108], v[105:106]
	v_div_fmas_f64 v[101:102], v[101:102], v[103:104], v[107:108]
	v_div_fixup_f64 v[101:102], v[101:102], v[99:100], v[97:98]
	v_fma_f64 v[97:98], v[97:98], v[101:102], v[99:100]
	v_div_scale_f64 v[99:100], s[6:7], v[97:98], v[97:98], 1.0
	v_div_scale_f64 v[107:108], vcc, 1.0, v[97:98], 1.0
	v_rcp_f64_e32 v[103:104], v[99:100]
	v_fma_f64 v[105:106], -v[99:100], v[103:104], 1.0
	v_fma_f64 v[103:104], v[103:104], v[105:106], v[103:104]
	v_fma_f64 v[105:106], -v[99:100], v[103:104], 1.0
	v_fma_f64 v[103:104], v[103:104], v[105:106], v[103:104]
	v_mul_f64 v[105:106], v[107:108], v[103:104]
	v_fma_f64 v[99:100], -v[99:100], v[105:106], v[107:108]
	v_div_fmas_f64 v[99:100], v[99:100], v[103:104], v[105:106]
	v_div_fixup_f64 v[103:104], v[99:100], v[97:98], 1.0
                                        ; implicit-def: $vgpr97_vgpr98
	v_mul_f64 v[101:102], v[101:102], v[103:104]
	v_xor_b32_e32 v104, 0x80000000, v104
.LBB101_248:
	s_andn2_saveexec_b64 s[2:3], s[2:3]
	s_cbranch_execz .LBB101_250
; %bb.249:
	v_div_scale_f64 v[101:102], s[6:7], v[97:98], v[97:98], v[99:100]
	v_rcp_f64_e32 v[103:104], v[101:102]
	v_fma_f64 v[105:106], -v[101:102], v[103:104], 1.0
	v_fma_f64 v[103:104], v[103:104], v[105:106], v[103:104]
	v_div_scale_f64 v[105:106], vcc, v[99:100], v[97:98], v[99:100]
	v_fma_f64 v[107:108], -v[101:102], v[103:104], 1.0
	v_fma_f64 v[103:104], v[103:104], v[107:108], v[103:104]
	v_mul_f64 v[107:108], v[105:106], v[103:104]
	v_fma_f64 v[101:102], -v[101:102], v[107:108], v[105:106]
	v_div_fmas_f64 v[101:102], v[101:102], v[103:104], v[107:108]
	v_div_fixup_f64 v[103:104], v[101:102], v[97:98], v[99:100]
	v_fma_f64 v[97:98], v[99:100], v[103:104], v[97:98]
	v_div_scale_f64 v[99:100], s[6:7], v[97:98], v[97:98], 1.0
	v_div_scale_f64 v[107:108], vcc, 1.0, v[97:98], 1.0
	v_rcp_f64_e32 v[101:102], v[99:100]
	v_fma_f64 v[105:106], -v[99:100], v[101:102], 1.0
	v_fma_f64 v[101:102], v[101:102], v[105:106], v[101:102]
	v_fma_f64 v[105:106], -v[99:100], v[101:102], 1.0
	v_fma_f64 v[101:102], v[101:102], v[105:106], v[101:102]
	v_mul_f64 v[105:106], v[107:108], v[101:102]
	v_fma_f64 v[99:100], -v[99:100], v[105:106], v[107:108]
	v_div_fmas_f64 v[99:100], v[99:100], v[101:102], v[105:106]
	v_div_fixup_f64 v[101:102], v[99:100], v[97:98], 1.0
	v_mul_f64 v[103:104], v[103:104], -v[101:102]
.LBB101_250:
	s_or_b64 exec, exec, s[2:3]
	ds_write2_b64 v127, v[101:102], v[103:104] offset1:1
.LBB101_251:
	s_or_b64 exec, exec, s[4:5]
	s_waitcnt lgkmcnt(0)
	s_barrier
	ds_read2_b64 v[69:72], v127 offset1:1
	v_cmp_lt_u32_e32 vcc, 27, v0
	s_waitcnt lgkmcnt(0)
	buffer_store_dword v69, off, s[20:23], 0 offset:1280 ; 4-byte Folded Spill
	s_nop 0
	buffer_store_dword v70, off, s[20:23], 0 offset:1284 ; 4-byte Folded Spill
	buffer_store_dword v71, off, s[20:23], 0 offset:1288 ; 4-byte Folded Spill
	;; [unrolled: 1-line block ×3, first 2 shown]
	s_and_saveexec_b64 s[2:3], vcc
	s_cbranch_execz .LBB101_253
; %bb.252:
	buffer_load_dword v69, off, s[20:23], 0 offset:1280 ; 4-byte Folded Reload
	buffer_load_dword v70, off, s[20:23], 0 offset:1284 ; 4-byte Folded Reload
	;; [unrolled: 1-line block ×4, first 2 shown]
	v_mov_b32_e32 v89, v91
	v_mov_b32_e32 v90, v92
	ds_read2_b64 v[99:102], v125 offset0:56 offset1:57
	s_waitcnt vmcnt(2)
	v_mul_f64 v[91:92], v[69:70], v[111:112]
	s_waitcnt vmcnt(0)
	v_mul_f64 v[97:98], v[71:72], v[111:112]
	v_fma_f64 v[111:112], v[71:72], v[109:110], v[91:92]
	v_mov_b32_e32 v92, v90
	v_fma_f64 v[97:98], v[69:70], v[109:110], -v[97:98]
	v_mov_b32_e32 v91, v89
	v_mov_b32_e32 v69, v73
	;; [unrolled: 1-line block ×5, first 2 shown]
	s_waitcnt lgkmcnt(0)
	v_mul_f64 v[89:90], v[101:102], v[111:112]
	v_mov_b32_e32 v110, v98
	v_mov_b32_e32 v109, v97
	v_fma_f64 v[89:90], v[99:100], v[97:98], -v[89:90]
	v_mul_f64 v[99:100], v[99:100], v[111:112]
	v_add_f64 v[113:114], v[113:114], -v[89:90]
	v_fma_f64 v[99:100], v[101:102], v[97:98], v[99:100]
	v_add_f64 v[115:116], v[115:116], -v[99:100]
	ds_read2_b64 v[99:102], v125 offset0:58 offset1:59
	s_waitcnt lgkmcnt(0)
	v_mul_f64 v[89:90], v[101:102], v[111:112]
	v_fma_f64 v[89:90], v[99:100], v[97:98], -v[89:90]
	v_mul_f64 v[99:100], v[99:100], v[111:112]
	v_add_f64 v[93:94], v[93:94], -v[89:90]
	v_fma_f64 v[99:100], v[101:102], v[97:98], v[99:100]
	v_add_f64 v[95:96], v[95:96], -v[99:100]
	ds_read2_b64 v[99:102], v125 offset0:60 offset1:61
	buffer_load_dword v77, off, s[20:23], 0 offset:32 ; 4-byte Folded Reload
	buffer_load_dword v78, off, s[20:23], 0 offset:36 ; 4-byte Folded Reload
	;; [unrolled: 1-line block ×4, first 2 shown]
	s_waitcnt lgkmcnt(0)
	v_mul_f64 v[89:90], v[101:102], v[111:112]
	v_fma_f64 v[89:90], v[99:100], v[97:98], -v[89:90]
	v_mul_f64 v[99:100], v[99:100], v[111:112]
	v_fma_f64 v[99:100], v[101:102], v[97:98], v[99:100]
	s_waitcnt vmcnt(2)
	v_add_f64 v[77:78], v[77:78], -v[89:90]
	s_waitcnt vmcnt(0)
	v_add_f64 v[79:80], v[79:80], -v[99:100]
	buffer_store_dword v77, off, s[20:23], 0 offset:32 ; 4-byte Folded Spill
	s_nop 0
	buffer_store_dword v78, off, s[20:23], 0 offset:36 ; 4-byte Folded Spill
	buffer_store_dword v79, off, s[20:23], 0 offset:40 ; 4-byte Folded Spill
	;; [unrolled: 1-line block ×3, first 2 shown]
	ds_read2_b64 v[99:102], v125 offset0:62 offset1:63
	buffer_load_dword v73, off, s[20:23], 0 offset:16 ; 4-byte Folded Reload
	buffer_load_dword v74, off, s[20:23], 0 offset:20 ; 4-byte Folded Reload
	;; [unrolled: 1-line block ×4, first 2 shown]
	s_waitcnt lgkmcnt(0)
	v_mul_f64 v[89:90], v[101:102], v[111:112]
	v_fma_f64 v[89:90], v[99:100], v[97:98], -v[89:90]
	v_mul_f64 v[99:100], v[99:100], v[111:112]
	v_fma_f64 v[99:100], v[101:102], v[97:98], v[99:100]
	s_waitcnt vmcnt(2)
	v_add_f64 v[73:74], v[73:74], -v[89:90]
	s_waitcnt vmcnt(0)
	v_add_f64 v[75:76], v[75:76], -v[99:100]
	buffer_store_dword v73, off, s[20:23], 0 offset:16 ; 4-byte Folded Spill
	s_nop 0
	buffer_store_dword v74, off, s[20:23], 0 offset:20 ; 4-byte Folded Spill
	buffer_store_dword v75, off, s[20:23], 0 offset:24 ; 4-byte Folded Spill
	;; [unrolled: 1-line block ×3, first 2 shown]
	v_mov_b32_e32 v76, v72
	v_mov_b32_e32 v75, v71
	;; [unrolled: 1-line block ×4, first 2 shown]
	ds_read2_b64 v[99:102], v125 offset0:64 offset1:65
	buffer_load_dword v69, off, s[20:23], 0 ; 4-byte Folded Reload
	buffer_load_dword v70, off, s[20:23], 0 offset:4 ; 4-byte Folded Reload
	buffer_load_dword v71, off, s[20:23], 0 offset:8 ; 4-byte Folded Reload
	;; [unrolled: 1-line block ×3, first 2 shown]
	s_waitcnt lgkmcnt(0)
	v_mul_f64 v[89:90], v[101:102], v[111:112]
	v_fma_f64 v[89:90], v[99:100], v[97:98], -v[89:90]
	v_mul_f64 v[99:100], v[99:100], v[111:112]
	v_fma_f64 v[99:100], v[101:102], v[97:98], v[99:100]
	s_waitcnt vmcnt(2)
	v_add_f64 v[69:70], v[69:70], -v[89:90]
	s_waitcnt vmcnt(0)
	v_add_f64 v[71:72], v[71:72], -v[99:100]
	buffer_store_dword v69, off, s[20:23], 0 ; 4-byte Folded Spill
	s_nop 0
	buffer_store_dword v70, off, s[20:23], 0 offset:4 ; 4-byte Folded Spill
	buffer_store_dword v71, off, s[20:23], 0 offset:8 ; 4-byte Folded Spill
	;; [unrolled: 1-line block ×3, first 2 shown]
	ds_read2_b64 v[99:102], v125 offset0:66 offset1:67
	s_waitcnt lgkmcnt(0)
	v_mul_f64 v[89:90], v[101:102], v[111:112]
	v_fma_f64 v[89:90], v[99:100], v[97:98], -v[89:90]
	v_mul_f64 v[99:100], v[99:100], v[111:112]
	v_add_f64 v[65:66], v[65:66], -v[89:90]
	v_fma_f64 v[99:100], v[101:102], v[97:98], v[99:100]
	v_add_f64 v[67:68], v[67:68], -v[99:100]
	ds_read2_b64 v[99:102], v125 offset0:68 offset1:69
	s_waitcnt lgkmcnt(0)
	v_mul_f64 v[89:90], v[101:102], v[111:112]
	v_fma_f64 v[89:90], v[99:100], v[97:98], -v[89:90]
	v_mul_f64 v[99:100], v[99:100], v[111:112]
	v_add_f64 v[61:62], v[61:62], -v[89:90]
	v_fma_f64 v[99:100], v[101:102], v[97:98], v[99:100]
	v_add_f64 v[63:64], v[63:64], -v[99:100]
	;; [unrolled: 8-line block ×18, first 2 shown]
.LBB101_253:
	s_or_b64 exec, exec, s[2:3]
	v_cmp_eq_u32_e32 vcc, 28, v0
	s_waitcnt vmcnt(0)
	s_barrier
	s_and_saveexec_b64 s[4:5], vcc
	s_cbranch_execz .LBB101_260
; %bb.254:
	ds_write2_b64 v127, v[113:114], v[115:116] offset1:1
	ds_write2_b64 v125, v[93:94], v[95:96] offset0:58 offset1:59
	buffer_load_dword v77, off, s[20:23], 0 offset:32 ; 4-byte Folded Reload
	buffer_load_dword v78, off, s[20:23], 0 offset:36 ; 4-byte Folded Reload
	;; [unrolled: 1-line block ×4, first 2 shown]
	v_mov_b32_e32 v69, v73
	v_mov_b32_e32 v70, v74
	v_mov_b32_e32 v71, v75
	v_mov_b32_e32 v72, v76
	s_waitcnt vmcnt(0)
	ds_write2_b64 v125, v[77:78], v[79:80] offset0:60 offset1:61
	buffer_load_dword v73, off, s[20:23], 0 offset:16 ; 4-byte Folded Reload
	buffer_load_dword v74, off, s[20:23], 0 offset:20 ; 4-byte Folded Reload
	;; [unrolled: 1-line block ×4, first 2 shown]
	s_waitcnt vmcnt(0)
	ds_write2_b64 v125, v[73:74], v[75:76] offset0:62 offset1:63
	v_mov_b32_e32 v76, v72
	v_mov_b32_e32 v75, v71
	;; [unrolled: 1-line block ×4, first 2 shown]
	buffer_load_dword v69, off, s[20:23], 0 ; 4-byte Folded Reload
	buffer_load_dword v70, off, s[20:23], 0 offset:4 ; 4-byte Folded Reload
	buffer_load_dword v71, off, s[20:23], 0 offset:8 ; 4-byte Folded Reload
	;; [unrolled: 1-line block ×3, first 2 shown]
	s_waitcnt vmcnt(0)
	ds_write2_b64 v125, v[69:70], v[71:72] offset0:64 offset1:65
	ds_write2_b64 v125, v[65:66], v[67:68] offset0:66 offset1:67
	;; [unrolled: 1-line block ×19, first 2 shown]
	ds_read2_b64 v[97:100], v127 offset1:1
	s_waitcnt lgkmcnt(0)
	v_cmp_neq_f64_e32 vcc, 0, v[97:98]
	v_cmp_neq_f64_e64 s[2:3], 0, v[99:100]
	s_or_b64 s[2:3], vcc, s[2:3]
	s_and_b64 exec, exec, s[2:3]
	s_cbranch_execz .LBB101_260
; %bb.255:
	v_cmp_ngt_f64_e64 s[2:3], |v[97:98]|, |v[99:100]|
                                        ; implicit-def: $vgpr101_vgpr102
	s_and_saveexec_b64 s[6:7], s[2:3]
	s_xor_b64 s[2:3], exec, s[6:7]
                                        ; implicit-def: $vgpr103_vgpr104
	s_cbranch_execz .LBB101_257
; %bb.256:
	v_div_scale_f64 v[101:102], s[6:7], v[99:100], v[99:100], v[97:98]
	v_rcp_f64_e32 v[103:104], v[101:102]
	v_fma_f64 v[105:106], -v[101:102], v[103:104], 1.0
	v_fma_f64 v[103:104], v[103:104], v[105:106], v[103:104]
	v_div_scale_f64 v[105:106], vcc, v[97:98], v[99:100], v[97:98]
	v_fma_f64 v[107:108], -v[101:102], v[103:104], 1.0
	v_fma_f64 v[103:104], v[103:104], v[107:108], v[103:104]
	v_mul_f64 v[107:108], v[105:106], v[103:104]
	v_fma_f64 v[101:102], -v[101:102], v[107:108], v[105:106]
	v_div_fmas_f64 v[101:102], v[101:102], v[103:104], v[107:108]
	v_div_fixup_f64 v[101:102], v[101:102], v[99:100], v[97:98]
	v_fma_f64 v[97:98], v[97:98], v[101:102], v[99:100]
	v_div_scale_f64 v[99:100], s[6:7], v[97:98], v[97:98], 1.0
	v_div_scale_f64 v[107:108], vcc, 1.0, v[97:98], 1.0
	v_rcp_f64_e32 v[103:104], v[99:100]
	v_fma_f64 v[105:106], -v[99:100], v[103:104], 1.0
	v_fma_f64 v[103:104], v[103:104], v[105:106], v[103:104]
	v_fma_f64 v[105:106], -v[99:100], v[103:104], 1.0
	v_fma_f64 v[103:104], v[103:104], v[105:106], v[103:104]
	v_mul_f64 v[105:106], v[107:108], v[103:104]
	v_fma_f64 v[99:100], -v[99:100], v[105:106], v[107:108]
	v_div_fmas_f64 v[99:100], v[99:100], v[103:104], v[105:106]
	v_div_fixup_f64 v[103:104], v[99:100], v[97:98], 1.0
                                        ; implicit-def: $vgpr97_vgpr98
	v_mul_f64 v[101:102], v[101:102], v[103:104]
	v_xor_b32_e32 v104, 0x80000000, v104
.LBB101_257:
	s_andn2_saveexec_b64 s[2:3], s[2:3]
	s_cbranch_execz .LBB101_259
; %bb.258:
	v_div_scale_f64 v[101:102], s[6:7], v[97:98], v[97:98], v[99:100]
	v_rcp_f64_e32 v[103:104], v[101:102]
	v_fma_f64 v[105:106], -v[101:102], v[103:104], 1.0
	v_fma_f64 v[103:104], v[103:104], v[105:106], v[103:104]
	v_div_scale_f64 v[105:106], vcc, v[99:100], v[97:98], v[99:100]
	v_fma_f64 v[107:108], -v[101:102], v[103:104], 1.0
	v_fma_f64 v[103:104], v[103:104], v[107:108], v[103:104]
	v_mul_f64 v[107:108], v[105:106], v[103:104]
	v_fma_f64 v[101:102], -v[101:102], v[107:108], v[105:106]
	v_div_fmas_f64 v[101:102], v[101:102], v[103:104], v[107:108]
	v_div_fixup_f64 v[103:104], v[101:102], v[97:98], v[99:100]
	v_fma_f64 v[97:98], v[99:100], v[103:104], v[97:98]
	v_div_scale_f64 v[99:100], s[6:7], v[97:98], v[97:98], 1.0
	v_div_scale_f64 v[107:108], vcc, 1.0, v[97:98], 1.0
	v_rcp_f64_e32 v[101:102], v[99:100]
	v_fma_f64 v[105:106], -v[99:100], v[101:102], 1.0
	v_fma_f64 v[101:102], v[101:102], v[105:106], v[101:102]
	v_fma_f64 v[105:106], -v[99:100], v[101:102], 1.0
	v_fma_f64 v[101:102], v[101:102], v[105:106], v[101:102]
	v_mul_f64 v[105:106], v[107:108], v[101:102]
	v_fma_f64 v[99:100], -v[99:100], v[105:106], v[107:108]
	v_div_fmas_f64 v[99:100], v[99:100], v[101:102], v[105:106]
	v_div_fixup_f64 v[101:102], v[99:100], v[97:98], 1.0
	v_mul_f64 v[103:104], v[103:104], -v[101:102]
.LBB101_259:
	s_or_b64 exec, exec, s[2:3]
	ds_write2_b64 v127, v[101:102], v[103:104] offset1:1
.LBB101_260:
	s_or_b64 exec, exec, s[4:5]
	s_waitcnt lgkmcnt(0)
	s_barrier
	ds_read2_b64 v[69:72], v127 offset1:1
	v_cmp_lt_u32_e32 vcc, 28, v0
	s_waitcnt lgkmcnt(0)
	buffer_store_dword v69, off, s[20:23], 0 offset:1296 ; 4-byte Folded Spill
	s_nop 0
	buffer_store_dword v70, off, s[20:23], 0 offset:1300 ; 4-byte Folded Spill
	buffer_store_dword v71, off, s[20:23], 0 offset:1304 ; 4-byte Folded Spill
	;; [unrolled: 1-line block ×3, first 2 shown]
	s_and_saveexec_b64 s[2:3], vcc
	s_cbranch_execz .LBB101_262
; %bb.261:
	buffer_load_dword v69, off, s[20:23], 0 offset:1296 ; 4-byte Folded Reload
	buffer_load_dword v70, off, s[20:23], 0 offset:1300 ; 4-byte Folded Reload
	;; [unrolled: 1-line block ×4, first 2 shown]
	v_mov_b32_e32 v90, v86
	v_mov_b32_e32 v89, v85
	;; [unrolled: 1-line block ×4, first 2 shown]
	ds_read2_b64 v[99:102], v125 offset0:58 offset1:59
	s_waitcnt vmcnt(2)
	v_mul_f64 v[87:88], v[69:70], v[115:116]
	s_waitcnt vmcnt(0)
	v_mul_f64 v[97:98], v[71:72], v[115:116]
	v_fma_f64 v[115:116], v[71:72], v[113:114], v[87:88]
	v_mov_b32_e32 v88, v86
	v_fma_f64 v[97:98], v[69:70], v[113:114], -v[97:98]
	v_mov_b32_e32 v87, v85
	v_mov_b32_e32 v69, v73
	;; [unrolled: 1-line block ×5, first 2 shown]
	s_waitcnt lgkmcnt(0)
	v_mul_f64 v[85:86], v[101:102], v[115:116]
	v_mov_b32_e32 v114, v98
	v_mov_b32_e32 v113, v97
	v_fma_f64 v[85:86], v[99:100], v[97:98], -v[85:86]
	v_mul_f64 v[99:100], v[99:100], v[115:116]
	v_add_f64 v[93:94], v[93:94], -v[85:86]
	v_fma_f64 v[99:100], v[101:102], v[97:98], v[99:100]
	v_add_f64 v[95:96], v[95:96], -v[99:100]
	ds_read2_b64 v[99:102], v125 offset0:60 offset1:61
	buffer_load_dword v77, off, s[20:23], 0 offset:32 ; 4-byte Folded Reload
	buffer_load_dword v78, off, s[20:23], 0 offset:36 ; 4-byte Folded Reload
	;; [unrolled: 1-line block ×4, first 2 shown]
	s_waitcnt lgkmcnt(0)
	v_mul_f64 v[85:86], v[101:102], v[115:116]
	v_fma_f64 v[85:86], v[99:100], v[97:98], -v[85:86]
	v_mul_f64 v[99:100], v[99:100], v[115:116]
	v_fma_f64 v[99:100], v[101:102], v[97:98], v[99:100]
	s_waitcnt vmcnt(2)
	v_add_f64 v[77:78], v[77:78], -v[85:86]
	s_waitcnt vmcnt(0)
	v_add_f64 v[79:80], v[79:80], -v[99:100]
	buffer_store_dword v77, off, s[20:23], 0 offset:32 ; 4-byte Folded Spill
	s_nop 0
	buffer_store_dword v78, off, s[20:23], 0 offset:36 ; 4-byte Folded Spill
	buffer_store_dword v79, off, s[20:23], 0 offset:40 ; 4-byte Folded Spill
	buffer_store_dword v80, off, s[20:23], 0 offset:44 ; 4-byte Folded Spill
	ds_read2_b64 v[99:102], v125 offset0:62 offset1:63
	buffer_load_dword v73, off, s[20:23], 0 offset:16 ; 4-byte Folded Reload
	buffer_load_dword v74, off, s[20:23], 0 offset:20 ; 4-byte Folded Reload
	;; [unrolled: 1-line block ×4, first 2 shown]
	s_waitcnt lgkmcnt(0)
	v_mul_f64 v[85:86], v[101:102], v[115:116]
	v_fma_f64 v[85:86], v[99:100], v[97:98], -v[85:86]
	v_mul_f64 v[99:100], v[99:100], v[115:116]
	v_fma_f64 v[99:100], v[101:102], v[97:98], v[99:100]
	s_waitcnt vmcnt(2)
	v_add_f64 v[73:74], v[73:74], -v[85:86]
	s_waitcnt vmcnt(0)
	v_add_f64 v[75:76], v[75:76], -v[99:100]
	buffer_store_dword v73, off, s[20:23], 0 offset:16 ; 4-byte Folded Spill
	s_nop 0
	buffer_store_dword v74, off, s[20:23], 0 offset:20 ; 4-byte Folded Spill
	buffer_store_dword v75, off, s[20:23], 0 offset:24 ; 4-byte Folded Spill
	;; [unrolled: 1-line block ×3, first 2 shown]
	v_mov_b32_e32 v76, v72
	v_mov_b32_e32 v75, v71
	;; [unrolled: 1-line block ×4, first 2 shown]
	ds_read2_b64 v[99:102], v125 offset0:64 offset1:65
	buffer_load_dword v69, off, s[20:23], 0 ; 4-byte Folded Reload
	buffer_load_dword v70, off, s[20:23], 0 offset:4 ; 4-byte Folded Reload
	buffer_load_dword v71, off, s[20:23], 0 offset:8 ; 4-byte Folded Reload
	;; [unrolled: 1-line block ×3, first 2 shown]
	s_waitcnt lgkmcnt(0)
	v_mul_f64 v[85:86], v[101:102], v[115:116]
	v_fma_f64 v[85:86], v[99:100], v[97:98], -v[85:86]
	v_mul_f64 v[99:100], v[99:100], v[115:116]
	v_fma_f64 v[99:100], v[101:102], v[97:98], v[99:100]
	s_waitcnt vmcnt(2)
	v_add_f64 v[69:70], v[69:70], -v[85:86]
	s_waitcnt vmcnt(0)
	v_add_f64 v[71:72], v[71:72], -v[99:100]
	buffer_store_dword v69, off, s[20:23], 0 ; 4-byte Folded Spill
	s_nop 0
	buffer_store_dword v70, off, s[20:23], 0 offset:4 ; 4-byte Folded Spill
	buffer_store_dword v71, off, s[20:23], 0 offset:8 ; 4-byte Folded Spill
	;; [unrolled: 1-line block ×3, first 2 shown]
	ds_read2_b64 v[99:102], v125 offset0:66 offset1:67
	s_waitcnt lgkmcnt(0)
	v_mul_f64 v[85:86], v[101:102], v[115:116]
	v_fma_f64 v[85:86], v[99:100], v[97:98], -v[85:86]
	v_mul_f64 v[99:100], v[99:100], v[115:116]
	v_add_f64 v[65:66], v[65:66], -v[85:86]
	v_fma_f64 v[99:100], v[101:102], v[97:98], v[99:100]
	v_add_f64 v[67:68], v[67:68], -v[99:100]
	ds_read2_b64 v[99:102], v125 offset0:68 offset1:69
	s_waitcnt lgkmcnt(0)
	v_mul_f64 v[85:86], v[101:102], v[115:116]
	v_fma_f64 v[85:86], v[99:100], v[97:98], -v[85:86]
	v_mul_f64 v[99:100], v[99:100], v[115:116]
	v_add_f64 v[61:62], v[61:62], -v[85:86]
	v_fma_f64 v[99:100], v[101:102], v[97:98], v[99:100]
	v_add_f64 v[63:64], v[63:64], -v[99:100]
	;; [unrolled: 8-line block ×17, first 2 shown]
	ds_read2_b64 v[99:102], v125 offset0:100 offset1:101
	s_waitcnt lgkmcnt(0)
	v_mul_f64 v[85:86], v[101:102], v[115:116]
	v_fma_f64 v[85:86], v[99:100], v[97:98], -v[85:86]
	v_mul_f64 v[99:100], v[99:100], v[115:116]
	v_add_f64 v[73:74], v[73:74], -v[85:86]
	v_fma_f64 v[99:100], v[101:102], v[97:98], v[99:100]
	v_mov_b32_e32 v85, v89
	v_mov_b32_e32 v86, v90
	v_add_f64 v[75:76], v[75:76], -v[99:100]
.LBB101_262:
	s_or_b64 exec, exec, s[2:3]
	v_cmp_eq_u32_e32 vcc, 29, v0
	s_waitcnt vmcnt(0)
	s_barrier
	s_and_saveexec_b64 s[4:5], vcc
	s_cbranch_execz .LBB101_269
; %bb.263:
	ds_write2_b64 v127, v[93:94], v[95:96] offset1:1
	buffer_load_dword v77, off, s[20:23], 0 offset:32 ; 4-byte Folded Reload
	buffer_load_dword v78, off, s[20:23], 0 offset:36 ; 4-byte Folded Reload
	;; [unrolled: 1-line block ×4, first 2 shown]
	v_mov_b32_e32 v69, v73
	v_mov_b32_e32 v70, v74
	;; [unrolled: 1-line block ×4, first 2 shown]
	s_waitcnt vmcnt(0)
	ds_write2_b64 v125, v[77:78], v[79:80] offset0:60 offset1:61
	buffer_load_dword v73, off, s[20:23], 0 offset:16 ; 4-byte Folded Reload
	buffer_load_dword v74, off, s[20:23], 0 offset:20 ; 4-byte Folded Reload
	;; [unrolled: 1-line block ×4, first 2 shown]
	s_waitcnt vmcnt(0)
	ds_write2_b64 v125, v[73:74], v[75:76] offset0:62 offset1:63
	v_mov_b32_e32 v76, v72
	v_mov_b32_e32 v75, v71
	;; [unrolled: 1-line block ×4, first 2 shown]
	buffer_load_dword v69, off, s[20:23], 0 ; 4-byte Folded Reload
	buffer_load_dword v70, off, s[20:23], 0 offset:4 ; 4-byte Folded Reload
	buffer_load_dword v71, off, s[20:23], 0 offset:8 ; 4-byte Folded Reload
	buffer_load_dword v72, off, s[20:23], 0 offset:12 ; 4-byte Folded Reload
	s_waitcnt vmcnt(0)
	ds_write2_b64 v125, v[69:70], v[71:72] offset0:64 offset1:65
	ds_write2_b64 v125, v[65:66], v[67:68] offset0:66 offset1:67
	ds_write2_b64 v125, v[61:62], v[63:64] offset0:68 offset1:69
	ds_write2_b64 v125, v[57:58], v[59:60] offset0:70 offset1:71
	ds_write2_b64 v125, v[53:54], v[55:56] offset0:72 offset1:73
	ds_write2_b64 v125, v[49:50], v[51:52] offset0:74 offset1:75
	ds_write2_b64 v125, v[45:46], v[47:48] offset0:76 offset1:77
	ds_write2_b64 v125, v[41:42], v[43:44] offset0:78 offset1:79
	ds_write2_b64 v125, v[37:38], v[39:40] offset0:80 offset1:81
	ds_write2_b64 v125, v[33:34], v[35:36] offset0:82 offset1:83
	ds_write2_b64 v125, v[29:30], v[31:32] offset0:84 offset1:85
	ds_write2_b64 v125, v[25:26], v[27:28] offset0:86 offset1:87
	ds_write2_b64 v125, v[21:22], v[23:24] offset0:88 offset1:89
	ds_write2_b64 v125, v[17:18], v[19:20] offset0:90 offset1:91
	ds_write2_b64 v125, v[13:14], v[15:16] offset0:92 offset1:93
	ds_write2_b64 v125, v[9:10], v[11:12] offset0:94 offset1:95
	ds_write2_b64 v125, v[5:6], v[7:8] offset0:96 offset1:97
	ds_write2_b64 v125, v[1:2], v[3:4] offset0:98 offset1:99
	ds_write2_b64 v125, v[73:74], v[75:76] offset0:100 offset1:101
	ds_read2_b64 v[97:100], v127 offset1:1
	s_waitcnt lgkmcnt(0)
	v_cmp_neq_f64_e32 vcc, 0, v[97:98]
	v_cmp_neq_f64_e64 s[2:3], 0, v[99:100]
	s_or_b64 s[2:3], vcc, s[2:3]
	s_and_b64 exec, exec, s[2:3]
	s_cbranch_execz .LBB101_269
; %bb.264:
	v_cmp_ngt_f64_e64 s[2:3], |v[97:98]|, |v[99:100]|
                                        ; implicit-def: $vgpr101_vgpr102
	s_and_saveexec_b64 s[6:7], s[2:3]
	s_xor_b64 s[2:3], exec, s[6:7]
                                        ; implicit-def: $vgpr103_vgpr104
	s_cbranch_execz .LBB101_266
; %bb.265:
	v_div_scale_f64 v[101:102], s[6:7], v[99:100], v[99:100], v[97:98]
	v_rcp_f64_e32 v[103:104], v[101:102]
	v_fma_f64 v[105:106], -v[101:102], v[103:104], 1.0
	v_fma_f64 v[103:104], v[103:104], v[105:106], v[103:104]
	v_div_scale_f64 v[105:106], vcc, v[97:98], v[99:100], v[97:98]
	v_fma_f64 v[107:108], -v[101:102], v[103:104], 1.0
	v_fma_f64 v[103:104], v[103:104], v[107:108], v[103:104]
	v_mul_f64 v[107:108], v[105:106], v[103:104]
	v_fma_f64 v[101:102], -v[101:102], v[107:108], v[105:106]
	v_div_fmas_f64 v[101:102], v[101:102], v[103:104], v[107:108]
	v_div_fixup_f64 v[101:102], v[101:102], v[99:100], v[97:98]
	v_fma_f64 v[97:98], v[97:98], v[101:102], v[99:100]
	v_div_scale_f64 v[99:100], s[6:7], v[97:98], v[97:98], 1.0
	v_div_scale_f64 v[107:108], vcc, 1.0, v[97:98], 1.0
	v_rcp_f64_e32 v[103:104], v[99:100]
	v_fma_f64 v[105:106], -v[99:100], v[103:104], 1.0
	v_fma_f64 v[103:104], v[103:104], v[105:106], v[103:104]
	v_fma_f64 v[105:106], -v[99:100], v[103:104], 1.0
	v_fma_f64 v[103:104], v[103:104], v[105:106], v[103:104]
	v_mul_f64 v[105:106], v[107:108], v[103:104]
	v_fma_f64 v[99:100], -v[99:100], v[105:106], v[107:108]
	v_div_fmas_f64 v[99:100], v[99:100], v[103:104], v[105:106]
	v_div_fixup_f64 v[103:104], v[99:100], v[97:98], 1.0
                                        ; implicit-def: $vgpr97_vgpr98
	v_mul_f64 v[101:102], v[101:102], v[103:104]
	v_xor_b32_e32 v104, 0x80000000, v104
.LBB101_266:
	s_andn2_saveexec_b64 s[2:3], s[2:3]
	s_cbranch_execz .LBB101_268
; %bb.267:
	v_div_scale_f64 v[101:102], s[6:7], v[97:98], v[97:98], v[99:100]
	v_rcp_f64_e32 v[103:104], v[101:102]
	v_fma_f64 v[105:106], -v[101:102], v[103:104], 1.0
	v_fma_f64 v[103:104], v[103:104], v[105:106], v[103:104]
	v_div_scale_f64 v[105:106], vcc, v[99:100], v[97:98], v[99:100]
	v_fma_f64 v[107:108], -v[101:102], v[103:104], 1.0
	v_fma_f64 v[103:104], v[103:104], v[107:108], v[103:104]
	v_mul_f64 v[107:108], v[105:106], v[103:104]
	v_fma_f64 v[101:102], -v[101:102], v[107:108], v[105:106]
	v_div_fmas_f64 v[101:102], v[101:102], v[103:104], v[107:108]
	v_div_fixup_f64 v[103:104], v[101:102], v[97:98], v[99:100]
	v_fma_f64 v[97:98], v[99:100], v[103:104], v[97:98]
	v_div_scale_f64 v[99:100], s[6:7], v[97:98], v[97:98], 1.0
	v_div_scale_f64 v[107:108], vcc, 1.0, v[97:98], 1.0
	v_rcp_f64_e32 v[101:102], v[99:100]
	v_fma_f64 v[105:106], -v[99:100], v[101:102], 1.0
	v_fma_f64 v[101:102], v[101:102], v[105:106], v[101:102]
	v_fma_f64 v[105:106], -v[99:100], v[101:102], 1.0
	v_fma_f64 v[101:102], v[101:102], v[105:106], v[101:102]
	v_mul_f64 v[105:106], v[107:108], v[101:102]
	v_fma_f64 v[99:100], -v[99:100], v[105:106], v[107:108]
	v_div_fmas_f64 v[99:100], v[99:100], v[101:102], v[105:106]
	v_div_fixup_f64 v[101:102], v[99:100], v[97:98], 1.0
	v_mul_f64 v[103:104], v[103:104], -v[101:102]
.LBB101_268:
	s_or_b64 exec, exec, s[2:3]
	ds_write2_b64 v127, v[101:102], v[103:104] offset1:1
.LBB101_269:
	s_or_b64 exec, exec, s[4:5]
	s_waitcnt lgkmcnt(0)
	s_barrier
	ds_read2_b64 v[69:72], v127 offset1:1
	v_cmp_lt_u32_e32 vcc, 29, v0
	s_waitcnt lgkmcnt(0)
	buffer_store_dword v69, off, s[20:23], 0 offset:1312 ; 4-byte Folded Spill
	s_nop 0
	buffer_store_dword v70, off, s[20:23], 0 offset:1316 ; 4-byte Folded Spill
	buffer_store_dword v71, off, s[20:23], 0 offset:1320 ; 4-byte Folded Spill
	;; [unrolled: 1-line block ×3, first 2 shown]
	s_and_saveexec_b64 s[2:3], vcc
	s_cbranch_execz .LBB101_271
; %bb.270:
	buffer_load_dword v69, off, s[20:23], 0 offset:1312 ; 4-byte Folded Reload
	buffer_load_dword v70, off, s[20:23], 0 offset:1316 ; 4-byte Folded Reload
	;; [unrolled: 1-line block ×4, first 2 shown]
	ds_read2_b64 v[99:102], v125 offset0:60 offset1:61
	buffer_load_dword v77, off, s[20:23], 0 offset:32 ; 4-byte Folded Reload
	buffer_load_dword v78, off, s[20:23], 0 offset:36 ; 4-byte Folded Reload
	;; [unrolled: 1-line block ×4, first 2 shown]
	v_mov_b32_e32 v90, v82
	v_mov_b32_e32 v89, v81
	s_waitcnt vmcnt(6)
	v_mul_f64 v[83:84], v[69:70], v[95:96]
	s_waitcnt vmcnt(4)
	v_mul_f64 v[97:98], v[71:72], v[95:96]
	v_fma_f64 v[95:96], v[71:72], v[93:94], v[83:84]
	v_fma_f64 v[97:98], v[69:70], v[93:94], -v[97:98]
	v_mov_b32_e32 v69, v73
	v_mov_b32_e32 v70, v74
	;; [unrolled: 1-line block ×4, first 2 shown]
	s_waitcnt lgkmcnt(0)
	v_mul_f64 v[81:82], v[101:102], v[95:96]
	v_mov_b32_e32 v93, v97
	v_mov_b32_e32 v94, v98
	v_fma_f64 v[81:82], v[99:100], v[97:98], -v[81:82]
	v_mul_f64 v[99:100], v[99:100], v[95:96]
	s_waitcnt vmcnt(2)
	v_add_f64 v[77:78], v[77:78], -v[81:82]
	v_fma_f64 v[99:100], v[101:102], v[97:98], v[99:100]
	s_waitcnt vmcnt(0)
	v_add_f64 v[79:80], v[79:80], -v[99:100]
	buffer_store_dword v77, off, s[20:23], 0 offset:32 ; 4-byte Folded Spill
	s_nop 0
	buffer_store_dword v78, off, s[20:23], 0 offset:36 ; 4-byte Folded Spill
	buffer_store_dword v79, off, s[20:23], 0 offset:40 ; 4-byte Folded Spill
	;; [unrolled: 1-line block ×3, first 2 shown]
	ds_read2_b64 v[99:102], v125 offset0:62 offset1:63
	buffer_load_dword v73, off, s[20:23], 0 offset:16 ; 4-byte Folded Reload
	buffer_load_dword v74, off, s[20:23], 0 offset:20 ; 4-byte Folded Reload
	;; [unrolled: 1-line block ×4, first 2 shown]
	s_waitcnt lgkmcnt(0)
	v_mul_f64 v[81:82], v[101:102], v[95:96]
	v_fma_f64 v[81:82], v[99:100], v[97:98], -v[81:82]
	v_mul_f64 v[99:100], v[99:100], v[95:96]
	v_fma_f64 v[99:100], v[101:102], v[97:98], v[99:100]
	s_waitcnt vmcnt(2)
	v_add_f64 v[73:74], v[73:74], -v[81:82]
	s_waitcnt vmcnt(0)
	v_add_f64 v[75:76], v[75:76], -v[99:100]
	buffer_store_dword v73, off, s[20:23], 0 offset:16 ; 4-byte Folded Spill
	s_nop 0
	buffer_store_dword v74, off, s[20:23], 0 offset:20 ; 4-byte Folded Spill
	buffer_store_dword v75, off, s[20:23], 0 offset:24 ; 4-byte Folded Spill
	;; [unrolled: 1-line block ×3, first 2 shown]
	v_mov_b32_e32 v76, v72
	v_mov_b32_e32 v75, v71
	;; [unrolled: 1-line block ×4, first 2 shown]
	ds_read2_b64 v[99:102], v125 offset0:64 offset1:65
	buffer_load_dword v69, off, s[20:23], 0 ; 4-byte Folded Reload
	buffer_load_dword v70, off, s[20:23], 0 offset:4 ; 4-byte Folded Reload
	buffer_load_dword v71, off, s[20:23], 0 offset:8 ; 4-byte Folded Reload
	;; [unrolled: 1-line block ×3, first 2 shown]
	s_waitcnt lgkmcnt(0)
	v_mul_f64 v[81:82], v[101:102], v[95:96]
	v_fma_f64 v[81:82], v[99:100], v[97:98], -v[81:82]
	v_mul_f64 v[99:100], v[99:100], v[95:96]
	v_fma_f64 v[99:100], v[101:102], v[97:98], v[99:100]
	s_waitcnt vmcnt(2)
	v_add_f64 v[69:70], v[69:70], -v[81:82]
	s_waitcnt vmcnt(0)
	v_add_f64 v[71:72], v[71:72], -v[99:100]
	buffer_store_dword v69, off, s[20:23], 0 ; 4-byte Folded Spill
	s_nop 0
	buffer_store_dword v70, off, s[20:23], 0 offset:4 ; 4-byte Folded Spill
	buffer_store_dword v71, off, s[20:23], 0 offset:8 ; 4-byte Folded Spill
	;; [unrolled: 1-line block ×3, first 2 shown]
	ds_read2_b64 v[99:102], v125 offset0:66 offset1:67
	s_waitcnt lgkmcnt(0)
	v_mul_f64 v[81:82], v[101:102], v[95:96]
	v_fma_f64 v[81:82], v[99:100], v[97:98], -v[81:82]
	v_mul_f64 v[99:100], v[99:100], v[95:96]
	v_add_f64 v[65:66], v[65:66], -v[81:82]
	v_fma_f64 v[99:100], v[101:102], v[97:98], v[99:100]
	v_add_f64 v[67:68], v[67:68], -v[99:100]
	ds_read2_b64 v[99:102], v125 offset0:68 offset1:69
	s_waitcnt lgkmcnt(0)
	v_mul_f64 v[81:82], v[101:102], v[95:96]
	v_fma_f64 v[81:82], v[99:100], v[97:98], -v[81:82]
	v_mul_f64 v[99:100], v[99:100], v[95:96]
	v_add_f64 v[61:62], v[61:62], -v[81:82]
	v_fma_f64 v[99:100], v[101:102], v[97:98], v[99:100]
	v_add_f64 v[63:64], v[63:64], -v[99:100]
	;; [unrolled: 8-line block ×17, first 2 shown]
	ds_read2_b64 v[99:102], v125 offset0:100 offset1:101
	s_waitcnt lgkmcnt(0)
	v_mul_f64 v[81:82], v[101:102], v[95:96]
	v_fma_f64 v[81:82], v[99:100], v[97:98], -v[81:82]
	v_mul_f64 v[99:100], v[99:100], v[95:96]
	v_add_f64 v[73:74], v[73:74], -v[81:82]
	v_fma_f64 v[99:100], v[101:102], v[97:98], v[99:100]
	v_mov_b32_e32 v81, v89
	v_mov_b32_e32 v82, v90
	v_add_f64 v[75:76], v[75:76], -v[99:100]
.LBB101_271:
	s_or_b64 exec, exec, s[2:3]
	v_cmp_eq_u32_e32 vcc, 30, v0
	s_waitcnt vmcnt(0)
	s_barrier
	s_and_saveexec_b64 s[4:5], vcc
	s_cbranch_execz .LBB101_278
; %bb.272:
	buffer_load_dword v77, off, s[20:23], 0 offset:32 ; 4-byte Folded Reload
	buffer_load_dword v78, off, s[20:23], 0 offset:36 ; 4-byte Folded Reload
	;; [unrolled: 1-line block ×4, first 2 shown]
	v_mov_b32_e32 v69, v73
	v_mov_b32_e32 v70, v74
	;; [unrolled: 1-line block ×4, first 2 shown]
	s_waitcnt vmcnt(0)
	ds_write2_b64 v127, v[77:78], v[79:80] offset1:1
	buffer_load_dword v73, off, s[20:23], 0 offset:16 ; 4-byte Folded Reload
	buffer_load_dword v74, off, s[20:23], 0 offset:20 ; 4-byte Folded Reload
	;; [unrolled: 1-line block ×4, first 2 shown]
	s_waitcnt vmcnt(0)
	ds_write2_b64 v125, v[73:74], v[75:76] offset0:62 offset1:63
	v_mov_b32_e32 v76, v72
	v_mov_b32_e32 v75, v71
	;; [unrolled: 1-line block ×4, first 2 shown]
	buffer_load_dword v69, off, s[20:23], 0 ; 4-byte Folded Reload
	buffer_load_dword v70, off, s[20:23], 0 offset:4 ; 4-byte Folded Reload
	buffer_load_dword v71, off, s[20:23], 0 offset:8 ; 4-byte Folded Reload
	;; [unrolled: 1-line block ×3, first 2 shown]
	s_waitcnt vmcnt(0)
	ds_write2_b64 v125, v[69:70], v[71:72] offset0:64 offset1:65
	ds_write2_b64 v125, v[65:66], v[67:68] offset0:66 offset1:67
	;; [unrolled: 1-line block ×19, first 2 shown]
	ds_read2_b64 v[97:100], v127 offset1:1
	s_waitcnt lgkmcnt(0)
	v_cmp_neq_f64_e32 vcc, 0, v[97:98]
	v_cmp_neq_f64_e64 s[2:3], 0, v[99:100]
	s_or_b64 s[2:3], vcc, s[2:3]
	s_and_b64 exec, exec, s[2:3]
	s_cbranch_execz .LBB101_278
; %bb.273:
	v_cmp_ngt_f64_e64 s[2:3], |v[97:98]|, |v[99:100]|
                                        ; implicit-def: $vgpr101_vgpr102
	s_and_saveexec_b64 s[6:7], s[2:3]
	s_xor_b64 s[2:3], exec, s[6:7]
                                        ; implicit-def: $vgpr103_vgpr104
	s_cbranch_execz .LBB101_275
; %bb.274:
	v_div_scale_f64 v[101:102], s[6:7], v[99:100], v[99:100], v[97:98]
	v_rcp_f64_e32 v[103:104], v[101:102]
	v_fma_f64 v[105:106], -v[101:102], v[103:104], 1.0
	v_fma_f64 v[103:104], v[103:104], v[105:106], v[103:104]
	v_div_scale_f64 v[105:106], vcc, v[97:98], v[99:100], v[97:98]
	v_fma_f64 v[107:108], -v[101:102], v[103:104], 1.0
	v_fma_f64 v[103:104], v[103:104], v[107:108], v[103:104]
	v_mul_f64 v[107:108], v[105:106], v[103:104]
	v_fma_f64 v[101:102], -v[101:102], v[107:108], v[105:106]
	v_div_fmas_f64 v[101:102], v[101:102], v[103:104], v[107:108]
	v_div_fixup_f64 v[101:102], v[101:102], v[99:100], v[97:98]
	v_fma_f64 v[97:98], v[97:98], v[101:102], v[99:100]
	v_div_scale_f64 v[99:100], s[6:7], v[97:98], v[97:98], 1.0
	v_div_scale_f64 v[107:108], vcc, 1.0, v[97:98], 1.0
	v_rcp_f64_e32 v[103:104], v[99:100]
	v_fma_f64 v[105:106], -v[99:100], v[103:104], 1.0
	v_fma_f64 v[103:104], v[103:104], v[105:106], v[103:104]
	v_fma_f64 v[105:106], -v[99:100], v[103:104], 1.0
	v_fma_f64 v[103:104], v[103:104], v[105:106], v[103:104]
	v_mul_f64 v[105:106], v[107:108], v[103:104]
	v_fma_f64 v[99:100], -v[99:100], v[105:106], v[107:108]
	v_div_fmas_f64 v[99:100], v[99:100], v[103:104], v[105:106]
	v_div_fixup_f64 v[103:104], v[99:100], v[97:98], 1.0
                                        ; implicit-def: $vgpr97_vgpr98
	v_mul_f64 v[101:102], v[101:102], v[103:104]
	v_xor_b32_e32 v104, 0x80000000, v104
.LBB101_275:
	s_andn2_saveexec_b64 s[2:3], s[2:3]
	s_cbranch_execz .LBB101_277
; %bb.276:
	v_div_scale_f64 v[101:102], s[6:7], v[97:98], v[97:98], v[99:100]
	v_rcp_f64_e32 v[103:104], v[101:102]
	v_fma_f64 v[105:106], -v[101:102], v[103:104], 1.0
	v_fma_f64 v[103:104], v[103:104], v[105:106], v[103:104]
	v_div_scale_f64 v[105:106], vcc, v[99:100], v[97:98], v[99:100]
	v_fma_f64 v[107:108], -v[101:102], v[103:104], 1.0
	v_fma_f64 v[103:104], v[103:104], v[107:108], v[103:104]
	v_mul_f64 v[107:108], v[105:106], v[103:104]
	v_fma_f64 v[101:102], -v[101:102], v[107:108], v[105:106]
	v_div_fmas_f64 v[101:102], v[101:102], v[103:104], v[107:108]
	v_div_fixup_f64 v[103:104], v[101:102], v[97:98], v[99:100]
	v_fma_f64 v[97:98], v[99:100], v[103:104], v[97:98]
	v_div_scale_f64 v[99:100], s[6:7], v[97:98], v[97:98], 1.0
	v_div_scale_f64 v[107:108], vcc, 1.0, v[97:98], 1.0
	v_rcp_f64_e32 v[101:102], v[99:100]
	v_fma_f64 v[105:106], -v[99:100], v[101:102], 1.0
	v_fma_f64 v[101:102], v[101:102], v[105:106], v[101:102]
	v_fma_f64 v[105:106], -v[99:100], v[101:102], 1.0
	v_fma_f64 v[101:102], v[101:102], v[105:106], v[101:102]
	v_mul_f64 v[105:106], v[107:108], v[101:102]
	v_fma_f64 v[99:100], -v[99:100], v[105:106], v[107:108]
	v_div_fmas_f64 v[99:100], v[99:100], v[101:102], v[105:106]
	v_div_fixup_f64 v[101:102], v[99:100], v[97:98], 1.0
	v_mul_f64 v[103:104], v[103:104], -v[101:102]
.LBB101_277:
	s_or_b64 exec, exec, s[2:3]
	ds_write2_b64 v127, v[101:102], v[103:104] offset1:1
.LBB101_278:
	s_or_b64 exec, exec, s[4:5]
	s_waitcnt lgkmcnt(0)
	s_barrier
	ds_read2_b64 v[69:72], v127 offset1:1
	v_cmp_lt_u32_e32 vcc, 30, v0
	s_waitcnt lgkmcnt(0)
	buffer_store_dword v69, off, s[20:23], 0 offset:1328 ; 4-byte Folded Spill
	s_nop 0
	buffer_store_dword v70, off, s[20:23], 0 offset:1332 ; 4-byte Folded Spill
	buffer_store_dword v71, off, s[20:23], 0 offset:1336 ; 4-byte Folded Spill
	;; [unrolled: 1-line block ×3, first 2 shown]
	s_and_saveexec_b64 s[2:3], vcc
	s_cbranch_execz .LBB101_280
; %bb.279:
	buffer_load_dword v77, off, s[20:23], 0 offset:32 ; 4-byte Folded Reload
	buffer_load_dword v78, off, s[20:23], 0 offset:36 ; 4-byte Folded Reload
	;; [unrolled: 1-line block ×8, first 2 shown]
	ds_read2_b64 v[99:102], v125 offset0:62 offset1:63
	s_waitcnt vmcnt(0)
	v_mul_f64 v[97:98], v[71:72], v[79:80]
	v_mul_f64 v[79:80], v[69:70], v[79:80]
	v_fma_f64 v[97:98], v[69:70], v[77:78], -v[97:98]
	v_fma_f64 v[79:80], v[71:72], v[77:78], v[79:80]
	v_mov_b32_e32 v69, v73
	v_mov_b32_e32 v70, v74
	;; [unrolled: 1-line block ×4, first 2 shown]
	buffer_load_dword v73, off, s[20:23], 0 offset:16 ; 4-byte Folded Reload
	buffer_load_dword v74, off, s[20:23], 0 offset:20 ; 4-byte Folded Reload
	;; [unrolled: 1-line block ×4, first 2 shown]
	s_waitcnt lgkmcnt(0)
	v_mul_f64 v[77:78], v[101:102], v[79:80]
	v_fma_f64 v[77:78], v[99:100], v[97:98], -v[77:78]
	v_mul_f64 v[99:100], v[99:100], v[79:80]
	v_fma_f64 v[99:100], v[101:102], v[97:98], v[99:100]
	s_waitcnt vmcnt(2)
	v_add_f64 v[73:74], v[73:74], -v[77:78]
	s_waitcnt vmcnt(0)
	v_add_f64 v[75:76], v[75:76], -v[99:100]
	buffer_store_dword v73, off, s[20:23], 0 offset:16 ; 4-byte Folded Spill
	s_nop 0
	buffer_store_dword v74, off, s[20:23], 0 offset:20 ; 4-byte Folded Spill
	buffer_store_dword v75, off, s[20:23], 0 offset:24 ; 4-byte Folded Spill
	;; [unrolled: 1-line block ×3, first 2 shown]
	v_mov_b32_e32 v76, v72
	v_mov_b32_e32 v75, v71
	;; [unrolled: 1-line block ×4, first 2 shown]
	ds_read2_b64 v[99:102], v125 offset0:64 offset1:65
	buffer_load_dword v69, off, s[20:23], 0 ; 4-byte Folded Reload
	buffer_load_dword v70, off, s[20:23], 0 offset:4 ; 4-byte Folded Reload
	buffer_load_dword v71, off, s[20:23], 0 offset:8 ; 4-byte Folded Reload
	;; [unrolled: 1-line block ×3, first 2 shown]
	s_waitcnt lgkmcnt(0)
	v_mul_f64 v[77:78], v[101:102], v[79:80]
	v_fma_f64 v[77:78], v[99:100], v[97:98], -v[77:78]
	v_mul_f64 v[99:100], v[99:100], v[79:80]
	v_fma_f64 v[99:100], v[101:102], v[97:98], v[99:100]
	s_waitcnt vmcnt(2)
	v_add_f64 v[69:70], v[69:70], -v[77:78]
	s_waitcnt vmcnt(0)
	v_add_f64 v[71:72], v[71:72], -v[99:100]
	buffer_store_dword v69, off, s[20:23], 0 ; 4-byte Folded Spill
	s_nop 0
	buffer_store_dword v70, off, s[20:23], 0 offset:4 ; 4-byte Folded Spill
	buffer_store_dword v71, off, s[20:23], 0 offset:8 ; 4-byte Folded Spill
	;; [unrolled: 1-line block ×3, first 2 shown]
	ds_read2_b64 v[99:102], v125 offset0:66 offset1:67
	s_waitcnt lgkmcnt(0)
	v_mul_f64 v[77:78], v[101:102], v[79:80]
	v_fma_f64 v[77:78], v[99:100], v[97:98], -v[77:78]
	v_mul_f64 v[99:100], v[99:100], v[79:80]
	v_add_f64 v[65:66], v[65:66], -v[77:78]
	v_fma_f64 v[99:100], v[101:102], v[97:98], v[99:100]
	v_add_f64 v[67:68], v[67:68], -v[99:100]
	ds_read2_b64 v[99:102], v125 offset0:68 offset1:69
	s_waitcnt lgkmcnt(0)
	v_mul_f64 v[77:78], v[101:102], v[79:80]
	v_fma_f64 v[77:78], v[99:100], v[97:98], -v[77:78]
	v_mul_f64 v[99:100], v[99:100], v[79:80]
	v_add_f64 v[61:62], v[61:62], -v[77:78]
	v_fma_f64 v[99:100], v[101:102], v[97:98], v[99:100]
	v_add_f64 v[63:64], v[63:64], -v[99:100]
	;; [unrolled: 8-line block ×17, first 2 shown]
	ds_read2_b64 v[99:102], v125 offset0:100 offset1:101
	s_waitcnt lgkmcnt(0)
	v_mul_f64 v[77:78], v[101:102], v[79:80]
	v_fma_f64 v[77:78], v[99:100], v[97:98], -v[77:78]
	v_mul_f64 v[99:100], v[99:100], v[79:80]
	v_add_f64 v[73:74], v[73:74], -v[77:78]
	v_fma_f64 v[99:100], v[101:102], v[97:98], v[99:100]
	v_mov_b32_e32 v77, v97
	v_mov_b32_e32 v78, v98
	buffer_store_dword v77, off, s[20:23], 0 offset:32 ; 4-byte Folded Spill
	s_nop 0
	buffer_store_dword v78, off, s[20:23], 0 offset:36 ; 4-byte Folded Spill
	buffer_store_dword v79, off, s[20:23], 0 offset:40 ; 4-byte Folded Spill
	;; [unrolled: 1-line block ×3, first 2 shown]
	v_add_f64 v[75:76], v[75:76], -v[99:100]
.LBB101_280:
	s_or_b64 exec, exec, s[2:3]
	v_cmp_eq_u32_e32 vcc, 31, v0
	s_waitcnt vmcnt(0)
	s_barrier
	s_and_saveexec_b64 s[4:5], vcc
	s_cbranch_execz .LBB101_287
; %bb.281:
	v_mov_b32_e32 v69, v73
	v_mov_b32_e32 v70, v74
	;; [unrolled: 1-line block ×4, first 2 shown]
	buffer_load_dword v73, off, s[20:23], 0 offset:16 ; 4-byte Folded Reload
	buffer_load_dword v74, off, s[20:23], 0 offset:20 ; 4-byte Folded Reload
	;; [unrolled: 1-line block ×4, first 2 shown]
	s_waitcnt vmcnt(0)
	ds_write2_b64 v127, v[73:74], v[75:76] offset1:1
	v_mov_b32_e32 v76, v72
	v_mov_b32_e32 v75, v71
	v_mov_b32_e32 v74, v70
	v_mov_b32_e32 v73, v69
	buffer_load_dword v69, off, s[20:23], 0 ; 4-byte Folded Reload
	buffer_load_dword v70, off, s[20:23], 0 offset:4 ; 4-byte Folded Reload
	buffer_load_dword v71, off, s[20:23], 0 offset:8 ; 4-byte Folded Reload
	buffer_load_dword v72, off, s[20:23], 0 offset:12 ; 4-byte Folded Reload
	s_waitcnt vmcnt(0)
	ds_write2_b64 v125, v[69:70], v[71:72] offset0:64 offset1:65
	ds_write2_b64 v125, v[65:66], v[67:68] offset0:66 offset1:67
	;; [unrolled: 1-line block ×19, first 2 shown]
	ds_read2_b64 v[97:100], v127 offset1:1
	s_waitcnt lgkmcnt(0)
	v_cmp_neq_f64_e32 vcc, 0, v[97:98]
	v_cmp_neq_f64_e64 s[2:3], 0, v[99:100]
	s_or_b64 s[2:3], vcc, s[2:3]
	s_and_b64 exec, exec, s[2:3]
	s_cbranch_execz .LBB101_287
; %bb.282:
	v_cmp_ngt_f64_e64 s[2:3], |v[97:98]|, |v[99:100]|
                                        ; implicit-def: $vgpr101_vgpr102
	s_and_saveexec_b64 s[6:7], s[2:3]
	s_xor_b64 s[2:3], exec, s[6:7]
                                        ; implicit-def: $vgpr103_vgpr104
	s_cbranch_execz .LBB101_284
; %bb.283:
	v_div_scale_f64 v[101:102], s[6:7], v[99:100], v[99:100], v[97:98]
	v_rcp_f64_e32 v[103:104], v[101:102]
	v_fma_f64 v[105:106], -v[101:102], v[103:104], 1.0
	v_fma_f64 v[103:104], v[103:104], v[105:106], v[103:104]
	v_div_scale_f64 v[105:106], vcc, v[97:98], v[99:100], v[97:98]
	v_fma_f64 v[107:108], -v[101:102], v[103:104], 1.0
	v_fma_f64 v[103:104], v[103:104], v[107:108], v[103:104]
	v_mul_f64 v[107:108], v[105:106], v[103:104]
	v_fma_f64 v[101:102], -v[101:102], v[107:108], v[105:106]
	v_div_fmas_f64 v[101:102], v[101:102], v[103:104], v[107:108]
	v_div_fixup_f64 v[101:102], v[101:102], v[99:100], v[97:98]
	v_fma_f64 v[97:98], v[97:98], v[101:102], v[99:100]
	v_div_scale_f64 v[99:100], s[6:7], v[97:98], v[97:98], 1.0
	v_div_scale_f64 v[107:108], vcc, 1.0, v[97:98], 1.0
	v_rcp_f64_e32 v[103:104], v[99:100]
	v_fma_f64 v[105:106], -v[99:100], v[103:104], 1.0
	v_fma_f64 v[103:104], v[103:104], v[105:106], v[103:104]
	v_fma_f64 v[105:106], -v[99:100], v[103:104], 1.0
	v_fma_f64 v[103:104], v[103:104], v[105:106], v[103:104]
	v_mul_f64 v[105:106], v[107:108], v[103:104]
	v_fma_f64 v[99:100], -v[99:100], v[105:106], v[107:108]
	v_div_fmas_f64 v[99:100], v[99:100], v[103:104], v[105:106]
	v_div_fixup_f64 v[103:104], v[99:100], v[97:98], 1.0
                                        ; implicit-def: $vgpr97_vgpr98
	v_mul_f64 v[101:102], v[101:102], v[103:104]
	v_xor_b32_e32 v104, 0x80000000, v104
.LBB101_284:
	s_andn2_saveexec_b64 s[2:3], s[2:3]
	s_cbranch_execz .LBB101_286
; %bb.285:
	v_div_scale_f64 v[101:102], s[6:7], v[97:98], v[97:98], v[99:100]
	v_rcp_f64_e32 v[103:104], v[101:102]
	v_fma_f64 v[105:106], -v[101:102], v[103:104], 1.0
	v_fma_f64 v[103:104], v[103:104], v[105:106], v[103:104]
	v_div_scale_f64 v[105:106], vcc, v[99:100], v[97:98], v[99:100]
	v_fma_f64 v[107:108], -v[101:102], v[103:104], 1.0
	v_fma_f64 v[103:104], v[103:104], v[107:108], v[103:104]
	v_mul_f64 v[107:108], v[105:106], v[103:104]
	v_fma_f64 v[101:102], -v[101:102], v[107:108], v[105:106]
	v_div_fmas_f64 v[101:102], v[101:102], v[103:104], v[107:108]
	v_div_fixup_f64 v[103:104], v[101:102], v[97:98], v[99:100]
	v_fma_f64 v[97:98], v[99:100], v[103:104], v[97:98]
	v_div_scale_f64 v[99:100], s[6:7], v[97:98], v[97:98], 1.0
	v_div_scale_f64 v[107:108], vcc, 1.0, v[97:98], 1.0
	v_rcp_f64_e32 v[101:102], v[99:100]
	v_fma_f64 v[105:106], -v[99:100], v[101:102], 1.0
	v_fma_f64 v[101:102], v[101:102], v[105:106], v[101:102]
	v_fma_f64 v[105:106], -v[99:100], v[101:102], 1.0
	v_fma_f64 v[101:102], v[101:102], v[105:106], v[101:102]
	v_mul_f64 v[105:106], v[107:108], v[101:102]
	v_fma_f64 v[99:100], -v[99:100], v[105:106], v[107:108]
	v_div_fmas_f64 v[99:100], v[99:100], v[101:102], v[105:106]
	v_div_fixup_f64 v[101:102], v[99:100], v[97:98], 1.0
	v_mul_f64 v[103:104], v[103:104], -v[101:102]
.LBB101_286:
	s_or_b64 exec, exec, s[2:3]
	ds_write2_b64 v127, v[101:102], v[103:104] offset1:1
.LBB101_287:
	s_or_b64 exec, exec, s[4:5]
	s_waitcnt lgkmcnt(0)
	s_barrier
	ds_read2_b64 v[69:72], v127 offset1:1
	v_cmp_lt_u32_e32 vcc, 31, v0
	s_waitcnt lgkmcnt(0)
	buffer_store_dword v69, off, s[20:23], 0 offset:1344 ; 4-byte Folded Spill
	s_nop 0
	buffer_store_dword v70, off, s[20:23], 0 offset:1348 ; 4-byte Folded Spill
	buffer_store_dword v71, off, s[20:23], 0 offset:1352 ; 4-byte Folded Spill
	;; [unrolled: 1-line block ×3, first 2 shown]
	s_and_saveexec_b64 s[2:3], vcc
	s_cbranch_execz .LBB101_289
; %bb.288:
	v_mov_b32_e32 v80, v76
	v_mov_b32_e32 v79, v75
	;; [unrolled: 1-line block ×4, first 2 shown]
	buffer_load_dword v73, off, s[20:23], 0 offset:16 ; 4-byte Folded Reload
	buffer_load_dword v74, off, s[20:23], 0 offset:20 ; 4-byte Folded Reload
	;; [unrolled: 1-line block ×8, first 2 shown]
	ds_read2_b64 v[99:102], v125 offset0:64 offset1:65
	s_waitcnt vmcnt(0)
	v_mul_f64 v[97:98], v[71:72], v[75:76]
	v_mul_f64 v[75:76], v[69:70], v[75:76]
	v_fma_f64 v[97:98], v[69:70], v[73:74], -v[97:98]
	v_fma_f64 v[75:76], v[71:72], v[73:74], v[75:76]
	buffer_load_dword v69, off, s[20:23], 0 ; 4-byte Folded Reload
	buffer_load_dword v70, off, s[20:23], 0 offset:4 ; 4-byte Folded Reload
	buffer_load_dword v71, off, s[20:23], 0 offset:8 ; 4-byte Folded Reload
	;; [unrolled: 1-line block ×3, first 2 shown]
	s_waitcnt lgkmcnt(0)
	v_mul_f64 v[73:74], v[101:102], v[75:76]
	v_fma_f64 v[73:74], v[99:100], v[97:98], -v[73:74]
	v_mul_f64 v[99:100], v[99:100], v[75:76]
	v_fma_f64 v[99:100], v[101:102], v[97:98], v[99:100]
	s_waitcnt vmcnt(2)
	v_add_f64 v[69:70], v[69:70], -v[73:74]
	s_waitcnt vmcnt(0)
	v_add_f64 v[71:72], v[71:72], -v[99:100]
	buffer_store_dword v69, off, s[20:23], 0 ; 4-byte Folded Spill
	s_nop 0
	buffer_store_dword v70, off, s[20:23], 0 offset:4 ; 4-byte Folded Spill
	buffer_store_dword v71, off, s[20:23], 0 offset:8 ; 4-byte Folded Spill
	;; [unrolled: 1-line block ×3, first 2 shown]
	ds_read2_b64 v[99:102], v125 offset0:66 offset1:67
	s_waitcnt lgkmcnt(0)
	v_mul_f64 v[73:74], v[101:102], v[75:76]
	v_fma_f64 v[73:74], v[99:100], v[97:98], -v[73:74]
	v_mul_f64 v[99:100], v[99:100], v[75:76]
	v_add_f64 v[65:66], v[65:66], -v[73:74]
	v_fma_f64 v[99:100], v[101:102], v[97:98], v[99:100]
	v_add_f64 v[67:68], v[67:68], -v[99:100]
	ds_read2_b64 v[99:102], v125 offset0:68 offset1:69
	s_waitcnt lgkmcnt(0)
	v_mul_f64 v[73:74], v[101:102], v[75:76]
	v_fma_f64 v[73:74], v[99:100], v[97:98], -v[73:74]
	v_mul_f64 v[99:100], v[99:100], v[75:76]
	v_add_f64 v[61:62], v[61:62], -v[73:74]
	v_fma_f64 v[99:100], v[101:102], v[97:98], v[99:100]
	v_add_f64 v[63:64], v[63:64], -v[99:100]
	;; [unrolled: 8-line block ×17, first 2 shown]
	ds_read2_b64 v[99:102], v125 offset0:100 offset1:101
	s_waitcnt lgkmcnt(0)
	v_mul_f64 v[73:74], v[101:102], v[75:76]
	v_fma_f64 v[73:74], v[99:100], v[97:98], -v[73:74]
	v_mul_f64 v[99:100], v[99:100], v[75:76]
	v_add_f64 v[77:78], v[77:78], -v[73:74]
	v_fma_f64 v[99:100], v[101:102], v[97:98], v[99:100]
	v_mov_b32_e32 v73, v97
	v_mov_b32_e32 v74, v98
	buffer_store_dword v73, off, s[20:23], 0 offset:16 ; 4-byte Folded Spill
	s_nop 0
	buffer_store_dword v74, off, s[20:23], 0 offset:20 ; 4-byte Folded Spill
	buffer_store_dword v75, off, s[20:23], 0 offset:24 ; 4-byte Folded Spill
	;; [unrolled: 1-line block ×3, first 2 shown]
	v_add_f64 v[79:80], v[79:80], -v[99:100]
	v_mov_b32_e32 v73, v77
	v_mov_b32_e32 v74, v78
	v_mov_b32_e32 v75, v79
	v_mov_b32_e32 v76, v80
.LBB101_289:
	s_or_b64 exec, exec, s[2:3]
	v_cmp_eq_u32_e32 vcc, 32, v0
	s_waitcnt vmcnt(0)
	s_barrier
	s_and_saveexec_b64 s[4:5], vcc
	s_cbranch_execz .LBB101_296
; %bb.290:
	buffer_load_dword v69, off, s[20:23], 0 ; 4-byte Folded Reload
	buffer_load_dword v70, off, s[20:23], 0 offset:4 ; 4-byte Folded Reload
	buffer_load_dword v71, off, s[20:23], 0 offset:8 ; 4-byte Folded Reload
	;; [unrolled: 1-line block ×3, first 2 shown]
	s_waitcnt vmcnt(0)
	ds_write2_b64 v127, v[69:70], v[71:72] offset1:1
	ds_write2_b64 v125, v[65:66], v[67:68] offset0:66 offset1:67
	ds_write2_b64 v125, v[61:62], v[63:64] offset0:68 offset1:69
	;; [unrolled: 1-line block ×18, first 2 shown]
	ds_read2_b64 v[97:100], v127 offset1:1
	s_waitcnt lgkmcnt(0)
	v_cmp_neq_f64_e32 vcc, 0, v[97:98]
	v_cmp_neq_f64_e64 s[2:3], 0, v[99:100]
	s_or_b64 s[2:3], vcc, s[2:3]
	s_and_b64 exec, exec, s[2:3]
	s_cbranch_execz .LBB101_296
; %bb.291:
	v_cmp_ngt_f64_e64 s[2:3], |v[97:98]|, |v[99:100]|
                                        ; implicit-def: $vgpr101_vgpr102
	s_and_saveexec_b64 s[6:7], s[2:3]
	s_xor_b64 s[2:3], exec, s[6:7]
                                        ; implicit-def: $vgpr103_vgpr104
	s_cbranch_execz .LBB101_293
; %bb.292:
	v_div_scale_f64 v[101:102], s[6:7], v[99:100], v[99:100], v[97:98]
	v_rcp_f64_e32 v[103:104], v[101:102]
	v_fma_f64 v[105:106], -v[101:102], v[103:104], 1.0
	v_fma_f64 v[103:104], v[103:104], v[105:106], v[103:104]
	v_div_scale_f64 v[105:106], vcc, v[97:98], v[99:100], v[97:98]
	v_fma_f64 v[107:108], -v[101:102], v[103:104], 1.0
	v_fma_f64 v[103:104], v[103:104], v[107:108], v[103:104]
	v_mul_f64 v[107:108], v[105:106], v[103:104]
	v_fma_f64 v[101:102], -v[101:102], v[107:108], v[105:106]
	v_div_fmas_f64 v[101:102], v[101:102], v[103:104], v[107:108]
	v_div_fixup_f64 v[101:102], v[101:102], v[99:100], v[97:98]
	v_fma_f64 v[97:98], v[97:98], v[101:102], v[99:100]
	v_div_scale_f64 v[99:100], s[6:7], v[97:98], v[97:98], 1.0
	v_div_scale_f64 v[107:108], vcc, 1.0, v[97:98], 1.0
	v_rcp_f64_e32 v[103:104], v[99:100]
	v_fma_f64 v[105:106], -v[99:100], v[103:104], 1.0
	v_fma_f64 v[103:104], v[103:104], v[105:106], v[103:104]
	v_fma_f64 v[105:106], -v[99:100], v[103:104], 1.0
	v_fma_f64 v[103:104], v[103:104], v[105:106], v[103:104]
	v_mul_f64 v[105:106], v[107:108], v[103:104]
	v_fma_f64 v[99:100], -v[99:100], v[105:106], v[107:108]
	v_div_fmas_f64 v[99:100], v[99:100], v[103:104], v[105:106]
	v_div_fixup_f64 v[103:104], v[99:100], v[97:98], 1.0
                                        ; implicit-def: $vgpr97_vgpr98
	v_mul_f64 v[101:102], v[101:102], v[103:104]
	v_xor_b32_e32 v104, 0x80000000, v104
.LBB101_293:
	s_andn2_saveexec_b64 s[2:3], s[2:3]
	s_cbranch_execz .LBB101_295
; %bb.294:
	v_div_scale_f64 v[101:102], s[6:7], v[97:98], v[97:98], v[99:100]
	v_rcp_f64_e32 v[103:104], v[101:102]
	v_fma_f64 v[105:106], -v[101:102], v[103:104], 1.0
	v_fma_f64 v[103:104], v[103:104], v[105:106], v[103:104]
	v_div_scale_f64 v[105:106], vcc, v[99:100], v[97:98], v[99:100]
	v_fma_f64 v[107:108], -v[101:102], v[103:104], 1.0
	v_fma_f64 v[103:104], v[103:104], v[107:108], v[103:104]
	v_mul_f64 v[107:108], v[105:106], v[103:104]
	v_fma_f64 v[101:102], -v[101:102], v[107:108], v[105:106]
	v_div_fmas_f64 v[101:102], v[101:102], v[103:104], v[107:108]
	v_div_fixup_f64 v[103:104], v[101:102], v[97:98], v[99:100]
	v_fma_f64 v[97:98], v[99:100], v[103:104], v[97:98]
	v_div_scale_f64 v[99:100], s[6:7], v[97:98], v[97:98], 1.0
	v_div_scale_f64 v[107:108], vcc, 1.0, v[97:98], 1.0
	v_rcp_f64_e32 v[101:102], v[99:100]
	v_fma_f64 v[105:106], -v[99:100], v[101:102], 1.0
	v_fma_f64 v[101:102], v[101:102], v[105:106], v[101:102]
	v_fma_f64 v[105:106], -v[99:100], v[101:102], 1.0
	v_fma_f64 v[101:102], v[101:102], v[105:106], v[101:102]
	v_mul_f64 v[105:106], v[107:108], v[101:102]
	v_fma_f64 v[99:100], -v[99:100], v[105:106], v[107:108]
	v_div_fmas_f64 v[99:100], v[99:100], v[101:102], v[105:106]
	v_div_fixup_f64 v[101:102], v[99:100], v[97:98], 1.0
	v_mul_f64 v[103:104], v[103:104], -v[101:102]
.LBB101_295:
	s_or_b64 exec, exec, s[2:3]
	ds_write2_b64 v127, v[101:102], v[103:104] offset1:1
.LBB101_296:
	s_or_b64 exec, exec, s[4:5]
	s_waitcnt lgkmcnt(0)
	s_barrier
	ds_read2_b64 v[69:72], v127 offset1:1
	v_cmp_lt_u32_e32 vcc, 32, v0
	s_waitcnt lgkmcnt(0)
	buffer_store_dword v69, off, s[20:23], 0 offset:1360 ; 4-byte Folded Spill
	s_nop 0
	buffer_store_dword v70, off, s[20:23], 0 offset:1364 ; 4-byte Folded Spill
	buffer_store_dword v71, off, s[20:23], 0 offset:1368 ; 4-byte Folded Spill
	;; [unrolled: 1-line block ×3, first 2 shown]
	s_and_saveexec_b64 s[2:3], vcc
	s_cbranch_execz .LBB101_298
; %bb.297:
	buffer_load_dword v69, off, s[20:23], 0 ; 4-byte Folded Reload
	buffer_load_dword v70, off, s[20:23], 0 offset:4 ; 4-byte Folded Reload
	buffer_load_dword v71, off, s[20:23], 0 offset:8 ; 4-byte Folded Reload
	;; [unrolled: 1-line block ×7, first 2 shown]
	ds_read2_b64 v[99:102], v125 offset0:66 offset1:67
	s_waitcnt vmcnt(0)
	v_mul_f64 v[97:98], v[79:80], v[71:72]
	v_mul_f64 v[71:72], v[77:78], v[71:72]
	v_fma_f64 v[97:98], v[77:78], v[69:70], -v[97:98]
	v_fma_f64 v[71:72], v[79:80], v[69:70], v[71:72]
	s_waitcnt lgkmcnt(0)
	v_mul_f64 v[69:70], v[101:102], v[71:72]
	v_fma_f64 v[69:70], v[99:100], v[97:98], -v[69:70]
	v_mul_f64 v[99:100], v[99:100], v[71:72]
	v_add_f64 v[65:66], v[65:66], -v[69:70]
	v_fma_f64 v[99:100], v[101:102], v[97:98], v[99:100]
	v_add_f64 v[67:68], v[67:68], -v[99:100]
	ds_read2_b64 v[99:102], v125 offset0:68 offset1:69
	s_waitcnt lgkmcnt(0)
	v_mul_f64 v[69:70], v[101:102], v[71:72]
	v_fma_f64 v[69:70], v[99:100], v[97:98], -v[69:70]
	v_mul_f64 v[99:100], v[99:100], v[71:72]
	v_add_f64 v[61:62], v[61:62], -v[69:70]
	v_fma_f64 v[99:100], v[101:102], v[97:98], v[99:100]
	v_add_f64 v[63:64], v[63:64], -v[99:100]
	ds_read2_b64 v[99:102], v125 offset0:70 offset1:71
	;; [unrolled: 8-line block ×17, first 2 shown]
	s_waitcnt lgkmcnt(0)
	v_mul_f64 v[69:70], v[101:102], v[71:72]
	v_fma_f64 v[69:70], v[99:100], v[97:98], -v[69:70]
	v_mul_f64 v[99:100], v[99:100], v[71:72]
	v_add_f64 v[73:74], v[73:74], -v[69:70]
	v_fma_f64 v[99:100], v[101:102], v[97:98], v[99:100]
	v_mov_b32_e32 v69, v97
	v_mov_b32_e32 v70, v98
	buffer_store_dword v69, off, s[20:23], 0 ; 4-byte Folded Spill
	s_nop 0
	buffer_store_dword v70, off, s[20:23], 0 offset:4 ; 4-byte Folded Spill
	buffer_store_dword v71, off, s[20:23], 0 offset:8 ; 4-byte Folded Spill
	;; [unrolled: 1-line block ×3, first 2 shown]
	v_add_f64 v[75:76], v[75:76], -v[99:100]
.LBB101_298:
	s_or_b64 exec, exec, s[2:3]
	v_cmp_eq_u32_e32 vcc, 33, v0
	s_waitcnt vmcnt(0)
	s_barrier
	s_and_saveexec_b64 s[4:5], vcc
	s_cbranch_execz .LBB101_305
; %bb.299:
	ds_write2_b64 v127, v[65:66], v[67:68] offset1:1
	ds_write2_b64 v125, v[61:62], v[63:64] offset0:68 offset1:69
	ds_write2_b64 v125, v[57:58], v[59:60] offset0:70 offset1:71
	;; [unrolled: 1-line block ×17, first 2 shown]
	ds_read2_b64 v[97:100], v127 offset1:1
	s_waitcnt lgkmcnt(0)
	v_cmp_neq_f64_e32 vcc, 0, v[97:98]
	v_cmp_neq_f64_e64 s[2:3], 0, v[99:100]
	s_or_b64 s[2:3], vcc, s[2:3]
	s_and_b64 exec, exec, s[2:3]
	s_cbranch_execz .LBB101_305
; %bb.300:
	v_cmp_ngt_f64_e64 s[2:3], |v[97:98]|, |v[99:100]|
                                        ; implicit-def: $vgpr101_vgpr102
	s_and_saveexec_b64 s[6:7], s[2:3]
	s_xor_b64 s[2:3], exec, s[6:7]
                                        ; implicit-def: $vgpr103_vgpr104
	s_cbranch_execz .LBB101_302
; %bb.301:
	v_div_scale_f64 v[101:102], s[6:7], v[99:100], v[99:100], v[97:98]
	v_rcp_f64_e32 v[103:104], v[101:102]
	v_fma_f64 v[105:106], -v[101:102], v[103:104], 1.0
	v_fma_f64 v[103:104], v[103:104], v[105:106], v[103:104]
	v_div_scale_f64 v[105:106], vcc, v[97:98], v[99:100], v[97:98]
	v_fma_f64 v[107:108], -v[101:102], v[103:104], 1.0
	v_fma_f64 v[103:104], v[103:104], v[107:108], v[103:104]
	v_mul_f64 v[107:108], v[105:106], v[103:104]
	v_fma_f64 v[101:102], -v[101:102], v[107:108], v[105:106]
	v_div_fmas_f64 v[101:102], v[101:102], v[103:104], v[107:108]
	v_div_fixup_f64 v[101:102], v[101:102], v[99:100], v[97:98]
	v_fma_f64 v[97:98], v[97:98], v[101:102], v[99:100]
	v_div_scale_f64 v[99:100], s[6:7], v[97:98], v[97:98], 1.0
	v_div_scale_f64 v[107:108], vcc, 1.0, v[97:98], 1.0
	v_rcp_f64_e32 v[103:104], v[99:100]
	v_fma_f64 v[105:106], -v[99:100], v[103:104], 1.0
	v_fma_f64 v[103:104], v[103:104], v[105:106], v[103:104]
	v_fma_f64 v[105:106], -v[99:100], v[103:104], 1.0
	v_fma_f64 v[103:104], v[103:104], v[105:106], v[103:104]
	v_mul_f64 v[105:106], v[107:108], v[103:104]
	v_fma_f64 v[99:100], -v[99:100], v[105:106], v[107:108]
	v_div_fmas_f64 v[99:100], v[99:100], v[103:104], v[105:106]
	v_div_fixup_f64 v[103:104], v[99:100], v[97:98], 1.0
                                        ; implicit-def: $vgpr97_vgpr98
	v_mul_f64 v[101:102], v[101:102], v[103:104]
	v_xor_b32_e32 v104, 0x80000000, v104
.LBB101_302:
	s_andn2_saveexec_b64 s[2:3], s[2:3]
	s_cbranch_execz .LBB101_304
; %bb.303:
	v_div_scale_f64 v[101:102], s[6:7], v[97:98], v[97:98], v[99:100]
	v_rcp_f64_e32 v[103:104], v[101:102]
	v_fma_f64 v[105:106], -v[101:102], v[103:104], 1.0
	v_fma_f64 v[103:104], v[103:104], v[105:106], v[103:104]
	v_div_scale_f64 v[105:106], vcc, v[99:100], v[97:98], v[99:100]
	v_fma_f64 v[107:108], -v[101:102], v[103:104], 1.0
	v_fma_f64 v[103:104], v[103:104], v[107:108], v[103:104]
	v_mul_f64 v[107:108], v[105:106], v[103:104]
	v_fma_f64 v[101:102], -v[101:102], v[107:108], v[105:106]
	v_div_fmas_f64 v[101:102], v[101:102], v[103:104], v[107:108]
	v_div_fixup_f64 v[103:104], v[101:102], v[97:98], v[99:100]
	v_fma_f64 v[97:98], v[99:100], v[103:104], v[97:98]
	v_div_scale_f64 v[99:100], s[6:7], v[97:98], v[97:98], 1.0
	v_div_scale_f64 v[107:108], vcc, 1.0, v[97:98], 1.0
	v_rcp_f64_e32 v[101:102], v[99:100]
	v_fma_f64 v[105:106], -v[99:100], v[101:102], 1.0
	v_fma_f64 v[101:102], v[101:102], v[105:106], v[101:102]
	v_fma_f64 v[105:106], -v[99:100], v[101:102], 1.0
	v_fma_f64 v[101:102], v[101:102], v[105:106], v[101:102]
	v_mul_f64 v[105:106], v[107:108], v[101:102]
	v_fma_f64 v[99:100], -v[99:100], v[105:106], v[107:108]
	v_div_fmas_f64 v[99:100], v[99:100], v[101:102], v[105:106]
	v_div_fixup_f64 v[101:102], v[99:100], v[97:98], 1.0
	v_mul_f64 v[103:104], v[103:104], -v[101:102]
.LBB101_304:
	s_or_b64 exec, exec, s[2:3]
	ds_write2_b64 v127, v[101:102], v[103:104] offset1:1
.LBB101_305:
	s_or_b64 exec, exec, s[4:5]
	s_waitcnt lgkmcnt(0)
	s_barrier
	ds_read2_b64 v[69:72], v127 offset1:1
	v_cmp_lt_u32_e32 vcc, 33, v0
	s_waitcnt lgkmcnt(0)
	buffer_store_dword v69, off, s[20:23], 0 offset:1376 ; 4-byte Folded Spill
	s_nop 0
	buffer_store_dword v70, off, s[20:23], 0 offset:1380 ; 4-byte Folded Spill
	buffer_store_dword v71, off, s[20:23], 0 offset:1384 ; 4-byte Folded Spill
	buffer_store_dword v72, off, s[20:23], 0 offset:1388 ; 4-byte Folded Spill
	s_and_saveexec_b64 s[2:3], vcc
	s_cbranch_execz .LBB101_307
; %bb.306:
	buffer_load_dword v69, off, s[20:23], 0 offset:1376 ; 4-byte Folded Reload
	buffer_load_dword v70, off, s[20:23], 0 offset:1380 ; 4-byte Folded Reload
	;; [unrolled: 1-line block ×4, first 2 shown]
	ds_read2_b64 v[99:102], v125 offset0:68 offset1:69
	s_waitcnt vmcnt(0)
	v_mul_f64 v[97:98], v[71:72], v[67:68]
	v_mul_f64 v[67:68], v[69:70], v[67:68]
	v_fma_f64 v[97:98], v[69:70], v[65:66], -v[97:98]
	v_fma_f64 v[67:68], v[71:72], v[65:66], v[67:68]
	s_waitcnt lgkmcnt(0)
	v_mul_f64 v[65:66], v[101:102], v[67:68]
	v_fma_f64 v[65:66], v[99:100], v[97:98], -v[65:66]
	v_mul_f64 v[99:100], v[99:100], v[67:68]
	v_add_f64 v[61:62], v[61:62], -v[65:66]
	v_fma_f64 v[99:100], v[101:102], v[97:98], v[99:100]
	v_add_f64 v[63:64], v[63:64], -v[99:100]
	ds_read2_b64 v[99:102], v125 offset0:70 offset1:71
	s_waitcnt lgkmcnt(0)
	v_mul_f64 v[65:66], v[101:102], v[67:68]
	v_fma_f64 v[65:66], v[99:100], v[97:98], -v[65:66]
	v_mul_f64 v[99:100], v[99:100], v[67:68]
	v_add_f64 v[57:58], v[57:58], -v[65:66]
	v_fma_f64 v[99:100], v[101:102], v[97:98], v[99:100]
	v_add_f64 v[59:60], v[59:60], -v[99:100]
	ds_read2_b64 v[99:102], v125 offset0:72 offset1:73
	;; [unrolled: 8-line block ×16, first 2 shown]
	s_waitcnt lgkmcnt(0)
	v_mul_f64 v[65:66], v[101:102], v[67:68]
	v_fma_f64 v[65:66], v[99:100], v[97:98], -v[65:66]
	v_mul_f64 v[99:100], v[99:100], v[67:68]
	v_add_f64 v[73:74], v[73:74], -v[65:66]
	v_fma_f64 v[99:100], v[101:102], v[97:98], v[99:100]
	v_mov_b32_e32 v65, v97
	v_mov_b32_e32 v66, v98
	v_add_f64 v[75:76], v[75:76], -v[99:100]
.LBB101_307:
	s_or_b64 exec, exec, s[2:3]
	v_cmp_eq_u32_e32 vcc, 34, v0
	s_waitcnt vmcnt(0)
	s_barrier
	s_and_saveexec_b64 s[4:5], vcc
	s_cbranch_execz .LBB101_314
; %bb.308:
	ds_write2_b64 v127, v[61:62], v[63:64] offset1:1
	ds_write2_b64 v125, v[57:58], v[59:60] offset0:70 offset1:71
	ds_write2_b64 v125, v[53:54], v[55:56] offset0:72 offset1:73
	;; [unrolled: 1-line block ×16, first 2 shown]
	ds_read2_b64 v[97:100], v127 offset1:1
	s_waitcnt lgkmcnt(0)
	v_cmp_neq_f64_e32 vcc, 0, v[97:98]
	v_cmp_neq_f64_e64 s[2:3], 0, v[99:100]
	s_or_b64 s[2:3], vcc, s[2:3]
	s_and_b64 exec, exec, s[2:3]
	s_cbranch_execz .LBB101_314
; %bb.309:
	v_cmp_ngt_f64_e64 s[2:3], |v[97:98]|, |v[99:100]|
                                        ; implicit-def: $vgpr101_vgpr102
	s_and_saveexec_b64 s[6:7], s[2:3]
	s_xor_b64 s[2:3], exec, s[6:7]
                                        ; implicit-def: $vgpr103_vgpr104
	s_cbranch_execz .LBB101_311
; %bb.310:
	v_div_scale_f64 v[101:102], s[6:7], v[99:100], v[99:100], v[97:98]
	v_rcp_f64_e32 v[103:104], v[101:102]
	v_fma_f64 v[105:106], -v[101:102], v[103:104], 1.0
	v_fma_f64 v[103:104], v[103:104], v[105:106], v[103:104]
	v_div_scale_f64 v[105:106], vcc, v[97:98], v[99:100], v[97:98]
	v_fma_f64 v[107:108], -v[101:102], v[103:104], 1.0
	v_fma_f64 v[103:104], v[103:104], v[107:108], v[103:104]
	v_mul_f64 v[107:108], v[105:106], v[103:104]
	v_fma_f64 v[101:102], -v[101:102], v[107:108], v[105:106]
	v_div_fmas_f64 v[101:102], v[101:102], v[103:104], v[107:108]
	v_div_fixup_f64 v[101:102], v[101:102], v[99:100], v[97:98]
	v_fma_f64 v[97:98], v[97:98], v[101:102], v[99:100]
	v_div_scale_f64 v[99:100], s[6:7], v[97:98], v[97:98], 1.0
	v_div_scale_f64 v[107:108], vcc, 1.0, v[97:98], 1.0
	v_rcp_f64_e32 v[103:104], v[99:100]
	v_fma_f64 v[105:106], -v[99:100], v[103:104], 1.0
	v_fma_f64 v[103:104], v[103:104], v[105:106], v[103:104]
	v_fma_f64 v[105:106], -v[99:100], v[103:104], 1.0
	v_fma_f64 v[103:104], v[103:104], v[105:106], v[103:104]
	v_mul_f64 v[105:106], v[107:108], v[103:104]
	v_fma_f64 v[99:100], -v[99:100], v[105:106], v[107:108]
	v_div_fmas_f64 v[99:100], v[99:100], v[103:104], v[105:106]
	v_div_fixup_f64 v[103:104], v[99:100], v[97:98], 1.0
                                        ; implicit-def: $vgpr97_vgpr98
	v_mul_f64 v[101:102], v[101:102], v[103:104]
	v_xor_b32_e32 v104, 0x80000000, v104
.LBB101_311:
	s_andn2_saveexec_b64 s[2:3], s[2:3]
	s_cbranch_execz .LBB101_313
; %bb.312:
	v_div_scale_f64 v[101:102], s[6:7], v[97:98], v[97:98], v[99:100]
	v_rcp_f64_e32 v[103:104], v[101:102]
	v_fma_f64 v[105:106], -v[101:102], v[103:104], 1.0
	v_fma_f64 v[103:104], v[103:104], v[105:106], v[103:104]
	v_div_scale_f64 v[105:106], vcc, v[99:100], v[97:98], v[99:100]
	v_fma_f64 v[107:108], -v[101:102], v[103:104], 1.0
	v_fma_f64 v[103:104], v[103:104], v[107:108], v[103:104]
	v_mul_f64 v[107:108], v[105:106], v[103:104]
	v_fma_f64 v[101:102], -v[101:102], v[107:108], v[105:106]
	v_div_fmas_f64 v[101:102], v[101:102], v[103:104], v[107:108]
	v_div_fixup_f64 v[103:104], v[101:102], v[97:98], v[99:100]
	v_fma_f64 v[97:98], v[99:100], v[103:104], v[97:98]
	v_div_scale_f64 v[99:100], s[6:7], v[97:98], v[97:98], 1.0
	v_div_scale_f64 v[107:108], vcc, 1.0, v[97:98], 1.0
	v_rcp_f64_e32 v[101:102], v[99:100]
	v_fma_f64 v[105:106], -v[99:100], v[101:102], 1.0
	v_fma_f64 v[101:102], v[101:102], v[105:106], v[101:102]
	v_fma_f64 v[105:106], -v[99:100], v[101:102], 1.0
	v_fma_f64 v[101:102], v[101:102], v[105:106], v[101:102]
	v_mul_f64 v[105:106], v[107:108], v[101:102]
	v_fma_f64 v[99:100], -v[99:100], v[105:106], v[107:108]
	v_div_fmas_f64 v[99:100], v[99:100], v[101:102], v[105:106]
	v_div_fixup_f64 v[101:102], v[99:100], v[97:98], 1.0
	v_mul_f64 v[103:104], v[103:104], -v[101:102]
.LBB101_313:
	s_or_b64 exec, exec, s[2:3]
	ds_write2_b64 v127, v[101:102], v[103:104] offset1:1
.LBB101_314:
	s_or_b64 exec, exec, s[4:5]
	s_waitcnt lgkmcnt(0)
	s_barrier
	ds_read2_b64 v[69:72], v127 offset1:1
	v_cmp_lt_u32_e32 vcc, 34, v0
	s_waitcnt lgkmcnt(0)
	buffer_store_dword v69, off, s[20:23], 0 offset:1392 ; 4-byte Folded Spill
	s_nop 0
	buffer_store_dword v70, off, s[20:23], 0 offset:1396 ; 4-byte Folded Spill
	buffer_store_dword v71, off, s[20:23], 0 offset:1400 ; 4-byte Folded Spill
	;; [unrolled: 1-line block ×3, first 2 shown]
	s_and_saveexec_b64 s[2:3], vcc
	s_cbranch_execz .LBB101_316
; %bb.315:
	buffer_load_dword v69, off, s[20:23], 0 offset:1392 ; 4-byte Folded Reload
	buffer_load_dword v70, off, s[20:23], 0 offset:1396 ; 4-byte Folded Reload
	;; [unrolled: 1-line block ×4, first 2 shown]
	ds_read2_b64 v[99:102], v125 offset0:70 offset1:71
	s_waitcnt vmcnt(2)
	v_mul_f64 v[97:98], v[69:70], v[63:64]
	s_waitcnt vmcnt(0)
	v_mul_f64 v[63:64], v[71:72], v[63:64]
	v_fma_f64 v[97:98], v[71:72], v[61:62], v[97:98]
	v_fma_f64 v[61:62], v[69:70], v[61:62], -v[63:64]
	s_waitcnt lgkmcnt(0)
	v_mul_f64 v[63:64], v[101:102], v[97:98]
	v_fma_f64 v[63:64], v[99:100], v[61:62], -v[63:64]
	v_mul_f64 v[99:100], v[99:100], v[97:98]
	v_add_f64 v[57:58], v[57:58], -v[63:64]
	v_fma_f64 v[99:100], v[101:102], v[61:62], v[99:100]
	v_add_f64 v[59:60], v[59:60], -v[99:100]
	ds_read2_b64 v[99:102], v125 offset0:72 offset1:73
	s_waitcnt lgkmcnt(0)
	v_mul_f64 v[63:64], v[101:102], v[97:98]
	v_fma_f64 v[63:64], v[99:100], v[61:62], -v[63:64]
	v_mul_f64 v[99:100], v[99:100], v[97:98]
	v_add_f64 v[53:54], v[53:54], -v[63:64]
	v_fma_f64 v[99:100], v[101:102], v[61:62], v[99:100]
	v_add_f64 v[55:56], v[55:56], -v[99:100]
	ds_read2_b64 v[99:102], v125 offset0:74 offset1:75
	;; [unrolled: 8-line block ×15, first 2 shown]
	s_waitcnt lgkmcnt(0)
	v_mul_f64 v[63:64], v[101:102], v[97:98]
	v_fma_f64 v[63:64], v[99:100], v[61:62], -v[63:64]
	v_mul_f64 v[99:100], v[99:100], v[97:98]
	v_add_f64 v[73:74], v[73:74], -v[63:64]
	v_fma_f64 v[99:100], v[101:102], v[61:62], v[99:100]
	v_mov_b32_e32 v63, v97
	v_mov_b32_e32 v64, v98
	v_add_f64 v[75:76], v[75:76], -v[99:100]
.LBB101_316:
	s_or_b64 exec, exec, s[2:3]
	v_cmp_eq_u32_e32 vcc, 35, v0
	s_waitcnt vmcnt(0)
	s_barrier
	s_and_saveexec_b64 s[4:5], vcc
	s_cbranch_execz .LBB101_323
; %bb.317:
	ds_write2_b64 v127, v[57:58], v[59:60] offset1:1
	ds_write2_b64 v125, v[53:54], v[55:56] offset0:72 offset1:73
	ds_write2_b64 v125, v[49:50], v[51:52] offset0:74 offset1:75
	;; [unrolled: 1-line block ×15, first 2 shown]
	ds_read2_b64 v[97:100], v127 offset1:1
	s_waitcnt lgkmcnt(0)
	v_cmp_neq_f64_e32 vcc, 0, v[97:98]
	v_cmp_neq_f64_e64 s[2:3], 0, v[99:100]
	s_or_b64 s[2:3], vcc, s[2:3]
	s_and_b64 exec, exec, s[2:3]
	s_cbranch_execz .LBB101_323
; %bb.318:
	v_cmp_ngt_f64_e64 s[2:3], |v[97:98]|, |v[99:100]|
                                        ; implicit-def: $vgpr101_vgpr102
	s_and_saveexec_b64 s[6:7], s[2:3]
	s_xor_b64 s[2:3], exec, s[6:7]
                                        ; implicit-def: $vgpr103_vgpr104
	s_cbranch_execz .LBB101_320
; %bb.319:
	v_div_scale_f64 v[101:102], s[6:7], v[99:100], v[99:100], v[97:98]
	v_rcp_f64_e32 v[103:104], v[101:102]
	v_fma_f64 v[105:106], -v[101:102], v[103:104], 1.0
	v_fma_f64 v[103:104], v[103:104], v[105:106], v[103:104]
	v_div_scale_f64 v[105:106], vcc, v[97:98], v[99:100], v[97:98]
	v_fma_f64 v[107:108], -v[101:102], v[103:104], 1.0
	v_fma_f64 v[103:104], v[103:104], v[107:108], v[103:104]
	v_mul_f64 v[107:108], v[105:106], v[103:104]
	v_fma_f64 v[101:102], -v[101:102], v[107:108], v[105:106]
	v_div_fmas_f64 v[101:102], v[101:102], v[103:104], v[107:108]
	v_div_fixup_f64 v[101:102], v[101:102], v[99:100], v[97:98]
	v_fma_f64 v[97:98], v[97:98], v[101:102], v[99:100]
	v_div_scale_f64 v[99:100], s[6:7], v[97:98], v[97:98], 1.0
	v_div_scale_f64 v[107:108], vcc, 1.0, v[97:98], 1.0
	v_rcp_f64_e32 v[103:104], v[99:100]
	v_fma_f64 v[105:106], -v[99:100], v[103:104], 1.0
	v_fma_f64 v[103:104], v[103:104], v[105:106], v[103:104]
	v_fma_f64 v[105:106], -v[99:100], v[103:104], 1.0
	v_fma_f64 v[103:104], v[103:104], v[105:106], v[103:104]
	v_mul_f64 v[105:106], v[107:108], v[103:104]
	v_fma_f64 v[99:100], -v[99:100], v[105:106], v[107:108]
	v_div_fmas_f64 v[99:100], v[99:100], v[103:104], v[105:106]
	v_div_fixup_f64 v[103:104], v[99:100], v[97:98], 1.0
                                        ; implicit-def: $vgpr97_vgpr98
	v_mul_f64 v[101:102], v[101:102], v[103:104]
	v_xor_b32_e32 v104, 0x80000000, v104
.LBB101_320:
	s_andn2_saveexec_b64 s[2:3], s[2:3]
	s_cbranch_execz .LBB101_322
; %bb.321:
	v_div_scale_f64 v[101:102], s[6:7], v[97:98], v[97:98], v[99:100]
	v_rcp_f64_e32 v[103:104], v[101:102]
	v_fma_f64 v[105:106], -v[101:102], v[103:104], 1.0
	v_fma_f64 v[103:104], v[103:104], v[105:106], v[103:104]
	v_div_scale_f64 v[105:106], vcc, v[99:100], v[97:98], v[99:100]
	v_fma_f64 v[107:108], -v[101:102], v[103:104], 1.0
	v_fma_f64 v[103:104], v[103:104], v[107:108], v[103:104]
	v_mul_f64 v[107:108], v[105:106], v[103:104]
	v_fma_f64 v[101:102], -v[101:102], v[107:108], v[105:106]
	v_div_fmas_f64 v[101:102], v[101:102], v[103:104], v[107:108]
	v_div_fixup_f64 v[103:104], v[101:102], v[97:98], v[99:100]
	v_fma_f64 v[97:98], v[99:100], v[103:104], v[97:98]
	v_div_scale_f64 v[99:100], s[6:7], v[97:98], v[97:98], 1.0
	v_div_scale_f64 v[107:108], vcc, 1.0, v[97:98], 1.0
	v_rcp_f64_e32 v[101:102], v[99:100]
	v_fma_f64 v[105:106], -v[99:100], v[101:102], 1.0
	v_fma_f64 v[101:102], v[101:102], v[105:106], v[101:102]
	v_fma_f64 v[105:106], -v[99:100], v[101:102], 1.0
	v_fma_f64 v[101:102], v[101:102], v[105:106], v[101:102]
	v_mul_f64 v[105:106], v[107:108], v[101:102]
	v_fma_f64 v[99:100], -v[99:100], v[105:106], v[107:108]
	v_div_fmas_f64 v[99:100], v[99:100], v[101:102], v[105:106]
	v_div_fixup_f64 v[101:102], v[99:100], v[97:98], 1.0
	v_mul_f64 v[103:104], v[103:104], -v[101:102]
.LBB101_322:
	s_or_b64 exec, exec, s[2:3]
	ds_write2_b64 v127, v[101:102], v[103:104] offset1:1
.LBB101_323:
	s_or_b64 exec, exec, s[4:5]
	s_waitcnt lgkmcnt(0)
	s_barrier
	ds_read2_b64 v[69:72], v127 offset1:1
	v_cmp_lt_u32_e32 vcc, 35, v0
	s_waitcnt lgkmcnt(0)
	buffer_store_dword v69, off, s[20:23], 0 offset:1408 ; 4-byte Folded Spill
	s_nop 0
	buffer_store_dword v70, off, s[20:23], 0 offset:1412 ; 4-byte Folded Spill
	buffer_store_dword v71, off, s[20:23], 0 offset:1416 ; 4-byte Folded Spill
	;; [unrolled: 1-line block ×3, first 2 shown]
	s_and_saveexec_b64 s[2:3], vcc
	s_cbranch_execz .LBB101_325
; %bb.324:
	buffer_load_dword v69, off, s[20:23], 0 offset:1408 ; 4-byte Folded Reload
	buffer_load_dword v70, off, s[20:23], 0 offset:1412 ; 4-byte Folded Reload
	;; [unrolled: 1-line block ×4, first 2 shown]
	ds_read2_b64 v[99:102], v125 offset0:72 offset1:73
	s_waitcnt vmcnt(2)
	v_mul_f64 v[97:98], v[69:70], v[59:60]
	s_waitcnt vmcnt(0)
	v_mul_f64 v[59:60], v[71:72], v[59:60]
	v_fma_f64 v[97:98], v[71:72], v[57:58], v[97:98]
	v_fma_f64 v[57:58], v[69:70], v[57:58], -v[59:60]
	s_waitcnt lgkmcnt(0)
	v_mul_f64 v[59:60], v[101:102], v[97:98]
	v_fma_f64 v[59:60], v[99:100], v[57:58], -v[59:60]
	v_mul_f64 v[99:100], v[99:100], v[97:98]
	v_add_f64 v[53:54], v[53:54], -v[59:60]
	v_fma_f64 v[99:100], v[101:102], v[57:58], v[99:100]
	v_add_f64 v[55:56], v[55:56], -v[99:100]
	ds_read2_b64 v[99:102], v125 offset0:74 offset1:75
	s_waitcnt lgkmcnt(0)
	v_mul_f64 v[59:60], v[101:102], v[97:98]
	v_fma_f64 v[59:60], v[99:100], v[57:58], -v[59:60]
	v_mul_f64 v[99:100], v[99:100], v[97:98]
	v_add_f64 v[49:50], v[49:50], -v[59:60]
	v_fma_f64 v[99:100], v[101:102], v[57:58], v[99:100]
	v_add_f64 v[51:52], v[51:52], -v[99:100]
	ds_read2_b64 v[99:102], v125 offset0:76 offset1:77
	;; [unrolled: 8-line block ×14, first 2 shown]
	s_waitcnt lgkmcnt(0)
	v_mul_f64 v[59:60], v[101:102], v[97:98]
	v_fma_f64 v[59:60], v[99:100], v[57:58], -v[59:60]
	v_mul_f64 v[99:100], v[99:100], v[97:98]
	v_add_f64 v[73:74], v[73:74], -v[59:60]
	v_fma_f64 v[99:100], v[101:102], v[57:58], v[99:100]
	v_mov_b32_e32 v59, v97
	v_mov_b32_e32 v60, v98
	v_add_f64 v[75:76], v[75:76], -v[99:100]
.LBB101_325:
	s_or_b64 exec, exec, s[2:3]
	v_cmp_eq_u32_e32 vcc, 36, v0
	s_waitcnt vmcnt(0)
	s_barrier
	s_and_saveexec_b64 s[4:5], vcc
	s_cbranch_execz .LBB101_332
; %bb.326:
	ds_write2_b64 v127, v[53:54], v[55:56] offset1:1
	ds_write2_b64 v125, v[49:50], v[51:52] offset0:74 offset1:75
	ds_write2_b64 v125, v[45:46], v[47:48] offset0:76 offset1:77
	;; [unrolled: 1-line block ×14, first 2 shown]
	ds_read2_b64 v[97:100], v127 offset1:1
	s_waitcnt lgkmcnt(0)
	v_cmp_neq_f64_e32 vcc, 0, v[97:98]
	v_cmp_neq_f64_e64 s[2:3], 0, v[99:100]
	s_or_b64 s[2:3], vcc, s[2:3]
	s_and_b64 exec, exec, s[2:3]
	s_cbranch_execz .LBB101_332
; %bb.327:
	v_cmp_ngt_f64_e64 s[2:3], |v[97:98]|, |v[99:100]|
                                        ; implicit-def: $vgpr101_vgpr102
	s_and_saveexec_b64 s[6:7], s[2:3]
	s_xor_b64 s[2:3], exec, s[6:7]
                                        ; implicit-def: $vgpr103_vgpr104
	s_cbranch_execz .LBB101_329
; %bb.328:
	v_div_scale_f64 v[101:102], s[6:7], v[99:100], v[99:100], v[97:98]
	v_rcp_f64_e32 v[103:104], v[101:102]
	v_fma_f64 v[105:106], -v[101:102], v[103:104], 1.0
	v_fma_f64 v[103:104], v[103:104], v[105:106], v[103:104]
	v_div_scale_f64 v[105:106], vcc, v[97:98], v[99:100], v[97:98]
	v_fma_f64 v[107:108], -v[101:102], v[103:104], 1.0
	v_fma_f64 v[103:104], v[103:104], v[107:108], v[103:104]
	v_mul_f64 v[107:108], v[105:106], v[103:104]
	v_fma_f64 v[101:102], -v[101:102], v[107:108], v[105:106]
	v_div_fmas_f64 v[101:102], v[101:102], v[103:104], v[107:108]
	v_div_fixup_f64 v[101:102], v[101:102], v[99:100], v[97:98]
	v_fma_f64 v[97:98], v[97:98], v[101:102], v[99:100]
	v_div_scale_f64 v[99:100], s[6:7], v[97:98], v[97:98], 1.0
	v_div_scale_f64 v[107:108], vcc, 1.0, v[97:98], 1.0
	v_rcp_f64_e32 v[103:104], v[99:100]
	v_fma_f64 v[105:106], -v[99:100], v[103:104], 1.0
	v_fma_f64 v[103:104], v[103:104], v[105:106], v[103:104]
	v_fma_f64 v[105:106], -v[99:100], v[103:104], 1.0
	v_fma_f64 v[103:104], v[103:104], v[105:106], v[103:104]
	v_mul_f64 v[105:106], v[107:108], v[103:104]
	v_fma_f64 v[99:100], -v[99:100], v[105:106], v[107:108]
	v_div_fmas_f64 v[99:100], v[99:100], v[103:104], v[105:106]
	v_div_fixup_f64 v[103:104], v[99:100], v[97:98], 1.0
                                        ; implicit-def: $vgpr97_vgpr98
	v_mul_f64 v[101:102], v[101:102], v[103:104]
	v_xor_b32_e32 v104, 0x80000000, v104
.LBB101_329:
	s_andn2_saveexec_b64 s[2:3], s[2:3]
	s_cbranch_execz .LBB101_331
; %bb.330:
	v_div_scale_f64 v[101:102], s[6:7], v[97:98], v[97:98], v[99:100]
	v_rcp_f64_e32 v[103:104], v[101:102]
	v_fma_f64 v[105:106], -v[101:102], v[103:104], 1.0
	v_fma_f64 v[103:104], v[103:104], v[105:106], v[103:104]
	v_div_scale_f64 v[105:106], vcc, v[99:100], v[97:98], v[99:100]
	v_fma_f64 v[107:108], -v[101:102], v[103:104], 1.0
	v_fma_f64 v[103:104], v[103:104], v[107:108], v[103:104]
	v_mul_f64 v[107:108], v[105:106], v[103:104]
	v_fma_f64 v[101:102], -v[101:102], v[107:108], v[105:106]
	v_div_fmas_f64 v[101:102], v[101:102], v[103:104], v[107:108]
	v_div_fixup_f64 v[103:104], v[101:102], v[97:98], v[99:100]
	v_fma_f64 v[97:98], v[99:100], v[103:104], v[97:98]
	v_div_scale_f64 v[99:100], s[6:7], v[97:98], v[97:98], 1.0
	v_div_scale_f64 v[107:108], vcc, 1.0, v[97:98], 1.0
	v_rcp_f64_e32 v[101:102], v[99:100]
	v_fma_f64 v[105:106], -v[99:100], v[101:102], 1.0
	v_fma_f64 v[101:102], v[101:102], v[105:106], v[101:102]
	v_fma_f64 v[105:106], -v[99:100], v[101:102], 1.0
	v_fma_f64 v[101:102], v[101:102], v[105:106], v[101:102]
	v_mul_f64 v[105:106], v[107:108], v[101:102]
	v_fma_f64 v[99:100], -v[99:100], v[105:106], v[107:108]
	v_div_fmas_f64 v[99:100], v[99:100], v[101:102], v[105:106]
	v_div_fixup_f64 v[101:102], v[99:100], v[97:98], 1.0
	v_mul_f64 v[103:104], v[103:104], -v[101:102]
.LBB101_331:
	s_or_b64 exec, exec, s[2:3]
	ds_write2_b64 v127, v[101:102], v[103:104] offset1:1
.LBB101_332:
	s_or_b64 exec, exec, s[4:5]
	s_waitcnt lgkmcnt(0)
	s_barrier
	ds_read2_b64 v[69:72], v127 offset1:1
	v_cmp_lt_u32_e32 vcc, 36, v0
	s_waitcnt lgkmcnt(0)
	buffer_store_dword v69, off, s[20:23], 0 offset:1424 ; 4-byte Folded Spill
	s_nop 0
	buffer_store_dword v70, off, s[20:23], 0 offset:1428 ; 4-byte Folded Spill
	buffer_store_dword v71, off, s[20:23], 0 offset:1432 ; 4-byte Folded Spill
	;; [unrolled: 1-line block ×3, first 2 shown]
	s_and_saveexec_b64 s[2:3], vcc
	s_cbranch_execz .LBB101_334
; %bb.333:
	buffer_load_dword v69, off, s[20:23], 0 offset:1424 ; 4-byte Folded Reload
	buffer_load_dword v70, off, s[20:23], 0 offset:1428 ; 4-byte Folded Reload
	;; [unrolled: 1-line block ×4, first 2 shown]
	ds_read2_b64 v[99:102], v125 offset0:74 offset1:75
	s_waitcnt vmcnt(2)
	v_mul_f64 v[97:98], v[69:70], v[55:56]
	s_waitcnt vmcnt(0)
	v_mul_f64 v[55:56], v[71:72], v[55:56]
	v_fma_f64 v[97:98], v[71:72], v[53:54], v[97:98]
	v_fma_f64 v[53:54], v[69:70], v[53:54], -v[55:56]
	s_waitcnt lgkmcnt(0)
	v_mul_f64 v[55:56], v[101:102], v[97:98]
	v_fma_f64 v[55:56], v[99:100], v[53:54], -v[55:56]
	v_mul_f64 v[99:100], v[99:100], v[97:98]
	v_add_f64 v[49:50], v[49:50], -v[55:56]
	v_fma_f64 v[99:100], v[101:102], v[53:54], v[99:100]
	v_add_f64 v[51:52], v[51:52], -v[99:100]
	ds_read2_b64 v[99:102], v125 offset0:76 offset1:77
	s_waitcnt lgkmcnt(0)
	v_mul_f64 v[55:56], v[101:102], v[97:98]
	v_fma_f64 v[55:56], v[99:100], v[53:54], -v[55:56]
	v_mul_f64 v[99:100], v[99:100], v[97:98]
	v_add_f64 v[45:46], v[45:46], -v[55:56]
	v_fma_f64 v[99:100], v[101:102], v[53:54], v[99:100]
	v_add_f64 v[47:48], v[47:48], -v[99:100]
	ds_read2_b64 v[99:102], v125 offset0:78 offset1:79
	;; [unrolled: 8-line block ×13, first 2 shown]
	s_waitcnt lgkmcnt(0)
	v_mul_f64 v[55:56], v[101:102], v[97:98]
	v_fma_f64 v[55:56], v[99:100], v[53:54], -v[55:56]
	v_mul_f64 v[99:100], v[99:100], v[97:98]
	v_add_f64 v[73:74], v[73:74], -v[55:56]
	v_fma_f64 v[99:100], v[101:102], v[53:54], v[99:100]
	v_mov_b32_e32 v55, v97
	v_mov_b32_e32 v56, v98
	v_add_f64 v[75:76], v[75:76], -v[99:100]
.LBB101_334:
	s_or_b64 exec, exec, s[2:3]
	v_cmp_eq_u32_e32 vcc, 37, v0
	s_waitcnt vmcnt(0)
	s_barrier
	s_and_saveexec_b64 s[4:5], vcc
	s_cbranch_execz .LBB101_341
; %bb.335:
	ds_write2_b64 v127, v[49:50], v[51:52] offset1:1
	ds_write2_b64 v125, v[45:46], v[47:48] offset0:76 offset1:77
	ds_write2_b64 v125, v[41:42], v[43:44] offset0:78 offset1:79
	;; [unrolled: 1-line block ×13, first 2 shown]
	ds_read2_b64 v[97:100], v127 offset1:1
	s_waitcnt lgkmcnt(0)
	v_cmp_neq_f64_e32 vcc, 0, v[97:98]
	v_cmp_neq_f64_e64 s[2:3], 0, v[99:100]
	s_or_b64 s[2:3], vcc, s[2:3]
	s_and_b64 exec, exec, s[2:3]
	s_cbranch_execz .LBB101_341
; %bb.336:
	v_cmp_ngt_f64_e64 s[2:3], |v[97:98]|, |v[99:100]|
                                        ; implicit-def: $vgpr101_vgpr102
	s_and_saveexec_b64 s[6:7], s[2:3]
	s_xor_b64 s[2:3], exec, s[6:7]
                                        ; implicit-def: $vgpr103_vgpr104
	s_cbranch_execz .LBB101_338
; %bb.337:
	v_div_scale_f64 v[101:102], s[6:7], v[99:100], v[99:100], v[97:98]
	v_rcp_f64_e32 v[103:104], v[101:102]
	v_fma_f64 v[105:106], -v[101:102], v[103:104], 1.0
	v_fma_f64 v[103:104], v[103:104], v[105:106], v[103:104]
	v_div_scale_f64 v[105:106], vcc, v[97:98], v[99:100], v[97:98]
	v_fma_f64 v[107:108], -v[101:102], v[103:104], 1.0
	v_fma_f64 v[103:104], v[103:104], v[107:108], v[103:104]
	v_mul_f64 v[107:108], v[105:106], v[103:104]
	v_fma_f64 v[101:102], -v[101:102], v[107:108], v[105:106]
	v_div_fmas_f64 v[101:102], v[101:102], v[103:104], v[107:108]
	v_div_fixup_f64 v[101:102], v[101:102], v[99:100], v[97:98]
	v_fma_f64 v[97:98], v[97:98], v[101:102], v[99:100]
	v_div_scale_f64 v[99:100], s[6:7], v[97:98], v[97:98], 1.0
	v_div_scale_f64 v[107:108], vcc, 1.0, v[97:98], 1.0
	v_rcp_f64_e32 v[103:104], v[99:100]
	v_fma_f64 v[105:106], -v[99:100], v[103:104], 1.0
	v_fma_f64 v[103:104], v[103:104], v[105:106], v[103:104]
	v_fma_f64 v[105:106], -v[99:100], v[103:104], 1.0
	v_fma_f64 v[103:104], v[103:104], v[105:106], v[103:104]
	v_mul_f64 v[105:106], v[107:108], v[103:104]
	v_fma_f64 v[99:100], -v[99:100], v[105:106], v[107:108]
	v_div_fmas_f64 v[99:100], v[99:100], v[103:104], v[105:106]
	v_div_fixup_f64 v[103:104], v[99:100], v[97:98], 1.0
                                        ; implicit-def: $vgpr97_vgpr98
	v_mul_f64 v[101:102], v[101:102], v[103:104]
	v_xor_b32_e32 v104, 0x80000000, v104
.LBB101_338:
	s_andn2_saveexec_b64 s[2:3], s[2:3]
	s_cbranch_execz .LBB101_340
; %bb.339:
	v_div_scale_f64 v[101:102], s[6:7], v[97:98], v[97:98], v[99:100]
	v_rcp_f64_e32 v[103:104], v[101:102]
	v_fma_f64 v[105:106], -v[101:102], v[103:104], 1.0
	v_fma_f64 v[103:104], v[103:104], v[105:106], v[103:104]
	v_div_scale_f64 v[105:106], vcc, v[99:100], v[97:98], v[99:100]
	v_fma_f64 v[107:108], -v[101:102], v[103:104], 1.0
	v_fma_f64 v[103:104], v[103:104], v[107:108], v[103:104]
	v_mul_f64 v[107:108], v[105:106], v[103:104]
	v_fma_f64 v[101:102], -v[101:102], v[107:108], v[105:106]
	v_div_fmas_f64 v[101:102], v[101:102], v[103:104], v[107:108]
	v_div_fixup_f64 v[103:104], v[101:102], v[97:98], v[99:100]
	v_fma_f64 v[97:98], v[99:100], v[103:104], v[97:98]
	v_div_scale_f64 v[99:100], s[6:7], v[97:98], v[97:98], 1.0
	v_div_scale_f64 v[107:108], vcc, 1.0, v[97:98], 1.0
	v_rcp_f64_e32 v[101:102], v[99:100]
	v_fma_f64 v[105:106], -v[99:100], v[101:102], 1.0
	v_fma_f64 v[101:102], v[101:102], v[105:106], v[101:102]
	v_fma_f64 v[105:106], -v[99:100], v[101:102], 1.0
	v_fma_f64 v[101:102], v[101:102], v[105:106], v[101:102]
	v_mul_f64 v[105:106], v[107:108], v[101:102]
	v_fma_f64 v[99:100], -v[99:100], v[105:106], v[107:108]
	v_div_fmas_f64 v[99:100], v[99:100], v[101:102], v[105:106]
	v_div_fixup_f64 v[101:102], v[99:100], v[97:98], 1.0
	v_mul_f64 v[103:104], v[103:104], -v[101:102]
.LBB101_340:
	s_or_b64 exec, exec, s[2:3]
	ds_write2_b64 v127, v[101:102], v[103:104] offset1:1
.LBB101_341:
	s_or_b64 exec, exec, s[4:5]
	s_waitcnt lgkmcnt(0)
	s_barrier
	ds_read2_b64 v[69:72], v127 offset1:1
	v_cmp_lt_u32_e32 vcc, 37, v0
	s_waitcnt lgkmcnt(0)
	buffer_store_dword v69, off, s[20:23], 0 offset:1440 ; 4-byte Folded Spill
	s_nop 0
	buffer_store_dword v70, off, s[20:23], 0 offset:1444 ; 4-byte Folded Spill
	buffer_store_dword v71, off, s[20:23], 0 offset:1448 ; 4-byte Folded Spill
	buffer_store_dword v72, off, s[20:23], 0 offset:1452 ; 4-byte Folded Spill
	s_and_saveexec_b64 s[2:3], vcc
	s_cbranch_execz .LBB101_343
; %bb.342:
	buffer_load_dword v69, off, s[20:23], 0 offset:1440 ; 4-byte Folded Reload
	buffer_load_dword v70, off, s[20:23], 0 offset:1444 ; 4-byte Folded Reload
	;; [unrolled: 1-line block ×4, first 2 shown]
	ds_read2_b64 v[99:102], v125 offset0:76 offset1:77
	s_waitcnt vmcnt(2)
	v_mul_f64 v[97:98], v[69:70], v[51:52]
	s_waitcnt vmcnt(0)
	v_mul_f64 v[51:52], v[71:72], v[51:52]
	v_fma_f64 v[97:98], v[71:72], v[49:50], v[97:98]
	v_fma_f64 v[49:50], v[69:70], v[49:50], -v[51:52]
	s_waitcnt lgkmcnt(0)
	v_mul_f64 v[51:52], v[101:102], v[97:98]
	v_fma_f64 v[51:52], v[99:100], v[49:50], -v[51:52]
	v_mul_f64 v[99:100], v[99:100], v[97:98]
	v_add_f64 v[45:46], v[45:46], -v[51:52]
	v_fma_f64 v[99:100], v[101:102], v[49:50], v[99:100]
	v_add_f64 v[47:48], v[47:48], -v[99:100]
	ds_read2_b64 v[99:102], v125 offset0:78 offset1:79
	s_waitcnt lgkmcnt(0)
	v_mul_f64 v[51:52], v[101:102], v[97:98]
	v_fma_f64 v[51:52], v[99:100], v[49:50], -v[51:52]
	v_mul_f64 v[99:100], v[99:100], v[97:98]
	v_add_f64 v[41:42], v[41:42], -v[51:52]
	v_fma_f64 v[99:100], v[101:102], v[49:50], v[99:100]
	v_add_f64 v[43:44], v[43:44], -v[99:100]
	ds_read2_b64 v[99:102], v125 offset0:80 offset1:81
	;; [unrolled: 8-line block ×12, first 2 shown]
	s_waitcnt lgkmcnt(0)
	v_mul_f64 v[51:52], v[101:102], v[97:98]
	v_fma_f64 v[51:52], v[99:100], v[49:50], -v[51:52]
	v_mul_f64 v[99:100], v[99:100], v[97:98]
	v_add_f64 v[73:74], v[73:74], -v[51:52]
	v_fma_f64 v[99:100], v[101:102], v[49:50], v[99:100]
	v_mov_b32_e32 v51, v97
	v_mov_b32_e32 v52, v98
	v_add_f64 v[75:76], v[75:76], -v[99:100]
.LBB101_343:
	s_or_b64 exec, exec, s[2:3]
	v_cmp_eq_u32_e32 vcc, 38, v0
	s_waitcnt vmcnt(0)
	s_barrier
	s_and_saveexec_b64 s[4:5], vcc
	s_cbranch_execz .LBB101_350
; %bb.344:
	ds_write2_b64 v127, v[45:46], v[47:48] offset1:1
	ds_write2_b64 v125, v[41:42], v[43:44] offset0:78 offset1:79
	ds_write2_b64 v125, v[37:38], v[39:40] offset0:80 offset1:81
	;; [unrolled: 1-line block ×12, first 2 shown]
	ds_read2_b64 v[97:100], v127 offset1:1
	s_waitcnt lgkmcnt(0)
	v_cmp_neq_f64_e32 vcc, 0, v[97:98]
	v_cmp_neq_f64_e64 s[2:3], 0, v[99:100]
	s_or_b64 s[2:3], vcc, s[2:3]
	s_and_b64 exec, exec, s[2:3]
	s_cbranch_execz .LBB101_350
; %bb.345:
	v_cmp_ngt_f64_e64 s[2:3], |v[97:98]|, |v[99:100]|
                                        ; implicit-def: $vgpr101_vgpr102
	s_and_saveexec_b64 s[6:7], s[2:3]
	s_xor_b64 s[2:3], exec, s[6:7]
                                        ; implicit-def: $vgpr103_vgpr104
	s_cbranch_execz .LBB101_347
; %bb.346:
	v_div_scale_f64 v[101:102], s[6:7], v[99:100], v[99:100], v[97:98]
	v_rcp_f64_e32 v[103:104], v[101:102]
	v_fma_f64 v[105:106], -v[101:102], v[103:104], 1.0
	v_fma_f64 v[103:104], v[103:104], v[105:106], v[103:104]
	v_div_scale_f64 v[105:106], vcc, v[97:98], v[99:100], v[97:98]
	v_fma_f64 v[107:108], -v[101:102], v[103:104], 1.0
	v_fma_f64 v[103:104], v[103:104], v[107:108], v[103:104]
	v_mul_f64 v[107:108], v[105:106], v[103:104]
	v_fma_f64 v[101:102], -v[101:102], v[107:108], v[105:106]
	v_div_fmas_f64 v[101:102], v[101:102], v[103:104], v[107:108]
	v_div_fixup_f64 v[101:102], v[101:102], v[99:100], v[97:98]
	v_fma_f64 v[97:98], v[97:98], v[101:102], v[99:100]
	v_div_scale_f64 v[99:100], s[6:7], v[97:98], v[97:98], 1.0
	v_div_scale_f64 v[107:108], vcc, 1.0, v[97:98], 1.0
	v_rcp_f64_e32 v[103:104], v[99:100]
	v_fma_f64 v[105:106], -v[99:100], v[103:104], 1.0
	v_fma_f64 v[103:104], v[103:104], v[105:106], v[103:104]
	v_fma_f64 v[105:106], -v[99:100], v[103:104], 1.0
	v_fma_f64 v[103:104], v[103:104], v[105:106], v[103:104]
	v_mul_f64 v[105:106], v[107:108], v[103:104]
	v_fma_f64 v[99:100], -v[99:100], v[105:106], v[107:108]
	v_div_fmas_f64 v[99:100], v[99:100], v[103:104], v[105:106]
	v_div_fixup_f64 v[103:104], v[99:100], v[97:98], 1.0
                                        ; implicit-def: $vgpr97_vgpr98
	v_mul_f64 v[101:102], v[101:102], v[103:104]
	v_xor_b32_e32 v104, 0x80000000, v104
.LBB101_347:
	s_andn2_saveexec_b64 s[2:3], s[2:3]
	s_cbranch_execz .LBB101_349
; %bb.348:
	v_div_scale_f64 v[101:102], s[6:7], v[97:98], v[97:98], v[99:100]
	v_rcp_f64_e32 v[103:104], v[101:102]
	v_fma_f64 v[105:106], -v[101:102], v[103:104], 1.0
	v_fma_f64 v[103:104], v[103:104], v[105:106], v[103:104]
	v_div_scale_f64 v[105:106], vcc, v[99:100], v[97:98], v[99:100]
	v_fma_f64 v[107:108], -v[101:102], v[103:104], 1.0
	v_fma_f64 v[103:104], v[103:104], v[107:108], v[103:104]
	v_mul_f64 v[107:108], v[105:106], v[103:104]
	v_fma_f64 v[101:102], -v[101:102], v[107:108], v[105:106]
	v_div_fmas_f64 v[101:102], v[101:102], v[103:104], v[107:108]
	v_div_fixup_f64 v[103:104], v[101:102], v[97:98], v[99:100]
	v_fma_f64 v[97:98], v[99:100], v[103:104], v[97:98]
	v_div_scale_f64 v[99:100], s[6:7], v[97:98], v[97:98], 1.0
	v_div_scale_f64 v[107:108], vcc, 1.0, v[97:98], 1.0
	v_rcp_f64_e32 v[101:102], v[99:100]
	v_fma_f64 v[105:106], -v[99:100], v[101:102], 1.0
	v_fma_f64 v[101:102], v[101:102], v[105:106], v[101:102]
	v_fma_f64 v[105:106], -v[99:100], v[101:102], 1.0
	v_fma_f64 v[101:102], v[101:102], v[105:106], v[101:102]
	v_mul_f64 v[105:106], v[107:108], v[101:102]
	v_fma_f64 v[99:100], -v[99:100], v[105:106], v[107:108]
	v_div_fmas_f64 v[99:100], v[99:100], v[101:102], v[105:106]
	v_div_fixup_f64 v[101:102], v[99:100], v[97:98], 1.0
	v_mul_f64 v[103:104], v[103:104], -v[101:102]
.LBB101_349:
	s_or_b64 exec, exec, s[2:3]
	ds_write2_b64 v127, v[101:102], v[103:104] offset1:1
.LBB101_350:
	s_or_b64 exec, exec, s[4:5]
	s_waitcnt lgkmcnt(0)
	s_barrier
	ds_read2_b64 v[69:72], v127 offset1:1
	v_cmp_lt_u32_e32 vcc, 38, v0
	s_waitcnt lgkmcnt(0)
	buffer_store_dword v69, off, s[20:23], 0 offset:1456 ; 4-byte Folded Spill
	s_nop 0
	buffer_store_dword v70, off, s[20:23], 0 offset:1460 ; 4-byte Folded Spill
	buffer_store_dword v71, off, s[20:23], 0 offset:1464 ; 4-byte Folded Spill
	;; [unrolled: 1-line block ×3, first 2 shown]
	s_and_saveexec_b64 s[2:3], vcc
	s_cbranch_execz .LBB101_352
; %bb.351:
	buffer_load_dword v69, off, s[20:23], 0 offset:1456 ; 4-byte Folded Reload
	buffer_load_dword v70, off, s[20:23], 0 offset:1460 ; 4-byte Folded Reload
	;; [unrolled: 1-line block ×4, first 2 shown]
	ds_read2_b64 v[99:102], v125 offset0:78 offset1:79
	s_waitcnt vmcnt(2)
	v_mul_f64 v[97:98], v[69:70], v[47:48]
	s_waitcnt vmcnt(0)
	v_mul_f64 v[47:48], v[71:72], v[47:48]
	v_fma_f64 v[97:98], v[71:72], v[45:46], v[97:98]
	v_fma_f64 v[45:46], v[69:70], v[45:46], -v[47:48]
	s_waitcnt lgkmcnt(0)
	v_mul_f64 v[47:48], v[101:102], v[97:98]
	v_fma_f64 v[47:48], v[99:100], v[45:46], -v[47:48]
	v_mul_f64 v[99:100], v[99:100], v[97:98]
	v_add_f64 v[41:42], v[41:42], -v[47:48]
	v_fma_f64 v[99:100], v[101:102], v[45:46], v[99:100]
	v_add_f64 v[43:44], v[43:44], -v[99:100]
	ds_read2_b64 v[99:102], v125 offset0:80 offset1:81
	s_waitcnt lgkmcnt(0)
	v_mul_f64 v[47:48], v[101:102], v[97:98]
	v_fma_f64 v[47:48], v[99:100], v[45:46], -v[47:48]
	v_mul_f64 v[99:100], v[99:100], v[97:98]
	v_add_f64 v[37:38], v[37:38], -v[47:48]
	v_fma_f64 v[99:100], v[101:102], v[45:46], v[99:100]
	v_add_f64 v[39:40], v[39:40], -v[99:100]
	ds_read2_b64 v[99:102], v125 offset0:82 offset1:83
	;; [unrolled: 8-line block ×11, first 2 shown]
	s_waitcnt lgkmcnt(0)
	v_mul_f64 v[47:48], v[101:102], v[97:98]
	v_fma_f64 v[47:48], v[99:100], v[45:46], -v[47:48]
	v_mul_f64 v[99:100], v[99:100], v[97:98]
	v_add_f64 v[73:74], v[73:74], -v[47:48]
	v_fma_f64 v[99:100], v[101:102], v[45:46], v[99:100]
	v_mov_b32_e32 v47, v97
	v_mov_b32_e32 v48, v98
	v_add_f64 v[75:76], v[75:76], -v[99:100]
.LBB101_352:
	s_or_b64 exec, exec, s[2:3]
	v_cmp_eq_u32_e32 vcc, 39, v0
	s_waitcnt vmcnt(0)
	s_barrier
	s_and_saveexec_b64 s[4:5], vcc
	s_cbranch_execz .LBB101_359
; %bb.353:
	ds_write2_b64 v127, v[41:42], v[43:44] offset1:1
	ds_write2_b64 v125, v[37:38], v[39:40] offset0:80 offset1:81
	ds_write2_b64 v125, v[33:34], v[35:36] offset0:82 offset1:83
	;; [unrolled: 1-line block ×11, first 2 shown]
	ds_read2_b64 v[97:100], v127 offset1:1
	s_waitcnt lgkmcnt(0)
	v_cmp_neq_f64_e32 vcc, 0, v[97:98]
	v_cmp_neq_f64_e64 s[2:3], 0, v[99:100]
	s_or_b64 s[2:3], vcc, s[2:3]
	s_and_b64 exec, exec, s[2:3]
	s_cbranch_execz .LBB101_359
; %bb.354:
	v_cmp_ngt_f64_e64 s[2:3], |v[97:98]|, |v[99:100]|
                                        ; implicit-def: $vgpr101_vgpr102
	s_and_saveexec_b64 s[6:7], s[2:3]
	s_xor_b64 s[2:3], exec, s[6:7]
                                        ; implicit-def: $vgpr103_vgpr104
	s_cbranch_execz .LBB101_356
; %bb.355:
	v_div_scale_f64 v[101:102], s[6:7], v[99:100], v[99:100], v[97:98]
	v_rcp_f64_e32 v[103:104], v[101:102]
	v_fma_f64 v[105:106], -v[101:102], v[103:104], 1.0
	v_fma_f64 v[103:104], v[103:104], v[105:106], v[103:104]
	v_div_scale_f64 v[105:106], vcc, v[97:98], v[99:100], v[97:98]
	v_fma_f64 v[107:108], -v[101:102], v[103:104], 1.0
	v_fma_f64 v[103:104], v[103:104], v[107:108], v[103:104]
	v_mul_f64 v[107:108], v[105:106], v[103:104]
	v_fma_f64 v[101:102], -v[101:102], v[107:108], v[105:106]
	v_div_fmas_f64 v[101:102], v[101:102], v[103:104], v[107:108]
	v_div_fixup_f64 v[101:102], v[101:102], v[99:100], v[97:98]
	v_fma_f64 v[97:98], v[97:98], v[101:102], v[99:100]
	v_div_scale_f64 v[99:100], s[6:7], v[97:98], v[97:98], 1.0
	v_div_scale_f64 v[107:108], vcc, 1.0, v[97:98], 1.0
	v_rcp_f64_e32 v[103:104], v[99:100]
	v_fma_f64 v[105:106], -v[99:100], v[103:104], 1.0
	v_fma_f64 v[103:104], v[103:104], v[105:106], v[103:104]
	v_fma_f64 v[105:106], -v[99:100], v[103:104], 1.0
	v_fma_f64 v[103:104], v[103:104], v[105:106], v[103:104]
	v_mul_f64 v[105:106], v[107:108], v[103:104]
	v_fma_f64 v[99:100], -v[99:100], v[105:106], v[107:108]
	v_div_fmas_f64 v[99:100], v[99:100], v[103:104], v[105:106]
	v_div_fixup_f64 v[103:104], v[99:100], v[97:98], 1.0
                                        ; implicit-def: $vgpr97_vgpr98
	v_mul_f64 v[101:102], v[101:102], v[103:104]
	v_xor_b32_e32 v104, 0x80000000, v104
.LBB101_356:
	s_andn2_saveexec_b64 s[2:3], s[2:3]
	s_cbranch_execz .LBB101_358
; %bb.357:
	v_div_scale_f64 v[101:102], s[6:7], v[97:98], v[97:98], v[99:100]
	v_rcp_f64_e32 v[103:104], v[101:102]
	v_fma_f64 v[105:106], -v[101:102], v[103:104], 1.0
	v_fma_f64 v[103:104], v[103:104], v[105:106], v[103:104]
	v_div_scale_f64 v[105:106], vcc, v[99:100], v[97:98], v[99:100]
	v_fma_f64 v[107:108], -v[101:102], v[103:104], 1.0
	v_fma_f64 v[103:104], v[103:104], v[107:108], v[103:104]
	v_mul_f64 v[107:108], v[105:106], v[103:104]
	v_fma_f64 v[101:102], -v[101:102], v[107:108], v[105:106]
	v_div_fmas_f64 v[101:102], v[101:102], v[103:104], v[107:108]
	v_div_fixup_f64 v[103:104], v[101:102], v[97:98], v[99:100]
	v_fma_f64 v[97:98], v[99:100], v[103:104], v[97:98]
	v_div_scale_f64 v[99:100], s[6:7], v[97:98], v[97:98], 1.0
	v_div_scale_f64 v[107:108], vcc, 1.0, v[97:98], 1.0
	v_rcp_f64_e32 v[101:102], v[99:100]
	v_fma_f64 v[105:106], -v[99:100], v[101:102], 1.0
	v_fma_f64 v[101:102], v[101:102], v[105:106], v[101:102]
	v_fma_f64 v[105:106], -v[99:100], v[101:102], 1.0
	v_fma_f64 v[101:102], v[101:102], v[105:106], v[101:102]
	v_mul_f64 v[105:106], v[107:108], v[101:102]
	v_fma_f64 v[99:100], -v[99:100], v[105:106], v[107:108]
	v_div_fmas_f64 v[99:100], v[99:100], v[101:102], v[105:106]
	v_div_fixup_f64 v[101:102], v[99:100], v[97:98], 1.0
	v_mul_f64 v[103:104], v[103:104], -v[101:102]
.LBB101_358:
	s_or_b64 exec, exec, s[2:3]
	ds_write2_b64 v127, v[101:102], v[103:104] offset1:1
.LBB101_359:
	s_or_b64 exec, exec, s[4:5]
	s_waitcnt lgkmcnt(0)
	s_barrier
	ds_read2_b64 v[69:72], v127 offset1:1
	v_cmp_lt_u32_e32 vcc, 39, v0
	s_waitcnt lgkmcnt(0)
	buffer_store_dword v69, off, s[20:23], 0 offset:1472 ; 4-byte Folded Spill
	s_nop 0
	buffer_store_dword v70, off, s[20:23], 0 offset:1476 ; 4-byte Folded Spill
	buffer_store_dword v71, off, s[20:23], 0 offset:1480 ; 4-byte Folded Spill
	;; [unrolled: 1-line block ×3, first 2 shown]
	s_and_saveexec_b64 s[2:3], vcc
	s_cbranch_execz .LBB101_361
; %bb.360:
	buffer_load_dword v69, off, s[20:23], 0 offset:1472 ; 4-byte Folded Reload
	buffer_load_dword v70, off, s[20:23], 0 offset:1476 ; 4-byte Folded Reload
	;; [unrolled: 1-line block ×4, first 2 shown]
	ds_read2_b64 v[99:102], v125 offset0:80 offset1:81
	s_waitcnt vmcnt(2)
	v_mul_f64 v[97:98], v[69:70], v[43:44]
	s_waitcnt vmcnt(0)
	v_mul_f64 v[43:44], v[71:72], v[43:44]
	v_fma_f64 v[97:98], v[71:72], v[41:42], v[97:98]
	v_fma_f64 v[41:42], v[69:70], v[41:42], -v[43:44]
	s_waitcnt lgkmcnt(0)
	v_mul_f64 v[43:44], v[101:102], v[97:98]
	v_fma_f64 v[43:44], v[99:100], v[41:42], -v[43:44]
	v_mul_f64 v[99:100], v[99:100], v[97:98]
	v_add_f64 v[37:38], v[37:38], -v[43:44]
	v_fma_f64 v[99:100], v[101:102], v[41:42], v[99:100]
	v_add_f64 v[39:40], v[39:40], -v[99:100]
	ds_read2_b64 v[99:102], v125 offset0:82 offset1:83
	s_waitcnt lgkmcnt(0)
	v_mul_f64 v[43:44], v[101:102], v[97:98]
	v_fma_f64 v[43:44], v[99:100], v[41:42], -v[43:44]
	v_mul_f64 v[99:100], v[99:100], v[97:98]
	v_add_f64 v[33:34], v[33:34], -v[43:44]
	v_fma_f64 v[99:100], v[101:102], v[41:42], v[99:100]
	v_add_f64 v[35:36], v[35:36], -v[99:100]
	ds_read2_b64 v[99:102], v125 offset0:84 offset1:85
	;; [unrolled: 8-line block ×10, first 2 shown]
	s_waitcnt lgkmcnt(0)
	v_mul_f64 v[43:44], v[101:102], v[97:98]
	v_fma_f64 v[43:44], v[99:100], v[41:42], -v[43:44]
	v_mul_f64 v[99:100], v[99:100], v[97:98]
	v_add_f64 v[73:74], v[73:74], -v[43:44]
	v_fma_f64 v[99:100], v[101:102], v[41:42], v[99:100]
	v_mov_b32_e32 v43, v97
	v_mov_b32_e32 v44, v98
	v_add_f64 v[75:76], v[75:76], -v[99:100]
.LBB101_361:
	s_or_b64 exec, exec, s[2:3]
	v_cmp_eq_u32_e32 vcc, 40, v0
	s_waitcnt vmcnt(0)
	s_barrier
	s_and_saveexec_b64 s[4:5], vcc
	s_cbranch_execz .LBB101_368
; %bb.362:
	ds_write2_b64 v127, v[37:38], v[39:40] offset1:1
	ds_write2_b64 v125, v[33:34], v[35:36] offset0:82 offset1:83
	ds_write2_b64 v125, v[29:30], v[31:32] offset0:84 offset1:85
	;; [unrolled: 1-line block ×10, first 2 shown]
	ds_read2_b64 v[97:100], v127 offset1:1
	s_waitcnt lgkmcnt(0)
	v_cmp_neq_f64_e32 vcc, 0, v[97:98]
	v_cmp_neq_f64_e64 s[2:3], 0, v[99:100]
	s_or_b64 s[2:3], vcc, s[2:3]
	s_and_b64 exec, exec, s[2:3]
	s_cbranch_execz .LBB101_368
; %bb.363:
	v_cmp_ngt_f64_e64 s[2:3], |v[97:98]|, |v[99:100]|
                                        ; implicit-def: $vgpr101_vgpr102
	s_and_saveexec_b64 s[6:7], s[2:3]
	s_xor_b64 s[2:3], exec, s[6:7]
                                        ; implicit-def: $vgpr103_vgpr104
	s_cbranch_execz .LBB101_365
; %bb.364:
	v_div_scale_f64 v[101:102], s[6:7], v[99:100], v[99:100], v[97:98]
	v_rcp_f64_e32 v[103:104], v[101:102]
	v_fma_f64 v[105:106], -v[101:102], v[103:104], 1.0
	v_fma_f64 v[103:104], v[103:104], v[105:106], v[103:104]
	v_div_scale_f64 v[105:106], vcc, v[97:98], v[99:100], v[97:98]
	v_fma_f64 v[107:108], -v[101:102], v[103:104], 1.0
	v_fma_f64 v[103:104], v[103:104], v[107:108], v[103:104]
	v_mul_f64 v[107:108], v[105:106], v[103:104]
	v_fma_f64 v[101:102], -v[101:102], v[107:108], v[105:106]
	v_div_fmas_f64 v[101:102], v[101:102], v[103:104], v[107:108]
	v_div_fixup_f64 v[101:102], v[101:102], v[99:100], v[97:98]
	v_fma_f64 v[97:98], v[97:98], v[101:102], v[99:100]
	v_div_scale_f64 v[99:100], s[6:7], v[97:98], v[97:98], 1.0
	v_div_scale_f64 v[107:108], vcc, 1.0, v[97:98], 1.0
	v_rcp_f64_e32 v[103:104], v[99:100]
	v_fma_f64 v[105:106], -v[99:100], v[103:104], 1.0
	v_fma_f64 v[103:104], v[103:104], v[105:106], v[103:104]
	v_fma_f64 v[105:106], -v[99:100], v[103:104], 1.0
	v_fma_f64 v[103:104], v[103:104], v[105:106], v[103:104]
	v_mul_f64 v[105:106], v[107:108], v[103:104]
	v_fma_f64 v[99:100], -v[99:100], v[105:106], v[107:108]
	v_div_fmas_f64 v[99:100], v[99:100], v[103:104], v[105:106]
	v_div_fixup_f64 v[103:104], v[99:100], v[97:98], 1.0
                                        ; implicit-def: $vgpr97_vgpr98
	v_mul_f64 v[101:102], v[101:102], v[103:104]
	v_xor_b32_e32 v104, 0x80000000, v104
.LBB101_365:
	s_andn2_saveexec_b64 s[2:3], s[2:3]
	s_cbranch_execz .LBB101_367
; %bb.366:
	v_div_scale_f64 v[101:102], s[6:7], v[97:98], v[97:98], v[99:100]
	v_rcp_f64_e32 v[103:104], v[101:102]
	v_fma_f64 v[105:106], -v[101:102], v[103:104], 1.0
	v_fma_f64 v[103:104], v[103:104], v[105:106], v[103:104]
	v_div_scale_f64 v[105:106], vcc, v[99:100], v[97:98], v[99:100]
	v_fma_f64 v[107:108], -v[101:102], v[103:104], 1.0
	v_fma_f64 v[103:104], v[103:104], v[107:108], v[103:104]
	v_mul_f64 v[107:108], v[105:106], v[103:104]
	v_fma_f64 v[101:102], -v[101:102], v[107:108], v[105:106]
	v_div_fmas_f64 v[101:102], v[101:102], v[103:104], v[107:108]
	v_div_fixup_f64 v[103:104], v[101:102], v[97:98], v[99:100]
	v_fma_f64 v[97:98], v[99:100], v[103:104], v[97:98]
	v_div_scale_f64 v[99:100], s[6:7], v[97:98], v[97:98], 1.0
	v_div_scale_f64 v[107:108], vcc, 1.0, v[97:98], 1.0
	v_rcp_f64_e32 v[101:102], v[99:100]
	v_fma_f64 v[105:106], -v[99:100], v[101:102], 1.0
	v_fma_f64 v[101:102], v[101:102], v[105:106], v[101:102]
	v_fma_f64 v[105:106], -v[99:100], v[101:102], 1.0
	v_fma_f64 v[101:102], v[101:102], v[105:106], v[101:102]
	v_mul_f64 v[105:106], v[107:108], v[101:102]
	v_fma_f64 v[99:100], -v[99:100], v[105:106], v[107:108]
	v_div_fmas_f64 v[99:100], v[99:100], v[101:102], v[105:106]
	v_div_fixup_f64 v[101:102], v[99:100], v[97:98], 1.0
	v_mul_f64 v[103:104], v[103:104], -v[101:102]
.LBB101_367:
	s_or_b64 exec, exec, s[2:3]
	ds_write2_b64 v127, v[101:102], v[103:104] offset1:1
.LBB101_368:
	s_or_b64 exec, exec, s[4:5]
	s_waitcnt lgkmcnt(0)
	s_barrier
	ds_read2_b64 v[69:72], v127 offset1:1
	v_cmp_lt_u32_e32 vcc, 40, v0
	s_waitcnt lgkmcnt(0)
	buffer_store_dword v69, off, s[20:23], 0 offset:1488 ; 4-byte Folded Spill
	s_nop 0
	buffer_store_dword v70, off, s[20:23], 0 offset:1492 ; 4-byte Folded Spill
	buffer_store_dword v71, off, s[20:23], 0 offset:1496 ; 4-byte Folded Spill
	;; [unrolled: 1-line block ×3, first 2 shown]
	s_and_saveexec_b64 s[2:3], vcc
	s_cbranch_execz .LBB101_370
; %bb.369:
	buffer_load_dword v69, off, s[20:23], 0 offset:1488 ; 4-byte Folded Reload
	buffer_load_dword v70, off, s[20:23], 0 offset:1492 ; 4-byte Folded Reload
	;; [unrolled: 1-line block ×4, first 2 shown]
	ds_read2_b64 v[99:102], v125 offset0:82 offset1:83
	s_waitcnt vmcnt(2)
	v_mul_f64 v[97:98], v[69:70], v[39:40]
	s_waitcnt vmcnt(0)
	v_mul_f64 v[39:40], v[71:72], v[39:40]
	v_fma_f64 v[97:98], v[71:72], v[37:38], v[97:98]
	v_fma_f64 v[37:38], v[69:70], v[37:38], -v[39:40]
	s_waitcnt lgkmcnt(0)
	v_mul_f64 v[39:40], v[101:102], v[97:98]
	v_fma_f64 v[39:40], v[99:100], v[37:38], -v[39:40]
	v_mul_f64 v[99:100], v[99:100], v[97:98]
	v_add_f64 v[33:34], v[33:34], -v[39:40]
	v_fma_f64 v[99:100], v[101:102], v[37:38], v[99:100]
	v_add_f64 v[35:36], v[35:36], -v[99:100]
	ds_read2_b64 v[99:102], v125 offset0:84 offset1:85
	s_waitcnt lgkmcnt(0)
	v_mul_f64 v[39:40], v[101:102], v[97:98]
	v_fma_f64 v[39:40], v[99:100], v[37:38], -v[39:40]
	v_mul_f64 v[99:100], v[99:100], v[97:98]
	v_add_f64 v[29:30], v[29:30], -v[39:40]
	v_fma_f64 v[99:100], v[101:102], v[37:38], v[99:100]
	v_add_f64 v[31:32], v[31:32], -v[99:100]
	ds_read2_b64 v[99:102], v125 offset0:86 offset1:87
	;; [unrolled: 8-line block ×9, first 2 shown]
	s_waitcnt lgkmcnt(0)
	v_mul_f64 v[39:40], v[101:102], v[97:98]
	v_fma_f64 v[39:40], v[99:100], v[37:38], -v[39:40]
	v_mul_f64 v[99:100], v[99:100], v[97:98]
	v_add_f64 v[73:74], v[73:74], -v[39:40]
	v_fma_f64 v[99:100], v[101:102], v[37:38], v[99:100]
	v_mov_b32_e32 v39, v97
	v_mov_b32_e32 v40, v98
	v_add_f64 v[75:76], v[75:76], -v[99:100]
.LBB101_370:
	s_or_b64 exec, exec, s[2:3]
	v_cmp_eq_u32_e32 vcc, 41, v0
	s_waitcnt vmcnt(0)
	s_barrier
	s_and_saveexec_b64 s[4:5], vcc
	s_cbranch_execz .LBB101_377
; %bb.371:
	ds_write2_b64 v127, v[33:34], v[35:36] offset1:1
	ds_write2_b64 v125, v[29:30], v[31:32] offset0:84 offset1:85
	ds_write2_b64 v125, v[25:26], v[27:28] offset0:86 offset1:87
	;; [unrolled: 1-line block ×9, first 2 shown]
	ds_read2_b64 v[97:100], v127 offset1:1
	s_waitcnt lgkmcnt(0)
	v_cmp_neq_f64_e32 vcc, 0, v[97:98]
	v_cmp_neq_f64_e64 s[2:3], 0, v[99:100]
	s_or_b64 s[2:3], vcc, s[2:3]
	s_and_b64 exec, exec, s[2:3]
	s_cbranch_execz .LBB101_377
; %bb.372:
	v_cmp_ngt_f64_e64 s[2:3], |v[97:98]|, |v[99:100]|
                                        ; implicit-def: $vgpr101_vgpr102
	s_and_saveexec_b64 s[6:7], s[2:3]
	s_xor_b64 s[2:3], exec, s[6:7]
                                        ; implicit-def: $vgpr103_vgpr104
	s_cbranch_execz .LBB101_374
; %bb.373:
	v_div_scale_f64 v[101:102], s[6:7], v[99:100], v[99:100], v[97:98]
	v_rcp_f64_e32 v[103:104], v[101:102]
	v_fma_f64 v[105:106], -v[101:102], v[103:104], 1.0
	v_fma_f64 v[103:104], v[103:104], v[105:106], v[103:104]
	v_div_scale_f64 v[105:106], vcc, v[97:98], v[99:100], v[97:98]
	v_fma_f64 v[107:108], -v[101:102], v[103:104], 1.0
	v_fma_f64 v[103:104], v[103:104], v[107:108], v[103:104]
	v_mul_f64 v[107:108], v[105:106], v[103:104]
	v_fma_f64 v[101:102], -v[101:102], v[107:108], v[105:106]
	v_div_fmas_f64 v[101:102], v[101:102], v[103:104], v[107:108]
	v_div_fixup_f64 v[101:102], v[101:102], v[99:100], v[97:98]
	v_fma_f64 v[97:98], v[97:98], v[101:102], v[99:100]
	v_div_scale_f64 v[99:100], s[6:7], v[97:98], v[97:98], 1.0
	v_div_scale_f64 v[107:108], vcc, 1.0, v[97:98], 1.0
	v_rcp_f64_e32 v[103:104], v[99:100]
	v_fma_f64 v[105:106], -v[99:100], v[103:104], 1.0
	v_fma_f64 v[103:104], v[103:104], v[105:106], v[103:104]
	v_fma_f64 v[105:106], -v[99:100], v[103:104], 1.0
	v_fma_f64 v[103:104], v[103:104], v[105:106], v[103:104]
	v_mul_f64 v[105:106], v[107:108], v[103:104]
	v_fma_f64 v[99:100], -v[99:100], v[105:106], v[107:108]
	v_div_fmas_f64 v[99:100], v[99:100], v[103:104], v[105:106]
	v_div_fixup_f64 v[103:104], v[99:100], v[97:98], 1.0
                                        ; implicit-def: $vgpr97_vgpr98
	v_mul_f64 v[101:102], v[101:102], v[103:104]
	v_xor_b32_e32 v104, 0x80000000, v104
.LBB101_374:
	s_andn2_saveexec_b64 s[2:3], s[2:3]
	s_cbranch_execz .LBB101_376
; %bb.375:
	v_div_scale_f64 v[101:102], s[6:7], v[97:98], v[97:98], v[99:100]
	v_rcp_f64_e32 v[103:104], v[101:102]
	v_fma_f64 v[105:106], -v[101:102], v[103:104], 1.0
	v_fma_f64 v[103:104], v[103:104], v[105:106], v[103:104]
	v_div_scale_f64 v[105:106], vcc, v[99:100], v[97:98], v[99:100]
	v_fma_f64 v[107:108], -v[101:102], v[103:104], 1.0
	v_fma_f64 v[103:104], v[103:104], v[107:108], v[103:104]
	v_mul_f64 v[107:108], v[105:106], v[103:104]
	v_fma_f64 v[101:102], -v[101:102], v[107:108], v[105:106]
	v_div_fmas_f64 v[101:102], v[101:102], v[103:104], v[107:108]
	v_div_fixup_f64 v[103:104], v[101:102], v[97:98], v[99:100]
	v_fma_f64 v[97:98], v[99:100], v[103:104], v[97:98]
	v_div_scale_f64 v[99:100], s[6:7], v[97:98], v[97:98], 1.0
	v_div_scale_f64 v[107:108], vcc, 1.0, v[97:98], 1.0
	v_rcp_f64_e32 v[101:102], v[99:100]
	v_fma_f64 v[105:106], -v[99:100], v[101:102], 1.0
	v_fma_f64 v[101:102], v[101:102], v[105:106], v[101:102]
	v_fma_f64 v[105:106], -v[99:100], v[101:102], 1.0
	v_fma_f64 v[101:102], v[101:102], v[105:106], v[101:102]
	v_mul_f64 v[105:106], v[107:108], v[101:102]
	v_fma_f64 v[99:100], -v[99:100], v[105:106], v[107:108]
	v_div_fmas_f64 v[99:100], v[99:100], v[101:102], v[105:106]
	v_div_fixup_f64 v[101:102], v[99:100], v[97:98], 1.0
	v_mul_f64 v[103:104], v[103:104], -v[101:102]
.LBB101_376:
	s_or_b64 exec, exec, s[2:3]
	ds_write2_b64 v127, v[101:102], v[103:104] offset1:1
.LBB101_377:
	s_or_b64 exec, exec, s[4:5]
	s_waitcnt lgkmcnt(0)
	s_barrier
	ds_read2_b64 v[69:72], v127 offset1:1
	v_cmp_lt_u32_e32 vcc, 41, v0
	s_waitcnt lgkmcnt(0)
	buffer_store_dword v69, off, s[20:23], 0 offset:1504 ; 4-byte Folded Spill
	s_nop 0
	buffer_store_dword v70, off, s[20:23], 0 offset:1508 ; 4-byte Folded Spill
	buffer_store_dword v71, off, s[20:23], 0 offset:1512 ; 4-byte Folded Spill
	;; [unrolled: 1-line block ×3, first 2 shown]
	s_and_saveexec_b64 s[2:3], vcc
	s_cbranch_execz .LBB101_379
; %bb.378:
	buffer_load_dword v69, off, s[20:23], 0 offset:1504 ; 4-byte Folded Reload
	buffer_load_dword v70, off, s[20:23], 0 offset:1508 ; 4-byte Folded Reload
	buffer_load_dword v71, off, s[20:23], 0 offset:1512 ; 4-byte Folded Reload
	buffer_load_dword v72, off, s[20:23], 0 offset:1516 ; 4-byte Folded Reload
	ds_read2_b64 v[99:102], v125 offset0:84 offset1:85
	s_waitcnt vmcnt(2)
	v_mul_f64 v[97:98], v[69:70], v[35:36]
	s_waitcnt vmcnt(0)
	v_mul_f64 v[35:36], v[71:72], v[35:36]
	v_fma_f64 v[97:98], v[71:72], v[33:34], v[97:98]
	v_fma_f64 v[33:34], v[69:70], v[33:34], -v[35:36]
	s_waitcnt lgkmcnt(0)
	v_mul_f64 v[35:36], v[101:102], v[97:98]
	v_fma_f64 v[35:36], v[99:100], v[33:34], -v[35:36]
	v_mul_f64 v[99:100], v[99:100], v[97:98]
	v_add_f64 v[29:30], v[29:30], -v[35:36]
	v_fma_f64 v[99:100], v[101:102], v[33:34], v[99:100]
	v_add_f64 v[31:32], v[31:32], -v[99:100]
	ds_read2_b64 v[99:102], v125 offset0:86 offset1:87
	s_waitcnt lgkmcnt(0)
	v_mul_f64 v[35:36], v[101:102], v[97:98]
	v_fma_f64 v[35:36], v[99:100], v[33:34], -v[35:36]
	v_mul_f64 v[99:100], v[99:100], v[97:98]
	v_add_f64 v[25:26], v[25:26], -v[35:36]
	v_fma_f64 v[99:100], v[101:102], v[33:34], v[99:100]
	v_add_f64 v[27:28], v[27:28], -v[99:100]
	ds_read2_b64 v[99:102], v125 offset0:88 offset1:89
	;; [unrolled: 8-line block ×8, first 2 shown]
	s_waitcnt lgkmcnt(0)
	v_mul_f64 v[35:36], v[101:102], v[97:98]
	v_fma_f64 v[35:36], v[99:100], v[33:34], -v[35:36]
	v_mul_f64 v[99:100], v[99:100], v[97:98]
	v_add_f64 v[73:74], v[73:74], -v[35:36]
	v_fma_f64 v[99:100], v[101:102], v[33:34], v[99:100]
	v_mov_b32_e32 v35, v97
	v_mov_b32_e32 v36, v98
	v_add_f64 v[75:76], v[75:76], -v[99:100]
.LBB101_379:
	s_or_b64 exec, exec, s[2:3]
	v_cmp_eq_u32_e32 vcc, 42, v0
	s_waitcnt vmcnt(0)
	s_barrier
	s_and_saveexec_b64 s[4:5], vcc
	s_cbranch_execz .LBB101_386
; %bb.380:
	ds_write2_b64 v127, v[29:30], v[31:32] offset1:1
	ds_write2_b64 v125, v[25:26], v[27:28] offset0:86 offset1:87
	ds_write2_b64 v125, v[21:22], v[23:24] offset0:88 offset1:89
	;; [unrolled: 1-line block ×8, first 2 shown]
	ds_read2_b64 v[97:100], v127 offset1:1
	s_waitcnt lgkmcnt(0)
	v_cmp_neq_f64_e32 vcc, 0, v[97:98]
	v_cmp_neq_f64_e64 s[2:3], 0, v[99:100]
	s_or_b64 s[2:3], vcc, s[2:3]
	s_and_b64 exec, exec, s[2:3]
	s_cbranch_execz .LBB101_386
; %bb.381:
	v_cmp_ngt_f64_e64 s[2:3], |v[97:98]|, |v[99:100]|
                                        ; implicit-def: $vgpr101_vgpr102
	s_and_saveexec_b64 s[6:7], s[2:3]
	s_xor_b64 s[2:3], exec, s[6:7]
                                        ; implicit-def: $vgpr103_vgpr104
	s_cbranch_execz .LBB101_383
; %bb.382:
	v_div_scale_f64 v[101:102], s[6:7], v[99:100], v[99:100], v[97:98]
	v_rcp_f64_e32 v[103:104], v[101:102]
	v_fma_f64 v[105:106], -v[101:102], v[103:104], 1.0
	v_fma_f64 v[103:104], v[103:104], v[105:106], v[103:104]
	v_div_scale_f64 v[105:106], vcc, v[97:98], v[99:100], v[97:98]
	v_fma_f64 v[107:108], -v[101:102], v[103:104], 1.0
	v_fma_f64 v[103:104], v[103:104], v[107:108], v[103:104]
	v_mul_f64 v[107:108], v[105:106], v[103:104]
	v_fma_f64 v[101:102], -v[101:102], v[107:108], v[105:106]
	v_div_fmas_f64 v[101:102], v[101:102], v[103:104], v[107:108]
	v_div_fixup_f64 v[101:102], v[101:102], v[99:100], v[97:98]
	v_fma_f64 v[97:98], v[97:98], v[101:102], v[99:100]
	v_div_scale_f64 v[99:100], s[6:7], v[97:98], v[97:98], 1.0
	v_div_scale_f64 v[107:108], vcc, 1.0, v[97:98], 1.0
	v_rcp_f64_e32 v[103:104], v[99:100]
	v_fma_f64 v[105:106], -v[99:100], v[103:104], 1.0
	v_fma_f64 v[103:104], v[103:104], v[105:106], v[103:104]
	v_fma_f64 v[105:106], -v[99:100], v[103:104], 1.0
	v_fma_f64 v[103:104], v[103:104], v[105:106], v[103:104]
	v_mul_f64 v[105:106], v[107:108], v[103:104]
	v_fma_f64 v[99:100], -v[99:100], v[105:106], v[107:108]
	v_div_fmas_f64 v[99:100], v[99:100], v[103:104], v[105:106]
	v_div_fixup_f64 v[103:104], v[99:100], v[97:98], 1.0
                                        ; implicit-def: $vgpr97_vgpr98
	v_mul_f64 v[101:102], v[101:102], v[103:104]
	v_xor_b32_e32 v104, 0x80000000, v104
.LBB101_383:
	s_andn2_saveexec_b64 s[2:3], s[2:3]
	s_cbranch_execz .LBB101_385
; %bb.384:
	v_div_scale_f64 v[101:102], s[6:7], v[97:98], v[97:98], v[99:100]
	v_rcp_f64_e32 v[103:104], v[101:102]
	v_fma_f64 v[105:106], -v[101:102], v[103:104], 1.0
	v_fma_f64 v[103:104], v[103:104], v[105:106], v[103:104]
	v_div_scale_f64 v[105:106], vcc, v[99:100], v[97:98], v[99:100]
	v_fma_f64 v[107:108], -v[101:102], v[103:104], 1.0
	v_fma_f64 v[103:104], v[103:104], v[107:108], v[103:104]
	v_mul_f64 v[107:108], v[105:106], v[103:104]
	v_fma_f64 v[101:102], -v[101:102], v[107:108], v[105:106]
	v_div_fmas_f64 v[101:102], v[101:102], v[103:104], v[107:108]
	v_div_fixup_f64 v[103:104], v[101:102], v[97:98], v[99:100]
	v_fma_f64 v[97:98], v[99:100], v[103:104], v[97:98]
	v_div_scale_f64 v[99:100], s[6:7], v[97:98], v[97:98], 1.0
	v_div_scale_f64 v[107:108], vcc, 1.0, v[97:98], 1.0
	v_rcp_f64_e32 v[101:102], v[99:100]
	v_fma_f64 v[105:106], -v[99:100], v[101:102], 1.0
	v_fma_f64 v[101:102], v[101:102], v[105:106], v[101:102]
	v_fma_f64 v[105:106], -v[99:100], v[101:102], 1.0
	v_fma_f64 v[101:102], v[101:102], v[105:106], v[101:102]
	v_mul_f64 v[105:106], v[107:108], v[101:102]
	v_fma_f64 v[99:100], -v[99:100], v[105:106], v[107:108]
	v_div_fmas_f64 v[99:100], v[99:100], v[101:102], v[105:106]
	v_div_fixup_f64 v[101:102], v[99:100], v[97:98], 1.0
	v_mul_f64 v[103:104], v[103:104], -v[101:102]
.LBB101_385:
	s_or_b64 exec, exec, s[2:3]
	ds_write2_b64 v127, v[101:102], v[103:104] offset1:1
.LBB101_386:
	s_or_b64 exec, exec, s[4:5]
	s_waitcnt lgkmcnt(0)
	s_barrier
	ds_read2_b64 v[69:72], v127 offset1:1
	v_cmp_lt_u32_e32 vcc, 42, v0
	s_waitcnt lgkmcnt(0)
	buffer_store_dword v69, off, s[20:23], 0 offset:1520 ; 4-byte Folded Spill
	s_nop 0
	buffer_store_dword v70, off, s[20:23], 0 offset:1524 ; 4-byte Folded Spill
	buffer_store_dword v71, off, s[20:23], 0 offset:1528 ; 4-byte Folded Spill
	;; [unrolled: 1-line block ×3, first 2 shown]
	s_and_saveexec_b64 s[2:3], vcc
	s_cbranch_execz .LBB101_388
; %bb.387:
	buffer_load_dword v69, off, s[20:23], 0 offset:1520 ; 4-byte Folded Reload
	buffer_load_dword v70, off, s[20:23], 0 offset:1524 ; 4-byte Folded Reload
	;; [unrolled: 1-line block ×4, first 2 shown]
	ds_read2_b64 v[99:102], v125 offset0:86 offset1:87
	s_waitcnt vmcnt(2)
	v_mul_f64 v[97:98], v[69:70], v[31:32]
	s_waitcnt vmcnt(0)
	v_mul_f64 v[31:32], v[71:72], v[31:32]
	v_fma_f64 v[97:98], v[71:72], v[29:30], v[97:98]
	v_fma_f64 v[29:30], v[69:70], v[29:30], -v[31:32]
	s_waitcnt lgkmcnt(0)
	v_mul_f64 v[31:32], v[101:102], v[97:98]
	v_fma_f64 v[31:32], v[99:100], v[29:30], -v[31:32]
	v_mul_f64 v[99:100], v[99:100], v[97:98]
	v_add_f64 v[25:26], v[25:26], -v[31:32]
	v_fma_f64 v[99:100], v[101:102], v[29:30], v[99:100]
	v_add_f64 v[27:28], v[27:28], -v[99:100]
	ds_read2_b64 v[99:102], v125 offset0:88 offset1:89
	s_waitcnt lgkmcnt(0)
	v_mul_f64 v[31:32], v[101:102], v[97:98]
	v_fma_f64 v[31:32], v[99:100], v[29:30], -v[31:32]
	v_mul_f64 v[99:100], v[99:100], v[97:98]
	v_add_f64 v[21:22], v[21:22], -v[31:32]
	v_fma_f64 v[99:100], v[101:102], v[29:30], v[99:100]
	v_add_f64 v[23:24], v[23:24], -v[99:100]
	ds_read2_b64 v[99:102], v125 offset0:90 offset1:91
	;; [unrolled: 8-line block ×7, first 2 shown]
	s_waitcnt lgkmcnt(0)
	v_mul_f64 v[31:32], v[101:102], v[97:98]
	v_fma_f64 v[31:32], v[99:100], v[29:30], -v[31:32]
	v_mul_f64 v[99:100], v[99:100], v[97:98]
	v_add_f64 v[73:74], v[73:74], -v[31:32]
	v_fma_f64 v[99:100], v[101:102], v[29:30], v[99:100]
	v_mov_b32_e32 v31, v97
	v_mov_b32_e32 v32, v98
	v_add_f64 v[75:76], v[75:76], -v[99:100]
.LBB101_388:
	s_or_b64 exec, exec, s[2:3]
	v_cmp_eq_u32_e32 vcc, 43, v0
	s_waitcnt vmcnt(0)
	s_barrier
	s_and_saveexec_b64 s[4:5], vcc
	s_cbranch_execz .LBB101_395
; %bb.389:
	ds_write2_b64 v127, v[25:26], v[27:28] offset1:1
	ds_write2_b64 v125, v[21:22], v[23:24] offset0:88 offset1:89
	ds_write2_b64 v125, v[17:18], v[19:20] offset0:90 offset1:91
	;; [unrolled: 1-line block ×7, first 2 shown]
	ds_read2_b64 v[97:100], v127 offset1:1
	s_waitcnt lgkmcnt(0)
	v_cmp_neq_f64_e32 vcc, 0, v[97:98]
	v_cmp_neq_f64_e64 s[2:3], 0, v[99:100]
	s_or_b64 s[2:3], vcc, s[2:3]
	s_and_b64 exec, exec, s[2:3]
	s_cbranch_execz .LBB101_395
; %bb.390:
	v_cmp_ngt_f64_e64 s[2:3], |v[97:98]|, |v[99:100]|
                                        ; implicit-def: $vgpr101_vgpr102
	s_and_saveexec_b64 s[6:7], s[2:3]
	s_xor_b64 s[2:3], exec, s[6:7]
                                        ; implicit-def: $vgpr103_vgpr104
	s_cbranch_execz .LBB101_392
; %bb.391:
	v_div_scale_f64 v[101:102], s[6:7], v[99:100], v[99:100], v[97:98]
	v_rcp_f64_e32 v[103:104], v[101:102]
	v_fma_f64 v[105:106], -v[101:102], v[103:104], 1.0
	v_fma_f64 v[103:104], v[103:104], v[105:106], v[103:104]
	v_div_scale_f64 v[105:106], vcc, v[97:98], v[99:100], v[97:98]
	v_fma_f64 v[107:108], -v[101:102], v[103:104], 1.0
	v_fma_f64 v[103:104], v[103:104], v[107:108], v[103:104]
	v_mul_f64 v[107:108], v[105:106], v[103:104]
	v_fma_f64 v[101:102], -v[101:102], v[107:108], v[105:106]
	v_div_fmas_f64 v[101:102], v[101:102], v[103:104], v[107:108]
	v_div_fixup_f64 v[101:102], v[101:102], v[99:100], v[97:98]
	v_fma_f64 v[97:98], v[97:98], v[101:102], v[99:100]
	v_div_scale_f64 v[99:100], s[6:7], v[97:98], v[97:98], 1.0
	v_div_scale_f64 v[107:108], vcc, 1.0, v[97:98], 1.0
	v_rcp_f64_e32 v[103:104], v[99:100]
	v_fma_f64 v[105:106], -v[99:100], v[103:104], 1.0
	v_fma_f64 v[103:104], v[103:104], v[105:106], v[103:104]
	v_fma_f64 v[105:106], -v[99:100], v[103:104], 1.0
	v_fma_f64 v[103:104], v[103:104], v[105:106], v[103:104]
	v_mul_f64 v[105:106], v[107:108], v[103:104]
	v_fma_f64 v[99:100], -v[99:100], v[105:106], v[107:108]
	v_div_fmas_f64 v[99:100], v[99:100], v[103:104], v[105:106]
	v_div_fixup_f64 v[103:104], v[99:100], v[97:98], 1.0
                                        ; implicit-def: $vgpr97_vgpr98
	v_mul_f64 v[101:102], v[101:102], v[103:104]
	v_xor_b32_e32 v104, 0x80000000, v104
.LBB101_392:
	s_andn2_saveexec_b64 s[2:3], s[2:3]
	s_cbranch_execz .LBB101_394
; %bb.393:
	v_div_scale_f64 v[101:102], s[6:7], v[97:98], v[97:98], v[99:100]
	v_rcp_f64_e32 v[103:104], v[101:102]
	v_fma_f64 v[105:106], -v[101:102], v[103:104], 1.0
	v_fma_f64 v[103:104], v[103:104], v[105:106], v[103:104]
	v_div_scale_f64 v[105:106], vcc, v[99:100], v[97:98], v[99:100]
	v_fma_f64 v[107:108], -v[101:102], v[103:104], 1.0
	v_fma_f64 v[103:104], v[103:104], v[107:108], v[103:104]
	v_mul_f64 v[107:108], v[105:106], v[103:104]
	v_fma_f64 v[101:102], -v[101:102], v[107:108], v[105:106]
	v_div_fmas_f64 v[101:102], v[101:102], v[103:104], v[107:108]
	v_div_fixup_f64 v[103:104], v[101:102], v[97:98], v[99:100]
	v_fma_f64 v[97:98], v[99:100], v[103:104], v[97:98]
	v_div_scale_f64 v[99:100], s[6:7], v[97:98], v[97:98], 1.0
	v_div_scale_f64 v[107:108], vcc, 1.0, v[97:98], 1.0
	v_rcp_f64_e32 v[101:102], v[99:100]
	v_fma_f64 v[105:106], -v[99:100], v[101:102], 1.0
	v_fma_f64 v[101:102], v[101:102], v[105:106], v[101:102]
	v_fma_f64 v[105:106], -v[99:100], v[101:102], 1.0
	v_fma_f64 v[101:102], v[101:102], v[105:106], v[101:102]
	v_mul_f64 v[105:106], v[107:108], v[101:102]
	v_fma_f64 v[99:100], -v[99:100], v[105:106], v[107:108]
	v_div_fmas_f64 v[99:100], v[99:100], v[101:102], v[105:106]
	v_div_fixup_f64 v[101:102], v[99:100], v[97:98], 1.0
	v_mul_f64 v[103:104], v[103:104], -v[101:102]
.LBB101_394:
	s_or_b64 exec, exec, s[2:3]
	ds_write2_b64 v127, v[101:102], v[103:104] offset1:1
.LBB101_395:
	s_or_b64 exec, exec, s[4:5]
	s_waitcnt lgkmcnt(0)
	s_barrier
	ds_read2_b64 v[69:72], v127 offset1:1
	v_cmp_lt_u32_e32 vcc, 43, v0
	s_waitcnt lgkmcnt(0)
	buffer_store_dword v69, off, s[20:23], 0 offset:1536 ; 4-byte Folded Spill
	s_nop 0
	buffer_store_dword v70, off, s[20:23], 0 offset:1540 ; 4-byte Folded Spill
	buffer_store_dword v71, off, s[20:23], 0 offset:1544 ; 4-byte Folded Spill
	;; [unrolled: 1-line block ×3, first 2 shown]
	s_and_saveexec_b64 s[2:3], vcc
	s_cbranch_execz .LBB101_397
; %bb.396:
	buffer_load_dword v69, off, s[20:23], 0 offset:1536 ; 4-byte Folded Reload
	buffer_load_dword v70, off, s[20:23], 0 offset:1540 ; 4-byte Folded Reload
	;; [unrolled: 1-line block ×4, first 2 shown]
	ds_read2_b64 v[99:102], v125 offset0:88 offset1:89
	s_waitcnt vmcnt(2)
	v_mul_f64 v[97:98], v[69:70], v[27:28]
	s_waitcnt vmcnt(0)
	v_mul_f64 v[27:28], v[71:72], v[27:28]
	v_fma_f64 v[97:98], v[71:72], v[25:26], v[97:98]
	v_fma_f64 v[25:26], v[69:70], v[25:26], -v[27:28]
	s_waitcnt lgkmcnt(0)
	v_mul_f64 v[27:28], v[101:102], v[97:98]
	v_fma_f64 v[27:28], v[99:100], v[25:26], -v[27:28]
	v_mul_f64 v[99:100], v[99:100], v[97:98]
	v_add_f64 v[21:22], v[21:22], -v[27:28]
	v_fma_f64 v[99:100], v[101:102], v[25:26], v[99:100]
	v_add_f64 v[23:24], v[23:24], -v[99:100]
	ds_read2_b64 v[99:102], v125 offset0:90 offset1:91
	s_waitcnt lgkmcnt(0)
	v_mul_f64 v[27:28], v[101:102], v[97:98]
	v_fma_f64 v[27:28], v[99:100], v[25:26], -v[27:28]
	v_mul_f64 v[99:100], v[99:100], v[97:98]
	v_add_f64 v[17:18], v[17:18], -v[27:28]
	v_fma_f64 v[99:100], v[101:102], v[25:26], v[99:100]
	v_add_f64 v[19:20], v[19:20], -v[99:100]
	ds_read2_b64 v[99:102], v125 offset0:92 offset1:93
	;; [unrolled: 8-line block ×6, first 2 shown]
	s_waitcnt lgkmcnt(0)
	v_mul_f64 v[27:28], v[101:102], v[97:98]
	v_fma_f64 v[27:28], v[99:100], v[25:26], -v[27:28]
	v_mul_f64 v[99:100], v[99:100], v[97:98]
	v_add_f64 v[73:74], v[73:74], -v[27:28]
	v_fma_f64 v[99:100], v[101:102], v[25:26], v[99:100]
	v_mov_b32_e32 v27, v97
	v_mov_b32_e32 v28, v98
	v_add_f64 v[75:76], v[75:76], -v[99:100]
.LBB101_397:
	s_or_b64 exec, exec, s[2:3]
	v_cmp_eq_u32_e32 vcc, 44, v0
	s_waitcnt vmcnt(0)
	s_barrier
	s_and_saveexec_b64 s[4:5], vcc
	s_cbranch_execz .LBB101_404
; %bb.398:
	ds_write2_b64 v127, v[21:22], v[23:24] offset1:1
	ds_write2_b64 v125, v[17:18], v[19:20] offset0:90 offset1:91
	ds_write2_b64 v125, v[13:14], v[15:16] offset0:92 offset1:93
	;; [unrolled: 1-line block ×6, first 2 shown]
	ds_read2_b64 v[97:100], v127 offset1:1
	s_waitcnt lgkmcnt(0)
	v_cmp_neq_f64_e32 vcc, 0, v[97:98]
	v_cmp_neq_f64_e64 s[2:3], 0, v[99:100]
	s_or_b64 s[2:3], vcc, s[2:3]
	s_and_b64 exec, exec, s[2:3]
	s_cbranch_execz .LBB101_404
; %bb.399:
	v_cmp_ngt_f64_e64 s[2:3], |v[97:98]|, |v[99:100]|
                                        ; implicit-def: $vgpr101_vgpr102
	s_and_saveexec_b64 s[6:7], s[2:3]
	s_xor_b64 s[2:3], exec, s[6:7]
                                        ; implicit-def: $vgpr103_vgpr104
	s_cbranch_execz .LBB101_401
; %bb.400:
	v_div_scale_f64 v[101:102], s[6:7], v[99:100], v[99:100], v[97:98]
	v_rcp_f64_e32 v[103:104], v[101:102]
	v_fma_f64 v[105:106], -v[101:102], v[103:104], 1.0
	v_fma_f64 v[103:104], v[103:104], v[105:106], v[103:104]
	v_div_scale_f64 v[105:106], vcc, v[97:98], v[99:100], v[97:98]
	v_fma_f64 v[107:108], -v[101:102], v[103:104], 1.0
	v_fma_f64 v[103:104], v[103:104], v[107:108], v[103:104]
	v_mul_f64 v[107:108], v[105:106], v[103:104]
	v_fma_f64 v[101:102], -v[101:102], v[107:108], v[105:106]
	v_div_fmas_f64 v[101:102], v[101:102], v[103:104], v[107:108]
	v_div_fixup_f64 v[101:102], v[101:102], v[99:100], v[97:98]
	v_fma_f64 v[97:98], v[97:98], v[101:102], v[99:100]
	v_div_scale_f64 v[99:100], s[6:7], v[97:98], v[97:98], 1.0
	v_div_scale_f64 v[107:108], vcc, 1.0, v[97:98], 1.0
	v_rcp_f64_e32 v[103:104], v[99:100]
	v_fma_f64 v[105:106], -v[99:100], v[103:104], 1.0
	v_fma_f64 v[103:104], v[103:104], v[105:106], v[103:104]
	v_fma_f64 v[105:106], -v[99:100], v[103:104], 1.0
	v_fma_f64 v[103:104], v[103:104], v[105:106], v[103:104]
	v_mul_f64 v[105:106], v[107:108], v[103:104]
	v_fma_f64 v[99:100], -v[99:100], v[105:106], v[107:108]
	v_div_fmas_f64 v[99:100], v[99:100], v[103:104], v[105:106]
	v_div_fixup_f64 v[103:104], v[99:100], v[97:98], 1.0
                                        ; implicit-def: $vgpr97_vgpr98
	v_mul_f64 v[101:102], v[101:102], v[103:104]
	v_xor_b32_e32 v104, 0x80000000, v104
.LBB101_401:
	s_andn2_saveexec_b64 s[2:3], s[2:3]
	s_cbranch_execz .LBB101_403
; %bb.402:
	v_div_scale_f64 v[101:102], s[6:7], v[97:98], v[97:98], v[99:100]
	v_rcp_f64_e32 v[103:104], v[101:102]
	v_fma_f64 v[105:106], -v[101:102], v[103:104], 1.0
	v_fma_f64 v[103:104], v[103:104], v[105:106], v[103:104]
	v_div_scale_f64 v[105:106], vcc, v[99:100], v[97:98], v[99:100]
	v_fma_f64 v[107:108], -v[101:102], v[103:104], 1.0
	v_fma_f64 v[103:104], v[103:104], v[107:108], v[103:104]
	v_mul_f64 v[107:108], v[105:106], v[103:104]
	v_fma_f64 v[101:102], -v[101:102], v[107:108], v[105:106]
	v_div_fmas_f64 v[101:102], v[101:102], v[103:104], v[107:108]
	v_div_fixup_f64 v[103:104], v[101:102], v[97:98], v[99:100]
	v_fma_f64 v[97:98], v[99:100], v[103:104], v[97:98]
	v_div_scale_f64 v[99:100], s[6:7], v[97:98], v[97:98], 1.0
	v_div_scale_f64 v[107:108], vcc, 1.0, v[97:98], 1.0
	v_rcp_f64_e32 v[101:102], v[99:100]
	v_fma_f64 v[105:106], -v[99:100], v[101:102], 1.0
	v_fma_f64 v[101:102], v[101:102], v[105:106], v[101:102]
	v_fma_f64 v[105:106], -v[99:100], v[101:102], 1.0
	v_fma_f64 v[101:102], v[101:102], v[105:106], v[101:102]
	v_mul_f64 v[105:106], v[107:108], v[101:102]
	v_fma_f64 v[99:100], -v[99:100], v[105:106], v[107:108]
	v_div_fmas_f64 v[99:100], v[99:100], v[101:102], v[105:106]
	v_div_fixup_f64 v[101:102], v[99:100], v[97:98], 1.0
	v_mul_f64 v[103:104], v[103:104], -v[101:102]
.LBB101_403:
	s_or_b64 exec, exec, s[2:3]
	ds_write2_b64 v127, v[101:102], v[103:104] offset1:1
.LBB101_404:
	s_or_b64 exec, exec, s[4:5]
	s_waitcnt lgkmcnt(0)
	s_barrier
	ds_read2_b64 v[69:72], v127 offset1:1
	v_cmp_lt_u32_e32 vcc, 44, v0
	s_waitcnt lgkmcnt(0)
	buffer_store_dword v69, off, s[20:23], 0 offset:1552 ; 4-byte Folded Spill
	s_nop 0
	buffer_store_dword v70, off, s[20:23], 0 offset:1556 ; 4-byte Folded Spill
	buffer_store_dword v71, off, s[20:23], 0 offset:1560 ; 4-byte Folded Spill
	buffer_store_dword v72, off, s[20:23], 0 offset:1564 ; 4-byte Folded Spill
	s_and_saveexec_b64 s[2:3], vcc
	s_cbranch_execz .LBB101_406
; %bb.405:
	buffer_load_dword v69, off, s[20:23], 0 offset:1552 ; 4-byte Folded Reload
	buffer_load_dword v70, off, s[20:23], 0 offset:1556 ; 4-byte Folded Reload
	;; [unrolled: 1-line block ×4, first 2 shown]
	ds_read2_b64 v[99:102], v125 offset0:90 offset1:91
	s_waitcnt vmcnt(2)
	v_mul_f64 v[97:98], v[69:70], v[23:24]
	s_waitcnt vmcnt(0)
	v_mul_f64 v[23:24], v[71:72], v[23:24]
	v_fma_f64 v[97:98], v[71:72], v[21:22], v[97:98]
	v_fma_f64 v[21:22], v[69:70], v[21:22], -v[23:24]
	s_waitcnt lgkmcnt(0)
	v_mul_f64 v[23:24], v[101:102], v[97:98]
	v_fma_f64 v[23:24], v[99:100], v[21:22], -v[23:24]
	v_mul_f64 v[99:100], v[99:100], v[97:98]
	v_add_f64 v[17:18], v[17:18], -v[23:24]
	v_fma_f64 v[99:100], v[101:102], v[21:22], v[99:100]
	v_add_f64 v[19:20], v[19:20], -v[99:100]
	ds_read2_b64 v[99:102], v125 offset0:92 offset1:93
	s_waitcnt lgkmcnt(0)
	v_mul_f64 v[23:24], v[101:102], v[97:98]
	v_fma_f64 v[23:24], v[99:100], v[21:22], -v[23:24]
	v_mul_f64 v[99:100], v[99:100], v[97:98]
	v_add_f64 v[13:14], v[13:14], -v[23:24]
	v_fma_f64 v[99:100], v[101:102], v[21:22], v[99:100]
	v_add_f64 v[15:16], v[15:16], -v[99:100]
	ds_read2_b64 v[99:102], v125 offset0:94 offset1:95
	;; [unrolled: 8-line block ×5, first 2 shown]
	s_waitcnt lgkmcnt(0)
	v_mul_f64 v[23:24], v[101:102], v[97:98]
	v_fma_f64 v[23:24], v[99:100], v[21:22], -v[23:24]
	v_mul_f64 v[99:100], v[99:100], v[97:98]
	v_add_f64 v[73:74], v[73:74], -v[23:24]
	v_fma_f64 v[99:100], v[101:102], v[21:22], v[99:100]
	v_mov_b32_e32 v23, v97
	v_mov_b32_e32 v24, v98
	v_add_f64 v[75:76], v[75:76], -v[99:100]
.LBB101_406:
	s_or_b64 exec, exec, s[2:3]
	v_cmp_eq_u32_e32 vcc, 45, v0
	s_waitcnt vmcnt(0)
	s_barrier
	s_and_saveexec_b64 s[4:5], vcc
	s_cbranch_execz .LBB101_413
; %bb.407:
	ds_write2_b64 v127, v[17:18], v[19:20] offset1:1
	ds_write2_b64 v125, v[13:14], v[15:16] offset0:92 offset1:93
	ds_write2_b64 v125, v[9:10], v[11:12] offset0:94 offset1:95
	;; [unrolled: 1-line block ×5, first 2 shown]
	ds_read2_b64 v[97:100], v127 offset1:1
	s_waitcnt lgkmcnt(0)
	v_cmp_neq_f64_e32 vcc, 0, v[97:98]
	v_cmp_neq_f64_e64 s[2:3], 0, v[99:100]
	s_or_b64 s[2:3], vcc, s[2:3]
	s_and_b64 exec, exec, s[2:3]
	s_cbranch_execz .LBB101_413
; %bb.408:
	v_cmp_ngt_f64_e64 s[2:3], |v[97:98]|, |v[99:100]|
                                        ; implicit-def: $vgpr101_vgpr102
	s_and_saveexec_b64 s[6:7], s[2:3]
	s_xor_b64 s[2:3], exec, s[6:7]
                                        ; implicit-def: $vgpr103_vgpr104
	s_cbranch_execz .LBB101_410
; %bb.409:
	v_div_scale_f64 v[101:102], s[6:7], v[99:100], v[99:100], v[97:98]
	v_rcp_f64_e32 v[103:104], v[101:102]
	v_fma_f64 v[105:106], -v[101:102], v[103:104], 1.0
	v_fma_f64 v[103:104], v[103:104], v[105:106], v[103:104]
	v_div_scale_f64 v[105:106], vcc, v[97:98], v[99:100], v[97:98]
	v_fma_f64 v[107:108], -v[101:102], v[103:104], 1.0
	v_fma_f64 v[103:104], v[103:104], v[107:108], v[103:104]
	v_mul_f64 v[107:108], v[105:106], v[103:104]
	v_fma_f64 v[101:102], -v[101:102], v[107:108], v[105:106]
	v_div_fmas_f64 v[101:102], v[101:102], v[103:104], v[107:108]
	v_div_fixup_f64 v[101:102], v[101:102], v[99:100], v[97:98]
	v_fma_f64 v[97:98], v[97:98], v[101:102], v[99:100]
	v_div_scale_f64 v[99:100], s[6:7], v[97:98], v[97:98], 1.0
	v_div_scale_f64 v[107:108], vcc, 1.0, v[97:98], 1.0
	v_rcp_f64_e32 v[103:104], v[99:100]
	v_fma_f64 v[105:106], -v[99:100], v[103:104], 1.0
	v_fma_f64 v[103:104], v[103:104], v[105:106], v[103:104]
	v_fma_f64 v[105:106], -v[99:100], v[103:104], 1.0
	v_fma_f64 v[103:104], v[103:104], v[105:106], v[103:104]
	v_mul_f64 v[105:106], v[107:108], v[103:104]
	v_fma_f64 v[99:100], -v[99:100], v[105:106], v[107:108]
	v_div_fmas_f64 v[99:100], v[99:100], v[103:104], v[105:106]
	v_div_fixup_f64 v[103:104], v[99:100], v[97:98], 1.0
                                        ; implicit-def: $vgpr97_vgpr98
	v_mul_f64 v[101:102], v[101:102], v[103:104]
	v_xor_b32_e32 v104, 0x80000000, v104
.LBB101_410:
	s_andn2_saveexec_b64 s[2:3], s[2:3]
	s_cbranch_execz .LBB101_412
; %bb.411:
	v_div_scale_f64 v[101:102], s[6:7], v[97:98], v[97:98], v[99:100]
	v_rcp_f64_e32 v[103:104], v[101:102]
	v_fma_f64 v[105:106], -v[101:102], v[103:104], 1.0
	v_fma_f64 v[103:104], v[103:104], v[105:106], v[103:104]
	v_div_scale_f64 v[105:106], vcc, v[99:100], v[97:98], v[99:100]
	v_fma_f64 v[107:108], -v[101:102], v[103:104], 1.0
	v_fma_f64 v[103:104], v[103:104], v[107:108], v[103:104]
	v_mul_f64 v[107:108], v[105:106], v[103:104]
	v_fma_f64 v[101:102], -v[101:102], v[107:108], v[105:106]
	v_div_fmas_f64 v[101:102], v[101:102], v[103:104], v[107:108]
	v_div_fixup_f64 v[103:104], v[101:102], v[97:98], v[99:100]
	v_fma_f64 v[97:98], v[99:100], v[103:104], v[97:98]
	v_div_scale_f64 v[99:100], s[6:7], v[97:98], v[97:98], 1.0
	v_div_scale_f64 v[107:108], vcc, 1.0, v[97:98], 1.0
	v_rcp_f64_e32 v[101:102], v[99:100]
	v_fma_f64 v[105:106], -v[99:100], v[101:102], 1.0
	v_fma_f64 v[101:102], v[101:102], v[105:106], v[101:102]
	v_fma_f64 v[105:106], -v[99:100], v[101:102], 1.0
	v_fma_f64 v[101:102], v[101:102], v[105:106], v[101:102]
	v_mul_f64 v[105:106], v[107:108], v[101:102]
	v_fma_f64 v[99:100], -v[99:100], v[105:106], v[107:108]
	v_div_fmas_f64 v[99:100], v[99:100], v[101:102], v[105:106]
	v_div_fixup_f64 v[101:102], v[99:100], v[97:98], 1.0
	v_mul_f64 v[103:104], v[103:104], -v[101:102]
.LBB101_412:
	s_or_b64 exec, exec, s[2:3]
	ds_write2_b64 v127, v[101:102], v[103:104] offset1:1
.LBB101_413:
	s_or_b64 exec, exec, s[4:5]
	s_waitcnt lgkmcnt(0)
	s_barrier
	ds_read2_b64 v[69:72], v127 offset1:1
	v_cmp_lt_u32_e32 vcc, 45, v0
	s_waitcnt lgkmcnt(0)
	buffer_store_dword v69, off, s[20:23], 0 offset:1568 ; 4-byte Folded Spill
	s_nop 0
	buffer_store_dword v70, off, s[20:23], 0 offset:1572 ; 4-byte Folded Spill
	buffer_store_dword v71, off, s[20:23], 0 offset:1576 ; 4-byte Folded Spill
	;; [unrolled: 1-line block ×3, first 2 shown]
	s_and_saveexec_b64 s[2:3], vcc
	s_cbranch_execz .LBB101_415
; %bb.414:
	buffer_load_dword v69, off, s[20:23], 0 offset:1568 ; 4-byte Folded Reload
	buffer_load_dword v70, off, s[20:23], 0 offset:1572 ; 4-byte Folded Reload
	;; [unrolled: 1-line block ×4, first 2 shown]
	s_waitcnt vmcnt(2)
	v_mul_f64 v[97:98], v[69:70], v[19:20]
	s_waitcnt vmcnt(0)
	v_mul_f64 v[19:20], v[71:72], v[19:20]
	v_fma_f64 v[101:102], v[71:72], v[17:18], v[97:98]
	ds_read2_b64 v[97:100], v125 offset0:92 offset1:93
	v_fma_f64 v[17:18], v[69:70], v[17:18], -v[19:20]
	s_waitcnt lgkmcnt(0)
	v_mul_f64 v[19:20], v[99:100], v[101:102]
	v_fma_f64 v[19:20], v[97:98], v[17:18], -v[19:20]
	v_mul_f64 v[97:98], v[97:98], v[101:102]
	v_add_f64 v[13:14], v[13:14], -v[19:20]
	v_fma_f64 v[97:98], v[99:100], v[17:18], v[97:98]
	v_add_f64 v[15:16], v[15:16], -v[97:98]
	ds_read2_b64 v[97:100], v125 offset0:94 offset1:95
	s_waitcnt lgkmcnt(0)
	v_mul_f64 v[19:20], v[99:100], v[101:102]
	v_fma_f64 v[19:20], v[97:98], v[17:18], -v[19:20]
	v_mul_f64 v[97:98], v[97:98], v[101:102]
	v_add_f64 v[9:10], v[9:10], -v[19:20]
	v_fma_f64 v[97:98], v[99:100], v[17:18], v[97:98]
	v_add_f64 v[11:12], v[11:12], -v[97:98]
	ds_read2_b64 v[97:100], v125 offset0:96 offset1:97
	;; [unrolled: 8-line block ×4, first 2 shown]
	s_waitcnt lgkmcnt(0)
	v_mul_f64 v[19:20], v[99:100], v[101:102]
	v_fma_f64 v[19:20], v[97:98], v[17:18], -v[19:20]
	v_mul_f64 v[97:98], v[97:98], v[101:102]
	v_add_f64 v[73:74], v[73:74], -v[19:20]
	v_fma_f64 v[97:98], v[99:100], v[17:18], v[97:98]
	v_mov_b32_e32 v19, v101
	v_mov_b32_e32 v20, v102
	v_add_f64 v[75:76], v[75:76], -v[97:98]
.LBB101_415:
	s_or_b64 exec, exec, s[2:3]
	v_cmp_eq_u32_e32 vcc, 46, v0
	s_waitcnt vmcnt(0)
	s_barrier
	s_and_saveexec_b64 s[4:5], vcc
	s_cbranch_execz .LBB101_422
; %bb.416:
	ds_write2_b64 v127, v[13:14], v[15:16] offset1:1
	ds_write2_b64 v125, v[9:10], v[11:12] offset0:94 offset1:95
	ds_write2_b64 v125, v[5:6], v[7:8] offset0:96 offset1:97
	;; [unrolled: 1-line block ×4, first 2 shown]
	ds_read2_b64 v[97:100], v127 offset1:1
	s_waitcnt lgkmcnt(0)
	v_cmp_neq_f64_e32 vcc, 0, v[97:98]
	v_cmp_neq_f64_e64 s[2:3], 0, v[99:100]
	s_or_b64 s[2:3], vcc, s[2:3]
	s_and_b64 exec, exec, s[2:3]
	s_cbranch_execz .LBB101_422
; %bb.417:
	v_cmp_ngt_f64_e64 s[2:3], |v[97:98]|, |v[99:100]|
                                        ; implicit-def: $vgpr101_vgpr102
	s_and_saveexec_b64 s[6:7], s[2:3]
	s_xor_b64 s[2:3], exec, s[6:7]
                                        ; implicit-def: $vgpr103_vgpr104
	s_cbranch_execz .LBB101_419
; %bb.418:
	v_div_scale_f64 v[101:102], s[6:7], v[99:100], v[99:100], v[97:98]
	v_rcp_f64_e32 v[103:104], v[101:102]
	v_fma_f64 v[105:106], -v[101:102], v[103:104], 1.0
	v_fma_f64 v[103:104], v[103:104], v[105:106], v[103:104]
	v_div_scale_f64 v[105:106], vcc, v[97:98], v[99:100], v[97:98]
	v_fma_f64 v[107:108], -v[101:102], v[103:104], 1.0
	v_fma_f64 v[103:104], v[103:104], v[107:108], v[103:104]
	v_mul_f64 v[107:108], v[105:106], v[103:104]
	v_fma_f64 v[101:102], -v[101:102], v[107:108], v[105:106]
	v_div_fmas_f64 v[101:102], v[101:102], v[103:104], v[107:108]
	v_div_fixup_f64 v[101:102], v[101:102], v[99:100], v[97:98]
	v_fma_f64 v[97:98], v[97:98], v[101:102], v[99:100]
	v_div_scale_f64 v[99:100], s[6:7], v[97:98], v[97:98], 1.0
	v_div_scale_f64 v[107:108], vcc, 1.0, v[97:98], 1.0
	v_rcp_f64_e32 v[103:104], v[99:100]
	v_fma_f64 v[105:106], -v[99:100], v[103:104], 1.0
	v_fma_f64 v[103:104], v[103:104], v[105:106], v[103:104]
	v_fma_f64 v[105:106], -v[99:100], v[103:104], 1.0
	v_fma_f64 v[103:104], v[103:104], v[105:106], v[103:104]
	v_mul_f64 v[105:106], v[107:108], v[103:104]
	v_fma_f64 v[99:100], -v[99:100], v[105:106], v[107:108]
	v_div_fmas_f64 v[99:100], v[99:100], v[103:104], v[105:106]
	v_div_fixup_f64 v[103:104], v[99:100], v[97:98], 1.0
                                        ; implicit-def: $vgpr97_vgpr98
	v_mul_f64 v[101:102], v[101:102], v[103:104]
	v_xor_b32_e32 v104, 0x80000000, v104
.LBB101_419:
	s_andn2_saveexec_b64 s[2:3], s[2:3]
	s_cbranch_execz .LBB101_421
; %bb.420:
	v_div_scale_f64 v[101:102], s[6:7], v[97:98], v[97:98], v[99:100]
	v_rcp_f64_e32 v[103:104], v[101:102]
	v_fma_f64 v[105:106], -v[101:102], v[103:104], 1.0
	v_fma_f64 v[103:104], v[103:104], v[105:106], v[103:104]
	v_div_scale_f64 v[105:106], vcc, v[99:100], v[97:98], v[99:100]
	v_fma_f64 v[107:108], -v[101:102], v[103:104], 1.0
	v_fma_f64 v[103:104], v[103:104], v[107:108], v[103:104]
	v_mul_f64 v[107:108], v[105:106], v[103:104]
	v_fma_f64 v[101:102], -v[101:102], v[107:108], v[105:106]
	v_div_fmas_f64 v[101:102], v[101:102], v[103:104], v[107:108]
	v_div_fixup_f64 v[103:104], v[101:102], v[97:98], v[99:100]
	v_fma_f64 v[97:98], v[99:100], v[103:104], v[97:98]
	v_div_scale_f64 v[99:100], s[6:7], v[97:98], v[97:98], 1.0
	v_div_scale_f64 v[107:108], vcc, 1.0, v[97:98], 1.0
	v_rcp_f64_e32 v[101:102], v[99:100]
	v_fma_f64 v[105:106], -v[99:100], v[101:102], 1.0
	v_fma_f64 v[101:102], v[101:102], v[105:106], v[101:102]
	v_fma_f64 v[105:106], -v[99:100], v[101:102], 1.0
	v_fma_f64 v[101:102], v[101:102], v[105:106], v[101:102]
	v_mul_f64 v[105:106], v[107:108], v[101:102]
	v_fma_f64 v[99:100], -v[99:100], v[105:106], v[107:108]
	v_div_fmas_f64 v[99:100], v[99:100], v[101:102], v[105:106]
	v_div_fixup_f64 v[101:102], v[99:100], v[97:98], 1.0
	v_mul_f64 v[103:104], v[103:104], -v[101:102]
.LBB101_421:
	s_or_b64 exec, exec, s[2:3]
	ds_write2_b64 v127, v[101:102], v[103:104] offset1:1
.LBB101_422:
	s_or_b64 exec, exec, s[4:5]
	s_waitcnt lgkmcnt(0)
	s_barrier
	ds_read2_b64 v[69:72], v127 offset1:1
	v_cmp_lt_u32_e32 vcc, 46, v0
	s_waitcnt lgkmcnt(0)
	buffer_store_dword v69, off, s[20:23], 0 offset:1584 ; 4-byte Folded Spill
	s_nop 0
	buffer_store_dword v70, off, s[20:23], 0 offset:1588 ; 4-byte Folded Spill
	buffer_store_dword v71, off, s[20:23], 0 offset:1592 ; 4-byte Folded Spill
	;; [unrolled: 1-line block ×3, first 2 shown]
	s_and_saveexec_b64 s[2:3], vcc
	s_cbranch_execz .LBB101_424
; %bb.423:
	buffer_load_dword v69, off, s[20:23], 0 offset:1584 ; 4-byte Folded Reload
	buffer_load_dword v70, off, s[20:23], 0 offset:1588 ; 4-byte Folded Reload
	;; [unrolled: 1-line block ×4, first 2 shown]
	s_waitcnt vmcnt(2)
	v_mul_f64 v[97:98], v[69:70], v[15:16]
	s_waitcnt vmcnt(0)
	v_mul_f64 v[15:16], v[71:72], v[15:16]
	v_fma_f64 v[101:102], v[71:72], v[13:14], v[97:98]
	ds_read2_b64 v[97:100], v125 offset0:94 offset1:95
	v_fma_f64 v[13:14], v[69:70], v[13:14], -v[15:16]
	s_waitcnt lgkmcnt(0)
	v_mul_f64 v[15:16], v[99:100], v[101:102]
	v_fma_f64 v[15:16], v[97:98], v[13:14], -v[15:16]
	v_mul_f64 v[97:98], v[97:98], v[101:102]
	v_add_f64 v[9:10], v[9:10], -v[15:16]
	v_fma_f64 v[97:98], v[99:100], v[13:14], v[97:98]
	v_add_f64 v[11:12], v[11:12], -v[97:98]
	ds_read2_b64 v[97:100], v125 offset0:96 offset1:97
	s_waitcnt lgkmcnt(0)
	v_mul_f64 v[15:16], v[99:100], v[101:102]
	v_fma_f64 v[15:16], v[97:98], v[13:14], -v[15:16]
	v_mul_f64 v[97:98], v[97:98], v[101:102]
	v_add_f64 v[5:6], v[5:6], -v[15:16]
	v_fma_f64 v[97:98], v[99:100], v[13:14], v[97:98]
	v_add_f64 v[7:8], v[7:8], -v[97:98]
	ds_read2_b64 v[97:100], v125 offset0:98 offset1:99
	;; [unrolled: 8-line block ×3, first 2 shown]
	s_waitcnt lgkmcnt(0)
	v_mul_f64 v[15:16], v[99:100], v[101:102]
	v_fma_f64 v[15:16], v[97:98], v[13:14], -v[15:16]
	v_mul_f64 v[97:98], v[97:98], v[101:102]
	v_add_f64 v[73:74], v[73:74], -v[15:16]
	v_fma_f64 v[97:98], v[99:100], v[13:14], v[97:98]
	v_mov_b32_e32 v15, v101
	v_mov_b32_e32 v16, v102
	v_add_f64 v[75:76], v[75:76], -v[97:98]
.LBB101_424:
	s_or_b64 exec, exec, s[2:3]
	v_cmp_eq_u32_e32 vcc, 47, v0
	s_waitcnt vmcnt(0)
	s_barrier
	s_and_saveexec_b64 s[4:5], vcc
	s_cbranch_execz .LBB101_431
; %bb.425:
	ds_write2_b64 v127, v[9:10], v[11:12] offset1:1
	ds_write2_b64 v125, v[5:6], v[7:8] offset0:96 offset1:97
	ds_write2_b64 v125, v[1:2], v[3:4] offset0:98 offset1:99
	;; [unrolled: 1-line block ×3, first 2 shown]
	ds_read2_b64 v[97:100], v127 offset1:1
	s_waitcnt lgkmcnt(0)
	v_cmp_neq_f64_e32 vcc, 0, v[97:98]
	v_cmp_neq_f64_e64 s[2:3], 0, v[99:100]
	s_or_b64 s[2:3], vcc, s[2:3]
	s_and_b64 exec, exec, s[2:3]
	s_cbranch_execz .LBB101_431
; %bb.426:
	v_cmp_ngt_f64_e64 s[2:3], |v[97:98]|, |v[99:100]|
                                        ; implicit-def: $vgpr101_vgpr102
	s_and_saveexec_b64 s[6:7], s[2:3]
	s_xor_b64 s[2:3], exec, s[6:7]
                                        ; implicit-def: $vgpr103_vgpr104
	s_cbranch_execz .LBB101_428
; %bb.427:
	v_div_scale_f64 v[101:102], s[6:7], v[99:100], v[99:100], v[97:98]
	v_rcp_f64_e32 v[103:104], v[101:102]
	v_fma_f64 v[105:106], -v[101:102], v[103:104], 1.0
	v_fma_f64 v[103:104], v[103:104], v[105:106], v[103:104]
	v_div_scale_f64 v[105:106], vcc, v[97:98], v[99:100], v[97:98]
	v_fma_f64 v[107:108], -v[101:102], v[103:104], 1.0
	v_fma_f64 v[103:104], v[103:104], v[107:108], v[103:104]
	v_mul_f64 v[107:108], v[105:106], v[103:104]
	v_fma_f64 v[101:102], -v[101:102], v[107:108], v[105:106]
	v_div_fmas_f64 v[101:102], v[101:102], v[103:104], v[107:108]
	v_div_fixup_f64 v[101:102], v[101:102], v[99:100], v[97:98]
	v_fma_f64 v[97:98], v[97:98], v[101:102], v[99:100]
	v_div_scale_f64 v[99:100], s[6:7], v[97:98], v[97:98], 1.0
	v_div_scale_f64 v[107:108], vcc, 1.0, v[97:98], 1.0
	v_rcp_f64_e32 v[103:104], v[99:100]
	v_fma_f64 v[105:106], -v[99:100], v[103:104], 1.0
	v_fma_f64 v[103:104], v[103:104], v[105:106], v[103:104]
	v_fma_f64 v[105:106], -v[99:100], v[103:104], 1.0
	v_fma_f64 v[103:104], v[103:104], v[105:106], v[103:104]
	v_mul_f64 v[105:106], v[107:108], v[103:104]
	v_fma_f64 v[99:100], -v[99:100], v[105:106], v[107:108]
	v_div_fmas_f64 v[99:100], v[99:100], v[103:104], v[105:106]
	v_div_fixup_f64 v[103:104], v[99:100], v[97:98], 1.0
                                        ; implicit-def: $vgpr97_vgpr98
	v_mul_f64 v[101:102], v[101:102], v[103:104]
	v_xor_b32_e32 v104, 0x80000000, v104
.LBB101_428:
	s_andn2_saveexec_b64 s[2:3], s[2:3]
	s_cbranch_execz .LBB101_430
; %bb.429:
	v_div_scale_f64 v[101:102], s[6:7], v[97:98], v[97:98], v[99:100]
	v_rcp_f64_e32 v[103:104], v[101:102]
	v_fma_f64 v[105:106], -v[101:102], v[103:104], 1.0
	v_fma_f64 v[103:104], v[103:104], v[105:106], v[103:104]
	v_div_scale_f64 v[105:106], vcc, v[99:100], v[97:98], v[99:100]
	v_fma_f64 v[107:108], -v[101:102], v[103:104], 1.0
	v_fma_f64 v[103:104], v[103:104], v[107:108], v[103:104]
	v_mul_f64 v[107:108], v[105:106], v[103:104]
	v_fma_f64 v[101:102], -v[101:102], v[107:108], v[105:106]
	v_div_fmas_f64 v[101:102], v[101:102], v[103:104], v[107:108]
	v_div_fixup_f64 v[103:104], v[101:102], v[97:98], v[99:100]
	v_fma_f64 v[97:98], v[99:100], v[103:104], v[97:98]
	v_div_scale_f64 v[99:100], s[6:7], v[97:98], v[97:98], 1.0
	v_div_scale_f64 v[107:108], vcc, 1.0, v[97:98], 1.0
	v_rcp_f64_e32 v[101:102], v[99:100]
	v_fma_f64 v[105:106], -v[99:100], v[101:102], 1.0
	v_fma_f64 v[101:102], v[101:102], v[105:106], v[101:102]
	v_fma_f64 v[105:106], -v[99:100], v[101:102], 1.0
	v_fma_f64 v[101:102], v[101:102], v[105:106], v[101:102]
	v_mul_f64 v[105:106], v[107:108], v[101:102]
	v_fma_f64 v[99:100], -v[99:100], v[105:106], v[107:108]
	v_div_fmas_f64 v[99:100], v[99:100], v[101:102], v[105:106]
	v_div_fixup_f64 v[101:102], v[99:100], v[97:98], 1.0
	v_mul_f64 v[103:104], v[103:104], -v[101:102]
.LBB101_430:
	s_or_b64 exec, exec, s[2:3]
	ds_write2_b64 v127, v[101:102], v[103:104] offset1:1
.LBB101_431:
	s_or_b64 exec, exec, s[4:5]
	s_waitcnt lgkmcnt(0)
	s_barrier
	ds_read2_b64 v[69:72], v127 offset1:1
	v_cmp_lt_u32_e32 vcc, 47, v0
	s_waitcnt lgkmcnt(0)
	buffer_store_dword v69, off, s[20:23], 0 offset:1600 ; 4-byte Folded Spill
	s_nop 0
	buffer_store_dword v70, off, s[20:23], 0 offset:1604 ; 4-byte Folded Spill
	buffer_store_dword v71, off, s[20:23], 0 offset:1608 ; 4-byte Folded Spill
	;; [unrolled: 1-line block ×3, first 2 shown]
	s_and_saveexec_b64 s[2:3], vcc
	s_cbranch_execz .LBB101_433
; %bb.432:
	buffer_load_dword v69, off, s[20:23], 0 offset:1600 ; 4-byte Folded Reload
	buffer_load_dword v70, off, s[20:23], 0 offset:1604 ; 4-byte Folded Reload
	;; [unrolled: 1-line block ×4, first 2 shown]
	s_waitcnt vmcnt(2)
	v_mul_f64 v[97:98], v[69:70], v[11:12]
	s_waitcnt vmcnt(0)
	v_mul_f64 v[11:12], v[71:72], v[11:12]
	v_fma_f64 v[101:102], v[71:72], v[9:10], v[97:98]
	ds_read2_b64 v[97:100], v125 offset0:96 offset1:97
	v_fma_f64 v[9:10], v[69:70], v[9:10], -v[11:12]
	s_waitcnt lgkmcnt(0)
	v_mul_f64 v[11:12], v[99:100], v[101:102]
	v_fma_f64 v[11:12], v[97:98], v[9:10], -v[11:12]
	v_mul_f64 v[97:98], v[97:98], v[101:102]
	v_add_f64 v[5:6], v[5:6], -v[11:12]
	v_fma_f64 v[97:98], v[99:100], v[9:10], v[97:98]
	v_add_f64 v[7:8], v[7:8], -v[97:98]
	ds_read2_b64 v[97:100], v125 offset0:98 offset1:99
	s_waitcnt lgkmcnt(0)
	v_mul_f64 v[11:12], v[99:100], v[101:102]
	v_fma_f64 v[11:12], v[97:98], v[9:10], -v[11:12]
	v_mul_f64 v[97:98], v[97:98], v[101:102]
	v_add_f64 v[1:2], v[1:2], -v[11:12]
	v_fma_f64 v[97:98], v[99:100], v[9:10], v[97:98]
	v_add_f64 v[3:4], v[3:4], -v[97:98]
	ds_read2_b64 v[97:100], v125 offset0:100 offset1:101
	s_waitcnt lgkmcnt(0)
	v_mul_f64 v[11:12], v[99:100], v[101:102]
	v_fma_f64 v[11:12], v[97:98], v[9:10], -v[11:12]
	v_mul_f64 v[97:98], v[97:98], v[101:102]
	v_add_f64 v[73:74], v[73:74], -v[11:12]
	v_fma_f64 v[97:98], v[99:100], v[9:10], v[97:98]
	v_mov_b32_e32 v11, v101
	v_mov_b32_e32 v12, v102
	v_add_f64 v[75:76], v[75:76], -v[97:98]
.LBB101_433:
	s_or_b64 exec, exec, s[2:3]
	v_cmp_eq_u32_e32 vcc, 48, v0
	s_waitcnt vmcnt(0)
	s_barrier
	s_and_saveexec_b64 s[4:5], vcc
	s_cbranch_execz .LBB101_440
; %bb.434:
	ds_write2_b64 v127, v[5:6], v[7:8] offset1:1
	ds_write2_b64 v125, v[1:2], v[3:4] offset0:98 offset1:99
	ds_write2_b64 v125, v[73:74], v[75:76] offset0:100 offset1:101
	ds_read2_b64 v[97:100], v127 offset1:1
	s_waitcnt lgkmcnt(0)
	v_cmp_neq_f64_e32 vcc, 0, v[97:98]
	v_cmp_neq_f64_e64 s[2:3], 0, v[99:100]
	s_or_b64 s[2:3], vcc, s[2:3]
	s_and_b64 exec, exec, s[2:3]
	s_cbranch_execz .LBB101_440
; %bb.435:
	v_cmp_ngt_f64_e64 s[2:3], |v[97:98]|, |v[99:100]|
                                        ; implicit-def: $vgpr101_vgpr102
	s_and_saveexec_b64 s[6:7], s[2:3]
	s_xor_b64 s[2:3], exec, s[6:7]
                                        ; implicit-def: $vgpr103_vgpr104
	s_cbranch_execz .LBB101_437
; %bb.436:
	v_div_scale_f64 v[101:102], s[6:7], v[99:100], v[99:100], v[97:98]
	v_rcp_f64_e32 v[103:104], v[101:102]
	v_fma_f64 v[105:106], -v[101:102], v[103:104], 1.0
	v_fma_f64 v[103:104], v[103:104], v[105:106], v[103:104]
	v_div_scale_f64 v[105:106], vcc, v[97:98], v[99:100], v[97:98]
	v_fma_f64 v[107:108], -v[101:102], v[103:104], 1.0
	v_fma_f64 v[103:104], v[103:104], v[107:108], v[103:104]
	v_mul_f64 v[107:108], v[105:106], v[103:104]
	v_fma_f64 v[101:102], -v[101:102], v[107:108], v[105:106]
	v_div_fmas_f64 v[101:102], v[101:102], v[103:104], v[107:108]
	v_div_fixup_f64 v[101:102], v[101:102], v[99:100], v[97:98]
	v_fma_f64 v[97:98], v[97:98], v[101:102], v[99:100]
	v_div_scale_f64 v[99:100], s[6:7], v[97:98], v[97:98], 1.0
	v_div_scale_f64 v[107:108], vcc, 1.0, v[97:98], 1.0
	v_rcp_f64_e32 v[103:104], v[99:100]
	v_fma_f64 v[105:106], -v[99:100], v[103:104], 1.0
	v_fma_f64 v[103:104], v[103:104], v[105:106], v[103:104]
	v_fma_f64 v[105:106], -v[99:100], v[103:104], 1.0
	v_fma_f64 v[103:104], v[103:104], v[105:106], v[103:104]
	v_mul_f64 v[105:106], v[107:108], v[103:104]
	v_fma_f64 v[99:100], -v[99:100], v[105:106], v[107:108]
	v_div_fmas_f64 v[99:100], v[99:100], v[103:104], v[105:106]
	v_div_fixup_f64 v[103:104], v[99:100], v[97:98], 1.0
                                        ; implicit-def: $vgpr97_vgpr98
	v_mul_f64 v[101:102], v[101:102], v[103:104]
	v_xor_b32_e32 v104, 0x80000000, v104
.LBB101_437:
	s_andn2_saveexec_b64 s[2:3], s[2:3]
	s_cbranch_execz .LBB101_439
; %bb.438:
	v_div_scale_f64 v[101:102], s[6:7], v[97:98], v[97:98], v[99:100]
	v_rcp_f64_e32 v[103:104], v[101:102]
	v_fma_f64 v[105:106], -v[101:102], v[103:104], 1.0
	v_fma_f64 v[103:104], v[103:104], v[105:106], v[103:104]
	v_div_scale_f64 v[105:106], vcc, v[99:100], v[97:98], v[99:100]
	v_fma_f64 v[107:108], -v[101:102], v[103:104], 1.0
	v_fma_f64 v[103:104], v[103:104], v[107:108], v[103:104]
	v_mul_f64 v[107:108], v[105:106], v[103:104]
	v_fma_f64 v[101:102], -v[101:102], v[107:108], v[105:106]
	v_div_fmas_f64 v[101:102], v[101:102], v[103:104], v[107:108]
	v_div_fixup_f64 v[103:104], v[101:102], v[97:98], v[99:100]
	v_fma_f64 v[97:98], v[99:100], v[103:104], v[97:98]
	v_div_scale_f64 v[99:100], s[6:7], v[97:98], v[97:98], 1.0
	v_div_scale_f64 v[107:108], vcc, 1.0, v[97:98], 1.0
	v_rcp_f64_e32 v[101:102], v[99:100]
	v_fma_f64 v[105:106], -v[99:100], v[101:102], 1.0
	v_fma_f64 v[101:102], v[101:102], v[105:106], v[101:102]
	v_fma_f64 v[105:106], -v[99:100], v[101:102], 1.0
	v_fma_f64 v[101:102], v[101:102], v[105:106], v[101:102]
	v_mul_f64 v[105:106], v[107:108], v[101:102]
	v_fma_f64 v[99:100], -v[99:100], v[105:106], v[107:108]
	v_div_fmas_f64 v[99:100], v[99:100], v[101:102], v[105:106]
	v_div_fixup_f64 v[101:102], v[99:100], v[97:98], 1.0
	v_mul_f64 v[103:104], v[103:104], -v[101:102]
.LBB101_439:
	s_or_b64 exec, exec, s[2:3]
	ds_write2_b64 v127, v[101:102], v[103:104] offset1:1
.LBB101_440:
	s_or_b64 exec, exec, s[4:5]
	s_waitcnt lgkmcnt(0)
	s_barrier
	ds_read2_b64 v[69:72], v127 offset1:1
	v_cmp_lt_u32_e32 vcc, 48, v0
	s_and_saveexec_b64 s[2:3], vcc
	s_cbranch_execz .LBB101_442
; %bb.441:
	s_waitcnt lgkmcnt(0)
	v_mul_f64 v[97:98], v[69:70], v[7:8]
	v_mul_f64 v[7:8], v[71:72], v[7:8]
	v_fma_f64 v[105:106], v[71:72], v[5:6], v[97:98]
	ds_read2_b64 v[97:100], v125 offset0:98 offset1:99
	v_fma_f64 v[5:6], v[69:70], v[5:6], -v[7:8]
	s_waitcnt lgkmcnt(0)
	v_mul_f64 v[7:8], v[99:100], v[105:106]
	v_fma_f64 v[7:8], v[97:98], v[5:6], -v[7:8]
	v_mul_f64 v[97:98], v[97:98], v[105:106]
	v_add_f64 v[1:2], v[1:2], -v[7:8]
	v_fma_f64 v[97:98], v[99:100], v[5:6], v[97:98]
	v_add_f64 v[3:4], v[3:4], -v[97:98]
	ds_read2_b64 v[97:100], v125 offset0:100 offset1:101
	s_waitcnt lgkmcnt(0)
	v_mul_f64 v[7:8], v[99:100], v[105:106]
	v_fma_f64 v[7:8], v[97:98], v[5:6], -v[7:8]
	v_mul_f64 v[97:98], v[97:98], v[105:106]
	v_add_f64 v[73:74], v[73:74], -v[7:8]
	v_fma_f64 v[97:98], v[99:100], v[5:6], v[97:98]
	v_mov_b32_e32 v7, v105
	v_mov_b32_e32 v8, v106
	v_add_f64 v[75:76], v[75:76], -v[97:98]
.LBB101_442:
	s_or_b64 exec, exec, s[2:3]
	v_cmp_eq_u32_e32 vcc, 49, v0
	s_waitcnt lgkmcnt(0)
	s_barrier
	s_and_saveexec_b64 s[4:5], vcc
	s_cbranch_execz .LBB101_449
; %bb.443:
	ds_write2_b64 v127, v[1:2], v[3:4] offset1:1
	ds_write2_b64 v125, v[73:74], v[75:76] offset0:100 offset1:101
	ds_read2_b64 v[97:100], v127 offset1:1
	s_waitcnt lgkmcnt(0)
	v_cmp_neq_f64_e32 vcc, 0, v[97:98]
	v_cmp_neq_f64_e64 s[2:3], 0, v[99:100]
	s_or_b64 s[2:3], vcc, s[2:3]
	s_and_b64 exec, exec, s[2:3]
	s_cbranch_execz .LBB101_449
; %bb.444:
	v_cmp_ngt_f64_e64 s[2:3], |v[97:98]|, |v[99:100]|
                                        ; implicit-def: $vgpr105_vgpr106
	s_and_saveexec_b64 s[6:7], s[2:3]
	s_xor_b64 s[2:3], exec, s[6:7]
                                        ; implicit-def: $vgpr107_vgpr108
	s_cbranch_execz .LBB101_446
; %bb.445:
	v_div_scale_f64 v[105:106], s[6:7], v[99:100], v[99:100], v[97:98]
	v_mov_b32_e32 v77, v93
	v_mov_b32_e32 v78, v94
	;; [unrolled: 1-line block ×4, first 2 shown]
	v_div_scale_f64 v[95:96], vcc, v[97:98], v[99:100], v[97:98]
	v_rcp_f64_e32 v[107:108], v[105:106]
	v_fma_f64 v[93:94], -v[105:106], v[107:108], 1.0
	v_fma_f64 v[93:94], v[107:108], v[93:94], v[107:108]
	v_fma_f64 v[107:108], -v[105:106], v[93:94], 1.0
	v_fma_f64 v[93:94], v[93:94], v[107:108], v[93:94]
	v_mul_f64 v[107:108], v[95:96], v[93:94]
	v_fma_f64 v[95:96], -v[105:106], v[107:108], v[95:96]
	v_div_fmas_f64 v[93:94], v[95:96], v[93:94], v[107:108]
	v_div_fixup_f64 v[93:94], v[93:94], v[99:100], v[97:98]
	v_fma_f64 v[95:96], v[97:98], v[93:94], v[99:100]
	v_div_scale_f64 v[97:98], s[6:7], v[95:96], v[95:96], 1.0
	v_div_scale_f64 v[107:108], vcc, 1.0, v[95:96], 1.0
	v_rcp_f64_e32 v[99:100], v[97:98]
	v_fma_f64 v[105:106], -v[97:98], v[99:100], 1.0
	v_fma_f64 v[99:100], v[99:100], v[105:106], v[99:100]
	v_fma_f64 v[105:106], -v[97:98], v[99:100], 1.0
	v_fma_f64 v[99:100], v[99:100], v[105:106], v[99:100]
	v_mul_f64 v[105:106], v[107:108], v[99:100]
	v_fma_f64 v[97:98], -v[97:98], v[105:106], v[107:108]
	v_div_fmas_f64 v[97:98], v[97:98], v[99:100], v[105:106]
	v_div_fixup_f64 v[107:108], v[97:98], v[95:96], 1.0
                                        ; implicit-def: $vgpr97_vgpr98
	v_mul_f64 v[105:106], v[93:94], v[107:108]
	v_mov_b32_e32 v96, v80
	v_mov_b32_e32 v95, v79
	v_mov_b32_e32 v94, v78
	v_mov_b32_e32 v93, v77
	v_xor_b32_e32 v108, 0x80000000, v108
.LBB101_446:
	s_andn2_saveexec_b64 s[2:3], s[2:3]
	s_cbranch_execz .LBB101_448
; %bb.447:
	v_mov_b32_e32 v77, v117
	v_mov_b32_e32 v78, v118
	;; [unrolled: 1-line block ×8, first 2 shown]
	v_div_scale_f64 v[93:94], s[6:7], v[97:98], v[97:98], v[99:100]
	v_rcp_f64_e32 v[95:96], v[93:94]
	v_fma_f64 v[105:106], -v[93:94], v[95:96], 1.0
	v_fma_f64 v[95:96], v[95:96], v[105:106], v[95:96]
	v_div_scale_f64 v[105:106], vcc, v[99:100], v[97:98], v[99:100]
	v_fma_f64 v[107:108], -v[93:94], v[95:96], 1.0
	v_fma_f64 v[95:96], v[95:96], v[107:108], v[95:96]
	v_mul_f64 v[107:108], v[105:106], v[95:96]
	v_fma_f64 v[93:94], -v[93:94], v[107:108], v[105:106]
	v_div_fmas_f64 v[93:94], v[93:94], v[95:96], v[107:108]
	v_div_fixup_f64 v[93:94], v[93:94], v[97:98], v[99:100]
	v_fma_f64 v[95:96], v[99:100], v[93:94], v[97:98]
	v_div_scale_f64 v[97:98], s[6:7], v[95:96], v[95:96], 1.0
	v_div_scale_f64 v[107:108], vcc, 1.0, v[95:96], 1.0
	v_rcp_f64_e32 v[99:100], v[97:98]
	v_fma_f64 v[105:106], -v[97:98], v[99:100], 1.0
	v_fma_f64 v[99:100], v[99:100], v[105:106], v[99:100]
	v_fma_f64 v[105:106], -v[97:98], v[99:100], 1.0
	v_fma_f64 v[99:100], v[99:100], v[105:106], v[99:100]
	v_mul_f64 v[105:106], v[107:108], v[99:100]
	v_fma_f64 v[97:98], -v[97:98], v[105:106], v[107:108]
	v_div_fmas_f64 v[97:98], v[97:98], v[99:100], v[105:106]
	v_div_fixup_f64 v[105:106], v[97:98], v[95:96], 1.0
	v_mul_f64 v[107:108], v[93:94], -v[105:106]
	v_mov_b32_e32 v93, v117
	v_mov_b32_e32 v94, v118
	;; [unrolled: 1-line block ×8, first 2 shown]
.LBB101_448:
	s_or_b64 exec, exec, s[2:3]
	ds_write2_b64 v127, v[105:106], v[107:108] offset1:1
.LBB101_449:
	s_or_b64 exec, exec, s[4:5]
	s_waitcnt lgkmcnt(0)
	s_barrier
	ds_read2_b64 v[97:100], v127 offset1:1
	v_cmp_lt_u32_e32 vcc, 49, v0
	s_and_saveexec_b64 s[2:3], vcc
	s_cbranch_execz .LBB101_451
; %bb.450:
	v_mov_b32_e32 v77, v117
	v_mov_b32_e32 v78, v118
	;; [unrolled: 1-line block ×8, first 2 shown]
	s_waitcnt lgkmcnt(0)
	v_mul_f64 v[93:94], v[97:98], v[3:4]
	v_mul_f64 v[3:4], v[99:100], v[3:4]
	ds_read2_b64 v[105:108], v125 offset0:100 offset1:101
	v_fma_f64 v[93:94], v[99:100], v[1:2], v[93:94]
	v_fma_f64 v[1:2], v[97:98], v[1:2], -v[3:4]
	s_waitcnt lgkmcnt(0)
	v_mul_f64 v[3:4], v[107:108], v[93:94]
	v_mul_f64 v[95:96], v[105:106], v[93:94]
	v_fma_f64 v[3:4], v[105:106], v[1:2], -v[3:4]
	v_fma_f64 v[95:96], v[107:108], v[1:2], v[95:96]
	v_add_f64 v[73:74], v[73:74], -v[3:4]
	v_add_f64 v[75:76], v[75:76], -v[95:96]
	v_mov_b32_e32 v3, v93
	v_mov_b32_e32 v4, v94
	v_mov_b32_e32 v93, v117
	v_mov_b32_e32 v94, v118
	v_mov_b32_e32 v95, v119
	v_mov_b32_e32 v96, v120
	v_mov_b32_e32 v120, v80
	v_mov_b32_e32 v119, v79
	v_mov_b32_e32 v118, v78
	v_mov_b32_e32 v117, v77
.LBB101_451:
	s_or_b64 exec, exec, s[2:3]
	s_waitcnt lgkmcnt(0)
	s_barrier
	v_cmp_eq_u32_e32 vcc, 50, v0
	s_mov_b64 s[4:5], exec
	s_and_b64 s[2:3], s[4:5], vcc
	buffer_store_dword v73, off, s[20:23], 0 offset:448 ; 4-byte Folded Spill
	s_nop 0
	buffer_store_dword v74, off, s[20:23], 0 offset:452 ; 4-byte Folded Spill
	buffer_store_dword v75, off, s[20:23], 0 offset:456 ; 4-byte Folded Spill
	;; [unrolled: 1-line block ×3, first 2 shown]
	s_mov_b64 exec, s[2:3]
	s_cbranch_execz .LBB101_458
; %bb.452:
	v_cmp_neq_f64_e32 vcc, 0, v[73:74]
	v_cmp_neq_f64_e64 s[2:3], 0, v[75:76]
	ds_write2_b64 v127, v[73:74], v[75:76] offset1:1
	s_or_b64 s[2:3], vcc, s[2:3]
	s_and_b64 exec, exec, s[2:3]
	s_cbranch_execz .LBB101_458
; %bb.453:
	v_cmp_ngt_f64_e64 s[2:3], |v[73:74]|, |v[75:76]|
                                        ; implicit-def: $vgpr105_vgpr106
	s_and_saveexec_b64 s[6:7], s[2:3]
	s_xor_b64 s[2:3], exec, s[6:7]
                                        ; implicit-def: $vgpr107_vgpr108
	s_cbranch_execz .LBB101_455
; %bb.454:
	v_mov_b32_e32 v77, v93
	v_mov_b32_e32 v78, v94
	;; [unrolled: 1-line block ×4, first 2 shown]
	v_div_scale_f64 v[93:94], s[6:7], v[75:76], v[75:76], v[73:74]
	v_mov_b32_e32 v101, v117
	v_mov_b32_e32 v102, v118
	;; [unrolled: 1-line block ×10, first 2 shown]
	v_rcp_f64_e32 v[95:96], v[93:94]
	v_fma_f64 v[105:106], -v[93:94], v[95:96], 1.0
	v_fma_f64 v[95:96], v[95:96], v[105:106], v[95:96]
	v_div_scale_f64 v[105:106], vcc, v[73:74], v[75:76], v[73:74]
	v_fma_f64 v[107:108], -v[93:94], v[95:96], 1.0
	v_fma_f64 v[95:96], v[95:96], v[107:108], v[95:96]
	v_mul_f64 v[107:108], v[105:106], v[95:96]
	v_fma_f64 v[93:94], -v[93:94], v[107:108], v[105:106]
	v_div_fmas_f64 v[93:94], v[93:94], v[95:96], v[107:108]
	v_div_fixup_f64 v[93:94], v[93:94], v[75:76], v[73:74]
	v_fma_f64 v[95:96], v[73:74], v[93:94], v[75:76]
	v_mov_b32_e32 v73, v121
	v_mov_b32_e32 v74, v122
	v_mov_b32_e32 v75, v123
	v_mov_b32_e32 v76, v124
	v_mov_b32_e32 v122, v112
	v_mov_b32_e32 v121, v111
	v_mov_b32_e32 v120, v110
	v_mov_b32_e32 v119, v109
	v_mov_b32_e32 v112, v4
	v_mov_b32_e32 v111, v3
	v_mov_b32_e32 v110, v2
	v_mov_b32_e32 v109, v1
	v_mov_b32_e32 v1, v5
	v_mov_b32_e32 v2, v6
	v_mov_b32_e32 v3, v7
	v_mov_b32_e32 v4, v8
	v_mov_b32_e32 v5, v9
	v_mov_b32_e32 v6, v10
	v_mov_b32_e32 v7, v11
	v_mov_b32_e32 v8, v12
	v_mov_b32_e32 v9, v13
	v_mov_b32_e32 v10, v14
	v_mov_b32_e32 v11, v15
	v_mov_b32_e32 v12, v16
	v_mov_b32_e32 v13, v17
	v_div_scale_f64 v[105:106], s[6:7], v[95:96], v[95:96], 1.0
	v_mov_b32_e32 v14, v18
	v_mov_b32_e32 v15, v19
	;; [unrolled: 1-line block ×60, first 2 shown]
	v_rcp_f64_e32 v[107:108], v[105:106]
	v_mov_b32_e32 v47, v43
	v_mov_b32_e32 v46, v42
	;; [unrolled: 1-line block ×59, first 2 shown]
	buffer_load_dword v73, off, s[20:23], 0 offset:448 ; 4-byte Folded Reload
	buffer_load_dword v74, off, s[20:23], 0 offset:452 ; 4-byte Folded Reload
	;; [unrolled: 1-line block ×4, first 2 shown]
	v_fma_f64 v[125:126], -v[105:106], v[107:108], 1.0
	v_div_scale_f64 v[89:90], vcc, 1.0, v[95:96], 1.0
	v_fma_f64 v[107:108], v[107:108], v[125:126], v[107:108]
	v_fma_f64 v[125:126], -v[105:106], v[107:108], 1.0
	v_fma_f64 v[91:92], v[107:108], v[125:126], v[107:108]
	v_mul_f64 v[107:108], v[89:90], v[91:92]
	v_fma_f64 v[89:90], -v[105:106], v[107:108], v[89:90]
	v_div_fmas_f64 v[89:90], v[89:90], v[91:92], v[107:108]
	v_mov_b32_e32 v91, v117
	v_mov_b32_e32 v92, v118
	;; [unrolled: 1-line block ×6, first 2 shown]
	v_div_fixup_f64 v[107:108], v[89:90], v[95:96], 1.0
	v_mul_f64 v[105:106], v[93:94], v[107:108]
	v_mov_b32_e32 v96, v80
	v_mov_b32_e32 v95, v79
	;; [unrolled: 1-line block ×4, first 2 shown]
	v_xor_b32_e32 v108, 0x80000000, v108
.LBB101_455:
	s_andn2_saveexec_b64 s[2:3], s[2:3]
	s_cbranch_execz .LBB101_457
; %bb.456:
	s_waitcnt vmcnt(0)
	v_div_scale_f64 v[89:90], s[6:7], v[73:74], v[73:74], v[75:76]
	v_mov_b32_e32 v126, v92
	v_mov_b32_e32 v125, v91
	;; [unrolled: 1-line block ×6, first 2 shown]
	v_rcp_f64_e32 v[91:92], v[89:90]
	v_fma_f64 v[93:94], -v[89:90], v[91:92], 1.0
	v_fma_f64 v[91:92], v[91:92], v[93:94], v[91:92]
	v_div_scale_f64 v[93:94], vcc, v[75:76], v[73:74], v[75:76]
	v_fma_f64 v[95:96], -v[89:90], v[91:92], 1.0
	v_fma_f64 v[91:92], v[91:92], v[95:96], v[91:92]
	v_mul_f64 v[95:96], v[93:94], v[91:92]
	v_fma_f64 v[89:90], -v[89:90], v[95:96], v[93:94]
	v_div_fmas_f64 v[89:90], v[89:90], v[91:92], v[95:96]
	v_div_fixup_f64 v[89:90], v[89:90], v[73:74], v[75:76]
	v_fma_f64 v[91:92], v[75:76], v[89:90], v[73:74]
	v_div_scale_f64 v[93:94], s[6:7], v[91:92], v[91:92], 1.0
	v_div_scale_f64 v[107:108], vcc, 1.0, v[91:92], 1.0
	v_rcp_f64_e32 v[95:96], v[93:94]
	v_fma_f64 v[105:106], -v[93:94], v[95:96], 1.0
	v_fma_f64 v[95:96], v[95:96], v[105:106], v[95:96]
	v_fma_f64 v[105:106], -v[93:94], v[95:96], 1.0
	v_fma_f64 v[95:96], v[95:96], v[105:106], v[95:96]
	v_mul_f64 v[105:106], v[107:108], v[95:96]
	v_fma_f64 v[93:94], -v[93:94], v[105:106], v[107:108]
	v_div_fmas_f64 v[93:94], v[93:94], v[95:96], v[105:106]
	v_div_fixup_f64 v[105:106], v[93:94], v[91:92], 1.0
	v_mov_b32_e32 v96, v80
	v_mov_b32_e32 v91, v125
	;; [unrolled: 1-line block ×6, first 2 shown]
	v_mul_f64 v[107:108], v[89:90], -v[105:106]
.LBB101_457:
	s_or_b64 exec, exec, s[2:3]
	ds_write2_b64 v127, v[105:106], v[107:108] offset1:1
.LBB101_458:
	s_or_b64 exec, exec, s[4:5]
	s_waitcnt vmcnt(0) lgkmcnt(0)
	s_barrier
	ds_read2_b64 v[105:108], v127 offset1:1
	s_waitcnt lgkmcnt(0)
	s_barrier
	s_and_saveexec_b64 s[2:3], s[0:1]
	s_cbranch_execz .LBB101_461
; %bb.459:
	buffer_load_dword v73, off, s[20:23], 0 offset:848 ; 4-byte Folded Reload
	buffer_load_dword v74, off, s[20:23], 0 offset:852 ; 4-byte Folded Reload
	;; [unrolled: 1-line block ×4, first 2 shown]
	s_waitcnt vmcnt(2)
	v_cmp_eq_f64_e32 vcc, 0, v[73:74]
	s_waitcnt vmcnt(0)
	v_cmp_eq_f64_e64 s[0:1], 0, v[75:76]
	buffer_load_dword v73, off, s[20:23], 0 offset:864 ; 4-byte Folded Reload
	buffer_load_dword v74, off, s[20:23], 0 offset:868 ; 4-byte Folded Reload
	;; [unrolled: 1-line block ×4, first 2 shown]
	s_and_b64 s[4:5], vcc, s[0:1]
	v_cndmask_b32_e64 v89, 0, 1, s[4:5]
	s_waitcnt vmcnt(2)
	v_cmp_neq_f64_e32 vcc, 0, v[73:74]
	s_waitcnt vmcnt(0)
	v_cmp_neq_f64_e64 s[0:1], 0, v[75:76]
	buffer_load_dword v73, off, s[20:23], 0 offset:880 ; 4-byte Folded Reload
	buffer_load_dword v74, off, s[20:23], 0 offset:884 ; 4-byte Folded Reload
	buffer_load_dword v75, off, s[20:23], 0 offset:888 ; 4-byte Folded Reload
	buffer_load_dword v76, off, s[20:23], 0 offset:892 ; 4-byte Folded Reload
	s_or_b64 s[0:1], vcc, s[0:1]
	s_or_b64 vcc, s[0:1], s[4:5]
	v_cndmask_b32_e32 v89, 2, v89, vcc
	s_waitcnt vmcnt(2)
	v_cmp_eq_f64_e32 vcc, 0, v[73:74]
	s_waitcnt vmcnt(0)
	v_cmp_eq_f64_e64 s[0:1], 0, v[75:76]
	buffer_load_dword v73, off, s[20:23], 0 offset:896 ; 4-byte Folded Reload
	buffer_load_dword v74, off, s[20:23], 0 offset:900 ; 4-byte Folded Reload
	buffer_load_dword v75, off, s[20:23], 0 offset:904 ; 4-byte Folded Reload
	buffer_load_dword v76, off, s[20:23], 0 offset:908 ; 4-byte Folded Reload
	s_and_b64 s[0:1], vcc, s[0:1]
	v_cmp_eq_u32_e32 vcc, 0, v89
	s_and_b64 s[0:1], s[0:1], vcc
	v_cndmask_b32_e64 v89, v89, 3, s[0:1]
	s_waitcnt vmcnt(2)
	v_cmp_eq_f64_e32 vcc, 0, v[73:74]
	s_waitcnt vmcnt(0)
	v_cmp_eq_f64_e64 s[0:1], 0, v[75:76]
	buffer_load_dword v73, off, s[20:23], 0 offset:912 ; 4-byte Folded Reload
	buffer_load_dword v74, off, s[20:23], 0 offset:916 ; 4-byte Folded Reload
	buffer_load_dword v75, off, s[20:23], 0 offset:920 ; 4-byte Folded Reload
	buffer_load_dword v76, off, s[20:23], 0 offset:924 ; 4-byte Folded Reload
	s_and_b64 s[0:1], vcc, s[0:1]
	v_cmp_eq_u32_e32 vcc, 0, v89
	s_and_b64 s[0:1], s[0:1], vcc
	v_cndmask_b32_e64 v89, v89, 4, s[0:1]
	s_waitcnt vmcnt(2)
	v_cmp_eq_f64_e32 vcc, 0, v[73:74]
	s_waitcnt vmcnt(0)
	v_cmp_eq_f64_e64 s[0:1], 0, v[75:76]
	buffer_load_dword v73, off, s[20:23], 0 offset:928 ; 4-byte Folded Reload
	buffer_load_dword v74, off, s[20:23], 0 offset:932 ; 4-byte Folded Reload
	buffer_load_dword v75, off, s[20:23], 0 offset:936 ; 4-byte Folded Reload
	buffer_load_dword v76, off, s[20:23], 0 offset:940 ; 4-byte Folded Reload
	s_and_b64 s[0:1], vcc, s[0:1]
	v_cmp_eq_u32_e32 vcc, 0, v89
	s_and_b64 s[0:1], s[0:1], vcc
	v_cndmask_b32_e64 v89, v89, 5, s[0:1]
	s_waitcnt vmcnt(2)
	v_cmp_eq_f64_e32 vcc, 0, v[73:74]
	s_waitcnt vmcnt(0)
	v_cmp_eq_f64_e64 s[0:1], 0, v[75:76]
	buffer_load_dword v73, off, s[20:23], 0 offset:944 ; 4-byte Folded Reload
	buffer_load_dword v74, off, s[20:23], 0 offset:948 ; 4-byte Folded Reload
	buffer_load_dword v75, off, s[20:23], 0 offset:952 ; 4-byte Folded Reload
	buffer_load_dword v76, off, s[20:23], 0 offset:956 ; 4-byte Folded Reload
	s_and_b64 s[0:1], vcc, s[0:1]
	v_cmp_eq_u32_e32 vcc, 0, v89
	s_and_b64 s[0:1], s[0:1], vcc
	v_cndmask_b32_e64 v89, v89, 6, s[0:1]
	s_waitcnt vmcnt(2)
	v_cmp_eq_f64_e32 vcc, 0, v[73:74]
	s_waitcnt vmcnt(0)
	v_cmp_eq_f64_e64 s[0:1], 0, v[75:76]
	buffer_load_dword v73, off, s[20:23], 0 offset:960 ; 4-byte Folded Reload
	buffer_load_dword v74, off, s[20:23], 0 offset:964 ; 4-byte Folded Reload
	buffer_load_dword v75, off, s[20:23], 0 offset:968 ; 4-byte Folded Reload
	buffer_load_dword v76, off, s[20:23], 0 offset:972 ; 4-byte Folded Reload
	s_and_b64 s[0:1], vcc, s[0:1]
	v_cmp_eq_u32_e32 vcc, 0, v89
	s_and_b64 s[0:1], s[0:1], vcc
	v_cndmask_b32_e64 v89, v89, 7, s[0:1]
	s_waitcnt vmcnt(2)
	v_cmp_eq_f64_e32 vcc, 0, v[73:74]
	s_waitcnt vmcnt(0)
	v_cmp_eq_f64_e64 s[0:1], 0, v[75:76]
	buffer_load_dword v73, off, s[20:23], 0 offset:976 ; 4-byte Folded Reload
	buffer_load_dword v74, off, s[20:23], 0 offset:980 ; 4-byte Folded Reload
	buffer_load_dword v75, off, s[20:23], 0 offset:984 ; 4-byte Folded Reload
	buffer_load_dword v76, off, s[20:23], 0 offset:988 ; 4-byte Folded Reload
	s_and_b64 s[0:1], vcc, s[0:1]
	v_cmp_eq_u32_e32 vcc, 0, v89
	s_and_b64 s[0:1], s[0:1], vcc
	v_cndmask_b32_e64 v89, v89, 8, s[0:1]
	s_waitcnt vmcnt(2)
	v_cmp_eq_f64_e32 vcc, 0, v[73:74]
	s_waitcnt vmcnt(0)
	v_cmp_eq_f64_e64 s[0:1], 0, v[75:76]
	buffer_load_dword v73, off, s[20:23], 0 offset:992 ; 4-byte Folded Reload
	buffer_load_dword v74, off, s[20:23], 0 offset:996 ; 4-byte Folded Reload
	buffer_load_dword v75, off, s[20:23], 0 offset:1000 ; 4-byte Folded Reload
	buffer_load_dword v76, off, s[20:23], 0 offset:1004 ; 4-byte Folded Reload
	s_and_b64 s[0:1], vcc, s[0:1]
	v_cmp_eq_u32_e32 vcc, 0, v89
	s_and_b64 s[0:1], s[0:1], vcc
	v_cndmask_b32_e64 v89, v89, 9, s[0:1]
	s_waitcnt vmcnt(2)
	v_cmp_eq_f64_e32 vcc, 0, v[73:74]
	s_waitcnt vmcnt(0)
	v_cmp_eq_f64_e64 s[0:1], 0, v[75:76]
	buffer_load_dword v73, off, s[20:23], 0 offset:1008 ; 4-byte Folded Reload
	buffer_load_dword v74, off, s[20:23], 0 offset:1012 ; 4-byte Folded Reload
	buffer_load_dword v75, off, s[20:23], 0 offset:1016 ; 4-byte Folded Reload
	buffer_load_dword v76, off, s[20:23], 0 offset:1020 ; 4-byte Folded Reload
	s_and_b64 s[0:1], vcc, s[0:1]
	v_cmp_eq_u32_e32 vcc, 0, v89
	s_and_b64 s[0:1], s[0:1], vcc
	v_cndmask_b32_e64 v89, v89, 10, s[0:1]
	s_waitcnt vmcnt(2)
	v_cmp_eq_f64_e32 vcc, 0, v[73:74]
	s_waitcnt vmcnt(0)
	v_cmp_eq_f64_e64 s[0:1], 0, v[75:76]
	buffer_load_dword v73, off, s[20:23], 0 offset:1024 ; 4-byte Folded Reload
	buffer_load_dword v74, off, s[20:23], 0 offset:1028 ; 4-byte Folded Reload
	buffer_load_dword v75, off, s[20:23], 0 offset:1032 ; 4-byte Folded Reload
	buffer_load_dword v76, off, s[20:23], 0 offset:1036 ; 4-byte Folded Reload
	s_and_b64 s[0:1], vcc, s[0:1]
	v_cmp_eq_u32_e32 vcc, 0, v89
	s_and_b64 s[0:1], s[0:1], vcc
	v_cndmask_b32_e64 v89, v89, 11, s[0:1]
	s_waitcnt vmcnt(2)
	v_cmp_eq_f64_e32 vcc, 0, v[73:74]
	s_waitcnt vmcnt(0)
	v_cmp_eq_f64_e64 s[0:1], 0, v[75:76]
	buffer_load_dword v73, off, s[20:23], 0 offset:1040 ; 4-byte Folded Reload
	buffer_load_dword v74, off, s[20:23], 0 offset:1044 ; 4-byte Folded Reload
	buffer_load_dword v75, off, s[20:23], 0 offset:1048 ; 4-byte Folded Reload
	buffer_load_dword v76, off, s[20:23], 0 offset:1052 ; 4-byte Folded Reload
	s_and_b64 s[0:1], vcc, s[0:1]
	v_cmp_eq_u32_e32 vcc, 0, v89
	s_and_b64 s[0:1], s[0:1], vcc
	v_cndmask_b32_e64 v89, v89, 12, s[0:1]
	s_waitcnt vmcnt(2)
	v_cmp_eq_f64_e32 vcc, 0, v[73:74]
	s_waitcnt vmcnt(0)
	v_cmp_eq_f64_e64 s[0:1], 0, v[75:76]
	buffer_load_dword v73, off, s[20:23], 0 offset:1056 ; 4-byte Folded Reload
	buffer_load_dword v74, off, s[20:23], 0 offset:1060 ; 4-byte Folded Reload
	buffer_load_dword v75, off, s[20:23], 0 offset:1064 ; 4-byte Folded Reload
	buffer_load_dword v76, off, s[20:23], 0 offset:1068 ; 4-byte Folded Reload
	s_and_b64 s[0:1], vcc, s[0:1]
	v_cmp_eq_u32_e32 vcc, 0, v89
	s_and_b64 s[0:1], s[0:1], vcc
	v_cndmask_b32_e64 v89, v89, 13, s[0:1]
	s_waitcnt vmcnt(2)
	v_cmp_eq_f64_e32 vcc, 0, v[73:74]
	s_waitcnt vmcnt(0)
	v_cmp_eq_f64_e64 s[0:1], 0, v[75:76]
	buffer_load_dword v73, off, s[20:23], 0 offset:1072 ; 4-byte Folded Reload
	buffer_load_dword v74, off, s[20:23], 0 offset:1076 ; 4-byte Folded Reload
	buffer_load_dword v75, off, s[20:23], 0 offset:1080 ; 4-byte Folded Reload
	buffer_load_dword v76, off, s[20:23], 0 offset:1084 ; 4-byte Folded Reload
	s_and_b64 s[0:1], vcc, s[0:1]
	v_cmp_eq_u32_e32 vcc, 0, v89
	s_and_b64 s[0:1], s[0:1], vcc
	v_cndmask_b32_e64 v89, v89, 14, s[0:1]
	s_waitcnt vmcnt(2)
	v_cmp_eq_f64_e32 vcc, 0, v[73:74]
	s_waitcnt vmcnt(0)
	v_cmp_eq_f64_e64 s[0:1], 0, v[75:76]
	buffer_load_dword v73, off, s[20:23], 0 offset:1088 ; 4-byte Folded Reload
	buffer_load_dword v74, off, s[20:23], 0 offset:1092 ; 4-byte Folded Reload
	buffer_load_dword v75, off, s[20:23], 0 offset:1096 ; 4-byte Folded Reload
	buffer_load_dword v76, off, s[20:23], 0 offset:1100 ; 4-byte Folded Reload
	s_and_b64 s[0:1], vcc, s[0:1]
	v_cmp_eq_u32_e32 vcc, 0, v89
	s_and_b64 s[0:1], s[0:1], vcc
	v_cndmask_b32_e64 v89, v89, 15, s[0:1]
	s_waitcnt vmcnt(2)
	v_cmp_eq_f64_e32 vcc, 0, v[73:74]
	s_waitcnt vmcnt(0)
	v_cmp_eq_f64_e64 s[0:1], 0, v[75:76]
	buffer_load_dword v73, off, s[20:23], 0 offset:1104 ; 4-byte Folded Reload
	buffer_load_dword v74, off, s[20:23], 0 offset:1108 ; 4-byte Folded Reload
	buffer_load_dword v75, off, s[20:23], 0 offset:1112 ; 4-byte Folded Reload
	buffer_load_dword v76, off, s[20:23], 0 offset:1116 ; 4-byte Folded Reload
	s_and_b64 s[0:1], vcc, s[0:1]
	v_cmp_eq_u32_e32 vcc, 0, v89
	s_and_b64 s[0:1], s[0:1], vcc
	v_cndmask_b32_e64 v89, v89, 16, s[0:1]
	s_waitcnt vmcnt(2)
	v_cmp_eq_f64_e32 vcc, 0, v[73:74]
	s_waitcnt vmcnt(0)
	v_cmp_eq_f64_e64 s[0:1], 0, v[75:76]
	buffer_load_dword v73, off, s[20:23], 0 offset:1120 ; 4-byte Folded Reload
	buffer_load_dword v74, off, s[20:23], 0 offset:1124 ; 4-byte Folded Reload
	buffer_load_dword v75, off, s[20:23], 0 offset:1128 ; 4-byte Folded Reload
	buffer_load_dword v76, off, s[20:23], 0 offset:1132 ; 4-byte Folded Reload
	s_and_b64 s[0:1], vcc, s[0:1]
	v_cmp_eq_u32_e32 vcc, 0, v89
	s_and_b64 s[0:1], s[0:1], vcc
	v_cndmask_b32_e64 v89, v89, 17, s[0:1]
	s_waitcnt vmcnt(2)
	v_cmp_eq_f64_e32 vcc, 0, v[73:74]
	s_waitcnt vmcnt(0)
	v_cmp_eq_f64_e64 s[0:1], 0, v[75:76]
	buffer_load_dword v73, off, s[20:23], 0 offset:1136 ; 4-byte Folded Reload
	buffer_load_dword v74, off, s[20:23], 0 offset:1140 ; 4-byte Folded Reload
	buffer_load_dword v75, off, s[20:23], 0 offset:1144 ; 4-byte Folded Reload
	buffer_load_dword v76, off, s[20:23], 0 offset:1148 ; 4-byte Folded Reload
	s_and_b64 s[0:1], vcc, s[0:1]
	v_cmp_eq_u32_e32 vcc, 0, v89
	s_and_b64 s[0:1], s[0:1], vcc
	v_cndmask_b32_e64 v89, v89, 18, s[0:1]
	s_waitcnt vmcnt(2)
	v_cmp_eq_f64_e32 vcc, 0, v[73:74]
	s_waitcnt vmcnt(0)
	v_cmp_eq_f64_e64 s[0:1], 0, v[75:76]
	buffer_load_dword v73, off, s[20:23], 0 offset:1152 ; 4-byte Folded Reload
	buffer_load_dword v74, off, s[20:23], 0 offset:1156 ; 4-byte Folded Reload
	buffer_load_dword v75, off, s[20:23], 0 offset:1160 ; 4-byte Folded Reload
	buffer_load_dword v76, off, s[20:23], 0 offset:1164 ; 4-byte Folded Reload
	s_and_b64 s[0:1], vcc, s[0:1]
	v_cmp_eq_u32_e32 vcc, 0, v89
	s_and_b64 s[0:1], s[0:1], vcc
	v_cndmask_b32_e64 v89, v89, 19, s[0:1]
	s_waitcnt vmcnt(2)
	v_cmp_eq_f64_e32 vcc, 0, v[73:74]
	s_waitcnt vmcnt(0)
	v_cmp_eq_f64_e64 s[0:1], 0, v[75:76]
	buffer_load_dword v73, off, s[20:23], 0 offset:1168 ; 4-byte Folded Reload
	buffer_load_dword v74, off, s[20:23], 0 offset:1172 ; 4-byte Folded Reload
	buffer_load_dword v75, off, s[20:23], 0 offset:1176 ; 4-byte Folded Reload
	buffer_load_dword v76, off, s[20:23], 0 offset:1180 ; 4-byte Folded Reload
	s_and_b64 s[0:1], vcc, s[0:1]
	v_cmp_eq_u32_e32 vcc, 0, v89
	s_and_b64 s[0:1], s[0:1], vcc
	v_cndmask_b32_e64 v89, v89, 20, s[0:1]
	s_waitcnt vmcnt(2)
	v_cmp_eq_f64_e32 vcc, 0, v[73:74]
	s_waitcnt vmcnt(0)
	v_cmp_eq_f64_e64 s[0:1], 0, v[75:76]
	buffer_load_dword v73, off, s[20:23], 0 offset:1184 ; 4-byte Folded Reload
	buffer_load_dword v74, off, s[20:23], 0 offset:1188 ; 4-byte Folded Reload
	buffer_load_dword v75, off, s[20:23], 0 offset:1192 ; 4-byte Folded Reload
	buffer_load_dword v76, off, s[20:23], 0 offset:1196 ; 4-byte Folded Reload
	s_and_b64 s[0:1], vcc, s[0:1]
	v_cmp_eq_u32_e32 vcc, 0, v89
	s_and_b64 s[0:1], s[0:1], vcc
	v_cndmask_b32_e64 v89, v89, 21, s[0:1]
	s_waitcnt vmcnt(2)
	v_cmp_eq_f64_e32 vcc, 0, v[73:74]
	s_waitcnt vmcnt(0)
	v_cmp_eq_f64_e64 s[0:1], 0, v[75:76]
	buffer_load_dword v73, off, s[20:23], 0 offset:1200 ; 4-byte Folded Reload
	buffer_load_dword v74, off, s[20:23], 0 offset:1204 ; 4-byte Folded Reload
	buffer_load_dword v75, off, s[20:23], 0 offset:1208 ; 4-byte Folded Reload
	buffer_load_dword v76, off, s[20:23], 0 offset:1212 ; 4-byte Folded Reload
	s_and_b64 s[0:1], vcc, s[0:1]
	v_cmp_eq_u32_e32 vcc, 0, v89
	s_and_b64 s[0:1], s[0:1], vcc
	v_cndmask_b32_e64 v89, v89, 22, s[0:1]
	s_waitcnt vmcnt(2)
	v_cmp_eq_f64_e32 vcc, 0, v[73:74]
	s_waitcnt vmcnt(0)
	v_cmp_eq_f64_e64 s[0:1], 0, v[75:76]
	buffer_load_dword v73, off, s[20:23], 0 offset:1216 ; 4-byte Folded Reload
	buffer_load_dword v74, off, s[20:23], 0 offset:1220 ; 4-byte Folded Reload
	buffer_load_dword v75, off, s[20:23], 0 offset:1224 ; 4-byte Folded Reload
	buffer_load_dword v76, off, s[20:23], 0 offset:1228 ; 4-byte Folded Reload
	s_and_b64 s[0:1], vcc, s[0:1]
	v_cmp_eq_u32_e32 vcc, 0, v89
	s_and_b64 s[0:1], s[0:1], vcc
	v_cndmask_b32_e64 v89, v89, 23, s[0:1]
	s_waitcnt vmcnt(2)
	v_cmp_eq_f64_e32 vcc, 0, v[73:74]
	s_waitcnt vmcnt(0)
	v_cmp_eq_f64_e64 s[0:1], 0, v[75:76]
	buffer_load_dword v73, off, s[20:23], 0 offset:1232 ; 4-byte Folded Reload
	buffer_load_dword v74, off, s[20:23], 0 offset:1236 ; 4-byte Folded Reload
	buffer_load_dword v75, off, s[20:23], 0 offset:1240 ; 4-byte Folded Reload
	buffer_load_dword v76, off, s[20:23], 0 offset:1244 ; 4-byte Folded Reload
	s_and_b64 s[0:1], vcc, s[0:1]
	v_cmp_eq_u32_e32 vcc, 0, v89
	s_and_b64 s[0:1], s[0:1], vcc
	v_cndmask_b32_e64 v89, v89, 24, s[0:1]
	s_waitcnt vmcnt(2)
	v_cmp_eq_f64_e32 vcc, 0, v[73:74]
	s_waitcnt vmcnt(0)
	v_cmp_eq_f64_e64 s[0:1], 0, v[75:76]
	buffer_load_dword v73, off, s[20:23], 0 offset:1248 ; 4-byte Folded Reload
	buffer_load_dword v74, off, s[20:23], 0 offset:1252 ; 4-byte Folded Reload
	buffer_load_dword v75, off, s[20:23], 0 offset:1256 ; 4-byte Folded Reload
	buffer_load_dword v76, off, s[20:23], 0 offset:1260 ; 4-byte Folded Reload
	s_and_b64 s[0:1], vcc, s[0:1]
	v_cmp_eq_u32_e32 vcc, 0, v89
	s_and_b64 s[0:1], s[0:1], vcc
	v_cndmask_b32_e64 v89, v89, 25, s[0:1]
	s_waitcnt vmcnt(2)
	v_cmp_eq_f64_e32 vcc, 0, v[73:74]
	s_waitcnt vmcnt(0)
	v_cmp_eq_f64_e64 s[0:1], 0, v[75:76]
	buffer_load_dword v73, off, s[20:23], 0 offset:1264 ; 4-byte Folded Reload
	buffer_load_dword v74, off, s[20:23], 0 offset:1268 ; 4-byte Folded Reload
	buffer_load_dword v75, off, s[20:23], 0 offset:1272 ; 4-byte Folded Reload
	buffer_load_dword v76, off, s[20:23], 0 offset:1276 ; 4-byte Folded Reload
	s_and_b64 s[0:1], vcc, s[0:1]
	v_cmp_eq_u32_e32 vcc, 0, v89
	s_and_b64 s[0:1], s[0:1], vcc
	v_cndmask_b32_e64 v89, v89, 26, s[0:1]
	s_waitcnt vmcnt(2)
	v_cmp_eq_f64_e32 vcc, 0, v[73:74]
	s_waitcnt vmcnt(0)
	v_cmp_eq_f64_e64 s[0:1], 0, v[75:76]
	buffer_load_dword v73, off, s[20:23], 0 offset:1280 ; 4-byte Folded Reload
	buffer_load_dword v74, off, s[20:23], 0 offset:1284 ; 4-byte Folded Reload
	buffer_load_dword v75, off, s[20:23], 0 offset:1288 ; 4-byte Folded Reload
	buffer_load_dword v76, off, s[20:23], 0 offset:1292 ; 4-byte Folded Reload
	s_and_b64 s[0:1], vcc, s[0:1]
	v_cmp_eq_u32_e32 vcc, 0, v89
	s_and_b64 s[0:1], s[0:1], vcc
	v_cndmask_b32_e64 v89, v89, 27, s[0:1]
	s_waitcnt vmcnt(2)
	v_cmp_eq_f64_e32 vcc, 0, v[73:74]
	s_waitcnt vmcnt(0)
	v_cmp_eq_f64_e64 s[0:1], 0, v[75:76]
	buffer_load_dword v73, off, s[20:23], 0 offset:1296 ; 4-byte Folded Reload
	buffer_load_dword v74, off, s[20:23], 0 offset:1300 ; 4-byte Folded Reload
	buffer_load_dword v75, off, s[20:23], 0 offset:1304 ; 4-byte Folded Reload
	buffer_load_dword v76, off, s[20:23], 0 offset:1308 ; 4-byte Folded Reload
	s_and_b64 s[0:1], vcc, s[0:1]
	v_cmp_eq_u32_e32 vcc, 0, v89
	s_and_b64 s[0:1], s[0:1], vcc
	v_cndmask_b32_e64 v89, v89, 28, s[0:1]
	s_waitcnt vmcnt(2)
	v_cmp_eq_f64_e32 vcc, 0, v[73:74]
	s_waitcnt vmcnt(0)
	v_cmp_eq_f64_e64 s[0:1], 0, v[75:76]
	buffer_load_dword v73, off, s[20:23], 0 offset:1312 ; 4-byte Folded Reload
	buffer_load_dword v74, off, s[20:23], 0 offset:1316 ; 4-byte Folded Reload
	buffer_load_dword v75, off, s[20:23], 0 offset:1320 ; 4-byte Folded Reload
	buffer_load_dword v76, off, s[20:23], 0 offset:1324 ; 4-byte Folded Reload
	s_and_b64 s[0:1], vcc, s[0:1]
	v_cmp_eq_u32_e32 vcc, 0, v89
	s_and_b64 s[0:1], s[0:1], vcc
	v_cndmask_b32_e64 v89, v89, 29, s[0:1]
	s_waitcnt vmcnt(2)
	v_cmp_eq_f64_e32 vcc, 0, v[73:74]
	s_waitcnt vmcnt(0)
	v_cmp_eq_f64_e64 s[0:1], 0, v[75:76]
	buffer_load_dword v73, off, s[20:23], 0 offset:1328 ; 4-byte Folded Reload
	buffer_load_dword v74, off, s[20:23], 0 offset:1332 ; 4-byte Folded Reload
	buffer_load_dword v75, off, s[20:23], 0 offset:1336 ; 4-byte Folded Reload
	buffer_load_dword v76, off, s[20:23], 0 offset:1340 ; 4-byte Folded Reload
	s_and_b64 s[0:1], vcc, s[0:1]
	v_cmp_eq_u32_e32 vcc, 0, v89
	s_and_b64 s[0:1], s[0:1], vcc
	v_cndmask_b32_e64 v89, v89, 30, s[0:1]
	s_waitcnt vmcnt(2)
	v_cmp_eq_f64_e32 vcc, 0, v[73:74]
	s_waitcnt vmcnt(0)
	v_cmp_eq_f64_e64 s[0:1], 0, v[75:76]
	buffer_load_dword v73, off, s[20:23], 0 offset:1344 ; 4-byte Folded Reload
	buffer_load_dword v74, off, s[20:23], 0 offset:1348 ; 4-byte Folded Reload
	buffer_load_dword v75, off, s[20:23], 0 offset:1352 ; 4-byte Folded Reload
	buffer_load_dword v76, off, s[20:23], 0 offset:1356 ; 4-byte Folded Reload
	s_and_b64 s[0:1], vcc, s[0:1]
	v_cmp_eq_u32_e32 vcc, 0, v89
	s_and_b64 s[0:1], s[0:1], vcc
	v_cndmask_b32_e64 v89, v89, 31, s[0:1]
	s_waitcnt vmcnt(2)
	v_cmp_eq_f64_e32 vcc, 0, v[73:74]
	s_waitcnt vmcnt(0)
	v_cmp_eq_f64_e64 s[0:1], 0, v[75:76]
	buffer_load_dword v73, off, s[20:23], 0 offset:1360 ; 4-byte Folded Reload
	buffer_load_dword v74, off, s[20:23], 0 offset:1364 ; 4-byte Folded Reload
	buffer_load_dword v75, off, s[20:23], 0 offset:1368 ; 4-byte Folded Reload
	buffer_load_dword v76, off, s[20:23], 0 offset:1372 ; 4-byte Folded Reload
	s_and_b64 s[0:1], vcc, s[0:1]
	v_cmp_eq_u32_e32 vcc, 0, v89
	s_and_b64 s[0:1], s[0:1], vcc
	v_cndmask_b32_e64 v89, v89, 32, s[0:1]
	s_waitcnt vmcnt(2)
	v_cmp_eq_f64_e32 vcc, 0, v[73:74]
	s_waitcnt vmcnt(0)
	v_cmp_eq_f64_e64 s[0:1], 0, v[75:76]
	buffer_load_dword v73, off, s[20:23], 0 offset:1376 ; 4-byte Folded Reload
	buffer_load_dword v74, off, s[20:23], 0 offset:1380 ; 4-byte Folded Reload
	buffer_load_dword v75, off, s[20:23], 0 offset:1384 ; 4-byte Folded Reload
	buffer_load_dword v76, off, s[20:23], 0 offset:1388 ; 4-byte Folded Reload
	s_and_b64 s[0:1], vcc, s[0:1]
	v_cmp_eq_u32_e32 vcc, 0, v89
	s_and_b64 s[0:1], s[0:1], vcc
	v_cndmask_b32_e64 v89, v89, 33, s[0:1]
	s_waitcnt vmcnt(2)
	v_cmp_eq_f64_e32 vcc, 0, v[73:74]
	s_waitcnt vmcnt(0)
	v_cmp_eq_f64_e64 s[0:1], 0, v[75:76]
	buffer_load_dword v73, off, s[20:23], 0 offset:1392 ; 4-byte Folded Reload
	buffer_load_dword v74, off, s[20:23], 0 offset:1396 ; 4-byte Folded Reload
	buffer_load_dword v75, off, s[20:23], 0 offset:1400 ; 4-byte Folded Reload
	buffer_load_dword v76, off, s[20:23], 0 offset:1404 ; 4-byte Folded Reload
	s_and_b64 s[0:1], vcc, s[0:1]
	v_cmp_eq_u32_e32 vcc, 0, v89
	s_and_b64 s[0:1], s[0:1], vcc
	v_cndmask_b32_e64 v89, v89, 34, s[0:1]
	s_waitcnt vmcnt(2)
	v_cmp_eq_f64_e32 vcc, 0, v[73:74]
	s_waitcnt vmcnt(0)
	v_cmp_eq_f64_e64 s[0:1], 0, v[75:76]
	buffer_load_dword v73, off, s[20:23], 0 offset:1408 ; 4-byte Folded Reload
	buffer_load_dword v74, off, s[20:23], 0 offset:1412 ; 4-byte Folded Reload
	buffer_load_dword v75, off, s[20:23], 0 offset:1416 ; 4-byte Folded Reload
	buffer_load_dword v76, off, s[20:23], 0 offset:1420 ; 4-byte Folded Reload
	s_and_b64 s[0:1], vcc, s[0:1]
	v_cmp_eq_u32_e32 vcc, 0, v89
	s_and_b64 s[0:1], s[0:1], vcc
	v_cndmask_b32_e64 v89, v89, 35, s[0:1]
	s_waitcnt vmcnt(2)
	v_cmp_eq_f64_e32 vcc, 0, v[73:74]
	s_waitcnt vmcnt(0)
	v_cmp_eq_f64_e64 s[0:1], 0, v[75:76]
	buffer_load_dword v73, off, s[20:23], 0 offset:1424 ; 4-byte Folded Reload
	buffer_load_dword v74, off, s[20:23], 0 offset:1428 ; 4-byte Folded Reload
	buffer_load_dword v75, off, s[20:23], 0 offset:1432 ; 4-byte Folded Reload
	buffer_load_dword v76, off, s[20:23], 0 offset:1436 ; 4-byte Folded Reload
	s_and_b64 s[0:1], vcc, s[0:1]
	v_cmp_eq_u32_e32 vcc, 0, v89
	s_and_b64 s[0:1], s[0:1], vcc
	v_cndmask_b32_e64 v89, v89, 36, s[0:1]
	s_waitcnt vmcnt(2)
	v_cmp_eq_f64_e32 vcc, 0, v[73:74]
	s_waitcnt vmcnt(0)
	v_cmp_eq_f64_e64 s[0:1], 0, v[75:76]
	buffer_load_dword v73, off, s[20:23], 0 offset:1440 ; 4-byte Folded Reload
	buffer_load_dword v74, off, s[20:23], 0 offset:1444 ; 4-byte Folded Reload
	buffer_load_dword v75, off, s[20:23], 0 offset:1448 ; 4-byte Folded Reload
	buffer_load_dword v76, off, s[20:23], 0 offset:1452 ; 4-byte Folded Reload
	s_and_b64 s[0:1], vcc, s[0:1]
	v_cmp_eq_u32_e32 vcc, 0, v89
	s_and_b64 s[0:1], s[0:1], vcc
	v_cndmask_b32_e64 v89, v89, 37, s[0:1]
	s_waitcnt vmcnt(2)
	v_cmp_eq_f64_e32 vcc, 0, v[73:74]
	s_waitcnt vmcnt(0)
	v_cmp_eq_f64_e64 s[0:1], 0, v[75:76]
	buffer_load_dword v73, off, s[20:23], 0 offset:1456 ; 4-byte Folded Reload
	buffer_load_dword v74, off, s[20:23], 0 offset:1460 ; 4-byte Folded Reload
	buffer_load_dword v75, off, s[20:23], 0 offset:1464 ; 4-byte Folded Reload
	buffer_load_dword v76, off, s[20:23], 0 offset:1468 ; 4-byte Folded Reload
	s_and_b64 s[0:1], vcc, s[0:1]
	v_cmp_eq_u32_e32 vcc, 0, v89
	s_and_b64 s[0:1], s[0:1], vcc
	v_cndmask_b32_e64 v89, v89, 38, s[0:1]
	s_waitcnt vmcnt(2)
	v_cmp_eq_f64_e32 vcc, 0, v[73:74]
	s_waitcnt vmcnt(0)
	v_cmp_eq_f64_e64 s[0:1], 0, v[75:76]
	buffer_load_dword v73, off, s[20:23], 0 offset:1472 ; 4-byte Folded Reload
	buffer_load_dword v74, off, s[20:23], 0 offset:1476 ; 4-byte Folded Reload
	buffer_load_dword v75, off, s[20:23], 0 offset:1480 ; 4-byte Folded Reload
	buffer_load_dword v76, off, s[20:23], 0 offset:1484 ; 4-byte Folded Reload
	s_and_b64 s[0:1], vcc, s[0:1]
	v_cmp_eq_u32_e32 vcc, 0, v89
	s_and_b64 s[0:1], s[0:1], vcc
	v_cndmask_b32_e64 v89, v89, 39, s[0:1]
	s_waitcnt vmcnt(2)
	v_cmp_eq_f64_e32 vcc, 0, v[73:74]
	s_waitcnt vmcnt(0)
	v_cmp_eq_f64_e64 s[0:1], 0, v[75:76]
	buffer_load_dword v73, off, s[20:23], 0 offset:1488 ; 4-byte Folded Reload
	buffer_load_dword v74, off, s[20:23], 0 offset:1492 ; 4-byte Folded Reload
	buffer_load_dword v75, off, s[20:23], 0 offset:1496 ; 4-byte Folded Reload
	buffer_load_dword v76, off, s[20:23], 0 offset:1500 ; 4-byte Folded Reload
	s_and_b64 s[0:1], vcc, s[0:1]
	v_cmp_eq_u32_e32 vcc, 0, v89
	s_and_b64 s[0:1], s[0:1], vcc
	v_cndmask_b32_e64 v89, v89, 40, s[0:1]
	s_waitcnt vmcnt(2)
	v_cmp_eq_f64_e32 vcc, 0, v[73:74]
	s_waitcnt vmcnt(0)
	v_cmp_eq_f64_e64 s[0:1], 0, v[75:76]
	buffer_load_dword v73, off, s[20:23], 0 offset:1504 ; 4-byte Folded Reload
	buffer_load_dword v74, off, s[20:23], 0 offset:1508 ; 4-byte Folded Reload
	buffer_load_dword v75, off, s[20:23], 0 offset:1512 ; 4-byte Folded Reload
	buffer_load_dword v76, off, s[20:23], 0 offset:1516 ; 4-byte Folded Reload
	s_and_b64 s[0:1], vcc, s[0:1]
	v_cmp_eq_u32_e32 vcc, 0, v89
	s_and_b64 s[0:1], s[0:1], vcc
	v_cndmask_b32_e64 v89, v89, 41, s[0:1]
	s_waitcnt vmcnt(2)
	v_cmp_eq_f64_e32 vcc, 0, v[73:74]
	s_waitcnt vmcnt(0)
	v_cmp_eq_f64_e64 s[0:1], 0, v[75:76]
	buffer_load_dword v73, off, s[20:23], 0 offset:1520 ; 4-byte Folded Reload
	buffer_load_dword v74, off, s[20:23], 0 offset:1524 ; 4-byte Folded Reload
	buffer_load_dword v75, off, s[20:23], 0 offset:1528 ; 4-byte Folded Reload
	buffer_load_dword v76, off, s[20:23], 0 offset:1532 ; 4-byte Folded Reload
	s_and_b64 s[0:1], vcc, s[0:1]
	v_cmp_eq_u32_e32 vcc, 0, v89
	s_and_b64 s[0:1], s[0:1], vcc
	v_cndmask_b32_e64 v89, v89, 42, s[0:1]
	s_waitcnt vmcnt(2)
	v_cmp_eq_f64_e32 vcc, 0, v[73:74]
	s_waitcnt vmcnt(0)
	v_cmp_eq_f64_e64 s[0:1], 0, v[75:76]
	buffer_load_dword v73, off, s[20:23], 0 offset:1536 ; 4-byte Folded Reload
	buffer_load_dword v74, off, s[20:23], 0 offset:1540 ; 4-byte Folded Reload
	buffer_load_dword v75, off, s[20:23], 0 offset:1544 ; 4-byte Folded Reload
	buffer_load_dword v76, off, s[20:23], 0 offset:1548 ; 4-byte Folded Reload
	s_and_b64 s[0:1], vcc, s[0:1]
	v_cmp_eq_u32_e32 vcc, 0, v89
	s_and_b64 s[0:1], s[0:1], vcc
	v_cndmask_b32_e64 v89, v89, 43, s[0:1]
	s_waitcnt vmcnt(2)
	v_cmp_eq_f64_e32 vcc, 0, v[73:74]
	s_waitcnt vmcnt(0)
	v_cmp_eq_f64_e64 s[0:1], 0, v[75:76]
	buffer_load_dword v73, off, s[20:23], 0 offset:1552 ; 4-byte Folded Reload
	buffer_load_dword v74, off, s[20:23], 0 offset:1556 ; 4-byte Folded Reload
	buffer_load_dword v75, off, s[20:23], 0 offset:1560 ; 4-byte Folded Reload
	buffer_load_dword v76, off, s[20:23], 0 offset:1564 ; 4-byte Folded Reload
	s_and_b64 s[0:1], vcc, s[0:1]
	v_cmp_eq_u32_e32 vcc, 0, v89
	s_and_b64 s[0:1], s[0:1], vcc
	v_cndmask_b32_e64 v89, v89, 44, s[0:1]
	s_waitcnt vmcnt(2)
	v_cmp_eq_f64_e32 vcc, 0, v[73:74]
	s_waitcnt vmcnt(0)
	v_cmp_eq_f64_e64 s[0:1], 0, v[75:76]
	buffer_load_dword v73, off, s[20:23], 0 offset:1568 ; 4-byte Folded Reload
	buffer_load_dword v74, off, s[20:23], 0 offset:1572 ; 4-byte Folded Reload
	buffer_load_dword v75, off, s[20:23], 0 offset:1576 ; 4-byte Folded Reload
	buffer_load_dword v76, off, s[20:23], 0 offset:1580 ; 4-byte Folded Reload
	s_and_b64 s[0:1], vcc, s[0:1]
	v_cmp_eq_u32_e32 vcc, 0, v89
	s_and_b64 s[0:1], s[0:1], vcc
	v_cndmask_b32_e64 v89, v89, 45, s[0:1]
	s_waitcnt vmcnt(2)
	v_cmp_eq_f64_e32 vcc, 0, v[73:74]
	s_waitcnt vmcnt(0)
	v_cmp_eq_f64_e64 s[0:1], 0, v[75:76]
	buffer_load_dword v73, off, s[20:23], 0 offset:1584 ; 4-byte Folded Reload
	buffer_load_dword v74, off, s[20:23], 0 offset:1588 ; 4-byte Folded Reload
	buffer_load_dword v75, off, s[20:23], 0 offset:1592 ; 4-byte Folded Reload
	buffer_load_dword v76, off, s[20:23], 0 offset:1596 ; 4-byte Folded Reload
	s_and_b64 s[0:1], vcc, s[0:1]
	v_cmp_eq_u32_e32 vcc, 0, v89
	s_and_b64 s[0:1], s[0:1], vcc
	v_cndmask_b32_e64 v89, v89, 46, s[0:1]
	s_waitcnt vmcnt(2)
	v_cmp_eq_f64_e32 vcc, 0, v[73:74]
	s_waitcnt vmcnt(0)
	v_cmp_eq_f64_e64 s[0:1], 0, v[75:76]
	buffer_load_dword v73, off, s[20:23], 0 offset:1600 ; 4-byte Folded Reload
	buffer_load_dword v74, off, s[20:23], 0 offset:1604 ; 4-byte Folded Reload
	buffer_load_dword v75, off, s[20:23], 0 offset:1608 ; 4-byte Folded Reload
	buffer_load_dword v76, off, s[20:23], 0 offset:1612 ; 4-byte Folded Reload
	s_and_b64 s[0:1], vcc, s[0:1]
	v_cmp_eq_u32_e32 vcc, 0, v89
	s_and_b64 s[0:1], s[0:1], vcc
	v_cndmask_b32_e64 v89, v89, 47, s[0:1]
	s_waitcnt vmcnt(2)
	v_cmp_eq_f64_e32 vcc, 0, v[73:74]
	s_waitcnt vmcnt(0)
	v_cmp_eq_f64_e64 s[0:1], 0, v[75:76]
	s_and_b64 s[0:1], vcc, s[0:1]
	v_cmp_eq_u32_e32 vcc, 0, v89
	s_and_b64 s[0:1], s[0:1], vcc
	v_cndmask_b32_e64 v89, v89, 48, s[0:1]
	v_cmp_eq_f64_e32 vcc, 0, v[69:70]
	v_cmp_eq_f64_e64 s[0:1], 0, v[71:72]
	s_and_b64 s[0:1], vcc, s[0:1]
	v_cmp_eq_u32_e32 vcc, 0, v89
	s_and_b64 s[0:1], s[0:1], vcc
	v_cndmask_b32_e64 v89, v89, 49, s[0:1]
	v_cmp_eq_f64_e32 vcc, 0, v[97:98]
	;; [unrolled: 6-line block ×3, first 2 shown]
	v_cmp_eq_f64_e64 s[0:1], 0, v[107:108]
	s_and_b64 s[0:1], vcc, s[0:1]
	v_cmp_eq_u32_e32 vcc, 0, v89
	s_and_b64 s[0:1], s[0:1], vcc
	v_cndmask_b32_e64 v99, v89, 51, s[0:1]
	v_lshlrev_b64 v[89:90], 2, v[87:88]
	v_cmp_ne_u32_e64 s[0:1], 0, v99
	v_add_co_u32_e32 v97, vcc, s10, v89
	v_mov_b32_e32 v89, s11
	v_addc_co_u32_e32 v98, vcc, v89, v90, vcc
	global_load_dword v89, v[97:98], off
	s_waitcnt vmcnt(0)
	v_cmp_eq_u32_e32 vcc, 0, v89
	s_and_b64 s[0:1], vcc, s[0:1]
	s_and_b64 exec, exec, s[0:1]
	s_cbranch_execz .LBB101_461
; %bb.460:
	v_add_u32_e32 v89, s13, v99
	global_store_dword v[97:98], v89, off
.LBB101_461:
	s_or_b64 exec, exec, s[2:3]
	buffer_load_dword v69, off, s[20:23], 0 offset:832 ; 4-byte Folded Reload
	buffer_load_dword v70, off, s[20:23], 0 offset:836 ; 4-byte Folded Reload
	;; [unrolled: 1-line block ×6, first 2 shown]
	v_cmp_lt_u32_e32 vcc, 50, v0
	s_waitcnt vmcnt(0)
	global_store_dwordx4 v[69:70], v[71:74], off
	buffer_load_dword v69, off, s[20:23], 0 offset:840 ; 4-byte Folded Reload
	s_nop 0
	buffer_load_dword v70, off, s[20:23], 0 offset:844 ; 4-byte Folded Reload
	buffer_load_dword v71, off, s[20:23], 0 offset:416 ; 4-byte Folded Reload
	;; [unrolled: 1-line block ×5, first 2 shown]
	s_waitcnt vmcnt(0)
	global_store_dwordx4 v[69:70], v[71:74], off
	buffer_load_dword v69, off, s[20:23], 0 offset:400 ; 4-byte Folded Reload
	s_nop 0
	buffer_load_dword v70, off, s[20:23], 0 offset:404 ; 4-byte Folded Reload
	buffer_load_dword v71, off, s[20:23], 0 offset:408 ; 4-byte Folded Reload
	;; [unrolled: 1-line block ×3, first 2 shown]
	s_waitcnt vmcnt(0)
	global_store_dwordx4 v[91:92], v[69:72], off
	buffer_load_dword v77, off, s[20:23], 0 offset:824 ; 4-byte Folded Reload
	buffer_load_dword v78, off, s[20:23], 0 offset:828 ; 4-byte Folded Reload
	s_nop 0
	buffer_load_dword v69, off, s[20:23], 0 offset:384 ; 4-byte Folded Reload
	buffer_load_dword v70, off, s[20:23], 0 offset:388 ; 4-byte Folded Reload
	;; [unrolled: 1-line block ×4, first 2 shown]
	s_waitcnt vmcnt(0)
	global_store_dwordx4 v[77:78], v[69:72], off
	buffer_load_dword v77, off, s[20:23], 0 offset:816 ; 4-byte Folded Reload
	s_nop 0
	buffer_load_dword v78, off, s[20:23], 0 offset:820 ; 4-byte Folded Reload
	buffer_load_dword v69, off, s[20:23], 0 offset:368 ; 4-byte Folded Reload
	;; [unrolled: 1-line block ×5, first 2 shown]
	s_waitcnt vmcnt(0)
	global_store_dwordx4 v[77:78], v[69:72], off
	buffer_load_dword v87, off, s[20:23], 0 offset:464 ; 4-byte Folded Reload
	buffer_load_dword v88, off, s[20:23], 0 offset:468 ; 4-byte Folded Reload
	s_nop 0
	buffer_load_dword v69, off, s[20:23], 0 offset:352 ; 4-byte Folded Reload
	buffer_load_dword v70, off, s[20:23], 0 offset:356 ; 4-byte Folded Reload
	;; [unrolled: 1-line block ×4, first 2 shown]
	s_waitcnt vmcnt(0)
	global_store_dwordx4 v[87:88], v[69:72], off
	buffer_load_dword v69, off, s[20:23], 0 offset:336 ; 4-byte Folded Reload
	s_nop 0
	buffer_load_dword v70, off, s[20:23], 0 offset:340 ; 4-byte Folded Reload
	buffer_load_dword v71, off, s[20:23], 0 offset:344 ; 4-byte Folded Reload
	;; [unrolled: 1-line block ×3, first 2 shown]
	s_waitcnt vmcnt(0)
	global_store_dwordx4 v[85:86], v[69:72], off
	buffer_load_dword v85, off, s[20:23], 0 offset:472 ; 4-byte Folded Reload
	s_nop 0
	buffer_load_dword v86, off, s[20:23], 0 offset:476 ; 4-byte Folded Reload
	buffer_load_dword v69, off, s[20:23], 0 offset:320 ; 4-byte Folded Reload
	;; [unrolled: 1-line block ×5, first 2 shown]
	s_waitcnt vmcnt(0)
	global_store_dwordx4 v[85:86], v[69:72], off
	buffer_load_dword v69, off, s[20:23], 0 offset:448 ; 4-byte Folded Reload
	s_nop 0
	buffer_load_dword v70, off, s[20:23], 0 offset:452 ; 4-byte Folded Reload
	buffer_load_dword v71, off, s[20:23], 0 offset:456 ; 4-byte Folded Reload
	;; [unrolled: 1-line block ×3, first 2 shown]
	s_waitcnt vmcnt(0)
	v_mul_f64 v[89:90], v[105:106], v[71:72]
	v_mul_f64 v[91:92], v[107:108], v[71:72]
	v_fma_f64 v[89:90], v[107:108], v[69:70], v[89:90]
	v_fma_f64 v[91:92], v[105:106], v[69:70], -v[91:92]
	v_cndmask_b32_e32 v100, v72, v90, vcc
	v_cndmask_b32_e32 v99, v71, v89, vcc
	v_cndmask_b32_e32 v98, v70, v92, vcc
	v_cndmask_b32_e32 v97, v69, v91, vcc
	buffer_load_dword v85, off, s[20:23], 0 offset:480 ; 4-byte Folded Reload
	buffer_load_dword v86, off, s[20:23], 0 offset:484 ; 4-byte Folded Reload
	;; [unrolled: 1-line block ×6, first 2 shown]
	s_waitcnt vmcnt(0)
	global_store_dwordx4 v[85:86], v[69:72], off
	buffer_load_dword v85, off, s[20:23], 0 offset:488 ; 4-byte Folded Reload
	s_nop 0
	buffer_load_dword v86, off, s[20:23], 0 offset:492 ; 4-byte Folded Reload
	buffer_load_dword v69, off, s[20:23], 0 offset:288 ; 4-byte Folded Reload
	buffer_load_dword v70, off, s[20:23], 0 offset:292 ; 4-byte Folded Reload
	buffer_load_dword v71, off, s[20:23], 0 offset:296 ; 4-byte Folded Reload
	buffer_load_dword v72, off, s[20:23], 0 offset:300 ; 4-byte Folded Reload
	s_waitcnt vmcnt(0)
	global_store_dwordx4 v[85:86], v[69:72], off
	buffer_load_dword v85, off, s[20:23], 0 offset:496 ; 4-byte Folded Reload
	s_nop 0
	buffer_load_dword v86, off, s[20:23], 0 offset:500 ; 4-byte Folded Reload
	buffer_load_dword v69, off, s[20:23], 0 offset:272 ; 4-byte Folded Reload
	buffer_load_dword v70, off, s[20:23], 0 offset:276 ; 4-byte Folded Reload
	buffer_load_dword v71, off, s[20:23], 0 offset:280 ; 4-byte Folded Reload
	buffer_load_dword v72, off, s[20:23], 0 offset:284 ; 4-byte Folded Reload
	;; [unrolled: 9-line block ×14, first 2 shown]
	s_waitcnt vmcnt(0)
	global_store_dwordx4 v[85:86], v[69:72], off
	buffer_load_dword v83, off, s[20:23], 0 offset:600 ; 4-byte Folded Reload
	buffer_load_dword v84, off, s[20:23], 0 offset:604 ; 4-byte Folded Reload
	s_nop 0
	buffer_load_dword v69, off, s[20:23], 0 offset:64 ; 4-byte Folded Reload
	buffer_load_dword v70, off, s[20:23], 0 offset:68 ; 4-byte Folded Reload
	buffer_load_dword v71, off, s[20:23], 0 offset:72 ; 4-byte Folded Reload
	buffer_load_dword v72, off, s[20:23], 0 offset:76 ; 4-byte Folded Reload
	s_waitcnt vmcnt(0)
	global_store_dwordx4 v[83:84], v[69:72], off
	buffer_load_dword v69, off, s[20:23], 0 offset:48 ; 4-byte Folded Reload
	s_nop 0
	buffer_load_dword v70, off, s[20:23], 0 offset:52 ; 4-byte Folded Reload
	buffer_load_dword v71, off, s[20:23], 0 offset:56 ; 4-byte Folded Reload
	;; [unrolled: 1-line block ×3, first 2 shown]
	s_waitcnt vmcnt(0)
	global_store_dwordx4 v[81:82], v[69:72], off
	buffer_load_dword v81, off, s[20:23], 0 offset:608 ; 4-byte Folded Reload
	s_nop 0
	buffer_load_dword v82, off, s[20:23], 0 offset:612 ; 4-byte Folded Reload
	s_waitcnt vmcnt(0)
	global_store_dwordx4 v[81:82], v[121:124], off
	buffer_load_dword v81, off, s[20:23], 0 offset:616 ; 4-byte Folded Reload
	s_nop 0
	buffer_load_dword v82, off, s[20:23], 0 offset:620 ; 4-byte Folded Reload
	;; [unrolled: 5-line block ×6, first 2 shown]
	buffer_load_dword v77, off, s[20:23], 0 offset:32 ; 4-byte Folded Reload
	buffer_load_dword v78, off, s[20:23], 0 offset:36 ; 4-byte Folded Reload
	;; [unrolled: 1-line block ×4, first 2 shown]
	s_waitcnt vmcnt(0)
	global_store_dwordx4 v[81:82], v[77:80], off
	buffer_load_dword v77, off, s[20:23], 0 offset:656 ; 4-byte Folded Reload
	s_nop 0
	buffer_load_dword v78, off, s[20:23], 0 offset:660 ; 4-byte Folded Reload
	buffer_load_dword v73, off, s[20:23], 0 offset:16 ; 4-byte Folded Reload
	buffer_load_dword v74, off, s[20:23], 0 offset:20 ; 4-byte Folded Reload
	buffer_load_dword v75, off, s[20:23], 0 offset:24 ; 4-byte Folded Reload
	buffer_load_dword v76, off, s[20:23], 0 offset:28 ; 4-byte Folded Reload
	s_waitcnt vmcnt(0)
	global_store_dwordx4 v[77:78], v[73:76], off
	buffer_load_dword v73, off, s[20:23], 0 offset:664 ; 4-byte Folded Reload
	s_nop 0
	buffer_load_dword v74, off, s[20:23], 0 offset:668 ; 4-byte Folded Reload
	buffer_load_dword v69, off, s[20:23], 0 ; 4-byte Folded Reload
	buffer_load_dword v70, off, s[20:23], 0 offset:4 ; 4-byte Folded Reload
	buffer_load_dword v71, off, s[20:23], 0 offset:8 ; 4-byte Folded Reload
	;; [unrolled: 1-line block ×3, first 2 shown]
	s_waitcnt vmcnt(0)
	global_store_dwordx4 v[73:74], v[69:72], off
	buffer_load_dword v69, off, s[20:23], 0 offset:672 ; 4-byte Folded Reload
	s_nop 0
	buffer_load_dword v70, off, s[20:23], 0 offset:676 ; 4-byte Folded Reload
	s_waitcnt vmcnt(0)
	global_store_dwordx4 v[69:70], v[65:68], off
	buffer_load_dword v65, off, s[20:23], 0 offset:680 ; 4-byte Folded Reload
	s_nop 0
	buffer_load_dword v66, off, s[20:23], 0 offset:684 ; 4-byte Folded Reload
	;; [unrolled: 5-line block ×18, first 2 shown]
	s_waitcnt vmcnt(0)
	global_store_dwordx4 v[0:1], v[97:100], off
.LBB101_462:
	s_endpgm
	.section	.rodata,"a",@progbits
	.p2align	6, 0x0
	.amdhsa_kernel _ZN9rocsolver6v33100L23getf2_npvt_small_kernelILi51E19rocblas_complex_numIdEiiPS3_EEvT1_T3_lS5_lPT2_S5_S5_
		.amdhsa_group_segment_fixed_size 0
		.amdhsa_private_segment_fixed_size 1620
		.amdhsa_kernarg_size 312
		.amdhsa_user_sgpr_count 6
		.amdhsa_user_sgpr_private_segment_buffer 1
		.amdhsa_user_sgpr_dispatch_ptr 0
		.amdhsa_user_sgpr_queue_ptr 0
		.amdhsa_user_sgpr_kernarg_segment_ptr 1
		.amdhsa_user_sgpr_dispatch_id 0
		.amdhsa_user_sgpr_flat_scratch_init 0
		.amdhsa_user_sgpr_private_segment_size 0
		.amdhsa_uses_dynamic_stack 0
		.amdhsa_system_sgpr_private_segment_wavefront_offset 1
		.amdhsa_system_sgpr_workgroup_id_x 1
		.amdhsa_system_sgpr_workgroup_id_y 1
		.amdhsa_system_sgpr_workgroup_id_z 0
		.amdhsa_system_sgpr_workgroup_info 0
		.amdhsa_system_vgpr_workitem_id 1
		.amdhsa_next_free_vgpr 128
		.amdhsa_next_free_sgpr 24
		.amdhsa_reserve_vcc 1
		.amdhsa_reserve_flat_scratch 0
		.amdhsa_float_round_mode_32 0
		.amdhsa_float_round_mode_16_64 0
		.amdhsa_float_denorm_mode_32 3
		.amdhsa_float_denorm_mode_16_64 3
		.amdhsa_dx10_clamp 1
		.amdhsa_ieee_mode 1
		.amdhsa_fp16_overflow 0
		.amdhsa_exception_fp_ieee_invalid_op 0
		.amdhsa_exception_fp_denorm_src 0
		.amdhsa_exception_fp_ieee_div_zero 0
		.amdhsa_exception_fp_ieee_overflow 0
		.amdhsa_exception_fp_ieee_underflow 0
		.amdhsa_exception_fp_ieee_inexact 0
		.amdhsa_exception_int_div_zero 0
	.end_amdhsa_kernel
	.section	.text._ZN9rocsolver6v33100L23getf2_npvt_small_kernelILi51E19rocblas_complex_numIdEiiPS3_EEvT1_T3_lS5_lPT2_S5_S5_,"axG",@progbits,_ZN9rocsolver6v33100L23getf2_npvt_small_kernelILi51E19rocblas_complex_numIdEiiPS3_EEvT1_T3_lS5_lPT2_S5_S5_,comdat
.Lfunc_end101:
	.size	_ZN9rocsolver6v33100L23getf2_npvt_small_kernelILi51E19rocblas_complex_numIdEiiPS3_EEvT1_T3_lS5_lPT2_S5_S5_, .Lfunc_end101-_ZN9rocsolver6v33100L23getf2_npvt_small_kernelILi51E19rocblas_complex_numIdEiiPS3_EEvT1_T3_lS5_lPT2_S5_S5_
                                        ; -- End function
	.set _ZN9rocsolver6v33100L23getf2_npvt_small_kernelILi51E19rocblas_complex_numIdEiiPS3_EEvT1_T3_lS5_lPT2_S5_S5_.num_vgpr, 128
	.set _ZN9rocsolver6v33100L23getf2_npvt_small_kernelILi51E19rocblas_complex_numIdEiiPS3_EEvT1_T3_lS5_lPT2_S5_S5_.num_agpr, 0
	.set _ZN9rocsolver6v33100L23getf2_npvt_small_kernelILi51E19rocblas_complex_numIdEiiPS3_EEvT1_T3_lS5_lPT2_S5_S5_.numbered_sgpr, 24
	.set _ZN9rocsolver6v33100L23getf2_npvt_small_kernelILi51E19rocblas_complex_numIdEiiPS3_EEvT1_T3_lS5_lPT2_S5_S5_.num_named_barrier, 0
	.set _ZN9rocsolver6v33100L23getf2_npvt_small_kernelILi51E19rocblas_complex_numIdEiiPS3_EEvT1_T3_lS5_lPT2_S5_S5_.private_seg_size, 1620
	.set _ZN9rocsolver6v33100L23getf2_npvt_small_kernelILi51E19rocblas_complex_numIdEiiPS3_EEvT1_T3_lS5_lPT2_S5_S5_.uses_vcc, 1
	.set _ZN9rocsolver6v33100L23getf2_npvt_small_kernelILi51E19rocblas_complex_numIdEiiPS3_EEvT1_T3_lS5_lPT2_S5_S5_.uses_flat_scratch, 0
	.set _ZN9rocsolver6v33100L23getf2_npvt_small_kernelILi51E19rocblas_complex_numIdEiiPS3_EEvT1_T3_lS5_lPT2_S5_S5_.has_dyn_sized_stack, 0
	.set _ZN9rocsolver6v33100L23getf2_npvt_small_kernelILi51E19rocblas_complex_numIdEiiPS3_EEvT1_T3_lS5_lPT2_S5_S5_.has_recursion, 0
	.set _ZN9rocsolver6v33100L23getf2_npvt_small_kernelILi51E19rocblas_complex_numIdEiiPS3_EEvT1_T3_lS5_lPT2_S5_S5_.has_indirect_call, 0
	.section	.AMDGPU.csdata,"",@progbits
; Kernel info:
; codeLenInByte = 179132
; TotalNumSgprs: 28
; NumVgprs: 128
; ScratchSize: 1620
; MemoryBound: 1
; FloatMode: 240
; IeeeMode: 1
; LDSByteSize: 0 bytes/workgroup (compile time only)
; SGPRBlocks: 3
; VGPRBlocks: 31
; NumSGPRsForWavesPerEU: 28
; NumVGPRsForWavesPerEU: 128
; Occupancy: 2
; WaveLimiterHint : 0
; COMPUTE_PGM_RSRC2:SCRATCH_EN: 1
; COMPUTE_PGM_RSRC2:USER_SGPR: 6
; COMPUTE_PGM_RSRC2:TRAP_HANDLER: 0
; COMPUTE_PGM_RSRC2:TGID_X_EN: 1
; COMPUTE_PGM_RSRC2:TGID_Y_EN: 1
; COMPUTE_PGM_RSRC2:TGID_Z_EN: 0
; COMPUTE_PGM_RSRC2:TIDIG_COMP_CNT: 1
	.section	.text._ZN9rocsolver6v33100L18getf2_small_kernelILi52E19rocblas_complex_numIdEiiPS3_EEvT1_T3_lS5_lPS5_llPT2_S5_S5_S7_l,"axG",@progbits,_ZN9rocsolver6v33100L18getf2_small_kernelILi52E19rocblas_complex_numIdEiiPS3_EEvT1_T3_lS5_lPS5_llPT2_S5_S5_S7_l,comdat
	.globl	_ZN9rocsolver6v33100L18getf2_small_kernelILi52E19rocblas_complex_numIdEiiPS3_EEvT1_T3_lS5_lPS5_llPT2_S5_S5_S7_l ; -- Begin function _ZN9rocsolver6v33100L18getf2_small_kernelILi52E19rocblas_complex_numIdEiiPS3_EEvT1_T3_lS5_lPS5_llPT2_S5_S5_S7_l
	.p2align	8
	.type	_ZN9rocsolver6v33100L18getf2_small_kernelILi52E19rocblas_complex_numIdEiiPS3_EEvT1_T3_lS5_lPS5_llPT2_S5_S5_S7_l,@function
_ZN9rocsolver6v33100L18getf2_small_kernelILi52E19rocblas_complex_numIdEiiPS3_EEvT1_T3_lS5_lPS5_llPT2_S5_S5_S7_l: ; @_ZN9rocsolver6v33100L18getf2_small_kernelILi52E19rocblas_complex_numIdEiiPS3_EEvT1_T3_lS5_lPS5_llPT2_S5_S5_S7_l
; %bb.0:
	s_mov_b64 s[26:27], s[2:3]
	s_mov_b64 s[24:25], s[0:1]
	s_load_dword s0, s[4:5], 0x6c
	s_load_dwordx2 s[16:17], s[4:5], 0x48
	s_add_u32 s24, s24, s8
	s_addc_u32 s25, s25, 0
	s_waitcnt lgkmcnt(0)
	s_lshr_b32 s0, s0, 16
	s_mul_i32 s7, s7, s0
	v_add_u32_e32 v6, s7, v1
	v_cmp_gt_i32_e32 vcc, s16, v6
	s_and_saveexec_b64 s[0:1], vcc
	s_cbranch_execnz .LBB102_1
; %bb.1094:
	s_getpc_b64 s[28:29]
.Lpost_getpc16:
	s_add_u32 s28, s28, (.LBB102_1093-.Lpost_getpc16)&4294967295
	s_addc_u32 s29, s29, (.LBB102_1093-.Lpost_getpc16)>>32
	s_setpc_b64 s[28:29]
.LBB102_1:
	s_load_dwordx4 s[0:3], s[4:5], 0x50
	v_mov_b32_e32 v2, 0
	v_ashrrev_i32_e32 v7, 31, v6
	v_mov_b32_e32 v3, 0
	buffer_store_dword v2, off, s[24:27], 0 offset:416 ; 4-byte Folded Spill
	s_nop 0
	buffer_store_dword v3, off, s[24:27], 0 offset:420 ; 4-byte Folded Spill
	s_waitcnt lgkmcnt(0)
	s_cmp_eq_u64 s[0:1], 0
	s_cselect_b64 s[6:7], -1, 0
	s_and_b64 vcc, exec, s[6:7]
	s_cbranch_vccnz .LBB102_3
; %bb.2:
	v_mul_lo_u32 v4, s3, v6
	v_mul_lo_u32 v5, s2, v7
	v_mad_u64_u32 v[2:3], s[2:3], s2, v6, 0
	v_add3_u32 v3, v3, v5, v4
	v_lshlrev_b64 v[2:3], 2, v[2:3]
	v_mov_b32_e32 v4, s1
	v_add_co_u32_e32 v2, vcc, s0, v2
	v_addc_co_u32_e32 v3, vcc, v4, v3, vcc
	buffer_store_dword v2, off, s[24:27], 0 offset:416 ; 4-byte Folded Spill
	s_nop 0
	buffer_store_dword v3, off, s[24:27], 0 offset:420 ; 4-byte Folded Spill
.LBB102_3:
	s_load_dwordx8 s[8:15], s[4:5], 0x20
	s_load_dwordx4 s[20:23], s[4:5], 0x8
	s_load_dword s2, s[4:5], 0x18
	v_lshlrev_b32_e32 v72, 4, v0
	s_waitcnt lgkmcnt(0)
	v_mul_lo_u32 v4, s9, v6
	v_mul_lo_u32 v5, s8, v7
	buffer_store_dword v6, off, s[24:27], 0 offset:472 ; 4-byte Folded Spill
	s_nop 0
	buffer_store_dword v7, off, s[24:27], 0 offset:476 ; 4-byte Folded Spill
	s_add_i32 s16, s2, s2
	s_ashr_i32 s3, s2, 31
	v_mad_u64_u32 v[2:3], s[0:1], s8, v6, 0
	v_mov_b32_e32 v6, s21
	s_lshl_b64 s[0:1], s[22:23], 4
	v_add3_u32 v3, v3, v5, v4
	v_lshlrev_b64 v[2:3], 4, v[2:3]
	v_mov_b32_e32 v4, s1
	v_add_co_u32_e32 v2, vcc, s20, v2
	v_addc_co_u32_e32 v3, vcc, v6, v3, vcc
	v_add_co_u32_e32 v127, vcc, s0, v2
	v_addc_co_u32_e32 v89, vcc, v3, v4, vcc
	v_add_u32_e32 v4, s16, v0
	v_ashrrev_i32_e32 v5, 31, v4
	v_lshlrev_b64 v[2:3], 4, v[4:5]
	v_add_u32_e32 v6, s2, v4
	v_ashrrev_i32_e32 v7, 31, v6
	v_add_co_u32_e32 v2, vcc, v127, v2
	v_lshlrev_b64 v[4:5], 4, v[6:7]
	v_add_u32_e32 v8, s2, v6
	v_addc_co_u32_e32 v3, vcc, v89, v3, vcc
	v_ashrrev_i32_e32 v9, 31, v8
	v_add_co_u32_e32 v4, vcc, v127, v4
	v_lshlrev_b64 v[6:7], 4, v[8:9]
	v_add_u32_e32 v10, s2, v8
	v_addc_co_u32_e32 v5, vcc, v89, v5, vcc
	;; [unrolled: 5-line block ×32, first 2 shown]
	v_ashrrev_i32_e32 v69, 31, v68
	v_add_co_u32_e32 v66, vcc, v127, v66
	v_lshlrev_b64 v[69:70], 4, v[68:69]
	v_addc_co_u32_e32 v67, vcc, v89, v67, vcc
	v_add_u32_e32 v68, s2, v68
	v_add_co_u32_e32 v117, vcc, v127, v69
	v_ashrrev_i32_e32 v69, 31, v68
	v_addc_co_u32_e32 v118, vcc, v89, v70, vcc
	v_lshlrev_b64 v[69:70], 4, v[68:69]
	v_add_u32_e32 v68, s2, v68
	v_add_co_u32_e32 v119, vcc, v127, v69
	v_ashrrev_i32_e32 v69, 31, v68
	v_addc_co_u32_e32 v120, vcc, v89, v70, vcc
	v_lshlrev_b64 v[69:70], 4, v[68:69]
	;; [unrolled: 5-line block ×14, first 2 shown]
	v_add_u32_e32 v68, s2, v68
	v_add_co_u32_e32 v99, vcc, v127, v69
	v_ashrrev_i32_e32 v69, 31, v68
	s_lshl_b64 s[8:9], s[2:3], 4
	s_load_dword s3, s[4:5], 0x0
	v_addc_co_u32_e32 v100, vcc, v89, v70, vcc
	v_lshlrev_b64 v[69:70], 4, v[68:69]
	v_add_u32_e32 v68, s2, v68
	v_add_co_u32_e32 v93, vcc, v127, v69
	v_ashrrev_i32_e32 v69, 31, v68
	v_lshlrev_b64 v[68:69], 4, v[68:69]
	v_addc_co_u32_e32 v94, vcc, v89, v70, vcc
	s_waitcnt lgkmcnt(0)
	s_max_i32 s0, s3, 52
	v_add_co_u32_e32 v95, vcc, v127, v68
	v_mul_lo_u32 v91, s0, v1
	v_addc_co_u32_e32 v96, vcc, v89, v69, vcc
	v_add_co_u32_e32 v70, vcc, v127, v72
	v_addc_co_u32_e32 v71, vcc, 0, v89, vcc
	v_mov_b32_e32 v69, s9
	v_add_co_u32_e32 v68, vcc, s8, v70
	v_lshl_add_u32 v90, v91, 4, 0
	v_addc_co_u32_e32 v69, vcc, v71, v69, vcc
	v_add_u32_e32 v1, v90, v72
	global_load_dwordx4 v[70:73], v[70:71], off
	s_nop 0
	global_load_dwordx4 v[74:77], v[68:69], off
	s_waitcnt vmcnt(0)
	buffer_store_dword v74, off, s[24:27], 0 offset:440 ; 4-byte Folded Spill
	s_nop 0
	buffer_store_dword v75, off, s[24:27], 0 offset:444 ; 4-byte Folded Spill
	buffer_store_dword v76, off, s[24:27], 0 offset:448 ; 4-byte Folded Spill
	;; [unrolled: 1-line block ×4, first 2 shown]
	s_nop 0
	buffer_store_dword v71, off, s[24:27], 0 offset:460 ; 4-byte Folded Spill
	buffer_store_dword v72, off, s[24:27], 0 offset:464 ; 4-byte Folded Spill
	;; [unrolled: 1-line block ×3, first 2 shown]
	s_load_dwordx2 s[4:5], s[4:5], 0x40
	s_cmp_lt_i32 s3, 2
	ds_write2_b64 v1, v[70:71], v[72:73] offset1:1
	global_load_dwordx4 v[68:71], v[2:3], off
	s_waitcnt vmcnt(0)
	buffer_store_dword v68, off, s[24:27], 0 offset:424 ; 4-byte Folded Spill
	s_nop 0
	buffer_store_dword v69, off, s[24:27], 0 offset:428 ; 4-byte Folded Spill
	buffer_store_dword v70, off, s[24:27], 0 offset:432 ; 4-byte Folded Spill
	buffer_store_dword v71, off, s[24:27], 0 offset:436 ; 4-byte Folded Spill
	global_load_dwordx4 v[1:4], v[4:5], off
	s_waitcnt vmcnt(0)
	buffer_store_dword v1, off, s[24:27], 0 offset:400 ; 4-byte Folded Spill
	s_nop 0
	buffer_store_dword v2, off, s[24:27], 0 offset:404 ; 4-byte Folded Spill
	buffer_store_dword v3, off, s[24:27], 0 offset:408 ; 4-byte Folded Spill
	buffer_store_dword v4, off, s[24:27], 0 offset:412 ; 4-byte Folded Spill
	;; [unrolled: 7-line block ×26, first 2 shown]
	global_load_dwordx4 v[1:4], v[54:55], off
	s_waitcnt vmcnt(0)
	buffer_store_dword v1, off, s[24:27], 0 ; 4-byte Folded Spill
	s_nop 0
	buffer_store_dword v2, off, s[24:27], 0 offset:4 ; 4-byte Folded Spill
	buffer_store_dword v3, off, s[24:27], 0 offset:8 ; 4-byte Folded Spill
	;; [unrolled: 1-line block ×3, first 2 shown]
	global_load_dwordx4 v[111:114], v[56:57], off
	global_load_dwordx4 v[85:88], v[58:59], off
	;; [unrolled: 1-line block ×5, first 2 shown]
	s_nop 0
	global_load_dwordx4 v[65:68], v[66:67], off
	s_nop 0
	global_load_dwordx4 v[61:64], v[117:118], off
	global_load_dwordx4 v[57:60], v[119:120], off
	;; [unrolled: 1-line block ×17, first 2 shown]
	s_waitcnt vmcnt(0) lgkmcnt(0)
	s_barrier
	ds_read2_b64 v[117:120], v90 offset1:1
	v_lshlrev_b32_e32 v97, 4, v91
	v_mov_b32_e32 v93, 0
	s_cbranch_scc1 .LBB102_6
; %bb.4:
	v_add3_u32 v91, v97, 0, 16
	s_mov_b32 s0, 1
	v_mov_b32_e32 v93, 0
.LBB102_5:                              ; =>This Inner Loop Header: Depth=1
	s_waitcnt lgkmcnt(0)
	v_cmp_gt_f64_e32 vcc, 0, v[117:118]
	v_xor_b32_e32 v92, 0x80000000, v118
	ds_read2_b64 v[98:101], v91 offset1:1
	v_mov_b32_e32 v94, v117
	v_mov_b32_e32 v102, v119
	v_add_u32_e32 v91, 16, v91
	s_waitcnt lgkmcnt(0)
	v_mov_b32_e32 v104, v100
	v_cndmask_b32_e32 v95, v118, v92, vcc
	v_cmp_gt_f64_e32 vcc, 0, v[119:120]
	v_xor_b32_e32 v92, 0x80000000, v120
	v_cndmask_b32_e32 v103, v120, v92, vcc
	v_cmp_gt_f64_e32 vcc, 0, v[98:99]
	v_xor_b32_e32 v92, 0x80000000, v99
	v_add_f64 v[94:95], v[94:95], v[102:103]
	v_mov_b32_e32 v102, v98
	v_cndmask_b32_e32 v103, v99, v92, vcc
	v_cmp_gt_f64_e32 vcc, 0, v[100:101]
	v_xor_b32_e32 v92, 0x80000000, v101
	v_cndmask_b32_e32 v105, v101, v92, vcc
	v_add_f64 v[102:103], v[102:103], v[104:105]
	v_mov_b32_e32 v92, s0
	s_add_i32 s0, s0, 1
	s_cmp_eq_u32 s3, s0
	v_cmp_lt_f64_e32 vcc, v[94:95], v[102:103]
	v_cndmask_b32_e32 v118, v118, v99, vcc
	v_cndmask_b32_e32 v117, v117, v98, vcc
	;; [unrolled: 1-line block ×5, first 2 shown]
	s_cbranch_scc0 .LBB102_5
.LBB102_6:
	buffer_load_dword v109, off, s[24:27], 0 offset:472 ; 4-byte Folded Reload
	buffer_load_dword v110, off, s[24:27], 0 offset:476 ; 4-byte Folded Reload
	s_waitcnt lgkmcnt(0)
	v_cmp_neq_f64_e32 vcc, 0, v[117:118]
	v_cmp_neq_f64_e64 s[0:1], 0, v[119:120]
	v_mov_b32_e32 v91, 1
	v_mov_b32_e32 v98, 1
	s_or_b64 s[18:19], vcc, s[0:1]
	s_and_saveexec_b64 s[0:1], s[18:19]
	s_cbranch_execz .LBB102_12
; %bb.7:
	v_cmp_ngt_f64_e64 s[18:19], |v[117:118]|, |v[119:120]|
	s_and_saveexec_b64 s[20:21], s[18:19]
	s_xor_b64 s[18:19], exec, s[20:21]
	s_cbranch_execz .LBB102_9
; %bb.8:
	v_div_scale_f64 v[91:92], s[20:21], v[119:120], v[119:120], v[117:118]
	v_rcp_f64_e32 v[94:95], v[91:92]
	v_fma_f64 v[98:99], -v[91:92], v[94:95], 1.0
	v_fma_f64 v[94:95], v[94:95], v[98:99], v[94:95]
	v_div_scale_f64 v[98:99], vcc, v[117:118], v[119:120], v[117:118]
	v_fma_f64 v[100:101], -v[91:92], v[94:95], 1.0
	v_fma_f64 v[94:95], v[94:95], v[100:101], v[94:95]
	v_mul_f64 v[100:101], v[98:99], v[94:95]
	v_fma_f64 v[91:92], -v[91:92], v[100:101], v[98:99]
	v_div_fmas_f64 v[91:92], v[91:92], v[94:95], v[100:101]
	v_div_fixup_f64 v[91:92], v[91:92], v[119:120], v[117:118]
	v_fma_f64 v[94:95], v[117:118], v[91:92], v[119:120]
	v_div_scale_f64 v[98:99], s[20:21], v[94:95], v[94:95], 1.0
	v_div_scale_f64 v[104:105], vcc, 1.0, v[94:95], 1.0
	v_rcp_f64_e32 v[100:101], v[98:99]
	v_fma_f64 v[102:103], -v[98:99], v[100:101], 1.0
	v_fma_f64 v[100:101], v[100:101], v[102:103], v[100:101]
	v_fma_f64 v[102:103], -v[98:99], v[100:101], 1.0
	v_fma_f64 v[100:101], v[100:101], v[102:103], v[100:101]
	v_mul_f64 v[102:103], v[104:105], v[100:101]
	v_fma_f64 v[98:99], -v[98:99], v[102:103], v[104:105]
	v_div_fmas_f64 v[98:99], v[98:99], v[100:101], v[102:103]
	v_div_fixup_f64 v[119:120], v[98:99], v[94:95], 1.0
	v_mul_f64 v[117:118], v[91:92], v[119:120]
	v_xor_b32_e32 v120, 0x80000000, v120
.LBB102_9:
	s_andn2_saveexec_b64 s[18:19], s[18:19]
	s_cbranch_execz .LBB102_11
; %bb.10:
	v_div_scale_f64 v[91:92], s[20:21], v[117:118], v[117:118], v[119:120]
	v_rcp_f64_e32 v[94:95], v[91:92]
	v_fma_f64 v[98:99], -v[91:92], v[94:95], 1.0
	v_fma_f64 v[94:95], v[94:95], v[98:99], v[94:95]
	v_div_scale_f64 v[98:99], vcc, v[119:120], v[117:118], v[119:120]
	v_fma_f64 v[100:101], -v[91:92], v[94:95], 1.0
	v_fma_f64 v[94:95], v[94:95], v[100:101], v[94:95]
	v_mul_f64 v[100:101], v[98:99], v[94:95]
	v_fma_f64 v[91:92], -v[91:92], v[100:101], v[98:99]
	v_div_fmas_f64 v[91:92], v[91:92], v[94:95], v[100:101]
	v_div_fixup_f64 v[91:92], v[91:92], v[117:118], v[119:120]
	v_fma_f64 v[94:95], v[119:120], v[91:92], v[117:118]
	v_div_scale_f64 v[98:99], s[20:21], v[94:95], v[94:95], 1.0
	v_div_scale_f64 v[104:105], vcc, 1.0, v[94:95], 1.0
	v_rcp_f64_e32 v[100:101], v[98:99]
	v_fma_f64 v[102:103], -v[98:99], v[100:101], 1.0
	v_fma_f64 v[100:101], v[100:101], v[102:103], v[100:101]
	v_fma_f64 v[102:103], -v[98:99], v[100:101], 1.0
	v_fma_f64 v[100:101], v[100:101], v[102:103], v[100:101]
	v_mul_f64 v[102:103], v[104:105], v[100:101]
	v_fma_f64 v[98:99], -v[98:99], v[102:103], v[104:105]
	v_div_fmas_f64 v[98:99], v[98:99], v[100:101], v[102:103]
	v_div_fixup_f64 v[117:118], v[98:99], v[94:95], 1.0
	v_mul_f64 v[119:120], v[91:92], -v[117:118]
.LBB102_11:
	s_or_b64 exec, exec, s[18:19]
	v_mov_b32_e32 v98, 0
	v_mov_b32_e32 v91, 2
.LBB102_12:
	s_or_b64 exec, exec, s[0:1]
	v_cmp_ne_u32_e32 vcc, v0, v93
	s_and_saveexec_b64 s[0:1], vcc
	s_xor_b64 s[0:1], exec, s[0:1]
	s_cbranch_execz .LBB102_18
; %bb.13:
	v_cmp_eq_u32_e32 vcc, 0, v0
	s_and_saveexec_b64 s[18:19], vcc
	s_cbranch_execz .LBB102_17
; %bb.14:
	v_cmp_ne_u32_e32 vcc, 0, v93
	s_xor_b64 s[20:21], s[6:7], -1
	s_and_b64 s[22:23], s[20:21], vcc
	s_and_saveexec_b64 s[20:21], s[22:23]
	s_cbranch_execz .LBB102_16
; %bb.15:
	buffer_load_dword v81, off, s[24:27], 0 offset:416 ; 4-byte Folded Reload
	buffer_load_dword v82, off, s[24:27], 0 offset:420 ; 4-byte Folded Reload
	v_ashrrev_i32_e32 v94, 31, v93
	v_lshlrev_b64 v[94:95], 2, v[93:94]
	s_waitcnt vmcnt(1)
	v_add_co_u32_e32 v94, vcc, v81, v94
	s_waitcnt vmcnt(0)
	v_addc_co_u32_e32 v95, vcc, v82, v95, vcc
	global_load_dword v0, v[94:95], off
	global_load_dword v92, v[81:82], off
	s_waitcnt vmcnt(1)
	global_store_dword v[81:82], v0, off
	s_waitcnt vmcnt(1)
	global_store_dword v[94:95], v92, off
.LBB102_16:
	s_or_b64 exec, exec, s[20:21]
	v_mov_b32_e32 v0, v93
.LBB102_17:
	s_or_b64 exec, exec, s[18:19]
.LBB102_18:
	s_or_saveexec_b64 s[0:1], s[0:1]
	v_mov_b32_e32 v92, v0
	s_xor_b64 exec, exec, s[0:1]
	s_cbranch_execz .LBB102_20
; %bb.19:
	buffer_load_dword v81, off, s[24:27], 0 offset:440 ; 4-byte Folded Reload
	buffer_load_dword v82, off, s[24:27], 0 offset:444 ; 4-byte Folded Reload
	;; [unrolled: 1-line block ×4, first 2 shown]
	v_mov_b32_e32 v92, 0
	s_waitcnt vmcnt(0)
	ds_write2_b64 v90, v[81:82], v[83:84] offset0:2 offset1:3
	buffer_load_dword v81, off, s[24:27], 0 offset:424 ; 4-byte Folded Reload
	buffer_load_dword v82, off, s[24:27], 0 offset:428 ; 4-byte Folded Reload
	buffer_load_dword v83, off, s[24:27], 0 offset:432 ; 4-byte Folded Reload
	buffer_load_dword v84, off, s[24:27], 0 offset:436 ; 4-byte Folded Reload
	s_waitcnt vmcnt(0)
	ds_write2_b64 v90, v[81:82], v[83:84] offset0:4 offset1:5
	buffer_load_dword v81, off, s[24:27], 0 offset:400 ; 4-byte Folded Reload
	buffer_load_dword v82, off, s[24:27], 0 offset:404 ; 4-byte Folded Reload
	buffer_load_dword v83, off, s[24:27], 0 offset:408 ; 4-byte Folded Reload
	buffer_load_dword v84, off, s[24:27], 0 offset:412 ; 4-byte Folded Reload
	;; [unrolled: 6-line block ×26, first 2 shown]
	s_waitcnt vmcnt(0)
	ds_write2_b64 v90, v[81:82], v[83:84] offset0:54 offset1:55
	buffer_load_dword v81, off, s[24:27], 0 ; 4-byte Folded Reload
	buffer_load_dword v82, off, s[24:27], 0 offset:4 ; 4-byte Folded Reload
	buffer_load_dword v83, off, s[24:27], 0 offset:8 ; 4-byte Folded Reload
	;; [unrolled: 1-line block ×3, first 2 shown]
	s_waitcnt vmcnt(0)
	ds_write2_b64 v90, v[81:82], v[83:84] offset0:56 offset1:57
	ds_write2_b64 v90, v[111:112], v[113:114] offset0:58 offset1:59
	;; [unrolled: 1-line block ×24, first 2 shown]
.LBB102_20:
	s_or_b64 exec, exec, s[0:1]
	v_cmp_lt_i32_e32 vcc, 0, v92
	s_waitcnt vmcnt(0) lgkmcnt(0)
	s_barrier
	s_and_saveexec_b64 s[0:1], vcc
	s_cbranch_execz .LBB102_22
; %bb.21:
	buffer_load_dword v101, off, s[24:27], 0 offset:456 ; 4-byte Folded Reload
	buffer_load_dword v102, off, s[24:27], 0 offset:460 ; 4-byte Folded Reload
	buffer_load_dword v103, off, s[24:27], 0 offset:464 ; 4-byte Folded Reload
	buffer_load_dword v104, off, s[24:27], 0 offset:468 ; 4-byte Folded Reload
	s_waitcnt vmcnt(0)
	v_mul_f64 v[93:94], v[119:120], v[103:104]
	v_fma_f64 v[125:126], v[117:118], v[101:102], -v[93:94]
	v_mul_f64 v[93:94], v[117:118], v[103:104]
	v_fma_f64 v[103:104], v[119:120], v[101:102], v[93:94]
	ds_read2_b64 v[93:96], v90 offset0:2 offset1:3
	buffer_load_dword v81, off, s[24:27], 0 offset:440 ; 4-byte Folded Reload
	buffer_load_dword v82, off, s[24:27], 0 offset:444 ; 4-byte Folded Reload
	buffer_load_dword v83, off, s[24:27], 0 offset:448 ; 4-byte Folded Reload
	buffer_load_dword v84, off, s[24:27], 0 offset:452 ; 4-byte Folded Reload
	s_waitcnt lgkmcnt(0)
	v_mul_f64 v[99:100], v[95:96], v[103:104]
	v_fma_f64 v[99:100], v[93:94], v[125:126], -v[99:100]
	v_mul_f64 v[93:94], v[93:94], v[103:104]
	v_fma_f64 v[93:94], v[95:96], v[125:126], v[93:94]
	s_waitcnt vmcnt(2)
	v_add_f64 v[81:82], v[81:82], -v[99:100]
	s_waitcnt vmcnt(0)
	v_add_f64 v[83:84], v[83:84], -v[93:94]
	buffer_store_dword v81, off, s[24:27], 0 offset:440 ; 4-byte Folded Spill
	s_nop 0
	buffer_store_dword v82, off, s[24:27], 0 offset:444 ; 4-byte Folded Spill
	buffer_store_dword v83, off, s[24:27], 0 offset:448 ; 4-byte Folded Spill
	buffer_store_dword v84, off, s[24:27], 0 offset:452 ; 4-byte Folded Spill
	ds_read2_b64 v[93:96], v90 offset0:4 offset1:5
	buffer_load_dword v81, off, s[24:27], 0 offset:424 ; 4-byte Folded Reload
	buffer_load_dword v82, off, s[24:27], 0 offset:428 ; 4-byte Folded Reload
	buffer_load_dword v83, off, s[24:27], 0 offset:432 ; 4-byte Folded Reload
	buffer_load_dword v84, off, s[24:27], 0 offset:436 ; 4-byte Folded Reload
	s_waitcnt lgkmcnt(0)
	v_mul_f64 v[99:100], v[95:96], v[103:104]
	v_fma_f64 v[99:100], v[93:94], v[125:126], -v[99:100]
	v_mul_f64 v[93:94], v[93:94], v[103:104]
	v_fma_f64 v[93:94], v[95:96], v[125:126], v[93:94]
	s_waitcnt vmcnt(2)
	v_add_f64 v[81:82], v[81:82], -v[99:100]
	s_waitcnt vmcnt(0)
	v_add_f64 v[83:84], v[83:84], -v[93:94]
	buffer_store_dword v81, off, s[24:27], 0 offset:424 ; 4-byte Folded Spill
	s_nop 0
	buffer_store_dword v82, off, s[24:27], 0 offset:428 ; 4-byte Folded Spill
	buffer_store_dword v83, off, s[24:27], 0 offset:432 ; 4-byte Folded Spill
	buffer_store_dword v84, off, s[24:27], 0 offset:436 ; 4-byte Folded Spill
	;; [unrolled: 19-line block ×27, first 2 shown]
	ds_read2_b64 v[93:96], v90 offset0:56 offset1:57
	buffer_load_dword v81, off, s[24:27], 0 ; 4-byte Folded Reload
	buffer_load_dword v82, off, s[24:27], 0 offset:4 ; 4-byte Folded Reload
	buffer_load_dword v83, off, s[24:27], 0 offset:8 ; 4-byte Folded Reload
	;; [unrolled: 1-line block ×3, first 2 shown]
	s_waitcnt lgkmcnt(0)
	v_mul_f64 v[99:100], v[95:96], v[103:104]
	v_fma_f64 v[99:100], v[93:94], v[125:126], -v[99:100]
	v_mul_f64 v[93:94], v[93:94], v[103:104]
	v_fma_f64 v[93:94], v[95:96], v[125:126], v[93:94]
	s_waitcnt vmcnt(2)
	v_add_f64 v[81:82], v[81:82], -v[99:100]
	s_waitcnt vmcnt(0)
	v_add_f64 v[83:84], v[83:84], -v[93:94]
	buffer_store_dword v81, off, s[24:27], 0 ; 4-byte Folded Spill
	s_nop 0
	buffer_store_dword v82, off, s[24:27], 0 offset:4 ; 4-byte Folded Spill
	buffer_store_dword v83, off, s[24:27], 0 offset:8 ; 4-byte Folded Spill
	;; [unrolled: 1-line block ×3, first 2 shown]
	ds_read2_b64 v[93:96], v90 offset0:58 offset1:59
	s_waitcnt lgkmcnt(0)
	v_mul_f64 v[99:100], v[95:96], v[103:104]
	v_fma_f64 v[99:100], v[93:94], v[125:126], -v[99:100]
	v_mul_f64 v[93:94], v[93:94], v[103:104]
	v_add_f64 v[111:112], v[111:112], -v[99:100]
	v_fma_f64 v[93:94], v[95:96], v[125:126], v[93:94]
	v_add_f64 v[113:114], v[113:114], -v[93:94]
	ds_read2_b64 v[93:96], v90 offset0:60 offset1:61
	s_waitcnt lgkmcnt(0)
	v_mul_f64 v[99:100], v[95:96], v[103:104]
	v_fma_f64 v[99:100], v[93:94], v[125:126], -v[99:100]
	v_mul_f64 v[93:94], v[93:94], v[103:104]
	v_add_f64 v[85:86], v[85:86], -v[99:100]
	v_fma_f64 v[93:94], v[95:96], v[125:126], v[93:94]
	v_add_f64 v[87:88], v[87:88], -v[93:94]
	;; [unrolled: 8-line block ×21, first 2 shown]
	ds_read2_b64 v[93:96], v90 offset0:100 offset1:101
	s_waitcnt lgkmcnt(0)
	v_mul_f64 v[99:100], v[95:96], v[103:104]
	v_fma_f64 v[99:100], v[93:94], v[125:126], -v[99:100]
	v_mul_f64 v[93:94], v[93:94], v[103:104]
	v_add_f64 v[1:2], v[1:2], -v[99:100]
	v_fma_f64 v[93:94], v[95:96], v[125:126], v[93:94]
	ds_read2_b64 v[99:102], v90 offset0:102 offset1:103
	s_waitcnt lgkmcnt(0)
	v_mul_f64 v[95:96], v[99:100], v[103:104]
	v_add_f64 v[3:4], v[3:4], -v[93:94]
	v_mul_f64 v[93:94], v[101:102], v[103:104]
	v_fma_f64 v[95:96], v[101:102], v[125:126], v[95:96]
	v_mov_b32_e32 v101, v125
	v_mov_b32_e32 v102, v126
	v_fma_f64 v[93:94], v[99:100], v[125:126], -v[93:94]
	buffer_store_dword v101, off, s[24:27], 0 offset:456 ; 4-byte Folded Spill
	s_nop 0
	buffer_store_dword v102, off, s[24:27], 0 offset:460 ; 4-byte Folded Spill
	buffer_store_dword v103, off, s[24:27], 0 offset:464 ; 4-byte Folded Spill
	;; [unrolled: 1-line block ×3, first 2 shown]
	v_add_f64 v[123:124], v[123:124], -v[95:96]
	v_add_f64 v[121:122], v[121:122], -v[93:94]
.LBB102_22:
	s_or_b64 exec, exec, s[0:1]
	s_waitcnt vmcnt(0)
	s_barrier
	buffer_load_dword v81, off, s[24:27], 0 offset:440 ; 4-byte Folded Reload
	buffer_load_dword v82, off, s[24:27], 0 offset:444 ; 4-byte Folded Reload
	;; [unrolled: 1-line block ×4, first 2 shown]
	v_lshl_add_u32 v93, v92, 4, v90
	s_cmp_lt_i32 s3, 3
	s_waitcnt vmcnt(0)
	ds_write2_b64 v93, v[81:82], v[83:84] offset1:1
	s_waitcnt lgkmcnt(0)
	s_barrier
	ds_read2_b64 v[117:120], v90 offset0:2 offset1:3
	v_mov_b32_e32 v93, 1
	s_cbranch_scc1 .LBB102_25
; %bb.23:
	v_add3_u32 v94, v97, 0, 32
	s_mov_b32 s0, 2
	v_mov_b32_e32 v93, 1
.LBB102_24:                             ; =>This Inner Loop Header: Depth=1
	s_waitcnt lgkmcnt(0)
	v_cmp_gt_f64_e32 vcc, 0, v[117:118]
	v_xor_b32_e32 v95, 0x80000000, v118
	ds_read2_b64 v[99:102], v94 offset1:1
	v_xor_b32_e32 v103, 0x80000000, v120
	v_add_u32_e32 v94, 16, v94
	s_waitcnt lgkmcnt(0)
	v_xor_b32_e32 v105, 0x80000000, v102
	v_cndmask_b32_e32 v96, v118, v95, vcc
	v_cmp_gt_f64_e32 vcc, 0, v[119:120]
	v_mov_b32_e32 v95, v117
	v_cndmask_b32_e32 v104, v120, v103, vcc
	v_cmp_gt_f64_e32 vcc, 0, v[99:100]
	v_mov_b32_e32 v103, v119
	v_add_f64 v[95:96], v[95:96], v[103:104]
	v_xor_b32_e32 v103, 0x80000000, v100
	v_cndmask_b32_e32 v104, v100, v103, vcc
	v_cmp_gt_f64_e32 vcc, 0, v[101:102]
	v_mov_b32_e32 v103, v99
	v_cndmask_b32_e32 v106, v102, v105, vcc
	v_mov_b32_e32 v105, v101
	v_add_f64 v[103:104], v[103:104], v[105:106]
	v_cmp_lt_f64_e32 vcc, v[95:96], v[103:104]
	v_mov_b32_e32 v95, s0
	s_add_i32 s0, s0, 1
	s_cmp_lg_u32 s3, s0
	v_cndmask_b32_e32 v118, v118, v100, vcc
	v_cndmask_b32_e32 v117, v117, v99, vcc
	;; [unrolled: 1-line block ×5, first 2 shown]
	s_cbranch_scc1 .LBB102_24
.LBB102_25:
	s_waitcnt lgkmcnt(0)
	v_cmp_neq_f64_e32 vcc, 0, v[117:118]
	v_cmp_neq_f64_e64 s[0:1], 0, v[119:120]
	s_or_b64 s[18:19], vcc, s[0:1]
	s_and_saveexec_b64 s[0:1], s[18:19]
	s_cbranch_execz .LBB102_31
; %bb.26:
	v_cmp_ngt_f64_e64 s[18:19], |v[117:118]|, |v[119:120]|
	s_and_saveexec_b64 s[20:21], s[18:19]
	s_xor_b64 s[18:19], exec, s[20:21]
	s_cbranch_execz .LBB102_28
; %bb.27:
	v_div_scale_f64 v[94:95], s[20:21], v[119:120], v[119:120], v[117:118]
	v_rcp_f64_e32 v[99:100], v[94:95]
	v_fma_f64 v[101:102], -v[94:95], v[99:100], 1.0
	v_fma_f64 v[99:100], v[99:100], v[101:102], v[99:100]
	v_div_scale_f64 v[101:102], vcc, v[117:118], v[119:120], v[117:118]
	v_fma_f64 v[103:104], -v[94:95], v[99:100], 1.0
	v_fma_f64 v[99:100], v[99:100], v[103:104], v[99:100]
	v_mul_f64 v[103:104], v[101:102], v[99:100]
	v_fma_f64 v[94:95], -v[94:95], v[103:104], v[101:102]
	v_div_fmas_f64 v[94:95], v[94:95], v[99:100], v[103:104]
	v_div_fixup_f64 v[94:95], v[94:95], v[119:120], v[117:118]
	v_fma_f64 v[99:100], v[117:118], v[94:95], v[119:120]
	v_div_scale_f64 v[101:102], s[20:21], v[99:100], v[99:100], 1.0
	v_div_scale_f64 v[107:108], vcc, 1.0, v[99:100], 1.0
	v_rcp_f64_e32 v[103:104], v[101:102]
	v_fma_f64 v[105:106], -v[101:102], v[103:104], 1.0
	v_fma_f64 v[103:104], v[103:104], v[105:106], v[103:104]
	v_fma_f64 v[105:106], -v[101:102], v[103:104], 1.0
	v_fma_f64 v[103:104], v[103:104], v[105:106], v[103:104]
	v_mul_f64 v[105:106], v[107:108], v[103:104]
	v_fma_f64 v[101:102], -v[101:102], v[105:106], v[107:108]
	v_div_fmas_f64 v[101:102], v[101:102], v[103:104], v[105:106]
	v_div_fixup_f64 v[119:120], v[101:102], v[99:100], 1.0
	v_mul_f64 v[117:118], v[94:95], v[119:120]
	v_xor_b32_e32 v120, 0x80000000, v120
.LBB102_28:
	s_andn2_saveexec_b64 s[18:19], s[18:19]
	s_cbranch_execz .LBB102_30
; %bb.29:
	v_div_scale_f64 v[94:95], s[20:21], v[117:118], v[117:118], v[119:120]
	v_rcp_f64_e32 v[99:100], v[94:95]
	v_fma_f64 v[101:102], -v[94:95], v[99:100], 1.0
	v_fma_f64 v[99:100], v[99:100], v[101:102], v[99:100]
	v_div_scale_f64 v[101:102], vcc, v[119:120], v[117:118], v[119:120]
	v_fma_f64 v[103:104], -v[94:95], v[99:100], 1.0
	v_fma_f64 v[99:100], v[99:100], v[103:104], v[99:100]
	v_mul_f64 v[103:104], v[101:102], v[99:100]
	v_fma_f64 v[94:95], -v[94:95], v[103:104], v[101:102]
	v_div_fmas_f64 v[94:95], v[94:95], v[99:100], v[103:104]
	v_div_fixup_f64 v[94:95], v[94:95], v[117:118], v[119:120]
	v_fma_f64 v[99:100], v[119:120], v[94:95], v[117:118]
	v_div_scale_f64 v[101:102], s[20:21], v[99:100], v[99:100], 1.0
	v_div_scale_f64 v[107:108], vcc, 1.0, v[99:100], 1.0
	v_rcp_f64_e32 v[103:104], v[101:102]
	v_fma_f64 v[105:106], -v[101:102], v[103:104], 1.0
	v_fma_f64 v[103:104], v[103:104], v[105:106], v[103:104]
	v_fma_f64 v[105:106], -v[101:102], v[103:104], 1.0
	v_fma_f64 v[103:104], v[103:104], v[105:106], v[103:104]
	v_mul_f64 v[105:106], v[107:108], v[103:104]
	v_fma_f64 v[101:102], -v[101:102], v[105:106], v[107:108]
	v_div_fmas_f64 v[101:102], v[101:102], v[103:104], v[105:106]
	v_div_fixup_f64 v[117:118], v[101:102], v[99:100], 1.0
	v_mul_f64 v[119:120], v[94:95], -v[117:118]
.LBB102_30:
	s_or_b64 exec, exec, s[18:19]
	v_mov_b32_e32 v91, v98
.LBB102_31:
	s_or_b64 exec, exec, s[0:1]
	v_cmp_ne_u32_e32 vcc, v92, v93
	s_and_saveexec_b64 s[0:1], vcc
	s_xor_b64 s[0:1], exec, s[0:1]
	s_cbranch_execz .LBB102_37
; %bb.32:
	v_cmp_eq_u32_e32 vcc, 1, v92
	s_and_saveexec_b64 s[18:19], vcc
	s_cbranch_execz .LBB102_36
; %bb.33:
	v_cmp_ne_u32_e32 vcc, 1, v93
	s_xor_b64 s[20:21], s[6:7], -1
	s_and_b64 s[22:23], s[20:21], vcc
	s_and_saveexec_b64 s[20:21], s[22:23]
	s_cbranch_execz .LBB102_35
; %bb.34:
	buffer_load_dword v81, off, s[24:27], 0 offset:416 ; 4-byte Folded Reload
	buffer_load_dword v82, off, s[24:27], 0 offset:420 ; 4-byte Folded Reload
	v_ashrrev_i32_e32 v94, 31, v93
	v_lshlrev_b64 v[94:95], 2, v[93:94]
	s_waitcnt vmcnt(1)
	v_add_co_u32_e32 v94, vcc, v81, v94
	s_waitcnt vmcnt(0)
	v_addc_co_u32_e32 v95, vcc, v82, v95, vcc
	global_load_dword v0, v[94:95], off
	global_load_dword v92, v[81:82], off offset:4
	s_waitcnt vmcnt(1)
	global_store_dword v[81:82], v0, off offset:4
	s_waitcnt vmcnt(1)
	global_store_dword v[94:95], v92, off
.LBB102_35:
	s_or_b64 exec, exec, s[20:21]
	v_mov_b32_e32 v92, v93
	v_mov_b32_e32 v0, v93
.LBB102_36:
	s_or_b64 exec, exec, s[18:19]
.LBB102_37:
	s_andn2_saveexec_b64 s[0:1], s[0:1]
	s_cbranch_execz .LBB102_39
; %bb.38:
	buffer_load_dword v81, off, s[24:27], 0 offset:424 ; 4-byte Folded Reload
	buffer_load_dword v82, off, s[24:27], 0 offset:428 ; 4-byte Folded Reload
	;; [unrolled: 1-line block ×4, first 2 shown]
	v_mov_b32_e32 v92, 1
	s_waitcnt vmcnt(0)
	ds_write2_b64 v90, v[81:82], v[83:84] offset0:4 offset1:5
	buffer_load_dword v81, off, s[24:27], 0 offset:400 ; 4-byte Folded Reload
	buffer_load_dword v82, off, s[24:27], 0 offset:404 ; 4-byte Folded Reload
	buffer_load_dword v83, off, s[24:27], 0 offset:408 ; 4-byte Folded Reload
	buffer_load_dword v84, off, s[24:27], 0 offset:412 ; 4-byte Folded Reload
	s_waitcnt vmcnt(0)
	ds_write2_b64 v90, v[81:82], v[83:84] offset0:6 offset1:7
	buffer_load_dword v81, off, s[24:27], 0 offset:384 ; 4-byte Folded Reload
	buffer_load_dword v82, off, s[24:27], 0 offset:388 ; 4-byte Folded Reload
	buffer_load_dword v83, off, s[24:27], 0 offset:392 ; 4-byte Folded Reload
	buffer_load_dword v84, off, s[24:27], 0 offset:396 ; 4-byte Folded Reload
	;; [unrolled: 6-line block ×25, first 2 shown]
	s_waitcnt vmcnt(0)
	ds_write2_b64 v90, v[81:82], v[83:84] offset0:54 offset1:55
	buffer_load_dword v81, off, s[24:27], 0 ; 4-byte Folded Reload
	buffer_load_dword v82, off, s[24:27], 0 offset:4 ; 4-byte Folded Reload
	buffer_load_dword v83, off, s[24:27], 0 offset:8 ; 4-byte Folded Reload
	;; [unrolled: 1-line block ×3, first 2 shown]
	s_waitcnt vmcnt(0)
	ds_write2_b64 v90, v[81:82], v[83:84] offset0:56 offset1:57
	ds_write2_b64 v90, v[111:112], v[113:114] offset0:58 offset1:59
	;; [unrolled: 1-line block ×24, first 2 shown]
.LBB102_39:
	s_or_b64 exec, exec, s[0:1]
	v_cmp_lt_i32_e32 vcc, 1, v92
	s_waitcnt vmcnt(0) lgkmcnt(0)
	s_barrier
	s_and_saveexec_b64 s[0:1], vcc
	s_cbranch_execz .LBB102_41
; %bb.40:
	buffer_load_dword v100, off, s[24:27], 0 offset:440 ; 4-byte Folded Reload
	buffer_load_dword v101, off, s[24:27], 0 offset:444 ; 4-byte Folded Reload
	;; [unrolled: 1-line block ×4, first 2 shown]
	s_waitcnt vmcnt(0)
	v_mul_f64 v[93:94], v[119:120], v[102:103]
	v_fma_f64 v[125:126], v[117:118], v[100:101], -v[93:94]
	v_mul_f64 v[93:94], v[117:118], v[102:103]
	v_fma_f64 v[102:103], v[119:120], v[100:101], v[93:94]
	ds_read2_b64 v[93:96], v90 offset0:4 offset1:5
	buffer_load_dword v81, off, s[24:27], 0 offset:424 ; 4-byte Folded Reload
	buffer_load_dword v82, off, s[24:27], 0 offset:428 ; 4-byte Folded Reload
	buffer_load_dword v83, off, s[24:27], 0 offset:432 ; 4-byte Folded Reload
	buffer_load_dword v84, off, s[24:27], 0 offset:436 ; 4-byte Folded Reload
	s_waitcnt lgkmcnt(0)
	v_mul_f64 v[98:99], v[95:96], v[102:103]
	v_fma_f64 v[98:99], v[93:94], v[125:126], -v[98:99]
	v_mul_f64 v[93:94], v[93:94], v[102:103]
	v_fma_f64 v[93:94], v[95:96], v[125:126], v[93:94]
	s_waitcnt vmcnt(2)
	v_add_f64 v[81:82], v[81:82], -v[98:99]
	s_waitcnt vmcnt(0)
	v_add_f64 v[83:84], v[83:84], -v[93:94]
	buffer_store_dword v81, off, s[24:27], 0 offset:424 ; 4-byte Folded Spill
	s_nop 0
	buffer_store_dword v82, off, s[24:27], 0 offset:428 ; 4-byte Folded Spill
	buffer_store_dword v83, off, s[24:27], 0 offset:432 ; 4-byte Folded Spill
	buffer_store_dword v84, off, s[24:27], 0 offset:436 ; 4-byte Folded Spill
	ds_read2_b64 v[93:96], v90 offset0:6 offset1:7
	buffer_load_dword v81, off, s[24:27], 0 offset:400 ; 4-byte Folded Reload
	buffer_load_dword v82, off, s[24:27], 0 offset:404 ; 4-byte Folded Reload
	buffer_load_dword v83, off, s[24:27], 0 offset:408 ; 4-byte Folded Reload
	buffer_load_dword v84, off, s[24:27], 0 offset:412 ; 4-byte Folded Reload
	s_waitcnt lgkmcnt(0)
	v_mul_f64 v[98:99], v[95:96], v[102:103]
	v_fma_f64 v[98:99], v[93:94], v[125:126], -v[98:99]
	v_mul_f64 v[93:94], v[93:94], v[102:103]
	v_fma_f64 v[93:94], v[95:96], v[125:126], v[93:94]
	s_waitcnt vmcnt(2)
	v_add_f64 v[81:82], v[81:82], -v[98:99]
	s_waitcnt vmcnt(0)
	v_add_f64 v[83:84], v[83:84], -v[93:94]
	buffer_store_dword v81, off, s[24:27], 0 offset:400 ; 4-byte Folded Spill
	s_nop 0
	buffer_store_dword v82, off, s[24:27], 0 offset:404 ; 4-byte Folded Spill
	buffer_store_dword v83, off, s[24:27], 0 offset:408 ; 4-byte Folded Spill
	buffer_store_dword v84, off, s[24:27], 0 offset:412 ; 4-byte Folded Spill
	;; [unrolled: 19-line block ×26, first 2 shown]
	ds_read2_b64 v[93:96], v90 offset0:56 offset1:57
	buffer_load_dword v81, off, s[24:27], 0 ; 4-byte Folded Reload
	buffer_load_dword v82, off, s[24:27], 0 offset:4 ; 4-byte Folded Reload
	buffer_load_dword v83, off, s[24:27], 0 offset:8 ; 4-byte Folded Reload
	;; [unrolled: 1-line block ×3, first 2 shown]
	s_waitcnt lgkmcnt(0)
	v_mul_f64 v[98:99], v[95:96], v[102:103]
	v_fma_f64 v[98:99], v[93:94], v[125:126], -v[98:99]
	v_mul_f64 v[93:94], v[93:94], v[102:103]
	v_fma_f64 v[93:94], v[95:96], v[125:126], v[93:94]
	s_waitcnt vmcnt(2)
	v_add_f64 v[81:82], v[81:82], -v[98:99]
	s_waitcnt vmcnt(0)
	v_add_f64 v[83:84], v[83:84], -v[93:94]
	buffer_store_dword v81, off, s[24:27], 0 ; 4-byte Folded Spill
	s_nop 0
	buffer_store_dword v82, off, s[24:27], 0 offset:4 ; 4-byte Folded Spill
	buffer_store_dword v83, off, s[24:27], 0 offset:8 ; 4-byte Folded Spill
	;; [unrolled: 1-line block ×3, first 2 shown]
	ds_read2_b64 v[93:96], v90 offset0:58 offset1:59
	s_waitcnt lgkmcnt(0)
	v_mul_f64 v[98:99], v[95:96], v[102:103]
	v_fma_f64 v[98:99], v[93:94], v[125:126], -v[98:99]
	v_mul_f64 v[93:94], v[93:94], v[102:103]
	v_add_f64 v[111:112], v[111:112], -v[98:99]
	v_fma_f64 v[93:94], v[95:96], v[125:126], v[93:94]
	v_add_f64 v[113:114], v[113:114], -v[93:94]
	ds_read2_b64 v[93:96], v90 offset0:60 offset1:61
	s_waitcnt lgkmcnt(0)
	v_mul_f64 v[98:99], v[95:96], v[102:103]
	v_fma_f64 v[98:99], v[93:94], v[125:126], -v[98:99]
	v_mul_f64 v[93:94], v[93:94], v[102:103]
	v_add_f64 v[85:86], v[85:86], -v[98:99]
	v_fma_f64 v[93:94], v[95:96], v[125:126], v[93:94]
	v_add_f64 v[87:88], v[87:88], -v[93:94]
	ds_read2_b64 v[93:96], v90 offset0:62 offset1:63
	s_waitcnt lgkmcnt(0)
	v_mul_f64 v[98:99], v[95:96], v[102:103]
	v_fma_f64 v[98:99], v[93:94], v[125:126], -v[98:99]
	v_mul_f64 v[93:94], v[93:94], v[102:103]
	v_add_f64 v[77:78], v[77:78], -v[98:99]
	v_fma_f64 v[93:94], v[95:96], v[125:126], v[93:94]
	v_add_f64 v[79:80], v[79:80], -v[93:94]
	ds_read2_b64 v[93:96], v90 offset0:64 offset1:65
	s_waitcnt lgkmcnt(0)
	v_mul_f64 v[98:99], v[95:96], v[102:103]
	v_fma_f64 v[98:99], v[93:94], v[125:126], -v[98:99]
	v_mul_f64 v[93:94], v[93:94], v[102:103]
	v_add_f64 v[73:74], v[73:74], -v[98:99]
	v_fma_f64 v[93:94], v[95:96], v[125:126], v[93:94]
	v_add_f64 v[75:76], v[75:76], -v[93:94]
	ds_read2_b64 v[93:96], v90 offset0:66 offset1:67
	s_waitcnt lgkmcnt(0)
	v_mul_f64 v[98:99], v[95:96], v[102:103]
	v_fma_f64 v[98:99], v[93:94], v[125:126], -v[98:99]
	v_mul_f64 v[93:94], v[93:94], v[102:103]
	v_add_f64 v[69:70], v[69:70], -v[98:99]
	v_fma_f64 v[93:94], v[95:96], v[125:126], v[93:94]
	v_add_f64 v[71:72], v[71:72], -v[93:94]
	ds_read2_b64 v[93:96], v90 offset0:68 offset1:69
	s_waitcnt lgkmcnt(0)
	v_mul_f64 v[98:99], v[95:96], v[102:103]
	v_fma_f64 v[98:99], v[93:94], v[125:126], -v[98:99]
	v_mul_f64 v[93:94], v[93:94], v[102:103]
	v_add_f64 v[65:66], v[65:66], -v[98:99]
	v_fma_f64 v[93:94], v[95:96], v[125:126], v[93:94]
	v_add_f64 v[67:68], v[67:68], -v[93:94]
	ds_read2_b64 v[93:96], v90 offset0:70 offset1:71
	s_waitcnt lgkmcnt(0)
	v_mul_f64 v[98:99], v[95:96], v[102:103]
	v_fma_f64 v[98:99], v[93:94], v[125:126], -v[98:99]
	v_mul_f64 v[93:94], v[93:94], v[102:103]
	v_add_f64 v[61:62], v[61:62], -v[98:99]
	v_fma_f64 v[93:94], v[95:96], v[125:126], v[93:94]
	v_add_f64 v[63:64], v[63:64], -v[93:94]
	ds_read2_b64 v[93:96], v90 offset0:72 offset1:73
	s_waitcnt lgkmcnt(0)
	v_mul_f64 v[98:99], v[95:96], v[102:103]
	v_fma_f64 v[98:99], v[93:94], v[125:126], -v[98:99]
	v_mul_f64 v[93:94], v[93:94], v[102:103]
	v_add_f64 v[57:58], v[57:58], -v[98:99]
	v_fma_f64 v[93:94], v[95:96], v[125:126], v[93:94]
	v_add_f64 v[59:60], v[59:60], -v[93:94]
	ds_read2_b64 v[93:96], v90 offset0:74 offset1:75
	s_waitcnt lgkmcnt(0)
	v_mul_f64 v[98:99], v[95:96], v[102:103]
	v_fma_f64 v[98:99], v[93:94], v[125:126], -v[98:99]
	v_mul_f64 v[93:94], v[93:94], v[102:103]
	v_add_f64 v[53:54], v[53:54], -v[98:99]
	v_fma_f64 v[93:94], v[95:96], v[125:126], v[93:94]
	v_add_f64 v[55:56], v[55:56], -v[93:94]
	ds_read2_b64 v[93:96], v90 offset0:76 offset1:77
	s_waitcnt lgkmcnt(0)
	v_mul_f64 v[98:99], v[95:96], v[102:103]
	v_fma_f64 v[98:99], v[93:94], v[125:126], -v[98:99]
	v_mul_f64 v[93:94], v[93:94], v[102:103]
	v_add_f64 v[49:50], v[49:50], -v[98:99]
	v_fma_f64 v[93:94], v[95:96], v[125:126], v[93:94]
	v_add_f64 v[51:52], v[51:52], -v[93:94]
	ds_read2_b64 v[93:96], v90 offset0:78 offset1:79
	s_waitcnt lgkmcnt(0)
	v_mul_f64 v[98:99], v[95:96], v[102:103]
	v_fma_f64 v[98:99], v[93:94], v[125:126], -v[98:99]
	v_mul_f64 v[93:94], v[93:94], v[102:103]
	v_add_f64 v[45:46], v[45:46], -v[98:99]
	v_fma_f64 v[93:94], v[95:96], v[125:126], v[93:94]
	v_add_f64 v[47:48], v[47:48], -v[93:94]
	ds_read2_b64 v[93:96], v90 offset0:80 offset1:81
	s_waitcnt lgkmcnt(0)
	v_mul_f64 v[98:99], v[95:96], v[102:103]
	v_fma_f64 v[98:99], v[93:94], v[125:126], -v[98:99]
	v_mul_f64 v[93:94], v[93:94], v[102:103]
	v_add_f64 v[41:42], v[41:42], -v[98:99]
	v_fma_f64 v[93:94], v[95:96], v[125:126], v[93:94]
	v_add_f64 v[43:44], v[43:44], -v[93:94]
	ds_read2_b64 v[93:96], v90 offset0:82 offset1:83
	s_waitcnt lgkmcnt(0)
	v_mul_f64 v[98:99], v[95:96], v[102:103]
	v_fma_f64 v[98:99], v[93:94], v[125:126], -v[98:99]
	v_mul_f64 v[93:94], v[93:94], v[102:103]
	v_add_f64 v[37:38], v[37:38], -v[98:99]
	v_fma_f64 v[93:94], v[95:96], v[125:126], v[93:94]
	v_add_f64 v[39:40], v[39:40], -v[93:94]
	ds_read2_b64 v[93:96], v90 offset0:84 offset1:85
	s_waitcnt lgkmcnt(0)
	v_mul_f64 v[98:99], v[95:96], v[102:103]
	v_fma_f64 v[98:99], v[93:94], v[125:126], -v[98:99]
	v_mul_f64 v[93:94], v[93:94], v[102:103]
	v_add_f64 v[33:34], v[33:34], -v[98:99]
	v_fma_f64 v[93:94], v[95:96], v[125:126], v[93:94]
	v_add_f64 v[35:36], v[35:36], -v[93:94]
	ds_read2_b64 v[93:96], v90 offset0:86 offset1:87
	s_waitcnt lgkmcnt(0)
	v_mul_f64 v[98:99], v[95:96], v[102:103]
	v_fma_f64 v[98:99], v[93:94], v[125:126], -v[98:99]
	v_mul_f64 v[93:94], v[93:94], v[102:103]
	v_add_f64 v[29:30], v[29:30], -v[98:99]
	v_fma_f64 v[93:94], v[95:96], v[125:126], v[93:94]
	v_add_f64 v[31:32], v[31:32], -v[93:94]
	ds_read2_b64 v[93:96], v90 offset0:88 offset1:89
	s_waitcnt lgkmcnt(0)
	v_mul_f64 v[98:99], v[95:96], v[102:103]
	v_fma_f64 v[98:99], v[93:94], v[125:126], -v[98:99]
	v_mul_f64 v[93:94], v[93:94], v[102:103]
	v_add_f64 v[25:26], v[25:26], -v[98:99]
	v_fma_f64 v[93:94], v[95:96], v[125:126], v[93:94]
	v_add_f64 v[27:28], v[27:28], -v[93:94]
	ds_read2_b64 v[93:96], v90 offset0:90 offset1:91
	s_waitcnt lgkmcnt(0)
	v_mul_f64 v[98:99], v[95:96], v[102:103]
	v_fma_f64 v[98:99], v[93:94], v[125:126], -v[98:99]
	v_mul_f64 v[93:94], v[93:94], v[102:103]
	v_add_f64 v[21:22], v[21:22], -v[98:99]
	v_fma_f64 v[93:94], v[95:96], v[125:126], v[93:94]
	v_add_f64 v[23:24], v[23:24], -v[93:94]
	ds_read2_b64 v[93:96], v90 offset0:92 offset1:93
	s_waitcnt lgkmcnt(0)
	v_mul_f64 v[98:99], v[95:96], v[102:103]
	v_fma_f64 v[98:99], v[93:94], v[125:126], -v[98:99]
	v_mul_f64 v[93:94], v[93:94], v[102:103]
	v_add_f64 v[17:18], v[17:18], -v[98:99]
	v_fma_f64 v[93:94], v[95:96], v[125:126], v[93:94]
	v_add_f64 v[19:20], v[19:20], -v[93:94]
	ds_read2_b64 v[93:96], v90 offset0:94 offset1:95
	s_waitcnt lgkmcnt(0)
	v_mul_f64 v[98:99], v[95:96], v[102:103]
	v_fma_f64 v[98:99], v[93:94], v[125:126], -v[98:99]
	v_mul_f64 v[93:94], v[93:94], v[102:103]
	v_add_f64 v[13:14], v[13:14], -v[98:99]
	v_fma_f64 v[93:94], v[95:96], v[125:126], v[93:94]
	v_add_f64 v[15:16], v[15:16], -v[93:94]
	ds_read2_b64 v[93:96], v90 offset0:96 offset1:97
	s_waitcnt lgkmcnt(0)
	v_mul_f64 v[98:99], v[95:96], v[102:103]
	v_fma_f64 v[98:99], v[93:94], v[125:126], -v[98:99]
	v_mul_f64 v[93:94], v[93:94], v[102:103]
	v_add_f64 v[9:10], v[9:10], -v[98:99]
	v_fma_f64 v[93:94], v[95:96], v[125:126], v[93:94]
	v_add_f64 v[11:12], v[11:12], -v[93:94]
	ds_read2_b64 v[93:96], v90 offset0:98 offset1:99
	s_waitcnt lgkmcnt(0)
	v_mul_f64 v[98:99], v[95:96], v[102:103]
	v_fma_f64 v[98:99], v[93:94], v[125:126], -v[98:99]
	v_mul_f64 v[93:94], v[93:94], v[102:103]
	v_add_f64 v[5:6], v[5:6], -v[98:99]
	v_fma_f64 v[93:94], v[95:96], v[125:126], v[93:94]
	v_add_f64 v[7:8], v[7:8], -v[93:94]
	ds_read2_b64 v[93:96], v90 offset0:100 offset1:101
	s_waitcnt lgkmcnt(0)
	v_mul_f64 v[98:99], v[95:96], v[102:103]
	v_fma_f64 v[98:99], v[93:94], v[125:126], -v[98:99]
	v_mul_f64 v[93:94], v[93:94], v[102:103]
	v_add_f64 v[1:2], v[1:2], -v[98:99]
	v_fma_f64 v[93:94], v[95:96], v[125:126], v[93:94]
	ds_read2_b64 v[98:101], v90 offset0:102 offset1:103
	s_waitcnt lgkmcnt(0)
	v_mul_f64 v[95:96], v[98:99], v[102:103]
	v_add_f64 v[3:4], v[3:4], -v[93:94]
	v_mul_f64 v[93:94], v[100:101], v[102:103]
	v_fma_f64 v[95:96], v[100:101], v[125:126], v[95:96]
	v_mov_b32_e32 v100, v125
	v_mov_b32_e32 v101, v126
	v_fma_f64 v[93:94], v[98:99], v[125:126], -v[93:94]
	buffer_store_dword v100, off, s[24:27], 0 offset:440 ; 4-byte Folded Spill
	s_nop 0
	buffer_store_dword v101, off, s[24:27], 0 offset:444 ; 4-byte Folded Spill
	buffer_store_dword v102, off, s[24:27], 0 offset:448 ; 4-byte Folded Spill
	;; [unrolled: 1-line block ×3, first 2 shown]
	v_add_f64 v[123:124], v[123:124], -v[95:96]
	v_add_f64 v[121:122], v[121:122], -v[93:94]
.LBB102_41:
	s_or_b64 exec, exec, s[0:1]
	s_waitcnt vmcnt(0)
	s_barrier
	buffer_load_dword v81, off, s[24:27], 0 offset:424 ; 4-byte Folded Reload
	buffer_load_dword v82, off, s[24:27], 0 offset:428 ; 4-byte Folded Reload
	;; [unrolled: 1-line block ×4, first 2 shown]
	v_lshl_add_u32 v93, v92, 4, v90
	s_cmp_lt_i32 s3, 4
	s_waitcnt vmcnt(0)
	ds_write2_b64 v93, v[81:82], v[83:84] offset1:1
	s_waitcnt lgkmcnt(0)
	s_barrier
	ds_read2_b64 v[117:120], v90 offset0:4 offset1:5
	v_mov_b32_e32 v93, 2
	s_cbranch_scc1 .LBB102_44
; %bb.42:
	v_add3_u32 v94, v97, 0, 48
	s_mov_b32 s0, 3
	v_mov_b32_e32 v93, 2
.LBB102_43:                             ; =>This Inner Loop Header: Depth=1
	s_waitcnt lgkmcnt(0)
	v_cmp_gt_f64_e32 vcc, 0, v[117:118]
	v_xor_b32_e32 v95, 0x80000000, v118
	ds_read2_b64 v[98:101], v94 offset1:1
	v_xor_b32_e32 v102, 0x80000000, v120
	v_add_u32_e32 v94, 16, v94
	s_waitcnt lgkmcnt(0)
	v_xor_b32_e32 v104, 0x80000000, v101
	v_cndmask_b32_e32 v96, v118, v95, vcc
	v_cmp_gt_f64_e32 vcc, 0, v[119:120]
	v_mov_b32_e32 v95, v117
	v_cndmask_b32_e32 v103, v120, v102, vcc
	v_cmp_gt_f64_e32 vcc, 0, v[98:99]
	v_mov_b32_e32 v102, v119
	v_add_f64 v[95:96], v[95:96], v[102:103]
	v_xor_b32_e32 v102, 0x80000000, v99
	v_cndmask_b32_e32 v103, v99, v102, vcc
	v_cmp_gt_f64_e32 vcc, 0, v[100:101]
	v_mov_b32_e32 v102, v98
	v_cndmask_b32_e32 v105, v101, v104, vcc
	v_mov_b32_e32 v104, v100
	v_add_f64 v[102:103], v[102:103], v[104:105]
	v_cmp_lt_f64_e32 vcc, v[95:96], v[102:103]
	v_mov_b32_e32 v95, s0
	s_add_i32 s0, s0, 1
	s_cmp_lg_u32 s3, s0
	v_cndmask_b32_e32 v118, v118, v99, vcc
	v_cndmask_b32_e32 v117, v117, v98, vcc
	;; [unrolled: 1-line block ×5, first 2 shown]
	s_cbranch_scc1 .LBB102_43
.LBB102_44:
	s_waitcnt lgkmcnt(0)
	v_cmp_eq_f64_e32 vcc, 0, v[117:118]
	v_cmp_eq_f64_e64 s[0:1], 0, v[119:120]
	s_and_b64 s[0:1], vcc, s[0:1]
	s_and_saveexec_b64 s[18:19], s[0:1]
	s_xor_b64 s[0:1], exec, s[18:19]
; %bb.45:
	v_cmp_ne_u32_e32 vcc, 0, v91
	v_cndmask_b32_e32 v91, 3, v91, vcc
; %bb.46:
	s_andn2_saveexec_b64 s[0:1], s[0:1]
	s_cbranch_execz .LBB102_52
; %bb.47:
	v_cmp_ngt_f64_e64 s[18:19], |v[117:118]|, |v[119:120]|
	s_and_saveexec_b64 s[20:21], s[18:19]
	s_xor_b64 s[18:19], exec, s[20:21]
	s_cbranch_execz .LBB102_49
; %bb.48:
	v_div_scale_f64 v[94:95], s[20:21], v[119:120], v[119:120], v[117:118]
	v_rcp_f64_e32 v[98:99], v[94:95]
	v_fma_f64 v[100:101], -v[94:95], v[98:99], 1.0
	v_fma_f64 v[98:99], v[98:99], v[100:101], v[98:99]
	v_div_scale_f64 v[100:101], vcc, v[117:118], v[119:120], v[117:118]
	v_fma_f64 v[102:103], -v[94:95], v[98:99], 1.0
	v_fma_f64 v[98:99], v[98:99], v[102:103], v[98:99]
	v_mul_f64 v[102:103], v[100:101], v[98:99]
	v_fma_f64 v[94:95], -v[94:95], v[102:103], v[100:101]
	v_div_fmas_f64 v[94:95], v[94:95], v[98:99], v[102:103]
	v_div_fixup_f64 v[94:95], v[94:95], v[119:120], v[117:118]
	v_fma_f64 v[98:99], v[117:118], v[94:95], v[119:120]
	v_div_scale_f64 v[100:101], s[20:21], v[98:99], v[98:99], 1.0
	v_div_scale_f64 v[106:107], vcc, 1.0, v[98:99], 1.0
	v_rcp_f64_e32 v[102:103], v[100:101]
	v_fma_f64 v[104:105], -v[100:101], v[102:103], 1.0
	v_fma_f64 v[102:103], v[102:103], v[104:105], v[102:103]
	v_fma_f64 v[104:105], -v[100:101], v[102:103], 1.0
	v_fma_f64 v[102:103], v[102:103], v[104:105], v[102:103]
	v_mul_f64 v[104:105], v[106:107], v[102:103]
	v_fma_f64 v[100:101], -v[100:101], v[104:105], v[106:107]
	v_div_fmas_f64 v[100:101], v[100:101], v[102:103], v[104:105]
	v_div_fixup_f64 v[119:120], v[100:101], v[98:99], 1.0
	v_mul_f64 v[117:118], v[94:95], v[119:120]
	v_xor_b32_e32 v120, 0x80000000, v120
.LBB102_49:
	s_andn2_saveexec_b64 s[18:19], s[18:19]
	s_cbranch_execz .LBB102_51
; %bb.50:
	v_div_scale_f64 v[94:95], s[20:21], v[117:118], v[117:118], v[119:120]
	v_rcp_f64_e32 v[98:99], v[94:95]
	v_fma_f64 v[100:101], -v[94:95], v[98:99], 1.0
	v_fma_f64 v[98:99], v[98:99], v[100:101], v[98:99]
	v_div_scale_f64 v[100:101], vcc, v[119:120], v[117:118], v[119:120]
	v_fma_f64 v[102:103], -v[94:95], v[98:99], 1.0
	v_fma_f64 v[98:99], v[98:99], v[102:103], v[98:99]
	v_mul_f64 v[102:103], v[100:101], v[98:99]
	v_fma_f64 v[94:95], -v[94:95], v[102:103], v[100:101]
	v_div_fmas_f64 v[94:95], v[94:95], v[98:99], v[102:103]
	v_div_fixup_f64 v[94:95], v[94:95], v[117:118], v[119:120]
	v_fma_f64 v[98:99], v[119:120], v[94:95], v[117:118]
	v_div_scale_f64 v[100:101], s[20:21], v[98:99], v[98:99], 1.0
	v_div_scale_f64 v[106:107], vcc, 1.0, v[98:99], 1.0
	v_rcp_f64_e32 v[102:103], v[100:101]
	v_fma_f64 v[104:105], -v[100:101], v[102:103], 1.0
	v_fma_f64 v[102:103], v[102:103], v[104:105], v[102:103]
	v_fma_f64 v[104:105], -v[100:101], v[102:103], 1.0
	v_fma_f64 v[102:103], v[102:103], v[104:105], v[102:103]
	v_mul_f64 v[104:105], v[106:107], v[102:103]
	v_fma_f64 v[100:101], -v[100:101], v[104:105], v[106:107]
	v_div_fmas_f64 v[100:101], v[100:101], v[102:103], v[104:105]
	v_div_fixup_f64 v[117:118], v[100:101], v[98:99], 1.0
	v_mul_f64 v[119:120], v[94:95], -v[117:118]
.LBB102_51:
	s_or_b64 exec, exec, s[18:19]
.LBB102_52:
	s_or_b64 exec, exec, s[0:1]
	v_cmp_ne_u32_e32 vcc, v92, v93
	s_and_saveexec_b64 s[0:1], vcc
	s_xor_b64 s[0:1], exec, s[0:1]
	s_cbranch_execz .LBB102_58
; %bb.53:
	v_cmp_eq_u32_e32 vcc, 2, v92
	s_and_saveexec_b64 s[18:19], vcc
	s_cbranch_execz .LBB102_57
; %bb.54:
	v_cmp_ne_u32_e32 vcc, 2, v93
	s_xor_b64 s[20:21], s[6:7], -1
	s_and_b64 s[22:23], s[20:21], vcc
	s_and_saveexec_b64 s[20:21], s[22:23]
	s_cbranch_execz .LBB102_56
; %bb.55:
	buffer_load_dword v81, off, s[24:27], 0 offset:416 ; 4-byte Folded Reload
	buffer_load_dword v82, off, s[24:27], 0 offset:420 ; 4-byte Folded Reload
	v_ashrrev_i32_e32 v94, 31, v93
	v_lshlrev_b64 v[94:95], 2, v[93:94]
	s_waitcnt vmcnt(1)
	v_add_co_u32_e32 v94, vcc, v81, v94
	s_waitcnt vmcnt(0)
	v_addc_co_u32_e32 v95, vcc, v82, v95, vcc
	global_load_dword v0, v[94:95], off
	global_load_dword v92, v[81:82], off offset:8
	s_waitcnt vmcnt(1)
	global_store_dword v[81:82], v0, off offset:8
	s_waitcnt vmcnt(1)
	global_store_dword v[94:95], v92, off
.LBB102_56:
	s_or_b64 exec, exec, s[20:21]
	v_mov_b32_e32 v92, v93
	v_mov_b32_e32 v0, v93
.LBB102_57:
	s_or_b64 exec, exec, s[18:19]
.LBB102_58:
	s_andn2_saveexec_b64 s[0:1], s[0:1]
	s_cbranch_execz .LBB102_60
; %bb.59:
	buffer_load_dword v81, off, s[24:27], 0 offset:400 ; 4-byte Folded Reload
	buffer_load_dword v82, off, s[24:27], 0 offset:404 ; 4-byte Folded Reload
	;; [unrolled: 1-line block ×4, first 2 shown]
	v_mov_b32_e32 v92, 2
	s_waitcnt vmcnt(0)
	ds_write2_b64 v90, v[81:82], v[83:84] offset0:6 offset1:7
	buffer_load_dword v81, off, s[24:27], 0 offset:384 ; 4-byte Folded Reload
	buffer_load_dword v82, off, s[24:27], 0 offset:388 ; 4-byte Folded Reload
	buffer_load_dword v83, off, s[24:27], 0 offset:392 ; 4-byte Folded Reload
	buffer_load_dword v84, off, s[24:27], 0 offset:396 ; 4-byte Folded Reload
	s_waitcnt vmcnt(0)
	ds_write2_b64 v90, v[81:82], v[83:84] offset0:8 offset1:9
	buffer_load_dword v81, off, s[24:27], 0 offset:368 ; 4-byte Folded Reload
	buffer_load_dword v82, off, s[24:27], 0 offset:372 ; 4-byte Folded Reload
	buffer_load_dword v83, off, s[24:27], 0 offset:376 ; 4-byte Folded Reload
	buffer_load_dword v84, off, s[24:27], 0 offset:380 ; 4-byte Folded Reload
	;; [unrolled: 6-line block ×24, first 2 shown]
	s_waitcnt vmcnt(0)
	ds_write2_b64 v90, v[81:82], v[83:84] offset0:54 offset1:55
	buffer_load_dword v81, off, s[24:27], 0 ; 4-byte Folded Reload
	buffer_load_dword v82, off, s[24:27], 0 offset:4 ; 4-byte Folded Reload
	buffer_load_dword v83, off, s[24:27], 0 offset:8 ; 4-byte Folded Reload
	;; [unrolled: 1-line block ×3, first 2 shown]
	s_waitcnt vmcnt(0)
	ds_write2_b64 v90, v[81:82], v[83:84] offset0:56 offset1:57
	ds_write2_b64 v90, v[111:112], v[113:114] offset0:58 offset1:59
	;; [unrolled: 1-line block ×24, first 2 shown]
.LBB102_60:
	s_or_b64 exec, exec, s[0:1]
	v_cmp_lt_i32_e32 vcc, 2, v92
	s_waitcnt vmcnt(0) lgkmcnt(0)
	s_barrier
	s_and_saveexec_b64 s[0:1], vcc
	s_cbranch_execz .LBB102_62
; %bb.61:
	buffer_load_dword v100, off, s[24:27], 0 offset:424 ; 4-byte Folded Reload
	buffer_load_dword v101, off, s[24:27], 0 offset:428 ; 4-byte Folded Reload
	;; [unrolled: 1-line block ×4, first 2 shown]
	s_waitcnt vmcnt(0)
	v_mul_f64 v[93:94], v[119:120], v[102:103]
	v_fma_f64 v[125:126], v[117:118], v[100:101], -v[93:94]
	v_mul_f64 v[93:94], v[117:118], v[102:103]
	v_fma_f64 v[102:103], v[119:120], v[100:101], v[93:94]
	ds_read2_b64 v[93:96], v90 offset0:6 offset1:7
	buffer_load_dword v81, off, s[24:27], 0 offset:400 ; 4-byte Folded Reload
	buffer_load_dword v82, off, s[24:27], 0 offset:404 ; 4-byte Folded Reload
	buffer_load_dword v83, off, s[24:27], 0 offset:408 ; 4-byte Folded Reload
	buffer_load_dword v84, off, s[24:27], 0 offset:412 ; 4-byte Folded Reload
	s_waitcnt lgkmcnt(0)
	v_mul_f64 v[98:99], v[95:96], v[102:103]
	v_fma_f64 v[98:99], v[93:94], v[125:126], -v[98:99]
	v_mul_f64 v[93:94], v[93:94], v[102:103]
	v_fma_f64 v[93:94], v[95:96], v[125:126], v[93:94]
	s_waitcnt vmcnt(2)
	v_add_f64 v[81:82], v[81:82], -v[98:99]
	s_waitcnt vmcnt(0)
	v_add_f64 v[83:84], v[83:84], -v[93:94]
	buffer_store_dword v81, off, s[24:27], 0 offset:400 ; 4-byte Folded Spill
	s_nop 0
	buffer_store_dword v82, off, s[24:27], 0 offset:404 ; 4-byte Folded Spill
	buffer_store_dword v83, off, s[24:27], 0 offset:408 ; 4-byte Folded Spill
	buffer_store_dword v84, off, s[24:27], 0 offset:412 ; 4-byte Folded Spill
	ds_read2_b64 v[93:96], v90 offset0:8 offset1:9
	buffer_load_dword v81, off, s[24:27], 0 offset:384 ; 4-byte Folded Reload
	buffer_load_dword v82, off, s[24:27], 0 offset:388 ; 4-byte Folded Reload
	buffer_load_dword v83, off, s[24:27], 0 offset:392 ; 4-byte Folded Reload
	buffer_load_dword v84, off, s[24:27], 0 offset:396 ; 4-byte Folded Reload
	s_waitcnt lgkmcnt(0)
	v_mul_f64 v[98:99], v[95:96], v[102:103]
	v_fma_f64 v[98:99], v[93:94], v[125:126], -v[98:99]
	v_mul_f64 v[93:94], v[93:94], v[102:103]
	v_fma_f64 v[93:94], v[95:96], v[125:126], v[93:94]
	s_waitcnt vmcnt(2)
	v_add_f64 v[81:82], v[81:82], -v[98:99]
	s_waitcnt vmcnt(0)
	v_add_f64 v[83:84], v[83:84], -v[93:94]
	buffer_store_dword v81, off, s[24:27], 0 offset:384 ; 4-byte Folded Spill
	s_nop 0
	buffer_store_dword v82, off, s[24:27], 0 offset:388 ; 4-byte Folded Spill
	buffer_store_dword v83, off, s[24:27], 0 offset:392 ; 4-byte Folded Spill
	buffer_store_dword v84, off, s[24:27], 0 offset:396 ; 4-byte Folded Spill
	;; [unrolled: 19-line block ×25, first 2 shown]
	ds_read2_b64 v[93:96], v90 offset0:56 offset1:57
	buffer_load_dword v81, off, s[24:27], 0 ; 4-byte Folded Reload
	buffer_load_dword v82, off, s[24:27], 0 offset:4 ; 4-byte Folded Reload
	buffer_load_dword v83, off, s[24:27], 0 offset:8 ; 4-byte Folded Reload
	;; [unrolled: 1-line block ×3, first 2 shown]
	s_waitcnt lgkmcnt(0)
	v_mul_f64 v[98:99], v[95:96], v[102:103]
	v_fma_f64 v[98:99], v[93:94], v[125:126], -v[98:99]
	v_mul_f64 v[93:94], v[93:94], v[102:103]
	v_fma_f64 v[93:94], v[95:96], v[125:126], v[93:94]
	s_waitcnt vmcnt(2)
	v_add_f64 v[81:82], v[81:82], -v[98:99]
	s_waitcnt vmcnt(0)
	v_add_f64 v[83:84], v[83:84], -v[93:94]
	buffer_store_dword v81, off, s[24:27], 0 ; 4-byte Folded Spill
	s_nop 0
	buffer_store_dword v82, off, s[24:27], 0 offset:4 ; 4-byte Folded Spill
	buffer_store_dword v83, off, s[24:27], 0 offset:8 ; 4-byte Folded Spill
	buffer_store_dword v84, off, s[24:27], 0 offset:12 ; 4-byte Folded Spill
	ds_read2_b64 v[93:96], v90 offset0:58 offset1:59
	s_waitcnt lgkmcnt(0)
	v_mul_f64 v[98:99], v[95:96], v[102:103]
	v_fma_f64 v[98:99], v[93:94], v[125:126], -v[98:99]
	v_mul_f64 v[93:94], v[93:94], v[102:103]
	v_add_f64 v[111:112], v[111:112], -v[98:99]
	v_fma_f64 v[93:94], v[95:96], v[125:126], v[93:94]
	v_add_f64 v[113:114], v[113:114], -v[93:94]
	ds_read2_b64 v[93:96], v90 offset0:60 offset1:61
	s_waitcnt lgkmcnt(0)
	v_mul_f64 v[98:99], v[95:96], v[102:103]
	v_fma_f64 v[98:99], v[93:94], v[125:126], -v[98:99]
	v_mul_f64 v[93:94], v[93:94], v[102:103]
	v_add_f64 v[85:86], v[85:86], -v[98:99]
	v_fma_f64 v[93:94], v[95:96], v[125:126], v[93:94]
	v_add_f64 v[87:88], v[87:88], -v[93:94]
	;; [unrolled: 8-line block ×21, first 2 shown]
	ds_read2_b64 v[93:96], v90 offset0:100 offset1:101
	s_waitcnt lgkmcnt(0)
	v_mul_f64 v[98:99], v[95:96], v[102:103]
	v_fma_f64 v[98:99], v[93:94], v[125:126], -v[98:99]
	v_mul_f64 v[93:94], v[93:94], v[102:103]
	v_add_f64 v[1:2], v[1:2], -v[98:99]
	v_fma_f64 v[93:94], v[95:96], v[125:126], v[93:94]
	ds_read2_b64 v[98:101], v90 offset0:102 offset1:103
	s_waitcnt lgkmcnt(0)
	v_mul_f64 v[95:96], v[98:99], v[102:103]
	v_add_f64 v[3:4], v[3:4], -v[93:94]
	v_mul_f64 v[93:94], v[100:101], v[102:103]
	v_fma_f64 v[95:96], v[100:101], v[125:126], v[95:96]
	v_mov_b32_e32 v100, v125
	v_mov_b32_e32 v101, v126
	v_fma_f64 v[93:94], v[98:99], v[125:126], -v[93:94]
	buffer_store_dword v100, off, s[24:27], 0 offset:424 ; 4-byte Folded Spill
	s_nop 0
	buffer_store_dword v101, off, s[24:27], 0 offset:428 ; 4-byte Folded Spill
	buffer_store_dword v102, off, s[24:27], 0 offset:432 ; 4-byte Folded Spill
	;; [unrolled: 1-line block ×3, first 2 shown]
	v_add_f64 v[123:124], v[123:124], -v[95:96]
	v_add_f64 v[121:122], v[121:122], -v[93:94]
.LBB102_62:
	s_or_b64 exec, exec, s[0:1]
	s_waitcnt vmcnt(0)
	s_barrier
	buffer_load_dword v81, off, s[24:27], 0 offset:400 ; 4-byte Folded Reload
	buffer_load_dword v82, off, s[24:27], 0 offset:404 ; 4-byte Folded Reload
	;; [unrolled: 1-line block ×4, first 2 shown]
	v_lshl_add_u32 v93, v92, 4, v90
	s_mov_b32 s0, 4
	s_cmp_lt_i32 s3, 5
	s_waitcnt vmcnt(0)
	ds_write2_b64 v93, v[81:82], v[83:84] offset1:1
	s_waitcnt lgkmcnt(0)
	s_barrier
	ds_read2_b64 v[117:120], v90 offset0:6 offset1:7
	v_mov_b32_e32 v93, 3
	s_cbranch_scc1 .LBB102_65
; %bb.63:
	v_add3_u32 v94, v97, 0, 64
	v_mov_b32_e32 v93, 3
.LBB102_64:                             ; =>This Inner Loop Header: Depth=1
	s_waitcnt lgkmcnt(0)
	v_cmp_gt_f64_e32 vcc, 0, v[117:118]
	v_xor_b32_e32 v99, 0x80000000, v118
	ds_read2_b64 v[95:98], v94 offset1:1
	v_xor_b32_e32 v101, 0x80000000, v120
	v_add_u32_e32 v94, 16, v94
	s_waitcnt lgkmcnt(0)
	v_xor_b32_e32 v103, 0x80000000, v98
	v_cndmask_b32_e32 v100, v118, v99, vcc
	v_cmp_gt_f64_e32 vcc, 0, v[119:120]
	v_mov_b32_e32 v99, v117
	v_cndmask_b32_e32 v102, v120, v101, vcc
	v_cmp_gt_f64_e32 vcc, 0, v[95:96]
	v_mov_b32_e32 v101, v119
	v_add_f64 v[99:100], v[99:100], v[101:102]
	v_xor_b32_e32 v101, 0x80000000, v96
	v_cndmask_b32_e32 v102, v96, v101, vcc
	v_cmp_gt_f64_e32 vcc, 0, v[97:98]
	v_mov_b32_e32 v101, v95
	v_cndmask_b32_e32 v104, v98, v103, vcc
	v_mov_b32_e32 v103, v97
	v_add_f64 v[101:102], v[101:102], v[103:104]
	v_cmp_lt_f64_e32 vcc, v[99:100], v[101:102]
	v_cndmask_b32_e32 v117, v117, v95, vcc
	v_mov_b32_e32 v95, s0
	s_add_i32 s0, s0, 1
	v_cndmask_b32_e32 v118, v118, v96, vcc
	v_cndmask_b32_e32 v120, v120, v98, vcc
	;; [unrolled: 1-line block ×4, first 2 shown]
	s_cmp_lg_u32 s3, s0
	s_cbranch_scc1 .LBB102_64
.LBB102_65:
	s_waitcnt lgkmcnt(0)
	v_cmp_eq_f64_e32 vcc, 0, v[117:118]
	v_cmp_eq_f64_e64 s[0:1], 0, v[119:120]
	s_and_b64 s[0:1], vcc, s[0:1]
	s_and_saveexec_b64 s[18:19], s[0:1]
	s_xor_b64 s[0:1], exec, s[18:19]
; %bb.66:
	v_cmp_ne_u32_e32 vcc, 0, v91
	v_cndmask_b32_e32 v91, 4, v91, vcc
; %bb.67:
	s_andn2_saveexec_b64 s[0:1], s[0:1]
	s_cbranch_execz .LBB102_73
; %bb.68:
	v_cmp_ngt_f64_e64 s[18:19], |v[117:118]|, |v[119:120]|
	s_and_saveexec_b64 s[20:21], s[18:19]
	s_xor_b64 s[18:19], exec, s[20:21]
	s_cbranch_execz .LBB102_70
; %bb.69:
	v_div_scale_f64 v[94:95], s[20:21], v[119:120], v[119:120], v[117:118]
	v_rcp_f64_e32 v[96:97], v[94:95]
	v_fma_f64 v[98:99], -v[94:95], v[96:97], 1.0
	v_fma_f64 v[96:97], v[96:97], v[98:99], v[96:97]
	v_div_scale_f64 v[98:99], vcc, v[117:118], v[119:120], v[117:118]
	v_fma_f64 v[100:101], -v[94:95], v[96:97], 1.0
	v_fma_f64 v[96:97], v[96:97], v[100:101], v[96:97]
	v_mul_f64 v[100:101], v[98:99], v[96:97]
	v_fma_f64 v[94:95], -v[94:95], v[100:101], v[98:99]
	v_div_fmas_f64 v[94:95], v[94:95], v[96:97], v[100:101]
	v_div_fixup_f64 v[94:95], v[94:95], v[119:120], v[117:118]
	v_fma_f64 v[96:97], v[117:118], v[94:95], v[119:120]
	v_div_scale_f64 v[98:99], s[20:21], v[96:97], v[96:97], 1.0
	v_div_scale_f64 v[104:105], vcc, 1.0, v[96:97], 1.0
	v_rcp_f64_e32 v[100:101], v[98:99]
	v_fma_f64 v[102:103], -v[98:99], v[100:101], 1.0
	v_fma_f64 v[100:101], v[100:101], v[102:103], v[100:101]
	v_fma_f64 v[102:103], -v[98:99], v[100:101], 1.0
	v_fma_f64 v[100:101], v[100:101], v[102:103], v[100:101]
	v_mul_f64 v[102:103], v[104:105], v[100:101]
	v_fma_f64 v[98:99], -v[98:99], v[102:103], v[104:105]
	v_div_fmas_f64 v[98:99], v[98:99], v[100:101], v[102:103]
	v_div_fixup_f64 v[119:120], v[98:99], v[96:97], 1.0
	v_mul_f64 v[117:118], v[94:95], v[119:120]
	v_xor_b32_e32 v120, 0x80000000, v120
.LBB102_70:
	s_andn2_saveexec_b64 s[18:19], s[18:19]
	s_cbranch_execz .LBB102_72
; %bb.71:
	v_div_scale_f64 v[94:95], s[20:21], v[117:118], v[117:118], v[119:120]
	v_rcp_f64_e32 v[96:97], v[94:95]
	v_fma_f64 v[98:99], -v[94:95], v[96:97], 1.0
	v_fma_f64 v[96:97], v[96:97], v[98:99], v[96:97]
	v_div_scale_f64 v[98:99], vcc, v[119:120], v[117:118], v[119:120]
	v_fma_f64 v[100:101], -v[94:95], v[96:97], 1.0
	v_fma_f64 v[96:97], v[96:97], v[100:101], v[96:97]
	v_mul_f64 v[100:101], v[98:99], v[96:97]
	v_fma_f64 v[94:95], -v[94:95], v[100:101], v[98:99]
	v_div_fmas_f64 v[94:95], v[94:95], v[96:97], v[100:101]
	v_div_fixup_f64 v[94:95], v[94:95], v[117:118], v[119:120]
	v_fma_f64 v[96:97], v[119:120], v[94:95], v[117:118]
	v_div_scale_f64 v[98:99], s[20:21], v[96:97], v[96:97], 1.0
	v_div_scale_f64 v[104:105], vcc, 1.0, v[96:97], 1.0
	v_rcp_f64_e32 v[100:101], v[98:99]
	v_fma_f64 v[102:103], -v[98:99], v[100:101], 1.0
	v_fma_f64 v[100:101], v[100:101], v[102:103], v[100:101]
	v_fma_f64 v[102:103], -v[98:99], v[100:101], 1.0
	v_fma_f64 v[100:101], v[100:101], v[102:103], v[100:101]
	v_mul_f64 v[102:103], v[104:105], v[100:101]
	v_fma_f64 v[98:99], -v[98:99], v[102:103], v[104:105]
	v_div_fmas_f64 v[98:99], v[98:99], v[100:101], v[102:103]
	v_div_fixup_f64 v[117:118], v[98:99], v[96:97], 1.0
	v_mul_f64 v[119:120], v[94:95], -v[117:118]
.LBB102_72:
	s_or_b64 exec, exec, s[18:19]
.LBB102_73:
	s_or_b64 exec, exec, s[0:1]
	v_cmp_ne_u32_e32 vcc, v92, v93
	s_and_saveexec_b64 s[0:1], vcc
	s_xor_b64 s[0:1], exec, s[0:1]
	s_cbranch_execz .LBB102_79
; %bb.74:
	v_cmp_eq_u32_e32 vcc, 3, v92
	s_and_saveexec_b64 s[18:19], vcc
	s_cbranch_execz .LBB102_78
; %bb.75:
	v_cmp_ne_u32_e32 vcc, 3, v93
	s_xor_b64 s[20:21], s[6:7], -1
	s_and_b64 s[22:23], s[20:21], vcc
	s_and_saveexec_b64 s[20:21], s[22:23]
	s_cbranch_execz .LBB102_77
; %bb.76:
	buffer_load_dword v81, off, s[24:27], 0 offset:416 ; 4-byte Folded Reload
	buffer_load_dword v82, off, s[24:27], 0 offset:420 ; 4-byte Folded Reload
	v_ashrrev_i32_e32 v94, 31, v93
	v_lshlrev_b64 v[94:95], 2, v[93:94]
	s_waitcnt vmcnt(1)
	v_add_co_u32_e32 v94, vcc, v81, v94
	s_waitcnt vmcnt(0)
	v_addc_co_u32_e32 v95, vcc, v82, v95, vcc
	global_load_dword v0, v[94:95], off
	global_load_dword v92, v[81:82], off offset:12
	s_waitcnt vmcnt(1)
	global_store_dword v[81:82], v0, off offset:12
	s_waitcnt vmcnt(1)
	global_store_dword v[94:95], v92, off
.LBB102_77:
	s_or_b64 exec, exec, s[20:21]
	v_mov_b32_e32 v92, v93
	v_mov_b32_e32 v0, v93
.LBB102_78:
	s_or_b64 exec, exec, s[18:19]
.LBB102_79:
	s_andn2_saveexec_b64 s[0:1], s[0:1]
	s_cbranch_execz .LBB102_81
; %bb.80:
	buffer_load_dword v81, off, s[24:27], 0 offset:384 ; 4-byte Folded Reload
	buffer_load_dword v82, off, s[24:27], 0 offset:388 ; 4-byte Folded Reload
	;; [unrolled: 1-line block ×4, first 2 shown]
	v_mov_b32_e32 v92, 3
	s_waitcnt vmcnt(0)
	ds_write2_b64 v90, v[81:82], v[83:84] offset0:8 offset1:9
	buffer_load_dword v81, off, s[24:27], 0 offset:368 ; 4-byte Folded Reload
	buffer_load_dword v82, off, s[24:27], 0 offset:372 ; 4-byte Folded Reload
	buffer_load_dword v83, off, s[24:27], 0 offset:376 ; 4-byte Folded Reload
	buffer_load_dword v84, off, s[24:27], 0 offset:380 ; 4-byte Folded Reload
	s_waitcnt vmcnt(0)
	ds_write2_b64 v90, v[81:82], v[83:84] offset0:10 offset1:11
	buffer_load_dword v81, off, s[24:27], 0 offset:352 ; 4-byte Folded Reload
	buffer_load_dword v82, off, s[24:27], 0 offset:356 ; 4-byte Folded Reload
	buffer_load_dword v83, off, s[24:27], 0 offset:360 ; 4-byte Folded Reload
	buffer_load_dword v84, off, s[24:27], 0 offset:364 ; 4-byte Folded Reload
	;; [unrolled: 6-line block ×23, first 2 shown]
	s_waitcnt vmcnt(0)
	ds_write2_b64 v90, v[81:82], v[83:84] offset0:54 offset1:55
	buffer_load_dword v81, off, s[24:27], 0 ; 4-byte Folded Reload
	buffer_load_dword v82, off, s[24:27], 0 offset:4 ; 4-byte Folded Reload
	buffer_load_dword v83, off, s[24:27], 0 offset:8 ; 4-byte Folded Reload
	;; [unrolled: 1-line block ×3, first 2 shown]
	s_waitcnt vmcnt(0)
	ds_write2_b64 v90, v[81:82], v[83:84] offset0:56 offset1:57
	ds_write2_b64 v90, v[111:112], v[113:114] offset0:58 offset1:59
	;; [unrolled: 1-line block ×24, first 2 shown]
.LBB102_81:
	s_or_b64 exec, exec, s[0:1]
	v_cmp_lt_i32_e32 vcc, 3, v92
	s_waitcnt vmcnt(0) lgkmcnt(0)
	s_barrier
	s_and_saveexec_b64 s[0:1], vcc
	s_cbranch_execz .LBB102_83
; %bb.82:
	buffer_load_dword v97, off, s[24:27], 0 offset:400 ; 4-byte Folded Reload
	buffer_load_dword v98, off, s[24:27], 0 offset:404 ; 4-byte Folded Reload
	;; [unrolled: 1-line block ×4, first 2 shown]
	s_waitcnt vmcnt(0)
	v_mul_f64 v[93:94], v[119:120], v[99:100]
	v_fma_f64 v[125:126], v[117:118], v[97:98], -v[93:94]
	v_mul_f64 v[93:94], v[117:118], v[99:100]
	v_fma_f64 v[99:100], v[119:120], v[97:98], v[93:94]
	ds_read2_b64 v[93:96], v90 offset0:8 offset1:9
	buffer_load_dword v81, off, s[24:27], 0 offset:384 ; 4-byte Folded Reload
	buffer_load_dword v82, off, s[24:27], 0 offset:388 ; 4-byte Folded Reload
	buffer_load_dword v83, off, s[24:27], 0 offset:392 ; 4-byte Folded Reload
	buffer_load_dword v84, off, s[24:27], 0 offset:396 ; 4-byte Folded Reload
	s_waitcnt lgkmcnt(0)
	v_mul_f64 v[97:98], v[95:96], v[99:100]
	v_fma_f64 v[97:98], v[93:94], v[125:126], -v[97:98]
	v_mul_f64 v[93:94], v[93:94], v[99:100]
	v_fma_f64 v[93:94], v[95:96], v[125:126], v[93:94]
	s_waitcnt vmcnt(2)
	v_add_f64 v[81:82], v[81:82], -v[97:98]
	s_waitcnt vmcnt(0)
	v_add_f64 v[83:84], v[83:84], -v[93:94]
	buffer_store_dword v81, off, s[24:27], 0 offset:384 ; 4-byte Folded Spill
	s_nop 0
	buffer_store_dword v82, off, s[24:27], 0 offset:388 ; 4-byte Folded Spill
	buffer_store_dword v83, off, s[24:27], 0 offset:392 ; 4-byte Folded Spill
	buffer_store_dword v84, off, s[24:27], 0 offset:396 ; 4-byte Folded Spill
	ds_read2_b64 v[93:96], v90 offset0:10 offset1:11
	buffer_load_dword v81, off, s[24:27], 0 offset:368 ; 4-byte Folded Reload
	buffer_load_dword v82, off, s[24:27], 0 offset:372 ; 4-byte Folded Reload
	buffer_load_dword v83, off, s[24:27], 0 offset:376 ; 4-byte Folded Reload
	buffer_load_dword v84, off, s[24:27], 0 offset:380 ; 4-byte Folded Reload
	s_waitcnt lgkmcnt(0)
	v_mul_f64 v[97:98], v[95:96], v[99:100]
	v_fma_f64 v[97:98], v[93:94], v[125:126], -v[97:98]
	v_mul_f64 v[93:94], v[93:94], v[99:100]
	v_fma_f64 v[93:94], v[95:96], v[125:126], v[93:94]
	s_waitcnt vmcnt(2)
	v_add_f64 v[81:82], v[81:82], -v[97:98]
	s_waitcnt vmcnt(0)
	v_add_f64 v[83:84], v[83:84], -v[93:94]
	buffer_store_dword v81, off, s[24:27], 0 offset:368 ; 4-byte Folded Spill
	s_nop 0
	buffer_store_dword v82, off, s[24:27], 0 offset:372 ; 4-byte Folded Spill
	buffer_store_dword v83, off, s[24:27], 0 offset:376 ; 4-byte Folded Spill
	buffer_store_dword v84, off, s[24:27], 0 offset:380 ; 4-byte Folded Spill
	;; [unrolled: 19-line block ×24, first 2 shown]
	ds_read2_b64 v[93:96], v90 offset0:56 offset1:57
	buffer_load_dword v81, off, s[24:27], 0 ; 4-byte Folded Reload
	buffer_load_dword v82, off, s[24:27], 0 offset:4 ; 4-byte Folded Reload
	buffer_load_dword v83, off, s[24:27], 0 offset:8 ; 4-byte Folded Reload
	;; [unrolled: 1-line block ×3, first 2 shown]
	s_waitcnt lgkmcnt(0)
	v_mul_f64 v[97:98], v[95:96], v[99:100]
	v_fma_f64 v[97:98], v[93:94], v[125:126], -v[97:98]
	v_mul_f64 v[93:94], v[93:94], v[99:100]
	v_fma_f64 v[93:94], v[95:96], v[125:126], v[93:94]
	s_waitcnt vmcnt(2)
	v_add_f64 v[81:82], v[81:82], -v[97:98]
	s_waitcnt vmcnt(0)
	v_add_f64 v[83:84], v[83:84], -v[93:94]
	buffer_store_dword v81, off, s[24:27], 0 ; 4-byte Folded Spill
	s_nop 0
	buffer_store_dword v82, off, s[24:27], 0 offset:4 ; 4-byte Folded Spill
	buffer_store_dword v83, off, s[24:27], 0 offset:8 ; 4-byte Folded Spill
	;; [unrolled: 1-line block ×3, first 2 shown]
	ds_read2_b64 v[93:96], v90 offset0:58 offset1:59
	s_waitcnt lgkmcnt(0)
	v_mul_f64 v[97:98], v[95:96], v[99:100]
	v_fma_f64 v[97:98], v[93:94], v[125:126], -v[97:98]
	v_mul_f64 v[93:94], v[93:94], v[99:100]
	v_add_f64 v[111:112], v[111:112], -v[97:98]
	v_fma_f64 v[93:94], v[95:96], v[125:126], v[93:94]
	v_add_f64 v[113:114], v[113:114], -v[93:94]
	ds_read2_b64 v[93:96], v90 offset0:60 offset1:61
	s_waitcnt lgkmcnt(0)
	v_mul_f64 v[97:98], v[95:96], v[99:100]
	v_fma_f64 v[97:98], v[93:94], v[125:126], -v[97:98]
	v_mul_f64 v[93:94], v[93:94], v[99:100]
	v_add_f64 v[85:86], v[85:86], -v[97:98]
	v_fma_f64 v[93:94], v[95:96], v[125:126], v[93:94]
	v_add_f64 v[87:88], v[87:88], -v[93:94]
	;; [unrolled: 8-line block ×21, first 2 shown]
	ds_read2_b64 v[93:96], v90 offset0:100 offset1:101
	s_waitcnt lgkmcnt(0)
	v_mul_f64 v[97:98], v[95:96], v[99:100]
	v_fma_f64 v[97:98], v[93:94], v[125:126], -v[97:98]
	v_mul_f64 v[93:94], v[93:94], v[99:100]
	v_add_f64 v[1:2], v[1:2], -v[97:98]
	v_fma_f64 v[93:94], v[95:96], v[125:126], v[93:94]
	ds_read2_b64 v[95:98], v90 offset0:102 offset1:103
	v_add_f64 v[3:4], v[3:4], -v[93:94]
	s_waitcnt lgkmcnt(0)
	v_mul_f64 v[93:94], v[97:98], v[99:100]
	v_fma_f64 v[93:94], v[95:96], v[125:126], -v[93:94]
	v_mul_f64 v[95:96], v[95:96], v[99:100]
	v_add_f64 v[121:122], v[121:122], -v[93:94]
	v_fma_f64 v[95:96], v[97:98], v[125:126], v[95:96]
	v_mov_b32_e32 v97, v125
	v_mov_b32_e32 v98, v126
	buffer_store_dword v97, off, s[24:27], 0 offset:400 ; 4-byte Folded Spill
	s_nop 0
	buffer_store_dword v98, off, s[24:27], 0 offset:404 ; 4-byte Folded Spill
	buffer_store_dword v99, off, s[24:27], 0 offset:408 ; 4-byte Folded Spill
	;; [unrolled: 1-line block ×3, first 2 shown]
	v_add_f64 v[123:124], v[123:124], -v[95:96]
.LBB102_83:
	s_or_b64 exec, exec, s[0:1]
	s_waitcnt vmcnt(0)
	s_barrier
	buffer_load_dword v81, off, s[24:27], 0 offset:384 ; 4-byte Folded Reload
	buffer_load_dword v82, off, s[24:27], 0 offset:388 ; 4-byte Folded Reload
	;; [unrolled: 1-line block ×4, first 2 shown]
	v_lshl_add_u32 v93, v92, 4, v90
	s_cmp_lt_i32 s3, 6
	s_waitcnt vmcnt(0)
	ds_write2_b64 v93, v[81:82], v[83:84] offset1:1
	s_waitcnt lgkmcnt(0)
	s_barrier
	ds_read2_b64 v[117:120], v90 offset0:8 offset1:9
	v_mov_b32_e32 v93, 4
	s_cbranch_scc1 .LBB102_86
; %bb.84:
	v_mov_b32_e32 v93, 4
	v_add_u32_e32 v94, 0x50, v90
	s_mov_b32 s0, 5
.LBB102_85:                             ; =>This Inner Loop Header: Depth=1
	s_waitcnt lgkmcnt(0)
	v_cmp_gt_f64_e32 vcc, 0, v[117:118]
	v_xor_b32_e32 v99, 0x80000000, v118
	ds_read2_b64 v[95:98], v94 offset1:1
	v_xor_b32_e32 v101, 0x80000000, v120
	v_add_u32_e32 v94, 16, v94
	s_waitcnt lgkmcnt(0)
	v_xor_b32_e32 v103, 0x80000000, v98
	v_cndmask_b32_e32 v100, v118, v99, vcc
	v_cmp_gt_f64_e32 vcc, 0, v[119:120]
	v_mov_b32_e32 v99, v117
	v_cndmask_b32_e32 v102, v120, v101, vcc
	v_cmp_gt_f64_e32 vcc, 0, v[95:96]
	v_mov_b32_e32 v101, v119
	v_add_f64 v[99:100], v[99:100], v[101:102]
	v_xor_b32_e32 v101, 0x80000000, v96
	v_cndmask_b32_e32 v102, v96, v101, vcc
	v_cmp_gt_f64_e32 vcc, 0, v[97:98]
	v_mov_b32_e32 v101, v95
	v_cndmask_b32_e32 v104, v98, v103, vcc
	v_mov_b32_e32 v103, v97
	v_add_f64 v[101:102], v[101:102], v[103:104]
	v_cmp_lt_f64_e32 vcc, v[99:100], v[101:102]
	v_cndmask_b32_e32 v117, v117, v95, vcc
	v_mov_b32_e32 v95, s0
	s_add_i32 s0, s0, 1
	v_cndmask_b32_e32 v118, v118, v96, vcc
	v_cndmask_b32_e32 v120, v120, v98, vcc
	;; [unrolled: 1-line block ×4, first 2 shown]
	s_cmp_lg_u32 s3, s0
	s_cbranch_scc1 .LBB102_85
.LBB102_86:
	s_waitcnt lgkmcnt(0)
	v_cmp_eq_f64_e32 vcc, 0, v[117:118]
	v_cmp_eq_f64_e64 s[0:1], 0, v[119:120]
	s_and_b64 s[0:1], vcc, s[0:1]
	s_and_saveexec_b64 s[18:19], s[0:1]
	s_xor_b64 s[0:1], exec, s[18:19]
; %bb.87:
	v_cmp_ne_u32_e32 vcc, 0, v91
	v_cndmask_b32_e32 v91, 5, v91, vcc
; %bb.88:
	s_andn2_saveexec_b64 s[0:1], s[0:1]
	s_cbranch_execz .LBB102_94
; %bb.89:
	v_cmp_ngt_f64_e64 s[18:19], |v[117:118]|, |v[119:120]|
	s_and_saveexec_b64 s[20:21], s[18:19]
	s_xor_b64 s[18:19], exec, s[20:21]
	s_cbranch_execz .LBB102_91
; %bb.90:
	v_div_scale_f64 v[94:95], s[20:21], v[119:120], v[119:120], v[117:118]
	v_rcp_f64_e32 v[96:97], v[94:95]
	v_fma_f64 v[98:99], -v[94:95], v[96:97], 1.0
	v_fma_f64 v[96:97], v[96:97], v[98:99], v[96:97]
	v_div_scale_f64 v[98:99], vcc, v[117:118], v[119:120], v[117:118]
	v_fma_f64 v[100:101], -v[94:95], v[96:97], 1.0
	v_fma_f64 v[96:97], v[96:97], v[100:101], v[96:97]
	v_mul_f64 v[100:101], v[98:99], v[96:97]
	v_fma_f64 v[94:95], -v[94:95], v[100:101], v[98:99]
	v_div_fmas_f64 v[94:95], v[94:95], v[96:97], v[100:101]
	v_div_fixup_f64 v[94:95], v[94:95], v[119:120], v[117:118]
	v_fma_f64 v[96:97], v[117:118], v[94:95], v[119:120]
	v_div_scale_f64 v[98:99], s[20:21], v[96:97], v[96:97], 1.0
	v_div_scale_f64 v[104:105], vcc, 1.0, v[96:97], 1.0
	v_rcp_f64_e32 v[100:101], v[98:99]
	v_fma_f64 v[102:103], -v[98:99], v[100:101], 1.0
	v_fma_f64 v[100:101], v[100:101], v[102:103], v[100:101]
	v_fma_f64 v[102:103], -v[98:99], v[100:101], 1.0
	v_fma_f64 v[100:101], v[100:101], v[102:103], v[100:101]
	v_mul_f64 v[102:103], v[104:105], v[100:101]
	v_fma_f64 v[98:99], -v[98:99], v[102:103], v[104:105]
	v_div_fmas_f64 v[98:99], v[98:99], v[100:101], v[102:103]
	v_div_fixup_f64 v[119:120], v[98:99], v[96:97], 1.0
	v_mul_f64 v[117:118], v[94:95], v[119:120]
	v_xor_b32_e32 v120, 0x80000000, v120
.LBB102_91:
	s_andn2_saveexec_b64 s[18:19], s[18:19]
	s_cbranch_execz .LBB102_93
; %bb.92:
	v_div_scale_f64 v[94:95], s[20:21], v[117:118], v[117:118], v[119:120]
	v_rcp_f64_e32 v[96:97], v[94:95]
	v_fma_f64 v[98:99], -v[94:95], v[96:97], 1.0
	v_fma_f64 v[96:97], v[96:97], v[98:99], v[96:97]
	v_div_scale_f64 v[98:99], vcc, v[119:120], v[117:118], v[119:120]
	v_fma_f64 v[100:101], -v[94:95], v[96:97], 1.0
	v_fma_f64 v[96:97], v[96:97], v[100:101], v[96:97]
	v_mul_f64 v[100:101], v[98:99], v[96:97]
	v_fma_f64 v[94:95], -v[94:95], v[100:101], v[98:99]
	v_div_fmas_f64 v[94:95], v[94:95], v[96:97], v[100:101]
	v_div_fixup_f64 v[94:95], v[94:95], v[117:118], v[119:120]
	v_fma_f64 v[96:97], v[119:120], v[94:95], v[117:118]
	v_div_scale_f64 v[98:99], s[20:21], v[96:97], v[96:97], 1.0
	v_div_scale_f64 v[104:105], vcc, 1.0, v[96:97], 1.0
	v_rcp_f64_e32 v[100:101], v[98:99]
	v_fma_f64 v[102:103], -v[98:99], v[100:101], 1.0
	v_fma_f64 v[100:101], v[100:101], v[102:103], v[100:101]
	v_fma_f64 v[102:103], -v[98:99], v[100:101], 1.0
	v_fma_f64 v[100:101], v[100:101], v[102:103], v[100:101]
	v_mul_f64 v[102:103], v[104:105], v[100:101]
	v_fma_f64 v[98:99], -v[98:99], v[102:103], v[104:105]
	v_div_fmas_f64 v[98:99], v[98:99], v[100:101], v[102:103]
	v_div_fixup_f64 v[117:118], v[98:99], v[96:97], 1.0
	v_mul_f64 v[119:120], v[94:95], -v[117:118]
.LBB102_93:
	s_or_b64 exec, exec, s[18:19]
.LBB102_94:
	s_or_b64 exec, exec, s[0:1]
	v_cmp_ne_u32_e32 vcc, v92, v93
	s_and_saveexec_b64 s[0:1], vcc
	s_xor_b64 s[0:1], exec, s[0:1]
	s_cbranch_execz .LBB102_100
; %bb.95:
	v_cmp_eq_u32_e32 vcc, 4, v92
	s_and_saveexec_b64 s[18:19], vcc
	s_cbranch_execz .LBB102_99
; %bb.96:
	v_cmp_ne_u32_e32 vcc, 4, v93
	s_xor_b64 s[20:21], s[6:7], -1
	s_and_b64 s[22:23], s[20:21], vcc
	s_and_saveexec_b64 s[20:21], s[22:23]
	s_cbranch_execz .LBB102_98
; %bb.97:
	buffer_load_dword v81, off, s[24:27], 0 offset:416 ; 4-byte Folded Reload
	buffer_load_dword v82, off, s[24:27], 0 offset:420 ; 4-byte Folded Reload
	v_ashrrev_i32_e32 v94, 31, v93
	v_lshlrev_b64 v[94:95], 2, v[93:94]
	s_waitcnt vmcnt(1)
	v_add_co_u32_e32 v94, vcc, v81, v94
	s_waitcnt vmcnt(0)
	v_addc_co_u32_e32 v95, vcc, v82, v95, vcc
	global_load_dword v0, v[94:95], off
	global_load_dword v92, v[81:82], off offset:16
	s_waitcnt vmcnt(1)
	global_store_dword v[81:82], v0, off offset:16
	s_waitcnt vmcnt(1)
	global_store_dword v[94:95], v92, off
.LBB102_98:
	s_or_b64 exec, exec, s[20:21]
	v_mov_b32_e32 v92, v93
	v_mov_b32_e32 v0, v93
.LBB102_99:
	s_or_b64 exec, exec, s[18:19]
.LBB102_100:
	s_andn2_saveexec_b64 s[0:1], s[0:1]
	s_cbranch_execz .LBB102_102
; %bb.101:
	buffer_load_dword v81, off, s[24:27], 0 offset:368 ; 4-byte Folded Reload
	buffer_load_dword v82, off, s[24:27], 0 offset:372 ; 4-byte Folded Reload
	;; [unrolled: 1-line block ×4, first 2 shown]
	v_mov_b32_e32 v92, 4
	s_waitcnt vmcnt(0)
	ds_write2_b64 v90, v[81:82], v[83:84] offset0:10 offset1:11
	buffer_load_dword v81, off, s[24:27], 0 offset:352 ; 4-byte Folded Reload
	buffer_load_dword v82, off, s[24:27], 0 offset:356 ; 4-byte Folded Reload
	buffer_load_dword v83, off, s[24:27], 0 offset:360 ; 4-byte Folded Reload
	buffer_load_dword v84, off, s[24:27], 0 offset:364 ; 4-byte Folded Reload
	s_waitcnt vmcnt(0)
	ds_write2_b64 v90, v[81:82], v[83:84] offset0:12 offset1:13
	buffer_load_dword v81, off, s[24:27], 0 offset:336 ; 4-byte Folded Reload
	buffer_load_dword v82, off, s[24:27], 0 offset:340 ; 4-byte Folded Reload
	buffer_load_dword v83, off, s[24:27], 0 offset:344 ; 4-byte Folded Reload
	buffer_load_dword v84, off, s[24:27], 0 offset:348 ; 4-byte Folded Reload
	;; [unrolled: 6-line block ×22, first 2 shown]
	s_waitcnt vmcnt(0)
	ds_write2_b64 v90, v[81:82], v[83:84] offset0:54 offset1:55
	buffer_load_dword v81, off, s[24:27], 0 ; 4-byte Folded Reload
	buffer_load_dword v82, off, s[24:27], 0 offset:4 ; 4-byte Folded Reload
	buffer_load_dword v83, off, s[24:27], 0 offset:8 ; 4-byte Folded Reload
	;; [unrolled: 1-line block ×3, first 2 shown]
	s_waitcnt vmcnt(0)
	ds_write2_b64 v90, v[81:82], v[83:84] offset0:56 offset1:57
	ds_write2_b64 v90, v[111:112], v[113:114] offset0:58 offset1:59
	;; [unrolled: 1-line block ×24, first 2 shown]
.LBB102_102:
	s_or_b64 exec, exec, s[0:1]
	v_cmp_lt_i32_e32 vcc, 4, v92
	s_waitcnt vmcnt(0) lgkmcnt(0)
	s_barrier
	s_and_saveexec_b64 s[0:1], vcc
	s_cbranch_execz .LBB102_104
; %bb.103:
	buffer_load_dword v97, off, s[24:27], 0 offset:384 ; 4-byte Folded Reload
	buffer_load_dword v98, off, s[24:27], 0 offset:388 ; 4-byte Folded Reload
	;; [unrolled: 1-line block ×4, first 2 shown]
	s_waitcnt vmcnt(0)
	v_mul_f64 v[93:94], v[119:120], v[99:100]
	v_fma_f64 v[125:126], v[117:118], v[97:98], -v[93:94]
	v_mul_f64 v[93:94], v[117:118], v[99:100]
	v_fma_f64 v[99:100], v[119:120], v[97:98], v[93:94]
	ds_read2_b64 v[93:96], v90 offset0:10 offset1:11
	buffer_load_dword v81, off, s[24:27], 0 offset:368 ; 4-byte Folded Reload
	buffer_load_dword v82, off, s[24:27], 0 offset:372 ; 4-byte Folded Reload
	buffer_load_dword v83, off, s[24:27], 0 offset:376 ; 4-byte Folded Reload
	buffer_load_dword v84, off, s[24:27], 0 offset:380 ; 4-byte Folded Reload
	s_waitcnt lgkmcnt(0)
	v_mul_f64 v[97:98], v[95:96], v[99:100]
	v_fma_f64 v[97:98], v[93:94], v[125:126], -v[97:98]
	v_mul_f64 v[93:94], v[93:94], v[99:100]
	v_fma_f64 v[93:94], v[95:96], v[125:126], v[93:94]
	s_waitcnt vmcnt(2)
	v_add_f64 v[81:82], v[81:82], -v[97:98]
	s_waitcnt vmcnt(0)
	v_add_f64 v[83:84], v[83:84], -v[93:94]
	buffer_store_dword v81, off, s[24:27], 0 offset:368 ; 4-byte Folded Spill
	s_nop 0
	buffer_store_dword v82, off, s[24:27], 0 offset:372 ; 4-byte Folded Spill
	buffer_store_dword v83, off, s[24:27], 0 offset:376 ; 4-byte Folded Spill
	buffer_store_dword v84, off, s[24:27], 0 offset:380 ; 4-byte Folded Spill
	ds_read2_b64 v[93:96], v90 offset0:12 offset1:13
	buffer_load_dword v81, off, s[24:27], 0 offset:352 ; 4-byte Folded Reload
	buffer_load_dword v82, off, s[24:27], 0 offset:356 ; 4-byte Folded Reload
	buffer_load_dword v83, off, s[24:27], 0 offset:360 ; 4-byte Folded Reload
	buffer_load_dword v84, off, s[24:27], 0 offset:364 ; 4-byte Folded Reload
	s_waitcnt lgkmcnt(0)
	v_mul_f64 v[97:98], v[95:96], v[99:100]
	v_fma_f64 v[97:98], v[93:94], v[125:126], -v[97:98]
	v_mul_f64 v[93:94], v[93:94], v[99:100]
	v_fma_f64 v[93:94], v[95:96], v[125:126], v[93:94]
	s_waitcnt vmcnt(2)
	v_add_f64 v[81:82], v[81:82], -v[97:98]
	s_waitcnt vmcnt(0)
	v_add_f64 v[83:84], v[83:84], -v[93:94]
	buffer_store_dword v81, off, s[24:27], 0 offset:352 ; 4-byte Folded Spill
	s_nop 0
	buffer_store_dword v82, off, s[24:27], 0 offset:356 ; 4-byte Folded Spill
	buffer_store_dword v83, off, s[24:27], 0 offset:360 ; 4-byte Folded Spill
	buffer_store_dword v84, off, s[24:27], 0 offset:364 ; 4-byte Folded Spill
	;; [unrolled: 19-line block ×23, first 2 shown]
	ds_read2_b64 v[93:96], v90 offset0:56 offset1:57
	buffer_load_dword v81, off, s[24:27], 0 ; 4-byte Folded Reload
	buffer_load_dword v82, off, s[24:27], 0 offset:4 ; 4-byte Folded Reload
	buffer_load_dword v83, off, s[24:27], 0 offset:8 ; 4-byte Folded Reload
	;; [unrolled: 1-line block ×3, first 2 shown]
	s_waitcnt lgkmcnt(0)
	v_mul_f64 v[97:98], v[95:96], v[99:100]
	v_fma_f64 v[97:98], v[93:94], v[125:126], -v[97:98]
	v_mul_f64 v[93:94], v[93:94], v[99:100]
	v_fma_f64 v[93:94], v[95:96], v[125:126], v[93:94]
	s_waitcnt vmcnt(2)
	v_add_f64 v[81:82], v[81:82], -v[97:98]
	s_waitcnt vmcnt(0)
	v_add_f64 v[83:84], v[83:84], -v[93:94]
	buffer_store_dword v81, off, s[24:27], 0 ; 4-byte Folded Spill
	s_nop 0
	buffer_store_dword v82, off, s[24:27], 0 offset:4 ; 4-byte Folded Spill
	buffer_store_dword v83, off, s[24:27], 0 offset:8 ; 4-byte Folded Spill
	;; [unrolled: 1-line block ×3, first 2 shown]
	ds_read2_b64 v[93:96], v90 offset0:58 offset1:59
	s_waitcnt lgkmcnt(0)
	v_mul_f64 v[97:98], v[95:96], v[99:100]
	v_fma_f64 v[97:98], v[93:94], v[125:126], -v[97:98]
	v_mul_f64 v[93:94], v[93:94], v[99:100]
	v_add_f64 v[111:112], v[111:112], -v[97:98]
	v_fma_f64 v[93:94], v[95:96], v[125:126], v[93:94]
	v_add_f64 v[113:114], v[113:114], -v[93:94]
	ds_read2_b64 v[93:96], v90 offset0:60 offset1:61
	s_waitcnt lgkmcnt(0)
	v_mul_f64 v[97:98], v[95:96], v[99:100]
	v_fma_f64 v[97:98], v[93:94], v[125:126], -v[97:98]
	v_mul_f64 v[93:94], v[93:94], v[99:100]
	v_add_f64 v[85:86], v[85:86], -v[97:98]
	v_fma_f64 v[93:94], v[95:96], v[125:126], v[93:94]
	v_add_f64 v[87:88], v[87:88], -v[93:94]
	;; [unrolled: 8-line block ×21, first 2 shown]
	ds_read2_b64 v[93:96], v90 offset0:100 offset1:101
	s_waitcnt lgkmcnt(0)
	v_mul_f64 v[97:98], v[95:96], v[99:100]
	v_fma_f64 v[97:98], v[93:94], v[125:126], -v[97:98]
	v_mul_f64 v[93:94], v[93:94], v[99:100]
	v_add_f64 v[1:2], v[1:2], -v[97:98]
	v_fma_f64 v[93:94], v[95:96], v[125:126], v[93:94]
	ds_read2_b64 v[95:98], v90 offset0:102 offset1:103
	v_add_f64 v[3:4], v[3:4], -v[93:94]
	s_waitcnt lgkmcnt(0)
	v_mul_f64 v[93:94], v[97:98], v[99:100]
	v_fma_f64 v[93:94], v[95:96], v[125:126], -v[93:94]
	v_mul_f64 v[95:96], v[95:96], v[99:100]
	v_add_f64 v[121:122], v[121:122], -v[93:94]
	v_fma_f64 v[95:96], v[97:98], v[125:126], v[95:96]
	v_mov_b32_e32 v97, v125
	v_mov_b32_e32 v98, v126
	buffer_store_dword v97, off, s[24:27], 0 offset:384 ; 4-byte Folded Spill
	s_nop 0
	buffer_store_dword v98, off, s[24:27], 0 offset:388 ; 4-byte Folded Spill
	buffer_store_dword v99, off, s[24:27], 0 offset:392 ; 4-byte Folded Spill
	;; [unrolled: 1-line block ×3, first 2 shown]
	v_add_f64 v[123:124], v[123:124], -v[95:96]
.LBB102_104:
	s_or_b64 exec, exec, s[0:1]
	s_waitcnt vmcnt(0)
	s_barrier
	buffer_load_dword v81, off, s[24:27], 0 offset:368 ; 4-byte Folded Reload
	buffer_load_dword v82, off, s[24:27], 0 offset:372 ; 4-byte Folded Reload
	;; [unrolled: 1-line block ×4, first 2 shown]
	v_lshl_add_u32 v93, v92, 4, v90
	s_cmp_lt_i32 s3, 7
	s_waitcnt vmcnt(0)
	ds_write2_b64 v93, v[81:82], v[83:84] offset1:1
	s_waitcnt lgkmcnt(0)
	s_barrier
	ds_read2_b64 v[117:120], v90 offset0:10 offset1:11
	v_mov_b32_e32 v93, 5
	s_cbranch_scc1 .LBB102_107
; %bb.105:
	v_add_u32_e32 v94, 0x60, v90
	s_mov_b32 s0, 6
	v_mov_b32_e32 v93, 5
.LBB102_106:                            ; =>This Inner Loop Header: Depth=1
	s_waitcnt lgkmcnt(0)
	v_cmp_gt_f64_e32 vcc, 0, v[117:118]
	v_xor_b32_e32 v99, 0x80000000, v118
	ds_read2_b64 v[95:98], v94 offset1:1
	v_xor_b32_e32 v101, 0x80000000, v120
	v_add_u32_e32 v94, 16, v94
	s_waitcnt lgkmcnt(0)
	v_xor_b32_e32 v103, 0x80000000, v98
	v_cndmask_b32_e32 v100, v118, v99, vcc
	v_cmp_gt_f64_e32 vcc, 0, v[119:120]
	v_mov_b32_e32 v99, v117
	v_cndmask_b32_e32 v102, v120, v101, vcc
	v_cmp_gt_f64_e32 vcc, 0, v[95:96]
	v_mov_b32_e32 v101, v119
	v_add_f64 v[99:100], v[99:100], v[101:102]
	v_xor_b32_e32 v101, 0x80000000, v96
	v_cndmask_b32_e32 v102, v96, v101, vcc
	v_cmp_gt_f64_e32 vcc, 0, v[97:98]
	v_mov_b32_e32 v101, v95
	v_cndmask_b32_e32 v104, v98, v103, vcc
	v_mov_b32_e32 v103, v97
	v_add_f64 v[101:102], v[101:102], v[103:104]
	v_cmp_lt_f64_e32 vcc, v[99:100], v[101:102]
	v_cndmask_b32_e32 v117, v117, v95, vcc
	v_mov_b32_e32 v95, s0
	s_add_i32 s0, s0, 1
	v_cndmask_b32_e32 v118, v118, v96, vcc
	v_cndmask_b32_e32 v120, v120, v98, vcc
	;; [unrolled: 1-line block ×4, first 2 shown]
	s_cmp_lg_u32 s3, s0
	s_cbranch_scc1 .LBB102_106
.LBB102_107:
	s_waitcnt lgkmcnt(0)
	v_cmp_eq_f64_e32 vcc, 0, v[117:118]
	v_cmp_eq_f64_e64 s[0:1], 0, v[119:120]
	s_and_b64 s[0:1], vcc, s[0:1]
	s_and_saveexec_b64 s[18:19], s[0:1]
	s_xor_b64 s[0:1], exec, s[18:19]
; %bb.108:
	v_cmp_ne_u32_e32 vcc, 0, v91
	v_cndmask_b32_e32 v91, 6, v91, vcc
; %bb.109:
	s_andn2_saveexec_b64 s[0:1], s[0:1]
	s_cbranch_execz .LBB102_115
; %bb.110:
	v_cmp_ngt_f64_e64 s[18:19], |v[117:118]|, |v[119:120]|
	s_and_saveexec_b64 s[20:21], s[18:19]
	s_xor_b64 s[18:19], exec, s[20:21]
	s_cbranch_execz .LBB102_112
; %bb.111:
	v_div_scale_f64 v[94:95], s[20:21], v[119:120], v[119:120], v[117:118]
	v_rcp_f64_e32 v[96:97], v[94:95]
	v_fma_f64 v[98:99], -v[94:95], v[96:97], 1.0
	v_fma_f64 v[96:97], v[96:97], v[98:99], v[96:97]
	v_div_scale_f64 v[98:99], vcc, v[117:118], v[119:120], v[117:118]
	v_fma_f64 v[100:101], -v[94:95], v[96:97], 1.0
	v_fma_f64 v[96:97], v[96:97], v[100:101], v[96:97]
	v_mul_f64 v[100:101], v[98:99], v[96:97]
	v_fma_f64 v[94:95], -v[94:95], v[100:101], v[98:99]
	v_div_fmas_f64 v[94:95], v[94:95], v[96:97], v[100:101]
	v_div_fixup_f64 v[94:95], v[94:95], v[119:120], v[117:118]
	v_fma_f64 v[96:97], v[117:118], v[94:95], v[119:120]
	v_div_scale_f64 v[98:99], s[20:21], v[96:97], v[96:97], 1.0
	v_div_scale_f64 v[104:105], vcc, 1.0, v[96:97], 1.0
	v_rcp_f64_e32 v[100:101], v[98:99]
	v_fma_f64 v[102:103], -v[98:99], v[100:101], 1.0
	v_fma_f64 v[100:101], v[100:101], v[102:103], v[100:101]
	v_fma_f64 v[102:103], -v[98:99], v[100:101], 1.0
	v_fma_f64 v[100:101], v[100:101], v[102:103], v[100:101]
	v_mul_f64 v[102:103], v[104:105], v[100:101]
	v_fma_f64 v[98:99], -v[98:99], v[102:103], v[104:105]
	v_div_fmas_f64 v[98:99], v[98:99], v[100:101], v[102:103]
	v_div_fixup_f64 v[119:120], v[98:99], v[96:97], 1.0
	v_mul_f64 v[117:118], v[94:95], v[119:120]
	v_xor_b32_e32 v120, 0x80000000, v120
.LBB102_112:
	s_andn2_saveexec_b64 s[18:19], s[18:19]
	s_cbranch_execz .LBB102_114
; %bb.113:
	v_div_scale_f64 v[94:95], s[20:21], v[117:118], v[117:118], v[119:120]
	v_rcp_f64_e32 v[96:97], v[94:95]
	v_fma_f64 v[98:99], -v[94:95], v[96:97], 1.0
	v_fma_f64 v[96:97], v[96:97], v[98:99], v[96:97]
	v_div_scale_f64 v[98:99], vcc, v[119:120], v[117:118], v[119:120]
	v_fma_f64 v[100:101], -v[94:95], v[96:97], 1.0
	v_fma_f64 v[96:97], v[96:97], v[100:101], v[96:97]
	v_mul_f64 v[100:101], v[98:99], v[96:97]
	v_fma_f64 v[94:95], -v[94:95], v[100:101], v[98:99]
	v_div_fmas_f64 v[94:95], v[94:95], v[96:97], v[100:101]
	v_div_fixup_f64 v[94:95], v[94:95], v[117:118], v[119:120]
	v_fma_f64 v[96:97], v[119:120], v[94:95], v[117:118]
	v_div_scale_f64 v[98:99], s[20:21], v[96:97], v[96:97], 1.0
	v_div_scale_f64 v[104:105], vcc, 1.0, v[96:97], 1.0
	v_rcp_f64_e32 v[100:101], v[98:99]
	v_fma_f64 v[102:103], -v[98:99], v[100:101], 1.0
	v_fma_f64 v[100:101], v[100:101], v[102:103], v[100:101]
	v_fma_f64 v[102:103], -v[98:99], v[100:101], 1.0
	v_fma_f64 v[100:101], v[100:101], v[102:103], v[100:101]
	v_mul_f64 v[102:103], v[104:105], v[100:101]
	v_fma_f64 v[98:99], -v[98:99], v[102:103], v[104:105]
	v_div_fmas_f64 v[98:99], v[98:99], v[100:101], v[102:103]
	v_div_fixup_f64 v[117:118], v[98:99], v[96:97], 1.0
	v_mul_f64 v[119:120], v[94:95], -v[117:118]
.LBB102_114:
	s_or_b64 exec, exec, s[18:19]
.LBB102_115:
	s_or_b64 exec, exec, s[0:1]
	v_cmp_ne_u32_e32 vcc, v92, v93
	s_and_saveexec_b64 s[0:1], vcc
	s_xor_b64 s[0:1], exec, s[0:1]
	s_cbranch_execz .LBB102_121
; %bb.116:
	v_cmp_eq_u32_e32 vcc, 5, v92
	s_and_saveexec_b64 s[18:19], vcc
	s_cbranch_execz .LBB102_120
; %bb.117:
	v_cmp_ne_u32_e32 vcc, 5, v93
	s_xor_b64 s[20:21], s[6:7], -1
	s_and_b64 s[22:23], s[20:21], vcc
	s_and_saveexec_b64 s[20:21], s[22:23]
	s_cbranch_execz .LBB102_119
; %bb.118:
	buffer_load_dword v81, off, s[24:27], 0 offset:416 ; 4-byte Folded Reload
	buffer_load_dword v82, off, s[24:27], 0 offset:420 ; 4-byte Folded Reload
	v_ashrrev_i32_e32 v94, 31, v93
	v_lshlrev_b64 v[94:95], 2, v[93:94]
	s_waitcnt vmcnt(1)
	v_add_co_u32_e32 v94, vcc, v81, v94
	s_waitcnt vmcnt(0)
	v_addc_co_u32_e32 v95, vcc, v82, v95, vcc
	global_load_dword v0, v[94:95], off
	global_load_dword v92, v[81:82], off offset:20
	s_waitcnt vmcnt(1)
	global_store_dword v[81:82], v0, off offset:20
	s_waitcnt vmcnt(1)
	global_store_dword v[94:95], v92, off
.LBB102_119:
	s_or_b64 exec, exec, s[20:21]
	v_mov_b32_e32 v92, v93
	v_mov_b32_e32 v0, v93
.LBB102_120:
	s_or_b64 exec, exec, s[18:19]
.LBB102_121:
	s_andn2_saveexec_b64 s[0:1], s[0:1]
	s_cbranch_execz .LBB102_123
; %bb.122:
	buffer_load_dword v81, off, s[24:27], 0 offset:352 ; 4-byte Folded Reload
	buffer_load_dword v82, off, s[24:27], 0 offset:356 ; 4-byte Folded Reload
	;; [unrolled: 1-line block ×4, first 2 shown]
	v_mov_b32_e32 v92, 5
	s_waitcnt vmcnt(0)
	ds_write2_b64 v90, v[81:82], v[83:84] offset0:12 offset1:13
	buffer_load_dword v81, off, s[24:27], 0 offset:336 ; 4-byte Folded Reload
	buffer_load_dword v82, off, s[24:27], 0 offset:340 ; 4-byte Folded Reload
	buffer_load_dword v83, off, s[24:27], 0 offset:344 ; 4-byte Folded Reload
	buffer_load_dword v84, off, s[24:27], 0 offset:348 ; 4-byte Folded Reload
	s_waitcnt vmcnt(0)
	ds_write2_b64 v90, v[81:82], v[83:84] offset0:14 offset1:15
	buffer_load_dword v81, off, s[24:27], 0 offset:320 ; 4-byte Folded Reload
	buffer_load_dword v82, off, s[24:27], 0 offset:324 ; 4-byte Folded Reload
	buffer_load_dword v83, off, s[24:27], 0 offset:328 ; 4-byte Folded Reload
	buffer_load_dword v84, off, s[24:27], 0 offset:332 ; 4-byte Folded Reload
	s_waitcnt vmcnt(0)
	ds_write2_b64 v90, v[81:82], v[83:84] offset0:16 offset1:17
	buffer_load_dword v81, off, s[24:27], 0 offset:304 ; 4-byte Folded Reload
	buffer_load_dword v82, off, s[24:27], 0 offset:308 ; 4-byte Folded Reload
	buffer_load_dword v83, off, s[24:27], 0 offset:312 ; 4-byte Folded Reload
	buffer_load_dword v84, off, s[24:27], 0 offset:316 ; 4-byte Folded Reload
	s_waitcnt vmcnt(0)
	ds_write2_b64 v90, v[81:82], v[83:84] offset0:18 offset1:19
	buffer_load_dword v81, off, s[24:27], 0 offset:288 ; 4-byte Folded Reload
	buffer_load_dword v82, off, s[24:27], 0 offset:292 ; 4-byte Folded Reload
	buffer_load_dword v83, off, s[24:27], 0 offset:296 ; 4-byte Folded Reload
	buffer_load_dword v84, off, s[24:27], 0 offset:300 ; 4-byte Folded Reload
	s_waitcnt vmcnt(0)
	ds_write2_b64 v90, v[81:82], v[83:84] offset0:20 offset1:21
	buffer_load_dword v81, off, s[24:27], 0 offset:272 ; 4-byte Folded Reload
	buffer_load_dword v82, off, s[24:27], 0 offset:276 ; 4-byte Folded Reload
	buffer_load_dword v83, off, s[24:27], 0 offset:280 ; 4-byte Folded Reload
	buffer_load_dword v84, off, s[24:27], 0 offset:284 ; 4-byte Folded Reload
	s_waitcnt vmcnt(0)
	ds_write2_b64 v90, v[81:82], v[83:84] offset0:22 offset1:23
	buffer_load_dword v81, off, s[24:27], 0 offset:256 ; 4-byte Folded Reload
	buffer_load_dword v82, off, s[24:27], 0 offset:260 ; 4-byte Folded Reload
	buffer_load_dword v83, off, s[24:27], 0 offset:264 ; 4-byte Folded Reload
	buffer_load_dword v84, off, s[24:27], 0 offset:268 ; 4-byte Folded Reload
	s_waitcnt vmcnt(0)
	ds_write2_b64 v90, v[81:82], v[83:84] offset0:24 offset1:25
	buffer_load_dword v81, off, s[24:27], 0 offset:240 ; 4-byte Folded Reload
	buffer_load_dword v82, off, s[24:27], 0 offset:244 ; 4-byte Folded Reload
	buffer_load_dword v83, off, s[24:27], 0 offset:248 ; 4-byte Folded Reload
	buffer_load_dword v84, off, s[24:27], 0 offset:252 ; 4-byte Folded Reload
	s_waitcnt vmcnt(0)
	ds_write2_b64 v90, v[81:82], v[83:84] offset0:26 offset1:27
	buffer_load_dword v81, off, s[24:27], 0 offset:224 ; 4-byte Folded Reload
	buffer_load_dword v82, off, s[24:27], 0 offset:228 ; 4-byte Folded Reload
	buffer_load_dword v83, off, s[24:27], 0 offset:232 ; 4-byte Folded Reload
	buffer_load_dword v84, off, s[24:27], 0 offset:236 ; 4-byte Folded Reload
	s_waitcnt vmcnt(0)
	ds_write2_b64 v90, v[81:82], v[83:84] offset0:28 offset1:29
	buffer_load_dword v81, off, s[24:27], 0 offset:208 ; 4-byte Folded Reload
	buffer_load_dword v82, off, s[24:27], 0 offset:212 ; 4-byte Folded Reload
	buffer_load_dword v83, off, s[24:27], 0 offset:216 ; 4-byte Folded Reload
	buffer_load_dword v84, off, s[24:27], 0 offset:220 ; 4-byte Folded Reload
	s_waitcnt vmcnt(0)
	ds_write2_b64 v90, v[81:82], v[83:84] offset0:30 offset1:31
	buffer_load_dword v81, off, s[24:27], 0 offset:192 ; 4-byte Folded Reload
	buffer_load_dword v82, off, s[24:27], 0 offset:196 ; 4-byte Folded Reload
	buffer_load_dword v83, off, s[24:27], 0 offset:200 ; 4-byte Folded Reload
	buffer_load_dword v84, off, s[24:27], 0 offset:204 ; 4-byte Folded Reload
	s_waitcnt vmcnt(0)
	ds_write2_b64 v90, v[81:82], v[83:84] offset0:32 offset1:33
	buffer_load_dword v81, off, s[24:27], 0 offset:176 ; 4-byte Folded Reload
	buffer_load_dword v82, off, s[24:27], 0 offset:180 ; 4-byte Folded Reload
	buffer_load_dword v83, off, s[24:27], 0 offset:184 ; 4-byte Folded Reload
	buffer_load_dword v84, off, s[24:27], 0 offset:188 ; 4-byte Folded Reload
	s_waitcnt vmcnt(0)
	ds_write2_b64 v90, v[81:82], v[83:84] offset0:34 offset1:35
	buffer_load_dword v81, off, s[24:27], 0 offset:160 ; 4-byte Folded Reload
	buffer_load_dword v82, off, s[24:27], 0 offset:164 ; 4-byte Folded Reload
	buffer_load_dword v83, off, s[24:27], 0 offset:168 ; 4-byte Folded Reload
	buffer_load_dword v84, off, s[24:27], 0 offset:172 ; 4-byte Folded Reload
	s_waitcnt vmcnt(0)
	ds_write2_b64 v90, v[81:82], v[83:84] offset0:36 offset1:37
	buffer_load_dword v81, off, s[24:27], 0 offset:144 ; 4-byte Folded Reload
	buffer_load_dword v82, off, s[24:27], 0 offset:148 ; 4-byte Folded Reload
	buffer_load_dword v83, off, s[24:27], 0 offset:152 ; 4-byte Folded Reload
	buffer_load_dword v84, off, s[24:27], 0 offset:156 ; 4-byte Folded Reload
	s_waitcnt vmcnt(0)
	ds_write2_b64 v90, v[81:82], v[83:84] offset0:38 offset1:39
	buffer_load_dword v81, off, s[24:27], 0 offset:128 ; 4-byte Folded Reload
	buffer_load_dword v82, off, s[24:27], 0 offset:132 ; 4-byte Folded Reload
	buffer_load_dword v83, off, s[24:27], 0 offset:136 ; 4-byte Folded Reload
	buffer_load_dword v84, off, s[24:27], 0 offset:140 ; 4-byte Folded Reload
	s_waitcnt vmcnt(0)
	ds_write2_b64 v90, v[81:82], v[83:84] offset0:40 offset1:41
	buffer_load_dword v81, off, s[24:27], 0 offset:112 ; 4-byte Folded Reload
	buffer_load_dword v82, off, s[24:27], 0 offset:116 ; 4-byte Folded Reload
	buffer_load_dword v83, off, s[24:27], 0 offset:120 ; 4-byte Folded Reload
	buffer_load_dword v84, off, s[24:27], 0 offset:124 ; 4-byte Folded Reload
	s_waitcnt vmcnt(0)
	ds_write2_b64 v90, v[81:82], v[83:84] offset0:42 offset1:43
	buffer_load_dword v81, off, s[24:27], 0 offset:96 ; 4-byte Folded Reload
	buffer_load_dword v82, off, s[24:27], 0 offset:100 ; 4-byte Folded Reload
	buffer_load_dword v83, off, s[24:27], 0 offset:104 ; 4-byte Folded Reload
	buffer_load_dword v84, off, s[24:27], 0 offset:108 ; 4-byte Folded Reload
	s_waitcnt vmcnt(0)
	ds_write2_b64 v90, v[81:82], v[83:84] offset0:44 offset1:45
	buffer_load_dword v81, off, s[24:27], 0 offset:80 ; 4-byte Folded Reload
	buffer_load_dword v82, off, s[24:27], 0 offset:84 ; 4-byte Folded Reload
	buffer_load_dword v83, off, s[24:27], 0 offset:88 ; 4-byte Folded Reload
	buffer_load_dword v84, off, s[24:27], 0 offset:92 ; 4-byte Folded Reload
	s_waitcnt vmcnt(0)
	ds_write2_b64 v90, v[81:82], v[83:84] offset0:46 offset1:47
	buffer_load_dword v81, off, s[24:27], 0 offset:64 ; 4-byte Folded Reload
	buffer_load_dword v82, off, s[24:27], 0 offset:68 ; 4-byte Folded Reload
	buffer_load_dword v83, off, s[24:27], 0 offset:72 ; 4-byte Folded Reload
	buffer_load_dword v84, off, s[24:27], 0 offset:76 ; 4-byte Folded Reload
	s_waitcnt vmcnt(0)
	ds_write2_b64 v90, v[81:82], v[83:84] offset0:48 offset1:49
	buffer_load_dword v81, off, s[24:27], 0 offset:48 ; 4-byte Folded Reload
	buffer_load_dword v82, off, s[24:27], 0 offset:52 ; 4-byte Folded Reload
	buffer_load_dword v83, off, s[24:27], 0 offset:56 ; 4-byte Folded Reload
	buffer_load_dword v84, off, s[24:27], 0 offset:60 ; 4-byte Folded Reload
	s_waitcnt vmcnt(0)
	ds_write2_b64 v90, v[81:82], v[83:84] offset0:50 offset1:51
	buffer_load_dword v81, off, s[24:27], 0 offset:32 ; 4-byte Folded Reload
	buffer_load_dword v82, off, s[24:27], 0 offset:36 ; 4-byte Folded Reload
	buffer_load_dword v83, off, s[24:27], 0 offset:40 ; 4-byte Folded Reload
	buffer_load_dword v84, off, s[24:27], 0 offset:44 ; 4-byte Folded Reload
	s_waitcnt vmcnt(0)
	ds_write2_b64 v90, v[81:82], v[83:84] offset0:52 offset1:53
	buffer_load_dword v81, off, s[24:27], 0 offset:16 ; 4-byte Folded Reload
	buffer_load_dword v82, off, s[24:27], 0 offset:20 ; 4-byte Folded Reload
	buffer_load_dword v83, off, s[24:27], 0 offset:24 ; 4-byte Folded Reload
	buffer_load_dword v84, off, s[24:27], 0 offset:28 ; 4-byte Folded Reload
	s_waitcnt vmcnt(0)
	ds_write2_b64 v90, v[81:82], v[83:84] offset0:54 offset1:55
	buffer_load_dword v81, off, s[24:27], 0 ; 4-byte Folded Reload
	buffer_load_dword v82, off, s[24:27], 0 offset:4 ; 4-byte Folded Reload
	buffer_load_dword v83, off, s[24:27], 0 offset:8 ; 4-byte Folded Reload
	;; [unrolled: 1-line block ×3, first 2 shown]
	s_waitcnt vmcnt(0)
	ds_write2_b64 v90, v[81:82], v[83:84] offset0:56 offset1:57
	ds_write2_b64 v90, v[111:112], v[113:114] offset0:58 offset1:59
	ds_write2_b64 v90, v[85:86], v[87:88] offset0:60 offset1:61
	ds_write2_b64 v90, v[77:78], v[79:80] offset0:62 offset1:63
	ds_write2_b64 v90, v[73:74], v[75:76] offset0:64 offset1:65
	ds_write2_b64 v90, v[69:70], v[71:72] offset0:66 offset1:67
	ds_write2_b64 v90, v[65:66], v[67:68] offset0:68 offset1:69
	ds_write2_b64 v90, v[61:62], v[63:64] offset0:70 offset1:71
	ds_write2_b64 v90, v[57:58], v[59:60] offset0:72 offset1:73
	ds_write2_b64 v90, v[53:54], v[55:56] offset0:74 offset1:75
	ds_write2_b64 v90, v[49:50], v[51:52] offset0:76 offset1:77
	ds_write2_b64 v90, v[45:46], v[47:48] offset0:78 offset1:79
	ds_write2_b64 v90, v[41:42], v[43:44] offset0:80 offset1:81
	ds_write2_b64 v90, v[37:38], v[39:40] offset0:82 offset1:83
	ds_write2_b64 v90, v[33:34], v[35:36] offset0:84 offset1:85
	ds_write2_b64 v90, v[29:30], v[31:32] offset0:86 offset1:87
	ds_write2_b64 v90, v[25:26], v[27:28] offset0:88 offset1:89
	ds_write2_b64 v90, v[21:22], v[23:24] offset0:90 offset1:91
	ds_write2_b64 v90, v[17:18], v[19:20] offset0:92 offset1:93
	ds_write2_b64 v90, v[13:14], v[15:16] offset0:94 offset1:95
	ds_write2_b64 v90, v[9:10], v[11:12] offset0:96 offset1:97
	ds_write2_b64 v90, v[5:6], v[7:8] offset0:98 offset1:99
	ds_write2_b64 v90, v[1:2], v[3:4] offset0:100 offset1:101
	ds_write2_b64 v90, v[121:122], v[123:124] offset0:102 offset1:103
.LBB102_123:
	s_or_b64 exec, exec, s[0:1]
	v_cmp_lt_i32_e32 vcc, 5, v92
	s_waitcnt vmcnt(0) lgkmcnt(0)
	s_barrier
	s_and_saveexec_b64 s[0:1], vcc
	s_cbranch_execz .LBB102_125
; %bb.124:
	buffer_load_dword v97, off, s[24:27], 0 offset:368 ; 4-byte Folded Reload
	buffer_load_dword v98, off, s[24:27], 0 offset:372 ; 4-byte Folded Reload
	;; [unrolled: 1-line block ×4, first 2 shown]
	s_waitcnt vmcnt(0)
	v_mul_f64 v[93:94], v[119:120], v[99:100]
	v_fma_f64 v[125:126], v[117:118], v[97:98], -v[93:94]
	v_mul_f64 v[93:94], v[117:118], v[99:100]
	v_fma_f64 v[99:100], v[119:120], v[97:98], v[93:94]
	ds_read2_b64 v[93:96], v90 offset0:12 offset1:13
	buffer_load_dword v81, off, s[24:27], 0 offset:352 ; 4-byte Folded Reload
	buffer_load_dword v82, off, s[24:27], 0 offset:356 ; 4-byte Folded Reload
	buffer_load_dword v83, off, s[24:27], 0 offset:360 ; 4-byte Folded Reload
	buffer_load_dword v84, off, s[24:27], 0 offset:364 ; 4-byte Folded Reload
	s_waitcnt lgkmcnt(0)
	v_mul_f64 v[97:98], v[95:96], v[99:100]
	v_fma_f64 v[97:98], v[93:94], v[125:126], -v[97:98]
	v_mul_f64 v[93:94], v[93:94], v[99:100]
	v_fma_f64 v[93:94], v[95:96], v[125:126], v[93:94]
	s_waitcnt vmcnt(2)
	v_add_f64 v[81:82], v[81:82], -v[97:98]
	s_waitcnt vmcnt(0)
	v_add_f64 v[83:84], v[83:84], -v[93:94]
	buffer_store_dword v81, off, s[24:27], 0 offset:352 ; 4-byte Folded Spill
	s_nop 0
	buffer_store_dword v82, off, s[24:27], 0 offset:356 ; 4-byte Folded Spill
	buffer_store_dword v83, off, s[24:27], 0 offset:360 ; 4-byte Folded Spill
	buffer_store_dword v84, off, s[24:27], 0 offset:364 ; 4-byte Folded Spill
	ds_read2_b64 v[93:96], v90 offset0:14 offset1:15
	buffer_load_dword v81, off, s[24:27], 0 offset:336 ; 4-byte Folded Reload
	buffer_load_dword v82, off, s[24:27], 0 offset:340 ; 4-byte Folded Reload
	buffer_load_dword v83, off, s[24:27], 0 offset:344 ; 4-byte Folded Reload
	buffer_load_dword v84, off, s[24:27], 0 offset:348 ; 4-byte Folded Reload
	s_waitcnt lgkmcnt(0)
	v_mul_f64 v[97:98], v[95:96], v[99:100]
	v_fma_f64 v[97:98], v[93:94], v[125:126], -v[97:98]
	v_mul_f64 v[93:94], v[93:94], v[99:100]
	v_fma_f64 v[93:94], v[95:96], v[125:126], v[93:94]
	s_waitcnt vmcnt(2)
	v_add_f64 v[81:82], v[81:82], -v[97:98]
	s_waitcnt vmcnt(0)
	v_add_f64 v[83:84], v[83:84], -v[93:94]
	buffer_store_dword v81, off, s[24:27], 0 offset:336 ; 4-byte Folded Spill
	s_nop 0
	buffer_store_dword v82, off, s[24:27], 0 offset:340 ; 4-byte Folded Spill
	buffer_store_dword v83, off, s[24:27], 0 offset:344 ; 4-byte Folded Spill
	buffer_store_dword v84, off, s[24:27], 0 offset:348 ; 4-byte Folded Spill
	;; [unrolled: 19-line block ×22, first 2 shown]
	ds_read2_b64 v[93:96], v90 offset0:56 offset1:57
	buffer_load_dword v81, off, s[24:27], 0 ; 4-byte Folded Reload
	buffer_load_dword v82, off, s[24:27], 0 offset:4 ; 4-byte Folded Reload
	buffer_load_dword v83, off, s[24:27], 0 offset:8 ; 4-byte Folded Reload
	;; [unrolled: 1-line block ×3, first 2 shown]
	s_waitcnt lgkmcnt(0)
	v_mul_f64 v[97:98], v[95:96], v[99:100]
	v_fma_f64 v[97:98], v[93:94], v[125:126], -v[97:98]
	v_mul_f64 v[93:94], v[93:94], v[99:100]
	v_fma_f64 v[93:94], v[95:96], v[125:126], v[93:94]
	s_waitcnt vmcnt(2)
	v_add_f64 v[81:82], v[81:82], -v[97:98]
	s_waitcnt vmcnt(0)
	v_add_f64 v[83:84], v[83:84], -v[93:94]
	buffer_store_dword v81, off, s[24:27], 0 ; 4-byte Folded Spill
	s_nop 0
	buffer_store_dword v82, off, s[24:27], 0 offset:4 ; 4-byte Folded Spill
	buffer_store_dword v83, off, s[24:27], 0 offset:8 ; 4-byte Folded Spill
	;; [unrolled: 1-line block ×3, first 2 shown]
	ds_read2_b64 v[93:96], v90 offset0:58 offset1:59
	s_waitcnt lgkmcnt(0)
	v_mul_f64 v[97:98], v[95:96], v[99:100]
	v_fma_f64 v[97:98], v[93:94], v[125:126], -v[97:98]
	v_mul_f64 v[93:94], v[93:94], v[99:100]
	v_add_f64 v[111:112], v[111:112], -v[97:98]
	v_fma_f64 v[93:94], v[95:96], v[125:126], v[93:94]
	v_add_f64 v[113:114], v[113:114], -v[93:94]
	ds_read2_b64 v[93:96], v90 offset0:60 offset1:61
	s_waitcnt lgkmcnt(0)
	v_mul_f64 v[97:98], v[95:96], v[99:100]
	v_fma_f64 v[97:98], v[93:94], v[125:126], -v[97:98]
	v_mul_f64 v[93:94], v[93:94], v[99:100]
	v_add_f64 v[85:86], v[85:86], -v[97:98]
	v_fma_f64 v[93:94], v[95:96], v[125:126], v[93:94]
	v_add_f64 v[87:88], v[87:88], -v[93:94]
	ds_read2_b64 v[93:96], v90 offset0:62 offset1:63
	s_waitcnt lgkmcnt(0)
	v_mul_f64 v[97:98], v[95:96], v[99:100]
	v_fma_f64 v[97:98], v[93:94], v[125:126], -v[97:98]
	v_mul_f64 v[93:94], v[93:94], v[99:100]
	v_add_f64 v[77:78], v[77:78], -v[97:98]
	v_fma_f64 v[93:94], v[95:96], v[125:126], v[93:94]
	v_add_f64 v[79:80], v[79:80], -v[93:94]
	ds_read2_b64 v[93:96], v90 offset0:64 offset1:65
	s_waitcnt lgkmcnt(0)
	v_mul_f64 v[97:98], v[95:96], v[99:100]
	v_fma_f64 v[97:98], v[93:94], v[125:126], -v[97:98]
	v_mul_f64 v[93:94], v[93:94], v[99:100]
	v_add_f64 v[73:74], v[73:74], -v[97:98]
	v_fma_f64 v[93:94], v[95:96], v[125:126], v[93:94]
	v_add_f64 v[75:76], v[75:76], -v[93:94]
	ds_read2_b64 v[93:96], v90 offset0:66 offset1:67
	s_waitcnt lgkmcnt(0)
	v_mul_f64 v[97:98], v[95:96], v[99:100]
	v_fma_f64 v[97:98], v[93:94], v[125:126], -v[97:98]
	v_mul_f64 v[93:94], v[93:94], v[99:100]
	v_add_f64 v[69:70], v[69:70], -v[97:98]
	v_fma_f64 v[93:94], v[95:96], v[125:126], v[93:94]
	v_add_f64 v[71:72], v[71:72], -v[93:94]
	ds_read2_b64 v[93:96], v90 offset0:68 offset1:69
	s_waitcnt lgkmcnt(0)
	v_mul_f64 v[97:98], v[95:96], v[99:100]
	v_fma_f64 v[97:98], v[93:94], v[125:126], -v[97:98]
	v_mul_f64 v[93:94], v[93:94], v[99:100]
	v_add_f64 v[65:66], v[65:66], -v[97:98]
	v_fma_f64 v[93:94], v[95:96], v[125:126], v[93:94]
	v_add_f64 v[67:68], v[67:68], -v[93:94]
	ds_read2_b64 v[93:96], v90 offset0:70 offset1:71
	s_waitcnt lgkmcnt(0)
	v_mul_f64 v[97:98], v[95:96], v[99:100]
	v_fma_f64 v[97:98], v[93:94], v[125:126], -v[97:98]
	v_mul_f64 v[93:94], v[93:94], v[99:100]
	v_add_f64 v[61:62], v[61:62], -v[97:98]
	v_fma_f64 v[93:94], v[95:96], v[125:126], v[93:94]
	v_add_f64 v[63:64], v[63:64], -v[93:94]
	ds_read2_b64 v[93:96], v90 offset0:72 offset1:73
	s_waitcnt lgkmcnt(0)
	v_mul_f64 v[97:98], v[95:96], v[99:100]
	v_fma_f64 v[97:98], v[93:94], v[125:126], -v[97:98]
	v_mul_f64 v[93:94], v[93:94], v[99:100]
	v_add_f64 v[57:58], v[57:58], -v[97:98]
	v_fma_f64 v[93:94], v[95:96], v[125:126], v[93:94]
	v_add_f64 v[59:60], v[59:60], -v[93:94]
	ds_read2_b64 v[93:96], v90 offset0:74 offset1:75
	s_waitcnt lgkmcnt(0)
	v_mul_f64 v[97:98], v[95:96], v[99:100]
	v_fma_f64 v[97:98], v[93:94], v[125:126], -v[97:98]
	v_mul_f64 v[93:94], v[93:94], v[99:100]
	v_add_f64 v[53:54], v[53:54], -v[97:98]
	v_fma_f64 v[93:94], v[95:96], v[125:126], v[93:94]
	v_add_f64 v[55:56], v[55:56], -v[93:94]
	ds_read2_b64 v[93:96], v90 offset0:76 offset1:77
	s_waitcnt lgkmcnt(0)
	v_mul_f64 v[97:98], v[95:96], v[99:100]
	v_fma_f64 v[97:98], v[93:94], v[125:126], -v[97:98]
	v_mul_f64 v[93:94], v[93:94], v[99:100]
	v_add_f64 v[49:50], v[49:50], -v[97:98]
	v_fma_f64 v[93:94], v[95:96], v[125:126], v[93:94]
	v_add_f64 v[51:52], v[51:52], -v[93:94]
	ds_read2_b64 v[93:96], v90 offset0:78 offset1:79
	s_waitcnt lgkmcnt(0)
	v_mul_f64 v[97:98], v[95:96], v[99:100]
	v_fma_f64 v[97:98], v[93:94], v[125:126], -v[97:98]
	v_mul_f64 v[93:94], v[93:94], v[99:100]
	v_add_f64 v[45:46], v[45:46], -v[97:98]
	v_fma_f64 v[93:94], v[95:96], v[125:126], v[93:94]
	v_add_f64 v[47:48], v[47:48], -v[93:94]
	ds_read2_b64 v[93:96], v90 offset0:80 offset1:81
	s_waitcnt lgkmcnt(0)
	v_mul_f64 v[97:98], v[95:96], v[99:100]
	v_fma_f64 v[97:98], v[93:94], v[125:126], -v[97:98]
	v_mul_f64 v[93:94], v[93:94], v[99:100]
	v_add_f64 v[41:42], v[41:42], -v[97:98]
	v_fma_f64 v[93:94], v[95:96], v[125:126], v[93:94]
	v_add_f64 v[43:44], v[43:44], -v[93:94]
	ds_read2_b64 v[93:96], v90 offset0:82 offset1:83
	s_waitcnt lgkmcnt(0)
	v_mul_f64 v[97:98], v[95:96], v[99:100]
	v_fma_f64 v[97:98], v[93:94], v[125:126], -v[97:98]
	v_mul_f64 v[93:94], v[93:94], v[99:100]
	v_add_f64 v[37:38], v[37:38], -v[97:98]
	v_fma_f64 v[93:94], v[95:96], v[125:126], v[93:94]
	v_add_f64 v[39:40], v[39:40], -v[93:94]
	ds_read2_b64 v[93:96], v90 offset0:84 offset1:85
	s_waitcnt lgkmcnt(0)
	v_mul_f64 v[97:98], v[95:96], v[99:100]
	v_fma_f64 v[97:98], v[93:94], v[125:126], -v[97:98]
	v_mul_f64 v[93:94], v[93:94], v[99:100]
	v_add_f64 v[33:34], v[33:34], -v[97:98]
	v_fma_f64 v[93:94], v[95:96], v[125:126], v[93:94]
	v_add_f64 v[35:36], v[35:36], -v[93:94]
	ds_read2_b64 v[93:96], v90 offset0:86 offset1:87
	s_waitcnt lgkmcnt(0)
	v_mul_f64 v[97:98], v[95:96], v[99:100]
	v_fma_f64 v[97:98], v[93:94], v[125:126], -v[97:98]
	v_mul_f64 v[93:94], v[93:94], v[99:100]
	v_add_f64 v[29:30], v[29:30], -v[97:98]
	v_fma_f64 v[93:94], v[95:96], v[125:126], v[93:94]
	v_add_f64 v[31:32], v[31:32], -v[93:94]
	ds_read2_b64 v[93:96], v90 offset0:88 offset1:89
	s_waitcnt lgkmcnt(0)
	v_mul_f64 v[97:98], v[95:96], v[99:100]
	v_fma_f64 v[97:98], v[93:94], v[125:126], -v[97:98]
	v_mul_f64 v[93:94], v[93:94], v[99:100]
	v_add_f64 v[25:26], v[25:26], -v[97:98]
	v_fma_f64 v[93:94], v[95:96], v[125:126], v[93:94]
	v_add_f64 v[27:28], v[27:28], -v[93:94]
	ds_read2_b64 v[93:96], v90 offset0:90 offset1:91
	s_waitcnt lgkmcnt(0)
	v_mul_f64 v[97:98], v[95:96], v[99:100]
	v_fma_f64 v[97:98], v[93:94], v[125:126], -v[97:98]
	v_mul_f64 v[93:94], v[93:94], v[99:100]
	v_add_f64 v[21:22], v[21:22], -v[97:98]
	v_fma_f64 v[93:94], v[95:96], v[125:126], v[93:94]
	v_add_f64 v[23:24], v[23:24], -v[93:94]
	ds_read2_b64 v[93:96], v90 offset0:92 offset1:93
	s_waitcnt lgkmcnt(0)
	v_mul_f64 v[97:98], v[95:96], v[99:100]
	v_fma_f64 v[97:98], v[93:94], v[125:126], -v[97:98]
	v_mul_f64 v[93:94], v[93:94], v[99:100]
	v_add_f64 v[17:18], v[17:18], -v[97:98]
	v_fma_f64 v[93:94], v[95:96], v[125:126], v[93:94]
	v_add_f64 v[19:20], v[19:20], -v[93:94]
	ds_read2_b64 v[93:96], v90 offset0:94 offset1:95
	s_waitcnt lgkmcnt(0)
	v_mul_f64 v[97:98], v[95:96], v[99:100]
	v_fma_f64 v[97:98], v[93:94], v[125:126], -v[97:98]
	v_mul_f64 v[93:94], v[93:94], v[99:100]
	v_add_f64 v[13:14], v[13:14], -v[97:98]
	v_fma_f64 v[93:94], v[95:96], v[125:126], v[93:94]
	v_add_f64 v[15:16], v[15:16], -v[93:94]
	ds_read2_b64 v[93:96], v90 offset0:96 offset1:97
	s_waitcnt lgkmcnt(0)
	v_mul_f64 v[97:98], v[95:96], v[99:100]
	v_fma_f64 v[97:98], v[93:94], v[125:126], -v[97:98]
	v_mul_f64 v[93:94], v[93:94], v[99:100]
	v_add_f64 v[9:10], v[9:10], -v[97:98]
	v_fma_f64 v[93:94], v[95:96], v[125:126], v[93:94]
	v_add_f64 v[11:12], v[11:12], -v[93:94]
	ds_read2_b64 v[93:96], v90 offset0:98 offset1:99
	s_waitcnt lgkmcnt(0)
	v_mul_f64 v[97:98], v[95:96], v[99:100]
	v_fma_f64 v[97:98], v[93:94], v[125:126], -v[97:98]
	v_mul_f64 v[93:94], v[93:94], v[99:100]
	v_add_f64 v[5:6], v[5:6], -v[97:98]
	v_fma_f64 v[93:94], v[95:96], v[125:126], v[93:94]
	v_add_f64 v[7:8], v[7:8], -v[93:94]
	ds_read2_b64 v[93:96], v90 offset0:100 offset1:101
	s_waitcnt lgkmcnt(0)
	v_mul_f64 v[97:98], v[95:96], v[99:100]
	v_fma_f64 v[97:98], v[93:94], v[125:126], -v[97:98]
	v_mul_f64 v[93:94], v[93:94], v[99:100]
	v_add_f64 v[1:2], v[1:2], -v[97:98]
	v_fma_f64 v[93:94], v[95:96], v[125:126], v[93:94]
	ds_read2_b64 v[95:98], v90 offset0:102 offset1:103
	v_add_f64 v[3:4], v[3:4], -v[93:94]
	s_waitcnt lgkmcnt(0)
	v_mul_f64 v[93:94], v[97:98], v[99:100]
	v_fma_f64 v[93:94], v[95:96], v[125:126], -v[93:94]
	v_mul_f64 v[95:96], v[95:96], v[99:100]
	v_add_f64 v[121:122], v[121:122], -v[93:94]
	v_fma_f64 v[95:96], v[97:98], v[125:126], v[95:96]
	v_mov_b32_e32 v97, v125
	v_mov_b32_e32 v98, v126
	buffer_store_dword v97, off, s[24:27], 0 offset:368 ; 4-byte Folded Spill
	s_nop 0
	buffer_store_dword v98, off, s[24:27], 0 offset:372 ; 4-byte Folded Spill
	buffer_store_dword v99, off, s[24:27], 0 offset:376 ; 4-byte Folded Spill
	;; [unrolled: 1-line block ×3, first 2 shown]
	v_add_f64 v[123:124], v[123:124], -v[95:96]
.LBB102_125:
	s_or_b64 exec, exec, s[0:1]
	s_waitcnt vmcnt(0)
	s_barrier
	buffer_load_dword v81, off, s[24:27], 0 offset:352 ; 4-byte Folded Reload
	buffer_load_dword v82, off, s[24:27], 0 offset:356 ; 4-byte Folded Reload
	;; [unrolled: 1-line block ×4, first 2 shown]
	v_lshl_add_u32 v93, v92, 4, v90
	s_cmp_lt_i32 s3, 8
	s_waitcnt vmcnt(0)
	ds_write2_b64 v93, v[81:82], v[83:84] offset1:1
	s_waitcnt lgkmcnt(0)
	s_barrier
	ds_read2_b64 v[117:120], v90 offset0:12 offset1:13
	v_mov_b32_e32 v93, 6
	s_cbranch_scc1 .LBB102_128
; %bb.126:
	v_add_u32_e32 v94, 0x70, v90
	s_mov_b32 s0, 7
	v_mov_b32_e32 v93, 6
.LBB102_127:                            ; =>This Inner Loop Header: Depth=1
	s_waitcnt lgkmcnt(0)
	v_cmp_gt_f64_e32 vcc, 0, v[117:118]
	v_xor_b32_e32 v99, 0x80000000, v118
	ds_read2_b64 v[95:98], v94 offset1:1
	v_xor_b32_e32 v101, 0x80000000, v120
	v_add_u32_e32 v94, 16, v94
	s_waitcnt lgkmcnt(0)
	v_xor_b32_e32 v103, 0x80000000, v98
	v_cndmask_b32_e32 v100, v118, v99, vcc
	v_cmp_gt_f64_e32 vcc, 0, v[119:120]
	v_mov_b32_e32 v99, v117
	v_cndmask_b32_e32 v102, v120, v101, vcc
	v_cmp_gt_f64_e32 vcc, 0, v[95:96]
	v_mov_b32_e32 v101, v119
	v_add_f64 v[99:100], v[99:100], v[101:102]
	v_xor_b32_e32 v101, 0x80000000, v96
	v_cndmask_b32_e32 v102, v96, v101, vcc
	v_cmp_gt_f64_e32 vcc, 0, v[97:98]
	v_mov_b32_e32 v101, v95
	v_cndmask_b32_e32 v104, v98, v103, vcc
	v_mov_b32_e32 v103, v97
	v_add_f64 v[101:102], v[101:102], v[103:104]
	v_cmp_lt_f64_e32 vcc, v[99:100], v[101:102]
	v_cndmask_b32_e32 v117, v117, v95, vcc
	v_mov_b32_e32 v95, s0
	s_add_i32 s0, s0, 1
	v_cndmask_b32_e32 v118, v118, v96, vcc
	v_cndmask_b32_e32 v120, v120, v98, vcc
	v_cndmask_b32_e32 v119, v119, v97, vcc
	v_cndmask_b32_e32 v93, v93, v95, vcc
	s_cmp_lg_u32 s3, s0
	s_cbranch_scc1 .LBB102_127
.LBB102_128:
	s_waitcnt lgkmcnt(0)
	v_cmp_eq_f64_e32 vcc, 0, v[117:118]
	v_cmp_eq_f64_e64 s[0:1], 0, v[119:120]
	s_and_b64 s[0:1], vcc, s[0:1]
	s_and_saveexec_b64 s[18:19], s[0:1]
	s_xor_b64 s[0:1], exec, s[18:19]
; %bb.129:
	v_cmp_ne_u32_e32 vcc, 0, v91
	v_cndmask_b32_e32 v91, 7, v91, vcc
; %bb.130:
	s_andn2_saveexec_b64 s[0:1], s[0:1]
	s_cbranch_execz .LBB102_136
; %bb.131:
	v_cmp_ngt_f64_e64 s[18:19], |v[117:118]|, |v[119:120]|
	s_and_saveexec_b64 s[20:21], s[18:19]
	s_xor_b64 s[18:19], exec, s[20:21]
	s_cbranch_execz .LBB102_133
; %bb.132:
	v_div_scale_f64 v[94:95], s[20:21], v[119:120], v[119:120], v[117:118]
	v_rcp_f64_e32 v[96:97], v[94:95]
	v_fma_f64 v[98:99], -v[94:95], v[96:97], 1.0
	v_fma_f64 v[96:97], v[96:97], v[98:99], v[96:97]
	v_div_scale_f64 v[98:99], vcc, v[117:118], v[119:120], v[117:118]
	v_fma_f64 v[100:101], -v[94:95], v[96:97], 1.0
	v_fma_f64 v[96:97], v[96:97], v[100:101], v[96:97]
	v_mul_f64 v[100:101], v[98:99], v[96:97]
	v_fma_f64 v[94:95], -v[94:95], v[100:101], v[98:99]
	v_div_fmas_f64 v[94:95], v[94:95], v[96:97], v[100:101]
	v_div_fixup_f64 v[94:95], v[94:95], v[119:120], v[117:118]
	v_fma_f64 v[96:97], v[117:118], v[94:95], v[119:120]
	v_div_scale_f64 v[98:99], s[20:21], v[96:97], v[96:97], 1.0
	v_div_scale_f64 v[104:105], vcc, 1.0, v[96:97], 1.0
	v_rcp_f64_e32 v[100:101], v[98:99]
	v_fma_f64 v[102:103], -v[98:99], v[100:101], 1.0
	v_fma_f64 v[100:101], v[100:101], v[102:103], v[100:101]
	v_fma_f64 v[102:103], -v[98:99], v[100:101], 1.0
	v_fma_f64 v[100:101], v[100:101], v[102:103], v[100:101]
	v_mul_f64 v[102:103], v[104:105], v[100:101]
	v_fma_f64 v[98:99], -v[98:99], v[102:103], v[104:105]
	v_div_fmas_f64 v[98:99], v[98:99], v[100:101], v[102:103]
	v_div_fixup_f64 v[119:120], v[98:99], v[96:97], 1.0
	v_mul_f64 v[117:118], v[94:95], v[119:120]
	v_xor_b32_e32 v120, 0x80000000, v120
.LBB102_133:
	s_andn2_saveexec_b64 s[18:19], s[18:19]
	s_cbranch_execz .LBB102_135
; %bb.134:
	v_div_scale_f64 v[94:95], s[20:21], v[117:118], v[117:118], v[119:120]
	v_rcp_f64_e32 v[96:97], v[94:95]
	v_fma_f64 v[98:99], -v[94:95], v[96:97], 1.0
	v_fma_f64 v[96:97], v[96:97], v[98:99], v[96:97]
	v_div_scale_f64 v[98:99], vcc, v[119:120], v[117:118], v[119:120]
	v_fma_f64 v[100:101], -v[94:95], v[96:97], 1.0
	v_fma_f64 v[96:97], v[96:97], v[100:101], v[96:97]
	v_mul_f64 v[100:101], v[98:99], v[96:97]
	v_fma_f64 v[94:95], -v[94:95], v[100:101], v[98:99]
	v_div_fmas_f64 v[94:95], v[94:95], v[96:97], v[100:101]
	v_div_fixup_f64 v[94:95], v[94:95], v[117:118], v[119:120]
	v_fma_f64 v[96:97], v[119:120], v[94:95], v[117:118]
	v_div_scale_f64 v[98:99], s[20:21], v[96:97], v[96:97], 1.0
	v_div_scale_f64 v[104:105], vcc, 1.0, v[96:97], 1.0
	v_rcp_f64_e32 v[100:101], v[98:99]
	v_fma_f64 v[102:103], -v[98:99], v[100:101], 1.0
	v_fma_f64 v[100:101], v[100:101], v[102:103], v[100:101]
	v_fma_f64 v[102:103], -v[98:99], v[100:101], 1.0
	v_fma_f64 v[100:101], v[100:101], v[102:103], v[100:101]
	v_mul_f64 v[102:103], v[104:105], v[100:101]
	v_fma_f64 v[98:99], -v[98:99], v[102:103], v[104:105]
	v_div_fmas_f64 v[98:99], v[98:99], v[100:101], v[102:103]
	v_div_fixup_f64 v[117:118], v[98:99], v[96:97], 1.0
	v_mul_f64 v[119:120], v[94:95], -v[117:118]
.LBB102_135:
	s_or_b64 exec, exec, s[18:19]
.LBB102_136:
	s_or_b64 exec, exec, s[0:1]
	v_cmp_ne_u32_e32 vcc, v92, v93
	s_and_saveexec_b64 s[0:1], vcc
	s_xor_b64 s[0:1], exec, s[0:1]
	s_cbranch_execz .LBB102_142
; %bb.137:
	v_cmp_eq_u32_e32 vcc, 6, v92
	s_and_saveexec_b64 s[18:19], vcc
	s_cbranch_execz .LBB102_141
; %bb.138:
	v_cmp_ne_u32_e32 vcc, 6, v93
	s_xor_b64 s[20:21], s[6:7], -1
	s_and_b64 s[22:23], s[20:21], vcc
	s_and_saveexec_b64 s[20:21], s[22:23]
	s_cbranch_execz .LBB102_140
; %bb.139:
	buffer_load_dword v81, off, s[24:27], 0 offset:416 ; 4-byte Folded Reload
	buffer_load_dword v82, off, s[24:27], 0 offset:420 ; 4-byte Folded Reload
	v_ashrrev_i32_e32 v94, 31, v93
	v_lshlrev_b64 v[94:95], 2, v[93:94]
	s_waitcnt vmcnt(1)
	v_add_co_u32_e32 v94, vcc, v81, v94
	s_waitcnt vmcnt(0)
	v_addc_co_u32_e32 v95, vcc, v82, v95, vcc
	global_load_dword v0, v[94:95], off
	global_load_dword v92, v[81:82], off offset:24
	s_waitcnt vmcnt(1)
	global_store_dword v[81:82], v0, off offset:24
	s_waitcnt vmcnt(1)
	global_store_dword v[94:95], v92, off
.LBB102_140:
	s_or_b64 exec, exec, s[20:21]
	v_mov_b32_e32 v92, v93
	v_mov_b32_e32 v0, v93
.LBB102_141:
	s_or_b64 exec, exec, s[18:19]
.LBB102_142:
	s_andn2_saveexec_b64 s[0:1], s[0:1]
	s_cbranch_execz .LBB102_144
; %bb.143:
	buffer_load_dword v81, off, s[24:27], 0 offset:336 ; 4-byte Folded Reload
	buffer_load_dword v82, off, s[24:27], 0 offset:340 ; 4-byte Folded Reload
	;; [unrolled: 1-line block ×4, first 2 shown]
	v_mov_b32_e32 v92, 6
	s_waitcnt vmcnt(0)
	ds_write2_b64 v90, v[81:82], v[83:84] offset0:14 offset1:15
	buffer_load_dword v81, off, s[24:27], 0 offset:320 ; 4-byte Folded Reload
	buffer_load_dword v82, off, s[24:27], 0 offset:324 ; 4-byte Folded Reload
	buffer_load_dword v83, off, s[24:27], 0 offset:328 ; 4-byte Folded Reload
	buffer_load_dword v84, off, s[24:27], 0 offset:332 ; 4-byte Folded Reload
	s_waitcnt vmcnt(0)
	ds_write2_b64 v90, v[81:82], v[83:84] offset0:16 offset1:17
	buffer_load_dword v81, off, s[24:27], 0 offset:304 ; 4-byte Folded Reload
	buffer_load_dword v82, off, s[24:27], 0 offset:308 ; 4-byte Folded Reload
	buffer_load_dword v83, off, s[24:27], 0 offset:312 ; 4-byte Folded Reload
	buffer_load_dword v84, off, s[24:27], 0 offset:316 ; 4-byte Folded Reload
	;; [unrolled: 6-line block ×20, first 2 shown]
	s_waitcnt vmcnt(0)
	ds_write2_b64 v90, v[81:82], v[83:84] offset0:54 offset1:55
	buffer_load_dword v81, off, s[24:27], 0 ; 4-byte Folded Reload
	buffer_load_dword v82, off, s[24:27], 0 offset:4 ; 4-byte Folded Reload
	buffer_load_dword v83, off, s[24:27], 0 offset:8 ; 4-byte Folded Reload
	;; [unrolled: 1-line block ×3, first 2 shown]
	s_waitcnt vmcnt(0)
	ds_write2_b64 v90, v[81:82], v[83:84] offset0:56 offset1:57
	ds_write2_b64 v90, v[111:112], v[113:114] offset0:58 offset1:59
	;; [unrolled: 1-line block ×24, first 2 shown]
.LBB102_144:
	s_or_b64 exec, exec, s[0:1]
	v_cmp_lt_i32_e32 vcc, 6, v92
	s_waitcnt vmcnt(0) lgkmcnt(0)
	s_barrier
	s_and_saveexec_b64 s[0:1], vcc
	s_cbranch_execz .LBB102_146
; %bb.145:
	buffer_load_dword v97, off, s[24:27], 0 offset:352 ; 4-byte Folded Reload
	buffer_load_dword v98, off, s[24:27], 0 offset:356 ; 4-byte Folded Reload
	;; [unrolled: 1-line block ×4, first 2 shown]
	s_waitcnt vmcnt(0)
	v_mul_f64 v[93:94], v[119:120], v[99:100]
	v_fma_f64 v[125:126], v[117:118], v[97:98], -v[93:94]
	v_mul_f64 v[93:94], v[117:118], v[99:100]
	v_fma_f64 v[99:100], v[119:120], v[97:98], v[93:94]
	ds_read2_b64 v[93:96], v90 offset0:14 offset1:15
	buffer_load_dword v81, off, s[24:27], 0 offset:336 ; 4-byte Folded Reload
	buffer_load_dword v82, off, s[24:27], 0 offset:340 ; 4-byte Folded Reload
	buffer_load_dword v83, off, s[24:27], 0 offset:344 ; 4-byte Folded Reload
	buffer_load_dword v84, off, s[24:27], 0 offset:348 ; 4-byte Folded Reload
	s_waitcnt lgkmcnt(0)
	v_mul_f64 v[97:98], v[95:96], v[99:100]
	v_fma_f64 v[97:98], v[93:94], v[125:126], -v[97:98]
	v_mul_f64 v[93:94], v[93:94], v[99:100]
	v_fma_f64 v[93:94], v[95:96], v[125:126], v[93:94]
	s_waitcnt vmcnt(2)
	v_add_f64 v[81:82], v[81:82], -v[97:98]
	s_waitcnt vmcnt(0)
	v_add_f64 v[83:84], v[83:84], -v[93:94]
	buffer_store_dword v81, off, s[24:27], 0 offset:336 ; 4-byte Folded Spill
	s_nop 0
	buffer_store_dword v82, off, s[24:27], 0 offset:340 ; 4-byte Folded Spill
	buffer_store_dword v83, off, s[24:27], 0 offset:344 ; 4-byte Folded Spill
	buffer_store_dword v84, off, s[24:27], 0 offset:348 ; 4-byte Folded Spill
	ds_read2_b64 v[93:96], v90 offset0:16 offset1:17
	buffer_load_dword v81, off, s[24:27], 0 offset:320 ; 4-byte Folded Reload
	buffer_load_dword v82, off, s[24:27], 0 offset:324 ; 4-byte Folded Reload
	buffer_load_dword v83, off, s[24:27], 0 offset:328 ; 4-byte Folded Reload
	buffer_load_dword v84, off, s[24:27], 0 offset:332 ; 4-byte Folded Reload
	s_waitcnt lgkmcnt(0)
	v_mul_f64 v[97:98], v[95:96], v[99:100]
	v_fma_f64 v[97:98], v[93:94], v[125:126], -v[97:98]
	v_mul_f64 v[93:94], v[93:94], v[99:100]
	v_fma_f64 v[93:94], v[95:96], v[125:126], v[93:94]
	s_waitcnt vmcnt(2)
	v_add_f64 v[81:82], v[81:82], -v[97:98]
	s_waitcnt vmcnt(0)
	v_add_f64 v[83:84], v[83:84], -v[93:94]
	buffer_store_dword v81, off, s[24:27], 0 offset:320 ; 4-byte Folded Spill
	s_nop 0
	buffer_store_dword v82, off, s[24:27], 0 offset:324 ; 4-byte Folded Spill
	buffer_store_dword v83, off, s[24:27], 0 offset:328 ; 4-byte Folded Spill
	buffer_store_dword v84, off, s[24:27], 0 offset:332 ; 4-byte Folded Spill
	;; [unrolled: 19-line block ×21, first 2 shown]
	ds_read2_b64 v[93:96], v90 offset0:56 offset1:57
	buffer_load_dword v81, off, s[24:27], 0 ; 4-byte Folded Reload
	buffer_load_dword v82, off, s[24:27], 0 offset:4 ; 4-byte Folded Reload
	buffer_load_dword v83, off, s[24:27], 0 offset:8 ; 4-byte Folded Reload
	;; [unrolled: 1-line block ×3, first 2 shown]
	s_waitcnt lgkmcnt(0)
	v_mul_f64 v[97:98], v[95:96], v[99:100]
	v_fma_f64 v[97:98], v[93:94], v[125:126], -v[97:98]
	v_mul_f64 v[93:94], v[93:94], v[99:100]
	v_fma_f64 v[93:94], v[95:96], v[125:126], v[93:94]
	s_waitcnt vmcnt(2)
	v_add_f64 v[81:82], v[81:82], -v[97:98]
	s_waitcnt vmcnt(0)
	v_add_f64 v[83:84], v[83:84], -v[93:94]
	buffer_store_dword v81, off, s[24:27], 0 ; 4-byte Folded Spill
	s_nop 0
	buffer_store_dword v82, off, s[24:27], 0 offset:4 ; 4-byte Folded Spill
	buffer_store_dword v83, off, s[24:27], 0 offset:8 ; 4-byte Folded Spill
	buffer_store_dword v84, off, s[24:27], 0 offset:12 ; 4-byte Folded Spill
	ds_read2_b64 v[93:96], v90 offset0:58 offset1:59
	s_waitcnt lgkmcnt(0)
	v_mul_f64 v[97:98], v[95:96], v[99:100]
	v_fma_f64 v[97:98], v[93:94], v[125:126], -v[97:98]
	v_mul_f64 v[93:94], v[93:94], v[99:100]
	v_add_f64 v[111:112], v[111:112], -v[97:98]
	v_fma_f64 v[93:94], v[95:96], v[125:126], v[93:94]
	v_add_f64 v[113:114], v[113:114], -v[93:94]
	ds_read2_b64 v[93:96], v90 offset0:60 offset1:61
	s_waitcnt lgkmcnt(0)
	v_mul_f64 v[97:98], v[95:96], v[99:100]
	v_fma_f64 v[97:98], v[93:94], v[125:126], -v[97:98]
	v_mul_f64 v[93:94], v[93:94], v[99:100]
	v_add_f64 v[85:86], v[85:86], -v[97:98]
	v_fma_f64 v[93:94], v[95:96], v[125:126], v[93:94]
	v_add_f64 v[87:88], v[87:88], -v[93:94]
	;; [unrolled: 8-line block ×21, first 2 shown]
	ds_read2_b64 v[93:96], v90 offset0:100 offset1:101
	s_waitcnt lgkmcnt(0)
	v_mul_f64 v[97:98], v[95:96], v[99:100]
	v_fma_f64 v[97:98], v[93:94], v[125:126], -v[97:98]
	v_mul_f64 v[93:94], v[93:94], v[99:100]
	v_add_f64 v[1:2], v[1:2], -v[97:98]
	v_fma_f64 v[93:94], v[95:96], v[125:126], v[93:94]
	ds_read2_b64 v[95:98], v90 offset0:102 offset1:103
	v_add_f64 v[3:4], v[3:4], -v[93:94]
	s_waitcnt lgkmcnt(0)
	v_mul_f64 v[93:94], v[97:98], v[99:100]
	v_fma_f64 v[93:94], v[95:96], v[125:126], -v[93:94]
	v_mul_f64 v[95:96], v[95:96], v[99:100]
	v_add_f64 v[121:122], v[121:122], -v[93:94]
	v_fma_f64 v[95:96], v[97:98], v[125:126], v[95:96]
	v_mov_b32_e32 v97, v125
	v_mov_b32_e32 v98, v126
	buffer_store_dword v97, off, s[24:27], 0 offset:352 ; 4-byte Folded Spill
	s_nop 0
	buffer_store_dword v98, off, s[24:27], 0 offset:356 ; 4-byte Folded Spill
	buffer_store_dword v99, off, s[24:27], 0 offset:360 ; 4-byte Folded Spill
	;; [unrolled: 1-line block ×3, first 2 shown]
	v_add_f64 v[123:124], v[123:124], -v[95:96]
.LBB102_146:
	s_or_b64 exec, exec, s[0:1]
	s_waitcnt vmcnt(0)
	s_barrier
	buffer_load_dword v81, off, s[24:27], 0 offset:336 ; 4-byte Folded Reload
	buffer_load_dword v82, off, s[24:27], 0 offset:340 ; 4-byte Folded Reload
	;; [unrolled: 1-line block ×4, first 2 shown]
	v_lshl_add_u32 v93, v92, 4, v90
	s_cmp_lt_i32 s3, 9
	s_waitcnt vmcnt(0)
	ds_write2_b64 v93, v[81:82], v[83:84] offset1:1
	s_waitcnt lgkmcnt(0)
	s_barrier
	ds_read2_b64 v[117:120], v90 offset0:14 offset1:15
	v_mov_b32_e32 v93, 7
	s_cbranch_scc1 .LBB102_149
; %bb.147:
	v_add_u32_e32 v94, 0x80, v90
	s_mov_b32 s0, 8
	v_mov_b32_e32 v93, 7
.LBB102_148:                            ; =>This Inner Loop Header: Depth=1
	s_waitcnt lgkmcnt(0)
	v_cmp_gt_f64_e32 vcc, 0, v[117:118]
	v_xor_b32_e32 v99, 0x80000000, v118
	ds_read2_b64 v[95:98], v94 offset1:1
	v_xor_b32_e32 v101, 0x80000000, v120
	v_add_u32_e32 v94, 16, v94
	s_waitcnt lgkmcnt(0)
	v_xor_b32_e32 v103, 0x80000000, v98
	v_cndmask_b32_e32 v100, v118, v99, vcc
	v_cmp_gt_f64_e32 vcc, 0, v[119:120]
	v_mov_b32_e32 v99, v117
	v_cndmask_b32_e32 v102, v120, v101, vcc
	v_cmp_gt_f64_e32 vcc, 0, v[95:96]
	v_mov_b32_e32 v101, v119
	v_add_f64 v[99:100], v[99:100], v[101:102]
	v_xor_b32_e32 v101, 0x80000000, v96
	v_cndmask_b32_e32 v102, v96, v101, vcc
	v_cmp_gt_f64_e32 vcc, 0, v[97:98]
	v_mov_b32_e32 v101, v95
	v_cndmask_b32_e32 v104, v98, v103, vcc
	v_mov_b32_e32 v103, v97
	v_add_f64 v[101:102], v[101:102], v[103:104]
	v_cmp_lt_f64_e32 vcc, v[99:100], v[101:102]
	v_cndmask_b32_e32 v117, v117, v95, vcc
	v_mov_b32_e32 v95, s0
	s_add_i32 s0, s0, 1
	v_cndmask_b32_e32 v118, v118, v96, vcc
	v_cndmask_b32_e32 v120, v120, v98, vcc
	;; [unrolled: 1-line block ×4, first 2 shown]
	s_cmp_lg_u32 s3, s0
	s_cbranch_scc1 .LBB102_148
.LBB102_149:
	s_waitcnt lgkmcnt(0)
	v_cmp_eq_f64_e32 vcc, 0, v[117:118]
	v_cmp_eq_f64_e64 s[0:1], 0, v[119:120]
	s_and_b64 s[0:1], vcc, s[0:1]
	s_and_saveexec_b64 s[18:19], s[0:1]
	s_xor_b64 s[0:1], exec, s[18:19]
; %bb.150:
	v_cmp_ne_u32_e32 vcc, 0, v91
	v_cndmask_b32_e32 v91, 8, v91, vcc
; %bb.151:
	s_andn2_saveexec_b64 s[0:1], s[0:1]
	s_cbranch_execz .LBB102_157
; %bb.152:
	v_cmp_ngt_f64_e64 s[18:19], |v[117:118]|, |v[119:120]|
	s_and_saveexec_b64 s[20:21], s[18:19]
	s_xor_b64 s[18:19], exec, s[20:21]
	s_cbranch_execz .LBB102_154
; %bb.153:
	v_div_scale_f64 v[94:95], s[20:21], v[119:120], v[119:120], v[117:118]
	v_rcp_f64_e32 v[96:97], v[94:95]
	v_fma_f64 v[98:99], -v[94:95], v[96:97], 1.0
	v_fma_f64 v[96:97], v[96:97], v[98:99], v[96:97]
	v_div_scale_f64 v[98:99], vcc, v[117:118], v[119:120], v[117:118]
	v_fma_f64 v[100:101], -v[94:95], v[96:97], 1.0
	v_fma_f64 v[96:97], v[96:97], v[100:101], v[96:97]
	v_mul_f64 v[100:101], v[98:99], v[96:97]
	v_fma_f64 v[94:95], -v[94:95], v[100:101], v[98:99]
	v_div_fmas_f64 v[94:95], v[94:95], v[96:97], v[100:101]
	v_div_fixup_f64 v[94:95], v[94:95], v[119:120], v[117:118]
	v_fma_f64 v[96:97], v[117:118], v[94:95], v[119:120]
	v_div_scale_f64 v[98:99], s[20:21], v[96:97], v[96:97], 1.0
	v_div_scale_f64 v[104:105], vcc, 1.0, v[96:97], 1.0
	v_rcp_f64_e32 v[100:101], v[98:99]
	v_fma_f64 v[102:103], -v[98:99], v[100:101], 1.0
	v_fma_f64 v[100:101], v[100:101], v[102:103], v[100:101]
	v_fma_f64 v[102:103], -v[98:99], v[100:101], 1.0
	v_fma_f64 v[100:101], v[100:101], v[102:103], v[100:101]
	v_mul_f64 v[102:103], v[104:105], v[100:101]
	v_fma_f64 v[98:99], -v[98:99], v[102:103], v[104:105]
	v_div_fmas_f64 v[98:99], v[98:99], v[100:101], v[102:103]
	v_div_fixup_f64 v[119:120], v[98:99], v[96:97], 1.0
	v_mul_f64 v[117:118], v[94:95], v[119:120]
	v_xor_b32_e32 v120, 0x80000000, v120
.LBB102_154:
	s_andn2_saveexec_b64 s[18:19], s[18:19]
	s_cbranch_execz .LBB102_156
; %bb.155:
	v_div_scale_f64 v[94:95], s[20:21], v[117:118], v[117:118], v[119:120]
	v_rcp_f64_e32 v[96:97], v[94:95]
	v_fma_f64 v[98:99], -v[94:95], v[96:97], 1.0
	v_fma_f64 v[96:97], v[96:97], v[98:99], v[96:97]
	v_div_scale_f64 v[98:99], vcc, v[119:120], v[117:118], v[119:120]
	v_fma_f64 v[100:101], -v[94:95], v[96:97], 1.0
	v_fma_f64 v[96:97], v[96:97], v[100:101], v[96:97]
	v_mul_f64 v[100:101], v[98:99], v[96:97]
	v_fma_f64 v[94:95], -v[94:95], v[100:101], v[98:99]
	v_div_fmas_f64 v[94:95], v[94:95], v[96:97], v[100:101]
	v_div_fixup_f64 v[94:95], v[94:95], v[117:118], v[119:120]
	v_fma_f64 v[96:97], v[119:120], v[94:95], v[117:118]
	v_div_scale_f64 v[98:99], s[20:21], v[96:97], v[96:97], 1.0
	v_div_scale_f64 v[104:105], vcc, 1.0, v[96:97], 1.0
	v_rcp_f64_e32 v[100:101], v[98:99]
	v_fma_f64 v[102:103], -v[98:99], v[100:101], 1.0
	v_fma_f64 v[100:101], v[100:101], v[102:103], v[100:101]
	v_fma_f64 v[102:103], -v[98:99], v[100:101], 1.0
	v_fma_f64 v[100:101], v[100:101], v[102:103], v[100:101]
	v_mul_f64 v[102:103], v[104:105], v[100:101]
	v_fma_f64 v[98:99], -v[98:99], v[102:103], v[104:105]
	v_div_fmas_f64 v[98:99], v[98:99], v[100:101], v[102:103]
	v_div_fixup_f64 v[117:118], v[98:99], v[96:97], 1.0
	v_mul_f64 v[119:120], v[94:95], -v[117:118]
.LBB102_156:
	s_or_b64 exec, exec, s[18:19]
.LBB102_157:
	s_or_b64 exec, exec, s[0:1]
	v_cmp_ne_u32_e32 vcc, v92, v93
	s_and_saveexec_b64 s[0:1], vcc
	s_xor_b64 s[0:1], exec, s[0:1]
	s_cbranch_execz .LBB102_163
; %bb.158:
	v_cmp_eq_u32_e32 vcc, 7, v92
	s_and_saveexec_b64 s[18:19], vcc
	s_cbranch_execz .LBB102_162
; %bb.159:
	v_cmp_ne_u32_e32 vcc, 7, v93
	s_xor_b64 s[20:21], s[6:7], -1
	s_and_b64 s[22:23], s[20:21], vcc
	s_and_saveexec_b64 s[20:21], s[22:23]
	s_cbranch_execz .LBB102_161
; %bb.160:
	buffer_load_dword v81, off, s[24:27], 0 offset:416 ; 4-byte Folded Reload
	buffer_load_dword v82, off, s[24:27], 0 offset:420 ; 4-byte Folded Reload
	v_ashrrev_i32_e32 v94, 31, v93
	v_lshlrev_b64 v[94:95], 2, v[93:94]
	s_waitcnt vmcnt(1)
	v_add_co_u32_e32 v94, vcc, v81, v94
	s_waitcnt vmcnt(0)
	v_addc_co_u32_e32 v95, vcc, v82, v95, vcc
	global_load_dword v0, v[94:95], off
	global_load_dword v92, v[81:82], off offset:28
	s_waitcnt vmcnt(1)
	global_store_dword v[81:82], v0, off offset:28
	s_waitcnt vmcnt(1)
	global_store_dword v[94:95], v92, off
.LBB102_161:
	s_or_b64 exec, exec, s[20:21]
	v_mov_b32_e32 v92, v93
	v_mov_b32_e32 v0, v93
.LBB102_162:
	s_or_b64 exec, exec, s[18:19]
.LBB102_163:
	s_andn2_saveexec_b64 s[0:1], s[0:1]
	s_cbranch_execz .LBB102_165
; %bb.164:
	buffer_load_dword v81, off, s[24:27], 0 offset:320 ; 4-byte Folded Reload
	buffer_load_dword v82, off, s[24:27], 0 offset:324 ; 4-byte Folded Reload
	;; [unrolled: 1-line block ×4, first 2 shown]
	v_mov_b32_e32 v92, 7
	s_waitcnt vmcnt(0)
	ds_write2_b64 v90, v[81:82], v[83:84] offset0:16 offset1:17
	buffer_load_dword v81, off, s[24:27], 0 offset:304 ; 4-byte Folded Reload
	buffer_load_dword v82, off, s[24:27], 0 offset:308 ; 4-byte Folded Reload
	buffer_load_dword v83, off, s[24:27], 0 offset:312 ; 4-byte Folded Reload
	buffer_load_dword v84, off, s[24:27], 0 offset:316 ; 4-byte Folded Reload
	s_waitcnt vmcnt(0)
	ds_write2_b64 v90, v[81:82], v[83:84] offset0:18 offset1:19
	buffer_load_dword v81, off, s[24:27], 0 offset:288 ; 4-byte Folded Reload
	buffer_load_dword v82, off, s[24:27], 0 offset:292 ; 4-byte Folded Reload
	buffer_load_dword v83, off, s[24:27], 0 offset:296 ; 4-byte Folded Reload
	buffer_load_dword v84, off, s[24:27], 0 offset:300 ; 4-byte Folded Reload
	s_waitcnt vmcnt(0)
	ds_write2_b64 v90, v[81:82], v[83:84] offset0:20 offset1:21
	buffer_load_dword v81, off, s[24:27], 0 offset:272 ; 4-byte Folded Reload
	buffer_load_dword v82, off, s[24:27], 0 offset:276 ; 4-byte Folded Reload
	buffer_load_dword v83, off, s[24:27], 0 offset:280 ; 4-byte Folded Reload
	buffer_load_dword v84, off, s[24:27], 0 offset:284 ; 4-byte Folded Reload
	s_waitcnt vmcnt(0)
	ds_write2_b64 v90, v[81:82], v[83:84] offset0:22 offset1:23
	buffer_load_dword v81, off, s[24:27], 0 offset:256 ; 4-byte Folded Reload
	buffer_load_dword v82, off, s[24:27], 0 offset:260 ; 4-byte Folded Reload
	buffer_load_dword v83, off, s[24:27], 0 offset:264 ; 4-byte Folded Reload
	buffer_load_dword v84, off, s[24:27], 0 offset:268 ; 4-byte Folded Reload
	s_waitcnt vmcnt(0)
	ds_write2_b64 v90, v[81:82], v[83:84] offset0:24 offset1:25
	buffer_load_dword v81, off, s[24:27], 0 offset:240 ; 4-byte Folded Reload
	buffer_load_dword v82, off, s[24:27], 0 offset:244 ; 4-byte Folded Reload
	buffer_load_dword v83, off, s[24:27], 0 offset:248 ; 4-byte Folded Reload
	buffer_load_dword v84, off, s[24:27], 0 offset:252 ; 4-byte Folded Reload
	s_waitcnt vmcnt(0)
	ds_write2_b64 v90, v[81:82], v[83:84] offset0:26 offset1:27
	buffer_load_dword v81, off, s[24:27], 0 offset:224 ; 4-byte Folded Reload
	buffer_load_dword v82, off, s[24:27], 0 offset:228 ; 4-byte Folded Reload
	buffer_load_dword v83, off, s[24:27], 0 offset:232 ; 4-byte Folded Reload
	buffer_load_dword v84, off, s[24:27], 0 offset:236 ; 4-byte Folded Reload
	s_waitcnt vmcnt(0)
	ds_write2_b64 v90, v[81:82], v[83:84] offset0:28 offset1:29
	buffer_load_dword v81, off, s[24:27], 0 offset:208 ; 4-byte Folded Reload
	buffer_load_dword v82, off, s[24:27], 0 offset:212 ; 4-byte Folded Reload
	buffer_load_dword v83, off, s[24:27], 0 offset:216 ; 4-byte Folded Reload
	buffer_load_dword v84, off, s[24:27], 0 offset:220 ; 4-byte Folded Reload
	s_waitcnt vmcnt(0)
	ds_write2_b64 v90, v[81:82], v[83:84] offset0:30 offset1:31
	buffer_load_dword v81, off, s[24:27], 0 offset:192 ; 4-byte Folded Reload
	buffer_load_dword v82, off, s[24:27], 0 offset:196 ; 4-byte Folded Reload
	buffer_load_dword v83, off, s[24:27], 0 offset:200 ; 4-byte Folded Reload
	buffer_load_dword v84, off, s[24:27], 0 offset:204 ; 4-byte Folded Reload
	s_waitcnt vmcnt(0)
	ds_write2_b64 v90, v[81:82], v[83:84] offset0:32 offset1:33
	buffer_load_dword v81, off, s[24:27], 0 offset:176 ; 4-byte Folded Reload
	buffer_load_dword v82, off, s[24:27], 0 offset:180 ; 4-byte Folded Reload
	buffer_load_dword v83, off, s[24:27], 0 offset:184 ; 4-byte Folded Reload
	buffer_load_dword v84, off, s[24:27], 0 offset:188 ; 4-byte Folded Reload
	s_waitcnt vmcnt(0)
	ds_write2_b64 v90, v[81:82], v[83:84] offset0:34 offset1:35
	buffer_load_dword v81, off, s[24:27], 0 offset:160 ; 4-byte Folded Reload
	buffer_load_dword v82, off, s[24:27], 0 offset:164 ; 4-byte Folded Reload
	buffer_load_dword v83, off, s[24:27], 0 offset:168 ; 4-byte Folded Reload
	buffer_load_dword v84, off, s[24:27], 0 offset:172 ; 4-byte Folded Reload
	s_waitcnt vmcnt(0)
	ds_write2_b64 v90, v[81:82], v[83:84] offset0:36 offset1:37
	buffer_load_dword v81, off, s[24:27], 0 offset:144 ; 4-byte Folded Reload
	buffer_load_dword v82, off, s[24:27], 0 offset:148 ; 4-byte Folded Reload
	buffer_load_dword v83, off, s[24:27], 0 offset:152 ; 4-byte Folded Reload
	buffer_load_dword v84, off, s[24:27], 0 offset:156 ; 4-byte Folded Reload
	s_waitcnt vmcnt(0)
	ds_write2_b64 v90, v[81:82], v[83:84] offset0:38 offset1:39
	buffer_load_dword v81, off, s[24:27], 0 offset:128 ; 4-byte Folded Reload
	buffer_load_dword v82, off, s[24:27], 0 offset:132 ; 4-byte Folded Reload
	buffer_load_dword v83, off, s[24:27], 0 offset:136 ; 4-byte Folded Reload
	buffer_load_dword v84, off, s[24:27], 0 offset:140 ; 4-byte Folded Reload
	s_waitcnt vmcnt(0)
	ds_write2_b64 v90, v[81:82], v[83:84] offset0:40 offset1:41
	buffer_load_dword v81, off, s[24:27], 0 offset:112 ; 4-byte Folded Reload
	buffer_load_dword v82, off, s[24:27], 0 offset:116 ; 4-byte Folded Reload
	buffer_load_dword v83, off, s[24:27], 0 offset:120 ; 4-byte Folded Reload
	buffer_load_dword v84, off, s[24:27], 0 offset:124 ; 4-byte Folded Reload
	s_waitcnt vmcnt(0)
	ds_write2_b64 v90, v[81:82], v[83:84] offset0:42 offset1:43
	buffer_load_dword v81, off, s[24:27], 0 offset:96 ; 4-byte Folded Reload
	buffer_load_dword v82, off, s[24:27], 0 offset:100 ; 4-byte Folded Reload
	buffer_load_dword v83, off, s[24:27], 0 offset:104 ; 4-byte Folded Reload
	buffer_load_dword v84, off, s[24:27], 0 offset:108 ; 4-byte Folded Reload
	s_waitcnt vmcnt(0)
	ds_write2_b64 v90, v[81:82], v[83:84] offset0:44 offset1:45
	buffer_load_dword v81, off, s[24:27], 0 offset:80 ; 4-byte Folded Reload
	buffer_load_dword v82, off, s[24:27], 0 offset:84 ; 4-byte Folded Reload
	buffer_load_dword v83, off, s[24:27], 0 offset:88 ; 4-byte Folded Reload
	buffer_load_dword v84, off, s[24:27], 0 offset:92 ; 4-byte Folded Reload
	s_waitcnt vmcnt(0)
	ds_write2_b64 v90, v[81:82], v[83:84] offset0:46 offset1:47
	buffer_load_dword v81, off, s[24:27], 0 offset:64 ; 4-byte Folded Reload
	buffer_load_dword v82, off, s[24:27], 0 offset:68 ; 4-byte Folded Reload
	buffer_load_dword v83, off, s[24:27], 0 offset:72 ; 4-byte Folded Reload
	buffer_load_dword v84, off, s[24:27], 0 offset:76 ; 4-byte Folded Reload
	s_waitcnt vmcnt(0)
	ds_write2_b64 v90, v[81:82], v[83:84] offset0:48 offset1:49
	buffer_load_dword v81, off, s[24:27], 0 offset:48 ; 4-byte Folded Reload
	buffer_load_dword v82, off, s[24:27], 0 offset:52 ; 4-byte Folded Reload
	buffer_load_dword v83, off, s[24:27], 0 offset:56 ; 4-byte Folded Reload
	buffer_load_dword v84, off, s[24:27], 0 offset:60 ; 4-byte Folded Reload
	s_waitcnt vmcnt(0)
	ds_write2_b64 v90, v[81:82], v[83:84] offset0:50 offset1:51
	buffer_load_dword v81, off, s[24:27], 0 offset:32 ; 4-byte Folded Reload
	buffer_load_dword v82, off, s[24:27], 0 offset:36 ; 4-byte Folded Reload
	buffer_load_dword v83, off, s[24:27], 0 offset:40 ; 4-byte Folded Reload
	buffer_load_dword v84, off, s[24:27], 0 offset:44 ; 4-byte Folded Reload
	s_waitcnt vmcnt(0)
	ds_write2_b64 v90, v[81:82], v[83:84] offset0:52 offset1:53
	buffer_load_dword v81, off, s[24:27], 0 offset:16 ; 4-byte Folded Reload
	buffer_load_dword v82, off, s[24:27], 0 offset:20 ; 4-byte Folded Reload
	buffer_load_dword v83, off, s[24:27], 0 offset:24 ; 4-byte Folded Reload
	buffer_load_dword v84, off, s[24:27], 0 offset:28 ; 4-byte Folded Reload
	s_waitcnt vmcnt(0)
	ds_write2_b64 v90, v[81:82], v[83:84] offset0:54 offset1:55
	buffer_load_dword v81, off, s[24:27], 0 ; 4-byte Folded Reload
	buffer_load_dword v82, off, s[24:27], 0 offset:4 ; 4-byte Folded Reload
	buffer_load_dword v83, off, s[24:27], 0 offset:8 ; 4-byte Folded Reload
	;; [unrolled: 1-line block ×3, first 2 shown]
	s_waitcnt vmcnt(0)
	ds_write2_b64 v90, v[81:82], v[83:84] offset0:56 offset1:57
	ds_write2_b64 v90, v[111:112], v[113:114] offset0:58 offset1:59
	;; [unrolled: 1-line block ×24, first 2 shown]
.LBB102_165:
	s_or_b64 exec, exec, s[0:1]
	v_cmp_lt_i32_e32 vcc, 7, v92
	s_waitcnt vmcnt(0) lgkmcnt(0)
	s_barrier
	s_and_saveexec_b64 s[0:1], vcc
	s_cbranch_execz .LBB102_167
; %bb.166:
	buffer_load_dword v97, off, s[24:27], 0 offset:336 ; 4-byte Folded Reload
	buffer_load_dword v98, off, s[24:27], 0 offset:340 ; 4-byte Folded Reload
	buffer_load_dword v99, off, s[24:27], 0 offset:344 ; 4-byte Folded Reload
	buffer_load_dword v100, off, s[24:27], 0 offset:348 ; 4-byte Folded Reload
	s_waitcnt vmcnt(0)
	v_mul_f64 v[93:94], v[119:120], v[99:100]
	v_fma_f64 v[125:126], v[117:118], v[97:98], -v[93:94]
	v_mul_f64 v[93:94], v[117:118], v[99:100]
	v_fma_f64 v[99:100], v[119:120], v[97:98], v[93:94]
	ds_read2_b64 v[93:96], v90 offset0:16 offset1:17
	buffer_load_dword v81, off, s[24:27], 0 offset:320 ; 4-byte Folded Reload
	buffer_load_dword v82, off, s[24:27], 0 offset:324 ; 4-byte Folded Reload
	buffer_load_dword v83, off, s[24:27], 0 offset:328 ; 4-byte Folded Reload
	buffer_load_dword v84, off, s[24:27], 0 offset:332 ; 4-byte Folded Reload
	s_waitcnt lgkmcnt(0)
	v_mul_f64 v[97:98], v[95:96], v[99:100]
	v_fma_f64 v[97:98], v[93:94], v[125:126], -v[97:98]
	v_mul_f64 v[93:94], v[93:94], v[99:100]
	v_fma_f64 v[93:94], v[95:96], v[125:126], v[93:94]
	s_waitcnt vmcnt(2)
	v_add_f64 v[81:82], v[81:82], -v[97:98]
	s_waitcnt vmcnt(0)
	v_add_f64 v[83:84], v[83:84], -v[93:94]
	buffer_store_dword v81, off, s[24:27], 0 offset:320 ; 4-byte Folded Spill
	s_nop 0
	buffer_store_dword v82, off, s[24:27], 0 offset:324 ; 4-byte Folded Spill
	buffer_store_dword v83, off, s[24:27], 0 offset:328 ; 4-byte Folded Spill
	buffer_store_dword v84, off, s[24:27], 0 offset:332 ; 4-byte Folded Spill
	ds_read2_b64 v[93:96], v90 offset0:18 offset1:19
	buffer_load_dword v81, off, s[24:27], 0 offset:304 ; 4-byte Folded Reload
	buffer_load_dword v82, off, s[24:27], 0 offset:308 ; 4-byte Folded Reload
	buffer_load_dword v83, off, s[24:27], 0 offset:312 ; 4-byte Folded Reload
	buffer_load_dword v84, off, s[24:27], 0 offset:316 ; 4-byte Folded Reload
	s_waitcnt lgkmcnt(0)
	v_mul_f64 v[97:98], v[95:96], v[99:100]
	v_fma_f64 v[97:98], v[93:94], v[125:126], -v[97:98]
	v_mul_f64 v[93:94], v[93:94], v[99:100]
	v_fma_f64 v[93:94], v[95:96], v[125:126], v[93:94]
	s_waitcnt vmcnt(2)
	v_add_f64 v[81:82], v[81:82], -v[97:98]
	s_waitcnt vmcnt(0)
	v_add_f64 v[83:84], v[83:84], -v[93:94]
	buffer_store_dword v81, off, s[24:27], 0 offset:304 ; 4-byte Folded Spill
	s_nop 0
	buffer_store_dword v82, off, s[24:27], 0 offset:308 ; 4-byte Folded Spill
	buffer_store_dword v83, off, s[24:27], 0 offset:312 ; 4-byte Folded Spill
	buffer_store_dword v84, off, s[24:27], 0 offset:316 ; 4-byte Folded Spill
	;; [unrolled: 19-line block ×20, first 2 shown]
	ds_read2_b64 v[93:96], v90 offset0:56 offset1:57
	buffer_load_dword v81, off, s[24:27], 0 ; 4-byte Folded Reload
	buffer_load_dword v82, off, s[24:27], 0 offset:4 ; 4-byte Folded Reload
	buffer_load_dword v83, off, s[24:27], 0 offset:8 ; 4-byte Folded Reload
	;; [unrolled: 1-line block ×3, first 2 shown]
	s_waitcnt lgkmcnt(0)
	v_mul_f64 v[97:98], v[95:96], v[99:100]
	v_fma_f64 v[97:98], v[93:94], v[125:126], -v[97:98]
	v_mul_f64 v[93:94], v[93:94], v[99:100]
	v_fma_f64 v[93:94], v[95:96], v[125:126], v[93:94]
	s_waitcnt vmcnt(2)
	v_add_f64 v[81:82], v[81:82], -v[97:98]
	s_waitcnt vmcnt(0)
	v_add_f64 v[83:84], v[83:84], -v[93:94]
	buffer_store_dword v81, off, s[24:27], 0 ; 4-byte Folded Spill
	s_nop 0
	buffer_store_dword v82, off, s[24:27], 0 offset:4 ; 4-byte Folded Spill
	buffer_store_dword v83, off, s[24:27], 0 offset:8 ; 4-byte Folded Spill
	;; [unrolled: 1-line block ×3, first 2 shown]
	ds_read2_b64 v[93:96], v90 offset0:58 offset1:59
	s_waitcnt lgkmcnt(0)
	v_mul_f64 v[97:98], v[95:96], v[99:100]
	v_fma_f64 v[97:98], v[93:94], v[125:126], -v[97:98]
	v_mul_f64 v[93:94], v[93:94], v[99:100]
	v_add_f64 v[111:112], v[111:112], -v[97:98]
	v_fma_f64 v[93:94], v[95:96], v[125:126], v[93:94]
	v_add_f64 v[113:114], v[113:114], -v[93:94]
	ds_read2_b64 v[93:96], v90 offset0:60 offset1:61
	s_waitcnt lgkmcnt(0)
	v_mul_f64 v[97:98], v[95:96], v[99:100]
	v_fma_f64 v[97:98], v[93:94], v[125:126], -v[97:98]
	v_mul_f64 v[93:94], v[93:94], v[99:100]
	v_add_f64 v[85:86], v[85:86], -v[97:98]
	v_fma_f64 v[93:94], v[95:96], v[125:126], v[93:94]
	v_add_f64 v[87:88], v[87:88], -v[93:94]
	;; [unrolled: 8-line block ×21, first 2 shown]
	ds_read2_b64 v[93:96], v90 offset0:100 offset1:101
	s_waitcnt lgkmcnt(0)
	v_mul_f64 v[97:98], v[95:96], v[99:100]
	v_fma_f64 v[97:98], v[93:94], v[125:126], -v[97:98]
	v_mul_f64 v[93:94], v[93:94], v[99:100]
	v_add_f64 v[1:2], v[1:2], -v[97:98]
	v_fma_f64 v[93:94], v[95:96], v[125:126], v[93:94]
	ds_read2_b64 v[95:98], v90 offset0:102 offset1:103
	v_add_f64 v[3:4], v[3:4], -v[93:94]
	s_waitcnt lgkmcnt(0)
	v_mul_f64 v[93:94], v[97:98], v[99:100]
	v_fma_f64 v[93:94], v[95:96], v[125:126], -v[93:94]
	v_mul_f64 v[95:96], v[95:96], v[99:100]
	v_add_f64 v[121:122], v[121:122], -v[93:94]
	v_fma_f64 v[95:96], v[97:98], v[125:126], v[95:96]
	v_mov_b32_e32 v97, v125
	v_mov_b32_e32 v98, v126
	buffer_store_dword v97, off, s[24:27], 0 offset:336 ; 4-byte Folded Spill
	s_nop 0
	buffer_store_dword v98, off, s[24:27], 0 offset:340 ; 4-byte Folded Spill
	buffer_store_dword v99, off, s[24:27], 0 offset:344 ; 4-byte Folded Spill
	;; [unrolled: 1-line block ×3, first 2 shown]
	v_add_f64 v[123:124], v[123:124], -v[95:96]
.LBB102_167:
	s_or_b64 exec, exec, s[0:1]
	s_waitcnt vmcnt(0)
	s_barrier
	buffer_load_dword v81, off, s[24:27], 0 offset:320 ; 4-byte Folded Reload
	buffer_load_dword v82, off, s[24:27], 0 offset:324 ; 4-byte Folded Reload
	;; [unrolled: 1-line block ×4, first 2 shown]
	v_lshl_add_u32 v93, v92, 4, v90
	s_cmp_lt_i32 s3, 10
	s_waitcnt vmcnt(0)
	ds_write2_b64 v93, v[81:82], v[83:84] offset1:1
	s_waitcnt lgkmcnt(0)
	s_barrier
	ds_read2_b64 v[117:120], v90 offset0:16 offset1:17
	v_mov_b32_e32 v93, 8
	s_cbranch_scc1 .LBB102_170
; %bb.168:
	v_add_u32_e32 v94, 0x90, v90
	s_mov_b32 s0, 9
	v_mov_b32_e32 v93, 8
.LBB102_169:                            ; =>This Inner Loop Header: Depth=1
	s_waitcnt lgkmcnt(0)
	v_cmp_gt_f64_e32 vcc, 0, v[117:118]
	v_xor_b32_e32 v99, 0x80000000, v118
	ds_read2_b64 v[95:98], v94 offset1:1
	v_xor_b32_e32 v101, 0x80000000, v120
	v_add_u32_e32 v94, 16, v94
	s_waitcnt lgkmcnt(0)
	v_xor_b32_e32 v103, 0x80000000, v98
	v_cndmask_b32_e32 v100, v118, v99, vcc
	v_cmp_gt_f64_e32 vcc, 0, v[119:120]
	v_mov_b32_e32 v99, v117
	v_cndmask_b32_e32 v102, v120, v101, vcc
	v_cmp_gt_f64_e32 vcc, 0, v[95:96]
	v_mov_b32_e32 v101, v119
	v_add_f64 v[99:100], v[99:100], v[101:102]
	v_xor_b32_e32 v101, 0x80000000, v96
	v_cndmask_b32_e32 v102, v96, v101, vcc
	v_cmp_gt_f64_e32 vcc, 0, v[97:98]
	v_mov_b32_e32 v101, v95
	v_cndmask_b32_e32 v104, v98, v103, vcc
	v_mov_b32_e32 v103, v97
	v_add_f64 v[101:102], v[101:102], v[103:104]
	v_cmp_lt_f64_e32 vcc, v[99:100], v[101:102]
	v_cndmask_b32_e32 v117, v117, v95, vcc
	v_mov_b32_e32 v95, s0
	s_add_i32 s0, s0, 1
	v_cndmask_b32_e32 v118, v118, v96, vcc
	v_cndmask_b32_e32 v120, v120, v98, vcc
	v_cndmask_b32_e32 v119, v119, v97, vcc
	v_cndmask_b32_e32 v93, v93, v95, vcc
	s_cmp_lg_u32 s3, s0
	s_cbranch_scc1 .LBB102_169
.LBB102_170:
	s_waitcnt lgkmcnt(0)
	v_cmp_eq_f64_e32 vcc, 0, v[117:118]
	v_cmp_eq_f64_e64 s[0:1], 0, v[119:120]
	s_and_b64 s[0:1], vcc, s[0:1]
	s_and_saveexec_b64 s[18:19], s[0:1]
	s_xor_b64 s[0:1], exec, s[18:19]
; %bb.171:
	v_cmp_ne_u32_e32 vcc, 0, v91
	v_cndmask_b32_e32 v91, 9, v91, vcc
; %bb.172:
	s_andn2_saveexec_b64 s[0:1], s[0:1]
	s_cbranch_execz .LBB102_178
; %bb.173:
	v_cmp_ngt_f64_e64 s[18:19], |v[117:118]|, |v[119:120]|
	s_and_saveexec_b64 s[20:21], s[18:19]
	s_xor_b64 s[18:19], exec, s[20:21]
	s_cbranch_execz .LBB102_175
; %bb.174:
	v_div_scale_f64 v[94:95], s[20:21], v[119:120], v[119:120], v[117:118]
	v_rcp_f64_e32 v[96:97], v[94:95]
	v_fma_f64 v[98:99], -v[94:95], v[96:97], 1.0
	v_fma_f64 v[96:97], v[96:97], v[98:99], v[96:97]
	v_div_scale_f64 v[98:99], vcc, v[117:118], v[119:120], v[117:118]
	v_fma_f64 v[100:101], -v[94:95], v[96:97], 1.0
	v_fma_f64 v[96:97], v[96:97], v[100:101], v[96:97]
	v_mul_f64 v[100:101], v[98:99], v[96:97]
	v_fma_f64 v[94:95], -v[94:95], v[100:101], v[98:99]
	v_div_fmas_f64 v[94:95], v[94:95], v[96:97], v[100:101]
	v_div_fixup_f64 v[94:95], v[94:95], v[119:120], v[117:118]
	v_fma_f64 v[96:97], v[117:118], v[94:95], v[119:120]
	v_div_scale_f64 v[98:99], s[20:21], v[96:97], v[96:97], 1.0
	v_div_scale_f64 v[104:105], vcc, 1.0, v[96:97], 1.0
	v_rcp_f64_e32 v[100:101], v[98:99]
	v_fma_f64 v[102:103], -v[98:99], v[100:101], 1.0
	v_fma_f64 v[100:101], v[100:101], v[102:103], v[100:101]
	v_fma_f64 v[102:103], -v[98:99], v[100:101], 1.0
	v_fma_f64 v[100:101], v[100:101], v[102:103], v[100:101]
	v_mul_f64 v[102:103], v[104:105], v[100:101]
	v_fma_f64 v[98:99], -v[98:99], v[102:103], v[104:105]
	v_div_fmas_f64 v[98:99], v[98:99], v[100:101], v[102:103]
	v_div_fixup_f64 v[119:120], v[98:99], v[96:97], 1.0
	v_mul_f64 v[117:118], v[94:95], v[119:120]
	v_xor_b32_e32 v120, 0x80000000, v120
.LBB102_175:
	s_andn2_saveexec_b64 s[18:19], s[18:19]
	s_cbranch_execz .LBB102_177
; %bb.176:
	v_div_scale_f64 v[94:95], s[20:21], v[117:118], v[117:118], v[119:120]
	v_rcp_f64_e32 v[96:97], v[94:95]
	v_fma_f64 v[98:99], -v[94:95], v[96:97], 1.0
	v_fma_f64 v[96:97], v[96:97], v[98:99], v[96:97]
	v_div_scale_f64 v[98:99], vcc, v[119:120], v[117:118], v[119:120]
	v_fma_f64 v[100:101], -v[94:95], v[96:97], 1.0
	v_fma_f64 v[96:97], v[96:97], v[100:101], v[96:97]
	v_mul_f64 v[100:101], v[98:99], v[96:97]
	v_fma_f64 v[94:95], -v[94:95], v[100:101], v[98:99]
	v_div_fmas_f64 v[94:95], v[94:95], v[96:97], v[100:101]
	v_div_fixup_f64 v[94:95], v[94:95], v[117:118], v[119:120]
	v_fma_f64 v[96:97], v[119:120], v[94:95], v[117:118]
	v_div_scale_f64 v[98:99], s[20:21], v[96:97], v[96:97], 1.0
	v_div_scale_f64 v[104:105], vcc, 1.0, v[96:97], 1.0
	v_rcp_f64_e32 v[100:101], v[98:99]
	v_fma_f64 v[102:103], -v[98:99], v[100:101], 1.0
	v_fma_f64 v[100:101], v[100:101], v[102:103], v[100:101]
	v_fma_f64 v[102:103], -v[98:99], v[100:101], 1.0
	v_fma_f64 v[100:101], v[100:101], v[102:103], v[100:101]
	v_mul_f64 v[102:103], v[104:105], v[100:101]
	v_fma_f64 v[98:99], -v[98:99], v[102:103], v[104:105]
	v_div_fmas_f64 v[98:99], v[98:99], v[100:101], v[102:103]
	v_div_fixup_f64 v[117:118], v[98:99], v[96:97], 1.0
	v_mul_f64 v[119:120], v[94:95], -v[117:118]
.LBB102_177:
	s_or_b64 exec, exec, s[18:19]
.LBB102_178:
	s_or_b64 exec, exec, s[0:1]
	v_cmp_ne_u32_e32 vcc, v92, v93
	s_and_saveexec_b64 s[0:1], vcc
	s_xor_b64 s[0:1], exec, s[0:1]
	s_cbranch_execz .LBB102_184
; %bb.179:
	v_cmp_eq_u32_e32 vcc, 8, v92
	s_and_saveexec_b64 s[18:19], vcc
	s_cbranch_execz .LBB102_183
; %bb.180:
	v_cmp_ne_u32_e32 vcc, 8, v93
	s_xor_b64 s[20:21], s[6:7], -1
	s_and_b64 s[22:23], s[20:21], vcc
	s_and_saveexec_b64 s[20:21], s[22:23]
	s_cbranch_execz .LBB102_182
; %bb.181:
	buffer_load_dword v81, off, s[24:27], 0 offset:416 ; 4-byte Folded Reload
	buffer_load_dword v82, off, s[24:27], 0 offset:420 ; 4-byte Folded Reload
	v_ashrrev_i32_e32 v94, 31, v93
	v_lshlrev_b64 v[94:95], 2, v[93:94]
	s_waitcnt vmcnt(1)
	v_add_co_u32_e32 v94, vcc, v81, v94
	s_waitcnt vmcnt(0)
	v_addc_co_u32_e32 v95, vcc, v82, v95, vcc
	global_load_dword v0, v[94:95], off
	global_load_dword v92, v[81:82], off offset:32
	s_waitcnt vmcnt(1)
	global_store_dword v[81:82], v0, off offset:32
	s_waitcnt vmcnt(1)
	global_store_dword v[94:95], v92, off
.LBB102_182:
	s_or_b64 exec, exec, s[20:21]
	v_mov_b32_e32 v92, v93
	v_mov_b32_e32 v0, v93
.LBB102_183:
	s_or_b64 exec, exec, s[18:19]
.LBB102_184:
	s_andn2_saveexec_b64 s[0:1], s[0:1]
	s_cbranch_execz .LBB102_186
; %bb.185:
	buffer_load_dword v81, off, s[24:27], 0 offset:304 ; 4-byte Folded Reload
	buffer_load_dword v82, off, s[24:27], 0 offset:308 ; 4-byte Folded Reload
	buffer_load_dword v83, off, s[24:27], 0 offset:312 ; 4-byte Folded Reload
	buffer_load_dword v84, off, s[24:27], 0 offset:316 ; 4-byte Folded Reload
	v_mov_b32_e32 v92, 8
	s_waitcnt vmcnt(0)
	ds_write2_b64 v90, v[81:82], v[83:84] offset0:18 offset1:19
	buffer_load_dword v81, off, s[24:27], 0 offset:288 ; 4-byte Folded Reload
	buffer_load_dword v82, off, s[24:27], 0 offset:292 ; 4-byte Folded Reload
	buffer_load_dword v83, off, s[24:27], 0 offset:296 ; 4-byte Folded Reload
	buffer_load_dword v84, off, s[24:27], 0 offset:300 ; 4-byte Folded Reload
	s_waitcnt vmcnt(0)
	ds_write2_b64 v90, v[81:82], v[83:84] offset0:20 offset1:21
	buffer_load_dword v81, off, s[24:27], 0 offset:272 ; 4-byte Folded Reload
	buffer_load_dword v82, off, s[24:27], 0 offset:276 ; 4-byte Folded Reload
	buffer_load_dword v83, off, s[24:27], 0 offset:280 ; 4-byte Folded Reload
	buffer_load_dword v84, off, s[24:27], 0 offset:284 ; 4-byte Folded Reload
	;; [unrolled: 6-line block ×18, first 2 shown]
	s_waitcnt vmcnt(0)
	ds_write2_b64 v90, v[81:82], v[83:84] offset0:54 offset1:55
	buffer_load_dword v81, off, s[24:27], 0 ; 4-byte Folded Reload
	buffer_load_dword v82, off, s[24:27], 0 offset:4 ; 4-byte Folded Reload
	buffer_load_dword v83, off, s[24:27], 0 offset:8 ; 4-byte Folded Reload
	;; [unrolled: 1-line block ×3, first 2 shown]
	s_waitcnt vmcnt(0)
	ds_write2_b64 v90, v[81:82], v[83:84] offset0:56 offset1:57
	ds_write2_b64 v90, v[111:112], v[113:114] offset0:58 offset1:59
	;; [unrolled: 1-line block ×24, first 2 shown]
.LBB102_186:
	s_or_b64 exec, exec, s[0:1]
	v_cmp_lt_i32_e32 vcc, 8, v92
	s_waitcnt vmcnt(0) lgkmcnt(0)
	s_barrier
	s_and_saveexec_b64 s[0:1], vcc
	s_cbranch_execz .LBB102_188
; %bb.187:
	buffer_load_dword v97, off, s[24:27], 0 offset:320 ; 4-byte Folded Reload
	buffer_load_dword v98, off, s[24:27], 0 offset:324 ; 4-byte Folded Reload
	;; [unrolled: 1-line block ×4, first 2 shown]
	s_waitcnt vmcnt(0)
	v_mul_f64 v[93:94], v[119:120], v[99:100]
	v_fma_f64 v[125:126], v[117:118], v[97:98], -v[93:94]
	v_mul_f64 v[93:94], v[117:118], v[99:100]
	v_fma_f64 v[99:100], v[119:120], v[97:98], v[93:94]
	ds_read2_b64 v[93:96], v90 offset0:18 offset1:19
	buffer_load_dword v81, off, s[24:27], 0 offset:304 ; 4-byte Folded Reload
	buffer_load_dword v82, off, s[24:27], 0 offset:308 ; 4-byte Folded Reload
	buffer_load_dword v83, off, s[24:27], 0 offset:312 ; 4-byte Folded Reload
	buffer_load_dword v84, off, s[24:27], 0 offset:316 ; 4-byte Folded Reload
	s_waitcnt lgkmcnt(0)
	v_mul_f64 v[97:98], v[95:96], v[99:100]
	v_fma_f64 v[97:98], v[93:94], v[125:126], -v[97:98]
	v_mul_f64 v[93:94], v[93:94], v[99:100]
	v_fma_f64 v[93:94], v[95:96], v[125:126], v[93:94]
	s_waitcnt vmcnt(2)
	v_add_f64 v[81:82], v[81:82], -v[97:98]
	s_waitcnt vmcnt(0)
	v_add_f64 v[83:84], v[83:84], -v[93:94]
	buffer_store_dword v81, off, s[24:27], 0 offset:304 ; 4-byte Folded Spill
	s_nop 0
	buffer_store_dword v82, off, s[24:27], 0 offset:308 ; 4-byte Folded Spill
	buffer_store_dword v83, off, s[24:27], 0 offset:312 ; 4-byte Folded Spill
	buffer_store_dword v84, off, s[24:27], 0 offset:316 ; 4-byte Folded Spill
	ds_read2_b64 v[93:96], v90 offset0:20 offset1:21
	buffer_load_dword v81, off, s[24:27], 0 offset:288 ; 4-byte Folded Reload
	buffer_load_dword v82, off, s[24:27], 0 offset:292 ; 4-byte Folded Reload
	buffer_load_dword v83, off, s[24:27], 0 offset:296 ; 4-byte Folded Reload
	buffer_load_dword v84, off, s[24:27], 0 offset:300 ; 4-byte Folded Reload
	s_waitcnt lgkmcnt(0)
	v_mul_f64 v[97:98], v[95:96], v[99:100]
	v_fma_f64 v[97:98], v[93:94], v[125:126], -v[97:98]
	v_mul_f64 v[93:94], v[93:94], v[99:100]
	v_fma_f64 v[93:94], v[95:96], v[125:126], v[93:94]
	s_waitcnt vmcnt(2)
	v_add_f64 v[81:82], v[81:82], -v[97:98]
	s_waitcnt vmcnt(0)
	v_add_f64 v[83:84], v[83:84], -v[93:94]
	buffer_store_dword v81, off, s[24:27], 0 offset:288 ; 4-byte Folded Spill
	s_nop 0
	buffer_store_dword v82, off, s[24:27], 0 offset:292 ; 4-byte Folded Spill
	buffer_store_dword v83, off, s[24:27], 0 offset:296 ; 4-byte Folded Spill
	buffer_store_dword v84, off, s[24:27], 0 offset:300 ; 4-byte Folded Spill
	;; [unrolled: 19-line block ×19, first 2 shown]
	ds_read2_b64 v[93:96], v90 offset0:56 offset1:57
	buffer_load_dword v81, off, s[24:27], 0 ; 4-byte Folded Reload
	buffer_load_dword v82, off, s[24:27], 0 offset:4 ; 4-byte Folded Reload
	buffer_load_dword v83, off, s[24:27], 0 offset:8 ; 4-byte Folded Reload
	;; [unrolled: 1-line block ×3, first 2 shown]
	s_waitcnt lgkmcnt(0)
	v_mul_f64 v[97:98], v[95:96], v[99:100]
	v_fma_f64 v[97:98], v[93:94], v[125:126], -v[97:98]
	v_mul_f64 v[93:94], v[93:94], v[99:100]
	v_fma_f64 v[93:94], v[95:96], v[125:126], v[93:94]
	s_waitcnt vmcnt(2)
	v_add_f64 v[81:82], v[81:82], -v[97:98]
	s_waitcnt vmcnt(0)
	v_add_f64 v[83:84], v[83:84], -v[93:94]
	buffer_store_dword v81, off, s[24:27], 0 ; 4-byte Folded Spill
	s_nop 0
	buffer_store_dword v82, off, s[24:27], 0 offset:4 ; 4-byte Folded Spill
	buffer_store_dword v83, off, s[24:27], 0 offset:8 ; 4-byte Folded Spill
	;; [unrolled: 1-line block ×3, first 2 shown]
	ds_read2_b64 v[93:96], v90 offset0:58 offset1:59
	s_waitcnt lgkmcnt(0)
	v_mul_f64 v[97:98], v[95:96], v[99:100]
	v_fma_f64 v[97:98], v[93:94], v[125:126], -v[97:98]
	v_mul_f64 v[93:94], v[93:94], v[99:100]
	v_add_f64 v[111:112], v[111:112], -v[97:98]
	v_fma_f64 v[93:94], v[95:96], v[125:126], v[93:94]
	v_add_f64 v[113:114], v[113:114], -v[93:94]
	ds_read2_b64 v[93:96], v90 offset0:60 offset1:61
	s_waitcnt lgkmcnt(0)
	v_mul_f64 v[97:98], v[95:96], v[99:100]
	v_fma_f64 v[97:98], v[93:94], v[125:126], -v[97:98]
	v_mul_f64 v[93:94], v[93:94], v[99:100]
	v_add_f64 v[85:86], v[85:86], -v[97:98]
	v_fma_f64 v[93:94], v[95:96], v[125:126], v[93:94]
	v_add_f64 v[87:88], v[87:88], -v[93:94]
	;; [unrolled: 8-line block ×21, first 2 shown]
	ds_read2_b64 v[93:96], v90 offset0:100 offset1:101
	s_waitcnt lgkmcnt(0)
	v_mul_f64 v[97:98], v[95:96], v[99:100]
	v_fma_f64 v[97:98], v[93:94], v[125:126], -v[97:98]
	v_mul_f64 v[93:94], v[93:94], v[99:100]
	v_add_f64 v[1:2], v[1:2], -v[97:98]
	v_fma_f64 v[93:94], v[95:96], v[125:126], v[93:94]
	ds_read2_b64 v[95:98], v90 offset0:102 offset1:103
	v_add_f64 v[3:4], v[3:4], -v[93:94]
	s_waitcnt lgkmcnt(0)
	v_mul_f64 v[93:94], v[97:98], v[99:100]
	v_fma_f64 v[93:94], v[95:96], v[125:126], -v[93:94]
	v_mul_f64 v[95:96], v[95:96], v[99:100]
	v_add_f64 v[121:122], v[121:122], -v[93:94]
	v_fma_f64 v[95:96], v[97:98], v[125:126], v[95:96]
	v_mov_b32_e32 v97, v125
	v_mov_b32_e32 v98, v126
	buffer_store_dword v97, off, s[24:27], 0 offset:320 ; 4-byte Folded Spill
	s_nop 0
	buffer_store_dword v98, off, s[24:27], 0 offset:324 ; 4-byte Folded Spill
	buffer_store_dword v99, off, s[24:27], 0 offset:328 ; 4-byte Folded Spill
	;; [unrolled: 1-line block ×3, first 2 shown]
	v_add_f64 v[123:124], v[123:124], -v[95:96]
.LBB102_188:
	s_or_b64 exec, exec, s[0:1]
	s_waitcnt vmcnt(0)
	s_barrier
	buffer_load_dword v81, off, s[24:27], 0 offset:304 ; 4-byte Folded Reload
	buffer_load_dword v82, off, s[24:27], 0 offset:308 ; 4-byte Folded Reload
	;; [unrolled: 1-line block ×4, first 2 shown]
	v_lshl_add_u32 v93, v92, 4, v90
	s_cmp_lt_i32 s3, 11
	s_waitcnt vmcnt(0)
	ds_write2_b64 v93, v[81:82], v[83:84] offset1:1
	s_waitcnt lgkmcnt(0)
	s_barrier
	ds_read2_b64 v[117:120], v90 offset0:18 offset1:19
	v_mov_b32_e32 v93, 9
	s_cbranch_scc1 .LBB102_191
; %bb.189:
	v_add_u32_e32 v94, 0xa0, v90
	s_mov_b32 s0, 10
	v_mov_b32_e32 v93, 9
.LBB102_190:                            ; =>This Inner Loop Header: Depth=1
	s_waitcnt lgkmcnt(0)
	v_cmp_gt_f64_e32 vcc, 0, v[117:118]
	v_xor_b32_e32 v99, 0x80000000, v118
	ds_read2_b64 v[95:98], v94 offset1:1
	v_xor_b32_e32 v101, 0x80000000, v120
	v_add_u32_e32 v94, 16, v94
	s_waitcnt lgkmcnt(0)
	v_xor_b32_e32 v103, 0x80000000, v98
	v_cndmask_b32_e32 v100, v118, v99, vcc
	v_cmp_gt_f64_e32 vcc, 0, v[119:120]
	v_mov_b32_e32 v99, v117
	v_cndmask_b32_e32 v102, v120, v101, vcc
	v_cmp_gt_f64_e32 vcc, 0, v[95:96]
	v_mov_b32_e32 v101, v119
	v_add_f64 v[99:100], v[99:100], v[101:102]
	v_xor_b32_e32 v101, 0x80000000, v96
	v_cndmask_b32_e32 v102, v96, v101, vcc
	v_cmp_gt_f64_e32 vcc, 0, v[97:98]
	v_mov_b32_e32 v101, v95
	v_cndmask_b32_e32 v104, v98, v103, vcc
	v_mov_b32_e32 v103, v97
	v_add_f64 v[101:102], v[101:102], v[103:104]
	v_cmp_lt_f64_e32 vcc, v[99:100], v[101:102]
	v_cndmask_b32_e32 v117, v117, v95, vcc
	v_mov_b32_e32 v95, s0
	s_add_i32 s0, s0, 1
	v_cndmask_b32_e32 v118, v118, v96, vcc
	v_cndmask_b32_e32 v120, v120, v98, vcc
	;; [unrolled: 1-line block ×4, first 2 shown]
	s_cmp_lg_u32 s3, s0
	s_cbranch_scc1 .LBB102_190
.LBB102_191:
	s_waitcnt lgkmcnt(0)
	v_cmp_eq_f64_e32 vcc, 0, v[117:118]
	v_cmp_eq_f64_e64 s[0:1], 0, v[119:120]
	s_and_b64 s[0:1], vcc, s[0:1]
	s_and_saveexec_b64 s[18:19], s[0:1]
	s_xor_b64 s[0:1], exec, s[18:19]
; %bb.192:
	v_cmp_ne_u32_e32 vcc, 0, v91
	v_cndmask_b32_e32 v91, 10, v91, vcc
; %bb.193:
	s_andn2_saveexec_b64 s[0:1], s[0:1]
	s_cbranch_execz .LBB102_199
; %bb.194:
	v_cmp_ngt_f64_e64 s[18:19], |v[117:118]|, |v[119:120]|
	s_and_saveexec_b64 s[20:21], s[18:19]
	s_xor_b64 s[18:19], exec, s[20:21]
	s_cbranch_execz .LBB102_196
; %bb.195:
	v_div_scale_f64 v[94:95], s[20:21], v[119:120], v[119:120], v[117:118]
	v_rcp_f64_e32 v[96:97], v[94:95]
	v_fma_f64 v[98:99], -v[94:95], v[96:97], 1.0
	v_fma_f64 v[96:97], v[96:97], v[98:99], v[96:97]
	v_div_scale_f64 v[98:99], vcc, v[117:118], v[119:120], v[117:118]
	v_fma_f64 v[100:101], -v[94:95], v[96:97], 1.0
	v_fma_f64 v[96:97], v[96:97], v[100:101], v[96:97]
	v_mul_f64 v[100:101], v[98:99], v[96:97]
	v_fma_f64 v[94:95], -v[94:95], v[100:101], v[98:99]
	v_div_fmas_f64 v[94:95], v[94:95], v[96:97], v[100:101]
	v_div_fixup_f64 v[94:95], v[94:95], v[119:120], v[117:118]
	v_fma_f64 v[96:97], v[117:118], v[94:95], v[119:120]
	v_div_scale_f64 v[98:99], s[20:21], v[96:97], v[96:97], 1.0
	v_div_scale_f64 v[104:105], vcc, 1.0, v[96:97], 1.0
	v_rcp_f64_e32 v[100:101], v[98:99]
	v_fma_f64 v[102:103], -v[98:99], v[100:101], 1.0
	v_fma_f64 v[100:101], v[100:101], v[102:103], v[100:101]
	v_fma_f64 v[102:103], -v[98:99], v[100:101], 1.0
	v_fma_f64 v[100:101], v[100:101], v[102:103], v[100:101]
	v_mul_f64 v[102:103], v[104:105], v[100:101]
	v_fma_f64 v[98:99], -v[98:99], v[102:103], v[104:105]
	v_div_fmas_f64 v[98:99], v[98:99], v[100:101], v[102:103]
	v_div_fixup_f64 v[119:120], v[98:99], v[96:97], 1.0
	v_mul_f64 v[117:118], v[94:95], v[119:120]
	v_xor_b32_e32 v120, 0x80000000, v120
.LBB102_196:
	s_andn2_saveexec_b64 s[18:19], s[18:19]
	s_cbranch_execz .LBB102_198
; %bb.197:
	v_div_scale_f64 v[94:95], s[20:21], v[117:118], v[117:118], v[119:120]
	v_rcp_f64_e32 v[96:97], v[94:95]
	v_fma_f64 v[98:99], -v[94:95], v[96:97], 1.0
	v_fma_f64 v[96:97], v[96:97], v[98:99], v[96:97]
	v_div_scale_f64 v[98:99], vcc, v[119:120], v[117:118], v[119:120]
	v_fma_f64 v[100:101], -v[94:95], v[96:97], 1.0
	v_fma_f64 v[96:97], v[96:97], v[100:101], v[96:97]
	v_mul_f64 v[100:101], v[98:99], v[96:97]
	v_fma_f64 v[94:95], -v[94:95], v[100:101], v[98:99]
	v_div_fmas_f64 v[94:95], v[94:95], v[96:97], v[100:101]
	v_div_fixup_f64 v[94:95], v[94:95], v[117:118], v[119:120]
	v_fma_f64 v[96:97], v[119:120], v[94:95], v[117:118]
	v_div_scale_f64 v[98:99], s[20:21], v[96:97], v[96:97], 1.0
	v_div_scale_f64 v[104:105], vcc, 1.0, v[96:97], 1.0
	v_rcp_f64_e32 v[100:101], v[98:99]
	v_fma_f64 v[102:103], -v[98:99], v[100:101], 1.0
	v_fma_f64 v[100:101], v[100:101], v[102:103], v[100:101]
	v_fma_f64 v[102:103], -v[98:99], v[100:101], 1.0
	v_fma_f64 v[100:101], v[100:101], v[102:103], v[100:101]
	v_mul_f64 v[102:103], v[104:105], v[100:101]
	v_fma_f64 v[98:99], -v[98:99], v[102:103], v[104:105]
	v_div_fmas_f64 v[98:99], v[98:99], v[100:101], v[102:103]
	v_div_fixup_f64 v[117:118], v[98:99], v[96:97], 1.0
	v_mul_f64 v[119:120], v[94:95], -v[117:118]
.LBB102_198:
	s_or_b64 exec, exec, s[18:19]
.LBB102_199:
	s_or_b64 exec, exec, s[0:1]
	v_cmp_ne_u32_e32 vcc, v92, v93
	s_and_saveexec_b64 s[0:1], vcc
	s_xor_b64 s[0:1], exec, s[0:1]
	s_cbranch_execz .LBB102_205
; %bb.200:
	v_cmp_eq_u32_e32 vcc, 9, v92
	s_and_saveexec_b64 s[18:19], vcc
	s_cbranch_execz .LBB102_204
; %bb.201:
	v_cmp_ne_u32_e32 vcc, 9, v93
	s_xor_b64 s[20:21], s[6:7], -1
	s_and_b64 s[22:23], s[20:21], vcc
	s_and_saveexec_b64 s[20:21], s[22:23]
	s_cbranch_execz .LBB102_203
; %bb.202:
	buffer_load_dword v81, off, s[24:27], 0 offset:416 ; 4-byte Folded Reload
	buffer_load_dword v82, off, s[24:27], 0 offset:420 ; 4-byte Folded Reload
	v_ashrrev_i32_e32 v94, 31, v93
	v_lshlrev_b64 v[94:95], 2, v[93:94]
	s_waitcnt vmcnt(1)
	v_add_co_u32_e32 v94, vcc, v81, v94
	s_waitcnt vmcnt(0)
	v_addc_co_u32_e32 v95, vcc, v82, v95, vcc
	global_load_dword v0, v[94:95], off
	global_load_dword v92, v[81:82], off offset:36
	s_waitcnt vmcnt(1)
	global_store_dword v[81:82], v0, off offset:36
	s_waitcnt vmcnt(1)
	global_store_dword v[94:95], v92, off
.LBB102_203:
	s_or_b64 exec, exec, s[20:21]
	v_mov_b32_e32 v92, v93
	v_mov_b32_e32 v0, v93
.LBB102_204:
	s_or_b64 exec, exec, s[18:19]
.LBB102_205:
	s_andn2_saveexec_b64 s[0:1], s[0:1]
	s_cbranch_execz .LBB102_207
; %bb.206:
	buffer_load_dword v81, off, s[24:27], 0 offset:288 ; 4-byte Folded Reload
	buffer_load_dword v82, off, s[24:27], 0 offset:292 ; 4-byte Folded Reload
	;; [unrolled: 1-line block ×4, first 2 shown]
	v_mov_b32_e32 v92, 9
	s_waitcnt vmcnt(0)
	ds_write2_b64 v90, v[81:82], v[83:84] offset0:20 offset1:21
	buffer_load_dword v81, off, s[24:27], 0 offset:272 ; 4-byte Folded Reload
	buffer_load_dword v82, off, s[24:27], 0 offset:276 ; 4-byte Folded Reload
	buffer_load_dword v83, off, s[24:27], 0 offset:280 ; 4-byte Folded Reload
	buffer_load_dword v84, off, s[24:27], 0 offset:284 ; 4-byte Folded Reload
	s_waitcnt vmcnt(0)
	ds_write2_b64 v90, v[81:82], v[83:84] offset0:22 offset1:23
	buffer_load_dword v81, off, s[24:27], 0 offset:256 ; 4-byte Folded Reload
	buffer_load_dword v82, off, s[24:27], 0 offset:260 ; 4-byte Folded Reload
	buffer_load_dword v83, off, s[24:27], 0 offset:264 ; 4-byte Folded Reload
	buffer_load_dword v84, off, s[24:27], 0 offset:268 ; 4-byte Folded Reload
	;; [unrolled: 6-line block ×17, first 2 shown]
	s_waitcnt vmcnt(0)
	ds_write2_b64 v90, v[81:82], v[83:84] offset0:54 offset1:55
	buffer_load_dword v81, off, s[24:27], 0 ; 4-byte Folded Reload
	buffer_load_dword v82, off, s[24:27], 0 offset:4 ; 4-byte Folded Reload
	buffer_load_dword v83, off, s[24:27], 0 offset:8 ; 4-byte Folded Reload
	;; [unrolled: 1-line block ×3, first 2 shown]
	s_waitcnt vmcnt(0)
	ds_write2_b64 v90, v[81:82], v[83:84] offset0:56 offset1:57
	ds_write2_b64 v90, v[111:112], v[113:114] offset0:58 offset1:59
	;; [unrolled: 1-line block ×24, first 2 shown]
.LBB102_207:
	s_or_b64 exec, exec, s[0:1]
	v_cmp_lt_i32_e32 vcc, 9, v92
	s_waitcnt vmcnt(0) lgkmcnt(0)
	s_barrier
	s_and_saveexec_b64 s[0:1], vcc
	s_cbranch_execz .LBB102_209
; %bb.208:
	buffer_load_dword v97, off, s[24:27], 0 offset:304 ; 4-byte Folded Reload
	buffer_load_dword v98, off, s[24:27], 0 offset:308 ; 4-byte Folded Reload
	;; [unrolled: 1-line block ×4, first 2 shown]
	s_waitcnt vmcnt(0)
	v_mul_f64 v[93:94], v[119:120], v[99:100]
	v_fma_f64 v[125:126], v[117:118], v[97:98], -v[93:94]
	v_mul_f64 v[93:94], v[117:118], v[99:100]
	v_fma_f64 v[99:100], v[119:120], v[97:98], v[93:94]
	ds_read2_b64 v[93:96], v90 offset0:20 offset1:21
	buffer_load_dword v81, off, s[24:27], 0 offset:288 ; 4-byte Folded Reload
	buffer_load_dword v82, off, s[24:27], 0 offset:292 ; 4-byte Folded Reload
	buffer_load_dword v83, off, s[24:27], 0 offset:296 ; 4-byte Folded Reload
	buffer_load_dword v84, off, s[24:27], 0 offset:300 ; 4-byte Folded Reload
	s_waitcnt lgkmcnt(0)
	v_mul_f64 v[97:98], v[95:96], v[99:100]
	v_fma_f64 v[97:98], v[93:94], v[125:126], -v[97:98]
	v_mul_f64 v[93:94], v[93:94], v[99:100]
	v_fma_f64 v[93:94], v[95:96], v[125:126], v[93:94]
	s_waitcnt vmcnt(2)
	v_add_f64 v[81:82], v[81:82], -v[97:98]
	s_waitcnt vmcnt(0)
	v_add_f64 v[83:84], v[83:84], -v[93:94]
	buffer_store_dword v81, off, s[24:27], 0 offset:288 ; 4-byte Folded Spill
	s_nop 0
	buffer_store_dword v82, off, s[24:27], 0 offset:292 ; 4-byte Folded Spill
	buffer_store_dword v83, off, s[24:27], 0 offset:296 ; 4-byte Folded Spill
	buffer_store_dword v84, off, s[24:27], 0 offset:300 ; 4-byte Folded Spill
	ds_read2_b64 v[93:96], v90 offset0:22 offset1:23
	buffer_load_dword v81, off, s[24:27], 0 offset:272 ; 4-byte Folded Reload
	buffer_load_dword v82, off, s[24:27], 0 offset:276 ; 4-byte Folded Reload
	buffer_load_dword v83, off, s[24:27], 0 offset:280 ; 4-byte Folded Reload
	buffer_load_dword v84, off, s[24:27], 0 offset:284 ; 4-byte Folded Reload
	s_waitcnt lgkmcnt(0)
	v_mul_f64 v[97:98], v[95:96], v[99:100]
	v_fma_f64 v[97:98], v[93:94], v[125:126], -v[97:98]
	v_mul_f64 v[93:94], v[93:94], v[99:100]
	v_fma_f64 v[93:94], v[95:96], v[125:126], v[93:94]
	s_waitcnt vmcnt(2)
	v_add_f64 v[81:82], v[81:82], -v[97:98]
	s_waitcnt vmcnt(0)
	v_add_f64 v[83:84], v[83:84], -v[93:94]
	buffer_store_dword v81, off, s[24:27], 0 offset:272 ; 4-byte Folded Spill
	s_nop 0
	buffer_store_dword v82, off, s[24:27], 0 offset:276 ; 4-byte Folded Spill
	buffer_store_dword v83, off, s[24:27], 0 offset:280 ; 4-byte Folded Spill
	buffer_store_dword v84, off, s[24:27], 0 offset:284 ; 4-byte Folded Spill
	;; [unrolled: 19-line block ×18, first 2 shown]
	ds_read2_b64 v[93:96], v90 offset0:56 offset1:57
	buffer_load_dword v81, off, s[24:27], 0 ; 4-byte Folded Reload
	buffer_load_dword v82, off, s[24:27], 0 offset:4 ; 4-byte Folded Reload
	buffer_load_dword v83, off, s[24:27], 0 offset:8 ; 4-byte Folded Reload
	;; [unrolled: 1-line block ×3, first 2 shown]
	s_waitcnt lgkmcnt(0)
	v_mul_f64 v[97:98], v[95:96], v[99:100]
	v_fma_f64 v[97:98], v[93:94], v[125:126], -v[97:98]
	v_mul_f64 v[93:94], v[93:94], v[99:100]
	v_fma_f64 v[93:94], v[95:96], v[125:126], v[93:94]
	s_waitcnt vmcnt(2)
	v_add_f64 v[81:82], v[81:82], -v[97:98]
	s_waitcnt vmcnt(0)
	v_add_f64 v[83:84], v[83:84], -v[93:94]
	buffer_store_dword v81, off, s[24:27], 0 ; 4-byte Folded Spill
	s_nop 0
	buffer_store_dword v82, off, s[24:27], 0 offset:4 ; 4-byte Folded Spill
	buffer_store_dword v83, off, s[24:27], 0 offset:8 ; 4-byte Folded Spill
	;; [unrolled: 1-line block ×3, first 2 shown]
	ds_read2_b64 v[93:96], v90 offset0:58 offset1:59
	s_waitcnt lgkmcnt(0)
	v_mul_f64 v[97:98], v[95:96], v[99:100]
	v_fma_f64 v[97:98], v[93:94], v[125:126], -v[97:98]
	v_mul_f64 v[93:94], v[93:94], v[99:100]
	v_add_f64 v[111:112], v[111:112], -v[97:98]
	v_fma_f64 v[93:94], v[95:96], v[125:126], v[93:94]
	v_add_f64 v[113:114], v[113:114], -v[93:94]
	ds_read2_b64 v[93:96], v90 offset0:60 offset1:61
	s_waitcnt lgkmcnt(0)
	v_mul_f64 v[97:98], v[95:96], v[99:100]
	v_fma_f64 v[97:98], v[93:94], v[125:126], -v[97:98]
	v_mul_f64 v[93:94], v[93:94], v[99:100]
	v_add_f64 v[85:86], v[85:86], -v[97:98]
	v_fma_f64 v[93:94], v[95:96], v[125:126], v[93:94]
	v_add_f64 v[87:88], v[87:88], -v[93:94]
	;; [unrolled: 8-line block ×22, first 2 shown]
	ds_read2_b64 v[93:96], v90 offset0:102 offset1:103
	s_waitcnt lgkmcnt(0)
	v_mul_f64 v[97:98], v[95:96], v[99:100]
	v_fma_f64 v[97:98], v[93:94], v[125:126], -v[97:98]
	v_mul_f64 v[93:94], v[93:94], v[99:100]
	v_add_f64 v[121:122], v[121:122], -v[97:98]
	v_fma_f64 v[93:94], v[95:96], v[125:126], v[93:94]
	v_mov_b32_e32 v97, v125
	v_mov_b32_e32 v98, v126
	buffer_store_dword v97, off, s[24:27], 0 offset:304 ; 4-byte Folded Spill
	s_nop 0
	buffer_store_dword v98, off, s[24:27], 0 offset:308 ; 4-byte Folded Spill
	buffer_store_dword v99, off, s[24:27], 0 offset:312 ; 4-byte Folded Spill
	;; [unrolled: 1-line block ×3, first 2 shown]
	v_add_f64 v[123:124], v[123:124], -v[93:94]
.LBB102_209:
	s_or_b64 exec, exec, s[0:1]
	s_waitcnt vmcnt(0)
	s_barrier
	buffer_load_dword v81, off, s[24:27], 0 offset:288 ; 4-byte Folded Reload
	buffer_load_dword v82, off, s[24:27], 0 offset:292 ; 4-byte Folded Reload
	;; [unrolled: 1-line block ×4, first 2 shown]
	v_lshl_add_u32 v93, v92, 4, v90
	s_cmp_lt_i32 s3, 12
	s_waitcnt vmcnt(0)
	ds_write2_b64 v93, v[81:82], v[83:84] offset1:1
	s_waitcnt lgkmcnt(0)
	s_barrier
	ds_read2_b64 v[117:120], v90 offset0:20 offset1:21
	v_mov_b32_e32 v93, 10
	s_cbranch_scc1 .LBB102_212
; %bb.210:
	v_add_u32_e32 v94, 0xb0, v90
	s_mov_b32 s0, 11
	v_mov_b32_e32 v93, 10
.LBB102_211:                            ; =>This Inner Loop Header: Depth=1
	s_waitcnt lgkmcnt(0)
	v_cmp_gt_f64_e32 vcc, 0, v[117:118]
	v_xor_b32_e32 v99, 0x80000000, v118
	ds_read2_b64 v[95:98], v94 offset1:1
	v_xor_b32_e32 v101, 0x80000000, v120
	v_add_u32_e32 v94, 16, v94
	s_waitcnt lgkmcnt(0)
	v_xor_b32_e32 v103, 0x80000000, v98
	v_cndmask_b32_e32 v100, v118, v99, vcc
	v_cmp_gt_f64_e32 vcc, 0, v[119:120]
	v_mov_b32_e32 v99, v117
	v_cndmask_b32_e32 v102, v120, v101, vcc
	v_cmp_gt_f64_e32 vcc, 0, v[95:96]
	v_mov_b32_e32 v101, v119
	v_add_f64 v[99:100], v[99:100], v[101:102]
	v_xor_b32_e32 v101, 0x80000000, v96
	v_cndmask_b32_e32 v102, v96, v101, vcc
	v_cmp_gt_f64_e32 vcc, 0, v[97:98]
	v_mov_b32_e32 v101, v95
	v_cndmask_b32_e32 v104, v98, v103, vcc
	v_mov_b32_e32 v103, v97
	v_add_f64 v[101:102], v[101:102], v[103:104]
	v_cmp_lt_f64_e32 vcc, v[99:100], v[101:102]
	v_cndmask_b32_e32 v117, v117, v95, vcc
	v_mov_b32_e32 v95, s0
	s_add_i32 s0, s0, 1
	v_cndmask_b32_e32 v118, v118, v96, vcc
	v_cndmask_b32_e32 v120, v120, v98, vcc
	;; [unrolled: 1-line block ×4, first 2 shown]
	s_cmp_lg_u32 s3, s0
	s_cbranch_scc1 .LBB102_211
.LBB102_212:
	s_waitcnt lgkmcnt(0)
	v_cmp_eq_f64_e32 vcc, 0, v[117:118]
	v_cmp_eq_f64_e64 s[0:1], 0, v[119:120]
	s_and_b64 s[0:1], vcc, s[0:1]
	s_and_saveexec_b64 s[18:19], s[0:1]
	s_xor_b64 s[0:1], exec, s[18:19]
; %bb.213:
	v_cmp_ne_u32_e32 vcc, 0, v91
	v_cndmask_b32_e32 v91, 11, v91, vcc
; %bb.214:
	s_andn2_saveexec_b64 s[0:1], s[0:1]
	s_cbranch_execz .LBB102_220
; %bb.215:
	v_cmp_ngt_f64_e64 s[18:19], |v[117:118]|, |v[119:120]|
	s_and_saveexec_b64 s[20:21], s[18:19]
	s_xor_b64 s[18:19], exec, s[20:21]
	s_cbranch_execz .LBB102_217
; %bb.216:
	v_div_scale_f64 v[94:95], s[20:21], v[119:120], v[119:120], v[117:118]
	v_rcp_f64_e32 v[96:97], v[94:95]
	v_fma_f64 v[98:99], -v[94:95], v[96:97], 1.0
	v_fma_f64 v[96:97], v[96:97], v[98:99], v[96:97]
	v_div_scale_f64 v[98:99], vcc, v[117:118], v[119:120], v[117:118]
	v_fma_f64 v[100:101], -v[94:95], v[96:97], 1.0
	v_fma_f64 v[96:97], v[96:97], v[100:101], v[96:97]
	v_mul_f64 v[100:101], v[98:99], v[96:97]
	v_fma_f64 v[94:95], -v[94:95], v[100:101], v[98:99]
	v_div_fmas_f64 v[94:95], v[94:95], v[96:97], v[100:101]
	v_div_fixup_f64 v[94:95], v[94:95], v[119:120], v[117:118]
	v_fma_f64 v[96:97], v[117:118], v[94:95], v[119:120]
	v_div_scale_f64 v[98:99], s[20:21], v[96:97], v[96:97], 1.0
	v_div_scale_f64 v[104:105], vcc, 1.0, v[96:97], 1.0
	v_rcp_f64_e32 v[100:101], v[98:99]
	v_fma_f64 v[102:103], -v[98:99], v[100:101], 1.0
	v_fma_f64 v[100:101], v[100:101], v[102:103], v[100:101]
	v_fma_f64 v[102:103], -v[98:99], v[100:101], 1.0
	v_fma_f64 v[100:101], v[100:101], v[102:103], v[100:101]
	v_mul_f64 v[102:103], v[104:105], v[100:101]
	v_fma_f64 v[98:99], -v[98:99], v[102:103], v[104:105]
	v_div_fmas_f64 v[98:99], v[98:99], v[100:101], v[102:103]
	v_div_fixup_f64 v[119:120], v[98:99], v[96:97], 1.0
	v_mul_f64 v[117:118], v[94:95], v[119:120]
	v_xor_b32_e32 v120, 0x80000000, v120
.LBB102_217:
	s_andn2_saveexec_b64 s[18:19], s[18:19]
	s_cbranch_execz .LBB102_219
; %bb.218:
	v_div_scale_f64 v[94:95], s[20:21], v[117:118], v[117:118], v[119:120]
	v_rcp_f64_e32 v[96:97], v[94:95]
	v_fma_f64 v[98:99], -v[94:95], v[96:97], 1.0
	v_fma_f64 v[96:97], v[96:97], v[98:99], v[96:97]
	v_div_scale_f64 v[98:99], vcc, v[119:120], v[117:118], v[119:120]
	v_fma_f64 v[100:101], -v[94:95], v[96:97], 1.0
	v_fma_f64 v[96:97], v[96:97], v[100:101], v[96:97]
	v_mul_f64 v[100:101], v[98:99], v[96:97]
	v_fma_f64 v[94:95], -v[94:95], v[100:101], v[98:99]
	v_div_fmas_f64 v[94:95], v[94:95], v[96:97], v[100:101]
	v_div_fixup_f64 v[94:95], v[94:95], v[117:118], v[119:120]
	v_fma_f64 v[96:97], v[119:120], v[94:95], v[117:118]
	v_div_scale_f64 v[98:99], s[20:21], v[96:97], v[96:97], 1.0
	v_div_scale_f64 v[104:105], vcc, 1.0, v[96:97], 1.0
	v_rcp_f64_e32 v[100:101], v[98:99]
	v_fma_f64 v[102:103], -v[98:99], v[100:101], 1.0
	v_fma_f64 v[100:101], v[100:101], v[102:103], v[100:101]
	v_fma_f64 v[102:103], -v[98:99], v[100:101], 1.0
	v_fma_f64 v[100:101], v[100:101], v[102:103], v[100:101]
	v_mul_f64 v[102:103], v[104:105], v[100:101]
	v_fma_f64 v[98:99], -v[98:99], v[102:103], v[104:105]
	v_div_fmas_f64 v[98:99], v[98:99], v[100:101], v[102:103]
	v_div_fixup_f64 v[117:118], v[98:99], v[96:97], 1.0
	v_mul_f64 v[119:120], v[94:95], -v[117:118]
.LBB102_219:
	s_or_b64 exec, exec, s[18:19]
.LBB102_220:
	s_or_b64 exec, exec, s[0:1]
	v_cmp_ne_u32_e32 vcc, v92, v93
	s_and_saveexec_b64 s[0:1], vcc
	s_xor_b64 s[0:1], exec, s[0:1]
	s_cbranch_execz .LBB102_226
; %bb.221:
	v_cmp_eq_u32_e32 vcc, 10, v92
	s_and_saveexec_b64 s[18:19], vcc
	s_cbranch_execz .LBB102_225
; %bb.222:
	v_cmp_ne_u32_e32 vcc, 10, v93
	s_xor_b64 s[20:21], s[6:7], -1
	s_and_b64 s[22:23], s[20:21], vcc
	s_and_saveexec_b64 s[20:21], s[22:23]
	s_cbranch_execz .LBB102_224
; %bb.223:
	buffer_load_dword v81, off, s[24:27], 0 offset:416 ; 4-byte Folded Reload
	buffer_load_dword v82, off, s[24:27], 0 offset:420 ; 4-byte Folded Reload
	v_ashrrev_i32_e32 v94, 31, v93
	v_lshlrev_b64 v[94:95], 2, v[93:94]
	s_waitcnt vmcnt(1)
	v_add_co_u32_e32 v94, vcc, v81, v94
	s_waitcnt vmcnt(0)
	v_addc_co_u32_e32 v95, vcc, v82, v95, vcc
	global_load_dword v0, v[94:95], off
	global_load_dword v92, v[81:82], off offset:40
	s_waitcnt vmcnt(1)
	global_store_dword v[81:82], v0, off offset:40
	s_waitcnt vmcnt(1)
	global_store_dword v[94:95], v92, off
.LBB102_224:
	s_or_b64 exec, exec, s[20:21]
	v_mov_b32_e32 v92, v93
	v_mov_b32_e32 v0, v93
.LBB102_225:
	s_or_b64 exec, exec, s[18:19]
.LBB102_226:
	s_andn2_saveexec_b64 s[0:1], s[0:1]
	s_cbranch_execz .LBB102_228
; %bb.227:
	buffer_load_dword v81, off, s[24:27], 0 offset:272 ; 4-byte Folded Reload
	buffer_load_dword v82, off, s[24:27], 0 offset:276 ; 4-byte Folded Reload
	;; [unrolled: 1-line block ×4, first 2 shown]
	v_mov_b32_e32 v92, 10
	s_waitcnt vmcnt(0)
	ds_write2_b64 v90, v[81:82], v[83:84] offset0:22 offset1:23
	buffer_load_dword v81, off, s[24:27], 0 offset:256 ; 4-byte Folded Reload
	buffer_load_dword v82, off, s[24:27], 0 offset:260 ; 4-byte Folded Reload
	buffer_load_dword v83, off, s[24:27], 0 offset:264 ; 4-byte Folded Reload
	buffer_load_dword v84, off, s[24:27], 0 offset:268 ; 4-byte Folded Reload
	s_waitcnt vmcnt(0)
	ds_write2_b64 v90, v[81:82], v[83:84] offset0:24 offset1:25
	buffer_load_dword v81, off, s[24:27], 0 offset:240 ; 4-byte Folded Reload
	buffer_load_dword v82, off, s[24:27], 0 offset:244 ; 4-byte Folded Reload
	buffer_load_dword v83, off, s[24:27], 0 offset:248 ; 4-byte Folded Reload
	buffer_load_dword v84, off, s[24:27], 0 offset:252 ; 4-byte Folded Reload
	;; [unrolled: 6-line block ×16, first 2 shown]
	s_waitcnt vmcnt(0)
	ds_write2_b64 v90, v[81:82], v[83:84] offset0:54 offset1:55
	buffer_load_dword v81, off, s[24:27], 0 ; 4-byte Folded Reload
	buffer_load_dword v82, off, s[24:27], 0 offset:4 ; 4-byte Folded Reload
	buffer_load_dword v83, off, s[24:27], 0 offset:8 ; 4-byte Folded Reload
	;; [unrolled: 1-line block ×3, first 2 shown]
	s_waitcnt vmcnt(0)
	ds_write2_b64 v90, v[81:82], v[83:84] offset0:56 offset1:57
	ds_write2_b64 v90, v[111:112], v[113:114] offset0:58 offset1:59
	;; [unrolled: 1-line block ×24, first 2 shown]
.LBB102_228:
	s_or_b64 exec, exec, s[0:1]
	v_cmp_lt_i32_e32 vcc, 10, v92
	s_waitcnt vmcnt(0) lgkmcnt(0)
	s_barrier
	s_and_saveexec_b64 s[0:1], vcc
	s_cbranch_execz .LBB102_230
; %bb.229:
	buffer_load_dword v97, off, s[24:27], 0 offset:288 ; 4-byte Folded Reload
	buffer_load_dword v98, off, s[24:27], 0 offset:292 ; 4-byte Folded Reload
	;; [unrolled: 1-line block ×4, first 2 shown]
	s_waitcnt vmcnt(0)
	v_mul_f64 v[93:94], v[119:120], v[99:100]
	v_fma_f64 v[125:126], v[117:118], v[97:98], -v[93:94]
	v_mul_f64 v[93:94], v[117:118], v[99:100]
	v_fma_f64 v[99:100], v[119:120], v[97:98], v[93:94]
	ds_read2_b64 v[93:96], v90 offset0:22 offset1:23
	buffer_load_dword v81, off, s[24:27], 0 offset:272 ; 4-byte Folded Reload
	buffer_load_dword v82, off, s[24:27], 0 offset:276 ; 4-byte Folded Reload
	buffer_load_dword v83, off, s[24:27], 0 offset:280 ; 4-byte Folded Reload
	buffer_load_dword v84, off, s[24:27], 0 offset:284 ; 4-byte Folded Reload
	s_waitcnt lgkmcnt(0)
	v_mul_f64 v[97:98], v[95:96], v[99:100]
	v_fma_f64 v[97:98], v[93:94], v[125:126], -v[97:98]
	v_mul_f64 v[93:94], v[93:94], v[99:100]
	v_fma_f64 v[93:94], v[95:96], v[125:126], v[93:94]
	s_waitcnt vmcnt(2)
	v_add_f64 v[81:82], v[81:82], -v[97:98]
	s_waitcnt vmcnt(0)
	v_add_f64 v[83:84], v[83:84], -v[93:94]
	buffer_store_dword v81, off, s[24:27], 0 offset:272 ; 4-byte Folded Spill
	s_nop 0
	buffer_store_dword v82, off, s[24:27], 0 offset:276 ; 4-byte Folded Spill
	buffer_store_dword v83, off, s[24:27], 0 offset:280 ; 4-byte Folded Spill
	buffer_store_dword v84, off, s[24:27], 0 offset:284 ; 4-byte Folded Spill
	ds_read2_b64 v[93:96], v90 offset0:24 offset1:25
	buffer_load_dword v81, off, s[24:27], 0 offset:256 ; 4-byte Folded Reload
	buffer_load_dword v82, off, s[24:27], 0 offset:260 ; 4-byte Folded Reload
	buffer_load_dword v83, off, s[24:27], 0 offset:264 ; 4-byte Folded Reload
	buffer_load_dword v84, off, s[24:27], 0 offset:268 ; 4-byte Folded Reload
	s_waitcnt lgkmcnt(0)
	v_mul_f64 v[97:98], v[95:96], v[99:100]
	v_fma_f64 v[97:98], v[93:94], v[125:126], -v[97:98]
	v_mul_f64 v[93:94], v[93:94], v[99:100]
	v_fma_f64 v[93:94], v[95:96], v[125:126], v[93:94]
	s_waitcnt vmcnt(2)
	v_add_f64 v[81:82], v[81:82], -v[97:98]
	s_waitcnt vmcnt(0)
	v_add_f64 v[83:84], v[83:84], -v[93:94]
	buffer_store_dword v81, off, s[24:27], 0 offset:256 ; 4-byte Folded Spill
	s_nop 0
	buffer_store_dword v82, off, s[24:27], 0 offset:260 ; 4-byte Folded Spill
	buffer_store_dword v83, off, s[24:27], 0 offset:264 ; 4-byte Folded Spill
	buffer_store_dword v84, off, s[24:27], 0 offset:268 ; 4-byte Folded Spill
	;; [unrolled: 19-line block ×17, first 2 shown]
	ds_read2_b64 v[93:96], v90 offset0:56 offset1:57
	buffer_load_dword v81, off, s[24:27], 0 ; 4-byte Folded Reload
	buffer_load_dword v82, off, s[24:27], 0 offset:4 ; 4-byte Folded Reload
	buffer_load_dword v83, off, s[24:27], 0 offset:8 ; 4-byte Folded Reload
	;; [unrolled: 1-line block ×3, first 2 shown]
	s_waitcnt lgkmcnt(0)
	v_mul_f64 v[97:98], v[95:96], v[99:100]
	v_fma_f64 v[97:98], v[93:94], v[125:126], -v[97:98]
	v_mul_f64 v[93:94], v[93:94], v[99:100]
	v_fma_f64 v[93:94], v[95:96], v[125:126], v[93:94]
	s_waitcnt vmcnt(2)
	v_add_f64 v[81:82], v[81:82], -v[97:98]
	s_waitcnt vmcnt(0)
	v_add_f64 v[83:84], v[83:84], -v[93:94]
	buffer_store_dword v81, off, s[24:27], 0 ; 4-byte Folded Spill
	s_nop 0
	buffer_store_dword v82, off, s[24:27], 0 offset:4 ; 4-byte Folded Spill
	buffer_store_dword v83, off, s[24:27], 0 offset:8 ; 4-byte Folded Spill
	buffer_store_dword v84, off, s[24:27], 0 offset:12 ; 4-byte Folded Spill
	ds_read2_b64 v[93:96], v90 offset0:58 offset1:59
	s_waitcnt lgkmcnt(0)
	v_mul_f64 v[97:98], v[95:96], v[99:100]
	v_fma_f64 v[97:98], v[93:94], v[125:126], -v[97:98]
	v_mul_f64 v[93:94], v[93:94], v[99:100]
	v_add_f64 v[111:112], v[111:112], -v[97:98]
	v_fma_f64 v[93:94], v[95:96], v[125:126], v[93:94]
	v_add_f64 v[113:114], v[113:114], -v[93:94]
	ds_read2_b64 v[93:96], v90 offset0:60 offset1:61
	s_waitcnt lgkmcnt(0)
	v_mul_f64 v[97:98], v[95:96], v[99:100]
	v_fma_f64 v[97:98], v[93:94], v[125:126], -v[97:98]
	v_mul_f64 v[93:94], v[93:94], v[99:100]
	v_add_f64 v[85:86], v[85:86], -v[97:98]
	v_fma_f64 v[93:94], v[95:96], v[125:126], v[93:94]
	v_add_f64 v[87:88], v[87:88], -v[93:94]
	;; [unrolled: 8-line block ×22, first 2 shown]
	ds_read2_b64 v[93:96], v90 offset0:102 offset1:103
	s_waitcnt lgkmcnt(0)
	v_mul_f64 v[97:98], v[95:96], v[99:100]
	v_fma_f64 v[97:98], v[93:94], v[125:126], -v[97:98]
	v_mul_f64 v[93:94], v[93:94], v[99:100]
	v_add_f64 v[121:122], v[121:122], -v[97:98]
	v_fma_f64 v[93:94], v[95:96], v[125:126], v[93:94]
	v_mov_b32_e32 v97, v125
	v_mov_b32_e32 v98, v126
	buffer_store_dword v97, off, s[24:27], 0 offset:288 ; 4-byte Folded Spill
	s_nop 0
	buffer_store_dword v98, off, s[24:27], 0 offset:292 ; 4-byte Folded Spill
	buffer_store_dword v99, off, s[24:27], 0 offset:296 ; 4-byte Folded Spill
	buffer_store_dword v100, off, s[24:27], 0 offset:300 ; 4-byte Folded Spill
	v_add_f64 v[123:124], v[123:124], -v[93:94]
.LBB102_230:
	s_or_b64 exec, exec, s[0:1]
	s_waitcnt vmcnt(0)
	s_barrier
	buffer_load_dword v81, off, s[24:27], 0 offset:272 ; 4-byte Folded Reload
	buffer_load_dword v82, off, s[24:27], 0 offset:276 ; 4-byte Folded Reload
	;; [unrolled: 1-line block ×4, first 2 shown]
	v_lshl_add_u32 v93, v92, 4, v90
	s_cmp_lt_i32 s3, 13
	s_waitcnt vmcnt(0)
	ds_write2_b64 v93, v[81:82], v[83:84] offset1:1
	s_waitcnt lgkmcnt(0)
	s_barrier
	ds_read2_b64 v[117:120], v90 offset0:22 offset1:23
	v_mov_b32_e32 v93, 11
	s_cbranch_scc1 .LBB102_233
; %bb.231:
	v_add_u32_e32 v94, 0xc0, v90
	s_mov_b32 s0, 12
	v_mov_b32_e32 v93, 11
.LBB102_232:                            ; =>This Inner Loop Header: Depth=1
	s_waitcnt lgkmcnt(0)
	v_cmp_gt_f64_e32 vcc, 0, v[117:118]
	v_xor_b32_e32 v99, 0x80000000, v118
	ds_read2_b64 v[95:98], v94 offset1:1
	v_xor_b32_e32 v101, 0x80000000, v120
	v_add_u32_e32 v94, 16, v94
	s_waitcnt lgkmcnt(0)
	v_xor_b32_e32 v103, 0x80000000, v98
	v_cndmask_b32_e32 v100, v118, v99, vcc
	v_cmp_gt_f64_e32 vcc, 0, v[119:120]
	v_mov_b32_e32 v99, v117
	v_cndmask_b32_e32 v102, v120, v101, vcc
	v_cmp_gt_f64_e32 vcc, 0, v[95:96]
	v_mov_b32_e32 v101, v119
	v_add_f64 v[99:100], v[99:100], v[101:102]
	v_xor_b32_e32 v101, 0x80000000, v96
	v_cndmask_b32_e32 v102, v96, v101, vcc
	v_cmp_gt_f64_e32 vcc, 0, v[97:98]
	v_mov_b32_e32 v101, v95
	v_cndmask_b32_e32 v104, v98, v103, vcc
	v_mov_b32_e32 v103, v97
	v_add_f64 v[101:102], v[101:102], v[103:104]
	v_cmp_lt_f64_e32 vcc, v[99:100], v[101:102]
	v_cndmask_b32_e32 v117, v117, v95, vcc
	v_mov_b32_e32 v95, s0
	s_add_i32 s0, s0, 1
	v_cndmask_b32_e32 v118, v118, v96, vcc
	v_cndmask_b32_e32 v120, v120, v98, vcc
	;; [unrolled: 1-line block ×4, first 2 shown]
	s_cmp_lg_u32 s3, s0
	s_cbranch_scc1 .LBB102_232
.LBB102_233:
	s_waitcnt lgkmcnt(0)
	v_cmp_eq_f64_e32 vcc, 0, v[117:118]
	v_cmp_eq_f64_e64 s[0:1], 0, v[119:120]
	s_and_b64 s[0:1], vcc, s[0:1]
	s_and_saveexec_b64 s[18:19], s[0:1]
	s_xor_b64 s[0:1], exec, s[18:19]
; %bb.234:
	v_cmp_ne_u32_e32 vcc, 0, v91
	v_cndmask_b32_e32 v91, 12, v91, vcc
; %bb.235:
	s_andn2_saveexec_b64 s[0:1], s[0:1]
	s_cbranch_execz .LBB102_241
; %bb.236:
	v_cmp_ngt_f64_e64 s[18:19], |v[117:118]|, |v[119:120]|
	s_and_saveexec_b64 s[20:21], s[18:19]
	s_xor_b64 s[18:19], exec, s[20:21]
	s_cbranch_execz .LBB102_238
; %bb.237:
	v_div_scale_f64 v[94:95], s[20:21], v[119:120], v[119:120], v[117:118]
	v_rcp_f64_e32 v[96:97], v[94:95]
	v_fma_f64 v[98:99], -v[94:95], v[96:97], 1.0
	v_fma_f64 v[96:97], v[96:97], v[98:99], v[96:97]
	v_div_scale_f64 v[98:99], vcc, v[117:118], v[119:120], v[117:118]
	v_fma_f64 v[100:101], -v[94:95], v[96:97], 1.0
	v_fma_f64 v[96:97], v[96:97], v[100:101], v[96:97]
	v_mul_f64 v[100:101], v[98:99], v[96:97]
	v_fma_f64 v[94:95], -v[94:95], v[100:101], v[98:99]
	v_div_fmas_f64 v[94:95], v[94:95], v[96:97], v[100:101]
	v_div_fixup_f64 v[94:95], v[94:95], v[119:120], v[117:118]
	v_fma_f64 v[96:97], v[117:118], v[94:95], v[119:120]
	v_div_scale_f64 v[98:99], s[20:21], v[96:97], v[96:97], 1.0
	v_div_scale_f64 v[104:105], vcc, 1.0, v[96:97], 1.0
	v_rcp_f64_e32 v[100:101], v[98:99]
	v_fma_f64 v[102:103], -v[98:99], v[100:101], 1.0
	v_fma_f64 v[100:101], v[100:101], v[102:103], v[100:101]
	v_fma_f64 v[102:103], -v[98:99], v[100:101], 1.0
	v_fma_f64 v[100:101], v[100:101], v[102:103], v[100:101]
	v_mul_f64 v[102:103], v[104:105], v[100:101]
	v_fma_f64 v[98:99], -v[98:99], v[102:103], v[104:105]
	v_div_fmas_f64 v[98:99], v[98:99], v[100:101], v[102:103]
	v_div_fixup_f64 v[119:120], v[98:99], v[96:97], 1.0
	v_mul_f64 v[117:118], v[94:95], v[119:120]
	v_xor_b32_e32 v120, 0x80000000, v120
.LBB102_238:
	s_andn2_saveexec_b64 s[18:19], s[18:19]
	s_cbranch_execz .LBB102_240
; %bb.239:
	v_div_scale_f64 v[94:95], s[20:21], v[117:118], v[117:118], v[119:120]
	v_rcp_f64_e32 v[96:97], v[94:95]
	v_fma_f64 v[98:99], -v[94:95], v[96:97], 1.0
	v_fma_f64 v[96:97], v[96:97], v[98:99], v[96:97]
	v_div_scale_f64 v[98:99], vcc, v[119:120], v[117:118], v[119:120]
	v_fma_f64 v[100:101], -v[94:95], v[96:97], 1.0
	v_fma_f64 v[96:97], v[96:97], v[100:101], v[96:97]
	v_mul_f64 v[100:101], v[98:99], v[96:97]
	v_fma_f64 v[94:95], -v[94:95], v[100:101], v[98:99]
	v_div_fmas_f64 v[94:95], v[94:95], v[96:97], v[100:101]
	v_div_fixup_f64 v[94:95], v[94:95], v[117:118], v[119:120]
	v_fma_f64 v[96:97], v[119:120], v[94:95], v[117:118]
	v_div_scale_f64 v[98:99], s[20:21], v[96:97], v[96:97], 1.0
	v_div_scale_f64 v[104:105], vcc, 1.0, v[96:97], 1.0
	v_rcp_f64_e32 v[100:101], v[98:99]
	v_fma_f64 v[102:103], -v[98:99], v[100:101], 1.0
	v_fma_f64 v[100:101], v[100:101], v[102:103], v[100:101]
	v_fma_f64 v[102:103], -v[98:99], v[100:101], 1.0
	v_fma_f64 v[100:101], v[100:101], v[102:103], v[100:101]
	v_mul_f64 v[102:103], v[104:105], v[100:101]
	v_fma_f64 v[98:99], -v[98:99], v[102:103], v[104:105]
	v_div_fmas_f64 v[98:99], v[98:99], v[100:101], v[102:103]
	v_div_fixup_f64 v[117:118], v[98:99], v[96:97], 1.0
	v_mul_f64 v[119:120], v[94:95], -v[117:118]
.LBB102_240:
	s_or_b64 exec, exec, s[18:19]
.LBB102_241:
	s_or_b64 exec, exec, s[0:1]
	v_cmp_ne_u32_e32 vcc, v92, v93
	s_and_saveexec_b64 s[0:1], vcc
	s_xor_b64 s[0:1], exec, s[0:1]
	s_cbranch_execz .LBB102_247
; %bb.242:
	v_cmp_eq_u32_e32 vcc, 11, v92
	s_and_saveexec_b64 s[18:19], vcc
	s_cbranch_execz .LBB102_246
; %bb.243:
	v_cmp_ne_u32_e32 vcc, 11, v93
	s_xor_b64 s[20:21], s[6:7], -1
	s_and_b64 s[22:23], s[20:21], vcc
	s_and_saveexec_b64 s[20:21], s[22:23]
	s_cbranch_execz .LBB102_245
; %bb.244:
	buffer_load_dword v81, off, s[24:27], 0 offset:416 ; 4-byte Folded Reload
	buffer_load_dword v82, off, s[24:27], 0 offset:420 ; 4-byte Folded Reload
	v_ashrrev_i32_e32 v94, 31, v93
	v_lshlrev_b64 v[94:95], 2, v[93:94]
	s_waitcnt vmcnt(1)
	v_add_co_u32_e32 v94, vcc, v81, v94
	s_waitcnt vmcnt(0)
	v_addc_co_u32_e32 v95, vcc, v82, v95, vcc
	global_load_dword v0, v[94:95], off
	global_load_dword v92, v[81:82], off offset:44
	s_waitcnt vmcnt(1)
	global_store_dword v[81:82], v0, off offset:44
	s_waitcnt vmcnt(1)
	global_store_dword v[94:95], v92, off
.LBB102_245:
	s_or_b64 exec, exec, s[20:21]
	v_mov_b32_e32 v92, v93
	v_mov_b32_e32 v0, v93
.LBB102_246:
	s_or_b64 exec, exec, s[18:19]
.LBB102_247:
	s_andn2_saveexec_b64 s[0:1], s[0:1]
	s_cbranch_execz .LBB102_249
; %bb.248:
	buffer_load_dword v81, off, s[24:27], 0 offset:256 ; 4-byte Folded Reload
	buffer_load_dword v82, off, s[24:27], 0 offset:260 ; 4-byte Folded Reload
	;; [unrolled: 1-line block ×4, first 2 shown]
	v_mov_b32_e32 v92, 11
	s_waitcnt vmcnt(0)
	ds_write2_b64 v90, v[81:82], v[83:84] offset0:24 offset1:25
	buffer_load_dword v81, off, s[24:27], 0 offset:240 ; 4-byte Folded Reload
	buffer_load_dword v82, off, s[24:27], 0 offset:244 ; 4-byte Folded Reload
	buffer_load_dword v83, off, s[24:27], 0 offset:248 ; 4-byte Folded Reload
	buffer_load_dword v84, off, s[24:27], 0 offset:252 ; 4-byte Folded Reload
	s_waitcnt vmcnt(0)
	ds_write2_b64 v90, v[81:82], v[83:84] offset0:26 offset1:27
	buffer_load_dword v81, off, s[24:27], 0 offset:224 ; 4-byte Folded Reload
	buffer_load_dword v82, off, s[24:27], 0 offset:228 ; 4-byte Folded Reload
	buffer_load_dword v83, off, s[24:27], 0 offset:232 ; 4-byte Folded Reload
	buffer_load_dword v84, off, s[24:27], 0 offset:236 ; 4-byte Folded Reload
	;; [unrolled: 6-line block ×15, first 2 shown]
	s_waitcnt vmcnt(0)
	ds_write2_b64 v90, v[81:82], v[83:84] offset0:54 offset1:55
	buffer_load_dword v81, off, s[24:27], 0 ; 4-byte Folded Reload
	buffer_load_dword v82, off, s[24:27], 0 offset:4 ; 4-byte Folded Reload
	buffer_load_dword v83, off, s[24:27], 0 offset:8 ; 4-byte Folded Reload
	;; [unrolled: 1-line block ×3, first 2 shown]
	s_waitcnt vmcnt(0)
	ds_write2_b64 v90, v[81:82], v[83:84] offset0:56 offset1:57
	ds_write2_b64 v90, v[111:112], v[113:114] offset0:58 offset1:59
	;; [unrolled: 1-line block ×24, first 2 shown]
.LBB102_249:
	s_or_b64 exec, exec, s[0:1]
	v_cmp_lt_i32_e32 vcc, 11, v92
	s_waitcnt vmcnt(0) lgkmcnt(0)
	s_barrier
	s_and_saveexec_b64 s[0:1], vcc
	s_cbranch_execz .LBB102_251
; %bb.250:
	buffer_load_dword v97, off, s[24:27], 0 offset:272 ; 4-byte Folded Reload
	buffer_load_dword v98, off, s[24:27], 0 offset:276 ; 4-byte Folded Reload
	;; [unrolled: 1-line block ×4, first 2 shown]
	s_waitcnt vmcnt(0)
	v_mul_f64 v[93:94], v[119:120], v[99:100]
	v_fma_f64 v[125:126], v[117:118], v[97:98], -v[93:94]
	v_mul_f64 v[93:94], v[117:118], v[99:100]
	v_fma_f64 v[99:100], v[119:120], v[97:98], v[93:94]
	ds_read2_b64 v[93:96], v90 offset0:24 offset1:25
	buffer_load_dword v81, off, s[24:27], 0 offset:256 ; 4-byte Folded Reload
	buffer_load_dword v82, off, s[24:27], 0 offset:260 ; 4-byte Folded Reload
	buffer_load_dword v83, off, s[24:27], 0 offset:264 ; 4-byte Folded Reload
	buffer_load_dword v84, off, s[24:27], 0 offset:268 ; 4-byte Folded Reload
	s_waitcnt lgkmcnt(0)
	v_mul_f64 v[97:98], v[95:96], v[99:100]
	v_fma_f64 v[97:98], v[93:94], v[125:126], -v[97:98]
	v_mul_f64 v[93:94], v[93:94], v[99:100]
	v_fma_f64 v[93:94], v[95:96], v[125:126], v[93:94]
	s_waitcnt vmcnt(2)
	v_add_f64 v[81:82], v[81:82], -v[97:98]
	s_waitcnt vmcnt(0)
	v_add_f64 v[83:84], v[83:84], -v[93:94]
	buffer_store_dword v81, off, s[24:27], 0 offset:256 ; 4-byte Folded Spill
	s_nop 0
	buffer_store_dword v82, off, s[24:27], 0 offset:260 ; 4-byte Folded Spill
	buffer_store_dword v83, off, s[24:27], 0 offset:264 ; 4-byte Folded Spill
	buffer_store_dword v84, off, s[24:27], 0 offset:268 ; 4-byte Folded Spill
	ds_read2_b64 v[93:96], v90 offset0:26 offset1:27
	buffer_load_dword v81, off, s[24:27], 0 offset:240 ; 4-byte Folded Reload
	buffer_load_dword v82, off, s[24:27], 0 offset:244 ; 4-byte Folded Reload
	buffer_load_dword v83, off, s[24:27], 0 offset:248 ; 4-byte Folded Reload
	buffer_load_dword v84, off, s[24:27], 0 offset:252 ; 4-byte Folded Reload
	s_waitcnt lgkmcnt(0)
	v_mul_f64 v[97:98], v[95:96], v[99:100]
	v_fma_f64 v[97:98], v[93:94], v[125:126], -v[97:98]
	v_mul_f64 v[93:94], v[93:94], v[99:100]
	v_fma_f64 v[93:94], v[95:96], v[125:126], v[93:94]
	s_waitcnt vmcnt(2)
	v_add_f64 v[81:82], v[81:82], -v[97:98]
	s_waitcnt vmcnt(0)
	v_add_f64 v[83:84], v[83:84], -v[93:94]
	buffer_store_dword v81, off, s[24:27], 0 offset:240 ; 4-byte Folded Spill
	s_nop 0
	buffer_store_dword v82, off, s[24:27], 0 offset:244 ; 4-byte Folded Spill
	buffer_store_dword v83, off, s[24:27], 0 offset:248 ; 4-byte Folded Spill
	buffer_store_dword v84, off, s[24:27], 0 offset:252 ; 4-byte Folded Spill
	;; [unrolled: 19-line block ×16, first 2 shown]
	ds_read2_b64 v[93:96], v90 offset0:56 offset1:57
	buffer_load_dword v81, off, s[24:27], 0 ; 4-byte Folded Reload
	buffer_load_dword v82, off, s[24:27], 0 offset:4 ; 4-byte Folded Reload
	buffer_load_dword v83, off, s[24:27], 0 offset:8 ; 4-byte Folded Reload
	;; [unrolled: 1-line block ×3, first 2 shown]
	s_waitcnt lgkmcnt(0)
	v_mul_f64 v[97:98], v[95:96], v[99:100]
	v_fma_f64 v[97:98], v[93:94], v[125:126], -v[97:98]
	v_mul_f64 v[93:94], v[93:94], v[99:100]
	v_fma_f64 v[93:94], v[95:96], v[125:126], v[93:94]
	s_waitcnt vmcnt(2)
	v_add_f64 v[81:82], v[81:82], -v[97:98]
	s_waitcnt vmcnt(0)
	v_add_f64 v[83:84], v[83:84], -v[93:94]
	buffer_store_dword v81, off, s[24:27], 0 ; 4-byte Folded Spill
	s_nop 0
	buffer_store_dword v82, off, s[24:27], 0 offset:4 ; 4-byte Folded Spill
	buffer_store_dword v83, off, s[24:27], 0 offset:8 ; 4-byte Folded Spill
	;; [unrolled: 1-line block ×3, first 2 shown]
	ds_read2_b64 v[93:96], v90 offset0:58 offset1:59
	s_waitcnt lgkmcnt(0)
	v_mul_f64 v[97:98], v[95:96], v[99:100]
	v_fma_f64 v[97:98], v[93:94], v[125:126], -v[97:98]
	v_mul_f64 v[93:94], v[93:94], v[99:100]
	v_add_f64 v[111:112], v[111:112], -v[97:98]
	v_fma_f64 v[93:94], v[95:96], v[125:126], v[93:94]
	v_add_f64 v[113:114], v[113:114], -v[93:94]
	ds_read2_b64 v[93:96], v90 offset0:60 offset1:61
	s_waitcnt lgkmcnt(0)
	v_mul_f64 v[97:98], v[95:96], v[99:100]
	v_fma_f64 v[97:98], v[93:94], v[125:126], -v[97:98]
	v_mul_f64 v[93:94], v[93:94], v[99:100]
	v_add_f64 v[85:86], v[85:86], -v[97:98]
	v_fma_f64 v[93:94], v[95:96], v[125:126], v[93:94]
	v_add_f64 v[87:88], v[87:88], -v[93:94]
	;; [unrolled: 8-line block ×22, first 2 shown]
	ds_read2_b64 v[93:96], v90 offset0:102 offset1:103
	s_waitcnt lgkmcnt(0)
	v_mul_f64 v[97:98], v[95:96], v[99:100]
	v_fma_f64 v[97:98], v[93:94], v[125:126], -v[97:98]
	v_mul_f64 v[93:94], v[93:94], v[99:100]
	v_add_f64 v[121:122], v[121:122], -v[97:98]
	v_fma_f64 v[93:94], v[95:96], v[125:126], v[93:94]
	v_mov_b32_e32 v97, v125
	v_mov_b32_e32 v98, v126
	buffer_store_dword v97, off, s[24:27], 0 offset:272 ; 4-byte Folded Spill
	s_nop 0
	buffer_store_dword v98, off, s[24:27], 0 offset:276 ; 4-byte Folded Spill
	buffer_store_dword v99, off, s[24:27], 0 offset:280 ; 4-byte Folded Spill
	buffer_store_dword v100, off, s[24:27], 0 offset:284 ; 4-byte Folded Spill
	v_add_f64 v[123:124], v[123:124], -v[93:94]
.LBB102_251:
	s_or_b64 exec, exec, s[0:1]
	s_waitcnt vmcnt(0)
	s_barrier
	buffer_load_dword v81, off, s[24:27], 0 offset:256 ; 4-byte Folded Reload
	buffer_load_dword v82, off, s[24:27], 0 offset:260 ; 4-byte Folded Reload
	;; [unrolled: 1-line block ×4, first 2 shown]
	v_lshl_add_u32 v93, v92, 4, v90
	s_cmp_lt_i32 s3, 14
	s_waitcnt vmcnt(0)
	ds_write2_b64 v93, v[81:82], v[83:84] offset1:1
	s_waitcnt lgkmcnt(0)
	s_barrier
	ds_read2_b64 v[117:120], v90 offset0:24 offset1:25
	v_mov_b32_e32 v93, 12
	s_cbranch_scc1 .LBB102_254
; %bb.252:
	v_add_u32_e32 v94, 0xd0, v90
	s_mov_b32 s0, 13
	v_mov_b32_e32 v93, 12
.LBB102_253:                            ; =>This Inner Loop Header: Depth=1
	s_waitcnt lgkmcnt(0)
	v_cmp_gt_f64_e32 vcc, 0, v[117:118]
	v_xor_b32_e32 v99, 0x80000000, v118
	ds_read2_b64 v[95:98], v94 offset1:1
	v_xor_b32_e32 v101, 0x80000000, v120
	v_add_u32_e32 v94, 16, v94
	s_waitcnt lgkmcnt(0)
	v_xor_b32_e32 v103, 0x80000000, v98
	v_cndmask_b32_e32 v100, v118, v99, vcc
	v_cmp_gt_f64_e32 vcc, 0, v[119:120]
	v_mov_b32_e32 v99, v117
	v_cndmask_b32_e32 v102, v120, v101, vcc
	v_cmp_gt_f64_e32 vcc, 0, v[95:96]
	v_mov_b32_e32 v101, v119
	v_add_f64 v[99:100], v[99:100], v[101:102]
	v_xor_b32_e32 v101, 0x80000000, v96
	v_cndmask_b32_e32 v102, v96, v101, vcc
	v_cmp_gt_f64_e32 vcc, 0, v[97:98]
	v_mov_b32_e32 v101, v95
	v_cndmask_b32_e32 v104, v98, v103, vcc
	v_mov_b32_e32 v103, v97
	v_add_f64 v[101:102], v[101:102], v[103:104]
	v_cmp_lt_f64_e32 vcc, v[99:100], v[101:102]
	v_cndmask_b32_e32 v117, v117, v95, vcc
	v_mov_b32_e32 v95, s0
	s_add_i32 s0, s0, 1
	v_cndmask_b32_e32 v118, v118, v96, vcc
	v_cndmask_b32_e32 v120, v120, v98, vcc
	;; [unrolled: 1-line block ×4, first 2 shown]
	s_cmp_lg_u32 s3, s0
	s_cbranch_scc1 .LBB102_253
.LBB102_254:
	s_waitcnt lgkmcnt(0)
	v_cmp_eq_f64_e32 vcc, 0, v[117:118]
	v_cmp_eq_f64_e64 s[0:1], 0, v[119:120]
	s_and_b64 s[0:1], vcc, s[0:1]
	s_and_saveexec_b64 s[18:19], s[0:1]
	s_xor_b64 s[0:1], exec, s[18:19]
; %bb.255:
	v_cmp_ne_u32_e32 vcc, 0, v91
	v_cndmask_b32_e32 v91, 13, v91, vcc
; %bb.256:
	s_andn2_saveexec_b64 s[0:1], s[0:1]
	s_cbranch_execz .LBB102_262
; %bb.257:
	v_cmp_ngt_f64_e64 s[18:19], |v[117:118]|, |v[119:120]|
	s_and_saveexec_b64 s[20:21], s[18:19]
	s_xor_b64 s[18:19], exec, s[20:21]
	s_cbranch_execz .LBB102_259
; %bb.258:
	v_div_scale_f64 v[94:95], s[20:21], v[119:120], v[119:120], v[117:118]
	v_rcp_f64_e32 v[96:97], v[94:95]
	v_fma_f64 v[98:99], -v[94:95], v[96:97], 1.0
	v_fma_f64 v[96:97], v[96:97], v[98:99], v[96:97]
	v_div_scale_f64 v[98:99], vcc, v[117:118], v[119:120], v[117:118]
	v_fma_f64 v[100:101], -v[94:95], v[96:97], 1.0
	v_fma_f64 v[96:97], v[96:97], v[100:101], v[96:97]
	v_mul_f64 v[100:101], v[98:99], v[96:97]
	v_fma_f64 v[94:95], -v[94:95], v[100:101], v[98:99]
	v_div_fmas_f64 v[94:95], v[94:95], v[96:97], v[100:101]
	v_div_fixup_f64 v[94:95], v[94:95], v[119:120], v[117:118]
	v_fma_f64 v[96:97], v[117:118], v[94:95], v[119:120]
	v_div_scale_f64 v[98:99], s[20:21], v[96:97], v[96:97], 1.0
	v_div_scale_f64 v[104:105], vcc, 1.0, v[96:97], 1.0
	v_rcp_f64_e32 v[100:101], v[98:99]
	v_fma_f64 v[102:103], -v[98:99], v[100:101], 1.0
	v_fma_f64 v[100:101], v[100:101], v[102:103], v[100:101]
	v_fma_f64 v[102:103], -v[98:99], v[100:101], 1.0
	v_fma_f64 v[100:101], v[100:101], v[102:103], v[100:101]
	v_mul_f64 v[102:103], v[104:105], v[100:101]
	v_fma_f64 v[98:99], -v[98:99], v[102:103], v[104:105]
	v_div_fmas_f64 v[98:99], v[98:99], v[100:101], v[102:103]
	v_div_fixup_f64 v[119:120], v[98:99], v[96:97], 1.0
	v_mul_f64 v[117:118], v[94:95], v[119:120]
	v_xor_b32_e32 v120, 0x80000000, v120
.LBB102_259:
	s_andn2_saveexec_b64 s[18:19], s[18:19]
	s_cbranch_execz .LBB102_261
; %bb.260:
	v_div_scale_f64 v[94:95], s[20:21], v[117:118], v[117:118], v[119:120]
	v_rcp_f64_e32 v[96:97], v[94:95]
	v_fma_f64 v[98:99], -v[94:95], v[96:97], 1.0
	v_fma_f64 v[96:97], v[96:97], v[98:99], v[96:97]
	v_div_scale_f64 v[98:99], vcc, v[119:120], v[117:118], v[119:120]
	v_fma_f64 v[100:101], -v[94:95], v[96:97], 1.0
	v_fma_f64 v[96:97], v[96:97], v[100:101], v[96:97]
	v_mul_f64 v[100:101], v[98:99], v[96:97]
	v_fma_f64 v[94:95], -v[94:95], v[100:101], v[98:99]
	v_div_fmas_f64 v[94:95], v[94:95], v[96:97], v[100:101]
	v_div_fixup_f64 v[94:95], v[94:95], v[117:118], v[119:120]
	v_fma_f64 v[96:97], v[119:120], v[94:95], v[117:118]
	v_div_scale_f64 v[98:99], s[20:21], v[96:97], v[96:97], 1.0
	v_div_scale_f64 v[104:105], vcc, 1.0, v[96:97], 1.0
	v_rcp_f64_e32 v[100:101], v[98:99]
	v_fma_f64 v[102:103], -v[98:99], v[100:101], 1.0
	v_fma_f64 v[100:101], v[100:101], v[102:103], v[100:101]
	v_fma_f64 v[102:103], -v[98:99], v[100:101], 1.0
	v_fma_f64 v[100:101], v[100:101], v[102:103], v[100:101]
	v_mul_f64 v[102:103], v[104:105], v[100:101]
	v_fma_f64 v[98:99], -v[98:99], v[102:103], v[104:105]
	v_div_fmas_f64 v[98:99], v[98:99], v[100:101], v[102:103]
	v_div_fixup_f64 v[117:118], v[98:99], v[96:97], 1.0
	v_mul_f64 v[119:120], v[94:95], -v[117:118]
.LBB102_261:
	s_or_b64 exec, exec, s[18:19]
.LBB102_262:
	s_or_b64 exec, exec, s[0:1]
	v_cmp_ne_u32_e32 vcc, v92, v93
	s_and_saveexec_b64 s[0:1], vcc
	s_xor_b64 s[0:1], exec, s[0:1]
	s_cbranch_execz .LBB102_268
; %bb.263:
	v_cmp_eq_u32_e32 vcc, 12, v92
	s_and_saveexec_b64 s[18:19], vcc
	s_cbranch_execz .LBB102_267
; %bb.264:
	v_cmp_ne_u32_e32 vcc, 12, v93
	s_xor_b64 s[20:21], s[6:7], -1
	s_and_b64 s[22:23], s[20:21], vcc
	s_and_saveexec_b64 s[20:21], s[22:23]
	s_cbranch_execz .LBB102_266
; %bb.265:
	buffer_load_dword v81, off, s[24:27], 0 offset:416 ; 4-byte Folded Reload
	buffer_load_dword v82, off, s[24:27], 0 offset:420 ; 4-byte Folded Reload
	v_ashrrev_i32_e32 v94, 31, v93
	v_lshlrev_b64 v[94:95], 2, v[93:94]
	s_waitcnt vmcnt(1)
	v_add_co_u32_e32 v94, vcc, v81, v94
	s_waitcnt vmcnt(0)
	v_addc_co_u32_e32 v95, vcc, v82, v95, vcc
	global_load_dword v0, v[94:95], off
	global_load_dword v92, v[81:82], off offset:48
	s_waitcnt vmcnt(1)
	global_store_dword v[81:82], v0, off offset:48
	s_waitcnt vmcnt(1)
	global_store_dword v[94:95], v92, off
.LBB102_266:
	s_or_b64 exec, exec, s[20:21]
	v_mov_b32_e32 v92, v93
	v_mov_b32_e32 v0, v93
.LBB102_267:
	s_or_b64 exec, exec, s[18:19]
.LBB102_268:
	s_andn2_saveexec_b64 s[0:1], s[0:1]
	s_cbranch_execz .LBB102_270
; %bb.269:
	buffer_load_dword v81, off, s[24:27], 0 offset:240 ; 4-byte Folded Reload
	buffer_load_dword v82, off, s[24:27], 0 offset:244 ; 4-byte Folded Reload
	;; [unrolled: 1-line block ×4, first 2 shown]
	v_mov_b32_e32 v92, 12
	s_waitcnt vmcnt(0)
	ds_write2_b64 v90, v[81:82], v[83:84] offset0:26 offset1:27
	buffer_load_dword v81, off, s[24:27], 0 offset:224 ; 4-byte Folded Reload
	buffer_load_dword v82, off, s[24:27], 0 offset:228 ; 4-byte Folded Reload
	buffer_load_dword v83, off, s[24:27], 0 offset:232 ; 4-byte Folded Reload
	buffer_load_dword v84, off, s[24:27], 0 offset:236 ; 4-byte Folded Reload
	s_waitcnt vmcnt(0)
	ds_write2_b64 v90, v[81:82], v[83:84] offset0:28 offset1:29
	buffer_load_dword v81, off, s[24:27], 0 offset:208 ; 4-byte Folded Reload
	buffer_load_dword v82, off, s[24:27], 0 offset:212 ; 4-byte Folded Reload
	buffer_load_dword v83, off, s[24:27], 0 offset:216 ; 4-byte Folded Reload
	buffer_load_dword v84, off, s[24:27], 0 offset:220 ; 4-byte Folded Reload
	;; [unrolled: 6-line block ×14, first 2 shown]
	s_waitcnt vmcnt(0)
	ds_write2_b64 v90, v[81:82], v[83:84] offset0:54 offset1:55
	buffer_load_dword v81, off, s[24:27], 0 ; 4-byte Folded Reload
	buffer_load_dword v82, off, s[24:27], 0 offset:4 ; 4-byte Folded Reload
	buffer_load_dword v83, off, s[24:27], 0 offset:8 ; 4-byte Folded Reload
	;; [unrolled: 1-line block ×3, first 2 shown]
	s_waitcnt vmcnt(0)
	ds_write2_b64 v90, v[81:82], v[83:84] offset0:56 offset1:57
	ds_write2_b64 v90, v[111:112], v[113:114] offset0:58 offset1:59
	;; [unrolled: 1-line block ×24, first 2 shown]
.LBB102_270:
	s_or_b64 exec, exec, s[0:1]
	v_cmp_lt_i32_e32 vcc, 12, v92
	s_waitcnt vmcnt(0) lgkmcnt(0)
	s_barrier
	s_and_saveexec_b64 s[0:1], vcc
	s_cbranch_execz .LBB102_272
; %bb.271:
	buffer_load_dword v97, off, s[24:27], 0 offset:256 ; 4-byte Folded Reload
	buffer_load_dword v98, off, s[24:27], 0 offset:260 ; 4-byte Folded Reload
	buffer_load_dword v99, off, s[24:27], 0 offset:264 ; 4-byte Folded Reload
	buffer_load_dword v100, off, s[24:27], 0 offset:268 ; 4-byte Folded Reload
	s_waitcnt vmcnt(0)
	v_mul_f64 v[93:94], v[119:120], v[99:100]
	v_fma_f64 v[125:126], v[117:118], v[97:98], -v[93:94]
	v_mul_f64 v[93:94], v[117:118], v[99:100]
	v_fma_f64 v[99:100], v[119:120], v[97:98], v[93:94]
	ds_read2_b64 v[93:96], v90 offset0:26 offset1:27
	buffer_load_dword v81, off, s[24:27], 0 offset:240 ; 4-byte Folded Reload
	buffer_load_dword v82, off, s[24:27], 0 offset:244 ; 4-byte Folded Reload
	buffer_load_dword v83, off, s[24:27], 0 offset:248 ; 4-byte Folded Reload
	buffer_load_dword v84, off, s[24:27], 0 offset:252 ; 4-byte Folded Reload
	s_waitcnt lgkmcnt(0)
	v_mul_f64 v[97:98], v[95:96], v[99:100]
	v_fma_f64 v[97:98], v[93:94], v[125:126], -v[97:98]
	v_mul_f64 v[93:94], v[93:94], v[99:100]
	v_fma_f64 v[93:94], v[95:96], v[125:126], v[93:94]
	s_waitcnt vmcnt(2)
	v_add_f64 v[81:82], v[81:82], -v[97:98]
	s_waitcnt vmcnt(0)
	v_add_f64 v[83:84], v[83:84], -v[93:94]
	buffer_store_dword v81, off, s[24:27], 0 offset:240 ; 4-byte Folded Spill
	s_nop 0
	buffer_store_dword v82, off, s[24:27], 0 offset:244 ; 4-byte Folded Spill
	buffer_store_dword v83, off, s[24:27], 0 offset:248 ; 4-byte Folded Spill
	buffer_store_dword v84, off, s[24:27], 0 offset:252 ; 4-byte Folded Spill
	ds_read2_b64 v[93:96], v90 offset0:28 offset1:29
	buffer_load_dword v81, off, s[24:27], 0 offset:224 ; 4-byte Folded Reload
	buffer_load_dword v82, off, s[24:27], 0 offset:228 ; 4-byte Folded Reload
	buffer_load_dword v83, off, s[24:27], 0 offset:232 ; 4-byte Folded Reload
	buffer_load_dword v84, off, s[24:27], 0 offset:236 ; 4-byte Folded Reload
	s_waitcnt lgkmcnt(0)
	v_mul_f64 v[97:98], v[95:96], v[99:100]
	v_fma_f64 v[97:98], v[93:94], v[125:126], -v[97:98]
	v_mul_f64 v[93:94], v[93:94], v[99:100]
	v_fma_f64 v[93:94], v[95:96], v[125:126], v[93:94]
	s_waitcnt vmcnt(2)
	v_add_f64 v[81:82], v[81:82], -v[97:98]
	s_waitcnt vmcnt(0)
	v_add_f64 v[83:84], v[83:84], -v[93:94]
	buffer_store_dword v81, off, s[24:27], 0 offset:224 ; 4-byte Folded Spill
	s_nop 0
	buffer_store_dword v82, off, s[24:27], 0 offset:228 ; 4-byte Folded Spill
	buffer_store_dword v83, off, s[24:27], 0 offset:232 ; 4-byte Folded Spill
	buffer_store_dword v84, off, s[24:27], 0 offset:236 ; 4-byte Folded Spill
	;; [unrolled: 19-line block ×15, first 2 shown]
	ds_read2_b64 v[93:96], v90 offset0:56 offset1:57
	buffer_load_dword v81, off, s[24:27], 0 ; 4-byte Folded Reload
	buffer_load_dword v82, off, s[24:27], 0 offset:4 ; 4-byte Folded Reload
	buffer_load_dword v83, off, s[24:27], 0 offset:8 ; 4-byte Folded Reload
	;; [unrolled: 1-line block ×3, first 2 shown]
	s_waitcnt lgkmcnt(0)
	v_mul_f64 v[97:98], v[95:96], v[99:100]
	v_fma_f64 v[97:98], v[93:94], v[125:126], -v[97:98]
	v_mul_f64 v[93:94], v[93:94], v[99:100]
	v_fma_f64 v[93:94], v[95:96], v[125:126], v[93:94]
	s_waitcnt vmcnt(2)
	v_add_f64 v[81:82], v[81:82], -v[97:98]
	s_waitcnt vmcnt(0)
	v_add_f64 v[83:84], v[83:84], -v[93:94]
	buffer_store_dword v81, off, s[24:27], 0 ; 4-byte Folded Spill
	s_nop 0
	buffer_store_dword v82, off, s[24:27], 0 offset:4 ; 4-byte Folded Spill
	buffer_store_dword v83, off, s[24:27], 0 offset:8 ; 4-byte Folded Spill
	;; [unrolled: 1-line block ×3, first 2 shown]
	ds_read2_b64 v[93:96], v90 offset0:58 offset1:59
	s_waitcnt lgkmcnt(0)
	v_mul_f64 v[97:98], v[95:96], v[99:100]
	v_fma_f64 v[97:98], v[93:94], v[125:126], -v[97:98]
	v_mul_f64 v[93:94], v[93:94], v[99:100]
	v_add_f64 v[111:112], v[111:112], -v[97:98]
	v_fma_f64 v[93:94], v[95:96], v[125:126], v[93:94]
	v_add_f64 v[113:114], v[113:114], -v[93:94]
	ds_read2_b64 v[93:96], v90 offset0:60 offset1:61
	s_waitcnt lgkmcnt(0)
	v_mul_f64 v[97:98], v[95:96], v[99:100]
	v_fma_f64 v[97:98], v[93:94], v[125:126], -v[97:98]
	v_mul_f64 v[93:94], v[93:94], v[99:100]
	v_add_f64 v[85:86], v[85:86], -v[97:98]
	v_fma_f64 v[93:94], v[95:96], v[125:126], v[93:94]
	v_add_f64 v[87:88], v[87:88], -v[93:94]
	;; [unrolled: 8-line block ×22, first 2 shown]
	ds_read2_b64 v[93:96], v90 offset0:102 offset1:103
	s_waitcnt lgkmcnt(0)
	v_mul_f64 v[97:98], v[95:96], v[99:100]
	v_fma_f64 v[97:98], v[93:94], v[125:126], -v[97:98]
	v_mul_f64 v[93:94], v[93:94], v[99:100]
	v_add_f64 v[121:122], v[121:122], -v[97:98]
	v_fma_f64 v[93:94], v[95:96], v[125:126], v[93:94]
	v_mov_b32_e32 v97, v125
	v_mov_b32_e32 v98, v126
	buffer_store_dword v97, off, s[24:27], 0 offset:256 ; 4-byte Folded Spill
	s_nop 0
	buffer_store_dword v98, off, s[24:27], 0 offset:260 ; 4-byte Folded Spill
	buffer_store_dword v99, off, s[24:27], 0 offset:264 ; 4-byte Folded Spill
	;; [unrolled: 1-line block ×3, first 2 shown]
	v_add_f64 v[123:124], v[123:124], -v[93:94]
.LBB102_272:
	s_or_b64 exec, exec, s[0:1]
	s_waitcnt vmcnt(0)
	s_barrier
	buffer_load_dword v81, off, s[24:27], 0 offset:240 ; 4-byte Folded Reload
	buffer_load_dword v82, off, s[24:27], 0 offset:244 ; 4-byte Folded Reload
	;; [unrolled: 1-line block ×4, first 2 shown]
	v_lshl_add_u32 v93, v92, 4, v90
	s_cmp_lt_i32 s3, 15
	s_waitcnt vmcnt(0)
	ds_write2_b64 v93, v[81:82], v[83:84] offset1:1
	s_waitcnt lgkmcnt(0)
	s_barrier
	ds_read2_b64 v[117:120], v90 offset0:26 offset1:27
	v_mov_b32_e32 v93, 13
	s_cbranch_scc1 .LBB102_275
; %bb.273:
	v_add_u32_e32 v94, 0xe0, v90
	s_mov_b32 s0, 14
	v_mov_b32_e32 v93, 13
.LBB102_274:                            ; =>This Inner Loop Header: Depth=1
	s_waitcnt lgkmcnt(0)
	v_cmp_gt_f64_e32 vcc, 0, v[117:118]
	v_xor_b32_e32 v99, 0x80000000, v118
	ds_read2_b64 v[95:98], v94 offset1:1
	v_xor_b32_e32 v101, 0x80000000, v120
	v_add_u32_e32 v94, 16, v94
	s_waitcnt lgkmcnt(0)
	v_xor_b32_e32 v103, 0x80000000, v98
	v_cndmask_b32_e32 v100, v118, v99, vcc
	v_cmp_gt_f64_e32 vcc, 0, v[119:120]
	v_mov_b32_e32 v99, v117
	v_cndmask_b32_e32 v102, v120, v101, vcc
	v_cmp_gt_f64_e32 vcc, 0, v[95:96]
	v_mov_b32_e32 v101, v119
	v_add_f64 v[99:100], v[99:100], v[101:102]
	v_xor_b32_e32 v101, 0x80000000, v96
	v_cndmask_b32_e32 v102, v96, v101, vcc
	v_cmp_gt_f64_e32 vcc, 0, v[97:98]
	v_mov_b32_e32 v101, v95
	v_cndmask_b32_e32 v104, v98, v103, vcc
	v_mov_b32_e32 v103, v97
	v_add_f64 v[101:102], v[101:102], v[103:104]
	v_cmp_lt_f64_e32 vcc, v[99:100], v[101:102]
	v_cndmask_b32_e32 v117, v117, v95, vcc
	v_mov_b32_e32 v95, s0
	s_add_i32 s0, s0, 1
	v_cndmask_b32_e32 v118, v118, v96, vcc
	v_cndmask_b32_e32 v120, v120, v98, vcc
	;; [unrolled: 1-line block ×4, first 2 shown]
	s_cmp_lg_u32 s3, s0
	s_cbranch_scc1 .LBB102_274
.LBB102_275:
	s_waitcnt lgkmcnt(0)
	v_cmp_eq_f64_e32 vcc, 0, v[117:118]
	v_cmp_eq_f64_e64 s[0:1], 0, v[119:120]
	s_and_b64 s[0:1], vcc, s[0:1]
	s_and_saveexec_b64 s[18:19], s[0:1]
	s_xor_b64 s[0:1], exec, s[18:19]
; %bb.276:
	v_cmp_ne_u32_e32 vcc, 0, v91
	v_cndmask_b32_e32 v91, 14, v91, vcc
; %bb.277:
	s_andn2_saveexec_b64 s[0:1], s[0:1]
	s_cbranch_execz .LBB102_283
; %bb.278:
	v_cmp_ngt_f64_e64 s[18:19], |v[117:118]|, |v[119:120]|
	s_and_saveexec_b64 s[20:21], s[18:19]
	s_xor_b64 s[18:19], exec, s[20:21]
	s_cbranch_execz .LBB102_280
; %bb.279:
	v_div_scale_f64 v[94:95], s[20:21], v[119:120], v[119:120], v[117:118]
	v_rcp_f64_e32 v[96:97], v[94:95]
	v_fma_f64 v[98:99], -v[94:95], v[96:97], 1.0
	v_fma_f64 v[96:97], v[96:97], v[98:99], v[96:97]
	v_div_scale_f64 v[98:99], vcc, v[117:118], v[119:120], v[117:118]
	v_fma_f64 v[100:101], -v[94:95], v[96:97], 1.0
	v_fma_f64 v[96:97], v[96:97], v[100:101], v[96:97]
	v_mul_f64 v[100:101], v[98:99], v[96:97]
	v_fma_f64 v[94:95], -v[94:95], v[100:101], v[98:99]
	v_div_fmas_f64 v[94:95], v[94:95], v[96:97], v[100:101]
	v_div_fixup_f64 v[94:95], v[94:95], v[119:120], v[117:118]
	v_fma_f64 v[96:97], v[117:118], v[94:95], v[119:120]
	v_div_scale_f64 v[98:99], s[20:21], v[96:97], v[96:97], 1.0
	v_div_scale_f64 v[104:105], vcc, 1.0, v[96:97], 1.0
	v_rcp_f64_e32 v[100:101], v[98:99]
	v_fma_f64 v[102:103], -v[98:99], v[100:101], 1.0
	v_fma_f64 v[100:101], v[100:101], v[102:103], v[100:101]
	v_fma_f64 v[102:103], -v[98:99], v[100:101], 1.0
	v_fma_f64 v[100:101], v[100:101], v[102:103], v[100:101]
	v_mul_f64 v[102:103], v[104:105], v[100:101]
	v_fma_f64 v[98:99], -v[98:99], v[102:103], v[104:105]
	v_div_fmas_f64 v[98:99], v[98:99], v[100:101], v[102:103]
	v_div_fixup_f64 v[119:120], v[98:99], v[96:97], 1.0
	v_mul_f64 v[117:118], v[94:95], v[119:120]
	v_xor_b32_e32 v120, 0x80000000, v120
.LBB102_280:
	s_andn2_saveexec_b64 s[18:19], s[18:19]
	s_cbranch_execz .LBB102_282
; %bb.281:
	v_div_scale_f64 v[94:95], s[20:21], v[117:118], v[117:118], v[119:120]
	v_rcp_f64_e32 v[96:97], v[94:95]
	v_fma_f64 v[98:99], -v[94:95], v[96:97], 1.0
	v_fma_f64 v[96:97], v[96:97], v[98:99], v[96:97]
	v_div_scale_f64 v[98:99], vcc, v[119:120], v[117:118], v[119:120]
	v_fma_f64 v[100:101], -v[94:95], v[96:97], 1.0
	v_fma_f64 v[96:97], v[96:97], v[100:101], v[96:97]
	v_mul_f64 v[100:101], v[98:99], v[96:97]
	v_fma_f64 v[94:95], -v[94:95], v[100:101], v[98:99]
	v_div_fmas_f64 v[94:95], v[94:95], v[96:97], v[100:101]
	v_div_fixup_f64 v[94:95], v[94:95], v[117:118], v[119:120]
	v_fma_f64 v[96:97], v[119:120], v[94:95], v[117:118]
	v_div_scale_f64 v[98:99], s[20:21], v[96:97], v[96:97], 1.0
	v_div_scale_f64 v[104:105], vcc, 1.0, v[96:97], 1.0
	v_rcp_f64_e32 v[100:101], v[98:99]
	v_fma_f64 v[102:103], -v[98:99], v[100:101], 1.0
	v_fma_f64 v[100:101], v[100:101], v[102:103], v[100:101]
	v_fma_f64 v[102:103], -v[98:99], v[100:101], 1.0
	v_fma_f64 v[100:101], v[100:101], v[102:103], v[100:101]
	v_mul_f64 v[102:103], v[104:105], v[100:101]
	v_fma_f64 v[98:99], -v[98:99], v[102:103], v[104:105]
	v_div_fmas_f64 v[98:99], v[98:99], v[100:101], v[102:103]
	v_div_fixup_f64 v[117:118], v[98:99], v[96:97], 1.0
	v_mul_f64 v[119:120], v[94:95], -v[117:118]
.LBB102_282:
	s_or_b64 exec, exec, s[18:19]
.LBB102_283:
	s_or_b64 exec, exec, s[0:1]
	v_cmp_ne_u32_e32 vcc, v92, v93
	s_and_saveexec_b64 s[0:1], vcc
	s_xor_b64 s[0:1], exec, s[0:1]
	s_cbranch_execz .LBB102_289
; %bb.284:
	v_cmp_eq_u32_e32 vcc, 13, v92
	s_and_saveexec_b64 s[18:19], vcc
	s_cbranch_execz .LBB102_288
; %bb.285:
	v_cmp_ne_u32_e32 vcc, 13, v93
	s_xor_b64 s[20:21], s[6:7], -1
	s_and_b64 s[22:23], s[20:21], vcc
	s_and_saveexec_b64 s[20:21], s[22:23]
	s_cbranch_execz .LBB102_287
; %bb.286:
	buffer_load_dword v81, off, s[24:27], 0 offset:416 ; 4-byte Folded Reload
	buffer_load_dword v82, off, s[24:27], 0 offset:420 ; 4-byte Folded Reload
	v_ashrrev_i32_e32 v94, 31, v93
	v_lshlrev_b64 v[94:95], 2, v[93:94]
	s_waitcnt vmcnt(1)
	v_add_co_u32_e32 v94, vcc, v81, v94
	s_waitcnt vmcnt(0)
	v_addc_co_u32_e32 v95, vcc, v82, v95, vcc
	global_load_dword v0, v[94:95], off
	global_load_dword v92, v[81:82], off offset:52
	s_waitcnt vmcnt(1)
	global_store_dword v[81:82], v0, off offset:52
	s_waitcnt vmcnt(1)
	global_store_dword v[94:95], v92, off
.LBB102_287:
	s_or_b64 exec, exec, s[20:21]
	v_mov_b32_e32 v92, v93
	v_mov_b32_e32 v0, v93
.LBB102_288:
	s_or_b64 exec, exec, s[18:19]
.LBB102_289:
	s_andn2_saveexec_b64 s[0:1], s[0:1]
	s_cbranch_execz .LBB102_291
; %bb.290:
	buffer_load_dword v81, off, s[24:27], 0 offset:224 ; 4-byte Folded Reload
	buffer_load_dword v82, off, s[24:27], 0 offset:228 ; 4-byte Folded Reload
	buffer_load_dword v83, off, s[24:27], 0 offset:232 ; 4-byte Folded Reload
	buffer_load_dword v84, off, s[24:27], 0 offset:236 ; 4-byte Folded Reload
	v_mov_b32_e32 v92, 13
	s_waitcnt vmcnt(0)
	ds_write2_b64 v90, v[81:82], v[83:84] offset0:28 offset1:29
	buffer_load_dword v81, off, s[24:27], 0 offset:208 ; 4-byte Folded Reload
	buffer_load_dword v82, off, s[24:27], 0 offset:212 ; 4-byte Folded Reload
	buffer_load_dword v83, off, s[24:27], 0 offset:216 ; 4-byte Folded Reload
	buffer_load_dword v84, off, s[24:27], 0 offset:220 ; 4-byte Folded Reload
	s_waitcnt vmcnt(0)
	ds_write2_b64 v90, v[81:82], v[83:84] offset0:30 offset1:31
	buffer_load_dword v81, off, s[24:27], 0 offset:192 ; 4-byte Folded Reload
	buffer_load_dword v82, off, s[24:27], 0 offset:196 ; 4-byte Folded Reload
	buffer_load_dword v83, off, s[24:27], 0 offset:200 ; 4-byte Folded Reload
	buffer_load_dword v84, off, s[24:27], 0 offset:204 ; 4-byte Folded Reload
	;; [unrolled: 6-line block ×13, first 2 shown]
	s_waitcnt vmcnt(0)
	ds_write2_b64 v90, v[81:82], v[83:84] offset0:54 offset1:55
	buffer_load_dword v81, off, s[24:27], 0 ; 4-byte Folded Reload
	buffer_load_dword v82, off, s[24:27], 0 offset:4 ; 4-byte Folded Reload
	buffer_load_dword v83, off, s[24:27], 0 offset:8 ; 4-byte Folded Reload
	;; [unrolled: 1-line block ×3, first 2 shown]
	s_waitcnt vmcnt(0)
	ds_write2_b64 v90, v[81:82], v[83:84] offset0:56 offset1:57
	ds_write2_b64 v90, v[111:112], v[113:114] offset0:58 offset1:59
	;; [unrolled: 1-line block ×24, first 2 shown]
.LBB102_291:
	s_or_b64 exec, exec, s[0:1]
	v_cmp_lt_i32_e32 vcc, 13, v92
	s_waitcnt vmcnt(0) lgkmcnt(0)
	s_barrier
	s_and_saveexec_b64 s[0:1], vcc
	s_cbranch_execz .LBB102_293
; %bb.292:
	buffer_load_dword v97, off, s[24:27], 0 offset:240 ; 4-byte Folded Reload
	buffer_load_dword v98, off, s[24:27], 0 offset:244 ; 4-byte Folded Reload
	;; [unrolled: 1-line block ×4, first 2 shown]
	s_waitcnt vmcnt(0)
	v_mul_f64 v[93:94], v[119:120], v[99:100]
	v_fma_f64 v[125:126], v[117:118], v[97:98], -v[93:94]
	v_mul_f64 v[93:94], v[117:118], v[99:100]
	v_fma_f64 v[99:100], v[119:120], v[97:98], v[93:94]
	ds_read2_b64 v[93:96], v90 offset0:28 offset1:29
	buffer_load_dword v81, off, s[24:27], 0 offset:224 ; 4-byte Folded Reload
	buffer_load_dword v82, off, s[24:27], 0 offset:228 ; 4-byte Folded Reload
	buffer_load_dword v83, off, s[24:27], 0 offset:232 ; 4-byte Folded Reload
	buffer_load_dword v84, off, s[24:27], 0 offset:236 ; 4-byte Folded Reload
	s_waitcnt lgkmcnt(0)
	v_mul_f64 v[97:98], v[95:96], v[99:100]
	v_fma_f64 v[97:98], v[93:94], v[125:126], -v[97:98]
	v_mul_f64 v[93:94], v[93:94], v[99:100]
	v_fma_f64 v[93:94], v[95:96], v[125:126], v[93:94]
	s_waitcnt vmcnt(2)
	v_add_f64 v[81:82], v[81:82], -v[97:98]
	s_waitcnt vmcnt(0)
	v_add_f64 v[83:84], v[83:84], -v[93:94]
	buffer_store_dword v81, off, s[24:27], 0 offset:224 ; 4-byte Folded Spill
	s_nop 0
	buffer_store_dword v82, off, s[24:27], 0 offset:228 ; 4-byte Folded Spill
	buffer_store_dword v83, off, s[24:27], 0 offset:232 ; 4-byte Folded Spill
	buffer_store_dword v84, off, s[24:27], 0 offset:236 ; 4-byte Folded Spill
	ds_read2_b64 v[93:96], v90 offset0:30 offset1:31
	buffer_load_dword v81, off, s[24:27], 0 offset:208 ; 4-byte Folded Reload
	buffer_load_dword v82, off, s[24:27], 0 offset:212 ; 4-byte Folded Reload
	buffer_load_dword v83, off, s[24:27], 0 offset:216 ; 4-byte Folded Reload
	buffer_load_dword v84, off, s[24:27], 0 offset:220 ; 4-byte Folded Reload
	s_waitcnt lgkmcnt(0)
	v_mul_f64 v[97:98], v[95:96], v[99:100]
	v_fma_f64 v[97:98], v[93:94], v[125:126], -v[97:98]
	v_mul_f64 v[93:94], v[93:94], v[99:100]
	v_fma_f64 v[93:94], v[95:96], v[125:126], v[93:94]
	s_waitcnt vmcnt(2)
	v_add_f64 v[81:82], v[81:82], -v[97:98]
	s_waitcnt vmcnt(0)
	v_add_f64 v[83:84], v[83:84], -v[93:94]
	buffer_store_dword v81, off, s[24:27], 0 offset:208 ; 4-byte Folded Spill
	s_nop 0
	buffer_store_dword v82, off, s[24:27], 0 offset:212 ; 4-byte Folded Spill
	buffer_store_dword v83, off, s[24:27], 0 offset:216 ; 4-byte Folded Spill
	buffer_store_dword v84, off, s[24:27], 0 offset:220 ; 4-byte Folded Spill
	;; [unrolled: 19-line block ×14, first 2 shown]
	ds_read2_b64 v[93:96], v90 offset0:56 offset1:57
	buffer_load_dword v81, off, s[24:27], 0 ; 4-byte Folded Reload
	buffer_load_dword v82, off, s[24:27], 0 offset:4 ; 4-byte Folded Reload
	buffer_load_dword v83, off, s[24:27], 0 offset:8 ; 4-byte Folded Reload
	;; [unrolled: 1-line block ×3, first 2 shown]
	s_waitcnt lgkmcnt(0)
	v_mul_f64 v[97:98], v[95:96], v[99:100]
	v_fma_f64 v[97:98], v[93:94], v[125:126], -v[97:98]
	v_mul_f64 v[93:94], v[93:94], v[99:100]
	v_fma_f64 v[93:94], v[95:96], v[125:126], v[93:94]
	s_waitcnt vmcnt(2)
	v_add_f64 v[81:82], v[81:82], -v[97:98]
	s_waitcnt vmcnt(0)
	v_add_f64 v[83:84], v[83:84], -v[93:94]
	buffer_store_dword v81, off, s[24:27], 0 ; 4-byte Folded Spill
	s_nop 0
	buffer_store_dword v82, off, s[24:27], 0 offset:4 ; 4-byte Folded Spill
	buffer_store_dword v83, off, s[24:27], 0 offset:8 ; 4-byte Folded Spill
	;; [unrolled: 1-line block ×3, first 2 shown]
	ds_read2_b64 v[93:96], v90 offset0:58 offset1:59
	s_waitcnt lgkmcnt(0)
	v_mul_f64 v[97:98], v[95:96], v[99:100]
	v_fma_f64 v[97:98], v[93:94], v[125:126], -v[97:98]
	v_mul_f64 v[93:94], v[93:94], v[99:100]
	v_add_f64 v[111:112], v[111:112], -v[97:98]
	v_fma_f64 v[93:94], v[95:96], v[125:126], v[93:94]
	v_add_f64 v[113:114], v[113:114], -v[93:94]
	ds_read2_b64 v[93:96], v90 offset0:60 offset1:61
	s_waitcnt lgkmcnt(0)
	v_mul_f64 v[97:98], v[95:96], v[99:100]
	v_fma_f64 v[97:98], v[93:94], v[125:126], -v[97:98]
	v_mul_f64 v[93:94], v[93:94], v[99:100]
	v_add_f64 v[85:86], v[85:86], -v[97:98]
	v_fma_f64 v[93:94], v[95:96], v[125:126], v[93:94]
	v_add_f64 v[87:88], v[87:88], -v[93:94]
	;; [unrolled: 8-line block ×22, first 2 shown]
	ds_read2_b64 v[93:96], v90 offset0:102 offset1:103
	s_waitcnt lgkmcnt(0)
	v_mul_f64 v[97:98], v[95:96], v[99:100]
	v_fma_f64 v[97:98], v[93:94], v[125:126], -v[97:98]
	v_mul_f64 v[93:94], v[93:94], v[99:100]
	v_add_f64 v[121:122], v[121:122], -v[97:98]
	v_fma_f64 v[93:94], v[95:96], v[125:126], v[93:94]
	v_mov_b32_e32 v97, v125
	v_mov_b32_e32 v98, v126
	buffer_store_dword v97, off, s[24:27], 0 offset:240 ; 4-byte Folded Spill
	s_nop 0
	buffer_store_dword v98, off, s[24:27], 0 offset:244 ; 4-byte Folded Spill
	buffer_store_dword v99, off, s[24:27], 0 offset:248 ; 4-byte Folded Spill
	;; [unrolled: 1-line block ×3, first 2 shown]
	v_add_f64 v[123:124], v[123:124], -v[93:94]
.LBB102_293:
	s_or_b64 exec, exec, s[0:1]
	s_waitcnt vmcnt(0)
	s_barrier
	buffer_load_dword v81, off, s[24:27], 0 offset:224 ; 4-byte Folded Reload
	buffer_load_dword v82, off, s[24:27], 0 offset:228 ; 4-byte Folded Reload
	;; [unrolled: 1-line block ×4, first 2 shown]
	v_lshl_add_u32 v93, v92, 4, v90
	s_cmp_lt_i32 s3, 16
	s_waitcnt vmcnt(0)
	ds_write2_b64 v93, v[81:82], v[83:84] offset1:1
	s_waitcnt lgkmcnt(0)
	s_barrier
	ds_read2_b64 v[117:120], v90 offset0:28 offset1:29
	v_mov_b32_e32 v93, 14
	s_cbranch_scc1 .LBB102_296
; %bb.294:
	v_add_u32_e32 v94, 0xf0, v90
	s_mov_b32 s0, 15
	v_mov_b32_e32 v93, 14
.LBB102_295:                            ; =>This Inner Loop Header: Depth=1
	s_waitcnt lgkmcnt(0)
	v_cmp_gt_f64_e32 vcc, 0, v[117:118]
	v_xor_b32_e32 v99, 0x80000000, v118
	ds_read2_b64 v[95:98], v94 offset1:1
	v_xor_b32_e32 v101, 0x80000000, v120
	v_add_u32_e32 v94, 16, v94
	s_waitcnt lgkmcnt(0)
	v_xor_b32_e32 v103, 0x80000000, v98
	v_cndmask_b32_e32 v100, v118, v99, vcc
	v_cmp_gt_f64_e32 vcc, 0, v[119:120]
	v_mov_b32_e32 v99, v117
	v_cndmask_b32_e32 v102, v120, v101, vcc
	v_cmp_gt_f64_e32 vcc, 0, v[95:96]
	v_mov_b32_e32 v101, v119
	v_add_f64 v[99:100], v[99:100], v[101:102]
	v_xor_b32_e32 v101, 0x80000000, v96
	v_cndmask_b32_e32 v102, v96, v101, vcc
	v_cmp_gt_f64_e32 vcc, 0, v[97:98]
	v_mov_b32_e32 v101, v95
	v_cndmask_b32_e32 v104, v98, v103, vcc
	v_mov_b32_e32 v103, v97
	v_add_f64 v[101:102], v[101:102], v[103:104]
	v_cmp_lt_f64_e32 vcc, v[99:100], v[101:102]
	v_cndmask_b32_e32 v117, v117, v95, vcc
	v_mov_b32_e32 v95, s0
	s_add_i32 s0, s0, 1
	v_cndmask_b32_e32 v118, v118, v96, vcc
	v_cndmask_b32_e32 v120, v120, v98, vcc
	;; [unrolled: 1-line block ×4, first 2 shown]
	s_cmp_lg_u32 s3, s0
	s_cbranch_scc1 .LBB102_295
.LBB102_296:
	s_waitcnt lgkmcnt(0)
	v_cmp_eq_f64_e32 vcc, 0, v[117:118]
	v_cmp_eq_f64_e64 s[0:1], 0, v[119:120]
	s_and_b64 s[0:1], vcc, s[0:1]
	s_and_saveexec_b64 s[18:19], s[0:1]
	s_xor_b64 s[0:1], exec, s[18:19]
; %bb.297:
	v_cmp_ne_u32_e32 vcc, 0, v91
	v_cndmask_b32_e32 v91, 15, v91, vcc
; %bb.298:
	s_andn2_saveexec_b64 s[0:1], s[0:1]
	s_cbranch_execz .LBB102_304
; %bb.299:
	v_cmp_ngt_f64_e64 s[18:19], |v[117:118]|, |v[119:120]|
	s_and_saveexec_b64 s[20:21], s[18:19]
	s_xor_b64 s[18:19], exec, s[20:21]
	s_cbranch_execz .LBB102_301
; %bb.300:
	v_div_scale_f64 v[94:95], s[20:21], v[119:120], v[119:120], v[117:118]
	v_rcp_f64_e32 v[96:97], v[94:95]
	v_fma_f64 v[98:99], -v[94:95], v[96:97], 1.0
	v_fma_f64 v[96:97], v[96:97], v[98:99], v[96:97]
	v_div_scale_f64 v[98:99], vcc, v[117:118], v[119:120], v[117:118]
	v_fma_f64 v[100:101], -v[94:95], v[96:97], 1.0
	v_fma_f64 v[96:97], v[96:97], v[100:101], v[96:97]
	v_mul_f64 v[100:101], v[98:99], v[96:97]
	v_fma_f64 v[94:95], -v[94:95], v[100:101], v[98:99]
	v_div_fmas_f64 v[94:95], v[94:95], v[96:97], v[100:101]
	v_div_fixup_f64 v[94:95], v[94:95], v[119:120], v[117:118]
	v_fma_f64 v[96:97], v[117:118], v[94:95], v[119:120]
	v_div_scale_f64 v[98:99], s[20:21], v[96:97], v[96:97], 1.0
	v_div_scale_f64 v[104:105], vcc, 1.0, v[96:97], 1.0
	v_rcp_f64_e32 v[100:101], v[98:99]
	v_fma_f64 v[102:103], -v[98:99], v[100:101], 1.0
	v_fma_f64 v[100:101], v[100:101], v[102:103], v[100:101]
	v_fma_f64 v[102:103], -v[98:99], v[100:101], 1.0
	v_fma_f64 v[100:101], v[100:101], v[102:103], v[100:101]
	v_mul_f64 v[102:103], v[104:105], v[100:101]
	v_fma_f64 v[98:99], -v[98:99], v[102:103], v[104:105]
	v_div_fmas_f64 v[98:99], v[98:99], v[100:101], v[102:103]
	v_div_fixup_f64 v[119:120], v[98:99], v[96:97], 1.0
	v_mul_f64 v[117:118], v[94:95], v[119:120]
	v_xor_b32_e32 v120, 0x80000000, v120
.LBB102_301:
	s_andn2_saveexec_b64 s[18:19], s[18:19]
	s_cbranch_execz .LBB102_303
; %bb.302:
	v_div_scale_f64 v[94:95], s[20:21], v[117:118], v[117:118], v[119:120]
	v_rcp_f64_e32 v[96:97], v[94:95]
	v_fma_f64 v[98:99], -v[94:95], v[96:97], 1.0
	v_fma_f64 v[96:97], v[96:97], v[98:99], v[96:97]
	v_div_scale_f64 v[98:99], vcc, v[119:120], v[117:118], v[119:120]
	v_fma_f64 v[100:101], -v[94:95], v[96:97], 1.0
	v_fma_f64 v[96:97], v[96:97], v[100:101], v[96:97]
	v_mul_f64 v[100:101], v[98:99], v[96:97]
	v_fma_f64 v[94:95], -v[94:95], v[100:101], v[98:99]
	v_div_fmas_f64 v[94:95], v[94:95], v[96:97], v[100:101]
	v_div_fixup_f64 v[94:95], v[94:95], v[117:118], v[119:120]
	v_fma_f64 v[96:97], v[119:120], v[94:95], v[117:118]
	v_div_scale_f64 v[98:99], s[20:21], v[96:97], v[96:97], 1.0
	v_div_scale_f64 v[104:105], vcc, 1.0, v[96:97], 1.0
	v_rcp_f64_e32 v[100:101], v[98:99]
	v_fma_f64 v[102:103], -v[98:99], v[100:101], 1.0
	v_fma_f64 v[100:101], v[100:101], v[102:103], v[100:101]
	v_fma_f64 v[102:103], -v[98:99], v[100:101], 1.0
	v_fma_f64 v[100:101], v[100:101], v[102:103], v[100:101]
	v_mul_f64 v[102:103], v[104:105], v[100:101]
	v_fma_f64 v[98:99], -v[98:99], v[102:103], v[104:105]
	v_div_fmas_f64 v[98:99], v[98:99], v[100:101], v[102:103]
	v_div_fixup_f64 v[117:118], v[98:99], v[96:97], 1.0
	v_mul_f64 v[119:120], v[94:95], -v[117:118]
.LBB102_303:
	s_or_b64 exec, exec, s[18:19]
.LBB102_304:
	s_or_b64 exec, exec, s[0:1]
	v_cmp_ne_u32_e32 vcc, v92, v93
	s_and_saveexec_b64 s[0:1], vcc
	s_xor_b64 s[0:1], exec, s[0:1]
	s_cbranch_execz .LBB102_310
; %bb.305:
	v_cmp_eq_u32_e32 vcc, 14, v92
	s_and_saveexec_b64 s[18:19], vcc
	s_cbranch_execz .LBB102_309
; %bb.306:
	v_cmp_ne_u32_e32 vcc, 14, v93
	s_xor_b64 s[20:21], s[6:7], -1
	s_and_b64 s[22:23], s[20:21], vcc
	s_and_saveexec_b64 s[20:21], s[22:23]
	s_cbranch_execz .LBB102_308
; %bb.307:
	buffer_load_dword v81, off, s[24:27], 0 offset:416 ; 4-byte Folded Reload
	buffer_load_dword v82, off, s[24:27], 0 offset:420 ; 4-byte Folded Reload
	v_ashrrev_i32_e32 v94, 31, v93
	v_lshlrev_b64 v[94:95], 2, v[93:94]
	s_waitcnt vmcnt(1)
	v_add_co_u32_e32 v94, vcc, v81, v94
	s_waitcnt vmcnt(0)
	v_addc_co_u32_e32 v95, vcc, v82, v95, vcc
	global_load_dword v0, v[94:95], off
	global_load_dword v92, v[81:82], off offset:56
	s_waitcnt vmcnt(1)
	global_store_dword v[81:82], v0, off offset:56
	s_waitcnt vmcnt(1)
	global_store_dword v[94:95], v92, off
.LBB102_308:
	s_or_b64 exec, exec, s[20:21]
	v_mov_b32_e32 v92, v93
	v_mov_b32_e32 v0, v93
.LBB102_309:
	s_or_b64 exec, exec, s[18:19]
.LBB102_310:
	s_andn2_saveexec_b64 s[0:1], s[0:1]
	s_cbranch_execz .LBB102_312
; %bb.311:
	buffer_load_dword v81, off, s[24:27], 0 offset:208 ; 4-byte Folded Reload
	buffer_load_dword v82, off, s[24:27], 0 offset:212 ; 4-byte Folded Reload
	;; [unrolled: 1-line block ×4, first 2 shown]
	v_mov_b32_e32 v92, 14
	s_waitcnt vmcnt(0)
	ds_write2_b64 v90, v[81:82], v[83:84] offset0:30 offset1:31
	buffer_load_dword v81, off, s[24:27], 0 offset:192 ; 4-byte Folded Reload
	buffer_load_dword v82, off, s[24:27], 0 offset:196 ; 4-byte Folded Reload
	buffer_load_dword v83, off, s[24:27], 0 offset:200 ; 4-byte Folded Reload
	buffer_load_dword v84, off, s[24:27], 0 offset:204 ; 4-byte Folded Reload
	s_waitcnt vmcnt(0)
	ds_write2_b64 v90, v[81:82], v[83:84] offset0:32 offset1:33
	buffer_load_dword v81, off, s[24:27], 0 offset:176 ; 4-byte Folded Reload
	buffer_load_dword v82, off, s[24:27], 0 offset:180 ; 4-byte Folded Reload
	buffer_load_dword v83, off, s[24:27], 0 offset:184 ; 4-byte Folded Reload
	buffer_load_dword v84, off, s[24:27], 0 offset:188 ; 4-byte Folded Reload
	;; [unrolled: 6-line block ×12, first 2 shown]
	s_waitcnt vmcnt(0)
	ds_write2_b64 v90, v[81:82], v[83:84] offset0:54 offset1:55
	buffer_load_dword v81, off, s[24:27], 0 ; 4-byte Folded Reload
	buffer_load_dword v82, off, s[24:27], 0 offset:4 ; 4-byte Folded Reload
	buffer_load_dword v83, off, s[24:27], 0 offset:8 ; 4-byte Folded Reload
	;; [unrolled: 1-line block ×3, first 2 shown]
	s_waitcnt vmcnt(0)
	ds_write2_b64 v90, v[81:82], v[83:84] offset0:56 offset1:57
	ds_write2_b64 v90, v[111:112], v[113:114] offset0:58 offset1:59
	;; [unrolled: 1-line block ×24, first 2 shown]
.LBB102_312:
	s_or_b64 exec, exec, s[0:1]
	v_cmp_lt_i32_e32 vcc, 14, v92
	s_waitcnt vmcnt(0) lgkmcnt(0)
	s_barrier
	s_and_saveexec_b64 s[0:1], vcc
	s_cbranch_execz .LBB102_314
; %bb.313:
	buffer_load_dword v97, off, s[24:27], 0 offset:224 ; 4-byte Folded Reload
	buffer_load_dword v98, off, s[24:27], 0 offset:228 ; 4-byte Folded Reload
	;; [unrolled: 1-line block ×4, first 2 shown]
	s_waitcnt vmcnt(0)
	v_mul_f64 v[93:94], v[119:120], v[99:100]
	v_fma_f64 v[125:126], v[117:118], v[97:98], -v[93:94]
	v_mul_f64 v[93:94], v[117:118], v[99:100]
	v_fma_f64 v[99:100], v[119:120], v[97:98], v[93:94]
	ds_read2_b64 v[93:96], v90 offset0:30 offset1:31
	buffer_load_dword v81, off, s[24:27], 0 offset:208 ; 4-byte Folded Reload
	buffer_load_dword v82, off, s[24:27], 0 offset:212 ; 4-byte Folded Reload
	buffer_load_dword v83, off, s[24:27], 0 offset:216 ; 4-byte Folded Reload
	buffer_load_dword v84, off, s[24:27], 0 offset:220 ; 4-byte Folded Reload
	s_waitcnt lgkmcnt(0)
	v_mul_f64 v[97:98], v[95:96], v[99:100]
	v_fma_f64 v[97:98], v[93:94], v[125:126], -v[97:98]
	v_mul_f64 v[93:94], v[93:94], v[99:100]
	v_fma_f64 v[93:94], v[95:96], v[125:126], v[93:94]
	s_waitcnt vmcnt(2)
	v_add_f64 v[81:82], v[81:82], -v[97:98]
	s_waitcnt vmcnt(0)
	v_add_f64 v[83:84], v[83:84], -v[93:94]
	buffer_store_dword v81, off, s[24:27], 0 offset:208 ; 4-byte Folded Spill
	s_nop 0
	buffer_store_dword v82, off, s[24:27], 0 offset:212 ; 4-byte Folded Spill
	buffer_store_dword v83, off, s[24:27], 0 offset:216 ; 4-byte Folded Spill
	buffer_store_dword v84, off, s[24:27], 0 offset:220 ; 4-byte Folded Spill
	ds_read2_b64 v[93:96], v90 offset0:32 offset1:33
	buffer_load_dword v81, off, s[24:27], 0 offset:192 ; 4-byte Folded Reload
	buffer_load_dword v82, off, s[24:27], 0 offset:196 ; 4-byte Folded Reload
	buffer_load_dword v83, off, s[24:27], 0 offset:200 ; 4-byte Folded Reload
	buffer_load_dword v84, off, s[24:27], 0 offset:204 ; 4-byte Folded Reload
	s_waitcnt lgkmcnt(0)
	v_mul_f64 v[97:98], v[95:96], v[99:100]
	v_fma_f64 v[97:98], v[93:94], v[125:126], -v[97:98]
	v_mul_f64 v[93:94], v[93:94], v[99:100]
	v_fma_f64 v[93:94], v[95:96], v[125:126], v[93:94]
	s_waitcnt vmcnt(2)
	v_add_f64 v[81:82], v[81:82], -v[97:98]
	s_waitcnt vmcnt(0)
	v_add_f64 v[83:84], v[83:84], -v[93:94]
	buffer_store_dword v81, off, s[24:27], 0 offset:192 ; 4-byte Folded Spill
	s_nop 0
	buffer_store_dword v82, off, s[24:27], 0 offset:196 ; 4-byte Folded Spill
	buffer_store_dword v83, off, s[24:27], 0 offset:200 ; 4-byte Folded Spill
	buffer_store_dword v84, off, s[24:27], 0 offset:204 ; 4-byte Folded Spill
	;; [unrolled: 19-line block ×13, first 2 shown]
	ds_read2_b64 v[93:96], v90 offset0:56 offset1:57
	buffer_load_dword v81, off, s[24:27], 0 ; 4-byte Folded Reload
	buffer_load_dword v82, off, s[24:27], 0 offset:4 ; 4-byte Folded Reload
	buffer_load_dword v83, off, s[24:27], 0 offset:8 ; 4-byte Folded Reload
	;; [unrolled: 1-line block ×3, first 2 shown]
	s_waitcnt lgkmcnt(0)
	v_mul_f64 v[97:98], v[95:96], v[99:100]
	v_fma_f64 v[97:98], v[93:94], v[125:126], -v[97:98]
	v_mul_f64 v[93:94], v[93:94], v[99:100]
	v_fma_f64 v[93:94], v[95:96], v[125:126], v[93:94]
	s_waitcnt vmcnt(2)
	v_add_f64 v[81:82], v[81:82], -v[97:98]
	s_waitcnt vmcnt(0)
	v_add_f64 v[83:84], v[83:84], -v[93:94]
	buffer_store_dword v81, off, s[24:27], 0 ; 4-byte Folded Spill
	s_nop 0
	buffer_store_dword v82, off, s[24:27], 0 offset:4 ; 4-byte Folded Spill
	buffer_store_dword v83, off, s[24:27], 0 offset:8 ; 4-byte Folded Spill
	;; [unrolled: 1-line block ×3, first 2 shown]
	ds_read2_b64 v[93:96], v90 offset0:58 offset1:59
	s_waitcnt lgkmcnt(0)
	v_mul_f64 v[97:98], v[95:96], v[99:100]
	v_fma_f64 v[97:98], v[93:94], v[125:126], -v[97:98]
	v_mul_f64 v[93:94], v[93:94], v[99:100]
	v_add_f64 v[111:112], v[111:112], -v[97:98]
	v_fma_f64 v[93:94], v[95:96], v[125:126], v[93:94]
	v_add_f64 v[113:114], v[113:114], -v[93:94]
	ds_read2_b64 v[93:96], v90 offset0:60 offset1:61
	s_waitcnt lgkmcnt(0)
	v_mul_f64 v[97:98], v[95:96], v[99:100]
	v_fma_f64 v[97:98], v[93:94], v[125:126], -v[97:98]
	v_mul_f64 v[93:94], v[93:94], v[99:100]
	v_add_f64 v[85:86], v[85:86], -v[97:98]
	v_fma_f64 v[93:94], v[95:96], v[125:126], v[93:94]
	v_add_f64 v[87:88], v[87:88], -v[93:94]
	ds_read2_b64 v[93:96], v90 offset0:62 offset1:63
	s_waitcnt lgkmcnt(0)
	v_mul_f64 v[97:98], v[95:96], v[99:100]
	v_fma_f64 v[97:98], v[93:94], v[125:126], -v[97:98]
	v_mul_f64 v[93:94], v[93:94], v[99:100]
	v_add_f64 v[77:78], v[77:78], -v[97:98]
	v_fma_f64 v[93:94], v[95:96], v[125:126], v[93:94]
	v_add_f64 v[79:80], v[79:80], -v[93:94]
	ds_read2_b64 v[93:96], v90 offset0:64 offset1:65
	s_waitcnt lgkmcnt(0)
	v_mul_f64 v[97:98], v[95:96], v[99:100]
	v_fma_f64 v[97:98], v[93:94], v[125:126], -v[97:98]
	v_mul_f64 v[93:94], v[93:94], v[99:100]
	v_add_f64 v[73:74], v[73:74], -v[97:98]
	v_fma_f64 v[93:94], v[95:96], v[125:126], v[93:94]
	v_add_f64 v[75:76], v[75:76], -v[93:94]
	ds_read2_b64 v[93:96], v90 offset0:66 offset1:67
	s_waitcnt lgkmcnt(0)
	v_mul_f64 v[97:98], v[95:96], v[99:100]
	v_fma_f64 v[97:98], v[93:94], v[125:126], -v[97:98]
	v_mul_f64 v[93:94], v[93:94], v[99:100]
	v_add_f64 v[69:70], v[69:70], -v[97:98]
	v_fma_f64 v[93:94], v[95:96], v[125:126], v[93:94]
	v_add_f64 v[71:72], v[71:72], -v[93:94]
	ds_read2_b64 v[93:96], v90 offset0:68 offset1:69
	s_waitcnt lgkmcnt(0)
	v_mul_f64 v[97:98], v[95:96], v[99:100]
	v_fma_f64 v[97:98], v[93:94], v[125:126], -v[97:98]
	v_mul_f64 v[93:94], v[93:94], v[99:100]
	v_add_f64 v[65:66], v[65:66], -v[97:98]
	v_fma_f64 v[93:94], v[95:96], v[125:126], v[93:94]
	v_add_f64 v[67:68], v[67:68], -v[93:94]
	ds_read2_b64 v[93:96], v90 offset0:70 offset1:71
	s_waitcnt lgkmcnt(0)
	v_mul_f64 v[97:98], v[95:96], v[99:100]
	v_fma_f64 v[97:98], v[93:94], v[125:126], -v[97:98]
	v_mul_f64 v[93:94], v[93:94], v[99:100]
	v_add_f64 v[61:62], v[61:62], -v[97:98]
	v_fma_f64 v[93:94], v[95:96], v[125:126], v[93:94]
	v_add_f64 v[63:64], v[63:64], -v[93:94]
	ds_read2_b64 v[93:96], v90 offset0:72 offset1:73
	s_waitcnt lgkmcnt(0)
	v_mul_f64 v[97:98], v[95:96], v[99:100]
	v_fma_f64 v[97:98], v[93:94], v[125:126], -v[97:98]
	v_mul_f64 v[93:94], v[93:94], v[99:100]
	v_add_f64 v[57:58], v[57:58], -v[97:98]
	v_fma_f64 v[93:94], v[95:96], v[125:126], v[93:94]
	v_add_f64 v[59:60], v[59:60], -v[93:94]
	ds_read2_b64 v[93:96], v90 offset0:74 offset1:75
	s_waitcnt lgkmcnt(0)
	v_mul_f64 v[97:98], v[95:96], v[99:100]
	v_fma_f64 v[97:98], v[93:94], v[125:126], -v[97:98]
	v_mul_f64 v[93:94], v[93:94], v[99:100]
	v_add_f64 v[53:54], v[53:54], -v[97:98]
	v_fma_f64 v[93:94], v[95:96], v[125:126], v[93:94]
	v_add_f64 v[55:56], v[55:56], -v[93:94]
	ds_read2_b64 v[93:96], v90 offset0:76 offset1:77
	s_waitcnt lgkmcnt(0)
	v_mul_f64 v[97:98], v[95:96], v[99:100]
	v_fma_f64 v[97:98], v[93:94], v[125:126], -v[97:98]
	v_mul_f64 v[93:94], v[93:94], v[99:100]
	v_add_f64 v[49:50], v[49:50], -v[97:98]
	v_fma_f64 v[93:94], v[95:96], v[125:126], v[93:94]
	v_add_f64 v[51:52], v[51:52], -v[93:94]
	ds_read2_b64 v[93:96], v90 offset0:78 offset1:79
	s_waitcnt lgkmcnt(0)
	v_mul_f64 v[97:98], v[95:96], v[99:100]
	v_fma_f64 v[97:98], v[93:94], v[125:126], -v[97:98]
	v_mul_f64 v[93:94], v[93:94], v[99:100]
	v_add_f64 v[45:46], v[45:46], -v[97:98]
	v_fma_f64 v[93:94], v[95:96], v[125:126], v[93:94]
	v_add_f64 v[47:48], v[47:48], -v[93:94]
	ds_read2_b64 v[93:96], v90 offset0:80 offset1:81
	s_waitcnt lgkmcnt(0)
	v_mul_f64 v[97:98], v[95:96], v[99:100]
	v_fma_f64 v[97:98], v[93:94], v[125:126], -v[97:98]
	v_mul_f64 v[93:94], v[93:94], v[99:100]
	v_add_f64 v[41:42], v[41:42], -v[97:98]
	v_fma_f64 v[93:94], v[95:96], v[125:126], v[93:94]
	v_add_f64 v[43:44], v[43:44], -v[93:94]
	ds_read2_b64 v[93:96], v90 offset0:82 offset1:83
	s_waitcnt lgkmcnt(0)
	v_mul_f64 v[97:98], v[95:96], v[99:100]
	v_fma_f64 v[97:98], v[93:94], v[125:126], -v[97:98]
	v_mul_f64 v[93:94], v[93:94], v[99:100]
	v_add_f64 v[37:38], v[37:38], -v[97:98]
	v_fma_f64 v[93:94], v[95:96], v[125:126], v[93:94]
	v_add_f64 v[39:40], v[39:40], -v[93:94]
	ds_read2_b64 v[93:96], v90 offset0:84 offset1:85
	s_waitcnt lgkmcnt(0)
	v_mul_f64 v[97:98], v[95:96], v[99:100]
	v_fma_f64 v[97:98], v[93:94], v[125:126], -v[97:98]
	v_mul_f64 v[93:94], v[93:94], v[99:100]
	v_add_f64 v[33:34], v[33:34], -v[97:98]
	v_fma_f64 v[93:94], v[95:96], v[125:126], v[93:94]
	v_add_f64 v[35:36], v[35:36], -v[93:94]
	ds_read2_b64 v[93:96], v90 offset0:86 offset1:87
	s_waitcnt lgkmcnt(0)
	v_mul_f64 v[97:98], v[95:96], v[99:100]
	v_fma_f64 v[97:98], v[93:94], v[125:126], -v[97:98]
	v_mul_f64 v[93:94], v[93:94], v[99:100]
	v_add_f64 v[29:30], v[29:30], -v[97:98]
	v_fma_f64 v[93:94], v[95:96], v[125:126], v[93:94]
	v_add_f64 v[31:32], v[31:32], -v[93:94]
	ds_read2_b64 v[93:96], v90 offset0:88 offset1:89
	s_waitcnt lgkmcnt(0)
	v_mul_f64 v[97:98], v[95:96], v[99:100]
	v_fma_f64 v[97:98], v[93:94], v[125:126], -v[97:98]
	v_mul_f64 v[93:94], v[93:94], v[99:100]
	v_add_f64 v[25:26], v[25:26], -v[97:98]
	v_fma_f64 v[93:94], v[95:96], v[125:126], v[93:94]
	v_add_f64 v[27:28], v[27:28], -v[93:94]
	ds_read2_b64 v[93:96], v90 offset0:90 offset1:91
	s_waitcnt lgkmcnt(0)
	v_mul_f64 v[97:98], v[95:96], v[99:100]
	v_fma_f64 v[97:98], v[93:94], v[125:126], -v[97:98]
	v_mul_f64 v[93:94], v[93:94], v[99:100]
	v_add_f64 v[21:22], v[21:22], -v[97:98]
	v_fma_f64 v[93:94], v[95:96], v[125:126], v[93:94]
	v_add_f64 v[23:24], v[23:24], -v[93:94]
	ds_read2_b64 v[93:96], v90 offset0:92 offset1:93
	s_waitcnt lgkmcnt(0)
	v_mul_f64 v[97:98], v[95:96], v[99:100]
	v_fma_f64 v[97:98], v[93:94], v[125:126], -v[97:98]
	v_mul_f64 v[93:94], v[93:94], v[99:100]
	v_add_f64 v[17:18], v[17:18], -v[97:98]
	v_fma_f64 v[93:94], v[95:96], v[125:126], v[93:94]
	v_add_f64 v[19:20], v[19:20], -v[93:94]
	ds_read2_b64 v[93:96], v90 offset0:94 offset1:95
	s_waitcnt lgkmcnt(0)
	v_mul_f64 v[97:98], v[95:96], v[99:100]
	v_fma_f64 v[97:98], v[93:94], v[125:126], -v[97:98]
	v_mul_f64 v[93:94], v[93:94], v[99:100]
	v_add_f64 v[13:14], v[13:14], -v[97:98]
	v_fma_f64 v[93:94], v[95:96], v[125:126], v[93:94]
	v_add_f64 v[15:16], v[15:16], -v[93:94]
	ds_read2_b64 v[93:96], v90 offset0:96 offset1:97
	s_waitcnt lgkmcnt(0)
	v_mul_f64 v[97:98], v[95:96], v[99:100]
	v_fma_f64 v[97:98], v[93:94], v[125:126], -v[97:98]
	v_mul_f64 v[93:94], v[93:94], v[99:100]
	v_add_f64 v[9:10], v[9:10], -v[97:98]
	v_fma_f64 v[93:94], v[95:96], v[125:126], v[93:94]
	v_add_f64 v[11:12], v[11:12], -v[93:94]
	ds_read2_b64 v[93:96], v90 offset0:98 offset1:99
	s_waitcnt lgkmcnt(0)
	v_mul_f64 v[97:98], v[95:96], v[99:100]
	v_fma_f64 v[97:98], v[93:94], v[125:126], -v[97:98]
	v_mul_f64 v[93:94], v[93:94], v[99:100]
	v_add_f64 v[5:6], v[5:6], -v[97:98]
	v_fma_f64 v[93:94], v[95:96], v[125:126], v[93:94]
	v_add_f64 v[7:8], v[7:8], -v[93:94]
	ds_read2_b64 v[93:96], v90 offset0:100 offset1:101
	s_waitcnt lgkmcnt(0)
	v_mul_f64 v[97:98], v[95:96], v[99:100]
	v_fma_f64 v[97:98], v[93:94], v[125:126], -v[97:98]
	v_mul_f64 v[93:94], v[93:94], v[99:100]
	v_add_f64 v[1:2], v[1:2], -v[97:98]
	v_fma_f64 v[93:94], v[95:96], v[125:126], v[93:94]
	v_add_f64 v[3:4], v[3:4], -v[93:94]
	ds_read2_b64 v[93:96], v90 offset0:102 offset1:103
	s_waitcnt lgkmcnt(0)
	v_mul_f64 v[97:98], v[95:96], v[99:100]
	v_fma_f64 v[97:98], v[93:94], v[125:126], -v[97:98]
	v_mul_f64 v[93:94], v[93:94], v[99:100]
	v_add_f64 v[121:122], v[121:122], -v[97:98]
	v_fma_f64 v[93:94], v[95:96], v[125:126], v[93:94]
	v_mov_b32_e32 v97, v125
	v_mov_b32_e32 v98, v126
	buffer_store_dword v97, off, s[24:27], 0 offset:224 ; 4-byte Folded Spill
	s_nop 0
	buffer_store_dword v98, off, s[24:27], 0 offset:228 ; 4-byte Folded Spill
	buffer_store_dword v99, off, s[24:27], 0 offset:232 ; 4-byte Folded Spill
	;; [unrolled: 1-line block ×3, first 2 shown]
	v_add_f64 v[123:124], v[123:124], -v[93:94]
.LBB102_314:
	s_or_b64 exec, exec, s[0:1]
	s_waitcnt vmcnt(0)
	s_barrier
	buffer_load_dword v81, off, s[24:27], 0 offset:208 ; 4-byte Folded Reload
	buffer_load_dword v82, off, s[24:27], 0 offset:212 ; 4-byte Folded Reload
	;; [unrolled: 1-line block ×4, first 2 shown]
	v_lshl_add_u32 v93, v92, 4, v90
	s_cmp_lt_i32 s3, 17
	s_waitcnt vmcnt(0)
	ds_write2_b64 v93, v[81:82], v[83:84] offset1:1
	s_waitcnt lgkmcnt(0)
	s_barrier
	ds_read2_b64 v[117:120], v90 offset0:30 offset1:31
	v_mov_b32_e32 v93, 15
	s_cbranch_scc1 .LBB102_317
; %bb.315:
	v_add_u32_e32 v94, 0x100, v90
	s_mov_b32 s0, 16
	v_mov_b32_e32 v93, 15
.LBB102_316:                            ; =>This Inner Loop Header: Depth=1
	s_waitcnt lgkmcnt(0)
	v_cmp_gt_f64_e32 vcc, 0, v[117:118]
	v_xor_b32_e32 v99, 0x80000000, v118
	ds_read2_b64 v[95:98], v94 offset1:1
	v_xor_b32_e32 v101, 0x80000000, v120
	v_add_u32_e32 v94, 16, v94
	s_waitcnt lgkmcnt(0)
	v_xor_b32_e32 v103, 0x80000000, v98
	v_cndmask_b32_e32 v100, v118, v99, vcc
	v_cmp_gt_f64_e32 vcc, 0, v[119:120]
	v_mov_b32_e32 v99, v117
	v_cndmask_b32_e32 v102, v120, v101, vcc
	v_cmp_gt_f64_e32 vcc, 0, v[95:96]
	v_mov_b32_e32 v101, v119
	v_add_f64 v[99:100], v[99:100], v[101:102]
	v_xor_b32_e32 v101, 0x80000000, v96
	v_cndmask_b32_e32 v102, v96, v101, vcc
	v_cmp_gt_f64_e32 vcc, 0, v[97:98]
	v_mov_b32_e32 v101, v95
	v_cndmask_b32_e32 v104, v98, v103, vcc
	v_mov_b32_e32 v103, v97
	v_add_f64 v[101:102], v[101:102], v[103:104]
	v_cmp_lt_f64_e32 vcc, v[99:100], v[101:102]
	v_cndmask_b32_e32 v117, v117, v95, vcc
	v_mov_b32_e32 v95, s0
	s_add_i32 s0, s0, 1
	v_cndmask_b32_e32 v118, v118, v96, vcc
	v_cndmask_b32_e32 v120, v120, v98, vcc
	;; [unrolled: 1-line block ×4, first 2 shown]
	s_cmp_lg_u32 s3, s0
	s_cbranch_scc1 .LBB102_316
.LBB102_317:
	s_waitcnt lgkmcnt(0)
	v_cmp_eq_f64_e32 vcc, 0, v[117:118]
	v_cmp_eq_f64_e64 s[0:1], 0, v[119:120]
	s_and_b64 s[0:1], vcc, s[0:1]
	s_and_saveexec_b64 s[18:19], s[0:1]
	s_xor_b64 s[0:1], exec, s[18:19]
; %bb.318:
	v_cmp_ne_u32_e32 vcc, 0, v91
	v_cndmask_b32_e32 v91, 16, v91, vcc
; %bb.319:
	s_andn2_saveexec_b64 s[0:1], s[0:1]
	s_cbranch_execz .LBB102_325
; %bb.320:
	v_cmp_ngt_f64_e64 s[18:19], |v[117:118]|, |v[119:120]|
	s_and_saveexec_b64 s[20:21], s[18:19]
	s_xor_b64 s[18:19], exec, s[20:21]
	s_cbranch_execz .LBB102_322
; %bb.321:
	v_div_scale_f64 v[94:95], s[20:21], v[119:120], v[119:120], v[117:118]
	v_rcp_f64_e32 v[96:97], v[94:95]
	v_fma_f64 v[98:99], -v[94:95], v[96:97], 1.0
	v_fma_f64 v[96:97], v[96:97], v[98:99], v[96:97]
	v_div_scale_f64 v[98:99], vcc, v[117:118], v[119:120], v[117:118]
	v_fma_f64 v[100:101], -v[94:95], v[96:97], 1.0
	v_fma_f64 v[96:97], v[96:97], v[100:101], v[96:97]
	v_mul_f64 v[100:101], v[98:99], v[96:97]
	v_fma_f64 v[94:95], -v[94:95], v[100:101], v[98:99]
	v_div_fmas_f64 v[94:95], v[94:95], v[96:97], v[100:101]
	v_div_fixup_f64 v[94:95], v[94:95], v[119:120], v[117:118]
	v_fma_f64 v[96:97], v[117:118], v[94:95], v[119:120]
	v_div_scale_f64 v[98:99], s[20:21], v[96:97], v[96:97], 1.0
	v_div_scale_f64 v[104:105], vcc, 1.0, v[96:97], 1.0
	v_rcp_f64_e32 v[100:101], v[98:99]
	v_fma_f64 v[102:103], -v[98:99], v[100:101], 1.0
	v_fma_f64 v[100:101], v[100:101], v[102:103], v[100:101]
	v_fma_f64 v[102:103], -v[98:99], v[100:101], 1.0
	v_fma_f64 v[100:101], v[100:101], v[102:103], v[100:101]
	v_mul_f64 v[102:103], v[104:105], v[100:101]
	v_fma_f64 v[98:99], -v[98:99], v[102:103], v[104:105]
	v_div_fmas_f64 v[98:99], v[98:99], v[100:101], v[102:103]
	v_div_fixup_f64 v[119:120], v[98:99], v[96:97], 1.0
	v_mul_f64 v[117:118], v[94:95], v[119:120]
	v_xor_b32_e32 v120, 0x80000000, v120
.LBB102_322:
	s_andn2_saveexec_b64 s[18:19], s[18:19]
	s_cbranch_execz .LBB102_324
; %bb.323:
	v_div_scale_f64 v[94:95], s[20:21], v[117:118], v[117:118], v[119:120]
	v_rcp_f64_e32 v[96:97], v[94:95]
	v_fma_f64 v[98:99], -v[94:95], v[96:97], 1.0
	v_fma_f64 v[96:97], v[96:97], v[98:99], v[96:97]
	v_div_scale_f64 v[98:99], vcc, v[119:120], v[117:118], v[119:120]
	v_fma_f64 v[100:101], -v[94:95], v[96:97], 1.0
	v_fma_f64 v[96:97], v[96:97], v[100:101], v[96:97]
	v_mul_f64 v[100:101], v[98:99], v[96:97]
	v_fma_f64 v[94:95], -v[94:95], v[100:101], v[98:99]
	v_div_fmas_f64 v[94:95], v[94:95], v[96:97], v[100:101]
	v_div_fixup_f64 v[94:95], v[94:95], v[117:118], v[119:120]
	v_fma_f64 v[96:97], v[119:120], v[94:95], v[117:118]
	v_div_scale_f64 v[98:99], s[20:21], v[96:97], v[96:97], 1.0
	v_div_scale_f64 v[104:105], vcc, 1.0, v[96:97], 1.0
	v_rcp_f64_e32 v[100:101], v[98:99]
	v_fma_f64 v[102:103], -v[98:99], v[100:101], 1.0
	v_fma_f64 v[100:101], v[100:101], v[102:103], v[100:101]
	v_fma_f64 v[102:103], -v[98:99], v[100:101], 1.0
	v_fma_f64 v[100:101], v[100:101], v[102:103], v[100:101]
	v_mul_f64 v[102:103], v[104:105], v[100:101]
	v_fma_f64 v[98:99], -v[98:99], v[102:103], v[104:105]
	v_div_fmas_f64 v[98:99], v[98:99], v[100:101], v[102:103]
	v_div_fixup_f64 v[117:118], v[98:99], v[96:97], 1.0
	v_mul_f64 v[119:120], v[94:95], -v[117:118]
.LBB102_324:
	s_or_b64 exec, exec, s[18:19]
.LBB102_325:
	s_or_b64 exec, exec, s[0:1]
	v_cmp_ne_u32_e32 vcc, v92, v93
	s_and_saveexec_b64 s[0:1], vcc
	s_xor_b64 s[0:1], exec, s[0:1]
	s_cbranch_execz .LBB102_331
; %bb.326:
	v_cmp_eq_u32_e32 vcc, 15, v92
	s_and_saveexec_b64 s[18:19], vcc
	s_cbranch_execz .LBB102_330
; %bb.327:
	v_cmp_ne_u32_e32 vcc, 15, v93
	s_xor_b64 s[20:21], s[6:7], -1
	s_and_b64 s[22:23], s[20:21], vcc
	s_and_saveexec_b64 s[20:21], s[22:23]
	s_cbranch_execz .LBB102_329
; %bb.328:
	buffer_load_dword v81, off, s[24:27], 0 offset:416 ; 4-byte Folded Reload
	buffer_load_dword v82, off, s[24:27], 0 offset:420 ; 4-byte Folded Reload
	v_ashrrev_i32_e32 v94, 31, v93
	v_lshlrev_b64 v[94:95], 2, v[93:94]
	s_waitcnt vmcnt(1)
	v_add_co_u32_e32 v94, vcc, v81, v94
	s_waitcnt vmcnt(0)
	v_addc_co_u32_e32 v95, vcc, v82, v95, vcc
	global_load_dword v0, v[94:95], off
	global_load_dword v92, v[81:82], off offset:60
	s_waitcnt vmcnt(1)
	global_store_dword v[81:82], v0, off offset:60
	s_waitcnt vmcnt(1)
	global_store_dword v[94:95], v92, off
.LBB102_329:
	s_or_b64 exec, exec, s[20:21]
	v_mov_b32_e32 v92, v93
	v_mov_b32_e32 v0, v93
.LBB102_330:
	s_or_b64 exec, exec, s[18:19]
.LBB102_331:
	s_andn2_saveexec_b64 s[0:1], s[0:1]
	s_cbranch_execz .LBB102_333
; %bb.332:
	buffer_load_dword v81, off, s[24:27], 0 offset:192 ; 4-byte Folded Reload
	buffer_load_dword v82, off, s[24:27], 0 offset:196 ; 4-byte Folded Reload
	;; [unrolled: 1-line block ×4, first 2 shown]
	v_mov_b32_e32 v92, 15
	s_waitcnt vmcnt(0)
	ds_write2_b64 v90, v[81:82], v[83:84] offset0:32 offset1:33
	buffer_load_dword v81, off, s[24:27], 0 offset:176 ; 4-byte Folded Reload
	buffer_load_dword v82, off, s[24:27], 0 offset:180 ; 4-byte Folded Reload
	buffer_load_dword v83, off, s[24:27], 0 offset:184 ; 4-byte Folded Reload
	buffer_load_dword v84, off, s[24:27], 0 offset:188 ; 4-byte Folded Reload
	s_waitcnt vmcnt(0)
	ds_write2_b64 v90, v[81:82], v[83:84] offset0:34 offset1:35
	buffer_load_dword v81, off, s[24:27], 0 offset:160 ; 4-byte Folded Reload
	buffer_load_dword v82, off, s[24:27], 0 offset:164 ; 4-byte Folded Reload
	buffer_load_dword v83, off, s[24:27], 0 offset:168 ; 4-byte Folded Reload
	buffer_load_dword v84, off, s[24:27], 0 offset:172 ; 4-byte Folded Reload
	;; [unrolled: 6-line block ×11, first 2 shown]
	s_waitcnt vmcnt(0)
	ds_write2_b64 v90, v[81:82], v[83:84] offset0:54 offset1:55
	buffer_load_dword v81, off, s[24:27], 0 ; 4-byte Folded Reload
	buffer_load_dword v82, off, s[24:27], 0 offset:4 ; 4-byte Folded Reload
	buffer_load_dword v83, off, s[24:27], 0 offset:8 ; 4-byte Folded Reload
	;; [unrolled: 1-line block ×3, first 2 shown]
	s_waitcnt vmcnt(0)
	ds_write2_b64 v90, v[81:82], v[83:84] offset0:56 offset1:57
	ds_write2_b64 v90, v[111:112], v[113:114] offset0:58 offset1:59
	;; [unrolled: 1-line block ×24, first 2 shown]
.LBB102_333:
	s_or_b64 exec, exec, s[0:1]
	v_cmp_lt_i32_e32 vcc, 15, v92
	s_waitcnt vmcnt(0) lgkmcnt(0)
	s_barrier
	s_and_saveexec_b64 s[0:1], vcc
	s_cbranch_execz .LBB102_335
; %bb.334:
	buffer_load_dword v97, off, s[24:27], 0 offset:208 ; 4-byte Folded Reload
	buffer_load_dword v98, off, s[24:27], 0 offset:212 ; 4-byte Folded Reload
	;; [unrolled: 1-line block ×4, first 2 shown]
	s_waitcnt vmcnt(0)
	v_mul_f64 v[93:94], v[119:120], v[99:100]
	v_fma_f64 v[125:126], v[117:118], v[97:98], -v[93:94]
	v_mul_f64 v[93:94], v[117:118], v[99:100]
	v_fma_f64 v[99:100], v[119:120], v[97:98], v[93:94]
	ds_read2_b64 v[93:96], v90 offset0:32 offset1:33
	buffer_load_dword v81, off, s[24:27], 0 offset:192 ; 4-byte Folded Reload
	buffer_load_dword v82, off, s[24:27], 0 offset:196 ; 4-byte Folded Reload
	buffer_load_dword v83, off, s[24:27], 0 offset:200 ; 4-byte Folded Reload
	buffer_load_dword v84, off, s[24:27], 0 offset:204 ; 4-byte Folded Reload
	s_waitcnt lgkmcnt(0)
	v_mul_f64 v[97:98], v[95:96], v[99:100]
	v_fma_f64 v[97:98], v[93:94], v[125:126], -v[97:98]
	v_mul_f64 v[93:94], v[93:94], v[99:100]
	v_fma_f64 v[93:94], v[95:96], v[125:126], v[93:94]
	s_waitcnt vmcnt(2)
	v_add_f64 v[81:82], v[81:82], -v[97:98]
	s_waitcnt vmcnt(0)
	v_add_f64 v[83:84], v[83:84], -v[93:94]
	buffer_store_dword v81, off, s[24:27], 0 offset:192 ; 4-byte Folded Spill
	s_nop 0
	buffer_store_dword v82, off, s[24:27], 0 offset:196 ; 4-byte Folded Spill
	buffer_store_dword v83, off, s[24:27], 0 offset:200 ; 4-byte Folded Spill
	buffer_store_dword v84, off, s[24:27], 0 offset:204 ; 4-byte Folded Spill
	ds_read2_b64 v[93:96], v90 offset0:34 offset1:35
	buffer_load_dword v81, off, s[24:27], 0 offset:176 ; 4-byte Folded Reload
	buffer_load_dword v82, off, s[24:27], 0 offset:180 ; 4-byte Folded Reload
	buffer_load_dword v83, off, s[24:27], 0 offset:184 ; 4-byte Folded Reload
	buffer_load_dword v84, off, s[24:27], 0 offset:188 ; 4-byte Folded Reload
	s_waitcnt lgkmcnt(0)
	v_mul_f64 v[97:98], v[95:96], v[99:100]
	v_fma_f64 v[97:98], v[93:94], v[125:126], -v[97:98]
	v_mul_f64 v[93:94], v[93:94], v[99:100]
	v_fma_f64 v[93:94], v[95:96], v[125:126], v[93:94]
	s_waitcnt vmcnt(2)
	v_add_f64 v[81:82], v[81:82], -v[97:98]
	s_waitcnt vmcnt(0)
	v_add_f64 v[83:84], v[83:84], -v[93:94]
	buffer_store_dword v81, off, s[24:27], 0 offset:176 ; 4-byte Folded Spill
	s_nop 0
	buffer_store_dword v82, off, s[24:27], 0 offset:180 ; 4-byte Folded Spill
	buffer_store_dword v83, off, s[24:27], 0 offset:184 ; 4-byte Folded Spill
	buffer_store_dword v84, off, s[24:27], 0 offset:188 ; 4-byte Folded Spill
	;; [unrolled: 19-line block ×12, first 2 shown]
	ds_read2_b64 v[93:96], v90 offset0:56 offset1:57
	buffer_load_dword v81, off, s[24:27], 0 ; 4-byte Folded Reload
	buffer_load_dword v82, off, s[24:27], 0 offset:4 ; 4-byte Folded Reload
	buffer_load_dword v83, off, s[24:27], 0 offset:8 ; 4-byte Folded Reload
	;; [unrolled: 1-line block ×3, first 2 shown]
	s_waitcnt lgkmcnt(0)
	v_mul_f64 v[97:98], v[95:96], v[99:100]
	v_fma_f64 v[97:98], v[93:94], v[125:126], -v[97:98]
	v_mul_f64 v[93:94], v[93:94], v[99:100]
	v_fma_f64 v[93:94], v[95:96], v[125:126], v[93:94]
	s_waitcnt vmcnt(2)
	v_add_f64 v[81:82], v[81:82], -v[97:98]
	s_waitcnt vmcnt(0)
	v_add_f64 v[83:84], v[83:84], -v[93:94]
	buffer_store_dword v81, off, s[24:27], 0 ; 4-byte Folded Spill
	s_nop 0
	buffer_store_dword v82, off, s[24:27], 0 offset:4 ; 4-byte Folded Spill
	buffer_store_dword v83, off, s[24:27], 0 offset:8 ; 4-byte Folded Spill
	buffer_store_dword v84, off, s[24:27], 0 offset:12 ; 4-byte Folded Spill
	ds_read2_b64 v[93:96], v90 offset0:58 offset1:59
	s_waitcnt lgkmcnt(0)
	v_mul_f64 v[97:98], v[95:96], v[99:100]
	v_fma_f64 v[97:98], v[93:94], v[125:126], -v[97:98]
	v_mul_f64 v[93:94], v[93:94], v[99:100]
	v_add_f64 v[111:112], v[111:112], -v[97:98]
	v_fma_f64 v[93:94], v[95:96], v[125:126], v[93:94]
	v_add_f64 v[113:114], v[113:114], -v[93:94]
	ds_read2_b64 v[93:96], v90 offset0:60 offset1:61
	s_waitcnt lgkmcnt(0)
	v_mul_f64 v[97:98], v[95:96], v[99:100]
	v_fma_f64 v[97:98], v[93:94], v[125:126], -v[97:98]
	v_mul_f64 v[93:94], v[93:94], v[99:100]
	v_add_f64 v[85:86], v[85:86], -v[97:98]
	v_fma_f64 v[93:94], v[95:96], v[125:126], v[93:94]
	v_add_f64 v[87:88], v[87:88], -v[93:94]
	;; [unrolled: 8-line block ×22, first 2 shown]
	ds_read2_b64 v[93:96], v90 offset0:102 offset1:103
	s_waitcnt lgkmcnt(0)
	v_mul_f64 v[97:98], v[95:96], v[99:100]
	v_fma_f64 v[97:98], v[93:94], v[125:126], -v[97:98]
	v_mul_f64 v[93:94], v[93:94], v[99:100]
	v_add_f64 v[121:122], v[121:122], -v[97:98]
	v_fma_f64 v[93:94], v[95:96], v[125:126], v[93:94]
	v_mov_b32_e32 v97, v125
	v_mov_b32_e32 v98, v126
	buffer_store_dword v97, off, s[24:27], 0 offset:208 ; 4-byte Folded Spill
	s_nop 0
	buffer_store_dword v98, off, s[24:27], 0 offset:212 ; 4-byte Folded Spill
	buffer_store_dword v99, off, s[24:27], 0 offset:216 ; 4-byte Folded Spill
	;; [unrolled: 1-line block ×3, first 2 shown]
	v_add_f64 v[123:124], v[123:124], -v[93:94]
.LBB102_335:
	s_or_b64 exec, exec, s[0:1]
	s_waitcnt vmcnt(0)
	s_barrier
	buffer_load_dword v81, off, s[24:27], 0 offset:192 ; 4-byte Folded Reload
	buffer_load_dword v82, off, s[24:27], 0 offset:196 ; 4-byte Folded Reload
	;; [unrolled: 1-line block ×4, first 2 shown]
	v_lshl_add_u32 v93, v92, 4, v90
	s_cmp_lt_i32 s3, 18
	s_waitcnt vmcnt(0)
	ds_write2_b64 v93, v[81:82], v[83:84] offset1:1
	s_waitcnt lgkmcnt(0)
	s_barrier
	ds_read2_b64 v[117:120], v90 offset0:32 offset1:33
	v_mov_b32_e32 v93, 16
	s_cbranch_scc1 .LBB102_338
; %bb.336:
	v_add_u32_e32 v94, 0x110, v90
	s_mov_b32 s0, 17
	v_mov_b32_e32 v93, 16
.LBB102_337:                            ; =>This Inner Loop Header: Depth=1
	s_waitcnt lgkmcnt(0)
	v_cmp_gt_f64_e32 vcc, 0, v[117:118]
	v_xor_b32_e32 v99, 0x80000000, v118
	ds_read2_b64 v[95:98], v94 offset1:1
	v_xor_b32_e32 v101, 0x80000000, v120
	v_add_u32_e32 v94, 16, v94
	s_waitcnt lgkmcnt(0)
	v_xor_b32_e32 v103, 0x80000000, v98
	v_cndmask_b32_e32 v100, v118, v99, vcc
	v_cmp_gt_f64_e32 vcc, 0, v[119:120]
	v_mov_b32_e32 v99, v117
	v_cndmask_b32_e32 v102, v120, v101, vcc
	v_cmp_gt_f64_e32 vcc, 0, v[95:96]
	v_mov_b32_e32 v101, v119
	v_add_f64 v[99:100], v[99:100], v[101:102]
	v_xor_b32_e32 v101, 0x80000000, v96
	v_cndmask_b32_e32 v102, v96, v101, vcc
	v_cmp_gt_f64_e32 vcc, 0, v[97:98]
	v_mov_b32_e32 v101, v95
	v_cndmask_b32_e32 v104, v98, v103, vcc
	v_mov_b32_e32 v103, v97
	v_add_f64 v[101:102], v[101:102], v[103:104]
	v_cmp_lt_f64_e32 vcc, v[99:100], v[101:102]
	v_cndmask_b32_e32 v117, v117, v95, vcc
	v_mov_b32_e32 v95, s0
	s_add_i32 s0, s0, 1
	v_cndmask_b32_e32 v118, v118, v96, vcc
	v_cndmask_b32_e32 v120, v120, v98, vcc
	;; [unrolled: 1-line block ×4, first 2 shown]
	s_cmp_lg_u32 s3, s0
	s_cbranch_scc1 .LBB102_337
.LBB102_338:
	s_waitcnt lgkmcnt(0)
	v_cmp_eq_f64_e32 vcc, 0, v[117:118]
	v_cmp_eq_f64_e64 s[0:1], 0, v[119:120]
	s_and_b64 s[0:1], vcc, s[0:1]
	s_and_saveexec_b64 s[18:19], s[0:1]
	s_xor_b64 s[0:1], exec, s[18:19]
; %bb.339:
	v_cmp_ne_u32_e32 vcc, 0, v91
	v_cndmask_b32_e32 v91, 17, v91, vcc
; %bb.340:
	s_andn2_saveexec_b64 s[0:1], s[0:1]
	s_cbranch_execz .LBB102_346
; %bb.341:
	v_cmp_ngt_f64_e64 s[18:19], |v[117:118]|, |v[119:120]|
	s_and_saveexec_b64 s[20:21], s[18:19]
	s_xor_b64 s[18:19], exec, s[20:21]
	s_cbranch_execz .LBB102_343
; %bb.342:
	v_div_scale_f64 v[94:95], s[20:21], v[119:120], v[119:120], v[117:118]
	v_rcp_f64_e32 v[96:97], v[94:95]
	v_fma_f64 v[98:99], -v[94:95], v[96:97], 1.0
	v_fma_f64 v[96:97], v[96:97], v[98:99], v[96:97]
	v_div_scale_f64 v[98:99], vcc, v[117:118], v[119:120], v[117:118]
	v_fma_f64 v[100:101], -v[94:95], v[96:97], 1.0
	v_fma_f64 v[96:97], v[96:97], v[100:101], v[96:97]
	v_mul_f64 v[100:101], v[98:99], v[96:97]
	v_fma_f64 v[94:95], -v[94:95], v[100:101], v[98:99]
	v_div_fmas_f64 v[94:95], v[94:95], v[96:97], v[100:101]
	v_div_fixup_f64 v[94:95], v[94:95], v[119:120], v[117:118]
	v_fma_f64 v[96:97], v[117:118], v[94:95], v[119:120]
	v_div_scale_f64 v[98:99], s[20:21], v[96:97], v[96:97], 1.0
	v_div_scale_f64 v[104:105], vcc, 1.0, v[96:97], 1.0
	v_rcp_f64_e32 v[100:101], v[98:99]
	v_fma_f64 v[102:103], -v[98:99], v[100:101], 1.0
	v_fma_f64 v[100:101], v[100:101], v[102:103], v[100:101]
	v_fma_f64 v[102:103], -v[98:99], v[100:101], 1.0
	v_fma_f64 v[100:101], v[100:101], v[102:103], v[100:101]
	v_mul_f64 v[102:103], v[104:105], v[100:101]
	v_fma_f64 v[98:99], -v[98:99], v[102:103], v[104:105]
	v_div_fmas_f64 v[98:99], v[98:99], v[100:101], v[102:103]
	v_div_fixup_f64 v[119:120], v[98:99], v[96:97], 1.0
	v_mul_f64 v[117:118], v[94:95], v[119:120]
	v_xor_b32_e32 v120, 0x80000000, v120
.LBB102_343:
	s_andn2_saveexec_b64 s[18:19], s[18:19]
	s_cbranch_execz .LBB102_345
; %bb.344:
	v_div_scale_f64 v[94:95], s[20:21], v[117:118], v[117:118], v[119:120]
	v_rcp_f64_e32 v[96:97], v[94:95]
	v_fma_f64 v[98:99], -v[94:95], v[96:97], 1.0
	v_fma_f64 v[96:97], v[96:97], v[98:99], v[96:97]
	v_div_scale_f64 v[98:99], vcc, v[119:120], v[117:118], v[119:120]
	v_fma_f64 v[100:101], -v[94:95], v[96:97], 1.0
	v_fma_f64 v[96:97], v[96:97], v[100:101], v[96:97]
	v_mul_f64 v[100:101], v[98:99], v[96:97]
	v_fma_f64 v[94:95], -v[94:95], v[100:101], v[98:99]
	v_div_fmas_f64 v[94:95], v[94:95], v[96:97], v[100:101]
	v_div_fixup_f64 v[94:95], v[94:95], v[117:118], v[119:120]
	v_fma_f64 v[96:97], v[119:120], v[94:95], v[117:118]
	v_div_scale_f64 v[98:99], s[20:21], v[96:97], v[96:97], 1.0
	v_div_scale_f64 v[104:105], vcc, 1.0, v[96:97], 1.0
	v_rcp_f64_e32 v[100:101], v[98:99]
	v_fma_f64 v[102:103], -v[98:99], v[100:101], 1.0
	v_fma_f64 v[100:101], v[100:101], v[102:103], v[100:101]
	v_fma_f64 v[102:103], -v[98:99], v[100:101], 1.0
	v_fma_f64 v[100:101], v[100:101], v[102:103], v[100:101]
	v_mul_f64 v[102:103], v[104:105], v[100:101]
	v_fma_f64 v[98:99], -v[98:99], v[102:103], v[104:105]
	v_div_fmas_f64 v[98:99], v[98:99], v[100:101], v[102:103]
	v_div_fixup_f64 v[117:118], v[98:99], v[96:97], 1.0
	v_mul_f64 v[119:120], v[94:95], -v[117:118]
.LBB102_345:
	s_or_b64 exec, exec, s[18:19]
.LBB102_346:
	s_or_b64 exec, exec, s[0:1]
	v_cmp_ne_u32_e32 vcc, v92, v93
	s_and_saveexec_b64 s[0:1], vcc
	s_xor_b64 s[0:1], exec, s[0:1]
	s_cbranch_execz .LBB102_352
; %bb.347:
	v_cmp_eq_u32_e32 vcc, 16, v92
	s_and_saveexec_b64 s[18:19], vcc
	s_cbranch_execz .LBB102_351
; %bb.348:
	v_cmp_ne_u32_e32 vcc, 16, v93
	s_xor_b64 s[20:21], s[6:7], -1
	s_and_b64 s[22:23], s[20:21], vcc
	s_and_saveexec_b64 s[20:21], s[22:23]
	s_cbranch_execz .LBB102_350
; %bb.349:
	buffer_load_dword v81, off, s[24:27], 0 offset:416 ; 4-byte Folded Reload
	buffer_load_dword v82, off, s[24:27], 0 offset:420 ; 4-byte Folded Reload
	v_ashrrev_i32_e32 v94, 31, v93
	v_lshlrev_b64 v[94:95], 2, v[93:94]
	s_waitcnt vmcnt(1)
	v_add_co_u32_e32 v94, vcc, v81, v94
	s_waitcnt vmcnt(0)
	v_addc_co_u32_e32 v95, vcc, v82, v95, vcc
	global_load_dword v0, v[94:95], off
	global_load_dword v92, v[81:82], off offset:64
	s_waitcnt vmcnt(1)
	global_store_dword v[81:82], v0, off offset:64
	s_waitcnt vmcnt(1)
	global_store_dword v[94:95], v92, off
.LBB102_350:
	s_or_b64 exec, exec, s[20:21]
	v_mov_b32_e32 v92, v93
	v_mov_b32_e32 v0, v93
.LBB102_351:
	s_or_b64 exec, exec, s[18:19]
.LBB102_352:
	s_andn2_saveexec_b64 s[0:1], s[0:1]
	s_cbranch_execz .LBB102_354
; %bb.353:
	buffer_load_dword v81, off, s[24:27], 0 offset:176 ; 4-byte Folded Reload
	buffer_load_dword v82, off, s[24:27], 0 offset:180 ; 4-byte Folded Reload
	;; [unrolled: 1-line block ×4, first 2 shown]
	v_mov_b32_e32 v92, 16
	s_waitcnt vmcnt(0)
	ds_write2_b64 v90, v[81:82], v[83:84] offset0:34 offset1:35
	buffer_load_dword v81, off, s[24:27], 0 offset:160 ; 4-byte Folded Reload
	buffer_load_dword v82, off, s[24:27], 0 offset:164 ; 4-byte Folded Reload
	buffer_load_dword v83, off, s[24:27], 0 offset:168 ; 4-byte Folded Reload
	buffer_load_dword v84, off, s[24:27], 0 offset:172 ; 4-byte Folded Reload
	s_waitcnt vmcnt(0)
	ds_write2_b64 v90, v[81:82], v[83:84] offset0:36 offset1:37
	buffer_load_dword v81, off, s[24:27], 0 offset:144 ; 4-byte Folded Reload
	buffer_load_dword v82, off, s[24:27], 0 offset:148 ; 4-byte Folded Reload
	buffer_load_dword v83, off, s[24:27], 0 offset:152 ; 4-byte Folded Reload
	buffer_load_dword v84, off, s[24:27], 0 offset:156 ; 4-byte Folded Reload
	;; [unrolled: 6-line block ×10, first 2 shown]
	s_waitcnt vmcnt(0)
	ds_write2_b64 v90, v[81:82], v[83:84] offset0:54 offset1:55
	buffer_load_dword v81, off, s[24:27], 0 ; 4-byte Folded Reload
	buffer_load_dword v82, off, s[24:27], 0 offset:4 ; 4-byte Folded Reload
	buffer_load_dword v83, off, s[24:27], 0 offset:8 ; 4-byte Folded Reload
	;; [unrolled: 1-line block ×3, first 2 shown]
	s_waitcnt vmcnt(0)
	ds_write2_b64 v90, v[81:82], v[83:84] offset0:56 offset1:57
	ds_write2_b64 v90, v[111:112], v[113:114] offset0:58 offset1:59
	;; [unrolled: 1-line block ×24, first 2 shown]
.LBB102_354:
	s_or_b64 exec, exec, s[0:1]
	v_cmp_lt_i32_e32 vcc, 16, v92
	s_waitcnt vmcnt(0) lgkmcnt(0)
	s_barrier
	s_and_saveexec_b64 s[0:1], vcc
	s_cbranch_execz .LBB102_356
; %bb.355:
	buffer_load_dword v97, off, s[24:27], 0 offset:192 ; 4-byte Folded Reload
	buffer_load_dword v98, off, s[24:27], 0 offset:196 ; 4-byte Folded Reload
	;; [unrolled: 1-line block ×4, first 2 shown]
	s_waitcnt vmcnt(0)
	v_mul_f64 v[93:94], v[119:120], v[99:100]
	v_fma_f64 v[125:126], v[117:118], v[97:98], -v[93:94]
	v_mul_f64 v[93:94], v[117:118], v[99:100]
	v_fma_f64 v[99:100], v[119:120], v[97:98], v[93:94]
	ds_read2_b64 v[93:96], v90 offset0:34 offset1:35
	buffer_load_dword v81, off, s[24:27], 0 offset:176 ; 4-byte Folded Reload
	buffer_load_dword v82, off, s[24:27], 0 offset:180 ; 4-byte Folded Reload
	buffer_load_dword v83, off, s[24:27], 0 offset:184 ; 4-byte Folded Reload
	buffer_load_dword v84, off, s[24:27], 0 offset:188 ; 4-byte Folded Reload
	s_waitcnt lgkmcnt(0)
	v_mul_f64 v[97:98], v[95:96], v[99:100]
	v_fma_f64 v[97:98], v[93:94], v[125:126], -v[97:98]
	v_mul_f64 v[93:94], v[93:94], v[99:100]
	v_fma_f64 v[93:94], v[95:96], v[125:126], v[93:94]
	s_waitcnt vmcnt(2)
	v_add_f64 v[81:82], v[81:82], -v[97:98]
	s_waitcnt vmcnt(0)
	v_add_f64 v[83:84], v[83:84], -v[93:94]
	buffer_store_dword v81, off, s[24:27], 0 offset:176 ; 4-byte Folded Spill
	s_nop 0
	buffer_store_dword v82, off, s[24:27], 0 offset:180 ; 4-byte Folded Spill
	buffer_store_dword v83, off, s[24:27], 0 offset:184 ; 4-byte Folded Spill
	buffer_store_dword v84, off, s[24:27], 0 offset:188 ; 4-byte Folded Spill
	ds_read2_b64 v[93:96], v90 offset0:36 offset1:37
	buffer_load_dword v81, off, s[24:27], 0 offset:160 ; 4-byte Folded Reload
	buffer_load_dword v82, off, s[24:27], 0 offset:164 ; 4-byte Folded Reload
	buffer_load_dword v83, off, s[24:27], 0 offset:168 ; 4-byte Folded Reload
	buffer_load_dword v84, off, s[24:27], 0 offset:172 ; 4-byte Folded Reload
	s_waitcnt lgkmcnt(0)
	v_mul_f64 v[97:98], v[95:96], v[99:100]
	v_fma_f64 v[97:98], v[93:94], v[125:126], -v[97:98]
	v_mul_f64 v[93:94], v[93:94], v[99:100]
	v_fma_f64 v[93:94], v[95:96], v[125:126], v[93:94]
	s_waitcnt vmcnt(2)
	v_add_f64 v[81:82], v[81:82], -v[97:98]
	s_waitcnt vmcnt(0)
	v_add_f64 v[83:84], v[83:84], -v[93:94]
	buffer_store_dword v81, off, s[24:27], 0 offset:160 ; 4-byte Folded Spill
	s_nop 0
	buffer_store_dword v82, off, s[24:27], 0 offset:164 ; 4-byte Folded Spill
	buffer_store_dword v83, off, s[24:27], 0 offset:168 ; 4-byte Folded Spill
	buffer_store_dword v84, off, s[24:27], 0 offset:172 ; 4-byte Folded Spill
	;; [unrolled: 19-line block ×11, first 2 shown]
	ds_read2_b64 v[93:96], v90 offset0:56 offset1:57
	buffer_load_dword v81, off, s[24:27], 0 ; 4-byte Folded Reload
	buffer_load_dword v82, off, s[24:27], 0 offset:4 ; 4-byte Folded Reload
	buffer_load_dword v83, off, s[24:27], 0 offset:8 ; 4-byte Folded Reload
	;; [unrolled: 1-line block ×3, first 2 shown]
	s_waitcnt lgkmcnt(0)
	v_mul_f64 v[97:98], v[95:96], v[99:100]
	v_fma_f64 v[97:98], v[93:94], v[125:126], -v[97:98]
	v_mul_f64 v[93:94], v[93:94], v[99:100]
	v_fma_f64 v[93:94], v[95:96], v[125:126], v[93:94]
	s_waitcnt vmcnt(2)
	v_add_f64 v[81:82], v[81:82], -v[97:98]
	s_waitcnt vmcnt(0)
	v_add_f64 v[83:84], v[83:84], -v[93:94]
	buffer_store_dword v81, off, s[24:27], 0 ; 4-byte Folded Spill
	s_nop 0
	buffer_store_dword v82, off, s[24:27], 0 offset:4 ; 4-byte Folded Spill
	buffer_store_dword v83, off, s[24:27], 0 offset:8 ; 4-byte Folded Spill
	;; [unrolled: 1-line block ×3, first 2 shown]
	ds_read2_b64 v[93:96], v90 offset0:58 offset1:59
	s_waitcnt lgkmcnt(0)
	v_mul_f64 v[97:98], v[95:96], v[99:100]
	v_fma_f64 v[97:98], v[93:94], v[125:126], -v[97:98]
	v_mul_f64 v[93:94], v[93:94], v[99:100]
	v_add_f64 v[111:112], v[111:112], -v[97:98]
	v_fma_f64 v[93:94], v[95:96], v[125:126], v[93:94]
	v_add_f64 v[113:114], v[113:114], -v[93:94]
	ds_read2_b64 v[93:96], v90 offset0:60 offset1:61
	s_waitcnt lgkmcnt(0)
	v_mul_f64 v[97:98], v[95:96], v[99:100]
	v_fma_f64 v[97:98], v[93:94], v[125:126], -v[97:98]
	v_mul_f64 v[93:94], v[93:94], v[99:100]
	v_add_f64 v[85:86], v[85:86], -v[97:98]
	v_fma_f64 v[93:94], v[95:96], v[125:126], v[93:94]
	v_add_f64 v[87:88], v[87:88], -v[93:94]
	;; [unrolled: 8-line block ×22, first 2 shown]
	ds_read2_b64 v[93:96], v90 offset0:102 offset1:103
	s_waitcnt lgkmcnt(0)
	v_mul_f64 v[97:98], v[95:96], v[99:100]
	v_fma_f64 v[97:98], v[93:94], v[125:126], -v[97:98]
	v_mul_f64 v[93:94], v[93:94], v[99:100]
	v_add_f64 v[121:122], v[121:122], -v[97:98]
	v_fma_f64 v[93:94], v[95:96], v[125:126], v[93:94]
	v_mov_b32_e32 v97, v125
	v_mov_b32_e32 v98, v126
	buffer_store_dword v97, off, s[24:27], 0 offset:192 ; 4-byte Folded Spill
	s_nop 0
	buffer_store_dword v98, off, s[24:27], 0 offset:196 ; 4-byte Folded Spill
	buffer_store_dword v99, off, s[24:27], 0 offset:200 ; 4-byte Folded Spill
	;; [unrolled: 1-line block ×3, first 2 shown]
	v_add_f64 v[123:124], v[123:124], -v[93:94]
.LBB102_356:
	s_or_b64 exec, exec, s[0:1]
	s_waitcnt vmcnt(0)
	s_barrier
	buffer_load_dword v81, off, s[24:27], 0 offset:176 ; 4-byte Folded Reload
	buffer_load_dword v82, off, s[24:27], 0 offset:180 ; 4-byte Folded Reload
	;; [unrolled: 1-line block ×4, first 2 shown]
	v_lshl_add_u32 v93, v92, 4, v90
	s_cmp_lt_i32 s3, 19
	s_waitcnt vmcnt(0)
	ds_write2_b64 v93, v[81:82], v[83:84] offset1:1
	s_waitcnt lgkmcnt(0)
	s_barrier
	ds_read2_b64 v[117:120], v90 offset0:34 offset1:35
	v_mov_b32_e32 v93, 17
	s_cbranch_scc1 .LBB102_359
; %bb.357:
	v_add_u32_e32 v94, 0x120, v90
	s_mov_b32 s0, 18
	v_mov_b32_e32 v93, 17
.LBB102_358:                            ; =>This Inner Loop Header: Depth=1
	s_waitcnt lgkmcnt(0)
	v_cmp_gt_f64_e32 vcc, 0, v[117:118]
	v_xor_b32_e32 v99, 0x80000000, v118
	ds_read2_b64 v[95:98], v94 offset1:1
	v_xor_b32_e32 v101, 0x80000000, v120
	v_add_u32_e32 v94, 16, v94
	s_waitcnt lgkmcnt(0)
	v_xor_b32_e32 v103, 0x80000000, v98
	v_cndmask_b32_e32 v100, v118, v99, vcc
	v_cmp_gt_f64_e32 vcc, 0, v[119:120]
	v_mov_b32_e32 v99, v117
	v_cndmask_b32_e32 v102, v120, v101, vcc
	v_cmp_gt_f64_e32 vcc, 0, v[95:96]
	v_mov_b32_e32 v101, v119
	v_add_f64 v[99:100], v[99:100], v[101:102]
	v_xor_b32_e32 v101, 0x80000000, v96
	v_cndmask_b32_e32 v102, v96, v101, vcc
	v_cmp_gt_f64_e32 vcc, 0, v[97:98]
	v_mov_b32_e32 v101, v95
	v_cndmask_b32_e32 v104, v98, v103, vcc
	v_mov_b32_e32 v103, v97
	v_add_f64 v[101:102], v[101:102], v[103:104]
	v_cmp_lt_f64_e32 vcc, v[99:100], v[101:102]
	v_cndmask_b32_e32 v117, v117, v95, vcc
	v_mov_b32_e32 v95, s0
	s_add_i32 s0, s0, 1
	v_cndmask_b32_e32 v118, v118, v96, vcc
	v_cndmask_b32_e32 v120, v120, v98, vcc
	;; [unrolled: 1-line block ×4, first 2 shown]
	s_cmp_lg_u32 s3, s0
	s_cbranch_scc1 .LBB102_358
.LBB102_359:
	s_waitcnt lgkmcnt(0)
	v_cmp_eq_f64_e32 vcc, 0, v[117:118]
	v_cmp_eq_f64_e64 s[0:1], 0, v[119:120]
	s_and_b64 s[0:1], vcc, s[0:1]
	s_and_saveexec_b64 s[18:19], s[0:1]
	s_xor_b64 s[0:1], exec, s[18:19]
; %bb.360:
	v_cmp_ne_u32_e32 vcc, 0, v91
	v_cndmask_b32_e32 v91, 18, v91, vcc
; %bb.361:
	s_andn2_saveexec_b64 s[0:1], s[0:1]
	s_cbranch_execz .LBB102_367
; %bb.362:
	v_cmp_ngt_f64_e64 s[18:19], |v[117:118]|, |v[119:120]|
	s_and_saveexec_b64 s[20:21], s[18:19]
	s_xor_b64 s[18:19], exec, s[20:21]
	s_cbranch_execz .LBB102_364
; %bb.363:
	v_div_scale_f64 v[94:95], s[20:21], v[119:120], v[119:120], v[117:118]
	v_rcp_f64_e32 v[96:97], v[94:95]
	v_fma_f64 v[98:99], -v[94:95], v[96:97], 1.0
	v_fma_f64 v[96:97], v[96:97], v[98:99], v[96:97]
	v_div_scale_f64 v[98:99], vcc, v[117:118], v[119:120], v[117:118]
	v_fma_f64 v[100:101], -v[94:95], v[96:97], 1.0
	v_fma_f64 v[96:97], v[96:97], v[100:101], v[96:97]
	v_mul_f64 v[100:101], v[98:99], v[96:97]
	v_fma_f64 v[94:95], -v[94:95], v[100:101], v[98:99]
	v_div_fmas_f64 v[94:95], v[94:95], v[96:97], v[100:101]
	v_div_fixup_f64 v[94:95], v[94:95], v[119:120], v[117:118]
	v_fma_f64 v[96:97], v[117:118], v[94:95], v[119:120]
	v_div_scale_f64 v[98:99], s[20:21], v[96:97], v[96:97], 1.0
	v_div_scale_f64 v[104:105], vcc, 1.0, v[96:97], 1.0
	v_rcp_f64_e32 v[100:101], v[98:99]
	v_fma_f64 v[102:103], -v[98:99], v[100:101], 1.0
	v_fma_f64 v[100:101], v[100:101], v[102:103], v[100:101]
	v_fma_f64 v[102:103], -v[98:99], v[100:101], 1.0
	v_fma_f64 v[100:101], v[100:101], v[102:103], v[100:101]
	v_mul_f64 v[102:103], v[104:105], v[100:101]
	v_fma_f64 v[98:99], -v[98:99], v[102:103], v[104:105]
	v_div_fmas_f64 v[98:99], v[98:99], v[100:101], v[102:103]
	v_div_fixup_f64 v[119:120], v[98:99], v[96:97], 1.0
	v_mul_f64 v[117:118], v[94:95], v[119:120]
	v_xor_b32_e32 v120, 0x80000000, v120
.LBB102_364:
	s_andn2_saveexec_b64 s[18:19], s[18:19]
	s_cbranch_execz .LBB102_366
; %bb.365:
	v_div_scale_f64 v[94:95], s[20:21], v[117:118], v[117:118], v[119:120]
	v_rcp_f64_e32 v[96:97], v[94:95]
	v_fma_f64 v[98:99], -v[94:95], v[96:97], 1.0
	v_fma_f64 v[96:97], v[96:97], v[98:99], v[96:97]
	v_div_scale_f64 v[98:99], vcc, v[119:120], v[117:118], v[119:120]
	v_fma_f64 v[100:101], -v[94:95], v[96:97], 1.0
	v_fma_f64 v[96:97], v[96:97], v[100:101], v[96:97]
	v_mul_f64 v[100:101], v[98:99], v[96:97]
	v_fma_f64 v[94:95], -v[94:95], v[100:101], v[98:99]
	v_div_fmas_f64 v[94:95], v[94:95], v[96:97], v[100:101]
	v_div_fixup_f64 v[94:95], v[94:95], v[117:118], v[119:120]
	v_fma_f64 v[96:97], v[119:120], v[94:95], v[117:118]
	v_div_scale_f64 v[98:99], s[20:21], v[96:97], v[96:97], 1.0
	v_div_scale_f64 v[104:105], vcc, 1.0, v[96:97], 1.0
	v_rcp_f64_e32 v[100:101], v[98:99]
	v_fma_f64 v[102:103], -v[98:99], v[100:101], 1.0
	v_fma_f64 v[100:101], v[100:101], v[102:103], v[100:101]
	v_fma_f64 v[102:103], -v[98:99], v[100:101], 1.0
	v_fma_f64 v[100:101], v[100:101], v[102:103], v[100:101]
	v_mul_f64 v[102:103], v[104:105], v[100:101]
	v_fma_f64 v[98:99], -v[98:99], v[102:103], v[104:105]
	v_div_fmas_f64 v[98:99], v[98:99], v[100:101], v[102:103]
	v_div_fixup_f64 v[117:118], v[98:99], v[96:97], 1.0
	v_mul_f64 v[119:120], v[94:95], -v[117:118]
.LBB102_366:
	s_or_b64 exec, exec, s[18:19]
.LBB102_367:
	s_or_b64 exec, exec, s[0:1]
	v_cmp_ne_u32_e32 vcc, v92, v93
	s_and_saveexec_b64 s[0:1], vcc
	s_xor_b64 s[0:1], exec, s[0:1]
	s_cbranch_execz .LBB102_373
; %bb.368:
	v_cmp_eq_u32_e32 vcc, 17, v92
	s_and_saveexec_b64 s[18:19], vcc
	s_cbranch_execz .LBB102_372
; %bb.369:
	v_cmp_ne_u32_e32 vcc, 17, v93
	s_xor_b64 s[20:21], s[6:7], -1
	s_and_b64 s[22:23], s[20:21], vcc
	s_and_saveexec_b64 s[20:21], s[22:23]
	s_cbranch_execz .LBB102_371
; %bb.370:
	buffer_load_dword v81, off, s[24:27], 0 offset:416 ; 4-byte Folded Reload
	buffer_load_dword v82, off, s[24:27], 0 offset:420 ; 4-byte Folded Reload
	v_ashrrev_i32_e32 v94, 31, v93
	v_lshlrev_b64 v[94:95], 2, v[93:94]
	s_waitcnt vmcnt(1)
	v_add_co_u32_e32 v94, vcc, v81, v94
	s_waitcnt vmcnt(0)
	v_addc_co_u32_e32 v95, vcc, v82, v95, vcc
	global_load_dword v0, v[94:95], off
	global_load_dword v92, v[81:82], off offset:68
	s_waitcnt vmcnt(1)
	global_store_dword v[81:82], v0, off offset:68
	s_waitcnt vmcnt(1)
	global_store_dword v[94:95], v92, off
.LBB102_371:
	s_or_b64 exec, exec, s[20:21]
	v_mov_b32_e32 v92, v93
	v_mov_b32_e32 v0, v93
.LBB102_372:
	s_or_b64 exec, exec, s[18:19]
.LBB102_373:
	s_andn2_saveexec_b64 s[0:1], s[0:1]
	s_cbranch_execz .LBB102_375
; %bb.374:
	buffer_load_dword v81, off, s[24:27], 0 offset:160 ; 4-byte Folded Reload
	buffer_load_dword v82, off, s[24:27], 0 offset:164 ; 4-byte Folded Reload
	;; [unrolled: 1-line block ×4, first 2 shown]
	v_mov_b32_e32 v92, 17
	s_waitcnt vmcnt(0)
	ds_write2_b64 v90, v[81:82], v[83:84] offset0:36 offset1:37
	buffer_load_dword v81, off, s[24:27], 0 offset:144 ; 4-byte Folded Reload
	buffer_load_dword v82, off, s[24:27], 0 offset:148 ; 4-byte Folded Reload
	buffer_load_dword v83, off, s[24:27], 0 offset:152 ; 4-byte Folded Reload
	buffer_load_dword v84, off, s[24:27], 0 offset:156 ; 4-byte Folded Reload
	s_waitcnt vmcnt(0)
	ds_write2_b64 v90, v[81:82], v[83:84] offset0:38 offset1:39
	buffer_load_dword v81, off, s[24:27], 0 offset:128 ; 4-byte Folded Reload
	buffer_load_dword v82, off, s[24:27], 0 offset:132 ; 4-byte Folded Reload
	buffer_load_dword v83, off, s[24:27], 0 offset:136 ; 4-byte Folded Reload
	buffer_load_dword v84, off, s[24:27], 0 offset:140 ; 4-byte Folded Reload
	;; [unrolled: 6-line block ×9, first 2 shown]
	s_waitcnt vmcnt(0)
	ds_write2_b64 v90, v[81:82], v[83:84] offset0:54 offset1:55
	buffer_load_dword v81, off, s[24:27], 0 ; 4-byte Folded Reload
	buffer_load_dword v82, off, s[24:27], 0 offset:4 ; 4-byte Folded Reload
	buffer_load_dword v83, off, s[24:27], 0 offset:8 ; 4-byte Folded Reload
	;; [unrolled: 1-line block ×3, first 2 shown]
	s_waitcnt vmcnt(0)
	ds_write2_b64 v90, v[81:82], v[83:84] offset0:56 offset1:57
	ds_write2_b64 v90, v[111:112], v[113:114] offset0:58 offset1:59
	;; [unrolled: 1-line block ×24, first 2 shown]
.LBB102_375:
	s_or_b64 exec, exec, s[0:1]
	v_cmp_lt_i32_e32 vcc, 17, v92
	s_waitcnt vmcnt(0) lgkmcnt(0)
	s_barrier
	s_and_saveexec_b64 s[0:1], vcc
	s_cbranch_execz .LBB102_377
; %bb.376:
	buffer_load_dword v97, off, s[24:27], 0 offset:176 ; 4-byte Folded Reload
	buffer_load_dword v98, off, s[24:27], 0 offset:180 ; 4-byte Folded Reload
	;; [unrolled: 1-line block ×4, first 2 shown]
	s_waitcnt vmcnt(0)
	v_mul_f64 v[93:94], v[119:120], v[99:100]
	v_fma_f64 v[125:126], v[117:118], v[97:98], -v[93:94]
	v_mul_f64 v[93:94], v[117:118], v[99:100]
	v_fma_f64 v[99:100], v[119:120], v[97:98], v[93:94]
	ds_read2_b64 v[93:96], v90 offset0:36 offset1:37
	buffer_load_dword v81, off, s[24:27], 0 offset:160 ; 4-byte Folded Reload
	buffer_load_dword v82, off, s[24:27], 0 offset:164 ; 4-byte Folded Reload
	buffer_load_dword v83, off, s[24:27], 0 offset:168 ; 4-byte Folded Reload
	buffer_load_dword v84, off, s[24:27], 0 offset:172 ; 4-byte Folded Reload
	s_waitcnt lgkmcnt(0)
	v_mul_f64 v[97:98], v[95:96], v[99:100]
	v_fma_f64 v[97:98], v[93:94], v[125:126], -v[97:98]
	v_mul_f64 v[93:94], v[93:94], v[99:100]
	v_fma_f64 v[93:94], v[95:96], v[125:126], v[93:94]
	s_waitcnt vmcnt(2)
	v_add_f64 v[81:82], v[81:82], -v[97:98]
	s_waitcnt vmcnt(0)
	v_add_f64 v[83:84], v[83:84], -v[93:94]
	buffer_store_dword v81, off, s[24:27], 0 offset:160 ; 4-byte Folded Spill
	s_nop 0
	buffer_store_dword v82, off, s[24:27], 0 offset:164 ; 4-byte Folded Spill
	buffer_store_dword v83, off, s[24:27], 0 offset:168 ; 4-byte Folded Spill
	buffer_store_dword v84, off, s[24:27], 0 offset:172 ; 4-byte Folded Spill
	ds_read2_b64 v[93:96], v90 offset0:38 offset1:39
	buffer_load_dword v81, off, s[24:27], 0 offset:144 ; 4-byte Folded Reload
	buffer_load_dword v82, off, s[24:27], 0 offset:148 ; 4-byte Folded Reload
	buffer_load_dword v83, off, s[24:27], 0 offset:152 ; 4-byte Folded Reload
	buffer_load_dword v84, off, s[24:27], 0 offset:156 ; 4-byte Folded Reload
	s_waitcnt lgkmcnt(0)
	v_mul_f64 v[97:98], v[95:96], v[99:100]
	v_fma_f64 v[97:98], v[93:94], v[125:126], -v[97:98]
	v_mul_f64 v[93:94], v[93:94], v[99:100]
	v_fma_f64 v[93:94], v[95:96], v[125:126], v[93:94]
	s_waitcnt vmcnt(2)
	v_add_f64 v[81:82], v[81:82], -v[97:98]
	s_waitcnt vmcnt(0)
	v_add_f64 v[83:84], v[83:84], -v[93:94]
	buffer_store_dword v81, off, s[24:27], 0 offset:144 ; 4-byte Folded Spill
	s_nop 0
	buffer_store_dword v82, off, s[24:27], 0 offset:148 ; 4-byte Folded Spill
	buffer_store_dword v83, off, s[24:27], 0 offset:152 ; 4-byte Folded Spill
	buffer_store_dword v84, off, s[24:27], 0 offset:156 ; 4-byte Folded Spill
	;; [unrolled: 19-line block ×10, first 2 shown]
	ds_read2_b64 v[93:96], v90 offset0:56 offset1:57
	buffer_load_dword v81, off, s[24:27], 0 ; 4-byte Folded Reload
	buffer_load_dword v82, off, s[24:27], 0 offset:4 ; 4-byte Folded Reload
	buffer_load_dword v83, off, s[24:27], 0 offset:8 ; 4-byte Folded Reload
	buffer_load_dword v84, off, s[24:27], 0 offset:12 ; 4-byte Folded Reload
	s_waitcnt lgkmcnt(0)
	v_mul_f64 v[97:98], v[95:96], v[99:100]
	v_fma_f64 v[97:98], v[93:94], v[125:126], -v[97:98]
	v_mul_f64 v[93:94], v[93:94], v[99:100]
	v_fma_f64 v[93:94], v[95:96], v[125:126], v[93:94]
	s_waitcnt vmcnt(2)
	v_add_f64 v[81:82], v[81:82], -v[97:98]
	s_waitcnt vmcnt(0)
	v_add_f64 v[83:84], v[83:84], -v[93:94]
	buffer_store_dword v81, off, s[24:27], 0 ; 4-byte Folded Spill
	s_nop 0
	buffer_store_dword v82, off, s[24:27], 0 offset:4 ; 4-byte Folded Spill
	buffer_store_dword v83, off, s[24:27], 0 offset:8 ; 4-byte Folded Spill
	;; [unrolled: 1-line block ×3, first 2 shown]
	ds_read2_b64 v[93:96], v90 offset0:58 offset1:59
	s_waitcnt lgkmcnt(0)
	v_mul_f64 v[97:98], v[95:96], v[99:100]
	v_fma_f64 v[97:98], v[93:94], v[125:126], -v[97:98]
	v_mul_f64 v[93:94], v[93:94], v[99:100]
	v_add_f64 v[111:112], v[111:112], -v[97:98]
	v_fma_f64 v[93:94], v[95:96], v[125:126], v[93:94]
	v_add_f64 v[113:114], v[113:114], -v[93:94]
	ds_read2_b64 v[93:96], v90 offset0:60 offset1:61
	s_waitcnt lgkmcnt(0)
	v_mul_f64 v[97:98], v[95:96], v[99:100]
	v_fma_f64 v[97:98], v[93:94], v[125:126], -v[97:98]
	v_mul_f64 v[93:94], v[93:94], v[99:100]
	v_add_f64 v[85:86], v[85:86], -v[97:98]
	v_fma_f64 v[93:94], v[95:96], v[125:126], v[93:94]
	v_add_f64 v[87:88], v[87:88], -v[93:94]
	;; [unrolled: 8-line block ×22, first 2 shown]
	ds_read2_b64 v[93:96], v90 offset0:102 offset1:103
	s_waitcnt lgkmcnt(0)
	v_mul_f64 v[97:98], v[95:96], v[99:100]
	v_fma_f64 v[97:98], v[93:94], v[125:126], -v[97:98]
	v_mul_f64 v[93:94], v[93:94], v[99:100]
	v_add_f64 v[121:122], v[121:122], -v[97:98]
	v_fma_f64 v[93:94], v[95:96], v[125:126], v[93:94]
	v_mov_b32_e32 v97, v125
	v_mov_b32_e32 v98, v126
	buffer_store_dword v97, off, s[24:27], 0 offset:176 ; 4-byte Folded Spill
	s_nop 0
	buffer_store_dword v98, off, s[24:27], 0 offset:180 ; 4-byte Folded Spill
	buffer_store_dword v99, off, s[24:27], 0 offset:184 ; 4-byte Folded Spill
	;; [unrolled: 1-line block ×3, first 2 shown]
	v_add_f64 v[123:124], v[123:124], -v[93:94]
.LBB102_377:
	s_or_b64 exec, exec, s[0:1]
	s_waitcnt vmcnt(0)
	s_barrier
	buffer_load_dword v81, off, s[24:27], 0 offset:160 ; 4-byte Folded Reload
	buffer_load_dword v82, off, s[24:27], 0 offset:164 ; 4-byte Folded Reload
	;; [unrolled: 1-line block ×4, first 2 shown]
	v_lshl_add_u32 v93, v92, 4, v90
	s_cmp_lt_i32 s3, 20
	s_waitcnt vmcnt(0)
	ds_write2_b64 v93, v[81:82], v[83:84] offset1:1
	s_waitcnt lgkmcnt(0)
	s_barrier
	ds_read2_b64 v[117:120], v90 offset0:36 offset1:37
	v_mov_b32_e32 v93, 18
	s_cbranch_scc1 .LBB102_380
; %bb.378:
	v_add_u32_e32 v94, 0x130, v90
	s_mov_b32 s0, 19
	v_mov_b32_e32 v93, 18
.LBB102_379:                            ; =>This Inner Loop Header: Depth=1
	s_waitcnt lgkmcnt(0)
	v_cmp_gt_f64_e32 vcc, 0, v[117:118]
	v_xor_b32_e32 v99, 0x80000000, v118
	ds_read2_b64 v[95:98], v94 offset1:1
	v_xor_b32_e32 v101, 0x80000000, v120
	v_add_u32_e32 v94, 16, v94
	s_waitcnt lgkmcnt(0)
	v_xor_b32_e32 v103, 0x80000000, v98
	v_cndmask_b32_e32 v100, v118, v99, vcc
	v_cmp_gt_f64_e32 vcc, 0, v[119:120]
	v_mov_b32_e32 v99, v117
	v_cndmask_b32_e32 v102, v120, v101, vcc
	v_cmp_gt_f64_e32 vcc, 0, v[95:96]
	v_mov_b32_e32 v101, v119
	v_add_f64 v[99:100], v[99:100], v[101:102]
	v_xor_b32_e32 v101, 0x80000000, v96
	v_cndmask_b32_e32 v102, v96, v101, vcc
	v_cmp_gt_f64_e32 vcc, 0, v[97:98]
	v_mov_b32_e32 v101, v95
	v_cndmask_b32_e32 v104, v98, v103, vcc
	v_mov_b32_e32 v103, v97
	v_add_f64 v[101:102], v[101:102], v[103:104]
	v_cmp_lt_f64_e32 vcc, v[99:100], v[101:102]
	v_cndmask_b32_e32 v117, v117, v95, vcc
	v_mov_b32_e32 v95, s0
	s_add_i32 s0, s0, 1
	v_cndmask_b32_e32 v118, v118, v96, vcc
	v_cndmask_b32_e32 v120, v120, v98, vcc
	;; [unrolled: 1-line block ×4, first 2 shown]
	s_cmp_lg_u32 s3, s0
	s_cbranch_scc1 .LBB102_379
.LBB102_380:
	s_waitcnt lgkmcnt(0)
	v_cmp_eq_f64_e32 vcc, 0, v[117:118]
	v_cmp_eq_f64_e64 s[0:1], 0, v[119:120]
	s_and_b64 s[0:1], vcc, s[0:1]
	s_and_saveexec_b64 s[18:19], s[0:1]
	s_xor_b64 s[0:1], exec, s[18:19]
; %bb.381:
	v_cmp_ne_u32_e32 vcc, 0, v91
	v_cndmask_b32_e32 v91, 19, v91, vcc
; %bb.382:
	s_andn2_saveexec_b64 s[0:1], s[0:1]
	s_cbranch_execz .LBB102_388
; %bb.383:
	v_cmp_ngt_f64_e64 s[18:19], |v[117:118]|, |v[119:120]|
	s_and_saveexec_b64 s[20:21], s[18:19]
	s_xor_b64 s[18:19], exec, s[20:21]
	s_cbranch_execz .LBB102_385
; %bb.384:
	v_div_scale_f64 v[94:95], s[20:21], v[119:120], v[119:120], v[117:118]
	v_rcp_f64_e32 v[96:97], v[94:95]
	v_fma_f64 v[98:99], -v[94:95], v[96:97], 1.0
	v_fma_f64 v[96:97], v[96:97], v[98:99], v[96:97]
	v_div_scale_f64 v[98:99], vcc, v[117:118], v[119:120], v[117:118]
	v_fma_f64 v[100:101], -v[94:95], v[96:97], 1.0
	v_fma_f64 v[96:97], v[96:97], v[100:101], v[96:97]
	v_mul_f64 v[100:101], v[98:99], v[96:97]
	v_fma_f64 v[94:95], -v[94:95], v[100:101], v[98:99]
	v_div_fmas_f64 v[94:95], v[94:95], v[96:97], v[100:101]
	v_div_fixup_f64 v[94:95], v[94:95], v[119:120], v[117:118]
	v_fma_f64 v[96:97], v[117:118], v[94:95], v[119:120]
	v_div_scale_f64 v[98:99], s[20:21], v[96:97], v[96:97], 1.0
	v_div_scale_f64 v[104:105], vcc, 1.0, v[96:97], 1.0
	v_rcp_f64_e32 v[100:101], v[98:99]
	v_fma_f64 v[102:103], -v[98:99], v[100:101], 1.0
	v_fma_f64 v[100:101], v[100:101], v[102:103], v[100:101]
	v_fma_f64 v[102:103], -v[98:99], v[100:101], 1.0
	v_fma_f64 v[100:101], v[100:101], v[102:103], v[100:101]
	v_mul_f64 v[102:103], v[104:105], v[100:101]
	v_fma_f64 v[98:99], -v[98:99], v[102:103], v[104:105]
	v_div_fmas_f64 v[98:99], v[98:99], v[100:101], v[102:103]
	v_div_fixup_f64 v[119:120], v[98:99], v[96:97], 1.0
	v_mul_f64 v[117:118], v[94:95], v[119:120]
	v_xor_b32_e32 v120, 0x80000000, v120
.LBB102_385:
	s_andn2_saveexec_b64 s[18:19], s[18:19]
	s_cbranch_execz .LBB102_387
; %bb.386:
	v_div_scale_f64 v[94:95], s[20:21], v[117:118], v[117:118], v[119:120]
	v_rcp_f64_e32 v[96:97], v[94:95]
	v_fma_f64 v[98:99], -v[94:95], v[96:97], 1.0
	v_fma_f64 v[96:97], v[96:97], v[98:99], v[96:97]
	v_div_scale_f64 v[98:99], vcc, v[119:120], v[117:118], v[119:120]
	v_fma_f64 v[100:101], -v[94:95], v[96:97], 1.0
	v_fma_f64 v[96:97], v[96:97], v[100:101], v[96:97]
	v_mul_f64 v[100:101], v[98:99], v[96:97]
	v_fma_f64 v[94:95], -v[94:95], v[100:101], v[98:99]
	v_div_fmas_f64 v[94:95], v[94:95], v[96:97], v[100:101]
	v_div_fixup_f64 v[94:95], v[94:95], v[117:118], v[119:120]
	v_fma_f64 v[96:97], v[119:120], v[94:95], v[117:118]
	v_div_scale_f64 v[98:99], s[20:21], v[96:97], v[96:97], 1.0
	v_div_scale_f64 v[104:105], vcc, 1.0, v[96:97], 1.0
	v_rcp_f64_e32 v[100:101], v[98:99]
	v_fma_f64 v[102:103], -v[98:99], v[100:101], 1.0
	v_fma_f64 v[100:101], v[100:101], v[102:103], v[100:101]
	v_fma_f64 v[102:103], -v[98:99], v[100:101], 1.0
	v_fma_f64 v[100:101], v[100:101], v[102:103], v[100:101]
	v_mul_f64 v[102:103], v[104:105], v[100:101]
	v_fma_f64 v[98:99], -v[98:99], v[102:103], v[104:105]
	v_div_fmas_f64 v[98:99], v[98:99], v[100:101], v[102:103]
	v_div_fixup_f64 v[117:118], v[98:99], v[96:97], 1.0
	v_mul_f64 v[119:120], v[94:95], -v[117:118]
.LBB102_387:
	s_or_b64 exec, exec, s[18:19]
.LBB102_388:
	s_or_b64 exec, exec, s[0:1]
	v_cmp_ne_u32_e32 vcc, v92, v93
	s_and_saveexec_b64 s[0:1], vcc
	s_xor_b64 s[0:1], exec, s[0:1]
	s_cbranch_execz .LBB102_394
; %bb.389:
	v_cmp_eq_u32_e32 vcc, 18, v92
	s_and_saveexec_b64 s[18:19], vcc
	s_cbranch_execz .LBB102_393
; %bb.390:
	v_cmp_ne_u32_e32 vcc, 18, v93
	s_xor_b64 s[20:21], s[6:7], -1
	s_and_b64 s[22:23], s[20:21], vcc
	s_and_saveexec_b64 s[20:21], s[22:23]
	s_cbranch_execz .LBB102_392
; %bb.391:
	buffer_load_dword v81, off, s[24:27], 0 offset:416 ; 4-byte Folded Reload
	buffer_load_dword v82, off, s[24:27], 0 offset:420 ; 4-byte Folded Reload
	v_ashrrev_i32_e32 v94, 31, v93
	v_lshlrev_b64 v[94:95], 2, v[93:94]
	s_waitcnt vmcnt(1)
	v_add_co_u32_e32 v94, vcc, v81, v94
	s_waitcnt vmcnt(0)
	v_addc_co_u32_e32 v95, vcc, v82, v95, vcc
	global_load_dword v0, v[94:95], off
	global_load_dword v92, v[81:82], off offset:72
	s_waitcnt vmcnt(1)
	global_store_dword v[81:82], v0, off offset:72
	s_waitcnt vmcnt(1)
	global_store_dword v[94:95], v92, off
.LBB102_392:
	s_or_b64 exec, exec, s[20:21]
	v_mov_b32_e32 v92, v93
	v_mov_b32_e32 v0, v93
.LBB102_393:
	s_or_b64 exec, exec, s[18:19]
.LBB102_394:
	s_andn2_saveexec_b64 s[0:1], s[0:1]
	s_cbranch_execz .LBB102_396
; %bb.395:
	buffer_load_dword v81, off, s[24:27], 0 offset:144 ; 4-byte Folded Reload
	buffer_load_dword v82, off, s[24:27], 0 offset:148 ; 4-byte Folded Reload
	;; [unrolled: 1-line block ×4, first 2 shown]
	v_mov_b32_e32 v92, 18
	s_waitcnt vmcnt(0)
	ds_write2_b64 v90, v[81:82], v[83:84] offset0:38 offset1:39
	buffer_load_dword v81, off, s[24:27], 0 offset:128 ; 4-byte Folded Reload
	buffer_load_dword v82, off, s[24:27], 0 offset:132 ; 4-byte Folded Reload
	buffer_load_dword v83, off, s[24:27], 0 offset:136 ; 4-byte Folded Reload
	buffer_load_dword v84, off, s[24:27], 0 offset:140 ; 4-byte Folded Reload
	s_waitcnt vmcnt(0)
	ds_write2_b64 v90, v[81:82], v[83:84] offset0:40 offset1:41
	buffer_load_dword v81, off, s[24:27], 0 offset:112 ; 4-byte Folded Reload
	buffer_load_dword v82, off, s[24:27], 0 offset:116 ; 4-byte Folded Reload
	buffer_load_dword v83, off, s[24:27], 0 offset:120 ; 4-byte Folded Reload
	buffer_load_dword v84, off, s[24:27], 0 offset:124 ; 4-byte Folded Reload
	s_waitcnt vmcnt(0)
	ds_write2_b64 v90, v[81:82], v[83:84] offset0:42 offset1:43
	buffer_load_dword v81, off, s[24:27], 0 offset:96 ; 4-byte Folded Reload
	buffer_load_dword v82, off, s[24:27], 0 offset:100 ; 4-byte Folded Reload
	buffer_load_dword v83, off, s[24:27], 0 offset:104 ; 4-byte Folded Reload
	buffer_load_dword v84, off, s[24:27], 0 offset:108 ; 4-byte Folded Reload
	s_waitcnt vmcnt(0)
	ds_write2_b64 v90, v[81:82], v[83:84] offset0:44 offset1:45
	buffer_load_dword v81, off, s[24:27], 0 offset:80 ; 4-byte Folded Reload
	buffer_load_dword v82, off, s[24:27], 0 offset:84 ; 4-byte Folded Reload
	buffer_load_dword v83, off, s[24:27], 0 offset:88 ; 4-byte Folded Reload
	buffer_load_dword v84, off, s[24:27], 0 offset:92 ; 4-byte Folded Reload
	s_waitcnt vmcnt(0)
	ds_write2_b64 v90, v[81:82], v[83:84] offset0:46 offset1:47
	buffer_load_dword v81, off, s[24:27], 0 offset:64 ; 4-byte Folded Reload
	buffer_load_dword v82, off, s[24:27], 0 offset:68 ; 4-byte Folded Reload
	buffer_load_dword v83, off, s[24:27], 0 offset:72 ; 4-byte Folded Reload
	buffer_load_dword v84, off, s[24:27], 0 offset:76 ; 4-byte Folded Reload
	s_waitcnt vmcnt(0)
	ds_write2_b64 v90, v[81:82], v[83:84] offset0:48 offset1:49
	buffer_load_dword v81, off, s[24:27], 0 offset:48 ; 4-byte Folded Reload
	buffer_load_dword v82, off, s[24:27], 0 offset:52 ; 4-byte Folded Reload
	buffer_load_dword v83, off, s[24:27], 0 offset:56 ; 4-byte Folded Reload
	buffer_load_dword v84, off, s[24:27], 0 offset:60 ; 4-byte Folded Reload
	s_waitcnt vmcnt(0)
	ds_write2_b64 v90, v[81:82], v[83:84] offset0:50 offset1:51
	buffer_load_dword v81, off, s[24:27], 0 offset:32 ; 4-byte Folded Reload
	buffer_load_dword v82, off, s[24:27], 0 offset:36 ; 4-byte Folded Reload
	buffer_load_dword v83, off, s[24:27], 0 offset:40 ; 4-byte Folded Reload
	buffer_load_dword v84, off, s[24:27], 0 offset:44 ; 4-byte Folded Reload
	s_waitcnt vmcnt(0)
	ds_write2_b64 v90, v[81:82], v[83:84] offset0:52 offset1:53
	buffer_load_dword v81, off, s[24:27], 0 offset:16 ; 4-byte Folded Reload
	buffer_load_dword v82, off, s[24:27], 0 offset:20 ; 4-byte Folded Reload
	buffer_load_dword v83, off, s[24:27], 0 offset:24 ; 4-byte Folded Reload
	buffer_load_dword v84, off, s[24:27], 0 offset:28 ; 4-byte Folded Reload
	s_waitcnt vmcnt(0)
	ds_write2_b64 v90, v[81:82], v[83:84] offset0:54 offset1:55
	buffer_load_dword v81, off, s[24:27], 0 ; 4-byte Folded Reload
	buffer_load_dword v82, off, s[24:27], 0 offset:4 ; 4-byte Folded Reload
	buffer_load_dword v83, off, s[24:27], 0 offset:8 ; 4-byte Folded Reload
	;; [unrolled: 1-line block ×3, first 2 shown]
	s_waitcnt vmcnt(0)
	ds_write2_b64 v90, v[81:82], v[83:84] offset0:56 offset1:57
	ds_write2_b64 v90, v[111:112], v[113:114] offset0:58 offset1:59
	;; [unrolled: 1-line block ×24, first 2 shown]
.LBB102_396:
	s_or_b64 exec, exec, s[0:1]
	v_cmp_lt_i32_e32 vcc, 18, v92
	s_waitcnt vmcnt(0) lgkmcnt(0)
	s_barrier
	s_and_saveexec_b64 s[0:1], vcc
	s_cbranch_execz .LBB102_398
; %bb.397:
	buffer_load_dword v97, off, s[24:27], 0 offset:160 ; 4-byte Folded Reload
	buffer_load_dword v98, off, s[24:27], 0 offset:164 ; 4-byte Folded Reload
	;; [unrolled: 1-line block ×4, first 2 shown]
	s_waitcnt vmcnt(0)
	v_mul_f64 v[93:94], v[119:120], v[99:100]
	v_fma_f64 v[125:126], v[117:118], v[97:98], -v[93:94]
	v_mul_f64 v[93:94], v[117:118], v[99:100]
	v_fma_f64 v[99:100], v[119:120], v[97:98], v[93:94]
	ds_read2_b64 v[93:96], v90 offset0:38 offset1:39
	buffer_load_dword v81, off, s[24:27], 0 offset:144 ; 4-byte Folded Reload
	buffer_load_dword v82, off, s[24:27], 0 offset:148 ; 4-byte Folded Reload
	buffer_load_dword v83, off, s[24:27], 0 offset:152 ; 4-byte Folded Reload
	buffer_load_dword v84, off, s[24:27], 0 offset:156 ; 4-byte Folded Reload
	s_waitcnt lgkmcnt(0)
	v_mul_f64 v[97:98], v[95:96], v[99:100]
	v_fma_f64 v[97:98], v[93:94], v[125:126], -v[97:98]
	v_mul_f64 v[93:94], v[93:94], v[99:100]
	v_fma_f64 v[93:94], v[95:96], v[125:126], v[93:94]
	s_waitcnt vmcnt(2)
	v_add_f64 v[81:82], v[81:82], -v[97:98]
	s_waitcnt vmcnt(0)
	v_add_f64 v[83:84], v[83:84], -v[93:94]
	buffer_store_dword v81, off, s[24:27], 0 offset:144 ; 4-byte Folded Spill
	s_nop 0
	buffer_store_dword v82, off, s[24:27], 0 offset:148 ; 4-byte Folded Spill
	buffer_store_dword v83, off, s[24:27], 0 offset:152 ; 4-byte Folded Spill
	buffer_store_dword v84, off, s[24:27], 0 offset:156 ; 4-byte Folded Spill
	ds_read2_b64 v[93:96], v90 offset0:40 offset1:41
	buffer_load_dword v81, off, s[24:27], 0 offset:128 ; 4-byte Folded Reload
	buffer_load_dword v82, off, s[24:27], 0 offset:132 ; 4-byte Folded Reload
	buffer_load_dword v83, off, s[24:27], 0 offset:136 ; 4-byte Folded Reload
	buffer_load_dword v84, off, s[24:27], 0 offset:140 ; 4-byte Folded Reload
	s_waitcnt lgkmcnt(0)
	v_mul_f64 v[97:98], v[95:96], v[99:100]
	v_fma_f64 v[97:98], v[93:94], v[125:126], -v[97:98]
	v_mul_f64 v[93:94], v[93:94], v[99:100]
	v_fma_f64 v[93:94], v[95:96], v[125:126], v[93:94]
	s_waitcnt vmcnt(2)
	v_add_f64 v[81:82], v[81:82], -v[97:98]
	s_waitcnt vmcnt(0)
	v_add_f64 v[83:84], v[83:84], -v[93:94]
	buffer_store_dword v81, off, s[24:27], 0 offset:128 ; 4-byte Folded Spill
	s_nop 0
	buffer_store_dword v82, off, s[24:27], 0 offset:132 ; 4-byte Folded Spill
	buffer_store_dword v83, off, s[24:27], 0 offset:136 ; 4-byte Folded Spill
	buffer_store_dword v84, off, s[24:27], 0 offset:140 ; 4-byte Folded Spill
	;; [unrolled: 19-line block ×9, first 2 shown]
	ds_read2_b64 v[93:96], v90 offset0:56 offset1:57
	buffer_load_dword v81, off, s[24:27], 0 ; 4-byte Folded Reload
	buffer_load_dword v82, off, s[24:27], 0 offset:4 ; 4-byte Folded Reload
	buffer_load_dword v83, off, s[24:27], 0 offset:8 ; 4-byte Folded Reload
	;; [unrolled: 1-line block ×3, first 2 shown]
	s_waitcnt lgkmcnt(0)
	v_mul_f64 v[97:98], v[95:96], v[99:100]
	v_fma_f64 v[97:98], v[93:94], v[125:126], -v[97:98]
	v_mul_f64 v[93:94], v[93:94], v[99:100]
	v_fma_f64 v[93:94], v[95:96], v[125:126], v[93:94]
	s_waitcnt vmcnt(2)
	v_add_f64 v[81:82], v[81:82], -v[97:98]
	s_waitcnt vmcnt(0)
	v_add_f64 v[83:84], v[83:84], -v[93:94]
	buffer_store_dword v81, off, s[24:27], 0 ; 4-byte Folded Spill
	s_nop 0
	buffer_store_dword v82, off, s[24:27], 0 offset:4 ; 4-byte Folded Spill
	buffer_store_dword v83, off, s[24:27], 0 offset:8 ; 4-byte Folded Spill
	;; [unrolled: 1-line block ×3, first 2 shown]
	ds_read2_b64 v[93:96], v90 offset0:58 offset1:59
	s_waitcnt lgkmcnt(0)
	v_mul_f64 v[97:98], v[95:96], v[99:100]
	v_fma_f64 v[97:98], v[93:94], v[125:126], -v[97:98]
	v_mul_f64 v[93:94], v[93:94], v[99:100]
	v_add_f64 v[111:112], v[111:112], -v[97:98]
	v_fma_f64 v[93:94], v[95:96], v[125:126], v[93:94]
	v_add_f64 v[113:114], v[113:114], -v[93:94]
	ds_read2_b64 v[93:96], v90 offset0:60 offset1:61
	s_waitcnt lgkmcnt(0)
	v_mul_f64 v[97:98], v[95:96], v[99:100]
	v_fma_f64 v[97:98], v[93:94], v[125:126], -v[97:98]
	v_mul_f64 v[93:94], v[93:94], v[99:100]
	v_add_f64 v[85:86], v[85:86], -v[97:98]
	v_fma_f64 v[93:94], v[95:96], v[125:126], v[93:94]
	v_add_f64 v[87:88], v[87:88], -v[93:94]
	;; [unrolled: 8-line block ×22, first 2 shown]
	ds_read2_b64 v[93:96], v90 offset0:102 offset1:103
	s_waitcnt lgkmcnt(0)
	v_mul_f64 v[97:98], v[95:96], v[99:100]
	v_fma_f64 v[97:98], v[93:94], v[125:126], -v[97:98]
	v_mul_f64 v[93:94], v[93:94], v[99:100]
	v_add_f64 v[121:122], v[121:122], -v[97:98]
	v_fma_f64 v[93:94], v[95:96], v[125:126], v[93:94]
	v_mov_b32_e32 v97, v125
	v_mov_b32_e32 v98, v126
	buffer_store_dword v97, off, s[24:27], 0 offset:160 ; 4-byte Folded Spill
	s_nop 0
	buffer_store_dword v98, off, s[24:27], 0 offset:164 ; 4-byte Folded Spill
	buffer_store_dword v99, off, s[24:27], 0 offset:168 ; 4-byte Folded Spill
	buffer_store_dword v100, off, s[24:27], 0 offset:172 ; 4-byte Folded Spill
	v_add_f64 v[123:124], v[123:124], -v[93:94]
.LBB102_398:
	s_or_b64 exec, exec, s[0:1]
	s_waitcnt vmcnt(0)
	s_barrier
	buffer_load_dword v81, off, s[24:27], 0 offset:144 ; 4-byte Folded Reload
	buffer_load_dword v82, off, s[24:27], 0 offset:148 ; 4-byte Folded Reload
	;; [unrolled: 1-line block ×4, first 2 shown]
	v_lshl_add_u32 v93, v92, 4, v90
	s_cmp_lt_i32 s3, 21
	s_waitcnt vmcnt(0)
	ds_write2_b64 v93, v[81:82], v[83:84] offset1:1
	s_waitcnt lgkmcnt(0)
	s_barrier
	ds_read2_b64 v[117:120], v90 offset0:38 offset1:39
	v_mov_b32_e32 v93, 19
	s_cbranch_scc1 .LBB102_401
; %bb.399:
	v_add_u32_e32 v94, 0x140, v90
	s_mov_b32 s0, 20
	v_mov_b32_e32 v93, 19
.LBB102_400:                            ; =>This Inner Loop Header: Depth=1
	s_waitcnt lgkmcnt(0)
	v_cmp_gt_f64_e32 vcc, 0, v[117:118]
	v_xor_b32_e32 v99, 0x80000000, v118
	ds_read2_b64 v[95:98], v94 offset1:1
	v_xor_b32_e32 v101, 0x80000000, v120
	v_add_u32_e32 v94, 16, v94
	s_waitcnt lgkmcnt(0)
	v_xor_b32_e32 v103, 0x80000000, v98
	v_cndmask_b32_e32 v100, v118, v99, vcc
	v_cmp_gt_f64_e32 vcc, 0, v[119:120]
	v_mov_b32_e32 v99, v117
	v_cndmask_b32_e32 v102, v120, v101, vcc
	v_cmp_gt_f64_e32 vcc, 0, v[95:96]
	v_mov_b32_e32 v101, v119
	v_add_f64 v[99:100], v[99:100], v[101:102]
	v_xor_b32_e32 v101, 0x80000000, v96
	v_cndmask_b32_e32 v102, v96, v101, vcc
	v_cmp_gt_f64_e32 vcc, 0, v[97:98]
	v_mov_b32_e32 v101, v95
	v_cndmask_b32_e32 v104, v98, v103, vcc
	v_mov_b32_e32 v103, v97
	v_add_f64 v[101:102], v[101:102], v[103:104]
	v_cmp_lt_f64_e32 vcc, v[99:100], v[101:102]
	v_cndmask_b32_e32 v117, v117, v95, vcc
	v_mov_b32_e32 v95, s0
	s_add_i32 s0, s0, 1
	v_cndmask_b32_e32 v118, v118, v96, vcc
	v_cndmask_b32_e32 v120, v120, v98, vcc
	;; [unrolled: 1-line block ×4, first 2 shown]
	s_cmp_lg_u32 s3, s0
	s_cbranch_scc1 .LBB102_400
.LBB102_401:
	s_waitcnt lgkmcnt(0)
	v_cmp_eq_f64_e32 vcc, 0, v[117:118]
	v_cmp_eq_f64_e64 s[0:1], 0, v[119:120]
	s_and_b64 s[0:1], vcc, s[0:1]
	s_and_saveexec_b64 s[18:19], s[0:1]
	s_xor_b64 s[0:1], exec, s[18:19]
; %bb.402:
	v_cmp_ne_u32_e32 vcc, 0, v91
	v_cndmask_b32_e32 v91, 20, v91, vcc
; %bb.403:
	s_andn2_saveexec_b64 s[0:1], s[0:1]
	s_cbranch_execz .LBB102_409
; %bb.404:
	v_cmp_ngt_f64_e64 s[18:19], |v[117:118]|, |v[119:120]|
	s_and_saveexec_b64 s[20:21], s[18:19]
	s_xor_b64 s[18:19], exec, s[20:21]
	s_cbranch_execz .LBB102_406
; %bb.405:
	v_div_scale_f64 v[94:95], s[20:21], v[119:120], v[119:120], v[117:118]
	v_rcp_f64_e32 v[96:97], v[94:95]
	v_fma_f64 v[98:99], -v[94:95], v[96:97], 1.0
	v_fma_f64 v[96:97], v[96:97], v[98:99], v[96:97]
	v_div_scale_f64 v[98:99], vcc, v[117:118], v[119:120], v[117:118]
	v_fma_f64 v[100:101], -v[94:95], v[96:97], 1.0
	v_fma_f64 v[96:97], v[96:97], v[100:101], v[96:97]
	v_mul_f64 v[100:101], v[98:99], v[96:97]
	v_fma_f64 v[94:95], -v[94:95], v[100:101], v[98:99]
	v_div_fmas_f64 v[94:95], v[94:95], v[96:97], v[100:101]
	v_div_fixup_f64 v[94:95], v[94:95], v[119:120], v[117:118]
	v_fma_f64 v[96:97], v[117:118], v[94:95], v[119:120]
	v_div_scale_f64 v[98:99], s[20:21], v[96:97], v[96:97], 1.0
	v_div_scale_f64 v[104:105], vcc, 1.0, v[96:97], 1.0
	v_rcp_f64_e32 v[100:101], v[98:99]
	v_fma_f64 v[102:103], -v[98:99], v[100:101], 1.0
	v_fma_f64 v[100:101], v[100:101], v[102:103], v[100:101]
	v_fma_f64 v[102:103], -v[98:99], v[100:101], 1.0
	v_fma_f64 v[100:101], v[100:101], v[102:103], v[100:101]
	v_mul_f64 v[102:103], v[104:105], v[100:101]
	v_fma_f64 v[98:99], -v[98:99], v[102:103], v[104:105]
	v_div_fmas_f64 v[98:99], v[98:99], v[100:101], v[102:103]
	v_div_fixup_f64 v[119:120], v[98:99], v[96:97], 1.0
	v_mul_f64 v[117:118], v[94:95], v[119:120]
	v_xor_b32_e32 v120, 0x80000000, v120
.LBB102_406:
	s_andn2_saveexec_b64 s[18:19], s[18:19]
	s_cbranch_execz .LBB102_408
; %bb.407:
	v_div_scale_f64 v[94:95], s[20:21], v[117:118], v[117:118], v[119:120]
	v_rcp_f64_e32 v[96:97], v[94:95]
	v_fma_f64 v[98:99], -v[94:95], v[96:97], 1.0
	v_fma_f64 v[96:97], v[96:97], v[98:99], v[96:97]
	v_div_scale_f64 v[98:99], vcc, v[119:120], v[117:118], v[119:120]
	v_fma_f64 v[100:101], -v[94:95], v[96:97], 1.0
	v_fma_f64 v[96:97], v[96:97], v[100:101], v[96:97]
	v_mul_f64 v[100:101], v[98:99], v[96:97]
	v_fma_f64 v[94:95], -v[94:95], v[100:101], v[98:99]
	v_div_fmas_f64 v[94:95], v[94:95], v[96:97], v[100:101]
	v_div_fixup_f64 v[94:95], v[94:95], v[117:118], v[119:120]
	v_fma_f64 v[96:97], v[119:120], v[94:95], v[117:118]
	v_div_scale_f64 v[98:99], s[20:21], v[96:97], v[96:97], 1.0
	v_div_scale_f64 v[104:105], vcc, 1.0, v[96:97], 1.0
	v_rcp_f64_e32 v[100:101], v[98:99]
	v_fma_f64 v[102:103], -v[98:99], v[100:101], 1.0
	v_fma_f64 v[100:101], v[100:101], v[102:103], v[100:101]
	v_fma_f64 v[102:103], -v[98:99], v[100:101], 1.0
	v_fma_f64 v[100:101], v[100:101], v[102:103], v[100:101]
	v_mul_f64 v[102:103], v[104:105], v[100:101]
	v_fma_f64 v[98:99], -v[98:99], v[102:103], v[104:105]
	v_div_fmas_f64 v[98:99], v[98:99], v[100:101], v[102:103]
	v_div_fixup_f64 v[117:118], v[98:99], v[96:97], 1.0
	v_mul_f64 v[119:120], v[94:95], -v[117:118]
.LBB102_408:
	s_or_b64 exec, exec, s[18:19]
.LBB102_409:
	s_or_b64 exec, exec, s[0:1]
	v_cmp_ne_u32_e32 vcc, v92, v93
	s_and_saveexec_b64 s[0:1], vcc
	s_xor_b64 s[0:1], exec, s[0:1]
	s_cbranch_execz .LBB102_415
; %bb.410:
	v_cmp_eq_u32_e32 vcc, 19, v92
	s_and_saveexec_b64 s[18:19], vcc
	s_cbranch_execz .LBB102_414
; %bb.411:
	v_cmp_ne_u32_e32 vcc, 19, v93
	s_xor_b64 s[20:21], s[6:7], -1
	s_and_b64 s[22:23], s[20:21], vcc
	s_and_saveexec_b64 s[20:21], s[22:23]
	s_cbranch_execz .LBB102_413
; %bb.412:
	buffer_load_dword v81, off, s[24:27], 0 offset:416 ; 4-byte Folded Reload
	buffer_load_dword v82, off, s[24:27], 0 offset:420 ; 4-byte Folded Reload
	v_ashrrev_i32_e32 v94, 31, v93
	v_lshlrev_b64 v[94:95], 2, v[93:94]
	s_waitcnt vmcnt(1)
	v_add_co_u32_e32 v94, vcc, v81, v94
	s_waitcnt vmcnt(0)
	v_addc_co_u32_e32 v95, vcc, v82, v95, vcc
	global_load_dword v0, v[94:95], off
	global_load_dword v92, v[81:82], off offset:76
	s_waitcnt vmcnt(1)
	global_store_dword v[81:82], v0, off offset:76
	s_waitcnt vmcnt(1)
	global_store_dword v[94:95], v92, off
.LBB102_413:
	s_or_b64 exec, exec, s[20:21]
	v_mov_b32_e32 v92, v93
	v_mov_b32_e32 v0, v93
.LBB102_414:
	s_or_b64 exec, exec, s[18:19]
.LBB102_415:
	s_andn2_saveexec_b64 s[0:1], s[0:1]
	s_cbranch_execz .LBB102_417
; %bb.416:
	buffer_load_dword v81, off, s[24:27], 0 offset:128 ; 4-byte Folded Reload
	buffer_load_dword v82, off, s[24:27], 0 offset:132 ; 4-byte Folded Reload
	;; [unrolled: 1-line block ×4, first 2 shown]
	v_mov_b32_e32 v92, 19
	s_waitcnt vmcnt(0)
	ds_write2_b64 v90, v[81:82], v[83:84] offset0:40 offset1:41
	buffer_load_dword v81, off, s[24:27], 0 offset:112 ; 4-byte Folded Reload
	buffer_load_dword v82, off, s[24:27], 0 offset:116 ; 4-byte Folded Reload
	buffer_load_dword v83, off, s[24:27], 0 offset:120 ; 4-byte Folded Reload
	buffer_load_dword v84, off, s[24:27], 0 offset:124 ; 4-byte Folded Reload
	s_waitcnt vmcnt(0)
	ds_write2_b64 v90, v[81:82], v[83:84] offset0:42 offset1:43
	buffer_load_dword v81, off, s[24:27], 0 offset:96 ; 4-byte Folded Reload
	buffer_load_dword v82, off, s[24:27], 0 offset:100 ; 4-byte Folded Reload
	buffer_load_dword v83, off, s[24:27], 0 offset:104 ; 4-byte Folded Reload
	buffer_load_dword v84, off, s[24:27], 0 offset:108 ; 4-byte Folded Reload
	;; [unrolled: 6-line block ×7, first 2 shown]
	s_waitcnt vmcnt(0)
	ds_write2_b64 v90, v[81:82], v[83:84] offset0:54 offset1:55
	buffer_load_dword v81, off, s[24:27], 0 ; 4-byte Folded Reload
	buffer_load_dword v82, off, s[24:27], 0 offset:4 ; 4-byte Folded Reload
	buffer_load_dword v83, off, s[24:27], 0 offset:8 ; 4-byte Folded Reload
	;; [unrolled: 1-line block ×3, first 2 shown]
	s_waitcnt vmcnt(0)
	ds_write2_b64 v90, v[81:82], v[83:84] offset0:56 offset1:57
	ds_write2_b64 v90, v[111:112], v[113:114] offset0:58 offset1:59
	;; [unrolled: 1-line block ×24, first 2 shown]
.LBB102_417:
	s_or_b64 exec, exec, s[0:1]
	v_cmp_lt_i32_e32 vcc, 19, v92
	s_waitcnt vmcnt(0) lgkmcnt(0)
	s_barrier
	s_and_saveexec_b64 s[0:1], vcc
	s_cbranch_execz .LBB102_419
; %bb.418:
	buffer_load_dword v103, off, s[24:27], 0 offset:144 ; 4-byte Folded Reload
	buffer_load_dword v104, off, s[24:27], 0 offset:148 ; 4-byte Folded Reload
	;; [unrolled: 1-line block ×4, first 2 shown]
	v_mov_b32_e32 v99, v111
	v_mov_b32_e32 v100, v112
	;; [unrolled: 1-line block ×4, first 2 shown]
	s_waitcnt vmcnt(0)
	v_mul_f64 v[93:94], v[119:120], v[105:106]
	v_fma_f64 v[113:114], v[117:118], v[103:104], -v[93:94]
	v_mul_f64 v[93:94], v[117:118], v[105:106]
	v_fma_f64 v[105:106], v[119:120], v[103:104], v[93:94]
	ds_read2_b64 v[93:96], v90 offset0:40 offset1:41
	buffer_load_dword v81, off, s[24:27], 0 offset:128 ; 4-byte Folded Reload
	buffer_load_dword v82, off, s[24:27], 0 offset:132 ; 4-byte Folded Reload
	buffer_load_dword v83, off, s[24:27], 0 offset:136 ; 4-byte Folded Reload
	buffer_load_dword v84, off, s[24:27], 0 offset:140 ; 4-byte Folded Reload
	v_mov_b32_e32 v103, v113
	v_mov_b32_e32 v104, v114
	s_waitcnt lgkmcnt(0)
	v_mul_f64 v[97:98], v[95:96], v[105:106]
	v_fma_f64 v[97:98], v[93:94], v[113:114], -v[97:98]
	v_mul_f64 v[93:94], v[93:94], v[105:106]
	v_fma_f64 v[93:94], v[95:96], v[113:114], v[93:94]
	s_waitcnt vmcnt(2)
	v_add_f64 v[81:82], v[81:82], -v[97:98]
	s_waitcnt vmcnt(0)
	v_add_f64 v[83:84], v[83:84], -v[93:94]
	buffer_store_dword v81, off, s[24:27], 0 offset:128 ; 4-byte Folded Spill
	s_nop 0
	buffer_store_dword v82, off, s[24:27], 0 offset:132 ; 4-byte Folded Spill
	buffer_store_dword v83, off, s[24:27], 0 offset:136 ; 4-byte Folded Spill
	buffer_store_dword v84, off, s[24:27], 0 offset:140 ; 4-byte Folded Spill
	ds_read2_b64 v[93:96], v90 offset0:42 offset1:43
	buffer_load_dword v81, off, s[24:27], 0 offset:112 ; 4-byte Folded Reload
	buffer_load_dword v82, off, s[24:27], 0 offset:116 ; 4-byte Folded Reload
	buffer_load_dword v83, off, s[24:27], 0 offset:120 ; 4-byte Folded Reload
	buffer_load_dword v84, off, s[24:27], 0 offset:124 ; 4-byte Folded Reload
	s_waitcnt lgkmcnt(0)
	v_mul_f64 v[97:98], v[95:96], v[105:106]
	v_fma_f64 v[97:98], v[93:94], v[113:114], -v[97:98]
	v_mul_f64 v[93:94], v[93:94], v[105:106]
	v_fma_f64 v[93:94], v[95:96], v[113:114], v[93:94]
	s_waitcnt vmcnt(2)
	v_add_f64 v[81:82], v[81:82], -v[97:98]
	s_waitcnt vmcnt(0)
	v_add_f64 v[83:84], v[83:84], -v[93:94]
	buffer_store_dword v81, off, s[24:27], 0 offset:112 ; 4-byte Folded Spill
	s_nop 0
	buffer_store_dword v82, off, s[24:27], 0 offset:116 ; 4-byte Folded Spill
	buffer_store_dword v83, off, s[24:27], 0 offset:120 ; 4-byte Folded Spill
	buffer_store_dword v84, off, s[24:27], 0 offset:124 ; 4-byte Folded Spill
	ds_read2_b64 v[93:96], v90 offset0:44 offset1:45
	buffer_load_dword v81, off, s[24:27], 0 offset:96 ; 4-byte Folded Reload
	buffer_load_dword v82, off, s[24:27], 0 offset:100 ; 4-byte Folded Reload
	buffer_load_dword v83, off, s[24:27], 0 offset:104 ; 4-byte Folded Reload
	buffer_load_dword v84, off, s[24:27], 0 offset:108 ; 4-byte Folded Reload
	;; [unrolled: 19-line block ×7, first 2 shown]
	s_waitcnt lgkmcnt(0)
	v_mul_f64 v[97:98], v[95:96], v[105:106]
	v_fma_f64 v[97:98], v[93:94], v[113:114], -v[97:98]
	v_mul_f64 v[93:94], v[93:94], v[105:106]
	v_fma_f64 v[93:94], v[95:96], v[113:114], v[93:94]
	s_waitcnt vmcnt(2)
	v_add_f64 v[81:82], v[81:82], -v[97:98]
	s_waitcnt vmcnt(0)
	v_add_f64 v[83:84], v[83:84], -v[93:94]
	buffer_store_dword v81, off, s[24:27], 0 offset:16 ; 4-byte Folded Spill
	s_nop 0
	buffer_store_dword v82, off, s[24:27], 0 offset:20 ; 4-byte Folded Spill
	buffer_store_dword v83, off, s[24:27], 0 offset:24 ; 4-byte Folded Spill
	;; [unrolled: 1-line block ×3, first 2 shown]
	ds_read2_b64 v[93:96], v90 offset0:56 offset1:57
	buffer_load_dword v81, off, s[24:27], 0 ; 4-byte Folded Reload
	buffer_load_dword v82, off, s[24:27], 0 offset:4 ; 4-byte Folded Reload
	buffer_load_dword v83, off, s[24:27], 0 offset:8 ; 4-byte Folded Reload
	;; [unrolled: 1-line block ×3, first 2 shown]
	s_waitcnt lgkmcnt(0)
	v_mul_f64 v[97:98], v[95:96], v[105:106]
	v_fma_f64 v[97:98], v[93:94], v[113:114], -v[97:98]
	v_mul_f64 v[93:94], v[93:94], v[105:106]
	v_fma_f64 v[93:94], v[95:96], v[113:114], v[93:94]
	s_waitcnt vmcnt(2)
	v_add_f64 v[81:82], v[81:82], -v[97:98]
	s_waitcnt vmcnt(0)
	v_add_f64 v[83:84], v[83:84], -v[93:94]
	buffer_store_dword v81, off, s[24:27], 0 ; 4-byte Folded Spill
	s_nop 0
	buffer_store_dword v82, off, s[24:27], 0 offset:4 ; 4-byte Folded Spill
	buffer_store_dword v83, off, s[24:27], 0 offset:8 ; 4-byte Folded Spill
	;; [unrolled: 1-line block ×3, first 2 shown]
	ds_read2_b64 v[93:96], v90 offset0:58 offset1:59
	s_waitcnt lgkmcnt(0)
	v_mul_f64 v[97:98], v[95:96], v[105:106]
	v_fma_f64 v[97:98], v[93:94], v[113:114], -v[97:98]
	v_mul_f64 v[93:94], v[93:94], v[105:106]
	v_add_f64 v[99:100], v[99:100], -v[97:98]
	v_fma_f64 v[93:94], v[95:96], v[113:114], v[93:94]
	v_add_f64 v[101:102], v[101:102], -v[93:94]
	ds_read2_b64 v[93:96], v90 offset0:60 offset1:61
	s_waitcnt lgkmcnt(0)
	v_mul_f64 v[97:98], v[95:96], v[105:106]
	v_fma_f64 v[97:98], v[93:94], v[113:114], -v[97:98]
	v_mul_f64 v[93:94], v[93:94], v[105:106]
	v_add_f64 v[85:86], v[85:86], -v[97:98]
	v_fma_f64 v[93:94], v[95:96], v[113:114], v[93:94]
	v_add_f64 v[87:88], v[87:88], -v[93:94]
	ds_read2_b64 v[93:96], v90 offset0:62 offset1:63
	s_waitcnt lgkmcnt(0)
	v_mul_f64 v[97:98], v[95:96], v[105:106]
	v_fma_f64 v[97:98], v[93:94], v[113:114], -v[97:98]
	v_mul_f64 v[93:94], v[93:94], v[105:106]
	v_add_f64 v[77:78], v[77:78], -v[97:98]
	v_fma_f64 v[93:94], v[95:96], v[113:114], v[93:94]
	v_add_f64 v[79:80], v[79:80], -v[93:94]
	ds_read2_b64 v[93:96], v90 offset0:64 offset1:65
	s_waitcnt lgkmcnt(0)
	v_mul_f64 v[97:98], v[95:96], v[105:106]
	v_fma_f64 v[97:98], v[93:94], v[113:114], -v[97:98]
	v_mul_f64 v[93:94], v[93:94], v[105:106]
	v_add_f64 v[73:74], v[73:74], -v[97:98]
	v_fma_f64 v[93:94], v[95:96], v[113:114], v[93:94]
	v_add_f64 v[75:76], v[75:76], -v[93:94]
	ds_read2_b64 v[93:96], v90 offset0:66 offset1:67
	s_waitcnt lgkmcnt(0)
	v_mul_f64 v[97:98], v[95:96], v[105:106]
	v_fma_f64 v[97:98], v[93:94], v[113:114], -v[97:98]
	v_mul_f64 v[93:94], v[93:94], v[105:106]
	v_add_f64 v[69:70], v[69:70], -v[97:98]
	v_fma_f64 v[93:94], v[95:96], v[113:114], v[93:94]
	v_add_f64 v[71:72], v[71:72], -v[93:94]
	ds_read2_b64 v[93:96], v90 offset0:68 offset1:69
	s_waitcnt lgkmcnt(0)
	v_mul_f64 v[97:98], v[95:96], v[105:106]
	v_fma_f64 v[97:98], v[93:94], v[113:114], -v[97:98]
	v_mul_f64 v[93:94], v[93:94], v[105:106]
	v_add_f64 v[65:66], v[65:66], -v[97:98]
	v_fma_f64 v[93:94], v[95:96], v[113:114], v[93:94]
	v_add_f64 v[67:68], v[67:68], -v[93:94]
	ds_read2_b64 v[93:96], v90 offset0:70 offset1:71
	s_waitcnt lgkmcnt(0)
	v_mul_f64 v[97:98], v[95:96], v[105:106]
	v_fma_f64 v[97:98], v[93:94], v[113:114], -v[97:98]
	v_mul_f64 v[93:94], v[93:94], v[105:106]
	v_add_f64 v[61:62], v[61:62], -v[97:98]
	v_fma_f64 v[93:94], v[95:96], v[113:114], v[93:94]
	v_add_f64 v[63:64], v[63:64], -v[93:94]
	ds_read2_b64 v[93:96], v90 offset0:72 offset1:73
	s_waitcnt lgkmcnt(0)
	v_mul_f64 v[97:98], v[95:96], v[105:106]
	v_fma_f64 v[97:98], v[93:94], v[113:114], -v[97:98]
	v_mul_f64 v[93:94], v[93:94], v[105:106]
	v_add_f64 v[57:58], v[57:58], -v[97:98]
	v_fma_f64 v[93:94], v[95:96], v[113:114], v[93:94]
	v_add_f64 v[59:60], v[59:60], -v[93:94]
	ds_read2_b64 v[93:96], v90 offset0:74 offset1:75
	s_waitcnt lgkmcnt(0)
	v_mul_f64 v[97:98], v[95:96], v[105:106]
	v_fma_f64 v[97:98], v[93:94], v[113:114], -v[97:98]
	v_mul_f64 v[93:94], v[93:94], v[105:106]
	v_add_f64 v[53:54], v[53:54], -v[97:98]
	v_fma_f64 v[93:94], v[95:96], v[113:114], v[93:94]
	v_add_f64 v[55:56], v[55:56], -v[93:94]
	ds_read2_b64 v[93:96], v90 offset0:76 offset1:77
	s_waitcnt lgkmcnt(0)
	v_mul_f64 v[97:98], v[95:96], v[105:106]
	v_fma_f64 v[97:98], v[93:94], v[113:114], -v[97:98]
	v_mul_f64 v[93:94], v[93:94], v[105:106]
	v_add_f64 v[49:50], v[49:50], -v[97:98]
	v_fma_f64 v[93:94], v[95:96], v[113:114], v[93:94]
	v_add_f64 v[51:52], v[51:52], -v[93:94]
	ds_read2_b64 v[93:96], v90 offset0:78 offset1:79
	s_waitcnt lgkmcnt(0)
	v_mul_f64 v[97:98], v[95:96], v[105:106]
	v_fma_f64 v[97:98], v[93:94], v[113:114], -v[97:98]
	v_mul_f64 v[93:94], v[93:94], v[105:106]
	v_add_f64 v[45:46], v[45:46], -v[97:98]
	v_fma_f64 v[93:94], v[95:96], v[113:114], v[93:94]
	v_add_f64 v[47:48], v[47:48], -v[93:94]
	ds_read2_b64 v[93:96], v90 offset0:80 offset1:81
	s_waitcnt lgkmcnt(0)
	v_mul_f64 v[97:98], v[95:96], v[105:106]
	v_fma_f64 v[97:98], v[93:94], v[113:114], -v[97:98]
	v_mul_f64 v[93:94], v[93:94], v[105:106]
	v_add_f64 v[41:42], v[41:42], -v[97:98]
	v_fma_f64 v[93:94], v[95:96], v[113:114], v[93:94]
	v_add_f64 v[43:44], v[43:44], -v[93:94]
	ds_read2_b64 v[93:96], v90 offset0:82 offset1:83
	s_waitcnt lgkmcnt(0)
	v_mul_f64 v[97:98], v[95:96], v[105:106]
	v_fma_f64 v[97:98], v[93:94], v[113:114], -v[97:98]
	v_mul_f64 v[93:94], v[93:94], v[105:106]
	v_add_f64 v[37:38], v[37:38], -v[97:98]
	v_fma_f64 v[93:94], v[95:96], v[113:114], v[93:94]
	v_add_f64 v[39:40], v[39:40], -v[93:94]
	ds_read2_b64 v[93:96], v90 offset0:84 offset1:85
	s_waitcnt lgkmcnt(0)
	v_mul_f64 v[97:98], v[95:96], v[105:106]
	v_fma_f64 v[97:98], v[93:94], v[113:114], -v[97:98]
	v_mul_f64 v[93:94], v[93:94], v[105:106]
	v_add_f64 v[33:34], v[33:34], -v[97:98]
	v_fma_f64 v[93:94], v[95:96], v[113:114], v[93:94]
	v_add_f64 v[35:36], v[35:36], -v[93:94]
	ds_read2_b64 v[93:96], v90 offset0:86 offset1:87
	s_waitcnt lgkmcnt(0)
	v_mul_f64 v[97:98], v[95:96], v[105:106]
	v_fma_f64 v[97:98], v[93:94], v[113:114], -v[97:98]
	v_mul_f64 v[93:94], v[93:94], v[105:106]
	v_add_f64 v[29:30], v[29:30], -v[97:98]
	v_fma_f64 v[93:94], v[95:96], v[113:114], v[93:94]
	v_add_f64 v[31:32], v[31:32], -v[93:94]
	ds_read2_b64 v[93:96], v90 offset0:88 offset1:89
	s_waitcnt lgkmcnt(0)
	v_mul_f64 v[97:98], v[95:96], v[105:106]
	v_fma_f64 v[97:98], v[93:94], v[113:114], -v[97:98]
	v_mul_f64 v[93:94], v[93:94], v[105:106]
	v_add_f64 v[25:26], v[25:26], -v[97:98]
	v_fma_f64 v[93:94], v[95:96], v[113:114], v[93:94]
	v_add_f64 v[27:28], v[27:28], -v[93:94]
	ds_read2_b64 v[93:96], v90 offset0:90 offset1:91
	s_waitcnt lgkmcnt(0)
	v_mul_f64 v[97:98], v[95:96], v[105:106]
	v_fma_f64 v[97:98], v[93:94], v[113:114], -v[97:98]
	v_mul_f64 v[93:94], v[93:94], v[105:106]
	v_add_f64 v[21:22], v[21:22], -v[97:98]
	v_fma_f64 v[93:94], v[95:96], v[113:114], v[93:94]
	v_add_f64 v[23:24], v[23:24], -v[93:94]
	ds_read2_b64 v[93:96], v90 offset0:92 offset1:93
	s_waitcnt lgkmcnt(0)
	v_mul_f64 v[97:98], v[95:96], v[105:106]
	v_fma_f64 v[97:98], v[93:94], v[113:114], -v[97:98]
	v_mul_f64 v[93:94], v[93:94], v[105:106]
	v_add_f64 v[17:18], v[17:18], -v[97:98]
	v_fma_f64 v[93:94], v[95:96], v[113:114], v[93:94]
	v_add_f64 v[19:20], v[19:20], -v[93:94]
	ds_read2_b64 v[93:96], v90 offset0:94 offset1:95
	s_waitcnt lgkmcnt(0)
	v_mul_f64 v[97:98], v[95:96], v[105:106]
	v_fma_f64 v[97:98], v[93:94], v[113:114], -v[97:98]
	v_mul_f64 v[93:94], v[93:94], v[105:106]
	v_add_f64 v[13:14], v[13:14], -v[97:98]
	v_fma_f64 v[93:94], v[95:96], v[113:114], v[93:94]
	v_add_f64 v[15:16], v[15:16], -v[93:94]
	ds_read2_b64 v[93:96], v90 offset0:96 offset1:97
	s_waitcnt lgkmcnt(0)
	v_mul_f64 v[97:98], v[95:96], v[105:106]
	v_fma_f64 v[97:98], v[93:94], v[113:114], -v[97:98]
	v_mul_f64 v[93:94], v[93:94], v[105:106]
	v_add_f64 v[9:10], v[9:10], -v[97:98]
	v_fma_f64 v[93:94], v[95:96], v[113:114], v[93:94]
	v_add_f64 v[11:12], v[11:12], -v[93:94]
	ds_read2_b64 v[93:96], v90 offset0:98 offset1:99
	s_waitcnt lgkmcnt(0)
	v_mul_f64 v[97:98], v[95:96], v[105:106]
	v_fma_f64 v[97:98], v[93:94], v[113:114], -v[97:98]
	v_mul_f64 v[93:94], v[93:94], v[105:106]
	v_add_f64 v[5:6], v[5:6], -v[97:98]
	v_fma_f64 v[93:94], v[95:96], v[113:114], v[93:94]
	v_add_f64 v[7:8], v[7:8], -v[93:94]
	ds_read2_b64 v[93:96], v90 offset0:100 offset1:101
	s_waitcnt lgkmcnt(0)
	v_mul_f64 v[97:98], v[95:96], v[105:106]
	v_fma_f64 v[97:98], v[93:94], v[113:114], -v[97:98]
	v_mul_f64 v[93:94], v[93:94], v[105:106]
	v_add_f64 v[1:2], v[1:2], -v[97:98]
	v_fma_f64 v[93:94], v[95:96], v[113:114], v[93:94]
	v_add_f64 v[3:4], v[3:4], -v[93:94]
	ds_read2_b64 v[93:96], v90 offset0:102 offset1:103
	s_waitcnt lgkmcnt(0)
	v_mul_f64 v[97:98], v[95:96], v[105:106]
	v_fma_f64 v[97:98], v[93:94], v[113:114], -v[97:98]
	v_mul_f64 v[93:94], v[93:94], v[105:106]
	buffer_store_dword v103, off, s[24:27], 0 offset:144 ; 4-byte Folded Spill
	s_nop 0
	buffer_store_dword v104, off, s[24:27], 0 offset:148 ; 4-byte Folded Spill
	buffer_store_dword v105, off, s[24:27], 0 offset:152 ; 4-byte Folded Spill
	;; [unrolled: 1-line block ×3, first 2 shown]
	v_add_f64 v[121:122], v[121:122], -v[97:98]
	v_fma_f64 v[93:94], v[95:96], v[113:114], v[93:94]
	v_mov_b32_e32 v114, v102
	v_mov_b32_e32 v113, v101
	;; [unrolled: 1-line block ×4, first 2 shown]
	v_add_f64 v[123:124], v[123:124], -v[93:94]
.LBB102_419:
	s_or_b64 exec, exec, s[0:1]
	s_waitcnt vmcnt(0)
	s_barrier
	buffer_load_dword v81, off, s[24:27], 0 offset:128 ; 4-byte Folded Reload
	buffer_load_dword v82, off, s[24:27], 0 offset:132 ; 4-byte Folded Reload
	buffer_load_dword v83, off, s[24:27], 0 offset:136 ; 4-byte Folded Reload
	buffer_load_dword v84, off, s[24:27], 0 offset:140 ; 4-byte Folded Reload
	v_lshl_add_u32 v93, v92, 4, v90
	s_cmp_lt_i32 s3, 22
	s_waitcnt vmcnt(0)
	ds_write2_b64 v93, v[81:82], v[83:84] offset1:1
	s_waitcnt lgkmcnt(0)
	s_barrier
	ds_read2_b64 v[117:120], v90 offset0:40 offset1:41
	v_mov_b32_e32 v93, 20
	s_cbranch_scc1 .LBB102_422
; %bb.420:
	v_add_u32_e32 v94, 0x150, v90
	s_mov_b32 s0, 21
	v_mov_b32_e32 v93, 20
.LBB102_421:                            ; =>This Inner Loop Header: Depth=1
	s_waitcnt lgkmcnt(0)
	v_cmp_gt_f64_e32 vcc, 0, v[117:118]
	v_xor_b32_e32 v99, 0x80000000, v118
	ds_read2_b64 v[95:98], v94 offset1:1
	v_xor_b32_e32 v101, 0x80000000, v120
	v_add_u32_e32 v94, 16, v94
	s_waitcnt lgkmcnt(0)
	v_xor_b32_e32 v103, 0x80000000, v98
	v_cndmask_b32_e32 v100, v118, v99, vcc
	v_cmp_gt_f64_e32 vcc, 0, v[119:120]
	v_mov_b32_e32 v99, v117
	v_cndmask_b32_e32 v102, v120, v101, vcc
	v_cmp_gt_f64_e32 vcc, 0, v[95:96]
	v_mov_b32_e32 v101, v119
	v_add_f64 v[99:100], v[99:100], v[101:102]
	v_xor_b32_e32 v101, 0x80000000, v96
	v_cndmask_b32_e32 v102, v96, v101, vcc
	v_cmp_gt_f64_e32 vcc, 0, v[97:98]
	v_mov_b32_e32 v101, v95
	v_cndmask_b32_e32 v104, v98, v103, vcc
	v_mov_b32_e32 v103, v97
	v_add_f64 v[101:102], v[101:102], v[103:104]
	v_cmp_lt_f64_e32 vcc, v[99:100], v[101:102]
	v_cndmask_b32_e32 v117, v117, v95, vcc
	v_mov_b32_e32 v95, s0
	s_add_i32 s0, s0, 1
	v_cndmask_b32_e32 v118, v118, v96, vcc
	v_cndmask_b32_e32 v120, v120, v98, vcc
	;; [unrolled: 1-line block ×4, first 2 shown]
	s_cmp_lg_u32 s3, s0
	s_cbranch_scc1 .LBB102_421
.LBB102_422:
	s_waitcnt lgkmcnt(0)
	v_cmp_eq_f64_e32 vcc, 0, v[117:118]
	v_cmp_eq_f64_e64 s[0:1], 0, v[119:120]
	s_and_b64 s[0:1], vcc, s[0:1]
	s_and_saveexec_b64 s[18:19], s[0:1]
	s_xor_b64 s[0:1], exec, s[18:19]
; %bb.423:
	v_cmp_ne_u32_e32 vcc, 0, v91
	v_cndmask_b32_e32 v91, 21, v91, vcc
; %bb.424:
	s_andn2_saveexec_b64 s[0:1], s[0:1]
	s_cbranch_execz .LBB102_430
; %bb.425:
	v_cmp_ngt_f64_e64 s[18:19], |v[117:118]|, |v[119:120]|
	s_and_saveexec_b64 s[20:21], s[18:19]
	s_xor_b64 s[18:19], exec, s[20:21]
	s_cbranch_execz .LBB102_427
; %bb.426:
	v_div_scale_f64 v[94:95], s[20:21], v[119:120], v[119:120], v[117:118]
	v_rcp_f64_e32 v[96:97], v[94:95]
	v_fma_f64 v[98:99], -v[94:95], v[96:97], 1.0
	v_fma_f64 v[96:97], v[96:97], v[98:99], v[96:97]
	v_div_scale_f64 v[98:99], vcc, v[117:118], v[119:120], v[117:118]
	v_fma_f64 v[100:101], -v[94:95], v[96:97], 1.0
	v_fma_f64 v[96:97], v[96:97], v[100:101], v[96:97]
	v_mul_f64 v[100:101], v[98:99], v[96:97]
	v_fma_f64 v[94:95], -v[94:95], v[100:101], v[98:99]
	v_div_fmas_f64 v[94:95], v[94:95], v[96:97], v[100:101]
	v_div_fixup_f64 v[94:95], v[94:95], v[119:120], v[117:118]
	v_fma_f64 v[96:97], v[117:118], v[94:95], v[119:120]
	v_div_scale_f64 v[98:99], s[20:21], v[96:97], v[96:97], 1.0
	v_div_scale_f64 v[104:105], vcc, 1.0, v[96:97], 1.0
	v_rcp_f64_e32 v[100:101], v[98:99]
	v_fma_f64 v[102:103], -v[98:99], v[100:101], 1.0
	v_fma_f64 v[100:101], v[100:101], v[102:103], v[100:101]
	v_fma_f64 v[102:103], -v[98:99], v[100:101], 1.0
	v_fma_f64 v[100:101], v[100:101], v[102:103], v[100:101]
	v_mul_f64 v[102:103], v[104:105], v[100:101]
	v_fma_f64 v[98:99], -v[98:99], v[102:103], v[104:105]
	v_div_fmas_f64 v[98:99], v[98:99], v[100:101], v[102:103]
	v_div_fixup_f64 v[119:120], v[98:99], v[96:97], 1.0
	v_mul_f64 v[117:118], v[94:95], v[119:120]
	v_xor_b32_e32 v120, 0x80000000, v120
.LBB102_427:
	s_andn2_saveexec_b64 s[18:19], s[18:19]
	s_cbranch_execz .LBB102_429
; %bb.428:
	v_div_scale_f64 v[94:95], s[20:21], v[117:118], v[117:118], v[119:120]
	v_rcp_f64_e32 v[96:97], v[94:95]
	v_fma_f64 v[98:99], -v[94:95], v[96:97], 1.0
	v_fma_f64 v[96:97], v[96:97], v[98:99], v[96:97]
	v_div_scale_f64 v[98:99], vcc, v[119:120], v[117:118], v[119:120]
	v_fma_f64 v[100:101], -v[94:95], v[96:97], 1.0
	v_fma_f64 v[96:97], v[96:97], v[100:101], v[96:97]
	v_mul_f64 v[100:101], v[98:99], v[96:97]
	v_fma_f64 v[94:95], -v[94:95], v[100:101], v[98:99]
	v_div_fmas_f64 v[94:95], v[94:95], v[96:97], v[100:101]
	v_div_fixup_f64 v[94:95], v[94:95], v[117:118], v[119:120]
	v_fma_f64 v[96:97], v[119:120], v[94:95], v[117:118]
	v_div_scale_f64 v[98:99], s[20:21], v[96:97], v[96:97], 1.0
	v_div_scale_f64 v[104:105], vcc, 1.0, v[96:97], 1.0
	v_rcp_f64_e32 v[100:101], v[98:99]
	v_fma_f64 v[102:103], -v[98:99], v[100:101], 1.0
	v_fma_f64 v[100:101], v[100:101], v[102:103], v[100:101]
	v_fma_f64 v[102:103], -v[98:99], v[100:101], 1.0
	v_fma_f64 v[100:101], v[100:101], v[102:103], v[100:101]
	v_mul_f64 v[102:103], v[104:105], v[100:101]
	v_fma_f64 v[98:99], -v[98:99], v[102:103], v[104:105]
	v_div_fmas_f64 v[98:99], v[98:99], v[100:101], v[102:103]
	v_div_fixup_f64 v[117:118], v[98:99], v[96:97], 1.0
	v_mul_f64 v[119:120], v[94:95], -v[117:118]
.LBB102_429:
	s_or_b64 exec, exec, s[18:19]
.LBB102_430:
	s_or_b64 exec, exec, s[0:1]
	v_cmp_ne_u32_e32 vcc, v92, v93
	s_and_saveexec_b64 s[0:1], vcc
	s_xor_b64 s[0:1], exec, s[0:1]
	s_cbranch_execz .LBB102_436
; %bb.431:
	v_cmp_eq_u32_e32 vcc, 20, v92
	s_and_saveexec_b64 s[18:19], vcc
	s_cbranch_execz .LBB102_435
; %bb.432:
	v_cmp_ne_u32_e32 vcc, 20, v93
	s_xor_b64 s[20:21], s[6:7], -1
	s_and_b64 s[22:23], s[20:21], vcc
	s_and_saveexec_b64 s[20:21], s[22:23]
	s_cbranch_execz .LBB102_434
; %bb.433:
	buffer_load_dword v81, off, s[24:27], 0 offset:416 ; 4-byte Folded Reload
	buffer_load_dword v82, off, s[24:27], 0 offset:420 ; 4-byte Folded Reload
	v_ashrrev_i32_e32 v94, 31, v93
	v_lshlrev_b64 v[94:95], 2, v[93:94]
	s_waitcnt vmcnt(1)
	v_add_co_u32_e32 v94, vcc, v81, v94
	s_waitcnt vmcnt(0)
	v_addc_co_u32_e32 v95, vcc, v82, v95, vcc
	global_load_dword v0, v[94:95], off
	global_load_dword v92, v[81:82], off offset:80
	s_waitcnt vmcnt(1)
	global_store_dword v[81:82], v0, off offset:80
	s_waitcnt vmcnt(1)
	global_store_dword v[94:95], v92, off
.LBB102_434:
	s_or_b64 exec, exec, s[20:21]
	v_mov_b32_e32 v92, v93
	v_mov_b32_e32 v0, v93
.LBB102_435:
	s_or_b64 exec, exec, s[18:19]
.LBB102_436:
	s_andn2_saveexec_b64 s[0:1], s[0:1]
	s_cbranch_execz .LBB102_438
; %bb.437:
	buffer_load_dword v81, off, s[24:27], 0 offset:112 ; 4-byte Folded Reload
	buffer_load_dword v82, off, s[24:27], 0 offset:116 ; 4-byte Folded Reload
	;; [unrolled: 1-line block ×4, first 2 shown]
	v_mov_b32_e32 v92, 20
	s_waitcnt vmcnt(0)
	ds_write2_b64 v90, v[81:82], v[83:84] offset0:42 offset1:43
	buffer_load_dword v81, off, s[24:27], 0 offset:96 ; 4-byte Folded Reload
	buffer_load_dword v82, off, s[24:27], 0 offset:100 ; 4-byte Folded Reload
	buffer_load_dword v83, off, s[24:27], 0 offset:104 ; 4-byte Folded Reload
	buffer_load_dword v84, off, s[24:27], 0 offset:108 ; 4-byte Folded Reload
	s_waitcnt vmcnt(0)
	ds_write2_b64 v90, v[81:82], v[83:84] offset0:44 offset1:45
	buffer_load_dword v81, off, s[24:27], 0 offset:80 ; 4-byte Folded Reload
	buffer_load_dword v82, off, s[24:27], 0 offset:84 ; 4-byte Folded Reload
	buffer_load_dword v83, off, s[24:27], 0 offset:88 ; 4-byte Folded Reload
	buffer_load_dword v84, off, s[24:27], 0 offset:92 ; 4-byte Folded Reload
	;; [unrolled: 6-line block ×6, first 2 shown]
	s_waitcnt vmcnt(0)
	ds_write2_b64 v90, v[81:82], v[83:84] offset0:54 offset1:55
	buffer_load_dword v81, off, s[24:27], 0 ; 4-byte Folded Reload
	buffer_load_dword v82, off, s[24:27], 0 offset:4 ; 4-byte Folded Reload
	buffer_load_dword v83, off, s[24:27], 0 offset:8 ; 4-byte Folded Reload
	;; [unrolled: 1-line block ×3, first 2 shown]
	s_waitcnt vmcnt(0)
	ds_write2_b64 v90, v[81:82], v[83:84] offset0:56 offset1:57
	ds_write2_b64 v90, v[111:112], v[113:114] offset0:58 offset1:59
	;; [unrolled: 1-line block ×24, first 2 shown]
.LBB102_438:
	s_or_b64 exec, exec, s[0:1]
	v_cmp_lt_i32_e32 vcc, 20, v92
	s_waitcnt vmcnt(0) lgkmcnt(0)
	s_barrier
	s_and_saveexec_b64 s[0:1], vcc
	s_cbranch_execz .LBB102_440
; %bb.439:
	buffer_load_dword v99, off, s[24:27], 0 offset:128 ; 4-byte Folded Reload
	buffer_load_dword v100, off, s[24:27], 0 offset:132 ; 4-byte Folded Reload
	buffer_load_dword v101, off, s[24:27], 0 offset:136 ; 4-byte Folded Reload
	buffer_load_dword v102, off, s[24:27], 0 offset:140 ; 4-byte Folded Reload
	s_waitcnt vmcnt(0)
	v_mul_f64 v[95:96], v[117:118], v[101:102]
	v_mul_f64 v[93:94], v[119:120], v[101:102]
	v_fma_f64 v[101:102], v[119:120], v[99:100], v[95:96]
	ds_read2_b64 v[95:98], v90 offset0:42 offset1:43
	buffer_load_dword v81, off, s[24:27], 0 offset:112 ; 4-byte Folded Reload
	buffer_load_dword v82, off, s[24:27], 0 offset:116 ; 4-byte Folded Reload
	;; [unrolled: 1-line block ×4, first 2 shown]
	v_fma_f64 v[93:94], v[117:118], v[99:100], -v[93:94]
	s_waitcnt lgkmcnt(0)
	v_mul_f64 v[99:100], v[97:98], v[101:102]
	v_fma_f64 v[99:100], v[95:96], v[93:94], -v[99:100]
	v_mul_f64 v[95:96], v[95:96], v[101:102]
	v_fma_f64 v[95:96], v[97:98], v[93:94], v[95:96]
	s_waitcnt vmcnt(2)
	v_add_f64 v[81:82], v[81:82], -v[99:100]
	s_waitcnt vmcnt(0)
	v_add_f64 v[83:84], v[83:84], -v[95:96]
	buffer_store_dword v81, off, s[24:27], 0 offset:112 ; 4-byte Folded Spill
	s_nop 0
	buffer_store_dword v82, off, s[24:27], 0 offset:116 ; 4-byte Folded Spill
	buffer_store_dword v83, off, s[24:27], 0 offset:120 ; 4-byte Folded Spill
	buffer_store_dword v84, off, s[24:27], 0 offset:124 ; 4-byte Folded Spill
	ds_read2_b64 v[95:98], v90 offset0:44 offset1:45
	buffer_load_dword v81, off, s[24:27], 0 offset:96 ; 4-byte Folded Reload
	buffer_load_dword v82, off, s[24:27], 0 offset:100 ; 4-byte Folded Reload
	buffer_load_dword v83, off, s[24:27], 0 offset:104 ; 4-byte Folded Reload
	buffer_load_dword v84, off, s[24:27], 0 offset:108 ; 4-byte Folded Reload
	s_waitcnt lgkmcnt(0)
	v_mul_f64 v[99:100], v[97:98], v[101:102]
	v_fma_f64 v[99:100], v[95:96], v[93:94], -v[99:100]
	v_mul_f64 v[95:96], v[95:96], v[101:102]
	v_fma_f64 v[95:96], v[97:98], v[93:94], v[95:96]
	s_waitcnt vmcnt(2)
	v_add_f64 v[81:82], v[81:82], -v[99:100]
	s_waitcnt vmcnt(0)
	v_add_f64 v[83:84], v[83:84], -v[95:96]
	buffer_store_dword v81, off, s[24:27], 0 offset:96 ; 4-byte Folded Spill
	s_nop 0
	buffer_store_dword v82, off, s[24:27], 0 offset:100 ; 4-byte Folded Spill
	buffer_store_dword v83, off, s[24:27], 0 offset:104 ; 4-byte Folded Spill
	buffer_store_dword v84, off, s[24:27], 0 offset:108 ; 4-byte Folded Spill
	ds_read2_b64 v[95:98], v90 offset0:46 offset1:47
	buffer_load_dword v81, off, s[24:27], 0 offset:80 ; 4-byte Folded Reload
	buffer_load_dword v82, off, s[24:27], 0 offset:84 ; 4-byte Folded Reload
	buffer_load_dword v83, off, s[24:27], 0 offset:88 ; 4-byte Folded Reload
	buffer_load_dword v84, off, s[24:27], 0 offset:92 ; 4-byte Folded Reload
	;; [unrolled: 19-line block ×6, first 2 shown]
	s_waitcnt lgkmcnt(0)
	v_mul_f64 v[99:100], v[97:98], v[101:102]
	v_fma_f64 v[99:100], v[95:96], v[93:94], -v[99:100]
	v_mul_f64 v[95:96], v[95:96], v[101:102]
	v_fma_f64 v[95:96], v[97:98], v[93:94], v[95:96]
	s_waitcnt vmcnt(2)
	v_add_f64 v[81:82], v[81:82], -v[99:100]
	s_waitcnt vmcnt(0)
	v_add_f64 v[83:84], v[83:84], -v[95:96]
	buffer_store_dword v81, off, s[24:27], 0 offset:16 ; 4-byte Folded Spill
	s_nop 0
	buffer_store_dword v82, off, s[24:27], 0 offset:20 ; 4-byte Folded Spill
	buffer_store_dword v83, off, s[24:27], 0 offset:24 ; 4-byte Folded Spill
	;; [unrolled: 1-line block ×3, first 2 shown]
	ds_read2_b64 v[95:98], v90 offset0:56 offset1:57
	buffer_load_dword v81, off, s[24:27], 0 ; 4-byte Folded Reload
	buffer_load_dword v82, off, s[24:27], 0 offset:4 ; 4-byte Folded Reload
	buffer_load_dword v83, off, s[24:27], 0 offset:8 ; 4-byte Folded Reload
	;; [unrolled: 1-line block ×3, first 2 shown]
	s_waitcnt lgkmcnt(0)
	v_mul_f64 v[99:100], v[97:98], v[101:102]
	v_fma_f64 v[99:100], v[95:96], v[93:94], -v[99:100]
	v_mul_f64 v[95:96], v[95:96], v[101:102]
	v_fma_f64 v[95:96], v[97:98], v[93:94], v[95:96]
	s_waitcnt vmcnt(2)
	v_add_f64 v[81:82], v[81:82], -v[99:100]
	s_waitcnt vmcnt(0)
	v_add_f64 v[83:84], v[83:84], -v[95:96]
	buffer_store_dword v81, off, s[24:27], 0 ; 4-byte Folded Spill
	s_nop 0
	buffer_store_dword v82, off, s[24:27], 0 offset:4 ; 4-byte Folded Spill
	buffer_store_dword v83, off, s[24:27], 0 offset:8 ; 4-byte Folded Spill
	;; [unrolled: 1-line block ×3, first 2 shown]
	ds_read2_b64 v[95:98], v90 offset0:58 offset1:59
	s_waitcnt lgkmcnt(0)
	v_mul_f64 v[99:100], v[97:98], v[101:102]
	v_fma_f64 v[99:100], v[95:96], v[93:94], -v[99:100]
	v_mul_f64 v[95:96], v[95:96], v[101:102]
	v_add_f64 v[111:112], v[111:112], -v[99:100]
	v_fma_f64 v[95:96], v[97:98], v[93:94], v[95:96]
	v_add_f64 v[113:114], v[113:114], -v[95:96]
	ds_read2_b64 v[95:98], v90 offset0:60 offset1:61
	s_waitcnt lgkmcnt(0)
	v_mul_f64 v[99:100], v[97:98], v[101:102]
	v_fma_f64 v[99:100], v[95:96], v[93:94], -v[99:100]
	v_mul_f64 v[95:96], v[95:96], v[101:102]
	v_add_f64 v[85:86], v[85:86], -v[99:100]
	v_fma_f64 v[95:96], v[97:98], v[93:94], v[95:96]
	v_add_f64 v[87:88], v[87:88], -v[95:96]
	;; [unrolled: 8-line block ×22, first 2 shown]
	ds_read2_b64 v[95:98], v90 offset0:102 offset1:103
	s_waitcnt lgkmcnt(0)
	v_mul_f64 v[99:100], v[97:98], v[101:102]
	v_fma_f64 v[99:100], v[95:96], v[93:94], -v[99:100]
	v_mul_f64 v[95:96], v[95:96], v[101:102]
	v_add_f64 v[121:122], v[121:122], -v[99:100]
	v_fma_f64 v[95:96], v[97:98], v[93:94], v[95:96]
	v_mov_b32_e32 v100, v94
	v_mov_b32_e32 v99, v93
	buffer_store_dword v99, off, s[24:27], 0 offset:128 ; 4-byte Folded Spill
	s_nop 0
	buffer_store_dword v100, off, s[24:27], 0 offset:132 ; 4-byte Folded Spill
	buffer_store_dword v101, off, s[24:27], 0 offset:136 ; 4-byte Folded Spill
	;; [unrolled: 1-line block ×3, first 2 shown]
	v_add_f64 v[123:124], v[123:124], -v[95:96]
.LBB102_440:
	s_or_b64 exec, exec, s[0:1]
	s_waitcnt vmcnt(0)
	s_barrier
	buffer_load_dword v81, off, s[24:27], 0 offset:112 ; 4-byte Folded Reload
	buffer_load_dword v82, off, s[24:27], 0 offset:116 ; 4-byte Folded Reload
	;; [unrolled: 1-line block ×4, first 2 shown]
	v_lshl_add_u32 v93, v92, 4, v90
	s_cmp_lt_i32 s3, 23
	s_waitcnt vmcnt(0)
	ds_write2_b64 v93, v[81:82], v[83:84] offset1:1
	s_waitcnt lgkmcnt(0)
	s_barrier
	ds_read2_b64 v[117:120], v90 offset0:42 offset1:43
	v_mov_b32_e32 v93, 21
	s_cbranch_scc1 .LBB102_443
; %bb.441:
	v_add_u32_e32 v94, 0x160, v90
	s_mov_b32 s0, 22
	v_mov_b32_e32 v93, 21
.LBB102_442:                            ; =>This Inner Loop Header: Depth=1
	s_waitcnt lgkmcnt(0)
	v_cmp_gt_f64_e32 vcc, 0, v[117:118]
	v_xor_b32_e32 v99, 0x80000000, v118
	ds_read2_b64 v[95:98], v94 offset1:1
	v_xor_b32_e32 v101, 0x80000000, v120
	v_add_u32_e32 v94, 16, v94
	s_waitcnt lgkmcnt(0)
	v_xor_b32_e32 v103, 0x80000000, v98
	v_cndmask_b32_e32 v100, v118, v99, vcc
	v_cmp_gt_f64_e32 vcc, 0, v[119:120]
	v_mov_b32_e32 v99, v117
	v_cndmask_b32_e32 v102, v120, v101, vcc
	v_cmp_gt_f64_e32 vcc, 0, v[95:96]
	v_mov_b32_e32 v101, v119
	v_add_f64 v[99:100], v[99:100], v[101:102]
	v_xor_b32_e32 v101, 0x80000000, v96
	v_cndmask_b32_e32 v102, v96, v101, vcc
	v_cmp_gt_f64_e32 vcc, 0, v[97:98]
	v_mov_b32_e32 v101, v95
	v_cndmask_b32_e32 v104, v98, v103, vcc
	v_mov_b32_e32 v103, v97
	v_add_f64 v[101:102], v[101:102], v[103:104]
	v_cmp_lt_f64_e32 vcc, v[99:100], v[101:102]
	v_cndmask_b32_e32 v117, v117, v95, vcc
	v_mov_b32_e32 v95, s0
	s_add_i32 s0, s0, 1
	v_cndmask_b32_e32 v118, v118, v96, vcc
	v_cndmask_b32_e32 v120, v120, v98, vcc
	;; [unrolled: 1-line block ×4, first 2 shown]
	s_cmp_lg_u32 s3, s0
	s_cbranch_scc1 .LBB102_442
.LBB102_443:
	s_waitcnt lgkmcnt(0)
	v_cmp_eq_f64_e32 vcc, 0, v[117:118]
	v_cmp_eq_f64_e64 s[0:1], 0, v[119:120]
	s_and_b64 s[0:1], vcc, s[0:1]
	s_and_saveexec_b64 s[18:19], s[0:1]
	s_xor_b64 s[0:1], exec, s[18:19]
; %bb.444:
	v_cmp_ne_u32_e32 vcc, 0, v91
	v_cndmask_b32_e32 v91, 22, v91, vcc
; %bb.445:
	s_andn2_saveexec_b64 s[0:1], s[0:1]
	s_cbranch_execz .LBB102_451
; %bb.446:
	v_cmp_ngt_f64_e64 s[18:19], |v[117:118]|, |v[119:120]|
	s_and_saveexec_b64 s[20:21], s[18:19]
	s_xor_b64 s[18:19], exec, s[20:21]
	s_cbranch_execz .LBB102_448
; %bb.447:
	v_div_scale_f64 v[94:95], s[20:21], v[119:120], v[119:120], v[117:118]
	v_rcp_f64_e32 v[96:97], v[94:95]
	v_fma_f64 v[98:99], -v[94:95], v[96:97], 1.0
	v_fma_f64 v[96:97], v[96:97], v[98:99], v[96:97]
	v_div_scale_f64 v[98:99], vcc, v[117:118], v[119:120], v[117:118]
	v_fma_f64 v[100:101], -v[94:95], v[96:97], 1.0
	v_fma_f64 v[96:97], v[96:97], v[100:101], v[96:97]
	v_mul_f64 v[100:101], v[98:99], v[96:97]
	v_fma_f64 v[94:95], -v[94:95], v[100:101], v[98:99]
	v_div_fmas_f64 v[94:95], v[94:95], v[96:97], v[100:101]
	v_div_fixup_f64 v[94:95], v[94:95], v[119:120], v[117:118]
	v_fma_f64 v[96:97], v[117:118], v[94:95], v[119:120]
	v_div_scale_f64 v[98:99], s[20:21], v[96:97], v[96:97], 1.0
	v_div_scale_f64 v[104:105], vcc, 1.0, v[96:97], 1.0
	v_rcp_f64_e32 v[100:101], v[98:99]
	v_fma_f64 v[102:103], -v[98:99], v[100:101], 1.0
	v_fma_f64 v[100:101], v[100:101], v[102:103], v[100:101]
	v_fma_f64 v[102:103], -v[98:99], v[100:101], 1.0
	v_fma_f64 v[100:101], v[100:101], v[102:103], v[100:101]
	v_mul_f64 v[102:103], v[104:105], v[100:101]
	v_fma_f64 v[98:99], -v[98:99], v[102:103], v[104:105]
	v_div_fmas_f64 v[98:99], v[98:99], v[100:101], v[102:103]
	v_div_fixup_f64 v[119:120], v[98:99], v[96:97], 1.0
	v_mul_f64 v[117:118], v[94:95], v[119:120]
	v_xor_b32_e32 v120, 0x80000000, v120
.LBB102_448:
	s_andn2_saveexec_b64 s[18:19], s[18:19]
	s_cbranch_execz .LBB102_450
; %bb.449:
	v_div_scale_f64 v[94:95], s[20:21], v[117:118], v[117:118], v[119:120]
	v_rcp_f64_e32 v[96:97], v[94:95]
	v_fma_f64 v[98:99], -v[94:95], v[96:97], 1.0
	v_fma_f64 v[96:97], v[96:97], v[98:99], v[96:97]
	v_div_scale_f64 v[98:99], vcc, v[119:120], v[117:118], v[119:120]
	v_fma_f64 v[100:101], -v[94:95], v[96:97], 1.0
	v_fma_f64 v[96:97], v[96:97], v[100:101], v[96:97]
	v_mul_f64 v[100:101], v[98:99], v[96:97]
	v_fma_f64 v[94:95], -v[94:95], v[100:101], v[98:99]
	v_div_fmas_f64 v[94:95], v[94:95], v[96:97], v[100:101]
	v_div_fixup_f64 v[94:95], v[94:95], v[117:118], v[119:120]
	v_fma_f64 v[96:97], v[119:120], v[94:95], v[117:118]
	v_div_scale_f64 v[98:99], s[20:21], v[96:97], v[96:97], 1.0
	v_div_scale_f64 v[104:105], vcc, 1.0, v[96:97], 1.0
	v_rcp_f64_e32 v[100:101], v[98:99]
	v_fma_f64 v[102:103], -v[98:99], v[100:101], 1.0
	v_fma_f64 v[100:101], v[100:101], v[102:103], v[100:101]
	v_fma_f64 v[102:103], -v[98:99], v[100:101], 1.0
	v_fma_f64 v[100:101], v[100:101], v[102:103], v[100:101]
	v_mul_f64 v[102:103], v[104:105], v[100:101]
	v_fma_f64 v[98:99], -v[98:99], v[102:103], v[104:105]
	v_div_fmas_f64 v[98:99], v[98:99], v[100:101], v[102:103]
	v_div_fixup_f64 v[117:118], v[98:99], v[96:97], 1.0
	v_mul_f64 v[119:120], v[94:95], -v[117:118]
.LBB102_450:
	s_or_b64 exec, exec, s[18:19]
.LBB102_451:
	s_or_b64 exec, exec, s[0:1]
	v_cmp_ne_u32_e32 vcc, v92, v93
	s_and_saveexec_b64 s[0:1], vcc
	s_xor_b64 s[0:1], exec, s[0:1]
	s_cbranch_execz .LBB102_457
; %bb.452:
	v_cmp_eq_u32_e32 vcc, 21, v92
	s_and_saveexec_b64 s[18:19], vcc
	s_cbranch_execz .LBB102_456
; %bb.453:
	v_cmp_ne_u32_e32 vcc, 21, v93
	s_xor_b64 s[20:21], s[6:7], -1
	s_and_b64 s[22:23], s[20:21], vcc
	s_and_saveexec_b64 s[20:21], s[22:23]
	s_cbranch_execz .LBB102_455
; %bb.454:
	buffer_load_dword v81, off, s[24:27], 0 offset:416 ; 4-byte Folded Reload
	buffer_load_dword v82, off, s[24:27], 0 offset:420 ; 4-byte Folded Reload
	v_ashrrev_i32_e32 v94, 31, v93
	v_lshlrev_b64 v[94:95], 2, v[93:94]
	s_waitcnt vmcnt(1)
	v_add_co_u32_e32 v94, vcc, v81, v94
	s_waitcnt vmcnt(0)
	v_addc_co_u32_e32 v95, vcc, v82, v95, vcc
	global_load_dword v0, v[94:95], off
	global_load_dword v92, v[81:82], off offset:84
	s_waitcnt vmcnt(1)
	global_store_dword v[81:82], v0, off offset:84
	s_waitcnt vmcnt(1)
	global_store_dword v[94:95], v92, off
.LBB102_455:
	s_or_b64 exec, exec, s[20:21]
	v_mov_b32_e32 v92, v93
	v_mov_b32_e32 v0, v93
.LBB102_456:
	s_or_b64 exec, exec, s[18:19]
.LBB102_457:
	s_andn2_saveexec_b64 s[0:1], s[0:1]
	s_cbranch_execz .LBB102_459
; %bb.458:
	buffer_load_dword v81, off, s[24:27], 0 offset:96 ; 4-byte Folded Reload
	buffer_load_dword v82, off, s[24:27], 0 offset:100 ; 4-byte Folded Reload
	;; [unrolled: 1-line block ×4, first 2 shown]
	v_mov_b32_e32 v92, 21
	s_waitcnt vmcnt(0)
	ds_write2_b64 v90, v[81:82], v[83:84] offset0:44 offset1:45
	buffer_load_dword v81, off, s[24:27], 0 offset:80 ; 4-byte Folded Reload
	buffer_load_dword v82, off, s[24:27], 0 offset:84 ; 4-byte Folded Reload
	buffer_load_dword v83, off, s[24:27], 0 offset:88 ; 4-byte Folded Reload
	buffer_load_dword v84, off, s[24:27], 0 offset:92 ; 4-byte Folded Reload
	s_waitcnt vmcnt(0)
	ds_write2_b64 v90, v[81:82], v[83:84] offset0:46 offset1:47
	buffer_load_dword v81, off, s[24:27], 0 offset:64 ; 4-byte Folded Reload
	buffer_load_dword v82, off, s[24:27], 0 offset:68 ; 4-byte Folded Reload
	buffer_load_dword v83, off, s[24:27], 0 offset:72 ; 4-byte Folded Reload
	buffer_load_dword v84, off, s[24:27], 0 offset:76 ; 4-byte Folded Reload
	;; [unrolled: 6-line block ×5, first 2 shown]
	s_waitcnt vmcnt(0)
	ds_write2_b64 v90, v[81:82], v[83:84] offset0:54 offset1:55
	buffer_load_dword v81, off, s[24:27], 0 ; 4-byte Folded Reload
	buffer_load_dword v82, off, s[24:27], 0 offset:4 ; 4-byte Folded Reload
	buffer_load_dword v83, off, s[24:27], 0 offset:8 ; 4-byte Folded Reload
	;; [unrolled: 1-line block ×3, first 2 shown]
	s_waitcnt vmcnt(0)
	ds_write2_b64 v90, v[81:82], v[83:84] offset0:56 offset1:57
	ds_write2_b64 v90, v[111:112], v[113:114] offset0:58 offset1:59
	ds_write2_b64 v90, v[85:86], v[87:88] offset0:60 offset1:61
	ds_write2_b64 v90, v[77:78], v[79:80] offset0:62 offset1:63
	ds_write2_b64 v90, v[73:74], v[75:76] offset0:64 offset1:65
	ds_write2_b64 v90, v[69:70], v[71:72] offset0:66 offset1:67
	ds_write2_b64 v90, v[65:66], v[67:68] offset0:68 offset1:69
	ds_write2_b64 v90, v[61:62], v[63:64] offset0:70 offset1:71
	ds_write2_b64 v90, v[57:58], v[59:60] offset0:72 offset1:73
	ds_write2_b64 v90, v[53:54], v[55:56] offset0:74 offset1:75
	ds_write2_b64 v90, v[49:50], v[51:52] offset0:76 offset1:77
	ds_write2_b64 v90, v[45:46], v[47:48] offset0:78 offset1:79
	ds_write2_b64 v90, v[41:42], v[43:44] offset0:80 offset1:81
	ds_write2_b64 v90, v[37:38], v[39:40] offset0:82 offset1:83
	ds_write2_b64 v90, v[33:34], v[35:36] offset0:84 offset1:85
	ds_write2_b64 v90, v[29:30], v[31:32] offset0:86 offset1:87
	ds_write2_b64 v90, v[25:26], v[27:28] offset0:88 offset1:89
	ds_write2_b64 v90, v[21:22], v[23:24] offset0:90 offset1:91
	ds_write2_b64 v90, v[17:18], v[19:20] offset0:92 offset1:93
	ds_write2_b64 v90, v[13:14], v[15:16] offset0:94 offset1:95
	ds_write2_b64 v90, v[9:10], v[11:12] offset0:96 offset1:97
	ds_write2_b64 v90, v[5:6], v[7:8] offset0:98 offset1:99
	ds_write2_b64 v90, v[1:2], v[3:4] offset0:100 offset1:101
	ds_write2_b64 v90, v[121:122], v[123:124] offset0:102 offset1:103
.LBB102_459:
	s_or_b64 exec, exec, s[0:1]
	v_cmp_lt_i32_e32 vcc, 21, v92
	s_waitcnt vmcnt(0) lgkmcnt(0)
	s_barrier
	s_and_saveexec_b64 s[0:1], vcc
	s_cbranch_execz .LBB102_461
; %bb.460:
	buffer_load_dword v99, off, s[24:27], 0 offset:112 ; 4-byte Folded Reload
	buffer_load_dword v100, off, s[24:27], 0 offset:116 ; 4-byte Folded Reload
	;; [unrolled: 1-line block ×4, first 2 shown]
	s_waitcnt vmcnt(0)
	v_mul_f64 v[95:96], v[117:118], v[101:102]
	v_mul_f64 v[93:94], v[119:120], v[101:102]
	v_fma_f64 v[101:102], v[119:120], v[99:100], v[95:96]
	ds_read2_b64 v[95:98], v90 offset0:44 offset1:45
	buffer_load_dword v81, off, s[24:27], 0 offset:96 ; 4-byte Folded Reload
	buffer_load_dword v82, off, s[24:27], 0 offset:100 ; 4-byte Folded Reload
	;; [unrolled: 1-line block ×4, first 2 shown]
	v_fma_f64 v[93:94], v[117:118], v[99:100], -v[93:94]
	s_waitcnt lgkmcnt(0)
	v_mul_f64 v[99:100], v[97:98], v[101:102]
	v_fma_f64 v[99:100], v[95:96], v[93:94], -v[99:100]
	v_mul_f64 v[95:96], v[95:96], v[101:102]
	v_fma_f64 v[95:96], v[97:98], v[93:94], v[95:96]
	s_waitcnt vmcnt(2)
	v_add_f64 v[81:82], v[81:82], -v[99:100]
	s_waitcnt vmcnt(0)
	v_add_f64 v[83:84], v[83:84], -v[95:96]
	buffer_store_dword v81, off, s[24:27], 0 offset:96 ; 4-byte Folded Spill
	s_nop 0
	buffer_store_dword v82, off, s[24:27], 0 offset:100 ; 4-byte Folded Spill
	buffer_store_dword v83, off, s[24:27], 0 offset:104 ; 4-byte Folded Spill
	buffer_store_dword v84, off, s[24:27], 0 offset:108 ; 4-byte Folded Spill
	ds_read2_b64 v[95:98], v90 offset0:46 offset1:47
	buffer_load_dword v81, off, s[24:27], 0 offset:80 ; 4-byte Folded Reload
	buffer_load_dword v82, off, s[24:27], 0 offset:84 ; 4-byte Folded Reload
	buffer_load_dword v83, off, s[24:27], 0 offset:88 ; 4-byte Folded Reload
	buffer_load_dword v84, off, s[24:27], 0 offset:92 ; 4-byte Folded Reload
	s_waitcnt lgkmcnt(0)
	v_mul_f64 v[99:100], v[97:98], v[101:102]
	v_fma_f64 v[99:100], v[95:96], v[93:94], -v[99:100]
	v_mul_f64 v[95:96], v[95:96], v[101:102]
	v_fma_f64 v[95:96], v[97:98], v[93:94], v[95:96]
	s_waitcnt vmcnt(2)
	v_add_f64 v[81:82], v[81:82], -v[99:100]
	s_waitcnt vmcnt(0)
	v_add_f64 v[83:84], v[83:84], -v[95:96]
	buffer_store_dword v81, off, s[24:27], 0 offset:80 ; 4-byte Folded Spill
	s_nop 0
	buffer_store_dword v82, off, s[24:27], 0 offset:84 ; 4-byte Folded Spill
	buffer_store_dword v83, off, s[24:27], 0 offset:88 ; 4-byte Folded Spill
	buffer_store_dword v84, off, s[24:27], 0 offset:92 ; 4-byte Folded Spill
	ds_read2_b64 v[95:98], v90 offset0:48 offset1:49
	buffer_load_dword v81, off, s[24:27], 0 offset:64 ; 4-byte Folded Reload
	buffer_load_dword v82, off, s[24:27], 0 offset:68 ; 4-byte Folded Reload
	buffer_load_dword v83, off, s[24:27], 0 offset:72 ; 4-byte Folded Reload
	buffer_load_dword v84, off, s[24:27], 0 offset:76 ; 4-byte Folded Reload
	;; [unrolled: 19-line block ×5, first 2 shown]
	s_waitcnt lgkmcnt(0)
	v_mul_f64 v[99:100], v[97:98], v[101:102]
	v_fma_f64 v[99:100], v[95:96], v[93:94], -v[99:100]
	v_mul_f64 v[95:96], v[95:96], v[101:102]
	v_fma_f64 v[95:96], v[97:98], v[93:94], v[95:96]
	s_waitcnt vmcnt(2)
	v_add_f64 v[81:82], v[81:82], -v[99:100]
	s_waitcnt vmcnt(0)
	v_add_f64 v[83:84], v[83:84], -v[95:96]
	buffer_store_dword v81, off, s[24:27], 0 offset:16 ; 4-byte Folded Spill
	s_nop 0
	buffer_store_dword v82, off, s[24:27], 0 offset:20 ; 4-byte Folded Spill
	buffer_store_dword v83, off, s[24:27], 0 offset:24 ; 4-byte Folded Spill
	;; [unrolled: 1-line block ×3, first 2 shown]
	ds_read2_b64 v[95:98], v90 offset0:56 offset1:57
	buffer_load_dword v81, off, s[24:27], 0 ; 4-byte Folded Reload
	buffer_load_dword v82, off, s[24:27], 0 offset:4 ; 4-byte Folded Reload
	buffer_load_dword v83, off, s[24:27], 0 offset:8 ; 4-byte Folded Reload
	;; [unrolled: 1-line block ×3, first 2 shown]
	s_waitcnt lgkmcnt(0)
	v_mul_f64 v[99:100], v[97:98], v[101:102]
	v_fma_f64 v[99:100], v[95:96], v[93:94], -v[99:100]
	v_mul_f64 v[95:96], v[95:96], v[101:102]
	v_fma_f64 v[95:96], v[97:98], v[93:94], v[95:96]
	s_waitcnt vmcnt(2)
	v_add_f64 v[81:82], v[81:82], -v[99:100]
	s_waitcnt vmcnt(0)
	v_add_f64 v[83:84], v[83:84], -v[95:96]
	buffer_store_dword v81, off, s[24:27], 0 ; 4-byte Folded Spill
	s_nop 0
	buffer_store_dword v82, off, s[24:27], 0 offset:4 ; 4-byte Folded Spill
	buffer_store_dword v83, off, s[24:27], 0 offset:8 ; 4-byte Folded Spill
	buffer_store_dword v84, off, s[24:27], 0 offset:12 ; 4-byte Folded Spill
	ds_read2_b64 v[95:98], v90 offset0:58 offset1:59
	s_waitcnt lgkmcnt(0)
	v_mul_f64 v[99:100], v[97:98], v[101:102]
	v_fma_f64 v[99:100], v[95:96], v[93:94], -v[99:100]
	v_mul_f64 v[95:96], v[95:96], v[101:102]
	v_add_f64 v[111:112], v[111:112], -v[99:100]
	v_fma_f64 v[95:96], v[97:98], v[93:94], v[95:96]
	v_add_f64 v[113:114], v[113:114], -v[95:96]
	ds_read2_b64 v[95:98], v90 offset0:60 offset1:61
	s_waitcnt lgkmcnt(0)
	v_mul_f64 v[99:100], v[97:98], v[101:102]
	v_fma_f64 v[99:100], v[95:96], v[93:94], -v[99:100]
	v_mul_f64 v[95:96], v[95:96], v[101:102]
	v_add_f64 v[85:86], v[85:86], -v[99:100]
	v_fma_f64 v[95:96], v[97:98], v[93:94], v[95:96]
	v_add_f64 v[87:88], v[87:88], -v[95:96]
	;; [unrolled: 8-line block ×22, first 2 shown]
	ds_read2_b64 v[95:98], v90 offset0:102 offset1:103
	s_waitcnt lgkmcnt(0)
	v_mul_f64 v[99:100], v[97:98], v[101:102]
	v_fma_f64 v[99:100], v[95:96], v[93:94], -v[99:100]
	v_mul_f64 v[95:96], v[95:96], v[101:102]
	v_add_f64 v[121:122], v[121:122], -v[99:100]
	v_fma_f64 v[95:96], v[97:98], v[93:94], v[95:96]
	v_mov_b32_e32 v100, v94
	v_mov_b32_e32 v99, v93
	buffer_store_dword v99, off, s[24:27], 0 offset:112 ; 4-byte Folded Spill
	s_nop 0
	buffer_store_dword v100, off, s[24:27], 0 offset:116 ; 4-byte Folded Spill
	buffer_store_dword v101, off, s[24:27], 0 offset:120 ; 4-byte Folded Spill
	;; [unrolled: 1-line block ×3, first 2 shown]
	v_add_f64 v[123:124], v[123:124], -v[95:96]
.LBB102_461:
	s_or_b64 exec, exec, s[0:1]
	s_waitcnt vmcnt(0)
	s_barrier
	buffer_load_dword v81, off, s[24:27], 0 offset:96 ; 4-byte Folded Reload
	buffer_load_dword v82, off, s[24:27], 0 offset:100 ; 4-byte Folded Reload
	;; [unrolled: 1-line block ×4, first 2 shown]
	v_lshl_add_u32 v93, v92, 4, v90
	s_cmp_lt_i32 s3, 24
	s_waitcnt vmcnt(0)
	ds_write2_b64 v93, v[81:82], v[83:84] offset1:1
	s_waitcnt lgkmcnt(0)
	s_barrier
	ds_read2_b64 v[117:120], v90 offset0:44 offset1:45
	v_mov_b32_e32 v93, 22
	s_cbranch_scc1 .LBB102_464
; %bb.462:
	v_add_u32_e32 v94, 0x170, v90
	s_mov_b32 s0, 23
	v_mov_b32_e32 v93, 22
.LBB102_463:                            ; =>This Inner Loop Header: Depth=1
	s_waitcnt lgkmcnt(0)
	v_cmp_gt_f64_e32 vcc, 0, v[117:118]
	v_xor_b32_e32 v99, 0x80000000, v118
	ds_read2_b64 v[95:98], v94 offset1:1
	v_xor_b32_e32 v101, 0x80000000, v120
	v_add_u32_e32 v94, 16, v94
	s_waitcnt lgkmcnt(0)
	v_xor_b32_e32 v103, 0x80000000, v98
	v_cndmask_b32_e32 v100, v118, v99, vcc
	v_cmp_gt_f64_e32 vcc, 0, v[119:120]
	v_mov_b32_e32 v99, v117
	v_cndmask_b32_e32 v102, v120, v101, vcc
	v_cmp_gt_f64_e32 vcc, 0, v[95:96]
	v_mov_b32_e32 v101, v119
	v_add_f64 v[99:100], v[99:100], v[101:102]
	v_xor_b32_e32 v101, 0x80000000, v96
	v_cndmask_b32_e32 v102, v96, v101, vcc
	v_cmp_gt_f64_e32 vcc, 0, v[97:98]
	v_mov_b32_e32 v101, v95
	v_cndmask_b32_e32 v104, v98, v103, vcc
	v_mov_b32_e32 v103, v97
	v_add_f64 v[101:102], v[101:102], v[103:104]
	v_cmp_lt_f64_e32 vcc, v[99:100], v[101:102]
	v_cndmask_b32_e32 v117, v117, v95, vcc
	v_mov_b32_e32 v95, s0
	s_add_i32 s0, s0, 1
	v_cndmask_b32_e32 v118, v118, v96, vcc
	v_cndmask_b32_e32 v120, v120, v98, vcc
	;; [unrolled: 1-line block ×4, first 2 shown]
	s_cmp_lg_u32 s3, s0
	s_cbranch_scc1 .LBB102_463
.LBB102_464:
	s_waitcnt lgkmcnt(0)
	v_cmp_eq_f64_e32 vcc, 0, v[117:118]
	v_cmp_eq_f64_e64 s[0:1], 0, v[119:120]
	s_and_b64 s[0:1], vcc, s[0:1]
	s_and_saveexec_b64 s[18:19], s[0:1]
	s_xor_b64 s[0:1], exec, s[18:19]
; %bb.465:
	v_cmp_ne_u32_e32 vcc, 0, v91
	v_cndmask_b32_e32 v91, 23, v91, vcc
; %bb.466:
	s_andn2_saveexec_b64 s[0:1], s[0:1]
	s_cbranch_execz .LBB102_472
; %bb.467:
	v_cmp_ngt_f64_e64 s[18:19], |v[117:118]|, |v[119:120]|
	s_and_saveexec_b64 s[20:21], s[18:19]
	s_xor_b64 s[18:19], exec, s[20:21]
	s_cbranch_execz .LBB102_469
; %bb.468:
	v_div_scale_f64 v[94:95], s[20:21], v[119:120], v[119:120], v[117:118]
	v_rcp_f64_e32 v[96:97], v[94:95]
	v_fma_f64 v[98:99], -v[94:95], v[96:97], 1.0
	v_fma_f64 v[96:97], v[96:97], v[98:99], v[96:97]
	v_div_scale_f64 v[98:99], vcc, v[117:118], v[119:120], v[117:118]
	v_fma_f64 v[100:101], -v[94:95], v[96:97], 1.0
	v_fma_f64 v[96:97], v[96:97], v[100:101], v[96:97]
	v_mul_f64 v[100:101], v[98:99], v[96:97]
	v_fma_f64 v[94:95], -v[94:95], v[100:101], v[98:99]
	v_div_fmas_f64 v[94:95], v[94:95], v[96:97], v[100:101]
	v_div_fixup_f64 v[94:95], v[94:95], v[119:120], v[117:118]
	v_fma_f64 v[96:97], v[117:118], v[94:95], v[119:120]
	v_div_scale_f64 v[98:99], s[20:21], v[96:97], v[96:97], 1.0
	v_div_scale_f64 v[104:105], vcc, 1.0, v[96:97], 1.0
	v_rcp_f64_e32 v[100:101], v[98:99]
	v_fma_f64 v[102:103], -v[98:99], v[100:101], 1.0
	v_fma_f64 v[100:101], v[100:101], v[102:103], v[100:101]
	v_fma_f64 v[102:103], -v[98:99], v[100:101], 1.0
	v_fma_f64 v[100:101], v[100:101], v[102:103], v[100:101]
	v_mul_f64 v[102:103], v[104:105], v[100:101]
	v_fma_f64 v[98:99], -v[98:99], v[102:103], v[104:105]
	v_div_fmas_f64 v[98:99], v[98:99], v[100:101], v[102:103]
	v_div_fixup_f64 v[119:120], v[98:99], v[96:97], 1.0
	v_mul_f64 v[117:118], v[94:95], v[119:120]
	v_xor_b32_e32 v120, 0x80000000, v120
.LBB102_469:
	s_andn2_saveexec_b64 s[18:19], s[18:19]
	s_cbranch_execz .LBB102_471
; %bb.470:
	v_div_scale_f64 v[94:95], s[20:21], v[117:118], v[117:118], v[119:120]
	v_rcp_f64_e32 v[96:97], v[94:95]
	v_fma_f64 v[98:99], -v[94:95], v[96:97], 1.0
	v_fma_f64 v[96:97], v[96:97], v[98:99], v[96:97]
	v_div_scale_f64 v[98:99], vcc, v[119:120], v[117:118], v[119:120]
	v_fma_f64 v[100:101], -v[94:95], v[96:97], 1.0
	v_fma_f64 v[96:97], v[96:97], v[100:101], v[96:97]
	v_mul_f64 v[100:101], v[98:99], v[96:97]
	v_fma_f64 v[94:95], -v[94:95], v[100:101], v[98:99]
	v_div_fmas_f64 v[94:95], v[94:95], v[96:97], v[100:101]
	v_div_fixup_f64 v[94:95], v[94:95], v[117:118], v[119:120]
	v_fma_f64 v[96:97], v[119:120], v[94:95], v[117:118]
	v_div_scale_f64 v[98:99], s[20:21], v[96:97], v[96:97], 1.0
	v_div_scale_f64 v[104:105], vcc, 1.0, v[96:97], 1.0
	v_rcp_f64_e32 v[100:101], v[98:99]
	v_fma_f64 v[102:103], -v[98:99], v[100:101], 1.0
	v_fma_f64 v[100:101], v[100:101], v[102:103], v[100:101]
	v_fma_f64 v[102:103], -v[98:99], v[100:101], 1.0
	v_fma_f64 v[100:101], v[100:101], v[102:103], v[100:101]
	v_mul_f64 v[102:103], v[104:105], v[100:101]
	v_fma_f64 v[98:99], -v[98:99], v[102:103], v[104:105]
	v_div_fmas_f64 v[98:99], v[98:99], v[100:101], v[102:103]
	v_div_fixup_f64 v[117:118], v[98:99], v[96:97], 1.0
	v_mul_f64 v[119:120], v[94:95], -v[117:118]
.LBB102_471:
	s_or_b64 exec, exec, s[18:19]
.LBB102_472:
	s_or_b64 exec, exec, s[0:1]
	v_cmp_ne_u32_e32 vcc, v92, v93
	s_and_saveexec_b64 s[0:1], vcc
	s_xor_b64 s[0:1], exec, s[0:1]
	s_cbranch_execz .LBB102_478
; %bb.473:
	v_cmp_eq_u32_e32 vcc, 22, v92
	s_and_saveexec_b64 s[18:19], vcc
	s_cbranch_execz .LBB102_477
; %bb.474:
	v_cmp_ne_u32_e32 vcc, 22, v93
	s_xor_b64 s[20:21], s[6:7], -1
	s_and_b64 s[22:23], s[20:21], vcc
	s_and_saveexec_b64 s[20:21], s[22:23]
	s_cbranch_execz .LBB102_476
; %bb.475:
	buffer_load_dword v81, off, s[24:27], 0 offset:416 ; 4-byte Folded Reload
	buffer_load_dword v82, off, s[24:27], 0 offset:420 ; 4-byte Folded Reload
	v_ashrrev_i32_e32 v94, 31, v93
	v_lshlrev_b64 v[94:95], 2, v[93:94]
	s_waitcnt vmcnt(1)
	v_add_co_u32_e32 v94, vcc, v81, v94
	s_waitcnt vmcnt(0)
	v_addc_co_u32_e32 v95, vcc, v82, v95, vcc
	global_load_dword v0, v[94:95], off
	global_load_dword v92, v[81:82], off offset:88
	s_waitcnt vmcnt(1)
	global_store_dword v[81:82], v0, off offset:88
	s_waitcnt vmcnt(1)
	global_store_dword v[94:95], v92, off
.LBB102_476:
	s_or_b64 exec, exec, s[20:21]
	v_mov_b32_e32 v92, v93
	v_mov_b32_e32 v0, v93
.LBB102_477:
	s_or_b64 exec, exec, s[18:19]
.LBB102_478:
	s_andn2_saveexec_b64 s[0:1], s[0:1]
	s_cbranch_execz .LBB102_480
; %bb.479:
	buffer_load_dword v81, off, s[24:27], 0 offset:80 ; 4-byte Folded Reload
	buffer_load_dword v82, off, s[24:27], 0 offset:84 ; 4-byte Folded Reload
	;; [unrolled: 1-line block ×4, first 2 shown]
	v_mov_b32_e32 v92, 22
	s_waitcnt vmcnt(0)
	ds_write2_b64 v90, v[81:82], v[83:84] offset0:46 offset1:47
	buffer_load_dword v81, off, s[24:27], 0 offset:64 ; 4-byte Folded Reload
	buffer_load_dword v82, off, s[24:27], 0 offset:68 ; 4-byte Folded Reload
	buffer_load_dword v83, off, s[24:27], 0 offset:72 ; 4-byte Folded Reload
	buffer_load_dword v84, off, s[24:27], 0 offset:76 ; 4-byte Folded Reload
	s_waitcnt vmcnt(0)
	ds_write2_b64 v90, v[81:82], v[83:84] offset0:48 offset1:49
	buffer_load_dword v81, off, s[24:27], 0 offset:48 ; 4-byte Folded Reload
	buffer_load_dword v82, off, s[24:27], 0 offset:52 ; 4-byte Folded Reload
	buffer_load_dword v83, off, s[24:27], 0 offset:56 ; 4-byte Folded Reload
	buffer_load_dword v84, off, s[24:27], 0 offset:60 ; 4-byte Folded Reload
	s_waitcnt vmcnt(0)
	ds_write2_b64 v90, v[81:82], v[83:84] offset0:50 offset1:51
	buffer_load_dword v81, off, s[24:27], 0 offset:32 ; 4-byte Folded Reload
	buffer_load_dword v82, off, s[24:27], 0 offset:36 ; 4-byte Folded Reload
	buffer_load_dword v83, off, s[24:27], 0 offset:40 ; 4-byte Folded Reload
	buffer_load_dword v84, off, s[24:27], 0 offset:44 ; 4-byte Folded Reload
	s_waitcnt vmcnt(0)
	ds_write2_b64 v90, v[81:82], v[83:84] offset0:52 offset1:53
	buffer_load_dword v81, off, s[24:27], 0 offset:16 ; 4-byte Folded Reload
	buffer_load_dword v82, off, s[24:27], 0 offset:20 ; 4-byte Folded Reload
	buffer_load_dword v83, off, s[24:27], 0 offset:24 ; 4-byte Folded Reload
	buffer_load_dword v84, off, s[24:27], 0 offset:28 ; 4-byte Folded Reload
	s_waitcnt vmcnt(0)
	ds_write2_b64 v90, v[81:82], v[83:84] offset0:54 offset1:55
	buffer_load_dword v81, off, s[24:27], 0 ; 4-byte Folded Reload
	buffer_load_dword v82, off, s[24:27], 0 offset:4 ; 4-byte Folded Reload
	buffer_load_dword v83, off, s[24:27], 0 offset:8 ; 4-byte Folded Reload
	;; [unrolled: 1-line block ×3, first 2 shown]
	s_waitcnt vmcnt(0)
	ds_write2_b64 v90, v[81:82], v[83:84] offset0:56 offset1:57
	ds_write2_b64 v90, v[111:112], v[113:114] offset0:58 offset1:59
	;; [unrolled: 1-line block ×24, first 2 shown]
.LBB102_480:
	s_or_b64 exec, exec, s[0:1]
	v_cmp_lt_i32_e32 vcc, 22, v92
	s_waitcnt vmcnt(0) lgkmcnt(0)
	s_barrier
	s_and_saveexec_b64 s[0:1], vcc
	s_cbranch_execz .LBB102_482
; %bb.481:
	buffer_load_dword v99, off, s[24:27], 0 offset:96 ; 4-byte Folded Reload
	buffer_load_dword v100, off, s[24:27], 0 offset:100 ; 4-byte Folded Reload
	;; [unrolled: 1-line block ×4, first 2 shown]
	s_waitcnt vmcnt(0)
	v_mul_f64 v[95:96], v[117:118], v[101:102]
	v_mul_f64 v[93:94], v[119:120], v[101:102]
	v_fma_f64 v[101:102], v[119:120], v[99:100], v[95:96]
	ds_read2_b64 v[95:98], v90 offset0:46 offset1:47
	buffer_load_dword v81, off, s[24:27], 0 offset:80 ; 4-byte Folded Reload
	buffer_load_dword v82, off, s[24:27], 0 offset:84 ; 4-byte Folded Reload
	;; [unrolled: 1-line block ×4, first 2 shown]
	v_fma_f64 v[93:94], v[117:118], v[99:100], -v[93:94]
	s_waitcnt lgkmcnt(0)
	v_mul_f64 v[99:100], v[97:98], v[101:102]
	v_fma_f64 v[99:100], v[95:96], v[93:94], -v[99:100]
	v_mul_f64 v[95:96], v[95:96], v[101:102]
	v_fma_f64 v[95:96], v[97:98], v[93:94], v[95:96]
	s_waitcnt vmcnt(2)
	v_add_f64 v[81:82], v[81:82], -v[99:100]
	s_waitcnt vmcnt(0)
	v_add_f64 v[83:84], v[83:84], -v[95:96]
	buffer_store_dword v81, off, s[24:27], 0 offset:80 ; 4-byte Folded Spill
	s_nop 0
	buffer_store_dword v82, off, s[24:27], 0 offset:84 ; 4-byte Folded Spill
	buffer_store_dword v83, off, s[24:27], 0 offset:88 ; 4-byte Folded Spill
	buffer_store_dword v84, off, s[24:27], 0 offset:92 ; 4-byte Folded Spill
	ds_read2_b64 v[95:98], v90 offset0:48 offset1:49
	buffer_load_dword v81, off, s[24:27], 0 offset:64 ; 4-byte Folded Reload
	buffer_load_dword v82, off, s[24:27], 0 offset:68 ; 4-byte Folded Reload
	buffer_load_dword v83, off, s[24:27], 0 offset:72 ; 4-byte Folded Reload
	buffer_load_dword v84, off, s[24:27], 0 offset:76 ; 4-byte Folded Reload
	s_waitcnt lgkmcnt(0)
	v_mul_f64 v[99:100], v[97:98], v[101:102]
	v_fma_f64 v[99:100], v[95:96], v[93:94], -v[99:100]
	v_mul_f64 v[95:96], v[95:96], v[101:102]
	v_fma_f64 v[95:96], v[97:98], v[93:94], v[95:96]
	s_waitcnt vmcnt(2)
	v_add_f64 v[81:82], v[81:82], -v[99:100]
	s_waitcnt vmcnt(0)
	v_add_f64 v[83:84], v[83:84], -v[95:96]
	buffer_store_dword v81, off, s[24:27], 0 offset:64 ; 4-byte Folded Spill
	s_nop 0
	buffer_store_dword v82, off, s[24:27], 0 offset:68 ; 4-byte Folded Spill
	buffer_store_dword v83, off, s[24:27], 0 offset:72 ; 4-byte Folded Spill
	buffer_store_dword v84, off, s[24:27], 0 offset:76 ; 4-byte Folded Spill
	ds_read2_b64 v[95:98], v90 offset0:50 offset1:51
	buffer_load_dword v81, off, s[24:27], 0 offset:48 ; 4-byte Folded Reload
	buffer_load_dword v82, off, s[24:27], 0 offset:52 ; 4-byte Folded Reload
	buffer_load_dword v83, off, s[24:27], 0 offset:56 ; 4-byte Folded Reload
	buffer_load_dword v84, off, s[24:27], 0 offset:60 ; 4-byte Folded Reload
	;; [unrolled: 19-line block ×4, first 2 shown]
	s_waitcnt lgkmcnt(0)
	v_mul_f64 v[99:100], v[97:98], v[101:102]
	v_fma_f64 v[99:100], v[95:96], v[93:94], -v[99:100]
	v_mul_f64 v[95:96], v[95:96], v[101:102]
	v_fma_f64 v[95:96], v[97:98], v[93:94], v[95:96]
	s_waitcnt vmcnt(2)
	v_add_f64 v[81:82], v[81:82], -v[99:100]
	s_waitcnt vmcnt(0)
	v_add_f64 v[83:84], v[83:84], -v[95:96]
	buffer_store_dword v81, off, s[24:27], 0 offset:16 ; 4-byte Folded Spill
	s_nop 0
	buffer_store_dword v82, off, s[24:27], 0 offset:20 ; 4-byte Folded Spill
	buffer_store_dword v83, off, s[24:27], 0 offset:24 ; 4-byte Folded Spill
	buffer_store_dword v84, off, s[24:27], 0 offset:28 ; 4-byte Folded Spill
	ds_read2_b64 v[95:98], v90 offset0:56 offset1:57
	buffer_load_dword v81, off, s[24:27], 0 ; 4-byte Folded Reload
	buffer_load_dword v82, off, s[24:27], 0 offset:4 ; 4-byte Folded Reload
	buffer_load_dword v83, off, s[24:27], 0 offset:8 ; 4-byte Folded Reload
	;; [unrolled: 1-line block ×3, first 2 shown]
	s_waitcnt lgkmcnt(0)
	v_mul_f64 v[99:100], v[97:98], v[101:102]
	v_fma_f64 v[99:100], v[95:96], v[93:94], -v[99:100]
	v_mul_f64 v[95:96], v[95:96], v[101:102]
	v_fma_f64 v[95:96], v[97:98], v[93:94], v[95:96]
	s_waitcnt vmcnt(2)
	v_add_f64 v[81:82], v[81:82], -v[99:100]
	s_waitcnt vmcnt(0)
	v_add_f64 v[83:84], v[83:84], -v[95:96]
	buffer_store_dword v81, off, s[24:27], 0 ; 4-byte Folded Spill
	s_nop 0
	buffer_store_dword v82, off, s[24:27], 0 offset:4 ; 4-byte Folded Spill
	buffer_store_dword v83, off, s[24:27], 0 offset:8 ; 4-byte Folded Spill
	buffer_store_dword v84, off, s[24:27], 0 offset:12 ; 4-byte Folded Spill
	ds_read2_b64 v[95:98], v90 offset0:58 offset1:59
	s_waitcnt lgkmcnt(0)
	v_mul_f64 v[99:100], v[97:98], v[101:102]
	v_fma_f64 v[99:100], v[95:96], v[93:94], -v[99:100]
	v_mul_f64 v[95:96], v[95:96], v[101:102]
	v_add_f64 v[111:112], v[111:112], -v[99:100]
	v_fma_f64 v[95:96], v[97:98], v[93:94], v[95:96]
	v_add_f64 v[113:114], v[113:114], -v[95:96]
	ds_read2_b64 v[95:98], v90 offset0:60 offset1:61
	s_waitcnt lgkmcnt(0)
	v_mul_f64 v[99:100], v[97:98], v[101:102]
	v_fma_f64 v[99:100], v[95:96], v[93:94], -v[99:100]
	v_mul_f64 v[95:96], v[95:96], v[101:102]
	v_add_f64 v[85:86], v[85:86], -v[99:100]
	v_fma_f64 v[95:96], v[97:98], v[93:94], v[95:96]
	v_add_f64 v[87:88], v[87:88], -v[95:96]
	;; [unrolled: 8-line block ×22, first 2 shown]
	ds_read2_b64 v[95:98], v90 offset0:102 offset1:103
	s_waitcnt lgkmcnt(0)
	v_mul_f64 v[99:100], v[97:98], v[101:102]
	v_fma_f64 v[99:100], v[95:96], v[93:94], -v[99:100]
	v_mul_f64 v[95:96], v[95:96], v[101:102]
	v_add_f64 v[121:122], v[121:122], -v[99:100]
	v_fma_f64 v[95:96], v[97:98], v[93:94], v[95:96]
	v_mov_b32_e32 v100, v94
	v_mov_b32_e32 v99, v93
	buffer_store_dword v99, off, s[24:27], 0 offset:96 ; 4-byte Folded Spill
	s_nop 0
	buffer_store_dword v100, off, s[24:27], 0 offset:100 ; 4-byte Folded Spill
	buffer_store_dword v101, off, s[24:27], 0 offset:104 ; 4-byte Folded Spill
	;; [unrolled: 1-line block ×3, first 2 shown]
	v_add_f64 v[123:124], v[123:124], -v[95:96]
.LBB102_482:
	s_or_b64 exec, exec, s[0:1]
	s_waitcnt vmcnt(0)
	s_barrier
	buffer_load_dword v81, off, s[24:27], 0 offset:80 ; 4-byte Folded Reload
	buffer_load_dword v82, off, s[24:27], 0 offset:84 ; 4-byte Folded Reload
	;; [unrolled: 1-line block ×4, first 2 shown]
	v_lshl_add_u32 v93, v92, 4, v90
	s_cmp_lt_i32 s3, 25
	s_waitcnt vmcnt(0)
	ds_write2_b64 v93, v[81:82], v[83:84] offset1:1
	s_waitcnt lgkmcnt(0)
	s_barrier
	ds_read2_b64 v[117:120], v90 offset0:46 offset1:47
	v_mov_b32_e32 v93, 23
	s_cbranch_scc1 .LBB102_485
; %bb.483:
	v_add_u32_e32 v94, 0x180, v90
	s_mov_b32 s0, 24
	v_mov_b32_e32 v93, 23
.LBB102_484:                            ; =>This Inner Loop Header: Depth=1
	s_waitcnt lgkmcnt(0)
	v_cmp_gt_f64_e32 vcc, 0, v[117:118]
	v_xor_b32_e32 v99, 0x80000000, v118
	ds_read2_b64 v[95:98], v94 offset1:1
	v_xor_b32_e32 v101, 0x80000000, v120
	v_add_u32_e32 v94, 16, v94
	s_waitcnt lgkmcnt(0)
	v_xor_b32_e32 v103, 0x80000000, v98
	v_cndmask_b32_e32 v100, v118, v99, vcc
	v_cmp_gt_f64_e32 vcc, 0, v[119:120]
	v_mov_b32_e32 v99, v117
	v_cndmask_b32_e32 v102, v120, v101, vcc
	v_cmp_gt_f64_e32 vcc, 0, v[95:96]
	v_mov_b32_e32 v101, v119
	v_add_f64 v[99:100], v[99:100], v[101:102]
	v_xor_b32_e32 v101, 0x80000000, v96
	v_cndmask_b32_e32 v102, v96, v101, vcc
	v_cmp_gt_f64_e32 vcc, 0, v[97:98]
	v_mov_b32_e32 v101, v95
	v_cndmask_b32_e32 v104, v98, v103, vcc
	v_mov_b32_e32 v103, v97
	v_add_f64 v[101:102], v[101:102], v[103:104]
	v_cmp_lt_f64_e32 vcc, v[99:100], v[101:102]
	v_cndmask_b32_e32 v117, v117, v95, vcc
	v_mov_b32_e32 v95, s0
	s_add_i32 s0, s0, 1
	v_cndmask_b32_e32 v118, v118, v96, vcc
	v_cndmask_b32_e32 v120, v120, v98, vcc
	;; [unrolled: 1-line block ×4, first 2 shown]
	s_cmp_lg_u32 s3, s0
	s_cbranch_scc1 .LBB102_484
.LBB102_485:
	s_waitcnt lgkmcnt(0)
	v_cmp_eq_f64_e32 vcc, 0, v[117:118]
	v_cmp_eq_f64_e64 s[0:1], 0, v[119:120]
	s_and_b64 s[0:1], vcc, s[0:1]
	s_and_saveexec_b64 s[18:19], s[0:1]
	s_xor_b64 s[0:1], exec, s[18:19]
; %bb.486:
	v_cmp_ne_u32_e32 vcc, 0, v91
	v_cndmask_b32_e32 v91, 24, v91, vcc
; %bb.487:
	s_andn2_saveexec_b64 s[0:1], s[0:1]
	s_cbranch_execz .LBB102_493
; %bb.488:
	v_cmp_ngt_f64_e64 s[18:19], |v[117:118]|, |v[119:120]|
	s_and_saveexec_b64 s[20:21], s[18:19]
	s_xor_b64 s[18:19], exec, s[20:21]
	s_cbranch_execz .LBB102_490
; %bb.489:
	v_div_scale_f64 v[94:95], s[20:21], v[119:120], v[119:120], v[117:118]
	v_rcp_f64_e32 v[96:97], v[94:95]
	v_fma_f64 v[98:99], -v[94:95], v[96:97], 1.0
	v_fma_f64 v[96:97], v[96:97], v[98:99], v[96:97]
	v_div_scale_f64 v[98:99], vcc, v[117:118], v[119:120], v[117:118]
	v_fma_f64 v[100:101], -v[94:95], v[96:97], 1.0
	v_fma_f64 v[96:97], v[96:97], v[100:101], v[96:97]
	v_mul_f64 v[100:101], v[98:99], v[96:97]
	v_fma_f64 v[94:95], -v[94:95], v[100:101], v[98:99]
	v_div_fmas_f64 v[94:95], v[94:95], v[96:97], v[100:101]
	v_div_fixup_f64 v[94:95], v[94:95], v[119:120], v[117:118]
	v_fma_f64 v[96:97], v[117:118], v[94:95], v[119:120]
	v_div_scale_f64 v[98:99], s[20:21], v[96:97], v[96:97], 1.0
	v_div_scale_f64 v[104:105], vcc, 1.0, v[96:97], 1.0
	v_rcp_f64_e32 v[100:101], v[98:99]
	v_fma_f64 v[102:103], -v[98:99], v[100:101], 1.0
	v_fma_f64 v[100:101], v[100:101], v[102:103], v[100:101]
	v_fma_f64 v[102:103], -v[98:99], v[100:101], 1.0
	v_fma_f64 v[100:101], v[100:101], v[102:103], v[100:101]
	v_mul_f64 v[102:103], v[104:105], v[100:101]
	v_fma_f64 v[98:99], -v[98:99], v[102:103], v[104:105]
	v_div_fmas_f64 v[98:99], v[98:99], v[100:101], v[102:103]
	v_div_fixup_f64 v[119:120], v[98:99], v[96:97], 1.0
	v_mul_f64 v[117:118], v[94:95], v[119:120]
	v_xor_b32_e32 v120, 0x80000000, v120
.LBB102_490:
	s_andn2_saveexec_b64 s[18:19], s[18:19]
	s_cbranch_execz .LBB102_492
; %bb.491:
	v_div_scale_f64 v[94:95], s[20:21], v[117:118], v[117:118], v[119:120]
	v_rcp_f64_e32 v[96:97], v[94:95]
	v_fma_f64 v[98:99], -v[94:95], v[96:97], 1.0
	v_fma_f64 v[96:97], v[96:97], v[98:99], v[96:97]
	v_div_scale_f64 v[98:99], vcc, v[119:120], v[117:118], v[119:120]
	v_fma_f64 v[100:101], -v[94:95], v[96:97], 1.0
	v_fma_f64 v[96:97], v[96:97], v[100:101], v[96:97]
	v_mul_f64 v[100:101], v[98:99], v[96:97]
	v_fma_f64 v[94:95], -v[94:95], v[100:101], v[98:99]
	v_div_fmas_f64 v[94:95], v[94:95], v[96:97], v[100:101]
	v_div_fixup_f64 v[94:95], v[94:95], v[117:118], v[119:120]
	v_fma_f64 v[96:97], v[119:120], v[94:95], v[117:118]
	v_div_scale_f64 v[98:99], s[20:21], v[96:97], v[96:97], 1.0
	v_div_scale_f64 v[104:105], vcc, 1.0, v[96:97], 1.0
	v_rcp_f64_e32 v[100:101], v[98:99]
	v_fma_f64 v[102:103], -v[98:99], v[100:101], 1.0
	v_fma_f64 v[100:101], v[100:101], v[102:103], v[100:101]
	v_fma_f64 v[102:103], -v[98:99], v[100:101], 1.0
	v_fma_f64 v[100:101], v[100:101], v[102:103], v[100:101]
	v_mul_f64 v[102:103], v[104:105], v[100:101]
	v_fma_f64 v[98:99], -v[98:99], v[102:103], v[104:105]
	v_div_fmas_f64 v[98:99], v[98:99], v[100:101], v[102:103]
	v_div_fixup_f64 v[117:118], v[98:99], v[96:97], 1.0
	v_mul_f64 v[119:120], v[94:95], -v[117:118]
.LBB102_492:
	s_or_b64 exec, exec, s[18:19]
.LBB102_493:
	s_or_b64 exec, exec, s[0:1]
	v_cmp_ne_u32_e32 vcc, v92, v93
	s_and_saveexec_b64 s[0:1], vcc
	s_xor_b64 s[0:1], exec, s[0:1]
	s_cbranch_execz .LBB102_499
; %bb.494:
	v_cmp_eq_u32_e32 vcc, 23, v92
	s_and_saveexec_b64 s[18:19], vcc
	s_cbranch_execz .LBB102_498
; %bb.495:
	v_cmp_ne_u32_e32 vcc, 23, v93
	s_xor_b64 s[20:21], s[6:7], -1
	s_and_b64 s[22:23], s[20:21], vcc
	s_and_saveexec_b64 s[20:21], s[22:23]
	s_cbranch_execz .LBB102_497
; %bb.496:
	buffer_load_dword v81, off, s[24:27], 0 offset:416 ; 4-byte Folded Reload
	buffer_load_dword v82, off, s[24:27], 0 offset:420 ; 4-byte Folded Reload
	v_ashrrev_i32_e32 v94, 31, v93
	v_lshlrev_b64 v[94:95], 2, v[93:94]
	s_waitcnt vmcnt(1)
	v_add_co_u32_e32 v94, vcc, v81, v94
	s_waitcnt vmcnt(0)
	v_addc_co_u32_e32 v95, vcc, v82, v95, vcc
	global_load_dword v0, v[94:95], off
	global_load_dword v92, v[81:82], off offset:92
	s_waitcnt vmcnt(1)
	global_store_dword v[81:82], v0, off offset:92
	s_waitcnt vmcnt(1)
	global_store_dword v[94:95], v92, off
.LBB102_497:
	s_or_b64 exec, exec, s[20:21]
	v_mov_b32_e32 v92, v93
	v_mov_b32_e32 v0, v93
.LBB102_498:
	s_or_b64 exec, exec, s[18:19]
.LBB102_499:
	s_andn2_saveexec_b64 s[0:1], s[0:1]
	s_cbranch_execz .LBB102_501
; %bb.500:
	buffer_load_dword v81, off, s[24:27], 0 offset:64 ; 4-byte Folded Reload
	buffer_load_dword v82, off, s[24:27], 0 offset:68 ; 4-byte Folded Reload
	;; [unrolled: 1-line block ×4, first 2 shown]
	v_mov_b32_e32 v92, 23
	s_waitcnt vmcnt(0)
	ds_write2_b64 v90, v[81:82], v[83:84] offset0:48 offset1:49
	buffer_load_dword v81, off, s[24:27], 0 offset:48 ; 4-byte Folded Reload
	buffer_load_dword v82, off, s[24:27], 0 offset:52 ; 4-byte Folded Reload
	buffer_load_dword v83, off, s[24:27], 0 offset:56 ; 4-byte Folded Reload
	buffer_load_dword v84, off, s[24:27], 0 offset:60 ; 4-byte Folded Reload
	s_waitcnt vmcnt(0)
	ds_write2_b64 v90, v[81:82], v[83:84] offset0:50 offset1:51
	buffer_load_dword v81, off, s[24:27], 0 offset:32 ; 4-byte Folded Reload
	buffer_load_dword v82, off, s[24:27], 0 offset:36 ; 4-byte Folded Reload
	buffer_load_dword v83, off, s[24:27], 0 offset:40 ; 4-byte Folded Reload
	buffer_load_dword v84, off, s[24:27], 0 offset:44 ; 4-byte Folded Reload
	;; [unrolled: 6-line block ×3, first 2 shown]
	s_waitcnt vmcnt(0)
	ds_write2_b64 v90, v[81:82], v[83:84] offset0:54 offset1:55
	buffer_load_dword v81, off, s[24:27], 0 ; 4-byte Folded Reload
	buffer_load_dword v82, off, s[24:27], 0 offset:4 ; 4-byte Folded Reload
	buffer_load_dword v83, off, s[24:27], 0 offset:8 ; 4-byte Folded Reload
	;; [unrolled: 1-line block ×3, first 2 shown]
	s_waitcnt vmcnt(0)
	ds_write2_b64 v90, v[81:82], v[83:84] offset0:56 offset1:57
	ds_write2_b64 v90, v[111:112], v[113:114] offset0:58 offset1:59
	ds_write2_b64 v90, v[85:86], v[87:88] offset0:60 offset1:61
	ds_write2_b64 v90, v[77:78], v[79:80] offset0:62 offset1:63
	ds_write2_b64 v90, v[73:74], v[75:76] offset0:64 offset1:65
	ds_write2_b64 v90, v[69:70], v[71:72] offset0:66 offset1:67
	ds_write2_b64 v90, v[65:66], v[67:68] offset0:68 offset1:69
	ds_write2_b64 v90, v[61:62], v[63:64] offset0:70 offset1:71
	ds_write2_b64 v90, v[57:58], v[59:60] offset0:72 offset1:73
	ds_write2_b64 v90, v[53:54], v[55:56] offset0:74 offset1:75
	ds_write2_b64 v90, v[49:50], v[51:52] offset0:76 offset1:77
	ds_write2_b64 v90, v[45:46], v[47:48] offset0:78 offset1:79
	ds_write2_b64 v90, v[41:42], v[43:44] offset0:80 offset1:81
	ds_write2_b64 v90, v[37:38], v[39:40] offset0:82 offset1:83
	ds_write2_b64 v90, v[33:34], v[35:36] offset0:84 offset1:85
	ds_write2_b64 v90, v[29:30], v[31:32] offset0:86 offset1:87
	ds_write2_b64 v90, v[25:26], v[27:28] offset0:88 offset1:89
	ds_write2_b64 v90, v[21:22], v[23:24] offset0:90 offset1:91
	ds_write2_b64 v90, v[17:18], v[19:20] offset0:92 offset1:93
	ds_write2_b64 v90, v[13:14], v[15:16] offset0:94 offset1:95
	ds_write2_b64 v90, v[9:10], v[11:12] offset0:96 offset1:97
	ds_write2_b64 v90, v[5:6], v[7:8] offset0:98 offset1:99
	ds_write2_b64 v90, v[1:2], v[3:4] offset0:100 offset1:101
	ds_write2_b64 v90, v[121:122], v[123:124] offset0:102 offset1:103
.LBB102_501:
	s_or_b64 exec, exec, s[0:1]
	v_cmp_lt_i32_e32 vcc, 23, v92
	s_waitcnt vmcnt(0) lgkmcnt(0)
	s_barrier
	s_and_saveexec_b64 s[0:1], vcc
	s_cbranch_execz .LBB102_503
; %bb.502:
	buffer_load_dword v99, off, s[24:27], 0 offset:80 ; 4-byte Folded Reload
	buffer_load_dword v100, off, s[24:27], 0 offset:84 ; 4-byte Folded Reload
	;; [unrolled: 1-line block ×4, first 2 shown]
	s_waitcnt vmcnt(0)
	v_mul_f64 v[95:96], v[117:118], v[101:102]
	v_mul_f64 v[93:94], v[119:120], v[101:102]
	v_fma_f64 v[101:102], v[119:120], v[99:100], v[95:96]
	ds_read2_b64 v[95:98], v90 offset0:48 offset1:49
	buffer_load_dword v81, off, s[24:27], 0 offset:64 ; 4-byte Folded Reload
	buffer_load_dword v82, off, s[24:27], 0 offset:68 ; 4-byte Folded Reload
	;; [unrolled: 1-line block ×4, first 2 shown]
	v_fma_f64 v[93:94], v[117:118], v[99:100], -v[93:94]
	s_waitcnt lgkmcnt(0)
	v_mul_f64 v[99:100], v[97:98], v[101:102]
	v_fma_f64 v[99:100], v[95:96], v[93:94], -v[99:100]
	v_mul_f64 v[95:96], v[95:96], v[101:102]
	v_fma_f64 v[95:96], v[97:98], v[93:94], v[95:96]
	s_waitcnt vmcnt(2)
	v_add_f64 v[81:82], v[81:82], -v[99:100]
	s_waitcnt vmcnt(0)
	v_add_f64 v[83:84], v[83:84], -v[95:96]
	buffer_store_dword v81, off, s[24:27], 0 offset:64 ; 4-byte Folded Spill
	s_nop 0
	buffer_store_dword v82, off, s[24:27], 0 offset:68 ; 4-byte Folded Spill
	buffer_store_dword v83, off, s[24:27], 0 offset:72 ; 4-byte Folded Spill
	buffer_store_dword v84, off, s[24:27], 0 offset:76 ; 4-byte Folded Spill
	ds_read2_b64 v[95:98], v90 offset0:50 offset1:51
	buffer_load_dword v81, off, s[24:27], 0 offset:48 ; 4-byte Folded Reload
	buffer_load_dword v82, off, s[24:27], 0 offset:52 ; 4-byte Folded Reload
	buffer_load_dword v83, off, s[24:27], 0 offset:56 ; 4-byte Folded Reload
	buffer_load_dword v84, off, s[24:27], 0 offset:60 ; 4-byte Folded Reload
	s_waitcnt lgkmcnt(0)
	v_mul_f64 v[99:100], v[97:98], v[101:102]
	v_fma_f64 v[99:100], v[95:96], v[93:94], -v[99:100]
	v_mul_f64 v[95:96], v[95:96], v[101:102]
	v_fma_f64 v[95:96], v[97:98], v[93:94], v[95:96]
	s_waitcnt vmcnt(2)
	v_add_f64 v[81:82], v[81:82], -v[99:100]
	s_waitcnt vmcnt(0)
	v_add_f64 v[83:84], v[83:84], -v[95:96]
	buffer_store_dword v81, off, s[24:27], 0 offset:48 ; 4-byte Folded Spill
	s_nop 0
	buffer_store_dword v82, off, s[24:27], 0 offset:52 ; 4-byte Folded Spill
	buffer_store_dword v83, off, s[24:27], 0 offset:56 ; 4-byte Folded Spill
	buffer_store_dword v84, off, s[24:27], 0 offset:60 ; 4-byte Folded Spill
	ds_read2_b64 v[95:98], v90 offset0:52 offset1:53
	buffer_load_dword v81, off, s[24:27], 0 offset:32 ; 4-byte Folded Reload
	buffer_load_dword v82, off, s[24:27], 0 offset:36 ; 4-byte Folded Reload
	buffer_load_dword v83, off, s[24:27], 0 offset:40 ; 4-byte Folded Reload
	buffer_load_dword v84, off, s[24:27], 0 offset:44 ; 4-byte Folded Reload
	;; [unrolled: 19-line block ×3, first 2 shown]
	s_waitcnt lgkmcnt(0)
	v_mul_f64 v[99:100], v[97:98], v[101:102]
	v_fma_f64 v[99:100], v[95:96], v[93:94], -v[99:100]
	v_mul_f64 v[95:96], v[95:96], v[101:102]
	v_fma_f64 v[95:96], v[97:98], v[93:94], v[95:96]
	s_waitcnt vmcnt(2)
	v_add_f64 v[81:82], v[81:82], -v[99:100]
	s_waitcnt vmcnt(0)
	v_add_f64 v[83:84], v[83:84], -v[95:96]
	buffer_store_dword v81, off, s[24:27], 0 offset:16 ; 4-byte Folded Spill
	s_nop 0
	buffer_store_dword v82, off, s[24:27], 0 offset:20 ; 4-byte Folded Spill
	buffer_store_dword v83, off, s[24:27], 0 offset:24 ; 4-byte Folded Spill
	;; [unrolled: 1-line block ×3, first 2 shown]
	ds_read2_b64 v[95:98], v90 offset0:56 offset1:57
	buffer_load_dword v81, off, s[24:27], 0 ; 4-byte Folded Reload
	buffer_load_dword v82, off, s[24:27], 0 offset:4 ; 4-byte Folded Reload
	buffer_load_dword v83, off, s[24:27], 0 offset:8 ; 4-byte Folded Reload
	;; [unrolled: 1-line block ×3, first 2 shown]
	s_waitcnt lgkmcnt(0)
	v_mul_f64 v[99:100], v[97:98], v[101:102]
	v_fma_f64 v[99:100], v[95:96], v[93:94], -v[99:100]
	v_mul_f64 v[95:96], v[95:96], v[101:102]
	v_fma_f64 v[95:96], v[97:98], v[93:94], v[95:96]
	s_waitcnt vmcnt(2)
	v_add_f64 v[81:82], v[81:82], -v[99:100]
	s_waitcnt vmcnt(0)
	v_add_f64 v[83:84], v[83:84], -v[95:96]
	buffer_store_dword v81, off, s[24:27], 0 ; 4-byte Folded Spill
	s_nop 0
	buffer_store_dword v82, off, s[24:27], 0 offset:4 ; 4-byte Folded Spill
	buffer_store_dword v83, off, s[24:27], 0 offset:8 ; 4-byte Folded Spill
	;; [unrolled: 1-line block ×3, first 2 shown]
	ds_read2_b64 v[95:98], v90 offset0:58 offset1:59
	s_waitcnt lgkmcnt(0)
	v_mul_f64 v[99:100], v[97:98], v[101:102]
	v_fma_f64 v[99:100], v[95:96], v[93:94], -v[99:100]
	v_mul_f64 v[95:96], v[95:96], v[101:102]
	v_add_f64 v[111:112], v[111:112], -v[99:100]
	v_fma_f64 v[95:96], v[97:98], v[93:94], v[95:96]
	v_add_f64 v[113:114], v[113:114], -v[95:96]
	ds_read2_b64 v[95:98], v90 offset0:60 offset1:61
	s_waitcnt lgkmcnt(0)
	v_mul_f64 v[99:100], v[97:98], v[101:102]
	v_fma_f64 v[99:100], v[95:96], v[93:94], -v[99:100]
	v_mul_f64 v[95:96], v[95:96], v[101:102]
	v_add_f64 v[85:86], v[85:86], -v[99:100]
	v_fma_f64 v[95:96], v[97:98], v[93:94], v[95:96]
	v_add_f64 v[87:88], v[87:88], -v[95:96]
	;; [unrolled: 8-line block ×22, first 2 shown]
	ds_read2_b64 v[95:98], v90 offset0:102 offset1:103
	s_waitcnt lgkmcnt(0)
	v_mul_f64 v[99:100], v[97:98], v[101:102]
	v_fma_f64 v[99:100], v[95:96], v[93:94], -v[99:100]
	v_mul_f64 v[95:96], v[95:96], v[101:102]
	v_add_f64 v[121:122], v[121:122], -v[99:100]
	v_fma_f64 v[95:96], v[97:98], v[93:94], v[95:96]
	v_mov_b32_e32 v100, v94
	v_mov_b32_e32 v99, v93
	buffer_store_dword v99, off, s[24:27], 0 offset:80 ; 4-byte Folded Spill
	s_nop 0
	buffer_store_dword v100, off, s[24:27], 0 offset:84 ; 4-byte Folded Spill
	buffer_store_dword v101, off, s[24:27], 0 offset:88 ; 4-byte Folded Spill
	;; [unrolled: 1-line block ×3, first 2 shown]
	v_add_f64 v[123:124], v[123:124], -v[95:96]
.LBB102_503:
	s_or_b64 exec, exec, s[0:1]
	s_waitcnt vmcnt(0)
	s_barrier
	buffer_load_dword v81, off, s[24:27], 0 offset:64 ; 4-byte Folded Reload
	buffer_load_dword v82, off, s[24:27], 0 offset:68 ; 4-byte Folded Reload
	;; [unrolled: 1-line block ×4, first 2 shown]
	v_lshl_add_u32 v93, v92, 4, v90
	s_cmp_lt_i32 s3, 26
	s_waitcnt vmcnt(0)
	ds_write2_b64 v93, v[81:82], v[83:84] offset1:1
	s_waitcnt lgkmcnt(0)
	s_barrier
	ds_read2_b64 v[117:120], v90 offset0:48 offset1:49
	v_mov_b32_e32 v93, 24
	s_cbranch_scc1 .LBB102_506
; %bb.504:
	v_add_u32_e32 v94, 0x190, v90
	s_mov_b32 s0, 25
	v_mov_b32_e32 v93, 24
.LBB102_505:                            ; =>This Inner Loop Header: Depth=1
	s_waitcnt lgkmcnt(0)
	v_cmp_gt_f64_e32 vcc, 0, v[117:118]
	v_xor_b32_e32 v99, 0x80000000, v118
	ds_read2_b64 v[95:98], v94 offset1:1
	v_xor_b32_e32 v101, 0x80000000, v120
	v_add_u32_e32 v94, 16, v94
	s_waitcnt lgkmcnt(0)
	v_xor_b32_e32 v103, 0x80000000, v98
	v_cndmask_b32_e32 v100, v118, v99, vcc
	v_cmp_gt_f64_e32 vcc, 0, v[119:120]
	v_mov_b32_e32 v99, v117
	v_cndmask_b32_e32 v102, v120, v101, vcc
	v_cmp_gt_f64_e32 vcc, 0, v[95:96]
	v_mov_b32_e32 v101, v119
	v_add_f64 v[99:100], v[99:100], v[101:102]
	v_xor_b32_e32 v101, 0x80000000, v96
	v_cndmask_b32_e32 v102, v96, v101, vcc
	v_cmp_gt_f64_e32 vcc, 0, v[97:98]
	v_mov_b32_e32 v101, v95
	v_cndmask_b32_e32 v104, v98, v103, vcc
	v_mov_b32_e32 v103, v97
	v_add_f64 v[101:102], v[101:102], v[103:104]
	v_cmp_lt_f64_e32 vcc, v[99:100], v[101:102]
	v_cndmask_b32_e32 v117, v117, v95, vcc
	v_mov_b32_e32 v95, s0
	s_add_i32 s0, s0, 1
	v_cndmask_b32_e32 v118, v118, v96, vcc
	v_cndmask_b32_e32 v120, v120, v98, vcc
	;; [unrolled: 1-line block ×4, first 2 shown]
	s_cmp_lg_u32 s3, s0
	s_cbranch_scc1 .LBB102_505
.LBB102_506:
	s_waitcnt lgkmcnt(0)
	v_cmp_eq_f64_e32 vcc, 0, v[117:118]
	v_cmp_eq_f64_e64 s[0:1], 0, v[119:120]
	s_and_b64 s[0:1], vcc, s[0:1]
	s_and_saveexec_b64 s[18:19], s[0:1]
	s_xor_b64 s[0:1], exec, s[18:19]
; %bb.507:
	v_cmp_ne_u32_e32 vcc, 0, v91
	v_cndmask_b32_e32 v91, 25, v91, vcc
; %bb.508:
	s_andn2_saveexec_b64 s[0:1], s[0:1]
	s_cbranch_execz .LBB102_514
; %bb.509:
	v_cmp_ngt_f64_e64 s[18:19], |v[117:118]|, |v[119:120]|
	s_and_saveexec_b64 s[20:21], s[18:19]
	s_xor_b64 s[18:19], exec, s[20:21]
	s_cbranch_execz .LBB102_511
; %bb.510:
	v_div_scale_f64 v[94:95], s[20:21], v[119:120], v[119:120], v[117:118]
	v_rcp_f64_e32 v[96:97], v[94:95]
	v_fma_f64 v[98:99], -v[94:95], v[96:97], 1.0
	v_fma_f64 v[96:97], v[96:97], v[98:99], v[96:97]
	v_div_scale_f64 v[98:99], vcc, v[117:118], v[119:120], v[117:118]
	v_fma_f64 v[100:101], -v[94:95], v[96:97], 1.0
	v_fma_f64 v[96:97], v[96:97], v[100:101], v[96:97]
	v_mul_f64 v[100:101], v[98:99], v[96:97]
	v_fma_f64 v[94:95], -v[94:95], v[100:101], v[98:99]
	v_div_fmas_f64 v[94:95], v[94:95], v[96:97], v[100:101]
	v_div_fixup_f64 v[94:95], v[94:95], v[119:120], v[117:118]
	v_fma_f64 v[96:97], v[117:118], v[94:95], v[119:120]
	v_div_scale_f64 v[98:99], s[20:21], v[96:97], v[96:97], 1.0
	v_div_scale_f64 v[104:105], vcc, 1.0, v[96:97], 1.0
	v_rcp_f64_e32 v[100:101], v[98:99]
	v_fma_f64 v[102:103], -v[98:99], v[100:101], 1.0
	v_fma_f64 v[100:101], v[100:101], v[102:103], v[100:101]
	v_fma_f64 v[102:103], -v[98:99], v[100:101], 1.0
	v_fma_f64 v[100:101], v[100:101], v[102:103], v[100:101]
	v_mul_f64 v[102:103], v[104:105], v[100:101]
	v_fma_f64 v[98:99], -v[98:99], v[102:103], v[104:105]
	v_div_fmas_f64 v[98:99], v[98:99], v[100:101], v[102:103]
	v_div_fixup_f64 v[119:120], v[98:99], v[96:97], 1.0
	v_mul_f64 v[117:118], v[94:95], v[119:120]
	v_xor_b32_e32 v120, 0x80000000, v120
.LBB102_511:
	s_andn2_saveexec_b64 s[18:19], s[18:19]
	s_cbranch_execz .LBB102_513
; %bb.512:
	v_div_scale_f64 v[94:95], s[20:21], v[117:118], v[117:118], v[119:120]
	v_rcp_f64_e32 v[96:97], v[94:95]
	v_fma_f64 v[98:99], -v[94:95], v[96:97], 1.0
	v_fma_f64 v[96:97], v[96:97], v[98:99], v[96:97]
	v_div_scale_f64 v[98:99], vcc, v[119:120], v[117:118], v[119:120]
	v_fma_f64 v[100:101], -v[94:95], v[96:97], 1.0
	v_fma_f64 v[96:97], v[96:97], v[100:101], v[96:97]
	v_mul_f64 v[100:101], v[98:99], v[96:97]
	v_fma_f64 v[94:95], -v[94:95], v[100:101], v[98:99]
	v_div_fmas_f64 v[94:95], v[94:95], v[96:97], v[100:101]
	v_div_fixup_f64 v[94:95], v[94:95], v[117:118], v[119:120]
	v_fma_f64 v[96:97], v[119:120], v[94:95], v[117:118]
	v_div_scale_f64 v[98:99], s[20:21], v[96:97], v[96:97], 1.0
	v_div_scale_f64 v[104:105], vcc, 1.0, v[96:97], 1.0
	v_rcp_f64_e32 v[100:101], v[98:99]
	v_fma_f64 v[102:103], -v[98:99], v[100:101], 1.0
	v_fma_f64 v[100:101], v[100:101], v[102:103], v[100:101]
	v_fma_f64 v[102:103], -v[98:99], v[100:101], 1.0
	v_fma_f64 v[100:101], v[100:101], v[102:103], v[100:101]
	v_mul_f64 v[102:103], v[104:105], v[100:101]
	v_fma_f64 v[98:99], -v[98:99], v[102:103], v[104:105]
	v_div_fmas_f64 v[98:99], v[98:99], v[100:101], v[102:103]
	v_div_fixup_f64 v[117:118], v[98:99], v[96:97], 1.0
	v_mul_f64 v[119:120], v[94:95], -v[117:118]
.LBB102_513:
	s_or_b64 exec, exec, s[18:19]
.LBB102_514:
	s_or_b64 exec, exec, s[0:1]
	v_cmp_ne_u32_e32 vcc, v92, v93
	s_and_saveexec_b64 s[0:1], vcc
	s_xor_b64 s[0:1], exec, s[0:1]
	s_cbranch_execz .LBB102_520
; %bb.515:
	v_cmp_eq_u32_e32 vcc, 24, v92
	s_and_saveexec_b64 s[18:19], vcc
	s_cbranch_execz .LBB102_519
; %bb.516:
	v_cmp_ne_u32_e32 vcc, 24, v93
	s_xor_b64 s[20:21], s[6:7], -1
	s_and_b64 s[22:23], s[20:21], vcc
	s_and_saveexec_b64 s[20:21], s[22:23]
	s_cbranch_execz .LBB102_518
; %bb.517:
	buffer_load_dword v81, off, s[24:27], 0 offset:416 ; 4-byte Folded Reload
	buffer_load_dword v82, off, s[24:27], 0 offset:420 ; 4-byte Folded Reload
	v_ashrrev_i32_e32 v94, 31, v93
	v_lshlrev_b64 v[94:95], 2, v[93:94]
	s_waitcnt vmcnt(1)
	v_add_co_u32_e32 v94, vcc, v81, v94
	s_waitcnt vmcnt(0)
	v_addc_co_u32_e32 v95, vcc, v82, v95, vcc
	global_load_dword v0, v[94:95], off
	global_load_dword v92, v[81:82], off offset:96
	s_waitcnt vmcnt(1)
	global_store_dword v[81:82], v0, off offset:96
	s_waitcnt vmcnt(1)
	global_store_dword v[94:95], v92, off
.LBB102_518:
	s_or_b64 exec, exec, s[20:21]
	v_mov_b32_e32 v92, v93
	v_mov_b32_e32 v0, v93
.LBB102_519:
	s_or_b64 exec, exec, s[18:19]
.LBB102_520:
	s_andn2_saveexec_b64 s[0:1], s[0:1]
	s_cbranch_execz .LBB102_522
; %bb.521:
	buffer_load_dword v81, off, s[24:27], 0 offset:48 ; 4-byte Folded Reload
	buffer_load_dword v82, off, s[24:27], 0 offset:52 ; 4-byte Folded Reload
	;; [unrolled: 1-line block ×4, first 2 shown]
	v_mov_b32_e32 v92, 24
	s_waitcnt vmcnt(0)
	ds_write2_b64 v90, v[81:82], v[83:84] offset0:50 offset1:51
	buffer_load_dword v81, off, s[24:27], 0 offset:32 ; 4-byte Folded Reload
	buffer_load_dword v82, off, s[24:27], 0 offset:36 ; 4-byte Folded Reload
	;; [unrolled: 1-line block ×4, first 2 shown]
	s_waitcnt vmcnt(0)
	ds_write2_b64 v90, v[81:82], v[83:84] offset0:52 offset1:53
	buffer_load_dword v81, off, s[24:27], 0 offset:16 ; 4-byte Folded Reload
	buffer_load_dword v82, off, s[24:27], 0 offset:20 ; 4-byte Folded Reload
	;; [unrolled: 1-line block ×4, first 2 shown]
	s_waitcnt vmcnt(0)
	ds_write2_b64 v90, v[81:82], v[83:84] offset0:54 offset1:55
	buffer_load_dword v81, off, s[24:27], 0 ; 4-byte Folded Reload
	buffer_load_dword v82, off, s[24:27], 0 offset:4 ; 4-byte Folded Reload
	buffer_load_dword v83, off, s[24:27], 0 offset:8 ; 4-byte Folded Reload
	;; [unrolled: 1-line block ×3, first 2 shown]
	s_waitcnt vmcnt(0)
	ds_write2_b64 v90, v[81:82], v[83:84] offset0:56 offset1:57
	ds_write2_b64 v90, v[111:112], v[113:114] offset0:58 offset1:59
	;; [unrolled: 1-line block ×24, first 2 shown]
.LBB102_522:
	s_or_b64 exec, exec, s[0:1]
	v_cmp_lt_i32_e32 vcc, 24, v92
	s_waitcnt vmcnt(0) lgkmcnt(0)
	s_barrier
	s_and_saveexec_b64 s[0:1], vcc
	s_cbranch_execz .LBB102_524
; %bb.523:
	buffer_load_dword v99, off, s[24:27], 0 offset:64 ; 4-byte Folded Reload
	buffer_load_dword v100, off, s[24:27], 0 offset:68 ; 4-byte Folded Reload
	;; [unrolled: 1-line block ×4, first 2 shown]
	s_waitcnt vmcnt(0)
	v_mul_f64 v[95:96], v[117:118], v[101:102]
	v_mul_f64 v[93:94], v[119:120], v[101:102]
	v_fma_f64 v[101:102], v[119:120], v[99:100], v[95:96]
	ds_read2_b64 v[95:98], v90 offset0:50 offset1:51
	buffer_load_dword v81, off, s[24:27], 0 offset:48 ; 4-byte Folded Reload
	buffer_load_dword v82, off, s[24:27], 0 offset:52 ; 4-byte Folded Reload
	;; [unrolled: 1-line block ×4, first 2 shown]
	v_fma_f64 v[93:94], v[117:118], v[99:100], -v[93:94]
	s_waitcnt lgkmcnt(0)
	v_mul_f64 v[99:100], v[97:98], v[101:102]
	v_fma_f64 v[99:100], v[95:96], v[93:94], -v[99:100]
	v_mul_f64 v[95:96], v[95:96], v[101:102]
	v_fma_f64 v[95:96], v[97:98], v[93:94], v[95:96]
	s_waitcnt vmcnt(2)
	v_add_f64 v[81:82], v[81:82], -v[99:100]
	s_waitcnt vmcnt(0)
	v_add_f64 v[83:84], v[83:84], -v[95:96]
	buffer_store_dword v81, off, s[24:27], 0 offset:48 ; 4-byte Folded Spill
	s_nop 0
	buffer_store_dword v82, off, s[24:27], 0 offset:52 ; 4-byte Folded Spill
	buffer_store_dword v83, off, s[24:27], 0 offset:56 ; 4-byte Folded Spill
	;; [unrolled: 1-line block ×3, first 2 shown]
	ds_read2_b64 v[95:98], v90 offset0:52 offset1:53
	buffer_load_dword v81, off, s[24:27], 0 offset:32 ; 4-byte Folded Reload
	buffer_load_dword v82, off, s[24:27], 0 offset:36 ; 4-byte Folded Reload
	;; [unrolled: 1-line block ×4, first 2 shown]
	s_waitcnt lgkmcnt(0)
	v_mul_f64 v[99:100], v[97:98], v[101:102]
	v_fma_f64 v[99:100], v[95:96], v[93:94], -v[99:100]
	v_mul_f64 v[95:96], v[95:96], v[101:102]
	v_fma_f64 v[95:96], v[97:98], v[93:94], v[95:96]
	s_waitcnt vmcnt(2)
	v_add_f64 v[81:82], v[81:82], -v[99:100]
	s_waitcnt vmcnt(0)
	v_add_f64 v[83:84], v[83:84], -v[95:96]
	buffer_store_dword v81, off, s[24:27], 0 offset:32 ; 4-byte Folded Spill
	s_nop 0
	buffer_store_dword v82, off, s[24:27], 0 offset:36 ; 4-byte Folded Spill
	buffer_store_dword v83, off, s[24:27], 0 offset:40 ; 4-byte Folded Spill
	;; [unrolled: 1-line block ×3, first 2 shown]
	ds_read2_b64 v[95:98], v90 offset0:54 offset1:55
	buffer_load_dword v81, off, s[24:27], 0 offset:16 ; 4-byte Folded Reload
	buffer_load_dword v82, off, s[24:27], 0 offset:20 ; 4-byte Folded Reload
	;; [unrolled: 1-line block ×4, first 2 shown]
	s_waitcnt lgkmcnt(0)
	v_mul_f64 v[99:100], v[97:98], v[101:102]
	v_fma_f64 v[99:100], v[95:96], v[93:94], -v[99:100]
	v_mul_f64 v[95:96], v[95:96], v[101:102]
	v_fma_f64 v[95:96], v[97:98], v[93:94], v[95:96]
	s_waitcnt vmcnt(2)
	v_add_f64 v[81:82], v[81:82], -v[99:100]
	s_waitcnt vmcnt(0)
	v_add_f64 v[83:84], v[83:84], -v[95:96]
	buffer_store_dword v81, off, s[24:27], 0 offset:16 ; 4-byte Folded Spill
	s_nop 0
	buffer_store_dword v82, off, s[24:27], 0 offset:20 ; 4-byte Folded Spill
	buffer_store_dword v83, off, s[24:27], 0 offset:24 ; 4-byte Folded Spill
	;; [unrolled: 1-line block ×3, first 2 shown]
	ds_read2_b64 v[95:98], v90 offset0:56 offset1:57
	buffer_load_dword v81, off, s[24:27], 0 ; 4-byte Folded Reload
	buffer_load_dword v82, off, s[24:27], 0 offset:4 ; 4-byte Folded Reload
	buffer_load_dword v83, off, s[24:27], 0 offset:8 ; 4-byte Folded Reload
	;; [unrolled: 1-line block ×3, first 2 shown]
	s_waitcnt lgkmcnt(0)
	v_mul_f64 v[99:100], v[97:98], v[101:102]
	v_fma_f64 v[99:100], v[95:96], v[93:94], -v[99:100]
	v_mul_f64 v[95:96], v[95:96], v[101:102]
	v_fma_f64 v[95:96], v[97:98], v[93:94], v[95:96]
	s_waitcnt vmcnt(2)
	v_add_f64 v[81:82], v[81:82], -v[99:100]
	s_waitcnt vmcnt(0)
	v_add_f64 v[83:84], v[83:84], -v[95:96]
	buffer_store_dword v81, off, s[24:27], 0 ; 4-byte Folded Spill
	s_nop 0
	buffer_store_dword v82, off, s[24:27], 0 offset:4 ; 4-byte Folded Spill
	buffer_store_dword v83, off, s[24:27], 0 offset:8 ; 4-byte Folded Spill
	buffer_store_dword v84, off, s[24:27], 0 offset:12 ; 4-byte Folded Spill
	ds_read2_b64 v[95:98], v90 offset0:58 offset1:59
	s_waitcnt lgkmcnt(0)
	v_mul_f64 v[99:100], v[97:98], v[101:102]
	v_fma_f64 v[99:100], v[95:96], v[93:94], -v[99:100]
	v_mul_f64 v[95:96], v[95:96], v[101:102]
	v_add_f64 v[111:112], v[111:112], -v[99:100]
	v_fma_f64 v[95:96], v[97:98], v[93:94], v[95:96]
	v_add_f64 v[113:114], v[113:114], -v[95:96]
	ds_read2_b64 v[95:98], v90 offset0:60 offset1:61
	s_waitcnt lgkmcnt(0)
	v_mul_f64 v[99:100], v[97:98], v[101:102]
	v_fma_f64 v[99:100], v[95:96], v[93:94], -v[99:100]
	v_mul_f64 v[95:96], v[95:96], v[101:102]
	v_add_f64 v[85:86], v[85:86], -v[99:100]
	v_fma_f64 v[95:96], v[97:98], v[93:94], v[95:96]
	v_add_f64 v[87:88], v[87:88], -v[95:96]
	;; [unrolled: 8-line block ×22, first 2 shown]
	ds_read2_b64 v[95:98], v90 offset0:102 offset1:103
	s_waitcnt lgkmcnt(0)
	v_mul_f64 v[99:100], v[97:98], v[101:102]
	v_fma_f64 v[99:100], v[95:96], v[93:94], -v[99:100]
	v_mul_f64 v[95:96], v[95:96], v[101:102]
	v_add_f64 v[121:122], v[121:122], -v[99:100]
	v_fma_f64 v[95:96], v[97:98], v[93:94], v[95:96]
	v_mov_b32_e32 v100, v94
	v_mov_b32_e32 v99, v93
	buffer_store_dword v99, off, s[24:27], 0 offset:64 ; 4-byte Folded Spill
	s_nop 0
	buffer_store_dword v100, off, s[24:27], 0 offset:68 ; 4-byte Folded Spill
	buffer_store_dword v101, off, s[24:27], 0 offset:72 ; 4-byte Folded Spill
	;; [unrolled: 1-line block ×3, first 2 shown]
	v_add_f64 v[123:124], v[123:124], -v[95:96]
.LBB102_524:
	s_or_b64 exec, exec, s[0:1]
	s_waitcnt vmcnt(0)
	s_barrier
	buffer_load_dword v81, off, s[24:27], 0 offset:48 ; 4-byte Folded Reload
	buffer_load_dword v82, off, s[24:27], 0 offset:52 ; 4-byte Folded Reload
	;; [unrolled: 1-line block ×4, first 2 shown]
	v_lshl_add_u32 v93, v92, 4, v90
	s_cmp_lt_i32 s3, 27
	s_waitcnt vmcnt(0)
	ds_write2_b64 v93, v[81:82], v[83:84] offset1:1
	s_waitcnt lgkmcnt(0)
	s_barrier
	ds_read2_b64 v[117:120], v90 offset0:50 offset1:51
	v_mov_b32_e32 v93, 25
	s_cbranch_scc1 .LBB102_527
; %bb.525:
	v_add_u32_e32 v94, 0x1a0, v90
	s_mov_b32 s0, 26
	v_mov_b32_e32 v93, 25
.LBB102_526:                            ; =>This Inner Loop Header: Depth=1
	s_waitcnt lgkmcnt(0)
	v_cmp_gt_f64_e32 vcc, 0, v[117:118]
	v_xor_b32_e32 v99, 0x80000000, v118
	ds_read2_b64 v[95:98], v94 offset1:1
	v_xor_b32_e32 v101, 0x80000000, v120
	v_add_u32_e32 v94, 16, v94
	s_waitcnt lgkmcnt(0)
	v_xor_b32_e32 v103, 0x80000000, v98
	v_cndmask_b32_e32 v100, v118, v99, vcc
	v_cmp_gt_f64_e32 vcc, 0, v[119:120]
	v_mov_b32_e32 v99, v117
	v_cndmask_b32_e32 v102, v120, v101, vcc
	v_cmp_gt_f64_e32 vcc, 0, v[95:96]
	v_mov_b32_e32 v101, v119
	v_add_f64 v[99:100], v[99:100], v[101:102]
	v_xor_b32_e32 v101, 0x80000000, v96
	v_cndmask_b32_e32 v102, v96, v101, vcc
	v_cmp_gt_f64_e32 vcc, 0, v[97:98]
	v_mov_b32_e32 v101, v95
	v_cndmask_b32_e32 v104, v98, v103, vcc
	v_mov_b32_e32 v103, v97
	v_add_f64 v[101:102], v[101:102], v[103:104]
	v_cmp_lt_f64_e32 vcc, v[99:100], v[101:102]
	v_cndmask_b32_e32 v117, v117, v95, vcc
	v_mov_b32_e32 v95, s0
	s_add_i32 s0, s0, 1
	v_cndmask_b32_e32 v118, v118, v96, vcc
	v_cndmask_b32_e32 v120, v120, v98, vcc
	;; [unrolled: 1-line block ×4, first 2 shown]
	s_cmp_lg_u32 s3, s0
	s_cbranch_scc1 .LBB102_526
.LBB102_527:
	s_waitcnt lgkmcnt(0)
	v_cmp_eq_f64_e32 vcc, 0, v[117:118]
	v_cmp_eq_f64_e64 s[0:1], 0, v[119:120]
	s_and_b64 s[0:1], vcc, s[0:1]
	s_and_saveexec_b64 s[18:19], s[0:1]
	s_xor_b64 s[0:1], exec, s[18:19]
; %bb.528:
	v_cmp_ne_u32_e32 vcc, 0, v91
	v_cndmask_b32_e32 v91, 26, v91, vcc
; %bb.529:
	s_andn2_saveexec_b64 s[0:1], s[0:1]
	s_cbranch_execz .LBB102_535
; %bb.530:
	v_cmp_ngt_f64_e64 s[18:19], |v[117:118]|, |v[119:120]|
	s_and_saveexec_b64 s[20:21], s[18:19]
	s_xor_b64 s[18:19], exec, s[20:21]
	s_cbranch_execz .LBB102_532
; %bb.531:
	v_div_scale_f64 v[94:95], s[20:21], v[119:120], v[119:120], v[117:118]
	v_rcp_f64_e32 v[96:97], v[94:95]
	v_fma_f64 v[98:99], -v[94:95], v[96:97], 1.0
	v_fma_f64 v[96:97], v[96:97], v[98:99], v[96:97]
	v_div_scale_f64 v[98:99], vcc, v[117:118], v[119:120], v[117:118]
	v_fma_f64 v[100:101], -v[94:95], v[96:97], 1.0
	v_fma_f64 v[96:97], v[96:97], v[100:101], v[96:97]
	v_mul_f64 v[100:101], v[98:99], v[96:97]
	v_fma_f64 v[94:95], -v[94:95], v[100:101], v[98:99]
	v_div_fmas_f64 v[94:95], v[94:95], v[96:97], v[100:101]
	v_div_fixup_f64 v[94:95], v[94:95], v[119:120], v[117:118]
	v_fma_f64 v[96:97], v[117:118], v[94:95], v[119:120]
	v_div_scale_f64 v[98:99], s[20:21], v[96:97], v[96:97], 1.0
	v_div_scale_f64 v[104:105], vcc, 1.0, v[96:97], 1.0
	v_rcp_f64_e32 v[100:101], v[98:99]
	v_fma_f64 v[102:103], -v[98:99], v[100:101], 1.0
	v_fma_f64 v[100:101], v[100:101], v[102:103], v[100:101]
	v_fma_f64 v[102:103], -v[98:99], v[100:101], 1.0
	v_fma_f64 v[100:101], v[100:101], v[102:103], v[100:101]
	v_mul_f64 v[102:103], v[104:105], v[100:101]
	v_fma_f64 v[98:99], -v[98:99], v[102:103], v[104:105]
	v_div_fmas_f64 v[98:99], v[98:99], v[100:101], v[102:103]
	v_div_fixup_f64 v[119:120], v[98:99], v[96:97], 1.0
	v_mul_f64 v[117:118], v[94:95], v[119:120]
	v_xor_b32_e32 v120, 0x80000000, v120
.LBB102_532:
	s_andn2_saveexec_b64 s[18:19], s[18:19]
	s_cbranch_execz .LBB102_534
; %bb.533:
	v_div_scale_f64 v[94:95], s[20:21], v[117:118], v[117:118], v[119:120]
	v_rcp_f64_e32 v[96:97], v[94:95]
	v_fma_f64 v[98:99], -v[94:95], v[96:97], 1.0
	v_fma_f64 v[96:97], v[96:97], v[98:99], v[96:97]
	v_div_scale_f64 v[98:99], vcc, v[119:120], v[117:118], v[119:120]
	v_fma_f64 v[100:101], -v[94:95], v[96:97], 1.0
	v_fma_f64 v[96:97], v[96:97], v[100:101], v[96:97]
	v_mul_f64 v[100:101], v[98:99], v[96:97]
	v_fma_f64 v[94:95], -v[94:95], v[100:101], v[98:99]
	v_div_fmas_f64 v[94:95], v[94:95], v[96:97], v[100:101]
	v_div_fixup_f64 v[94:95], v[94:95], v[117:118], v[119:120]
	v_fma_f64 v[96:97], v[119:120], v[94:95], v[117:118]
	v_div_scale_f64 v[98:99], s[20:21], v[96:97], v[96:97], 1.0
	v_div_scale_f64 v[104:105], vcc, 1.0, v[96:97], 1.0
	v_rcp_f64_e32 v[100:101], v[98:99]
	v_fma_f64 v[102:103], -v[98:99], v[100:101], 1.0
	v_fma_f64 v[100:101], v[100:101], v[102:103], v[100:101]
	v_fma_f64 v[102:103], -v[98:99], v[100:101], 1.0
	v_fma_f64 v[100:101], v[100:101], v[102:103], v[100:101]
	v_mul_f64 v[102:103], v[104:105], v[100:101]
	v_fma_f64 v[98:99], -v[98:99], v[102:103], v[104:105]
	v_div_fmas_f64 v[98:99], v[98:99], v[100:101], v[102:103]
	v_div_fixup_f64 v[117:118], v[98:99], v[96:97], 1.0
	v_mul_f64 v[119:120], v[94:95], -v[117:118]
.LBB102_534:
	s_or_b64 exec, exec, s[18:19]
.LBB102_535:
	s_or_b64 exec, exec, s[0:1]
	v_cmp_ne_u32_e32 vcc, v92, v93
	s_and_saveexec_b64 s[0:1], vcc
	s_xor_b64 s[0:1], exec, s[0:1]
	s_cbranch_execz .LBB102_541
; %bb.536:
	v_cmp_eq_u32_e32 vcc, 25, v92
	s_and_saveexec_b64 s[18:19], vcc
	s_cbranch_execz .LBB102_540
; %bb.537:
	v_cmp_ne_u32_e32 vcc, 25, v93
	s_xor_b64 s[20:21], s[6:7], -1
	s_and_b64 s[22:23], s[20:21], vcc
	s_and_saveexec_b64 s[20:21], s[22:23]
	s_cbranch_execz .LBB102_539
; %bb.538:
	buffer_load_dword v81, off, s[24:27], 0 offset:416 ; 4-byte Folded Reload
	buffer_load_dword v82, off, s[24:27], 0 offset:420 ; 4-byte Folded Reload
	v_ashrrev_i32_e32 v94, 31, v93
	v_lshlrev_b64 v[94:95], 2, v[93:94]
	s_waitcnt vmcnt(1)
	v_add_co_u32_e32 v94, vcc, v81, v94
	s_waitcnt vmcnt(0)
	v_addc_co_u32_e32 v95, vcc, v82, v95, vcc
	global_load_dword v0, v[94:95], off
	global_load_dword v92, v[81:82], off offset:100
	s_waitcnt vmcnt(1)
	global_store_dword v[81:82], v0, off offset:100
	s_waitcnt vmcnt(1)
	global_store_dword v[94:95], v92, off
.LBB102_539:
	s_or_b64 exec, exec, s[20:21]
	v_mov_b32_e32 v92, v93
	v_mov_b32_e32 v0, v93
.LBB102_540:
	s_or_b64 exec, exec, s[18:19]
.LBB102_541:
	s_andn2_saveexec_b64 s[0:1], s[0:1]
	s_cbranch_execz .LBB102_543
; %bb.542:
	buffer_load_dword v81, off, s[24:27], 0 offset:32 ; 4-byte Folded Reload
	buffer_load_dword v82, off, s[24:27], 0 offset:36 ; 4-byte Folded Reload
	;; [unrolled: 1-line block ×4, first 2 shown]
	v_mov_b32_e32 v92, 25
	s_waitcnt vmcnt(0)
	ds_write2_b64 v90, v[81:82], v[83:84] offset0:52 offset1:53
	buffer_load_dword v81, off, s[24:27], 0 offset:16 ; 4-byte Folded Reload
	buffer_load_dword v82, off, s[24:27], 0 offset:20 ; 4-byte Folded Reload
	;; [unrolled: 1-line block ×4, first 2 shown]
	s_waitcnt vmcnt(0)
	ds_write2_b64 v90, v[81:82], v[83:84] offset0:54 offset1:55
	buffer_load_dword v81, off, s[24:27], 0 ; 4-byte Folded Reload
	buffer_load_dword v82, off, s[24:27], 0 offset:4 ; 4-byte Folded Reload
	buffer_load_dword v83, off, s[24:27], 0 offset:8 ; 4-byte Folded Reload
	;; [unrolled: 1-line block ×3, first 2 shown]
	s_waitcnt vmcnt(0)
	ds_write2_b64 v90, v[81:82], v[83:84] offset0:56 offset1:57
	ds_write2_b64 v90, v[111:112], v[113:114] offset0:58 offset1:59
	;; [unrolled: 1-line block ×24, first 2 shown]
.LBB102_543:
	s_or_b64 exec, exec, s[0:1]
	v_cmp_lt_i32_e32 vcc, 25, v92
	s_waitcnt vmcnt(0) lgkmcnt(0)
	s_barrier
	s_and_saveexec_b64 s[0:1], vcc
	s_cbranch_execz .LBB102_545
; %bb.544:
	buffer_load_dword v99, off, s[24:27], 0 offset:48 ; 4-byte Folded Reload
	buffer_load_dword v100, off, s[24:27], 0 offset:52 ; 4-byte Folded Reload
	;; [unrolled: 1-line block ×4, first 2 shown]
	s_waitcnt vmcnt(0)
	v_mul_f64 v[95:96], v[117:118], v[101:102]
	v_mul_f64 v[93:94], v[119:120], v[101:102]
	v_fma_f64 v[101:102], v[119:120], v[99:100], v[95:96]
	ds_read2_b64 v[95:98], v90 offset0:52 offset1:53
	buffer_load_dword v81, off, s[24:27], 0 offset:32 ; 4-byte Folded Reload
	buffer_load_dword v82, off, s[24:27], 0 offset:36 ; 4-byte Folded Reload
	;; [unrolled: 1-line block ×4, first 2 shown]
	v_fma_f64 v[93:94], v[117:118], v[99:100], -v[93:94]
	s_waitcnt lgkmcnt(0)
	v_mul_f64 v[99:100], v[97:98], v[101:102]
	v_fma_f64 v[99:100], v[95:96], v[93:94], -v[99:100]
	v_mul_f64 v[95:96], v[95:96], v[101:102]
	v_fma_f64 v[95:96], v[97:98], v[93:94], v[95:96]
	s_waitcnt vmcnt(2)
	v_add_f64 v[81:82], v[81:82], -v[99:100]
	s_waitcnt vmcnt(0)
	v_add_f64 v[83:84], v[83:84], -v[95:96]
	buffer_store_dword v81, off, s[24:27], 0 offset:32 ; 4-byte Folded Spill
	s_nop 0
	buffer_store_dword v82, off, s[24:27], 0 offset:36 ; 4-byte Folded Spill
	buffer_store_dword v83, off, s[24:27], 0 offset:40 ; 4-byte Folded Spill
	;; [unrolled: 1-line block ×3, first 2 shown]
	ds_read2_b64 v[95:98], v90 offset0:54 offset1:55
	buffer_load_dword v81, off, s[24:27], 0 offset:16 ; 4-byte Folded Reload
	buffer_load_dword v82, off, s[24:27], 0 offset:20 ; 4-byte Folded Reload
	;; [unrolled: 1-line block ×4, first 2 shown]
	s_waitcnt lgkmcnt(0)
	v_mul_f64 v[99:100], v[97:98], v[101:102]
	v_fma_f64 v[99:100], v[95:96], v[93:94], -v[99:100]
	v_mul_f64 v[95:96], v[95:96], v[101:102]
	v_fma_f64 v[95:96], v[97:98], v[93:94], v[95:96]
	s_waitcnt vmcnt(2)
	v_add_f64 v[81:82], v[81:82], -v[99:100]
	s_waitcnt vmcnt(0)
	v_add_f64 v[83:84], v[83:84], -v[95:96]
	buffer_store_dword v81, off, s[24:27], 0 offset:16 ; 4-byte Folded Spill
	s_nop 0
	buffer_store_dword v82, off, s[24:27], 0 offset:20 ; 4-byte Folded Spill
	buffer_store_dword v83, off, s[24:27], 0 offset:24 ; 4-byte Folded Spill
	;; [unrolled: 1-line block ×3, first 2 shown]
	ds_read2_b64 v[95:98], v90 offset0:56 offset1:57
	buffer_load_dword v81, off, s[24:27], 0 ; 4-byte Folded Reload
	buffer_load_dword v82, off, s[24:27], 0 offset:4 ; 4-byte Folded Reload
	buffer_load_dword v83, off, s[24:27], 0 offset:8 ; 4-byte Folded Reload
	;; [unrolled: 1-line block ×3, first 2 shown]
	s_waitcnt lgkmcnt(0)
	v_mul_f64 v[99:100], v[97:98], v[101:102]
	v_fma_f64 v[99:100], v[95:96], v[93:94], -v[99:100]
	v_mul_f64 v[95:96], v[95:96], v[101:102]
	v_fma_f64 v[95:96], v[97:98], v[93:94], v[95:96]
	s_waitcnt vmcnt(2)
	v_add_f64 v[81:82], v[81:82], -v[99:100]
	s_waitcnt vmcnt(0)
	v_add_f64 v[83:84], v[83:84], -v[95:96]
	buffer_store_dword v81, off, s[24:27], 0 ; 4-byte Folded Spill
	s_nop 0
	buffer_store_dword v82, off, s[24:27], 0 offset:4 ; 4-byte Folded Spill
	buffer_store_dword v83, off, s[24:27], 0 offset:8 ; 4-byte Folded Spill
	;; [unrolled: 1-line block ×3, first 2 shown]
	ds_read2_b64 v[95:98], v90 offset0:58 offset1:59
	s_waitcnt lgkmcnt(0)
	v_mul_f64 v[99:100], v[97:98], v[101:102]
	v_fma_f64 v[99:100], v[95:96], v[93:94], -v[99:100]
	v_mul_f64 v[95:96], v[95:96], v[101:102]
	v_add_f64 v[111:112], v[111:112], -v[99:100]
	v_fma_f64 v[95:96], v[97:98], v[93:94], v[95:96]
	v_add_f64 v[113:114], v[113:114], -v[95:96]
	ds_read2_b64 v[95:98], v90 offset0:60 offset1:61
	s_waitcnt lgkmcnt(0)
	v_mul_f64 v[99:100], v[97:98], v[101:102]
	v_fma_f64 v[99:100], v[95:96], v[93:94], -v[99:100]
	v_mul_f64 v[95:96], v[95:96], v[101:102]
	v_add_f64 v[85:86], v[85:86], -v[99:100]
	v_fma_f64 v[95:96], v[97:98], v[93:94], v[95:96]
	v_add_f64 v[87:88], v[87:88], -v[95:96]
	;; [unrolled: 8-line block ×22, first 2 shown]
	ds_read2_b64 v[95:98], v90 offset0:102 offset1:103
	s_waitcnt lgkmcnt(0)
	v_mul_f64 v[99:100], v[97:98], v[101:102]
	v_fma_f64 v[99:100], v[95:96], v[93:94], -v[99:100]
	v_mul_f64 v[95:96], v[95:96], v[101:102]
	v_add_f64 v[121:122], v[121:122], -v[99:100]
	v_fma_f64 v[95:96], v[97:98], v[93:94], v[95:96]
	v_mov_b32_e32 v100, v94
	v_mov_b32_e32 v99, v93
	buffer_store_dword v99, off, s[24:27], 0 offset:48 ; 4-byte Folded Spill
	s_nop 0
	buffer_store_dword v100, off, s[24:27], 0 offset:52 ; 4-byte Folded Spill
	buffer_store_dword v101, off, s[24:27], 0 offset:56 ; 4-byte Folded Spill
	;; [unrolled: 1-line block ×3, first 2 shown]
	v_add_f64 v[123:124], v[123:124], -v[95:96]
.LBB102_545:
	s_or_b64 exec, exec, s[0:1]
	s_waitcnt vmcnt(0)
	s_barrier
	buffer_load_dword v81, off, s[24:27], 0 offset:32 ; 4-byte Folded Reload
	buffer_load_dword v82, off, s[24:27], 0 offset:36 ; 4-byte Folded Reload
	;; [unrolled: 1-line block ×4, first 2 shown]
	v_lshl_add_u32 v93, v92, 4, v90
	s_cmp_lt_i32 s3, 28
	s_waitcnt vmcnt(0)
	ds_write2_b64 v93, v[81:82], v[83:84] offset1:1
	s_waitcnt lgkmcnt(0)
	s_barrier
	ds_read2_b64 v[117:120], v90 offset0:52 offset1:53
	v_mov_b32_e32 v93, 26
	s_cbranch_scc1 .LBB102_548
; %bb.546:
	v_add_u32_e32 v94, 0x1b0, v90
	s_mov_b32 s0, 27
	v_mov_b32_e32 v93, 26
.LBB102_547:                            ; =>This Inner Loop Header: Depth=1
	s_waitcnt lgkmcnt(0)
	v_cmp_gt_f64_e32 vcc, 0, v[117:118]
	v_xor_b32_e32 v99, 0x80000000, v118
	ds_read2_b64 v[95:98], v94 offset1:1
	v_xor_b32_e32 v101, 0x80000000, v120
	v_add_u32_e32 v94, 16, v94
	s_waitcnt lgkmcnt(0)
	v_xor_b32_e32 v103, 0x80000000, v98
	v_cndmask_b32_e32 v100, v118, v99, vcc
	v_cmp_gt_f64_e32 vcc, 0, v[119:120]
	v_mov_b32_e32 v99, v117
	v_cndmask_b32_e32 v102, v120, v101, vcc
	v_cmp_gt_f64_e32 vcc, 0, v[95:96]
	v_mov_b32_e32 v101, v119
	v_add_f64 v[99:100], v[99:100], v[101:102]
	v_xor_b32_e32 v101, 0x80000000, v96
	v_cndmask_b32_e32 v102, v96, v101, vcc
	v_cmp_gt_f64_e32 vcc, 0, v[97:98]
	v_mov_b32_e32 v101, v95
	v_cndmask_b32_e32 v104, v98, v103, vcc
	v_mov_b32_e32 v103, v97
	v_add_f64 v[101:102], v[101:102], v[103:104]
	v_cmp_lt_f64_e32 vcc, v[99:100], v[101:102]
	v_cndmask_b32_e32 v117, v117, v95, vcc
	v_mov_b32_e32 v95, s0
	s_add_i32 s0, s0, 1
	v_cndmask_b32_e32 v118, v118, v96, vcc
	v_cndmask_b32_e32 v120, v120, v98, vcc
	;; [unrolled: 1-line block ×4, first 2 shown]
	s_cmp_lg_u32 s3, s0
	s_cbranch_scc1 .LBB102_547
.LBB102_548:
	s_waitcnt lgkmcnt(0)
	v_cmp_eq_f64_e32 vcc, 0, v[117:118]
	v_cmp_eq_f64_e64 s[0:1], 0, v[119:120]
	s_and_b64 s[0:1], vcc, s[0:1]
	s_and_saveexec_b64 s[18:19], s[0:1]
	s_xor_b64 s[0:1], exec, s[18:19]
; %bb.549:
	v_cmp_ne_u32_e32 vcc, 0, v91
	v_cndmask_b32_e32 v91, 27, v91, vcc
; %bb.550:
	s_andn2_saveexec_b64 s[0:1], s[0:1]
	s_cbranch_execz .LBB102_556
; %bb.551:
	v_cmp_ngt_f64_e64 s[18:19], |v[117:118]|, |v[119:120]|
	s_and_saveexec_b64 s[20:21], s[18:19]
	s_xor_b64 s[18:19], exec, s[20:21]
	s_cbranch_execz .LBB102_553
; %bb.552:
	v_div_scale_f64 v[94:95], s[20:21], v[119:120], v[119:120], v[117:118]
	v_rcp_f64_e32 v[96:97], v[94:95]
	v_fma_f64 v[98:99], -v[94:95], v[96:97], 1.0
	v_fma_f64 v[96:97], v[96:97], v[98:99], v[96:97]
	v_div_scale_f64 v[98:99], vcc, v[117:118], v[119:120], v[117:118]
	v_fma_f64 v[100:101], -v[94:95], v[96:97], 1.0
	v_fma_f64 v[96:97], v[96:97], v[100:101], v[96:97]
	v_mul_f64 v[100:101], v[98:99], v[96:97]
	v_fma_f64 v[94:95], -v[94:95], v[100:101], v[98:99]
	v_div_fmas_f64 v[94:95], v[94:95], v[96:97], v[100:101]
	v_div_fixup_f64 v[94:95], v[94:95], v[119:120], v[117:118]
	v_fma_f64 v[96:97], v[117:118], v[94:95], v[119:120]
	v_div_scale_f64 v[98:99], s[20:21], v[96:97], v[96:97], 1.0
	v_div_scale_f64 v[104:105], vcc, 1.0, v[96:97], 1.0
	v_rcp_f64_e32 v[100:101], v[98:99]
	v_fma_f64 v[102:103], -v[98:99], v[100:101], 1.0
	v_fma_f64 v[100:101], v[100:101], v[102:103], v[100:101]
	v_fma_f64 v[102:103], -v[98:99], v[100:101], 1.0
	v_fma_f64 v[100:101], v[100:101], v[102:103], v[100:101]
	v_mul_f64 v[102:103], v[104:105], v[100:101]
	v_fma_f64 v[98:99], -v[98:99], v[102:103], v[104:105]
	v_div_fmas_f64 v[98:99], v[98:99], v[100:101], v[102:103]
	v_div_fixup_f64 v[119:120], v[98:99], v[96:97], 1.0
	v_mul_f64 v[117:118], v[94:95], v[119:120]
	v_xor_b32_e32 v120, 0x80000000, v120
.LBB102_553:
	s_andn2_saveexec_b64 s[18:19], s[18:19]
	s_cbranch_execz .LBB102_555
; %bb.554:
	v_div_scale_f64 v[94:95], s[20:21], v[117:118], v[117:118], v[119:120]
	v_rcp_f64_e32 v[96:97], v[94:95]
	v_fma_f64 v[98:99], -v[94:95], v[96:97], 1.0
	v_fma_f64 v[96:97], v[96:97], v[98:99], v[96:97]
	v_div_scale_f64 v[98:99], vcc, v[119:120], v[117:118], v[119:120]
	v_fma_f64 v[100:101], -v[94:95], v[96:97], 1.0
	v_fma_f64 v[96:97], v[96:97], v[100:101], v[96:97]
	v_mul_f64 v[100:101], v[98:99], v[96:97]
	v_fma_f64 v[94:95], -v[94:95], v[100:101], v[98:99]
	v_div_fmas_f64 v[94:95], v[94:95], v[96:97], v[100:101]
	v_div_fixup_f64 v[94:95], v[94:95], v[117:118], v[119:120]
	v_fma_f64 v[96:97], v[119:120], v[94:95], v[117:118]
	v_div_scale_f64 v[98:99], s[20:21], v[96:97], v[96:97], 1.0
	v_div_scale_f64 v[104:105], vcc, 1.0, v[96:97], 1.0
	v_rcp_f64_e32 v[100:101], v[98:99]
	v_fma_f64 v[102:103], -v[98:99], v[100:101], 1.0
	v_fma_f64 v[100:101], v[100:101], v[102:103], v[100:101]
	v_fma_f64 v[102:103], -v[98:99], v[100:101], 1.0
	v_fma_f64 v[100:101], v[100:101], v[102:103], v[100:101]
	v_mul_f64 v[102:103], v[104:105], v[100:101]
	v_fma_f64 v[98:99], -v[98:99], v[102:103], v[104:105]
	v_div_fmas_f64 v[98:99], v[98:99], v[100:101], v[102:103]
	v_div_fixup_f64 v[117:118], v[98:99], v[96:97], 1.0
	v_mul_f64 v[119:120], v[94:95], -v[117:118]
.LBB102_555:
	s_or_b64 exec, exec, s[18:19]
.LBB102_556:
	s_or_b64 exec, exec, s[0:1]
	v_cmp_ne_u32_e32 vcc, v92, v93
	s_and_saveexec_b64 s[0:1], vcc
	s_xor_b64 s[0:1], exec, s[0:1]
	s_cbranch_execz .LBB102_562
; %bb.557:
	v_cmp_eq_u32_e32 vcc, 26, v92
	s_and_saveexec_b64 s[18:19], vcc
	s_cbranch_execz .LBB102_561
; %bb.558:
	v_cmp_ne_u32_e32 vcc, 26, v93
	s_xor_b64 s[20:21], s[6:7], -1
	s_and_b64 s[22:23], s[20:21], vcc
	s_and_saveexec_b64 s[20:21], s[22:23]
	s_cbranch_execz .LBB102_560
; %bb.559:
	buffer_load_dword v81, off, s[24:27], 0 offset:416 ; 4-byte Folded Reload
	buffer_load_dword v82, off, s[24:27], 0 offset:420 ; 4-byte Folded Reload
	v_ashrrev_i32_e32 v94, 31, v93
	v_lshlrev_b64 v[94:95], 2, v[93:94]
	s_waitcnt vmcnt(1)
	v_add_co_u32_e32 v94, vcc, v81, v94
	s_waitcnt vmcnt(0)
	v_addc_co_u32_e32 v95, vcc, v82, v95, vcc
	global_load_dword v0, v[94:95], off
	global_load_dword v92, v[81:82], off offset:104
	s_waitcnt vmcnt(1)
	global_store_dword v[81:82], v0, off offset:104
	s_waitcnt vmcnt(1)
	global_store_dword v[94:95], v92, off
.LBB102_560:
	s_or_b64 exec, exec, s[20:21]
	v_mov_b32_e32 v92, v93
	v_mov_b32_e32 v0, v93
.LBB102_561:
	s_or_b64 exec, exec, s[18:19]
.LBB102_562:
	s_andn2_saveexec_b64 s[0:1], s[0:1]
	s_cbranch_execz .LBB102_564
; %bb.563:
	buffer_load_dword v81, off, s[24:27], 0 offset:16 ; 4-byte Folded Reload
	buffer_load_dword v82, off, s[24:27], 0 offset:20 ; 4-byte Folded Reload
	;; [unrolled: 1-line block ×4, first 2 shown]
	v_mov_b32_e32 v92, 26
	s_waitcnt vmcnt(0)
	ds_write2_b64 v90, v[81:82], v[83:84] offset0:54 offset1:55
	buffer_load_dword v81, off, s[24:27], 0 ; 4-byte Folded Reload
	buffer_load_dword v82, off, s[24:27], 0 offset:4 ; 4-byte Folded Reload
	buffer_load_dword v83, off, s[24:27], 0 offset:8 ; 4-byte Folded Reload
	;; [unrolled: 1-line block ×3, first 2 shown]
	s_waitcnt vmcnt(0)
	ds_write2_b64 v90, v[81:82], v[83:84] offset0:56 offset1:57
	ds_write2_b64 v90, v[111:112], v[113:114] offset0:58 offset1:59
	;; [unrolled: 1-line block ×24, first 2 shown]
.LBB102_564:
	s_or_b64 exec, exec, s[0:1]
	v_cmp_lt_i32_e32 vcc, 26, v92
	s_waitcnt vmcnt(0) lgkmcnt(0)
	s_barrier
	s_and_saveexec_b64 s[0:1], vcc
	s_cbranch_execz .LBB102_566
; %bb.565:
	buffer_load_dword v99, off, s[24:27], 0 offset:32 ; 4-byte Folded Reload
	buffer_load_dword v100, off, s[24:27], 0 offset:36 ; 4-byte Folded Reload
	;; [unrolled: 1-line block ×4, first 2 shown]
	s_waitcnt vmcnt(0)
	v_mul_f64 v[95:96], v[117:118], v[101:102]
	v_mul_f64 v[93:94], v[119:120], v[101:102]
	v_fma_f64 v[101:102], v[119:120], v[99:100], v[95:96]
	ds_read2_b64 v[95:98], v90 offset0:54 offset1:55
	buffer_load_dword v81, off, s[24:27], 0 offset:16 ; 4-byte Folded Reload
	buffer_load_dword v82, off, s[24:27], 0 offset:20 ; 4-byte Folded Reload
	;; [unrolled: 1-line block ×4, first 2 shown]
	v_fma_f64 v[93:94], v[117:118], v[99:100], -v[93:94]
	s_waitcnt lgkmcnt(0)
	v_mul_f64 v[99:100], v[97:98], v[101:102]
	v_fma_f64 v[99:100], v[95:96], v[93:94], -v[99:100]
	v_mul_f64 v[95:96], v[95:96], v[101:102]
	v_fma_f64 v[95:96], v[97:98], v[93:94], v[95:96]
	s_waitcnt vmcnt(2)
	v_add_f64 v[81:82], v[81:82], -v[99:100]
	s_waitcnt vmcnt(0)
	v_add_f64 v[83:84], v[83:84], -v[95:96]
	buffer_store_dword v81, off, s[24:27], 0 offset:16 ; 4-byte Folded Spill
	s_nop 0
	buffer_store_dword v82, off, s[24:27], 0 offset:20 ; 4-byte Folded Spill
	buffer_store_dword v83, off, s[24:27], 0 offset:24 ; 4-byte Folded Spill
	;; [unrolled: 1-line block ×3, first 2 shown]
	ds_read2_b64 v[95:98], v90 offset0:56 offset1:57
	buffer_load_dword v81, off, s[24:27], 0 ; 4-byte Folded Reload
	buffer_load_dword v82, off, s[24:27], 0 offset:4 ; 4-byte Folded Reload
	buffer_load_dword v83, off, s[24:27], 0 offset:8 ; 4-byte Folded Reload
	;; [unrolled: 1-line block ×3, first 2 shown]
	s_waitcnt lgkmcnt(0)
	v_mul_f64 v[99:100], v[97:98], v[101:102]
	v_fma_f64 v[99:100], v[95:96], v[93:94], -v[99:100]
	v_mul_f64 v[95:96], v[95:96], v[101:102]
	v_fma_f64 v[95:96], v[97:98], v[93:94], v[95:96]
	s_waitcnt vmcnt(2)
	v_add_f64 v[81:82], v[81:82], -v[99:100]
	s_waitcnt vmcnt(0)
	v_add_f64 v[83:84], v[83:84], -v[95:96]
	buffer_store_dword v81, off, s[24:27], 0 ; 4-byte Folded Spill
	s_nop 0
	buffer_store_dword v82, off, s[24:27], 0 offset:4 ; 4-byte Folded Spill
	buffer_store_dword v83, off, s[24:27], 0 offset:8 ; 4-byte Folded Spill
	;; [unrolled: 1-line block ×3, first 2 shown]
	ds_read2_b64 v[95:98], v90 offset0:58 offset1:59
	s_waitcnt lgkmcnt(0)
	v_mul_f64 v[99:100], v[97:98], v[101:102]
	v_fma_f64 v[99:100], v[95:96], v[93:94], -v[99:100]
	v_mul_f64 v[95:96], v[95:96], v[101:102]
	v_add_f64 v[111:112], v[111:112], -v[99:100]
	v_fma_f64 v[95:96], v[97:98], v[93:94], v[95:96]
	v_add_f64 v[113:114], v[113:114], -v[95:96]
	ds_read2_b64 v[95:98], v90 offset0:60 offset1:61
	s_waitcnt lgkmcnt(0)
	v_mul_f64 v[99:100], v[97:98], v[101:102]
	v_fma_f64 v[99:100], v[95:96], v[93:94], -v[99:100]
	v_mul_f64 v[95:96], v[95:96], v[101:102]
	v_add_f64 v[85:86], v[85:86], -v[99:100]
	v_fma_f64 v[95:96], v[97:98], v[93:94], v[95:96]
	v_add_f64 v[87:88], v[87:88], -v[95:96]
	;; [unrolled: 8-line block ×22, first 2 shown]
	ds_read2_b64 v[95:98], v90 offset0:102 offset1:103
	s_waitcnt lgkmcnt(0)
	v_mul_f64 v[99:100], v[97:98], v[101:102]
	v_fma_f64 v[99:100], v[95:96], v[93:94], -v[99:100]
	v_mul_f64 v[95:96], v[95:96], v[101:102]
	v_add_f64 v[121:122], v[121:122], -v[99:100]
	v_fma_f64 v[95:96], v[97:98], v[93:94], v[95:96]
	v_mov_b32_e32 v100, v94
	v_mov_b32_e32 v99, v93
	buffer_store_dword v99, off, s[24:27], 0 offset:32 ; 4-byte Folded Spill
	s_nop 0
	buffer_store_dword v100, off, s[24:27], 0 offset:36 ; 4-byte Folded Spill
	buffer_store_dword v101, off, s[24:27], 0 offset:40 ; 4-byte Folded Spill
	;; [unrolled: 1-line block ×3, first 2 shown]
	v_add_f64 v[123:124], v[123:124], -v[95:96]
.LBB102_566:
	s_or_b64 exec, exec, s[0:1]
	s_waitcnt vmcnt(0)
	s_barrier
	buffer_load_dword v81, off, s[24:27], 0 offset:16 ; 4-byte Folded Reload
	buffer_load_dword v82, off, s[24:27], 0 offset:20 ; 4-byte Folded Reload
	;; [unrolled: 1-line block ×4, first 2 shown]
	v_lshl_add_u32 v93, v92, 4, v90
	s_cmp_lt_i32 s3, 29
	s_waitcnt vmcnt(0)
	ds_write2_b64 v93, v[81:82], v[83:84] offset1:1
	s_waitcnt lgkmcnt(0)
	s_barrier
	ds_read2_b64 v[117:120], v90 offset0:54 offset1:55
	v_mov_b32_e32 v93, 27
	s_cbranch_scc1 .LBB102_569
; %bb.567:
	v_add_u32_e32 v94, 0x1c0, v90
	s_mov_b32 s0, 28
	v_mov_b32_e32 v93, 27
.LBB102_568:                            ; =>This Inner Loop Header: Depth=1
	s_waitcnt lgkmcnt(0)
	v_cmp_gt_f64_e32 vcc, 0, v[117:118]
	v_xor_b32_e32 v99, 0x80000000, v118
	ds_read2_b64 v[95:98], v94 offset1:1
	v_xor_b32_e32 v101, 0x80000000, v120
	v_add_u32_e32 v94, 16, v94
	s_waitcnt lgkmcnt(0)
	v_xor_b32_e32 v103, 0x80000000, v98
	v_cndmask_b32_e32 v100, v118, v99, vcc
	v_cmp_gt_f64_e32 vcc, 0, v[119:120]
	v_mov_b32_e32 v99, v117
	v_cndmask_b32_e32 v102, v120, v101, vcc
	v_cmp_gt_f64_e32 vcc, 0, v[95:96]
	v_mov_b32_e32 v101, v119
	v_add_f64 v[99:100], v[99:100], v[101:102]
	v_xor_b32_e32 v101, 0x80000000, v96
	v_cndmask_b32_e32 v102, v96, v101, vcc
	v_cmp_gt_f64_e32 vcc, 0, v[97:98]
	v_mov_b32_e32 v101, v95
	v_cndmask_b32_e32 v104, v98, v103, vcc
	v_mov_b32_e32 v103, v97
	v_add_f64 v[101:102], v[101:102], v[103:104]
	v_cmp_lt_f64_e32 vcc, v[99:100], v[101:102]
	v_cndmask_b32_e32 v117, v117, v95, vcc
	v_mov_b32_e32 v95, s0
	s_add_i32 s0, s0, 1
	v_cndmask_b32_e32 v118, v118, v96, vcc
	v_cndmask_b32_e32 v120, v120, v98, vcc
	;; [unrolled: 1-line block ×4, first 2 shown]
	s_cmp_lg_u32 s3, s0
	s_cbranch_scc1 .LBB102_568
.LBB102_569:
	s_waitcnt lgkmcnt(0)
	v_cmp_eq_f64_e32 vcc, 0, v[117:118]
	v_cmp_eq_f64_e64 s[0:1], 0, v[119:120]
	s_and_b64 s[0:1], vcc, s[0:1]
	s_and_saveexec_b64 s[18:19], s[0:1]
	s_xor_b64 s[0:1], exec, s[18:19]
; %bb.570:
	v_cmp_ne_u32_e32 vcc, 0, v91
	v_cndmask_b32_e32 v91, 28, v91, vcc
; %bb.571:
	s_andn2_saveexec_b64 s[0:1], s[0:1]
	s_cbranch_execz .LBB102_577
; %bb.572:
	v_cmp_ngt_f64_e64 s[18:19], |v[117:118]|, |v[119:120]|
	s_and_saveexec_b64 s[20:21], s[18:19]
	s_xor_b64 s[18:19], exec, s[20:21]
	s_cbranch_execz .LBB102_574
; %bb.573:
	v_div_scale_f64 v[94:95], s[20:21], v[119:120], v[119:120], v[117:118]
	v_rcp_f64_e32 v[96:97], v[94:95]
	v_fma_f64 v[98:99], -v[94:95], v[96:97], 1.0
	v_fma_f64 v[96:97], v[96:97], v[98:99], v[96:97]
	v_div_scale_f64 v[98:99], vcc, v[117:118], v[119:120], v[117:118]
	v_fma_f64 v[100:101], -v[94:95], v[96:97], 1.0
	v_fma_f64 v[96:97], v[96:97], v[100:101], v[96:97]
	v_mul_f64 v[100:101], v[98:99], v[96:97]
	v_fma_f64 v[94:95], -v[94:95], v[100:101], v[98:99]
	v_div_fmas_f64 v[94:95], v[94:95], v[96:97], v[100:101]
	v_div_fixup_f64 v[94:95], v[94:95], v[119:120], v[117:118]
	v_fma_f64 v[96:97], v[117:118], v[94:95], v[119:120]
	v_div_scale_f64 v[98:99], s[20:21], v[96:97], v[96:97], 1.0
	v_div_scale_f64 v[104:105], vcc, 1.0, v[96:97], 1.0
	v_rcp_f64_e32 v[100:101], v[98:99]
	v_fma_f64 v[102:103], -v[98:99], v[100:101], 1.0
	v_fma_f64 v[100:101], v[100:101], v[102:103], v[100:101]
	v_fma_f64 v[102:103], -v[98:99], v[100:101], 1.0
	v_fma_f64 v[100:101], v[100:101], v[102:103], v[100:101]
	v_mul_f64 v[102:103], v[104:105], v[100:101]
	v_fma_f64 v[98:99], -v[98:99], v[102:103], v[104:105]
	v_div_fmas_f64 v[98:99], v[98:99], v[100:101], v[102:103]
	v_div_fixup_f64 v[119:120], v[98:99], v[96:97], 1.0
	v_mul_f64 v[117:118], v[94:95], v[119:120]
	v_xor_b32_e32 v120, 0x80000000, v120
.LBB102_574:
	s_andn2_saveexec_b64 s[18:19], s[18:19]
	s_cbranch_execz .LBB102_576
; %bb.575:
	v_div_scale_f64 v[94:95], s[20:21], v[117:118], v[117:118], v[119:120]
	v_rcp_f64_e32 v[96:97], v[94:95]
	v_fma_f64 v[98:99], -v[94:95], v[96:97], 1.0
	v_fma_f64 v[96:97], v[96:97], v[98:99], v[96:97]
	v_div_scale_f64 v[98:99], vcc, v[119:120], v[117:118], v[119:120]
	v_fma_f64 v[100:101], -v[94:95], v[96:97], 1.0
	v_fma_f64 v[96:97], v[96:97], v[100:101], v[96:97]
	v_mul_f64 v[100:101], v[98:99], v[96:97]
	v_fma_f64 v[94:95], -v[94:95], v[100:101], v[98:99]
	v_div_fmas_f64 v[94:95], v[94:95], v[96:97], v[100:101]
	v_div_fixup_f64 v[94:95], v[94:95], v[117:118], v[119:120]
	v_fma_f64 v[96:97], v[119:120], v[94:95], v[117:118]
	v_div_scale_f64 v[98:99], s[20:21], v[96:97], v[96:97], 1.0
	v_div_scale_f64 v[104:105], vcc, 1.0, v[96:97], 1.0
	v_rcp_f64_e32 v[100:101], v[98:99]
	v_fma_f64 v[102:103], -v[98:99], v[100:101], 1.0
	v_fma_f64 v[100:101], v[100:101], v[102:103], v[100:101]
	v_fma_f64 v[102:103], -v[98:99], v[100:101], 1.0
	v_fma_f64 v[100:101], v[100:101], v[102:103], v[100:101]
	v_mul_f64 v[102:103], v[104:105], v[100:101]
	v_fma_f64 v[98:99], -v[98:99], v[102:103], v[104:105]
	v_div_fmas_f64 v[98:99], v[98:99], v[100:101], v[102:103]
	v_div_fixup_f64 v[117:118], v[98:99], v[96:97], 1.0
	v_mul_f64 v[119:120], v[94:95], -v[117:118]
.LBB102_576:
	s_or_b64 exec, exec, s[18:19]
.LBB102_577:
	s_or_b64 exec, exec, s[0:1]
	v_cmp_ne_u32_e32 vcc, v92, v93
	s_and_saveexec_b64 s[0:1], vcc
	s_xor_b64 s[0:1], exec, s[0:1]
	s_cbranch_execz .LBB102_583
; %bb.578:
	v_cmp_eq_u32_e32 vcc, 27, v92
	s_and_saveexec_b64 s[18:19], vcc
	s_cbranch_execz .LBB102_582
; %bb.579:
	v_cmp_ne_u32_e32 vcc, 27, v93
	s_xor_b64 s[20:21], s[6:7], -1
	s_and_b64 s[22:23], s[20:21], vcc
	s_and_saveexec_b64 s[20:21], s[22:23]
	s_cbranch_execz .LBB102_581
; %bb.580:
	buffer_load_dword v81, off, s[24:27], 0 offset:416 ; 4-byte Folded Reload
	buffer_load_dword v82, off, s[24:27], 0 offset:420 ; 4-byte Folded Reload
	v_ashrrev_i32_e32 v94, 31, v93
	v_lshlrev_b64 v[94:95], 2, v[93:94]
	s_waitcnt vmcnt(1)
	v_add_co_u32_e32 v94, vcc, v81, v94
	s_waitcnt vmcnt(0)
	v_addc_co_u32_e32 v95, vcc, v82, v95, vcc
	global_load_dword v0, v[94:95], off
	global_load_dword v92, v[81:82], off offset:108
	s_waitcnt vmcnt(1)
	global_store_dword v[81:82], v0, off offset:108
	s_waitcnt vmcnt(1)
	global_store_dword v[94:95], v92, off
.LBB102_581:
	s_or_b64 exec, exec, s[20:21]
	v_mov_b32_e32 v92, v93
	v_mov_b32_e32 v0, v93
.LBB102_582:
	s_or_b64 exec, exec, s[18:19]
.LBB102_583:
	s_andn2_saveexec_b64 s[0:1], s[0:1]
	s_cbranch_execz .LBB102_585
; %bb.584:
	buffer_load_dword v81, off, s[24:27], 0 ; 4-byte Folded Reload
	buffer_load_dword v82, off, s[24:27], 0 offset:4 ; 4-byte Folded Reload
	buffer_load_dword v83, off, s[24:27], 0 offset:8 ; 4-byte Folded Reload
	buffer_load_dword v84, off, s[24:27], 0 offset:12 ; 4-byte Folded Reload
	v_mov_b32_e32 v92, 27
	s_waitcnt vmcnt(0)
	ds_write2_b64 v90, v[81:82], v[83:84] offset0:56 offset1:57
	ds_write2_b64 v90, v[111:112], v[113:114] offset0:58 offset1:59
	;; [unrolled: 1-line block ×24, first 2 shown]
.LBB102_585:
	s_or_b64 exec, exec, s[0:1]
	v_cmp_lt_i32_e32 vcc, 27, v92
	s_waitcnt vmcnt(0) lgkmcnt(0)
	s_barrier
	s_and_saveexec_b64 s[0:1], vcc
	s_cbranch_execz .LBB102_587
; %bb.586:
	buffer_load_dword v99, off, s[24:27], 0 offset:16 ; 4-byte Folded Reload
	buffer_load_dword v100, off, s[24:27], 0 offset:20 ; 4-byte Folded Reload
	;; [unrolled: 1-line block ×4, first 2 shown]
	s_waitcnt vmcnt(0)
	v_mul_f64 v[95:96], v[117:118], v[101:102]
	v_mul_f64 v[93:94], v[119:120], v[101:102]
	v_fma_f64 v[101:102], v[119:120], v[99:100], v[95:96]
	ds_read2_b64 v[95:98], v90 offset0:56 offset1:57
	buffer_load_dword v81, off, s[24:27], 0 ; 4-byte Folded Reload
	buffer_load_dword v82, off, s[24:27], 0 offset:4 ; 4-byte Folded Reload
	buffer_load_dword v83, off, s[24:27], 0 offset:8 ; 4-byte Folded Reload
	;; [unrolled: 1-line block ×3, first 2 shown]
	v_fma_f64 v[93:94], v[117:118], v[99:100], -v[93:94]
	s_waitcnt lgkmcnt(0)
	v_mul_f64 v[99:100], v[97:98], v[101:102]
	v_fma_f64 v[99:100], v[95:96], v[93:94], -v[99:100]
	v_mul_f64 v[95:96], v[95:96], v[101:102]
	v_fma_f64 v[95:96], v[97:98], v[93:94], v[95:96]
	s_waitcnt vmcnt(2)
	v_add_f64 v[81:82], v[81:82], -v[99:100]
	s_waitcnt vmcnt(0)
	v_add_f64 v[83:84], v[83:84], -v[95:96]
	buffer_store_dword v81, off, s[24:27], 0 ; 4-byte Folded Spill
	s_nop 0
	buffer_store_dword v82, off, s[24:27], 0 offset:4 ; 4-byte Folded Spill
	buffer_store_dword v83, off, s[24:27], 0 offset:8 ; 4-byte Folded Spill
	;; [unrolled: 1-line block ×3, first 2 shown]
	ds_read2_b64 v[95:98], v90 offset0:58 offset1:59
	s_waitcnt lgkmcnt(0)
	v_mul_f64 v[99:100], v[97:98], v[101:102]
	v_fma_f64 v[99:100], v[95:96], v[93:94], -v[99:100]
	v_mul_f64 v[95:96], v[95:96], v[101:102]
	v_add_f64 v[111:112], v[111:112], -v[99:100]
	v_fma_f64 v[95:96], v[97:98], v[93:94], v[95:96]
	v_add_f64 v[113:114], v[113:114], -v[95:96]
	ds_read2_b64 v[95:98], v90 offset0:60 offset1:61
	s_waitcnt lgkmcnt(0)
	v_mul_f64 v[99:100], v[97:98], v[101:102]
	v_fma_f64 v[99:100], v[95:96], v[93:94], -v[99:100]
	v_mul_f64 v[95:96], v[95:96], v[101:102]
	v_add_f64 v[85:86], v[85:86], -v[99:100]
	v_fma_f64 v[95:96], v[97:98], v[93:94], v[95:96]
	v_add_f64 v[87:88], v[87:88], -v[95:96]
	;; [unrolled: 8-line block ×22, first 2 shown]
	ds_read2_b64 v[95:98], v90 offset0:102 offset1:103
	s_waitcnt lgkmcnt(0)
	v_mul_f64 v[99:100], v[97:98], v[101:102]
	v_fma_f64 v[99:100], v[95:96], v[93:94], -v[99:100]
	v_mul_f64 v[95:96], v[95:96], v[101:102]
	v_add_f64 v[121:122], v[121:122], -v[99:100]
	v_fma_f64 v[95:96], v[97:98], v[93:94], v[95:96]
	v_mov_b32_e32 v100, v94
	v_mov_b32_e32 v99, v93
	buffer_store_dword v99, off, s[24:27], 0 offset:16 ; 4-byte Folded Spill
	s_nop 0
	buffer_store_dword v100, off, s[24:27], 0 offset:20 ; 4-byte Folded Spill
	buffer_store_dword v101, off, s[24:27], 0 offset:24 ; 4-byte Folded Spill
	;; [unrolled: 1-line block ×3, first 2 shown]
	v_add_f64 v[123:124], v[123:124], -v[95:96]
.LBB102_587:
	s_or_b64 exec, exec, s[0:1]
	s_waitcnt vmcnt(0)
	s_barrier
	buffer_load_dword v81, off, s[24:27], 0 ; 4-byte Folded Reload
	buffer_load_dword v82, off, s[24:27], 0 offset:4 ; 4-byte Folded Reload
	buffer_load_dword v83, off, s[24:27], 0 offset:8 ; 4-byte Folded Reload
	;; [unrolled: 1-line block ×3, first 2 shown]
	v_lshl_add_u32 v93, v92, 4, v90
	s_cmp_lt_i32 s3, 30
	s_waitcnt vmcnt(0)
	ds_write2_b64 v93, v[81:82], v[83:84] offset1:1
	s_waitcnt lgkmcnt(0)
	s_barrier
	ds_read2_b64 v[117:120], v90 offset0:56 offset1:57
	v_mov_b32_e32 v93, 28
	s_cbranch_scc1 .LBB102_590
; %bb.588:
	v_add_u32_e32 v94, 0x1d0, v90
	s_mov_b32 s0, 29
	v_mov_b32_e32 v93, 28
.LBB102_589:                            ; =>This Inner Loop Header: Depth=1
	s_waitcnt lgkmcnt(0)
	v_cmp_gt_f64_e32 vcc, 0, v[117:118]
	v_xor_b32_e32 v99, 0x80000000, v118
	ds_read2_b64 v[95:98], v94 offset1:1
	v_xor_b32_e32 v101, 0x80000000, v120
	v_add_u32_e32 v94, 16, v94
	s_waitcnt lgkmcnt(0)
	v_xor_b32_e32 v103, 0x80000000, v98
	v_cndmask_b32_e32 v100, v118, v99, vcc
	v_cmp_gt_f64_e32 vcc, 0, v[119:120]
	v_mov_b32_e32 v99, v117
	v_cndmask_b32_e32 v102, v120, v101, vcc
	v_cmp_gt_f64_e32 vcc, 0, v[95:96]
	v_mov_b32_e32 v101, v119
	v_add_f64 v[99:100], v[99:100], v[101:102]
	v_xor_b32_e32 v101, 0x80000000, v96
	v_cndmask_b32_e32 v102, v96, v101, vcc
	v_cmp_gt_f64_e32 vcc, 0, v[97:98]
	v_mov_b32_e32 v101, v95
	v_cndmask_b32_e32 v104, v98, v103, vcc
	v_mov_b32_e32 v103, v97
	v_add_f64 v[101:102], v[101:102], v[103:104]
	v_cmp_lt_f64_e32 vcc, v[99:100], v[101:102]
	v_cndmask_b32_e32 v117, v117, v95, vcc
	v_mov_b32_e32 v95, s0
	s_add_i32 s0, s0, 1
	v_cndmask_b32_e32 v118, v118, v96, vcc
	v_cndmask_b32_e32 v120, v120, v98, vcc
	;; [unrolled: 1-line block ×4, first 2 shown]
	s_cmp_lg_u32 s3, s0
	s_cbranch_scc1 .LBB102_589
.LBB102_590:
	s_waitcnt lgkmcnt(0)
	v_cmp_eq_f64_e32 vcc, 0, v[117:118]
	v_cmp_eq_f64_e64 s[0:1], 0, v[119:120]
	s_and_b64 s[0:1], vcc, s[0:1]
	s_and_saveexec_b64 s[18:19], s[0:1]
	s_xor_b64 s[0:1], exec, s[18:19]
; %bb.591:
	v_cmp_ne_u32_e32 vcc, 0, v91
	v_cndmask_b32_e32 v91, 29, v91, vcc
; %bb.592:
	s_andn2_saveexec_b64 s[0:1], s[0:1]
	s_cbranch_execz .LBB102_598
; %bb.593:
	v_cmp_ngt_f64_e64 s[18:19], |v[117:118]|, |v[119:120]|
	s_and_saveexec_b64 s[20:21], s[18:19]
	s_xor_b64 s[18:19], exec, s[20:21]
	s_cbranch_execz .LBB102_595
; %bb.594:
	v_div_scale_f64 v[94:95], s[20:21], v[119:120], v[119:120], v[117:118]
	v_rcp_f64_e32 v[96:97], v[94:95]
	v_fma_f64 v[98:99], -v[94:95], v[96:97], 1.0
	v_fma_f64 v[96:97], v[96:97], v[98:99], v[96:97]
	v_div_scale_f64 v[98:99], vcc, v[117:118], v[119:120], v[117:118]
	v_fma_f64 v[100:101], -v[94:95], v[96:97], 1.0
	v_fma_f64 v[96:97], v[96:97], v[100:101], v[96:97]
	v_mul_f64 v[100:101], v[98:99], v[96:97]
	v_fma_f64 v[94:95], -v[94:95], v[100:101], v[98:99]
	v_div_fmas_f64 v[94:95], v[94:95], v[96:97], v[100:101]
	v_div_fixup_f64 v[94:95], v[94:95], v[119:120], v[117:118]
	v_fma_f64 v[96:97], v[117:118], v[94:95], v[119:120]
	v_div_scale_f64 v[98:99], s[20:21], v[96:97], v[96:97], 1.0
	v_div_scale_f64 v[104:105], vcc, 1.0, v[96:97], 1.0
	v_rcp_f64_e32 v[100:101], v[98:99]
	v_fma_f64 v[102:103], -v[98:99], v[100:101], 1.0
	v_fma_f64 v[100:101], v[100:101], v[102:103], v[100:101]
	v_fma_f64 v[102:103], -v[98:99], v[100:101], 1.0
	v_fma_f64 v[100:101], v[100:101], v[102:103], v[100:101]
	v_mul_f64 v[102:103], v[104:105], v[100:101]
	v_fma_f64 v[98:99], -v[98:99], v[102:103], v[104:105]
	v_div_fmas_f64 v[98:99], v[98:99], v[100:101], v[102:103]
	v_div_fixup_f64 v[119:120], v[98:99], v[96:97], 1.0
	v_mul_f64 v[117:118], v[94:95], v[119:120]
	v_xor_b32_e32 v120, 0x80000000, v120
.LBB102_595:
	s_andn2_saveexec_b64 s[18:19], s[18:19]
	s_cbranch_execz .LBB102_597
; %bb.596:
	v_div_scale_f64 v[94:95], s[20:21], v[117:118], v[117:118], v[119:120]
	v_rcp_f64_e32 v[96:97], v[94:95]
	v_fma_f64 v[98:99], -v[94:95], v[96:97], 1.0
	v_fma_f64 v[96:97], v[96:97], v[98:99], v[96:97]
	v_div_scale_f64 v[98:99], vcc, v[119:120], v[117:118], v[119:120]
	v_fma_f64 v[100:101], -v[94:95], v[96:97], 1.0
	v_fma_f64 v[96:97], v[96:97], v[100:101], v[96:97]
	v_mul_f64 v[100:101], v[98:99], v[96:97]
	v_fma_f64 v[94:95], -v[94:95], v[100:101], v[98:99]
	v_div_fmas_f64 v[94:95], v[94:95], v[96:97], v[100:101]
	v_div_fixup_f64 v[94:95], v[94:95], v[117:118], v[119:120]
	v_fma_f64 v[96:97], v[119:120], v[94:95], v[117:118]
	v_div_scale_f64 v[98:99], s[20:21], v[96:97], v[96:97], 1.0
	v_div_scale_f64 v[104:105], vcc, 1.0, v[96:97], 1.0
	v_rcp_f64_e32 v[100:101], v[98:99]
	v_fma_f64 v[102:103], -v[98:99], v[100:101], 1.0
	v_fma_f64 v[100:101], v[100:101], v[102:103], v[100:101]
	v_fma_f64 v[102:103], -v[98:99], v[100:101], 1.0
	v_fma_f64 v[100:101], v[100:101], v[102:103], v[100:101]
	v_mul_f64 v[102:103], v[104:105], v[100:101]
	v_fma_f64 v[98:99], -v[98:99], v[102:103], v[104:105]
	v_div_fmas_f64 v[98:99], v[98:99], v[100:101], v[102:103]
	v_div_fixup_f64 v[117:118], v[98:99], v[96:97], 1.0
	v_mul_f64 v[119:120], v[94:95], -v[117:118]
.LBB102_597:
	s_or_b64 exec, exec, s[18:19]
.LBB102_598:
	s_or_b64 exec, exec, s[0:1]
	v_cmp_ne_u32_e32 vcc, v92, v93
	s_and_saveexec_b64 s[0:1], vcc
	s_xor_b64 s[0:1], exec, s[0:1]
	s_cbranch_execz .LBB102_604
; %bb.599:
	v_cmp_eq_u32_e32 vcc, 28, v92
	s_and_saveexec_b64 s[18:19], vcc
	s_cbranch_execz .LBB102_603
; %bb.600:
	v_cmp_ne_u32_e32 vcc, 28, v93
	s_xor_b64 s[20:21], s[6:7], -1
	s_and_b64 s[22:23], s[20:21], vcc
	s_and_saveexec_b64 s[20:21], s[22:23]
	s_cbranch_execz .LBB102_602
; %bb.601:
	buffer_load_dword v81, off, s[24:27], 0 offset:416 ; 4-byte Folded Reload
	buffer_load_dword v82, off, s[24:27], 0 offset:420 ; 4-byte Folded Reload
	v_ashrrev_i32_e32 v94, 31, v93
	v_lshlrev_b64 v[94:95], 2, v[93:94]
	s_waitcnt vmcnt(1)
	v_add_co_u32_e32 v94, vcc, v81, v94
	s_waitcnt vmcnt(0)
	v_addc_co_u32_e32 v95, vcc, v82, v95, vcc
	global_load_dword v0, v[94:95], off
	global_load_dword v92, v[81:82], off offset:112
	s_waitcnt vmcnt(1)
	global_store_dword v[81:82], v0, off offset:112
	s_waitcnt vmcnt(1)
	global_store_dword v[94:95], v92, off
.LBB102_602:
	s_or_b64 exec, exec, s[20:21]
	v_mov_b32_e32 v92, v93
	v_mov_b32_e32 v0, v93
.LBB102_603:
	s_or_b64 exec, exec, s[18:19]
.LBB102_604:
	s_andn2_saveexec_b64 s[0:1], s[0:1]
	s_cbranch_execz .LBB102_606
; %bb.605:
	v_mov_b32_e32 v92, 28
	ds_write2_b64 v90, v[111:112], v[113:114] offset0:58 offset1:59
	ds_write2_b64 v90, v[85:86], v[87:88] offset0:60 offset1:61
	;; [unrolled: 1-line block ×23, first 2 shown]
.LBB102_606:
	s_or_b64 exec, exec, s[0:1]
	v_cmp_lt_i32_e32 vcc, 28, v92
	s_waitcnt vmcnt(0) lgkmcnt(0)
	s_barrier
	s_and_saveexec_b64 s[0:1], vcc
	s_cbranch_execz .LBB102_608
; %bb.607:
	buffer_load_dword v81, off, s[24:27], 0 ; 4-byte Folded Reload
	buffer_load_dword v82, off, s[24:27], 0 offset:4 ; 4-byte Folded Reload
	buffer_load_dword v83, off, s[24:27], 0 offset:8 ; 4-byte Folded Reload
	buffer_load_dword v84, off, s[24:27], 0 offset:12 ; 4-byte Folded Reload
	s_waitcnt vmcnt(0)
	v_mul_f64 v[95:96], v[117:118], v[83:84]
	v_mul_f64 v[93:94], v[119:120], v[83:84]
	v_fma_f64 v[83:84], v[119:120], v[81:82], v[95:96]
	ds_read2_b64 v[95:98], v90 offset0:58 offset1:59
	v_fma_f64 v[93:94], v[117:118], v[81:82], -v[93:94]
	s_waitcnt lgkmcnt(0)
	v_mul_f64 v[99:100], v[97:98], v[83:84]
	v_mov_b32_e32 v81, v93
	v_mov_b32_e32 v82, v94
	v_fma_f64 v[99:100], v[95:96], v[93:94], -v[99:100]
	v_mul_f64 v[95:96], v[95:96], v[83:84]
	v_add_f64 v[111:112], v[111:112], -v[99:100]
	v_fma_f64 v[95:96], v[97:98], v[93:94], v[95:96]
	v_add_f64 v[113:114], v[113:114], -v[95:96]
	ds_read2_b64 v[95:98], v90 offset0:60 offset1:61
	s_waitcnt lgkmcnt(0)
	v_mul_f64 v[99:100], v[97:98], v[83:84]
	v_fma_f64 v[99:100], v[95:96], v[93:94], -v[99:100]
	v_mul_f64 v[95:96], v[95:96], v[83:84]
	v_add_f64 v[85:86], v[85:86], -v[99:100]
	v_fma_f64 v[95:96], v[97:98], v[93:94], v[95:96]
	v_add_f64 v[87:88], v[87:88], -v[95:96]
	ds_read2_b64 v[95:98], v90 offset0:62 offset1:63
	s_waitcnt lgkmcnt(0)
	v_mul_f64 v[99:100], v[97:98], v[83:84]
	;; [unrolled: 8-line block ×22, first 2 shown]
	v_fma_f64 v[99:100], v[95:96], v[93:94], -v[99:100]
	v_mul_f64 v[95:96], v[95:96], v[83:84]
	buffer_store_dword v81, off, s[24:27], 0 ; 4-byte Folded Spill
	s_nop 0
	buffer_store_dword v82, off, s[24:27], 0 offset:4 ; 4-byte Folded Spill
	buffer_store_dword v83, off, s[24:27], 0 offset:8 ; 4-byte Folded Spill
	;; [unrolled: 1-line block ×3, first 2 shown]
	v_add_f64 v[121:122], v[121:122], -v[99:100]
	v_fma_f64 v[95:96], v[97:98], v[93:94], v[95:96]
	v_add_f64 v[123:124], v[123:124], -v[95:96]
.LBB102_608:
	s_or_b64 exec, exec, s[0:1]
	v_lshl_add_u32 v93, v92, 4, v90
	s_waitcnt vmcnt(0)
	s_barrier
	ds_write2_b64 v93, v[111:112], v[113:114] offset1:1
	s_waitcnt lgkmcnt(0)
	s_barrier
	ds_read2_b64 v[117:120], v90 offset0:58 offset1:59
	s_cmp_lt_i32 s3, 31
	v_mov_b32_e32 v93, 29
	s_cbranch_scc1 .LBB102_611
; %bb.609:
	v_add_u32_e32 v94, 0x1e0, v90
	s_mov_b32 s0, 30
	v_mov_b32_e32 v93, 29
.LBB102_610:                            ; =>This Inner Loop Header: Depth=1
	s_waitcnt lgkmcnt(0)
	v_cmp_gt_f64_e32 vcc, 0, v[117:118]
	v_xor_b32_e32 v99, 0x80000000, v118
	ds_read2_b64 v[95:98], v94 offset1:1
	v_xor_b32_e32 v101, 0x80000000, v120
	v_add_u32_e32 v94, 16, v94
	s_waitcnt lgkmcnt(0)
	v_xor_b32_e32 v103, 0x80000000, v98
	v_cndmask_b32_e32 v100, v118, v99, vcc
	v_cmp_gt_f64_e32 vcc, 0, v[119:120]
	v_mov_b32_e32 v99, v117
	v_cndmask_b32_e32 v102, v120, v101, vcc
	v_cmp_gt_f64_e32 vcc, 0, v[95:96]
	v_mov_b32_e32 v101, v119
	v_add_f64 v[99:100], v[99:100], v[101:102]
	v_xor_b32_e32 v101, 0x80000000, v96
	v_cndmask_b32_e32 v102, v96, v101, vcc
	v_cmp_gt_f64_e32 vcc, 0, v[97:98]
	v_mov_b32_e32 v101, v95
	v_cndmask_b32_e32 v104, v98, v103, vcc
	v_mov_b32_e32 v103, v97
	v_add_f64 v[101:102], v[101:102], v[103:104]
	v_cmp_lt_f64_e32 vcc, v[99:100], v[101:102]
	v_cndmask_b32_e32 v117, v117, v95, vcc
	v_mov_b32_e32 v95, s0
	s_add_i32 s0, s0, 1
	v_cndmask_b32_e32 v118, v118, v96, vcc
	v_cndmask_b32_e32 v120, v120, v98, vcc
	;; [unrolled: 1-line block ×4, first 2 shown]
	s_cmp_lg_u32 s3, s0
	s_cbranch_scc1 .LBB102_610
.LBB102_611:
	s_waitcnt lgkmcnt(0)
	v_cmp_eq_f64_e32 vcc, 0, v[117:118]
	v_cmp_eq_f64_e64 s[0:1], 0, v[119:120]
	s_and_b64 s[0:1], vcc, s[0:1]
	s_and_saveexec_b64 s[18:19], s[0:1]
	s_xor_b64 s[0:1], exec, s[18:19]
; %bb.612:
	v_cmp_ne_u32_e32 vcc, 0, v91
	v_cndmask_b32_e32 v91, 30, v91, vcc
; %bb.613:
	s_andn2_saveexec_b64 s[0:1], s[0:1]
	s_cbranch_execz .LBB102_619
; %bb.614:
	v_cmp_ngt_f64_e64 s[18:19], |v[117:118]|, |v[119:120]|
	s_and_saveexec_b64 s[20:21], s[18:19]
	s_xor_b64 s[18:19], exec, s[20:21]
	s_cbranch_execz .LBB102_616
; %bb.615:
	v_div_scale_f64 v[94:95], s[20:21], v[119:120], v[119:120], v[117:118]
	v_rcp_f64_e32 v[96:97], v[94:95]
	v_fma_f64 v[98:99], -v[94:95], v[96:97], 1.0
	v_fma_f64 v[96:97], v[96:97], v[98:99], v[96:97]
	v_div_scale_f64 v[98:99], vcc, v[117:118], v[119:120], v[117:118]
	v_fma_f64 v[100:101], -v[94:95], v[96:97], 1.0
	v_fma_f64 v[96:97], v[96:97], v[100:101], v[96:97]
	v_mul_f64 v[100:101], v[98:99], v[96:97]
	v_fma_f64 v[94:95], -v[94:95], v[100:101], v[98:99]
	v_div_fmas_f64 v[94:95], v[94:95], v[96:97], v[100:101]
	v_div_fixup_f64 v[94:95], v[94:95], v[119:120], v[117:118]
	v_fma_f64 v[96:97], v[117:118], v[94:95], v[119:120]
	v_div_scale_f64 v[98:99], s[20:21], v[96:97], v[96:97], 1.0
	v_div_scale_f64 v[104:105], vcc, 1.0, v[96:97], 1.0
	v_rcp_f64_e32 v[100:101], v[98:99]
	v_fma_f64 v[102:103], -v[98:99], v[100:101], 1.0
	v_fma_f64 v[100:101], v[100:101], v[102:103], v[100:101]
	v_fma_f64 v[102:103], -v[98:99], v[100:101], 1.0
	v_fma_f64 v[100:101], v[100:101], v[102:103], v[100:101]
	v_mul_f64 v[102:103], v[104:105], v[100:101]
	v_fma_f64 v[98:99], -v[98:99], v[102:103], v[104:105]
	v_div_fmas_f64 v[98:99], v[98:99], v[100:101], v[102:103]
	v_div_fixup_f64 v[119:120], v[98:99], v[96:97], 1.0
	v_mul_f64 v[117:118], v[94:95], v[119:120]
	v_xor_b32_e32 v120, 0x80000000, v120
.LBB102_616:
	s_andn2_saveexec_b64 s[18:19], s[18:19]
	s_cbranch_execz .LBB102_618
; %bb.617:
	v_div_scale_f64 v[94:95], s[20:21], v[117:118], v[117:118], v[119:120]
	v_rcp_f64_e32 v[96:97], v[94:95]
	v_fma_f64 v[98:99], -v[94:95], v[96:97], 1.0
	v_fma_f64 v[96:97], v[96:97], v[98:99], v[96:97]
	v_div_scale_f64 v[98:99], vcc, v[119:120], v[117:118], v[119:120]
	v_fma_f64 v[100:101], -v[94:95], v[96:97], 1.0
	v_fma_f64 v[96:97], v[96:97], v[100:101], v[96:97]
	v_mul_f64 v[100:101], v[98:99], v[96:97]
	v_fma_f64 v[94:95], -v[94:95], v[100:101], v[98:99]
	v_div_fmas_f64 v[94:95], v[94:95], v[96:97], v[100:101]
	v_div_fixup_f64 v[94:95], v[94:95], v[117:118], v[119:120]
	v_fma_f64 v[96:97], v[119:120], v[94:95], v[117:118]
	v_div_scale_f64 v[98:99], s[20:21], v[96:97], v[96:97], 1.0
	v_div_scale_f64 v[104:105], vcc, 1.0, v[96:97], 1.0
	v_rcp_f64_e32 v[100:101], v[98:99]
	v_fma_f64 v[102:103], -v[98:99], v[100:101], 1.0
	v_fma_f64 v[100:101], v[100:101], v[102:103], v[100:101]
	v_fma_f64 v[102:103], -v[98:99], v[100:101], 1.0
	v_fma_f64 v[100:101], v[100:101], v[102:103], v[100:101]
	v_mul_f64 v[102:103], v[104:105], v[100:101]
	v_fma_f64 v[98:99], -v[98:99], v[102:103], v[104:105]
	v_div_fmas_f64 v[98:99], v[98:99], v[100:101], v[102:103]
	v_div_fixup_f64 v[117:118], v[98:99], v[96:97], 1.0
	v_mul_f64 v[119:120], v[94:95], -v[117:118]
.LBB102_618:
	s_or_b64 exec, exec, s[18:19]
.LBB102_619:
	s_or_b64 exec, exec, s[0:1]
	v_cmp_ne_u32_e32 vcc, v92, v93
	s_and_saveexec_b64 s[0:1], vcc
	s_xor_b64 s[0:1], exec, s[0:1]
	s_cbranch_execz .LBB102_625
; %bb.620:
	v_cmp_eq_u32_e32 vcc, 29, v92
	s_and_saveexec_b64 s[18:19], vcc
	s_cbranch_execz .LBB102_624
; %bb.621:
	v_cmp_ne_u32_e32 vcc, 29, v93
	s_xor_b64 s[20:21], s[6:7], -1
	s_and_b64 s[22:23], s[20:21], vcc
	s_and_saveexec_b64 s[20:21], s[22:23]
	s_cbranch_execz .LBB102_623
; %bb.622:
	buffer_load_dword v81, off, s[24:27], 0 offset:416 ; 4-byte Folded Reload
	buffer_load_dword v82, off, s[24:27], 0 offset:420 ; 4-byte Folded Reload
	v_ashrrev_i32_e32 v94, 31, v93
	v_lshlrev_b64 v[94:95], 2, v[93:94]
	s_waitcnt vmcnt(1)
	v_add_co_u32_e32 v94, vcc, v81, v94
	s_waitcnt vmcnt(0)
	v_addc_co_u32_e32 v95, vcc, v82, v95, vcc
	global_load_dword v0, v[94:95], off
	global_load_dword v92, v[81:82], off offset:116
	s_waitcnt vmcnt(1)
	global_store_dword v[81:82], v0, off offset:116
	s_waitcnt vmcnt(1)
	global_store_dword v[94:95], v92, off
.LBB102_623:
	s_or_b64 exec, exec, s[20:21]
	v_mov_b32_e32 v92, v93
	v_mov_b32_e32 v0, v93
.LBB102_624:
	s_or_b64 exec, exec, s[18:19]
.LBB102_625:
	s_andn2_saveexec_b64 s[0:1], s[0:1]
	s_cbranch_execz .LBB102_627
; %bb.626:
	v_mov_b32_e32 v92, 29
	ds_write2_b64 v90, v[85:86], v[87:88] offset0:60 offset1:61
	ds_write2_b64 v90, v[77:78], v[79:80] offset0:62 offset1:63
	;; [unrolled: 1-line block ×22, first 2 shown]
.LBB102_627:
	s_or_b64 exec, exec, s[0:1]
	v_cmp_lt_i32_e32 vcc, 29, v92
	s_waitcnt vmcnt(0) lgkmcnt(0)
	s_barrier
	s_and_saveexec_b64 s[0:1], vcc
	s_cbranch_execz .LBB102_629
; %bb.628:
	v_mov_b32_e32 v81, v85
	v_mov_b32_e32 v82, v86
	;; [unrolled: 1-line block ×4, first 2 shown]
	v_mul_f64 v[87:88], v[117:118], v[113:114]
	v_mul_f64 v[93:94], v[119:120], v[113:114]
	ds_read2_b64 v[95:98], v90 offset0:60 offset1:61
	v_fma_f64 v[113:114], v[119:120], v[111:112], v[87:88]
	v_fma_f64 v[93:94], v[117:118], v[111:112], -v[93:94]
	s_waitcnt lgkmcnt(0)
	v_mul_f64 v[85:86], v[97:98], v[113:114]
	v_mov_b32_e32 v112, v94
	v_mov_b32_e32 v111, v93
	v_fma_f64 v[85:86], v[95:96], v[93:94], -v[85:86]
	v_mul_f64 v[95:96], v[95:96], v[113:114]
	v_add_f64 v[81:82], v[81:82], -v[85:86]
	v_fma_f64 v[95:96], v[97:98], v[93:94], v[95:96]
	v_add_f64 v[83:84], v[83:84], -v[95:96]
	ds_read2_b64 v[95:98], v90 offset0:62 offset1:63
	s_waitcnt lgkmcnt(0)
	v_mul_f64 v[85:86], v[97:98], v[113:114]
	v_fma_f64 v[85:86], v[95:96], v[93:94], -v[85:86]
	v_mul_f64 v[95:96], v[95:96], v[113:114]
	v_add_f64 v[77:78], v[77:78], -v[85:86]
	v_fma_f64 v[95:96], v[97:98], v[93:94], v[95:96]
	v_add_f64 v[79:80], v[79:80], -v[95:96]
	ds_read2_b64 v[95:98], v90 offset0:64 offset1:65
	s_waitcnt lgkmcnt(0)
	v_mul_f64 v[85:86], v[97:98], v[113:114]
	;; [unrolled: 8-line block ×21, first 2 shown]
	v_fma_f64 v[85:86], v[95:96], v[93:94], -v[85:86]
	v_mul_f64 v[95:96], v[95:96], v[113:114]
	v_add_f64 v[121:122], v[121:122], -v[85:86]
	v_fma_f64 v[95:96], v[97:98], v[93:94], v[95:96]
	v_mov_b32_e32 v88, v84
	v_mov_b32_e32 v87, v83
	;; [unrolled: 1-line block ×4, first 2 shown]
	v_add_f64 v[123:124], v[123:124], -v[95:96]
.LBB102_629:
	s_or_b64 exec, exec, s[0:1]
	v_lshl_add_u32 v93, v92, 4, v90
	s_barrier
	ds_write2_b64 v93, v[85:86], v[87:88] offset1:1
	s_waitcnt lgkmcnt(0)
	s_barrier
	ds_read2_b64 v[117:120], v90 offset0:60 offset1:61
	s_cmp_lt_i32 s3, 32
	v_mov_b32_e32 v93, 30
	s_cbranch_scc1 .LBB102_632
; %bb.630:
	v_add_u32_e32 v94, 0x1f0, v90
	s_mov_b32 s0, 31
	v_mov_b32_e32 v93, 30
.LBB102_631:                            ; =>This Inner Loop Header: Depth=1
	s_waitcnt lgkmcnt(0)
	v_cmp_gt_f64_e32 vcc, 0, v[117:118]
	v_xor_b32_e32 v99, 0x80000000, v118
	ds_read2_b64 v[95:98], v94 offset1:1
	v_xor_b32_e32 v101, 0x80000000, v120
	v_add_u32_e32 v94, 16, v94
	s_waitcnt lgkmcnt(0)
	v_xor_b32_e32 v103, 0x80000000, v98
	v_cndmask_b32_e32 v100, v118, v99, vcc
	v_cmp_gt_f64_e32 vcc, 0, v[119:120]
	v_mov_b32_e32 v99, v117
	v_cndmask_b32_e32 v102, v120, v101, vcc
	v_cmp_gt_f64_e32 vcc, 0, v[95:96]
	v_mov_b32_e32 v101, v119
	v_add_f64 v[99:100], v[99:100], v[101:102]
	v_xor_b32_e32 v101, 0x80000000, v96
	v_cndmask_b32_e32 v102, v96, v101, vcc
	v_cmp_gt_f64_e32 vcc, 0, v[97:98]
	v_mov_b32_e32 v101, v95
	v_cndmask_b32_e32 v104, v98, v103, vcc
	v_mov_b32_e32 v103, v97
	v_add_f64 v[101:102], v[101:102], v[103:104]
	v_cmp_lt_f64_e32 vcc, v[99:100], v[101:102]
	v_cndmask_b32_e32 v117, v117, v95, vcc
	v_mov_b32_e32 v95, s0
	s_add_i32 s0, s0, 1
	v_cndmask_b32_e32 v118, v118, v96, vcc
	v_cndmask_b32_e32 v120, v120, v98, vcc
	v_cndmask_b32_e32 v119, v119, v97, vcc
	v_cndmask_b32_e32 v93, v93, v95, vcc
	s_cmp_lg_u32 s3, s0
	s_cbranch_scc1 .LBB102_631
.LBB102_632:
	s_waitcnt lgkmcnt(0)
	v_cmp_eq_f64_e32 vcc, 0, v[117:118]
	v_cmp_eq_f64_e64 s[0:1], 0, v[119:120]
	s_and_b64 s[0:1], vcc, s[0:1]
	s_and_saveexec_b64 s[18:19], s[0:1]
	s_xor_b64 s[0:1], exec, s[18:19]
; %bb.633:
	v_cmp_ne_u32_e32 vcc, 0, v91
	v_cndmask_b32_e32 v91, 31, v91, vcc
; %bb.634:
	s_andn2_saveexec_b64 s[0:1], s[0:1]
	s_cbranch_execz .LBB102_640
; %bb.635:
	v_cmp_ngt_f64_e64 s[18:19], |v[117:118]|, |v[119:120]|
	s_and_saveexec_b64 s[20:21], s[18:19]
	s_xor_b64 s[18:19], exec, s[20:21]
	s_cbranch_execz .LBB102_637
; %bb.636:
	v_div_scale_f64 v[94:95], s[20:21], v[119:120], v[119:120], v[117:118]
	v_rcp_f64_e32 v[96:97], v[94:95]
	v_fma_f64 v[98:99], -v[94:95], v[96:97], 1.0
	v_fma_f64 v[96:97], v[96:97], v[98:99], v[96:97]
	v_div_scale_f64 v[98:99], vcc, v[117:118], v[119:120], v[117:118]
	v_fma_f64 v[100:101], -v[94:95], v[96:97], 1.0
	v_fma_f64 v[96:97], v[96:97], v[100:101], v[96:97]
	v_mul_f64 v[100:101], v[98:99], v[96:97]
	v_fma_f64 v[94:95], -v[94:95], v[100:101], v[98:99]
	v_div_fmas_f64 v[94:95], v[94:95], v[96:97], v[100:101]
	v_div_fixup_f64 v[94:95], v[94:95], v[119:120], v[117:118]
	v_fma_f64 v[96:97], v[117:118], v[94:95], v[119:120]
	v_div_scale_f64 v[98:99], s[20:21], v[96:97], v[96:97], 1.0
	v_div_scale_f64 v[104:105], vcc, 1.0, v[96:97], 1.0
	v_rcp_f64_e32 v[100:101], v[98:99]
	v_fma_f64 v[102:103], -v[98:99], v[100:101], 1.0
	v_fma_f64 v[100:101], v[100:101], v[102:103], v[100:101]
	v_fma_f64 v[102:103], -v[98:99], v[100:101], 1.0
	v_fma_f64 v[100:101], v[100:101], v[102:103], v[100:101]
	v_mul_f64 v[102:103], v[104:105], v[100:101]
	v_fma_f64 v[98:99], -v[98:99], v[102:103], v[104:105]
	v_div_fmas_f64 v[98:99], v[98:99], v[100:101], v[102:103]
	v_div_fixup_f64 v[119:120], v[98:99], v[96:97], 1.0
	v_mul_f64 v[117:118], v[94:95], v[119:120]
	v_xor_b32_e32 v120, 0x80000000, v120
.LBB102_637:
	s_andn2_saveexec_b64 s[18:19], s[18:19]
	s_cbranch_execz .LBB102_639
; %bb.638:
	v_div_scale_f64 v[94:95], s[20:21], v[117:118], v[117:118], v[119:120]
	v_rcp_f64_e32 v[96:97], v[94:95]
	v_fma_f64 v[98:99], -v[94:95], v[96:97], 1.0
	v_fma_f64 v[96:97], v[96:97], v[98:99], v[96:97]
	v_div_scale_f64 v[98:99], vcc, v[119:120], v[117:118], v[119:120]
	v_fma_f64 v[100:101], -v[94:95], v[96:97], 1.0
	v_fma_f64 v[96:97], v[96:97], v[100:101], v[96:97]
	v_mul_f64 v[100:101], v[98:99], v[96:97]
	v_fma_f64 v[94:95], -v[94:95], v[100:101], v[98:99]
	v_div_fmas_f64 v[94:95], v[94:95], v[96:97], v[100:101]
	v_div_fixup_f64 v[94:95], v[94:95], v[117:118], v[119:120]
	v_fma_f64 v[96:97], v[119:120], v[94:95], v[117:118]
	v_div_scale_f64 v[98:99], s[20:21], v[96:97], v[96:97], 1.0
	v_div_scale_f64 v[104:105], vcc, 1.0, v[96:97], 1.0
	v_rcp_f64_e32 v[100:101], v[98:99]
	v_fma_f64 v[102:103], -v[98:99], v[100:101], 1.0
	v_fma_f64 v[100:101], v[100:101], v[102:103], v[100:101]
	v_fma_f64 v[102:103], -v[98:99], v[100:101], 1.0
	v_fma_f64 v[100:101], v[100:101], v[102:103], v[100:101]
	v_mul_f64 v[102:103], v[104:105], v[100:101]
	v_fma_f64 v[98:99], -v[98:99], v[102:103], v[104:105]
	v_div_fmas_f64 v[98:99], v[98:99], v[100:101], v[102:103]
	v_div_fixup_f64 v[117:118], v[98:99], v[96:97], 1.0
	v_mul_f64 v[119:120], v[94:95], -v[117:118]
.LBB102_639:
	s_or_b64 exec, exec, s[18:19]
.LBB102_640:
	s_or_b64 exec, exec, s[0:1]
	v_cmp_ne_u32_e32 vcc, v92, v93
	s_and_saveexec_b64 s[0:1], vcc
	s_xor_b64 s[0:1], exec, s[0:1]
	s_cbranch_execz .LBB102_646
; %bb.641:
	v_cmp_eq_u32_e32 vcc, 30, v92
	s_and_saveexec_b64 s[18:19], vcc
	s_cbranch_execz .LBB102_645
; %bb.642:
	v_cmp_ne_u32_e32 vcc, 30, v93
	s_xor_b64 s[20:21], s[6:7], -1
	s_and_b64 s[22:23], s[20:21], vcc
	s_and_saveexec_b64 s[20:21], s[22:23]
	s_cbranch_execz .LBB102_644
; %bb.643:
	buffer_load_dword v81, off, s[24:27], 0 offset:416 ; 4-byte Folded Reload
	buffer_load_dword v82, off, s[24:27], 0 offset:420 ; 4-byte Folded Reload
	v_ashrrev_i32_e32 v94, 31, v93
	v_lshlrev_b64 v[94:95], 2, v[93:94]
	s_waitcnt vmcnt(1)
	v_add_co_u32_e32 v94, vcc, v81, v94
	s_waitcnt vmcnt(0)
	v_addc_co_u32_e32 v95, vcc, v82, v95, vcc
	global_load_dword v0, v[94:95], off
	global_load_dword v92, v[81:82], off offset:120
	s_waitcnt vmcnt(1)
	global_store_dword v[81:82], v0, off offset:120
	s_waitcnt vmcnt(1)
	global_store_dword v[94:95], v92, off
.LBB102_644:
	s_or_b64 exec, exec, s[20:21]
	v_mov_b32_e32 v92, v93
	v_mov_b32_e32 v0, v93
.LBB102_645:
	s_or_b64 exec, exec, s[18:19]
.LBB102_646:
	s_andn2_saveexec_b64 s[0:1], s[0:1]
	s_cbranch_execz .LBB102_648
; %bb.647:
	v_mov_b32_e32 v92, 30
	ds_write2_b64 v90, v[77:78], v[79:80] offset0:62 offset1:63
	ds_write2_b64 v90, v[73:74], v[75:76] offset0:64 offset1:65
	;; [unrolled: 1-line block ×21, first 2 shown]
.LBB102_648:
	s_or_b64 exec, exec, s[0:1]
	v_cmp_lt_i32_e32 vcc, 30, v92
	s_waitcnt vmcnt(0) lgkmcnt(0)
	s_barrier
	s_and_saveexec_b64 s[0:1], vcc
	s_cbranch_execz .LBB102_650
; %bb.649:
	v_mul_f64 v[83:84], v[117:118], v[87:88]
	v_mul_f64 v[93:94], v[119:120], v[87:88]
	ds_read2_b64 v[95:98], v90 offset0:62 offset1:63
	v_fma_f64 v[87:88], v[119:120], v[85:86], v[83:84]
	v_fma_f64 v[93:94], v[117:118], v[85:86], -v[93:94]
	s_waitcnt lgkmcnt(0)
	v_mul_f64 v[81:82], v[97:98], v[87:88]
	v_mov_b32_e32 v85, v93
	v_mov_b32_e32 v86, v94
	v_fma_f64 v[81:82], v[95:96], v[93:94], -v[81:82]
	v_mul_f64 v[95:96], v[95:96], v[87:88]
	v_add_f64 v[77:78], v[77:78], -v[81:82]
	v_fma_f64 v[95:96], v[97:98], v[93:94], v[95:96]
	v_add_f64 v[79:80], v[79:80], -v[95:96]
	ds_read2_b64 v[95:98], v90 offset0:64 offset1:65
	s_waitcnt lgkmcnt(0)
	v_mul_f64 v[81:82], v[97:98], v[87:88]
	v_fma_f64 v[81:82], v[95:96], v[93:94], -v[81:82]
	v_mul_f64 v[95:96], v[95:96], v[87:88]
	v_add_f64 v[73:74], v[73:74], -v[81:82]
	v_fma_f64 v[95:96], v[97:98], v[93:94], v[95:96]
	v_add_f64 v[75:76], v[75:76], -v[95:96]
	ds_read2_b64 v[95:98], v90 offset0:66 offset1:67
	s_waitcnt lgkmcnt(0)
	v_mul_f64 v[81:82], v[97:98], v[87:88]
	;; [unrolled: 8-line block ×20, first 2 shown]
	v_fma_f64 v[81:82], v[95:96], v[93:94], -v[81:82]
	v_mul_f64 v[95:96], v[95:96], v[87:88]
	v_add_f64 v[121:122], v[121:122], -v[81:82]
	v_fma_f64 v[95:96], v[97:98], v[93:94], v[95:96]
	v_add_f64 v[123:124], v[123:124], -v[95:96]
.LBB102_650:
	s_or_b64 exec, exec, s[0:1]
	v_lshl_add_u32 v93, v92, 4, v90
	s_barrier
	ds_write2_b64 v93, v[77:78], v[79:80] offset1:1
	s_waitcnt lgkmcnt(0)
	s_barrier
	ds_read2_b64 v[117:120], v90 offset0:62 offset1:63
	s_cmp_lt_i32 s3, 33
	v_mov_b32_e32 v93, 31
	s_cbranch_scc1 .LBB102_653
; %bb.651:
	v_add_u32_e32 v94, 0x200, v90
	s_mov_b32 s0, 32
	v_mov_b32_e32 v93, 31
.LBB102_652:                            ; =>This Inner Loop Header: Depth=1
	s_waitcnt lgkmcnt(0)
	v_cmp_gt_f64_e32 vcc, 0, v[117:118]
	v_xor_b32_e32 v99, 0x80000000, v118
	ds_read2_b64 v[95:98], v94 offset1:1
	v_xor_b32_e32 v101, 0x80000000, v120
	v_add_u32_e32 v94, 16, v94
	s_waitcnt lgkmcnt(0)
	v_xor_b32_e32 v103, 0x80000000, v98
	v_cndmask_b32_e32 v100, v118, v99, vcc
	v_cmp_gt_f64_e32 vcc, 0, v[119:120]
	v_mov_b32_e32 v99, v117
	v_cndmask_b32_e32 v102, v120, v101, vcc
	v_cmp_gt_f64_e32 vcc, 0, v[95:96]
	v_mov_b32_e32 v101, v119
	v_add_f64 v[99:100], v[99:100], v[101:102]
	v_xor_b32_e32 v101, 0x80000000, v96
	v_cndmask_b32_e32 v102, v96, v101, vcc
	v_cmp_gt_f64_e32 vcc, 0, v[97:98]
	v_mov_b32_e32 v101, v95
	v_cndmask_b32_e32 v104, v98, v103, vcc
	v_mov_b32_e32 v103, v97
	v_add_f64 v[101:102], v[101:102], v[103:104]
	v_cmp_lt_f64_e32 vcc, v[99:100], v[101:102]
	v_cndmask_b32_e32 v117, v117, v95, vcc
	v_mov_b32_e32 v95, s0
	s_add_i32 s0, s0, 1
	v_cndmask_b32_e32 v118, v118, v96, vcc
	v_cndmask_b32_e32 v120, v120, v98, vcc
	;; [unrolled: 1-line block ×4, first 2 shown]
	s_cmp_lg_u32 s3, s0
	s_cbranch_scc1 .LBB102_652
.LBB102_653:
	s_waitcnt lgkmcnt(0)
	v_cmp_eq_f64_e32 vcc, 0, v[117:118]
	v_cmp_eq_f64_e64 s[0:1], 0, v[119:120]
	s_and_b64 s[0:1], vcc, s[0:1]
	s_and_saveexec_b64 s[18:19], s[0:1]
	s_xor_b64 s[0:1], exec, s[18:19]
; %bb.654:
	v_cmp_ne_u32_e32 vcc, 0, v91
	v_cndmask_b32_e32 v91, 32, v91, vcc
; %bb.655:
	s_andn2_saveexec_b64 s[0:1], s[0:1]
	s_cbranch_execz .LBB102_661
; %bb.656:
	v_cmp_ngt_f64_e64 s[18:19], |v[117:118]|, |v[119:120]|
	s_and_saveexec_b64 s[20:21], s[18:19]
	s_xor_b64 s[18:19], exec, s[20:21]
	s_cbranch_execz .LBB102_658
; %bb.657:
	v_div_scale_f64 v[94:95], s[20:21], v[119:120], v[119:120], v[117:118]
	v_rcp_f64_e32 v[96:97], v[94:95]
	v_fma_f64 v[98:99], -v[94:95], v[96:97], 1.0
	v_fma_f64 v[96:97], v[96:97], v[98:99], v[96:97]
	v_div_scale_f64 v[98:99], vcc, v[117:118], v[119:120], v[117:118]
	v_fma_f64 v[100:101], -v[94:95], v[96:97], 1.0
	v_fma_f64 v[96:97], v[96:97], v[100:101], v[96:97]
	v_mul_f64 v[100:101], v[98:99], v[96:97]
	v_fma_f64 v[94:95], -v[94:95], v[100:101], v[98:99]
	v_div_fmas_f64 v[94:95], v[94:95], v[96:97], v[100:101]
	v_div_fixup_f64 v[94:95], v[94:95], v[119:120], v[117:118]
	v_fma_f64 v[96:97], v[117:118], v[94:95], v[119:120]
	v_div_scale_f64 v[98:99], s[20:21], v[96:97], v[96:97], 1.0
	v_div_scale_f64 v[104:105], vcc, 1.0, v[96:97], 1.0
	v_rcp_f64_e32 v[100:101], v[98:99]
	v_fma_f64 v[102:103], -v[98:99], v[100:101], 1.0
	v_fma_f64 v[100:101], v[100:101], v[102:103], v[100:101]
	v_fma_f64 v[102:103], -v[98:99], v[100:101], 1.0
	v_fma_f64 v[100:101], v[100:101], v[102:103], v[100:101]
	v_mul_f64 v[102:103], v[104:105], v[100:101]
	v_fma_f64 v[98:99], -v[98:99], v[102:103], v[104:105]
	v_div_fmas_f64 v[98:99], v[98:99], v[100:101], v[102:103]
	v_div_fixup_f64 v[119:120], v[98:99], v[96:97], 1.0
	v_mul_f64 v[117:118], v[94:95], v[119:120]
	v_xor_b32_e32 v120, 0x80000000, v120
.LBB102_658:
	s_andn2_saveexec_b64 s[18:19], s[18:19]
	s_cbranch_execz .LBB102_660
; %bb.659:
	v_div_scale_f64 v[94:95], s[20:21], v[117:118], v[117:118], v[119:120]
	v_rcp_f64_e32 v[96:97], v[94:95]
	v_fma_f64 v[98:99], -v[94:95], v[96:97], 1.0
	v_fma_f64 v[96:97], v[96:97], v[98:99], v[96:97]
	v_div_scale_f64 v[98:99], vcc, v[119:120], v[117:118], v[119:120]
	v_fma_f64 v[100:101], -v[94:95], v[96:97], 1.0
	v_fma_f64 v[96:97], v[96:97], v[100:101], v[96:97]
	v_mul_f64 v[100:101], v[98:99], v[96:97]
	v_fma_f64 v[94:95], -v[94:95], v[100:101], v[98:99]
	v_div_fmas_f64 v[94:95], v[94:95], v[96:97], v[100:101]
	v_div_fixup_f64 v[94:95], v[94:95], v[117:118], v[119:120]
	v_fma_f64 v[96:97], v[119:120], v[94:95], v[117:118]
	v_div_scale_f64 v[98:99], s[20:21], v[96:97], v[96:97], 1.0
	v_div_scale_f64 v[104:105], vcc, 1.0, v[96:97], 1.0
	v_rcp_f64_e32 v[100:101], v[98:99]
	v_fma_f64 v[102:103], -v[98:99], v[100:101], 1.0
	v_fma_f64 v[100:101], v[100:101], v[102:103], v[100:101]
	v_fma_f64 v[102:103], -v[98:99], v[100:101], 1.0
	v_fma_f64 v[100:101], v[100:101], v[102:103], v[100:101]
	v_mul_f64 v[102:103], v[104:105], v[100:101]
	v_fma_f64 v[98:99], -v[98:99], v[102:103], v[104:105]
	v_div_fmas_f64 v[98:99], v[98:99], v[100:101], v[102:103]
	v_div_fixup_f64 v[117:118], v[98:99], v[96:97], 1.0
	v_mul_f64 v[119:120], v[94:95], -v[117:118]
.LBB102_660:
	s_or_b64 exec, exec, s[18:19]
.LBB102_661:
	s_or_b64 exec, exec, s[0:1]
	v_cmp_ne_u32_e32 vcc, v92, v93
	s_and_saveexec_b64 s[0:1], vcc
	s_xor_b64 s[0:1], exec, s[0:1]
	s_cbranch_execz .LBB102_667
; %bb.662:
	v_cmp_eq_u32_e32 vcc, 31, v92
	s_and_saveexec_b64 s[18:19], vcc
	s_cbranch_execz .LBB102_666
; %bb.663:
	v_cmp_ne_u32_e32 vcc, 31, v93
	s_xor_b64 s[20:21], s[6:7], -1
	s_and_b64 s[22:23], s[20:21], vcc
	s_and_saveexec_b64 s[20:21], s[22:23]
	s_cbranch_execz .LBB102_665
; %bb.664:
	buffer_load_dword v81, off, s[24:27], 0 offset:416 ; 4-byte Folded Reload
	buffer_load_dword v82, off, s[24:27], 0 offset:420 ; 4-byte Folded Reload
	v_ashrrev_i32_e32 v94, 31, v93
	v_lshlrev_b64 v[94:95], 2, v[93:94]
	s_waitcnt vmcnt(1)
	v_add_co_u32_e32 v94, vcc, v81, v94
	s_waitcnt vmcnt(0)
	v_addc_co_u32_e32 v95, vcc, v82, v95, vcc
	global_load_dword v0, v[94:95], off
	global_load_dword v92, v[81:82], off offset:124
	s_waitcnt vmcnt(1)
	global_store_dword v[81:82], v0, off offset:124
	s_waitcnt vmcnt(1)
	global_store_dword v[94:95], v92, off
.LBB102_665:
	s_or_b64 exec, exec, s[20:21]
	v_mov_b32_e32 v92, v93
	v_mov_b32_e32 v0, v93
.LBB102_666:
	s_or_b64 exec, exec, s[18:19]
.LBB102_667:
	s_andn2_saveexec_b64 s[0:1], s[0:1]
	s_cbranch_execz .LBB102_669
; %bb.668:
	v_mov_b32_e32 v92, 31
	ds_write2_b64 v90, v[73:74], v[75:76] offset0:64 offset1:65
	ds_write2_b64 v90, v[69:70], v[71:72] offset0:66 offset1:67
	;; [unrolled: 1-line block ×20, first 2 shown]
.LBB102_669:
	s_or_b64 exec, exec, s[0:1]
	v_cmp_lt_i32_e32 vcc, 31, v92
	s_waitcnt vmcnt(0) lgkmcnt(0)
	s_barrier
	s_and_saveexec_b64 s[0:1], vcc
	s_cbranch_execz .LBB102_671
; %bb.670:
	v_mul_f64 v[93:94], v[119:120], v[79:80]
	v_mul_f64 v[79:80], v[117:118], v[79:80]
	ds_read2_b64 v[95:98], v90 offset0:64 offset1:65
	v_fma_f64 v[93:94], v[117:118], v[77:78], -v[93:94]
	v_fma_f64 v[79:80], v[119:120], v[77:78], v[79:80]
	s_waitcnt lgkmcnt(0)
	v_mul_f64 v[77:78], v[97:98], v[79:80]
	v_fma_f64 v[77:78], v[95:96], v[93:94], -v[77:78]
	v_mul_f64 v[95:96], v[95:96], v[79:80]
	v_add_f64 v[73:74], v[73:74], -v[77:78]
	v_fma_f64 v[95:96], v[97:98], v[93:94], v[95:96]
	v_add_f64 v[75:76], v[75:76], -v[95:96]
	ds_read2_b64 v[95:98], v90 offset0:66 offset1:67
	s_waitcnt lgkmcnt(0)
	v_mul_f64 v[77:78], v[97:98], v[79:80]
	v_fma_f64 v[77:78], v[95:96], v[93:94], -v[77:78]
	v_mul_f64 v[95:96], v[95:96], v[79:80]
	v_add_f64 v[69:70], v[69:70], -v[77:78]
	v_fma_f64 v[95:96], v[97:98], v[93:94], v[95:96]
	v_add_f64 v[71:72], v[71:72], -v[95:96]
	ds_read2_b64 v[95:98], v90 offset0:68 offset1:69
	s_waitcnt lgkmcnt(0)
	v_mul_f64 v[77:78], v[97:98], v[79:80]
	v_fma_f64 v[77:78], v[95:96], v[93:94], -v[77:78]
	v_mul_f64 v[95:96], v[95:96], v[79:80]
	v_add_f64 v[65:66], v[65:66], -v[77:78]
	v_fma_f64 v[95:96], v[97:98], v[93:94], v[95:96]
	v_add_f64 v[67:68], v[67:68], -v[95:96]
	ds_read2_b64 v[95:98], v90 offset0:70 offset1:71
	s_waitcnt lgkmcnt(0)
	v_mul_f64 v[77:78], v[97:98], v[79:80]
	v_fma_f64 v[77:78], v[95:96], v[93:94], -v[77:78]
	v_mul_f64 v[95:96], v[95:96], v[79:80]
	v_add_f64 v[61:62], v[61:62], -v[77:78]
	v_fma_f64 v[95:96], v[97:98], v[93:94], v[95:96]
	v_add_f64 v[63:64], v[63:64], -v[95:96]
	ds_read2_b64 v[95:98], v90 offset0:72 offset1:73
	s_waitcnt lgkmcnt(0)
	v_mul_f64 v[77:78], v[97:98], v[79:80]
	v_fma_f64 v[77:78], v[95:96], v[93:94], -v[77:78]
	v_mul_f64 v[95:96], v[95:96], v[79:80]
	v_add_f64 v[57:58], v[57:58], -v[77:78]
	v_fma_f64 v[95:96], v[97:98], v[93:94], v[95:96]
	v_add_f64 v[59:60], v[59:60], -v[95:96]
	ds_read2_b64 v[95:98], v90 offset0:74 offset1:75
	s_waitcnt lgkmcnt(0)
	v_mul_f64 v[77:78], v[97:98], v[79:80]
	v_fma_f64 v[77:78], v[95:96], v[93:94], -v[77:78]
	v_mul_f64 v[95:96], v[95:96], v[79:80]
	v_add_f64 v[53:54], v[53:54], -v[77:78]
	v_fma_f64 v[95:96], v[97:98], v[93:94], v[95:96]
	v_add_f64 v[55:56], v[55:56], -v[95:96]
	ds_read2_b64 v[95:98], v90 offset0:76 offset1:77
	s_waitcnt lgkmcnt(0)
	v_mul_f64 v[77:78], v[97:98], v[79:80]
	v_fma_f64 v[77:78], v[95:96], v[93:94], -v[77:78]
	v_mul_f64 v[95:96], v[95:96], v[79:80]
	v_add_f64 v[49:50], v[49:50], -v[77:78]
	v_fma_f64 v[95:96], v[97:98], v[93:94], v[95:96]
	v_add_f64 v[51:52], v[51:52], -v[95:96]
	ds_read2_b64 v[95:98], v90 offset0:78 offset1:79
	s_waitcnt lgkmcnt(0)
	v_mul_f64 v[77:78], v[97:98], v[79:80]
	v_fma_f64 v[77:78], v[95:96], v[93:94], -v[77:78]
	v_mul_f64 v[95:96], v[95:96], v[79:80]
	v_add_f64 v[45:46], v[45:46], -v[77:78]
	v_fma_f64 v[95:96], v[97:98], v[93:94], v[95:96]
	v_add_f64 v[47:48], v[47:48], -v[95:96]
	ds_read2_b64 v[95:98], v90 offset0:80 offset1:81
	s_waitcnt lgkmcnt(0)
	v_mul_f64 v[77:78], v[97:98], v[79:80]
	v_fma_f64 v[77:78], v[95:96], v[93:94], -v[77:78]
	v_mul_f64 v[95:96], v[95:96], v[79:80]
	v_add_f64 v[41:42], v[41:42], -v[77:78]
	v_fma_f64 v[95:96], v[97:98], v[93:94], v[95:96]
	v_add_f64 v[43:44], v[43:44], -v[95:96]
	ds_read2_b64 v[95:98], v90 offset0:82 offset1:83
	s_waitcnt lgkmcnt(0)
	v_mul_f64 v[77:78], v[97:98], v[79:80]
	v_fma_f64 v[77:78], v[95:96], v[93:94], -v[77:78]
	v_mul_f64 v[95:96], v[95:96], v[79:80]
	v_add_f64 v[37:38], v[37:38], -v[77:78]
	v_fma_f64 v[95:96], v[97:98], v[93:94], v[95:96]
	v_add_f64 v[39:40], v[39:40], -v[95:96]
	ds_read2_b64 v[95:98], v90 offset0:84 offset1:85
	s_waitcnt lgkmcnt(0)
	v_mul_f64 v[77:78], v[97:98], v[79:80]
	v_fma_f64 v[77:78], v[95:96], v[93:94], -v[77:78]
	v_mul_f64 v[95:96], v[95:96], v[79:80]
	v_add_f64 v[33:34], v[33:34], -v[77:78]
	v_fma_f64 v[95:96], v[97:98], v[93:94], v[95:96]
	v_add_f64 v[35:36], v[35:36], -v[95:96]
	ds_read2_b64 v[95:98], v90 offset0:86 offset1:87
	s_waitcnt lgkmcnt(0)
	v_mul_f64 v[77:78], v[97:98], v[79:80]
	v_fma_f64 v[77:78], v[95:96], v[93:94], -v[77:78]
	v_mul_f64 v[95:96], v[95:96], v[79:80]
	v_add_f64 v[29:30], v[29:30], -v[77:78]
	v_fma_f64 v[95:96], v[97:98], v[93:94], v[95:96]
	v_add_f64 v[31:32], v[31:32], -v[95:96]
	ds_read2_b64 v[95:98], v90 offset0:88 offset1:89
	s_waitcnt lgkmcnt(0)
	v_mul_f64 v[77:78], v[97:98], v[79:80]
	v_fma_f64 v[77:78], v[95:96], v[93:94], -v[77:78]
	v_mul_f64 v[95:96], v[95:96], v[79:80]
	v_add_f64 v[25:26], v[25:26], -v[77:78]
	v_fma_f64 v[95:96], v[97:98], v[93:94], v[95:96]
	v_add_f64 v[27:28], v[27:28], -v[95:96]
	ds_read2_b64 v[95:98], v90 offset0:90 offset1:91
	s_waitcnt lgkmcnt(0)
	v_mul_f64 v[77:78], v[97:98], v[79:80]
	v_fma_f64 v[77:78], v[95:96], v[93:94], -v[77:78]
	v_mul_f64 v[95:96], v[95:96], v[79:80]
	v_add_f64 v[21:22], v[21:22], -v[77:78]
	v_fma_f64 v[95:96], v[97:98], v[93:94], v[95:96]
	v_add_f64 v[23:24], v[23:24], -v[95:96]
	ds_read2_b64 v[95:98], v90 offset0:92 offset1:93
	s_waitcnt lgkmcnt(0)
	v_mul_f64 v[77:78], v[97:98], v[79:80]
	v_fma_f64 v[77:78], v[95:96], v[93:94], -v[77:78]
	v_mul_f64 v[95:96], v[95:96], v[79:80]
	v_add_f64 v[17:18], v[17:18], -v[77:78]
	v_fma_f64 v[95:96], v[97:98], v[93:94], v[95:96]
	v_add_f64 v[19:20], v[19:20], -v[95:96]
	ds_read2_b64 v[95:98], v90 offset0:94 offset1:95
	s_waitcnt lgkmcnt(0)
	v_mul_f64 v[77:78], v[97:98], v[79:80]
	v_fma_f64 v[77:78], v[95:96], v[93:94], -v[77:78]
	v_mul_f64 v[95:96], v[95:96], v[79:80]
	v_add_f64 v[13:14], v[13:14], -v[77:78]
	v_fma_f64 v[95:96], v[97:98], v[93:94], v[95:96]
	v_add_f64 v[15:16], v[15:16], -v[95:96]
	ds_read2_b64 v[95:98], v90 offset0:96 offset1:97
	s_waitcnt lgkmcnt(0)
	v_mul_f64 v[77:78], v[97:98], v[79:80]
	v_fma_f64 v[77:78], v[95:96], v[93:94], -v[77:78]
	v_mul_f64 v[95:96], v[95:96], v[79:80]
	v_add_f64 v[9:10], v[9:10], -v[77:78]
	v_fma_f64 v[95:96], v[97:98], v[93:94], v[95:96]
	v_add_f64 v[11:12], v[11:12], -v[95:96]
	ds_read2_b64 v[95:98], v90 offset0:98 offset1:99
	s_waitcnt lgkmcnt(0)
	v_mul_f64 v[77:78], v[97:98], v[79:80]
	v_fma_f64 v[77:78], v[95:96], v[93:94], -v[77:78]
	v_mul_f64 v[95:96], v[95:96], v[79:80]
	v_add_f64 v[5:6], v[5:6], -v[77:78]
	v_fma_f64 v[95:96], v[97:98], v[93:94], v[95:96]
	v_add_f64 v[7:8], v[7:8], -v[95:96]
	ds_read2_b64 v[95:98], v90 offset0:100 offset1:101
	s_waitcnt lgkmcnt(0)
	v_mul_f64 v[77:78], v[97:98], v[79:80]
	v_fma_f64 v[77:78], v[95:96], v[93:94], -v[77:78]
	v_mul_f64 v[95:96], v[95:96], v[79:80]
	v_add_f64 v[1:2], v[1:2], -v[77:78]
	v_fma_f64 v[95:96], v[97:98], v[93:94], v[95:96]
	v_add_f64 v[3:4], v[3:4], -v[95:96]
	ds_read2_b64 v[95:98], v90 offset0:102 offset1:103
	s_waitcnt lgkmcnt(0)
	v_mul_f64 v[77:78], v[97:98], v[79:80]
	v_fma_f64 v[77:78], v[95:96], v[93:94], -v[77:78]
	v_mul_f64 v[95:96], v[95:96], v[79:80]
	v_add_f64 v[121:122], v[121:122], -v[77:78]
	v_fma_f64 v[95:96], v[97:98], v[93:94], v[95:96]
	v_mov_b32_e32 v77, v93
	v_mov_b32_e32 v78, v94
	v_add_f64 v[123:124], v[123:124], -v[95:96]
.LBB102_671:
	s_or_b64 exec, exec, s[0:1]
	v_lshl_add_u32 v93, v92, 4, v90
	s_barrier
	ds_write2_b64 v93, v[73:74], v[75:76] offset1:1
	s_waitcnt lgkmcnt(0)
	s_barrier
	ds_read2_b64 v[117:120], v90 offset0:64 offset1:65
	s_cmp_lt_i32 s3, 34
	v_mov_b32_e32 v93, 32
	s_cbranch_scc1 .LBB102_674
; %bb.672:
	v_add_u32_e32 v94, 0x210, v90
	s_mov_b32 s0, 33
	v_mov_b32_e32 v93, 32
.LBB102_673:                            ; =>This Inner Loop Header: Depth=1
	s_waitcnt lgkmcnt(0)
	v_cmp_gt_f64_e32 vcc, 0, v[117:118]
	v_xor_b32_e32 v99, 0x80000000, v118
	ds_read2_b64 v[95:98], v94 offset1:1
	v_xor_b32_e32 v101, 0x80000000, v120
	v_add_u32_e32 v94, 16, v94
	s_waitcnt lgkmcnt(0)
	v_xor_b32_e32 v103, 0x80000000, v98
	v_cndmask_b32_e32 v100, v118, v99, vcc
	v_cmp_gt_f64_e32 vcc, 0, v[119:120]
	v_mov_b32_e32 v99, v117
	v_cndmask_b32_e32 v102, v120, v101, vcc
	v_cmp_gt_f64_e32 vcc, 0, v[95:96]
	v_mov_b32_e32 v101, v119
	v_add_f64 v[99:100], v[99:100], v[101:102]
	v_xor_b32_e32 v101, 0x80000000, v96
	v_cndmask_b32_e32 v102, v96, v101, vcc
	v_cmp_gt_f64_e32 vcc, 0, v[97:98]
	v_mov_b32_e32 v101, v95
	v_cndmask_b32_e32 v104, v98, v103, vcc
	v_mov_b32_e32 v103, v97
	v_add_f64 v[101:102], v[101:102], v[103:104]
	v_cmp_lt_f64_e32 vcc, v[99:100], v[101:102]
	v_cndmask_b32_e32 v117, v117, v95, vcc
	v_mov_b32_e32 v95, s0
	s_add_i32 s0, s0, 1
	v_cndmask_b32_e32 v118, v118, v96, vcc
	v_cndmask_b32_e32 v120, v120, v98, vcc
	;; [unrolled: 1-line block ×4, first 2 shown]
	s_cmp_lg_u32 s3, s0
	s_cbranch_scc1 .LBB102_673
.LBB102_674:
	s_waitcnt lgkmcnt(0)
	v_cmp_eq_f64_e32 vcc, 0, v[117:118]
	v_cmp_eq_f64_e64 s[0:1], 0, v[119:120]
	s_and_b64 s[0:1], vcc, s[0:1]
	s_and_saveexec_b64 s[18:19], s[0:1]
	s_xor_b64 s[0:1], exec, s[18:19]
; %bb.675:
	v_cmp_ne_u32_e32 vcc, 0, v91
	v_cndmask_b32_e32 v91, 33, v91, vcc
; %bb.676:
	s_andn2_saveexec_b64 s[0:1], s[0:1]
	s_cbranch_execz .LBB102_682
; %bb.677:
	v_cmp_ngt_f64_e64 s[18:19], |v[117:118]|, |v[119:120]|
	s_and_saveexec_b64 s[20:21], s[18:19]
	s_xor_b64 s[18:19], exec, s[20:21]
	s_cbranch_execz .LBB102_679
; %bb.678:
	v_div_scale_f64 v[94:95], s[20:21], v[119:120], v[119:120], v[117:118]
	v_rcp_f64_e32 v[96:97], v[94:95]
	v_fma_f64 v[98:99], -v[94:95], v[96:97], 1.0
	v_fma_f64 v[96:97], v[96:97], v[98:99], v[96:97]
	v_div_scale_f64 v[98:99], vcc, v[117:118], v[119:120], v[117:118]
	v_fma_f64 v[100:101], -v[94:95], v[96:97], 1.0
	v_fma_f64 v[96:97], v[96:97], v[100:101], v[96:97]
	v_mul_f64 v[100:101], v[98:99], v[96:97]
	v_fma_f64 v[94:95], -v[94:95], v[100:101], v[98:99]
	v_div_fmas_f64 v[94:95], v[94:95], v[96:97], v[100:101]
	v_div_fixup_f64 v[94:95], v[94:95], v[119:120], v[117:118]
	v_fma_f64 v[96:97], v[117:118], v[94:95], v[119:120]
	v_div_scale_f64 v[98:99], s[20:21], v[96:97], v[96:97], 1.0
	v_div_scale_f64 v[104:105], vcc, 1.0, v[96:97], 1.0
	v_rcp_f64_e32 v[100:101], v[98:99]
	v_fma_f64 v[102:103], -v[98:99], v[100:101], 1.0
	v_fma_f64 v[100:101], v[100:101], v[102:103], v[100:101]
	v_fma_f64 v[102:103], -v[98:99], v[100:101], 1.0
	v_fma_f64 v[100:101], v[100:101], v[102:103], v[100:101]
	v_mul_f64 v[102:103], v[104:105], v[100:101]
	v_fma_f64 v[98:99], -v[98:99], v[102:103], v[104:105]
	v_div_fmas_f64 v[98:99], v[98:99], v[100:101], v[102:103]
	v_div_fixup_f64 v[119:120], v[98:99], v[96:97], 1.0
	v_mul_f64 v[117:118], v[94:95], v[119:120]
	v_xor_b32_e32 v120, 0x80000000, v120
.LBB102_679:
	s_andn2_saveexec_b64 s[18:19], s[18:19]
	s_cbranch_execz .LBB102_681
; %bb.680:
	v_div_scale_f64 v[94:95], s[20:21], v[117:118], v[117:118], v[119:120]
	v_rcp_f64_e32 v[96:97], v[94:95]
	v_fma_f64 v[98:99], -v[94:95], v[96:97], 1.0
	v_fma_f64 v[96:97], v[96:97], v[98:99], v[96:97]
	v_div_scale_f64 v[98:99], vcc, v[119:120], v[117:118], v[119:120]
	v_fma_f64 v[100:101], -v[94:95], v[96:97], 1.0
	v_fma_f64 v[96:97], v[96:97], v[100:101], v[96:97]
	v_mul_f64 v[100:101], v[98:99], v[96:97]
	v_fma_f64 v[94:95], -v[94:95], v[100:101], v[98:99]
	v_div_fmas_f64 v[94:95], v[94:95], v[96:97], v[100:101]
	v_div_fixup_f64 v[94:95], v[94:95], v[117:118], v[119:120]
	v_fma_f64 v[96:97], v[119:120], v[94:95], v[117:118]
	v_div_scale_f64 v[98:99], s[20:21], v[96:97], v[96:97], 1.0
	v_div_scale_f64 v[104:105], vcc, 1.0, v[96:97], 1.0
	v_rcp_f64_e32 v[100:101], v[98:99]
	v_fma_f64 v[102:103], -v[98:99], v[100:101], 1.0
	v_fma_f64 v[100:101], v[100:101], v[102:103], v[100:101]
	v_fma_f64 v[102:103], -v[98:99], v[100:101], 1.0
	v_fma_f64 v[100:101], v[100:101], v[102:103], v[100:101]
	v_mul_f64 v[102:103], v[104:105], v[100:101]
	v_fma_f64 v[98:99], -v[98:99], v[102:103], v[104:105]
	v_div_fmas_f64 v[98:99], v[98:99], v[100:101], v[102:103]
	v_div_fixup_f64 v[117:118], v[98:99], v[96:97], 1.0
	v_mul_f64 v[119:120], v[94:95], -v[117:118]
.LBB102_681:
	s_or_b64 exec, exec, s[18:19]
.LBB102_682:
	s_or_b64 exec, exec, s[0:1]
	v_cmp_ne_u32_e32 vcc, v92, v93
	s_and_saveexec_b64 s[0:1], vcc
	s_xor_b64 s[0:1], exec, s[0:1]
	s_cbranch_execz .LBB102_688
; %bb.683:
	v_cmp_eq_u32_e32 vcc, 32, v92
	s_and_saveexec_b64 s[18:19], vcc
	s_cbranch_execz .LBB102_687
; %bb.684:
	v_cmp_ne_u32_e32 vcc, 32, v93
	s_xor_b64 s[20:21], s[6:7], -1
	s_and_b64 s[22:23], s[20:21], vcc
	s_and_saveexec_b64 s[20:21], s[22:23]
	s_cbranch_execz .LBB102_686
; %bb.685:
	buffer_load_dword v81, off, s[24:27], 0 offset:416 ; 4-byte Folded Reload
	buffer_load_dword v82, off, s[24:27], 0 offset:420 ; 4-byte Folded Reload
	v_ashrrev_i32_e32 v94, 31, v93
	v_lshlrev_b64 v[94:95], 2, v[93:94]
	s_waitcnt vmcnt(1)
	v_add_co_u32_e32 v94, vcc, v81, v94
	s_waitcnt vmcnt(0)
	v_addc_co_u32_e32 v95, vcc, v82, v95, vcc
	global_load_dword v0, v[94:95], off
	global_load_dword v92, v[81:82], off offset:128
	s_waitcnt vmcnt(1)
	global_store_dword v[81:82], v0, off offset:128
	s_waitcnt vmcnt(1)
	global_store_dword v[94:95], v92, off
.LBB102_686:
	s_or_b64 exec, exec, s[20:21]
	v_mov_b32_e32 v92, v93
	v_mov_b32_e32 v0, v93
.LBB102_687:
	s_or_b64 exec, exec, s[18:19]
.LBB102_688:
	s_andn2_saveexec_b64 s[0:1], s[0:1]
	s_cbranch_execz .LBB102_690
; %bb.689:
	v_mov_b32_e32 v92, 32
	ds_write2_b64 v90, v[69:70], v[71:72] offset0:66 offset1:67
	ds_write2_b64 v90, v[65:66], v[67:68] offset0:68 offset1:69
	;; [unrolled: 1-line block ×19, first 2 shown]
.LBB102_690:
	s_or_b64 exec, exec, s[0:1]
	v_cmp_lt_i32_e32 vcc, 32, v92
	s_waitcnt vmcnt(0) lgkmcnt(0)
	s_barrier
	s_and_saveexec_b64 s[0:1], vcc
	s_cbranch_execz .LBB102_692
; %bb.691:
	v_mul_f64 v[93:94], v[119:120], v[75:76]
	v_mul_f64 v[75:76], v[117:118], v[75:76]
	ds_read2_b64 v[95:98], v90 offset0:66 offset1:67
	v_fma_f64 v[93:94], v[117:118], v[73:74], -v[93:94]
	v_fma_f64 v[75:76], v[119:120], v[73:74], v[75:76]
	s_waitcnt lgkmcnt(0)
	v_mul_f64 v[73:74], v[97:98], v[75:76]
	v_fma_f64 v[73:74], v[95:96], v[93:94], -v[73:74]
	v_mul_f64 v[95:96], v[95:96], v[75:76]
	v_add_f64 v[69:70], v[69:70], -v[73:74]
	v_fma_f64 v[95:96], v[97:98], v[93:94], v[95:96]
	v_add_f64 v[71:72], v[71:72], -v[95:96]
	ds_read2_b64 v[95:98], v90 offset0:68 offset1:69
	s_waitcnt lgkmcnt(0)
	v_mul_f64 v[73:74], v[97:98], v[75:76]
	v_fma_f64 v[73:74], v[95:96], v[93:94], -v[73:74]
	v_mul_f64 v[95:96], v[95:96], v[75:76]
	v_add_f64 v[65:66], v[65:66], -v[73:74]
	v_fma_f64 v[95:96], v[97:98], v[93:94], v[95:96]
	v_add_f64 v[67:68], v[67:68], -v[95:96]
	ds_read2_b64 v[95:98], v90 offset0:70 offset1:71
	;; [unrolled: 8-line block ×18, first 2 shown]
	s_waitcnt lgkmcnt(0)
	v_mul_f64 v[73:74], v[97:98], v[75:76]
	v_fma_f64 v[73:74], v[95:96], v[93:94], -v[73:74]
	v_mul_f64 v[95:96], v[95:96], v[75:76]
	v_add_f64 v[121:122], v[121:122], -v[73:74]
	v_fma_f64 v[95:96], v[97:98], v[93:94], v[95:96]
	v_mov_b32_e32 v73, v93
	v_mov_b32_e32 v74, v94
	v_add_f64 v[123:124], v[123:124], -v[95:96]
.LBB102_692:
	s_or_b64 exec, exec, s[0:1]
	v_lshl_add_u32 v93, v92, 4, v90
	s_barrier
	ds_write2_b64 v93, v[69:70], v[71:72] offset1:1
	s_waitcnt lgkmcnt(0)
	s_barrier
	ds_read2_b64 v[117:120], v90 offset0:66 offset1:67
	s_cmp_lt_i32 s3, 35
	v_mov_b32_e32 v93, 33
	s_cbranch_scc1 .LBB102_695
; %bb.693:
	v_add_u32_e32 v94, 0x220, v90
	s_mov_b32 s0, 34
	v_mov_b32_e32 v93, 33
.LBB102_694:                            ; =>This Inner Loop Header: Depth=1
	s_waitcnt lgkmcnt(0)
	v_cmp_gt_f64_e32 vcc, 0, v[117:118]
	v_xor_b32_e32 v99, 0x80000000, v118
	ds_read2_b64 v[95:98], v94 offset1:1
	v_xor_b32_e32 v101, 0x80000000, v120
	v_add_u32_e32 v94, 16, v94
	s_waitcnt lgkmcnt(0)
	v_xor_b32_e32 v103, 0x80000000, v98
	v_cndmask_b32_e32 v100, v118, v99, vcc
	v_cmp_gt_f64_e32 vcc, 0, v[119:120]
	v_mov_b32_e32 v99, v117
	v_cndmask_b32_e32 v102, v120, v101, vcc
	v_cmp_gt_f64_e32 vcc, 0, v[95:96]
	v_mov_b32_e32 v101, v119
	v_add_f64 v[99:100], v[99:100], v[101:102]
	v_xor_b32_e32 v101, 0x80000000, v96
	v_cndmask_b32_e32 v102, v96, v101, vcc
	v_cmp_gt_f64_e32 vcc, 0, v[97:98]
	v_mov_b32_e32 v101, v95
	v_cndmask_b32_e32 v104, v98, v103, vcc
	v_mov_b32_e32 v103, v97
	v_add_f64 v[101:102], v[101:102], v[103:104]
	v_cmp_lt_f64_e32 vcc, v[99:100], v[101:102]
	v_cndmask_b32_e32 v117, v117, v95, vcc
	v_mov_b32_e32 v95, s0
	s_add_i32 s0, s0, 1
	v_cndmask_b32_e32 v118, v118, v96, vcc
	v_cndmask_b32_e32 v120, v120, v98, vcc
	;; [unrolled: 1-line block ×4, first 2 shown]
	s_cmp_lg_u32 s3, s0
	s_cbranch_scc1 .LBB102_694
.LBB102_695:
	s_waitcnt lgkmcnt(0)
	v_cmp_eq_f64_e32 vcc, 0, v[117:118]
	v_cmp_eq_f64_e64 s[0:1], 0, v[119:120]
	s_and_b64 s[0:1], vcc, s[0:1]
	s_and_saveexec_b64 s[18:19], s[0:1]
	s_xor_b64 s[0:1], exec, s[18:19]
; %bb.696:
	v_cmp_ne_u32_e32 vcc, 0, v91
	v_cndmask_b32_e32 v91, 34, v91, vcc
; %bb.697:
	s_andn2_saveexec_b64 s[0:1], s[0:1]
	s_cbranch_execz .LBB102_703
; %bb.698:
	v_cmp_ngt_f64_e64 s[18:19], |v[117:118]|, |v[119:120]|
	s_and_saveexec_b64 s[20:21], s[18:19]
	s_xor_b64 s[18:19], exec, s[20:21]
	s_cbranch_execz .LBB102_700
; %bb.699:
	v_div_scale_f64 v[94:95], s[20:21], v[119:120], v[119:120], v[117:118]
	v_rcp_f64_e32 v[96:97], v[94:95]
	v_fma_f64 v[98:99], -v[94:95], v[96:97], 1.0
	v_fma_f64 v[96:97], v[96:97], v[98:99], v[96:97]
	v_div_scale_f64 v[98:99], vcc, v[117:118], v[119:120], v[117:118]
	v_fma_f64 v[100:101], -v[94:95], v[96:97], 1.0
	v_fma_f64 v[96:97], v[96:97], v[100:101], v[96:97]
	v_mul_f64 v[100:101], v[98:99], v[96:97]
	v_fma_f64 v[94:95], -v[94:95], v[100:101], v[98:99]
	v_div_fmas_f64 v[94:95], v[94:95], v[96:97], v[100:101]
	v_div_fixup_f64 v[94:95], v[94:95], v[119:120], v[117:118]
	v_fma_f64 v[96:97], v[117:118], v[94:95], v[119:120]
	v_div_scale_f64 v[98:99], s[20:21], v[96:97], v[96:97], 1.0
	v_div_scale_f64 v[104:105], vcc, 1.0, v[96:97], 1.0
	v_rcp_f64_e32 v[100:101], v[98:99]
	v_fma_f64 v[102:103], -v[98:99], v[100:101], 1.0
	v_fma_f64 v[100:101], v[100:101], v[102:103], v[100:101]
	v_fma_f64 v[102:103], -v[98:99], v[100:101], 1.0
	v_fma_f64 v[100:101], v[100:101], v[102:103], v[100:101]
	v_mul_f64 v[102:103], v[104:105], v[100:101]
	v_fma_f64 v[98:99], -v[98:99], v[102:103], v[104:105]
	v_div_fmas_f64 v[98:99], v[98:99], v[100:101], v[102:103]
	v_div_fixup_f64 v[119:120], v[98:99], v[96:97], 1.0
	v_mul_f64 v[117:118], v[94:95], v[119:120]
	v_xor_b32_e32 v120, 0x80000000, v120
.LBB102_700:
	s_andn2_saveexec_b64 s[18:19], s[18:19]
	s_cbranch_execz .LBB102_702
; %bb.701:
	v_div_scale_f64 v[94:95], s[20:21], v[117:118], v[117:118], v[119:120]
	v_rcp_f64_e32 v[96:97], v[94:95]
	v_fma_f64 v[98:99], -v[94:95], v[96:97], 1.0
	v_fma_f64 v[96:97], v[96:97], v[98:99], v[96:97]
	v_div_scale_f64 v[98:99], vcc, v[119:120], v[117:118], v[119:120]
	v_fma_f64 v[100:101], -v[94:95], v[96:97], 1.0
	v_fma_f64 v[96:97], v[96:97], v[100:101], v[96:97]
	v_mul_f64 v[100:101], v[98:99], v[96:97]
	v_fma_f64 v[94:95], -v[94:95], v[100:101], v[98:99]
	v_div_fmas_f64 v[94:95], v[94:95], v[96:97], v[100:101]
	v_div_fixup_f64 v[94:95], v[94:95], v[117:118], v[119:120]
	v_fma_f64 v[96:97], v[119:120], v[94:95], v[117:118]
	v_div_scale_f64 v[98:99], s[20:21], v[96:97], v[96:97], 1.0
	v_div_scale_f64 v[104:105], vcc, 1.0, v[96:97], 1.0
	v_rcp_f64_e32 v[100:101], v[98:99]
	v_fma_f64 v[102:103], -v[98:99], v[100:101], 1.0
	v_fma_f64 v[100:101], v[100:101], v[102:103], v[100:101]
	v_fma_f64 v[102:103], -v[98:99], v[100:101], 1.0
	v_fma_f64 v[100:101], v[100:101], v[102:103], v[100:101]
	v_mul_f64 v[102:103], v[104:105], v[100:101]
	v_fma_f64 v[98:99], -v[98:99], v[102:103], v[104:105]
	v_div_fmas_f64 v[98:99], v[98:99], v[100:101], v[102:103]
	v_div_fixup_f64 v[117:118], v[98:99], v[96:97], 1.0
	v_mul_f64 v[119:120], v[94:95], -v[117:118]
.LBB102_702:
	s_or_b64 exec, exec, s[18:19]
.LBB102_703:
	s_or_b64 exec, exec, s[0:1]
	v_cmp_ne_u32_e32 vcc, v92, v93
	s_and_saveexec_b64 s[0:1], vcc
	s_xor_b64 s[0:1], exec, s[0:1]
	s_cbranch_execz .LBB102_709
; %bb.704:
	v_cmp_eq_u32_e32 vcc, 33, v92
	s_and_saveexec_b64 s[18:19], vcc
	s_cbranch_execz .LBB102_708
; %bb.705:
	v_cmp_ne_u32_e32 vcc, 33, v93
	s_xor_b64 s[20:21], s[6:7], -1
	s_and_b64 s[22:23], s[20:21], vcc
	s_and_saveexec_b64 s[20:21], s[22:23]
	s_cbranch_execz .LBB102_707
; %bb.706:
	buffer_load_dword v81, off, s[24:27], 0 offset:416 ; 4-byte Folded Reload
	buffer_load_dword v82, off, s[24:27], 0 offset:420 ; 4-byte Folded Reload
	v_ashrrev_i32_e32 v94, 31, v93
	v_lshlrev_b64 v[94:95], 2, v[93:94]
	s_waitcnt vmcnt(1)
	v_add_co_u32_e32 v94, vcc, v81, v94
	s_waitcnt vmcnt(0)
	v_addc_co_u32_e32 v95, vcc, v82, v95, vcc
	global_load_dword v0, v[94:95], off
	global_load_dword v92, v[81:82], off offset:132
	s_waitcnt vmcnt(1)
	global_store_dword v[81:82], v0, off offset:132
	s_waitcnt vmcnt(1)
	global_store_dword v[94:95], v92, off
.LBB102_707:
	s_or_b64 exec, exec, s[20:21]
	v_mov_b32_e32 v92, v93
	v_mov_b32_e32 v0, v93
.LBB102_708:
	s_or_b64 exec, exec, s[18:19]
.LBB102_709:
	s_andn2_saveexec_b64 s[0:1], s[0:1]
	s_cbranch_execz .LBB102_711
; %bb.710:
	v_mov_b32_e32 v92, 33
	ds_write2_b64 v90, v[65:66], v[67:68] offset0:68 offset1:69
	ds_write2_b64 v90, v[61:62], v[63:64] offset0:70 offset1:71
	;; [unrolled: 1-line block ×18, first 2 shown]
.LBB102_711:
	s_or_b64 exec, exec, s[0:1]
	v_cmp_lt_i32_e32 vcc, 33, v92
	s_waitcnt vmcnt(0) lgkmcnt(0)
	s_barrier
	s_and_saveexec_b64 s[0:1], vcc
	s_cbranch_execz .LBB102_713
; %bb.712:
	v_mul_f64 v[93:94], v[119:120], v[71:72]
	v_mul_f64 v[71:72], v[117:118], v[71:72]
	ds_read2_b64 v[95:98], v90 offset0:68 offset1:69
	v_fma_f64 v[93:94], v[117:118], v[69:70], -v[93:94]
	v_fma_f64 v[71:72], v[119:120], v[69:70], v[71:72]
	s_waitcnt lgkmcnt(0)
	v_mul_f64 v[69:70], v[97:98], v[71:72]
	v_fma_f64 v[69:70], v[95:96], v[93:94], -v[69:70]
	v_mul_f64 v[95:96], v[95:96], v[71:72]
	v_add_f64 v[65:66], v[65:66], -v[69:70]
	v_fma_f64 v[95:96], v[97:98], v[93:94], v[95:96]
	v_add_f64 v[67:68], v[67:68], -v[95:96]
	ds_read2_b64 v[95:98], v90 offset0:70 offset1:71
	s_waitcnt lgkmcnt(0)
	v_mul_f64 v[69:70], v[97:98], v[71:72]
	v_fma_f64 v[69:70], v[95:96], v[93:94], -v[69:70]
	v_mul_f64 v[95:96], v[95:96], v[71:72]
	v_add_f64 v[61:62], v[61:62], -v[69:70]
	v_fma_f64 v[95:96], v[97:98], v[93:94], v[95:96]
	v_add_f64 v[63:64], v[63:64], -v[95:96]
	ds_read2_b64 v[95:98], v90 offset0:72 offset1:73
	;; [unrolled: 8-line block ×17, first 2 shown]
	s_waitcnt lgkmcnt(0)
	v_mul_f64 v[69:70], v[97:98], v[71:72]
	v_fma_f64 v[69:70], v[95:96], v[93:94], -v[69:70]
	v_mul_f64 v[95:96], v[95:96], v[71:72]
	v_add_f64 v[121:122], v[121:122], -v[69:70]
	v_fma_f64 v[95:96], v[97:98], v[93:94], v[95:96]
	v_mov_b32_e32 v69, v93
	v_mov_b32_e32 v70, v94
	v_add_f64 v[123:124], v[123:124], -v[95:96]
.LBB102_713:
	s_or_b64 exec, exec, s[0:1]
	v_lshl_add_u32 v93, v92, 4, v90
	s_barrier
	ds_write2_b64 v93, v[65:66], v[67:68] offset1:1
	s_waitcnt lgkmcnt(0)
	s_barrier
	ds_read2_b64 v[117:120], v90 offset0:68 offset1:69
	s_cmp_lt_i32 s3, 36
	v_mov_b32_e32 v93, 34
	s_cbranch_scc1 .LBB102_716
; %bb.714:
	v_add_u32_e32 v94, 0x230, v90
	s_mov_b32 s0, 35
	v_mov_b32_e32 v93, 34
.LBB102_715:                            ; =>This Inner Loop Header: Depth=1
	s_waitcnt lgkmcnt(0)
	v_cmp_gt_f64_e32 vcc, 0, v[117:118]
	v_xor_b32_e32 v99, 0x80000000, v118
	ds_read2_b64 v[95:98], v94 offset1:1
	v_xor_b32_e32 v101, 0x80000000, v120
	v_add_u32_e32 v94, 16, v94
	s_waitcnt lgkmcnt(0)
	v_xor_b32_e32 v103, 0x80000000, v98
	v_cndmask_b32_e32 v100, v118, v99, vcc
	v_cmp_gt_f64_e32 vcc, 0, v[119:120]
	v_mov_b32_e32 v99, v117
	v_cndmask_b32_e32 v102, v120, v101, vcc
	v_cmp_gt_f64_e32 vcc, 0, v[95:96]
	v_mov_b32_e32 v101, v119
	v_add_f64 v[99:100], v[99:100], v[101:102]
	v_xor_b32_e32 v101, 0x80000000, v96
	v_cndmask_b32_e32 v102, v96, v101, vcc
	v_cmp_gt_f64_e32 vcc, 0, v[97:98]
	v_mov_b32_e32 v101, v95
	v_cndmask_b32_e32 v104, v98, v103, vcc
	v_mov_b32_e32 v103, v97
	v_add_f64 v[101:102], v[101:102], v[103:104]
	v_cmp_lt_f64_e32 vcc, v[99:100], v[101:102]
	v_cndmask_b32_e32 v117, v117, v95, vcc
	v_mov_b32_e32 v95, s0
	s_add_i32 s0, s0, 1
	v_cndmask_b32_e32 v118, v118, v96, vcc
	v_cndmask_b32_e32 v120, v120, v98, vcc
	;; [unrolled: 1-line block ×4, first 2 shown]
	s_cmp_lg_u32 s3, s0
	s_cbranch_scc1 .LBB102_715
.LBB102_716:
	s_waitcnt lgkmcnt(0)
	v_cmp_eq_f64_e32 vcc, 0, v[117:118]
	v_cmp_eq_f64_e64 s[0:1], 0, v[119:120]
	s_and_b64 s[0:1], vcc, s[0:1]
	s_and_saveexec_b64 s[18:19], s[0:1]
	s_xor_b64 s[0:1], exec, s[18:19]
; %bb.717:
	v_cmp_ne_u32_e32 vcc, 0, v91
	v_cndmask_b32_e32 v91, 35, v91, vcc
; %bb.718:
	s_andn2_saveexec_b64 s[0:1], s[0:1]
	s_cbranch_execz .LBB102_724
; %bb.719:
	v_cmp_ngt_f64_e64 s[18:19], |v[117:118]|, |v[119:120]|
	s_and_saveexec_b64 s[20:21], s[18:19]
	s_xor_b64 s[18:19], exec, s[20:21]
	s_cbranch_execz .LBB102_721
; %bb.720:
	v_div_scale_f64 v[94:95], s[20:21], v[119:120], v[119:120], v[117:118]
	v_rcp_f64_e32 v[96:97], v[94:95]
	v_fma_f64 v[98:99], -v[94:95], v[96:97], 1.0
	v_fma_f64 v[96:97], v[96:97], v[98:99], v[96:97]
	v_div_scale_f64 v[98:99], vcc, v[117:118], v[119:120], v[117:118]
	v_fma_f64 v[100:101], -v[94:95], v[96:97], 1.0
	v_fma_f64 v[96:97], v[96:97], v[100:101], v[96:97]
	v_mul_f64 v[100:101], v[98:99], v[96:97]
	v_fma_f64 v[94:95], -v[94:95], v[100:101], v[98:99]
	v_div_fmas_f64 v[94:95], v[94:95], v[96:97], v[100:101]
	v_div_fixup_f64 v[94:95], v[94:95], v[119:120], v[117:118]
	v_fma_f64 v[96:97], v[117:118], v[94:95], v[119:120]
	v_div_scale_f64 v[98:99], s[20:21], v[96:97], v[96:97], 1.0
	v_div_scale_f64 v[104:105], vcc, 1.0, v[96:97], 1.0
	v_rcp_f64_e32 v[100:101], v[98:99]
	v_fma_f64 v[102:103], -v[98:99], v[100:101], 1.0
	v_fma_f64 v[100:101], v[100:101], v[102:103], v[100:101]
	v_fma_f64 v[102:103], -v[98:99], v[100:101], 1.0
	v_fma_f64 v[100:101], v[100:101], v[102:103], v[100:101]
	v_mul_f64 v[102:103], v[104:105], v[100:101]
	v_fma_f64 v[98:99], -v[98:99], v[102:103], v[104:105]
	v_div_fmas_f64 v[98:99], v[98:99], v[100:101], v[102:103]
	v_div_fixup_f64 v[119:120], v[98:99], v[96:97], 1.0
	v_mul_f64 v[117:118], v[94:95], v[119:120]
	v_xor_b32_e32 v120, 0x80000000, v120
.LBB102_721:
	s_andn2_saveexec_b64 s[18:19], s[18:19]
	s_cbranch_execz .LBB102_723
; %bb.722:
	v_div_scale_f64 v[94:95], s[20:21], v[117:118], v[117:118], v[119:120]
	v_rcp_f64_e32 v[96:97], v[94:95]
	v_fma_f64 v[98:99], -v[94:95], v[96:97], 1.0
	v_fma_f64 v[96:97], v[96:97], v[98:99], v[96:97]
	v_div_scale_f64 v[98:99], vcc, v[119:120], v[117:118], v[119:120]
	v_fma_f64 v[100:101], -v[94:95], v[96:97], 1.0
	v_fma_f64 v[96:97], v[96:97], v[100:101], v[96:97]
	v_mul_f64 v[100:101], v[98:99], v[96:97]
	v_fma_f64 v[94:95], -v[94:95], v[100:101], v[98:99]
	v_div_fmas_f64 v[94:95], v[94:95], v[96:97], v[100:101]
	v_div_fixup_f64 v[94:95], v[94:95], v[117:118], v[119:120]
	v_fma_f64 v[96:97], v[119:120], v[94:95], v[117:118]
	v_div_scale_f64 v[98:99], s[20:21], v[96:97], v[96:97], 1.0
	v_div_scale_f64 v[104:105], vcc, 1.0, v[96:97], 1.0
	v_rcp_f64_e32 v[100:101], v[98:99]
	v_fma_f64 v[102:103], -v[98:99], v[100:101], 1.0
	v_fma_f64 v[100:101], v[100:101], v[102:103], v[100:101]
	v_fma_f64 v[102:103], -v[98:99], v[100:101], 1.0
	v_fma_f64 v[100:101], v[100:101], v[102:103], v[100:101]
	v_mul_f64 v[102:103], v[104:105], v[100:101]
	v_fma_f64 v[98:99], -v[98:99], v[102:103], v[104:105]
	v_div_fmas_f64 v[98:99], v[98:99], v[100:101], v[102:103]
	v_div_fixup_f64 v[117:118], v[98:99], v[96:97], 1.0
	v_mul_f64 v[119:120], v[94:95], -v[117:118]
.LBB102_723:
	s_or_b64 exec, exec, s[18:19]
.LBB102_724:
	s_or_b64 exec, exec, s[0:1]
	v_cmp_ne_u32_e32 vcc, v92, v93
	s_and_saveexec_b64 s[0:1], vcc
	s_xor_b64 s[0:1], exec, s[0:1]
	s_cbranch_execz .LBB102_730
; %bb.725:
	v_cmp_eq_u32_e32 vcc, 34, v92
	s_and_saveexec_b64 s[18:19], vcc
	s_cbranch_execz .LBB102_729
; %bb.726:
	v_cmp_ne_u32_e32 vcc, 34, v93
	s_xor_b64 s[20:21], s[6:7], -1
	s_and_b64 s[22:23], s[20:21], vcc
	s_and_saveexec_b64 s[20:21], s[22:23]
	s_cbranch_execz .LBB102_728
; %bb.727:
	buffer_load_dword v81, off, s[24:27], 0 offset:416 ; 4-byte Folded Reload
	buffer_load_dword v82, off, s[24:27], 0 offset:420 ; 4-byte Folded Reload
	v_ashrrev_i32_e32 v94, 31, v93
	v_lshlrev_b64 v[94:95], 2, v[93:94]
	s_waitcnt vmcnt(1)
	v_add_co_u32_e32 v94, vcc, v81, v94
	s_waitcnt vmcnt(0)
	v_addc_co_u32_e32 v95, vcc, v82, v95, vcc
	global_load_dword v0, v[94:95], off
	global_load_dword v92, v[81:82], off offset:136
	s_waitcnt vmcnt(1)
	global_store_dword v[81:82], v0, off offset:136
	s_waitcnt vmcnt(1)
	global_store_dword v[94:95], v92, off
.LBB102_728:
	s_or_b64 exec, exec, s[20:21]
	v_mov_b32_e32 v92, v93
	v_mov_b32_e32 v0, v93
.LBB102_729:
	s_or_b64 exec, exec, s[18:19]
.LBB102_730:
	s_andn2_saveexec_b64 s[0:1], s[0:1]
	s_cbranch_execz .LBB102_732
; %bb.731:
	v_mov_b32_e32 v92, 34
	ds_write2_b64 v90, v[61:62], v[63:64] offset0:70 offset1:71
	ds_write2_b64 v90, v[57:58], v[59:60] offset0:72 offset1:73
	;; [unrolled: 1-line block ×17, first 2 shown]
.LBB102_732:
	s_or_b64 exec, exec, s[0:1]
	v_cmp_lt_i32_e32 vcc, 34, v92
	s_waitcnt vmcnt(0) lgkmcnt(0)
	s_barrier
	s_and_saveexec_b64 s[0:1], vcc
	s_cbranch_execz .LBB102_734
; %bb.733:
	v_mul_f64 v[93:94], v[119:120], v[67:68]
	v_mul_f64 v[67:68], v[117:118], v[67:68]
	ds_read2_b64 v[95:98], v90 offset0:70 offset1:71
	v_fma_f64 v[93:94], v[117:118], v[65:66], -v[93:94]
	v_fma_f64 v[67:68], v[119:120], v[65:66], v[67:68]
	s_waitcnt lgkmcnt(0)
	v_mul_f64 v[65:66], v[97:98], v[67:68]
	v_fma_f64 v[65:66], v[95:96], v[93:94], -v[65:66]
	v_mul_f64 v[95:96], v[95:96], v[67:68]
	v_add_f64 v[61:62], v[61:62], -v[65:66]
	v_fma_f64 v[95:96], v[97:98], v[93:94], v[95:96]
	v_add_f64 v[63:64], v[63:64], -v[95:96]
	ds_read2_b64 v[95:98], v90 offset0:72 offset1:73
	s_waitcnt lgkmcnt(0)
	v_mul_f64 v[65:66], v[97:98], v[67:68]
	v_fma_f64 v[65:66], v[95:96], v[93:94], -v[65:66]
	v_mul_f64 v[95:96], v[95:96], v[67:68]
	v_add_f64 v[57:58], v[57:58], -v[65:66]
	v_fma_f64 v[95:96], v[97:98], v[93:94], v[95:96]
	v_add_f64 v[59:60], v[59:60], -v[95:96]
	ds_read2_b64 v[95:98], v90 offset0:74 offset1:75
	;; [unrolled: 8-line block ×16, first 2 shown]
	s_waitcnt lgkmcnt(0)
	v_mul_f64 v[65:66], v[97:98], v[67:68]
	v_fma_f64 v[65:66], v[95:96], v[93:94], -v[65:66]
	v_mul_f64 v[95:96], v[95:96], v[67:68]
	v_add_f64 v[121:122], v[121:122], -v[65:66]
	v_fma_f64 v[95:96], v[97:98], v[93:94], v[95:96]
	v_mov_b32_e32 v65, v93
	v_mov_b32_e32 v66, v94
	v_add_f64 v[123:124], v[123:124], -v[95:96]
.LBB102_734:
	s_or_b64 exec, exec, s[0:1]
	v_lshl_add_u32 v93, v92, 4, v90
	s_barrier
	ds_write2_b64 v93, v[61:62], v[63:64] offset1:1
	s_waitcnt lgkmcnt(0)
	s_barrier
	ds_read2_b64 v[117:120], v90 offset0:70 offset1:71
	s_cmp_lt_i32 s3, 37
	v_mov_b32_e32 v93, 35
	s_cbranch_scc1 .LBB102_737
; %bb.735:
	v_add_u32_e32 v94, 0x240, v90
	s_mov_b32 s0, 36
	v_mov_b32_e32 v93, 35
.LBB102_736:                            ; =>This Inner Loop Header: Depth=1
	s_waitcnt lgkmcnt(0)
	v_cmp_gt_f64_e32 vcc, 0, v[117:118]
	v_xor_b32_e32 v99, 0x80000000, v118
	ds_read2_b64 v[95:98], v94 offset1:1
	v_xor_b32_e32 v101, 0x80000000, v120
	v_add_u32_e32 v94, 16, v94
	s_waitcnt lgkmcnt(0)
	v_xor_b32_e32 v103, 0x80000000, v98
	v_cndmask_b32_e32 v100, v118, v99, vcc
	v_cmp_gt_f64_e32 vcc, 0, v[119:120]
	v_mov_b32_e32 v99, v117
	v_cndmask_b32_e32 v102, v120, v101, vcc
	v_cmp_gt_f64_e32 vcc, 0, v[95:96]
	v_mov_b32_e32 v101, v119
	v_add_f64 v[99:100], v[99:100], v[101:102]
	v_xor_b32_e32 v101, 0x80000000, v96
	v_cndmask_b32_e32 v102, v96, v101, vcc
	v_cmp_gt_f64_e32 vcc, 0, v[97:98]
	v_mov_b32_e32 v101, v95
	v_cndmask_b32_e32 v104, v98, v103, vcc
	v_mov_b32_e32 v103, v97
	v_add_f64 v[101:102], v[101:102], v[103:104]
	v_cmp_lt_f64_e32 vcc, v[99:100], v[101:102]
	v_cndmask_b32_e32 v117, v117, v95, vcc
	v_mov_b32_e32 v95, s0
	s_add_i32 s0, s0, 1
	v_cndmask_b32_e32 v118, v118, v96, vcc
	v_cndmask_b32_e32 v120, v120, v98, vcc
	;; [unrolled: 1-line block ×4, first 2 shown]
	s_cmp_lg_u32 s3, s0
	s_cbranch_scc1 .LBB102_736
.LBB102_737:
	s_waitcnt lgkmcnt(0)
	v_cmp_eq_f64_e32 vcc, 0, v[117:118]
	v_cmp_eq_f64_e64 s[0:1], 0, v[119:120]
	s_and_b64 s[0:1], vcc, s[0:1]
	s_and_saveexec_b64 s[18:19], s[0:1]
	s_xor_b64 s[0:1], exec, s[18:19]
; %bb.738:
	v_cmp_ne_u32_e32 vcc, 0, v91
	v_cndmask_b32_e32 v91, 36, v91, vcc
; %bb.739:
	s_andn2_saveexec_b64 s[0:1], s[0:1]
	s_cbranch_execz .LBB102_745
; %bb.740:
	v_cmp_ngt_f64_e64 s[18:19], |v[117:118]|, |v[119:120]|
	s_and_saveexec_b64 s[20:21], s[18:19]
	s_xor_b64 s[18:19], exec, s[20:21]
	s_cbranch_execz .LBB102_742
; %bb.741:
	v_div_scale_f64 v[94:95], s[20:21], v[119:120], v[119:120], v[117:118]
	v_rcp_f64_e32 v[96:97], v[94:95]
	v_fma_f64 v[98:99], -v[94:95], v[96:97], 1.0
	v_fma_f64 v[96:97], v[96:97], v[98:99], v[96:97]
	v_div_scale_f64 v[98:99], vcc, v[117:118], v[119:120], v[117:118]
	v_fma_f64 v[100:101], -v[94:95], v[96:97], 1.0
	v_fma_f64 v[96:97], v[96:97], v[100:101], v[96:97]
	v_mul_f64 v[100:101], v[98:99], v[96:97]
	v_fma_f64 v[94:95], -v[94:95], v[100:101], v[98:99]
	v_div_fmas_f64 v[94:95], v[94:95], v[96:97], v[100:101]
	v_div_fixup_f64 v[94:95], v[94:95], v[119:120], v[117:118]
	v_fma_f64 v[96:97], v[117:118], v[94:95], v[119:120]
	v_div_scale_f64 v[98:99], s[20:21], v[96:97], v[96:97], 1.0
	v_div_scale_f64 v[104:105], vcc, 1.0, v[96:97], 1.0
	v_rcp_f64_e32 v[100:101], v[98:99]
	v_fma_f64 v[102:103], -v[98:99], v[100:101], 1.0
	v_fma_f64 v[100:101], v[100:101], v[102:103], v[100:101]
	v_fma_f64 v[102:103], -v[98:99], v[100:101], 1.0
	v_fma_f64 v[100:101], v[100:101], v[102:103], v[100:101]
	v_mul_f64 v[102:103], v[104:105], v[100:101]
	v_fma_f64 v[98:99], -v[98:99], v[102:103], v[104:105]
	v_div_fmas_f64 v[98:99], v[98:99], v[100:101], v[102:103]
	v_div_fixup_f64 v[119:120], v[98:99], v[96:97], 1.0
	v_mul_f64 v[117:118], v[94:95], v[119:120]
	v_xor_b32_e32 v120, 0x80000000, v120
.LBB102_742:
	s_andn2_saveexec_b64 s[18:19], s[18:19]
	s_cbranch_execz .LBB102_744
; %bb.743:
	v_div_scale_f64 v[94:95], s[20:21], v[117:118], v[117:118], v[119:120]
	v_rcp_f64_e32 v[96:97], v[94:95]
	v_fma_f64 v[98:99], -v[94:95], v[96:97], 1.0
	v_fma_f64 v[96:97], v[96:97], v[98:99], v[96:97]
	v_div_scale_f64 v[98:99], vcc, v[119:120], v[117:118], v[119:120]
	v_fma_f64 v[100:101], -v[94:95], v[96:97], 1.0
	v_fma_f64 v[96:97], v[96:97], v[100:101], v[96:97]
	v_mul_f64 v[100:101], v[98:99], v[96:97]
	v_fma_f64 v[94:95], -v[94:95], v[100:101], v[98:99]
	v_div_fmas_f64 v[94:95], v[94:95], v[96:97], v[100:101]
	v_div_fixup_f64 v[94:95], v[94:95], v[117:118], v[119:120]
	v_fma_f64 v[96:97], v[119:120], v[94:95], v[117:118]
	v_div_scale_f64 v[98:99], s[20:21], v[96:97], v[96:97], 1.0
	v_div_scale_f64 v[104:105], vcc, 1.0, v[96:97], 1.0
	v_rcp_f64_e32 v[100:101], v[98:99]
	v_fma_f64 v[102:103], -v[98:99], v[100:101], 1.0
	v_fma_f64 v[100:101], v[100:101], v[102:103], v[100:101]
	v_fma_f64 v[102:103], -v[98:99], v[100:101], 1.0
	v_fma_f64 v[100:101], v[100:101], v[102:103], v[100:101]
	v_mul_f64 v[102:103], v[104:105], v[100:101]
	v_fma_f64 v[98:99], -v[98:99], v[102:103], v[104:105]
	v_div_fmas_f64 v[98:99], v[98:99], v[100:101], v[102:103]
	v_div_fixup_f64 v[117:118], v[98:99], v[96:97], 1.0
	v_mul_f64 v[119:120], v[94:95], -v[117:118]
.LBB102_744:
	s_or_b64 exec, exec, s[18:19]
.LBB102_745:
	s_or_b64 exec, exec, s[0:1]
	v_cmp_ne_u32_e32 vcc, v92, v93
	s_and_saveexec_b64 s[0:1], vcc
	s_xor_b64 s[0:1], exec, s[0:1]
	s_cbranch_execz .LBB102_751
; %bb.746:
	v_cmp_eq_u32_e32 vcc, 35, v92
	s_and_saveexec_b64 s[18:19], vcc
	s_cbranch_execz .LBB102_750
; %bb.747:
	v_cmp_ne_u32_e32 vcc, 35, v93
	s_xor_b64 s[20:21], s[6:7], -1
	s_and_b64 s[22:23], s[20:21], vcc
	s_and_saveexec_b64 s[20:21], s[22:23]
	s_cbranch_execz .LBB102_749
; %bb.748:
	buffer_load_dword v81, off, s[24:27], 0 offset:416 ; 4-byte Folded Reload
	buffer_load_dword v82, off, s[24:27], 0 offset:420 ; 4-byte Folded Reload
	v_ashrrev_i32_e32 v94, 31, v93
	v_lshlrev_b64 v[94:95], 2, v[93:94]
	s_waitcnt vmcnt(1)
	v_add_co_u32_e32 v94, vcc, v81, v94
	s_waitcnt vmcnt(0)
	v_addc_co_u32_e32 v95, vcc, v82, v95, vcc
	global_load_dword v0, v[94:95], off
	global_load_dword v92, v[81:82], off offset:140
	s_waitcnt vmcnt(1)
	global_store_dword v[81:82], v0, off offset:140
	s_waitcnt vmcnt(1)
	global_store_dword v[94:95], v92, off
.LBB102_749:
	s_or_b64 exec, exec, s[20:21]
	v_mov_b32_e32 v92, v93
	v_mov_b32_e32 v0, v93
.LBB102_750:
	s_or_b64 exec, exec, s[18:19]
.LBB102_751:
	s_andn2_saveexec_b64 s[0:1], s[0:1]
	s_cbranch_execz .LBB102_753
; %bb.752:
	v_mov_b32_e32 v92, 35
	ds_write2_b64 v90, v[57:58], v[59:60] offset0:72 offset1:73
	ds_write2_b64 v90, v[53:54], v[55:56] offset0:74 offset1:75
	;; [unrolled: 1-line block ×16, first 2 shown]
.LBB102_753:
	s_or_b64 exec, exec, s[0:1]
	v_cmp_lt_i32_e32 vcc, 35, v92
	s_waitcnt vmcnt(0) lgkmcnt(0)
	s_barrier
	s_and_saveexec_b64 s[0:1], vcc
	s_cbranch_execz .LBB102_755
; %bb.754:
	v_mul_f64 v[93:94], v[117:118], v[63:64]
	v_mul_f64 v[63:64], v[119:120], v[63:64]
	ds_read2_b64 v[95:98], v90 offset0:72 offset1:73
	v_fma_f64 v[93:94], v[119:120], v[61:62], v[93:94]
	v_fma_f64 v[61:62], v[117:118], v[61:62], -v[63:64]
	s_waitcnt lgkmcnt(0)
	v_mul_f64 v[63:64], v[97:98], v[93:94]
	v_fma_f64 v[63:64], v[95:96], v[61:62], -v[63:64]
	v_mul_f64 v[95:96], v[95:96], v[93:94]
	v_add_f64 v[57:58], v[57:58], -v[63:64]
	v_fma_f64 v[95:96], v[97:98], v[61:62], v[95:96]
	v_add_f64 v[59:60], v[59:60], -v[95:96]
	ds_read2_b64 v[95:98], v90 offset0:74 offset1:75
	s_waitcnt lgkmcnt(0)
	v_mul_f64 v[63:64], v[97:98], v[93:94]
	v_fma_f64 v[63:64], v[95:96], v[61:62], -v[63:64]
	v_mul_f64 v[95:96], v[95:96], v[93:94]
	v_add_f64 v[53:54], v[53:54], -v[63:64]
	v_fma_f64 v[95:96], v[97:98], v[61:62], v[95:96]
	v_add_f64 v[55:56], v[55:56], -v[95:96]
	ds_read2_b64 v[95:98], v90 offset0:76 offset1:77
	;; [unrolled: 8-line block ×15, first 2 shown]
	s_waitcnt lgkmcnt(0)
	v_mul_f64 v[63:64], v[97:98], v[93:94]
	v_fma_f64 v[63:64], v[95:96], v[61:62], -v[63:64]
	v_mul_f64 v[95:96], v[95:96], v[93:94]
	v_add_f64 v[121:122], v[121:122], -v[63:64]
	v_fma_f64 v[95:96], v[97:98], v[61:62], v[95:96]
	v_mov_b32_e32 v63, v93
	v_mov_b32_e32 v64, v94
	v_add_f64 v[123:124], v[123:124], -v[95:96]
.LBB102_755:
	s_or_b64 exec, exec, s[0:1]
	v_lshl_add_u32 v93, v92, 4, v90
	s_barrier
	ds_write2_b64 v93, v[57:58], v[59:60] offset1:1
	s_waitcnt lgkmcnt(0)
	s_barrier
	ds_read2_b64 v[117:120], v90 offset0:72 offset1:73
	s_cmp_lt_i32 s3, 38
	v_mov_b32_e32 v93, 36
	s_cbranch_scc1 .LBB102_758
; %bb.756:
	v_add_u32_e32 v94, 0x250, v90
	s_mov_b32 s0, 37
	v_mov_b32_e32 v93, 36
.LBB102_757:                            ; =>This Inner Loop Header: Depth=1
	s_waitcnt lgkmcnt(0)
	v_cmp_gt_f64_e32 vcc, 0, v[117:118]
	v_xor_b32_e32 v99, 0x80000000, v118
	ds_read2_b64 v[95:98], v94 offset1:1
	v_xor_b32_e32 v101, 0x80000000, v120
	v_add_u32_e32 v94, 16, v94
	s_waitcnt lgkmcnt(0)
	v_xor_b32_e32 v103, 0x80000000, v98
	v_cndmask_b32_e32 v100, v118, v99, vcc
	v_cmp_gt_f64_e32 vcc, 0, v[119:120]
	v_mov_b32_e32 v99, v117
	v_cndmask_b32_e32 v102, v120, v101, vcc
	v_cmp_gt_f64_e32 vcc, 0, v[95:96]
	v_mov_b32_e32 v101, v119
	v_add_f64 v[99:100], v[99:100], v[101:102]
	v_xor_b32_e32 v101, 0x80000000, v96
	v_cndmask_b32_e32 v102, v96, v101, vcc
	v_cmp_gt_f64_e32 vcc, 0, v[97:98]
	v_mov_b32_e32 v101, v95
	v_cndmask_b32_e32 v104, v98, v103, vcc
	v_mov_b32_e32 v103, v97
	v_add_f64 v[101:102], v[101:102], v[103:104]
	v_cmp_lt_f64_e32 vcc, v[99:100], v[101:102]
	v_cndmask_b32_e32 v117, v117, v95, vcc
	v_mov_b32_e32 v95, s0
	s_add_i32 s0, s0, 1
	v_cndmask_b32_e32 v118, v118, v96, vcc
	v_cndmask_b32_e32 v120, v120, v98, vcc
	;; [unrolled: 1-line block ×4, first 2 shown]
	s_cmp_lg_u32 s3, s0
	s_cbranch_scc1 .LBB102_757
.LBB102_758:
	s_waitcnt lgkmcnt(0)
	v_cmp_eq_f64_e32 vcc, 0, v[117:118]
	v_cmp_eq_f64_e64 s[0:1], 0, v[119:120]
	s_and_b64 s[0:1], vcc, s[0:1]
	s_and_saveexec_b64 s[18:19], s[0:1]
	s_xor_b64 s[0:1], exec, s[18:19]
; %bb.759:
	v_cmp_ne_u32_e32 vcc, 0, v91
	v_cndmask_b32_e32 v91, 37, v91, vcc
; %bb.760:
	s_andn2_saveexec_b64 s[0:1], s[0:1]
	s_cbranch_execz .LBB102_766
; %bb.761:
	v_cmp_ngt_f64_e64 s[18:19], |v[117:118]|, |v[119:120]|
	s_and_saveexec_b64 s[20:21], s[18:19]
	s_xor_b64 s[18:19], exec, s[20:21]
	s_cbranch_execz .LBB102_763
; %bb.762:
	v_div_scale_f64 v[94:95], s[20:21], v[119:120], v[119:120], v[117:118]
	v_rcp_f64_e32 v[96:97], v[94:95]
	v_fma_f64 v[98:99], -v[94:95], v[96:97], 1.0
	v_fma_f64 v[96:97], v[96:97], v[98:99], v[96:97]
	v_div_scale_f64 v[98:99], vcc, v[117:118], v[119:120], v[117:118]
	v_fma_f64 v[100:101], -v[94:95], v[96:97], 1.0
	v_fma_f64 v[96:97], v[96:97], v[100:101], v[96:97]
	v_mul_f64 v[100:101], v[98:99], v[96:97]
	v_fma_f64 v[94:95], -v[94:95], v[100:101], v[98:99]
	v_div_fmas_f64 v[94:95], v[94:95], v[96:97], v[100:101]
	v_div_fixup_f64 v[94:95], v[94:95], v[119:120], v[117:118]
	v_fma_f64 v[96:97], v[117:118], v[94:95], v[119:120]
	v_div_scale_f64 v[98:99], s[20:21], v[96:97], v[96:97], 1.0
	v_div_scale_f64 v[104:105], vcc, 1.0, v[96:97], 1.0
	v_rcp_f64_e32 v[100:101], v[98:99]
	v_fma_f64 v[102:103], -v[98:99], v[100:101], 1.0
	v_fma_f64 v[100:101], v[100:101], v[102:103], v[100:101]
	v_fma_f64 v[102:103], -v[98:99], v[100:101], 1.0
	v_fma_f64 v[100:101], v[100:101], v[102:103], v[100:101]
	v_mul_f64 v[102:103], v[104:105], v[100:101]
	v_fma_f64 v[98:99], -v[98:99], v[102:103], v[104:105]
	v_div_fmas_f64 v[98:99], v[98:99], v[100:101], v[102:103]
	v_div_fixup_f64 v[119:120], v[98:99], v[96:97], 1.0
	v_mul_f64 v[117:118], v[94:95], v[119:120]
	v_xor_b32_e32 v120, 0x80000000, v120
.LBB102_763:
	s_andn2_saveexec_b64 s[18:19], s[18:19]
	s_cbranch_execz .LBB102_765
; %bb.764:
	v_div_scale_f64 v[94:95], s[20:21], v[117:118], v[117:118], v[119:120]
	v_rcp_f64_e32 v[96:97], v[94:95]
	v_fma_f64 v[98:99], -v[94:95], v[96:97], 1.0
	v_fma_f64 v[96:97], v[96:97], v[98:99], v[96:97]
	v_div_scale_f64 v[98:99], vcc, v[119:120], v[117:118], v[119:120]
	v_fma_f64 v[100:101], -v[94:95], v[96:97], 1.0
	v_fma_f64 v[96:97], v[96:97], v[100:101], v[96:97]
	v_mul_f64 v[100:101], v[98:99], v[96:97]
	v_fma_f64 v[94:95], -v[94:95], v[100:101], v[98:99]
	v_div_fmas_f64 v[94:95], v[94:95], v[96:97], v[100:101]
	v_div_fixup_f64 v[94:95], v[94:95], v[117:118], v[119:120]
	v_fma_f64 v[96:97], v[119:120], v[94:95], v[117:118]
	v_div_scale_f64 v[98:99], s[20:21], v[96:97], v[96:97], 1.0
	v_div_scale_f64 v[104:105], vcc, 1.0, v[96:97], 1.0
	v_rcp_f64_e32 v[100:101], v[98:99]
	v_fma_f64 v[102:103], -v[98:99], v[100:101], 1.0
	v_fma_f64 v[100:101], v[100:101], v[102:103], v[100:101]
	v_fma_f64 v[102:103], -v[98:99], v[100:101], 1.0
	v_fma_f64 v[100:101], v[100:101], v[102:103], v[100:101]
	v_mul_f64 v[102:103], v[104:105], v[100:101]
	v_fma_f64 v[98:99], -v[98:99], v[102:103], v[104:105]
	v_div_fmas_f64 v[98:99], v[98:99], v[100:101], v[102:103]
	v_div_fixup_f64 v[117:118], v[98:99], v[96:97], 1.0
	v_mul_f64 v[119:120], v[94:95], -v[117:118]
.LBB102_765:
	s_or_b64 exec, exec, s[18:19]
.LBB102_766:
	s_or_b64 exec, exec, s[0:1]
	v_cmp_ne_u32_e32 vcc, v92, v93
	s_and_saveexec_b64 s[0:1], vcc
	s_xor_b64 s[0:1], exec, s[0:1]
	s_cbranch_execz .LBB102_772
; %bb.767:
	v_cmp_eq_u32_e32 vcc, 36, v92
	s_and_saveexec_b64 s[18:19], vcc
	s_cbranch_execz .LBB102_771
; %bb.768:
	v_cmp_ne_u32_e32 vcc, 36, v93
	s_xor_b64 s[20:21], s[6:7], -1
	s_and_b64 s[22:23], s[20:21], vcc
	s_and_saveexec_b64 s[20:21], s[22:23]
	s_cbranch_execz .LBB102_770
; %bb.769:
	buffer_load_dword v81, off, s[24:27], 0 offset:416 ; 4-byte Folded Reload
	buffer_load_dword v82, off, s[24:27], 0 offset:420 ; 4-byte Folded Reload
	v_ashrrev_i32_e32 v94, 31, v93
	v_lshlrev_b64 v[94:95], 2, v[93:94]
	s_waitcnt vmcnt(1)
	v_add_co_u32_e32 v94, vcc, v81, v94
	s_waitcnt vmcnt(0)
	v_addc_co_u32_e32 v95, vcc, v82, v95, vcc
	global_load_dword v0, v[94:95], off
	global_load_dword v92, v[81:82], off offset:144
	s_waitcnt vmcnt(1)
	global_store_dword v[81:82], v0, off offset:144
	s_waitcnt vmcnt(1)
	global_store_dword v[94:95], v92, off
.LBB102_770:
	s_or_b64 exec, exec, s[20:21]
	v_mov_b32_e32 v92, v93
	v_mov_b32_e32 v0, v93
.LBB102_771:
	s_or_b64 exec, exec, s[18:19]
.LBB102_772:
	s_andn2_saveexec_b64 s[0:1], s[0:1]
	s_cbranch_execz .LBB102_774
; %bb.773:
	v_mov_b32_e32 v92, 36
	ds_write2_b64 v90, v[53:54], v[55:56] offset0:74 offset1:75
	ds_write2_b64 v90, v[49:50], v[51:52] offset0:76 offset1:77
	;; [unrolled: 1-line block ×15, first 2 shown]
.LBB102_774:
	s_or_b64 exec, exec, s[0:1]
	v_cmp_lt_i32_e32 vcc, 36, v92
	s_waitcnt vmcnt(0) lgkmcnt(0)
	s_barrier
	s_and_saveexec_b64 s[0:1], vcc
	s_cbranch_execz .LBB102_776
; %bb.775:
	v_mul_f64 v[93:94], v[117:118], v[59:60]
	v_mul_f64 v[59:60], v[119:120], v[59:60]
	ds_read2_b64 v[95:98], v90 offset0:74 offset1:75
	v_fma_f64 v[93:94], v[119:120], v[57:58], v[93:94]
	v_fma_f64 v[57:58], v[117:118], v[57:58], -v[59:60]
	s_waitcnt lgkmcnt(0)
	v_mul_f64 v[59:60], v[97:98], v[93:94]
	v_fma_f64 v[59:60], v[95:96], v[57:58], -v[59:60]
	v_mul_f64 v[95:96], v[95:96], v[93:94]
	v_add_f64 v[53:54], v[53:54], -v[59:60]
	v_fma_f64 v[95:96], v[97:98], v[57:58], v[95:96]
	v_add_f64 v[55:56], v[55:56], -v[95:96]
	ds_read2_b64 v[95:98], v90 offset0:76 offset1:77
	s_waitcnt lgkmcnt(0)
	v_mul_f64 v[59:60], v[97:98], v[93:94]
	v_fma_f64 v[59:60], v[95:96], v[57:58], -v[59:60]
	v_mul_f64 v[95:96], v[95:96], v[93:94]
	v_add_f64 v[49:50], v[49:50], -v[59:60]
	v_fma_f64 v[95:96], v[97:98], v[57:58], v[95:96]
	v_add_f64 v[51:52], v[51:52], -v[95:96]
	ds_read2_b64 v[95:98], v90 offset0:78 offset1:79
	;; [unrolled: 8-line block ×14, first 2 shown]
	s_waitcnt lgkmcnt(0)
	v_mul_f64 v[59:60], v[97:98], v[93:94]
	v_fma_f64 v[59:60], v[95:96], v[57:58], -v[59:60]
	v_mul_f64 v[95:96], v[95:96], v[93:94]
	v_add_f64 v[121:122], v[121:122], -v[59:60]
	v_fma_f64 v[95:96], v[97:98], v[57:58], v[95:96]
	v_mov_b32_e32 v59, v93
	v_mov_b32_e32 v60, v94
	v_add_f64 v[123:124], v[123:124], -v[95:96]
.LBB102_776:
	s_or_b64 exec, exec, s[0:1]
	v_lshl_add_u32 v93, v92, 4, v90
	s_barrier
	ds_write2_b64 v93, v[53:54], v[55:56] offset1:1
	s_waitcnt lgkmcnt(0)
	s_barrier
	ds_read2_b64 v[117:120], v90 offset0:74 offset1:75
	s_cmp_lt_i32 s3, 39
	v_mov_b32_e32 v93, 37
	s_cbranch_scc1 .LBB102_779
; %bb.777:
	v_add_u32_e32 v94, 0x260, v90
	s_mov_b32 s0, 38
	v_mov_b32_e32 v93, 37
.LBB102_778:                            ; =>This Inner Loop Header: Depth=1
	s_waitcnt lgkmcnt(0)
	v_cmp_gt_f64_e32 vcc, 0, v[117:118]
	v_xor_b32_e32 v99, 0x80000000, v118
	ds_read2_b64 v[95:98], v94 offset1:1
	v_xor_b32_e32 v101, 0x80000000, v120
	v_add_u32_e32 v94, 16, v94
	s_waitcnt lgkmcnt(0)
	v_xor_b32_e32 v103, 0x80000000, v98
	v_cndmask_b32_e32 v100, v118, v99, vcc
	v_cmp_gt_f64_e32 vcc, 0, v[119:120]
	v_mov_b32_e32 v99, v117
	v_cndmask_b32_e32 v102, v120, v101, vcc
	v_cmp_gt_f64_e32 vcc, 0, v[95:96]
	v_mov_b32_e32 v101, v119
	v_add_f64 v[99:100], v[99:100], v[101:102]
	v_xor_b32_e32 v101, 0x80000000, v96
	v_cndmask_b32_e32 v102, v96, v101, vcc
	v_cmp_gt_f64_e32 vcc, 0, v[97:98]
	v_mov_b32_e32 v101, v95
	v_cndmask_b32_e32 v104, v98, v103, vcc
	v_mov_b32_e32 v103, v97
	v_add_f64 v[101:102], v[101:102], v[103:104]
	v_cmp_lt_f64_e32 vcc, v[99:100], v[101:102]
	v_cndmask_b32_e32 v117, v117, v95, vcc
	v_mov_b32_e32 v95, s0
	s_add_i32 s0, s0, 1
	v_cndmask_b32_e32 v118, v118, v96, vcc
	v_cndmask_b32_e32 v120, v120, v98, vcc
	;; [unrolled: 1-line block ×4, first 2 shown]
	s_cmp_lg_u32 s3, s0
	s_cbranch_scc1 .LBB102_778
.LBB102_779:
	s_waitcnt lgkmcnt(0)
	v_cmp_eq_f64_e32 vcc, 0, v[117:118]
	v_cmp_eq_f64_e64 s[0:1], 0, v[119:120]
	s_and_b64 s[0:1], vcc, s[0:1]
	s_and_saveexec_b64 s[18:19], s[0:1]
	s_xor_b64 s[0:1], exec, s[18:19]
; %bb.780:
	v_cmp_ne_u32_e32 vcc, 0, v91
	v_cndmask_b32_e32 v91, 38, v91, vcc
; %bb.781:
	s_andn2_saveexec_b64 s[0:1], s[0:1]
	s_cbranch_execz .LBB102_787
; %bb.782:
	v_cmp_ngt_f64_e64 s[18:19], |v[117:118]|, |v[119:120]|
	s_and_saveexec_b64 s[20:21], s[18:19]
	s_xor_b64 s[18:19], exec, s[20:21]
	s_cbranch_execz .LBB102_784
; %bb.783:
	v_div_scale_f64 v[94:95], s[20:21], v[119:120], v[119:120], v[117:118]
	v_rcp_f64_e32 v[96:97], v[94:95]
	v_fma_f64 v[98:99], -v[94:95], v[96:97], 1.0
	v_fma_f64 v[96:97], v[96:97], v[98:99], v[96:97]
	v_div_scale_f64 v[98:99], vcc, v[117:118], v[119:120], v[117:118]
	v_fma_f64 v[100:101], -v[94:95], v[96:97], 1.0
	v_fma_f64 v[96:97], v[96:97], v[100:101], v[96:97]
	v_mul_f64 v[100:101], v[98:99], v[96:97]
	v_fma_f64 v[94:95], -v[94:95], v[100:101], v[98:99]
	v_div_fmas_f64 v[94:95], v[94:95], v[96:97], v[100:101]
	v_div_fixup_f64 v[94:95], v[94:95], v[119:120], v[117:118]
	v_fma_f64 v[96:97], v[117:118], v[94:95], v[119:120]
	v_div_scale_f64 v[98:99], s[20:21], v[96:97], v[96:97], 1.0
	v_div_scale_f64 v[104:105], vcc, 1.0, v[96:97], 1.0
	v_rcp_f64_e32 v[100:101], v[98:99]
	v_fma_f64 v[102:103], -v[98:99], v[100:101], 1.0
	v_fma_f64 v[100:101], v[100:101], v[102:103], v[100:101]
	v_fma_f64 v[102:103], -v[98:99], v[100:101], 1.0
	v_fma_f64 v[100:101], v[100:101], v[102:103], v[100:101]
	v_mul_f64 v[102:103], v[104:105], v[100:101]
	v_fma_f64 v[98:99], -v[98:99], v[102:103], v[104:105]
	v_div_fmas_f64 v[98:99], v[98:99], v[100:101], v[102:103]
	v_div_fixup_f64 v[119:120], v[98:99], v[96:97], 1.0
	v_mul_f64 v[117:118], v[94:95], v[119:120]
	v_xor_b32_e32 v120, 0x80000000, v120
.LBB102_784:
	s_andn2_saveexec_b64 s[18:19], s[18:19]
	s_cbranch_execz .LBB102_786
; %bb.785:
	v_div_scale_f64 v[94:95], s[20:21], v[117:118], v[117:118], v[119:120]
	v_rcp_f64_e32 v[96:97], v[94:95]
	v_fma_f64 v[98:99], -v[94:95], v[96:97], 1.0
	v_fma_f64 v[96:97], v[96:97], v[98:99], v[96:97]
	v_div_scale_f64 v[98:99], vcc, v[119:120], v[117:118], v[119:120]
	v_fma_f64 v[100:101], -v[94:95], v[96:97], 1.0
	v_fma_f64 v[96:97], v[96:97], v[100:101], v[96:97]
	v_mul_f64 v[100:101], v[98:99], v[96:97]
	v_fma_f64 v[94:95], -v[94:95], v[100:101], v[98:99]
	v_div_fmas_f64 v[94:95], v[94:95], v[96:97], v[100:101]
	v_div_fixup_f64 v[94:95], v[94:95], v[117:118], v[119:120]
	v_fma_f64 v[96:97], v[119:120], v[94:95], v[117:118]
	v_div_scale_f64 v[98:99], s[20:21], v[96:97], v[96:97], 1.0
	v_div_scale_f64 v[104:105], vcc, 1.0, v[96:97], 1.0
	v_rcp_f64_e32 v[100:101], v[98:99]
	v_fma_f64 v[102:103], -v[98:99], v[100:101], 1.0
	v_fma_f64 v[100:101], v[100:101], v[102:103], v[100:101]
	v_fma_f64 v[102:103], -v[98:99], v[100:101], 1.0
	v_fma_f64 v[100:101], v[100:101], v[102:103], v[100:101]
	v_mul_f64 v[102:103], v[104:105], v[100:101]
	v_fma_f64 v[98:99], -v[98:99], v[102:103], v[104:105]
	v_div_fmas_f64 v[98:99], v[98:99], v[100:101], v[102:103]
	v_div_fixup_f64 v[117:118], v[98:99], v[96:97], 1.0
	v_mul_f64 v[119:120], v[94:95], -v[117:118]
.LBB102_786:
	s_or_b64 exec, exec, s[18:19]
.LBB102_787:
	s_or_b64 exec, exec, s[0:1]
	v_cmp_ne_u32_e32 vcc, v92, v93
	s_and_saveexec_b64 s[0:1], vcc
	s_xor_b64 s[0:1], exec, s[0:1]
	s_cbranch_execz .LBB102_793
; %bb.788:
	v_cmp_eq_u32_e32 vcc, 37, v92
	s_and_saveexec_b64 s[18:19], vcc
	s_cbranch_execz .LBB102_792
; %bb.789:
	v_cmp_ne_u32_e32 vcc, 37, v93
	s_xor_b64 s[20:21], s[6:7], -1
	s_and_b64 s[22:23], s[20:21], vcc
	s_and_saveexec_b64 s[20:21], s[22:23]
	s_cbranch_execz .LBB102_791
; %bb.790:
	buffer_load_dword v81, off, s[24:27], 0 offset:416 ; 4-byte Folded Reload
	buffer_load_dword v82, off, s[24:27], 0 offset:420 ; 4-byte Folded Reload
	v_ashrrev_i32_e32 v94, 31, v93
	v_lshlrev_b64 v[94:95], 2, v[93:94]
	s_waitcnt vmcnt(1)
	v_add_co_u32_e32 v94, vcc, v81, v94
	s_waitcnt vmcnt(0)
	v_addc_co_u32_e32 v95, vcc, v82, v95, vcc
	global_load_dword v0, v[94:95], off
	global_load_dword v92, v[81:82], off offset:148
	s_waitcnt vmcnt(1)
	global_store_dword v[81:82], v0, off offset:148
	s_waitcnt vmcnt(1)
	global_store_dword v[94:95], v92, off
.LBB102_791:
	s_or_b64 exec, exec, s[20:21]
	v_mov_b32_e32 v92, v93
	v_mov_b32_e32 v0, v93
.LBB102_792:
	s_or_b64 exec, exec, s[18:19]
.LBB102_793:
	s_andn2_saveexec_b64 s[0:1], s[0:1]
	s_cbranch_execz .LBB102_795
; %bb.794:
	v_mov_b32_e32 v92, 37
	ds_write2_b64 v90, v[49:50], v[51:52] offset0:76 offset1:77
	ds_write2_b64 v90, v[45:46], v[47:48] offset0:78 offset1:79
	;; [unrolled: 1-line block ×14, first 2 shown]
.LBB102_795:
	s_or_b64 exec, exec, s[0:1]
	v_cmp_lt_i32_e32 vcc, 37, v92
	s_waitcnt vmcnt(0) lgkmcnt(0)
	s_barrier
	s_and_saveexec_b64 s[0:1], vcc
	s_cbranch_execz .LBB102_797
; %bb.796:
	v_mul_f64 v[93:94], v[117:118], v[55:56]
	v_mul_f64 v[55:56], v[119:120], v[55:56]
	ds_read2_b64 v[95:98], v90 offset0:76 offset1:77
	v_fma_f64 v[93:94], v[119:120], v[53:54], v[93:94]
	v_fma_f64 v[53:54], v[117:118], v[53:54], -v[55:56]
	s_waitcnt lgkmcnt(0)
	v_mul_f64 v[55:56], v[97:98], v[93:94]
	v_fma_f64 v[55:56], v[95:96], v[53:54], -v[55:56]
	v_mul_f64 v[95:96], v[95:96], v[93:94]
	v_add_f64 v[49:50], v[49:50], -v[55:56]
	v_fma_f64 v[95:96], v[97:98], v[53:54], v[95:96]
	v_add_f64 v[51:52], v[51:52], -v[95:96]
	ds_read2_b64 v[95:98], v90 offset0:78 offset1:79
	s_waitcnt lgkmcnt(0)
	v_mul_f64 v[55:56], v[97:98], v[93:94]
	v_fma_f64 v[55:56], v[95:96], v[53:54], -v[55:56]
	v_mul_f64 v[95:96], v[95:96], v[93:94]
	v_add_f64 v[45:46], v[45:46], -v[55:56]
	v_fma_f64 v[95:96], v[97:98], v[53:54], v[95:96]
	v_add_f64 v[47:48], v[47:48], -v[95:96]
	ds_read2_b64 v[95:98], v90 offset0:80 offset1:81
	;; [unrolled: 8-line block ×13, first 2 shown]
	s_waitcnt lgkmcnt(0)
	v_mul_f64 v[55:56], v[97:98], v[93:94]
	v_fma_f64 v[55:56], v[95:96], v[53:54], -v[55:56]
	v_mul_f64 v[95:96], v[95:96], v[93:94]
	v_add_f64 v[121:122], v[121:122], -v[55:56]
	v_fma_f64 v[95:96], v[97:98], v[53:54], v[95:96]
	v_mov_b32_e32 v55, v93
	v_mov_b32_e32 v56, v94
	v_add_f64 v[123:124], v[123:124], -v[95:96]
.LBB102_797:
	s_or_b64 exec, exec, s[0:1]
	v_lshl_add_u32 v93, v92, 4, v90
	s_barrier
	ds_write2_b64 v93, v[49:50], v[51:52] offset1:1
	s_waitcnt lgkmcnt(0)
	s_barrier
	ds_read2_b64 v[117:120], v90 offset0:76 offset1:77
	s_cmp_lt_i32 s3, 40
	v_mov_b32_e32 v93, 38
	s_cbranch_scc1 .LBB102_800
; %bb.798:
	v_add_u32_e32 v94, 0x270, v90
	s_mov_b32 s0, 39
	v_mov_b32_e32 v93, 38
.LBB102_799:                            ; =>This Inner Loop Header: Depth=1
	s_waitcnt lgkmcnt(0)
	v_cmp_gt_f64_e32 vcc, 0, v[117:118]
	v_xor_b32_e32 v99, 0x80000000, v118
	ds_read2_b64 v[95:98], v94 offset1:1
	v_xor_b32_e32 v101, 0x80000000, v120
	v_add_u32_e32 v94, 16, v94
	s_waitcnt lgkmcnt(0)
	v_xor_b32_e32 v103, 0x80000000, v98
	v_cndmask_b32_e32 v100, v118, v99, vcc
	v_cmp_gt_f64_e32 vcc, 0, v[119:120]
	v_mov_b32_e32 v99, v117
	v_cndmask_b32_e32 v102, v120, v101, vcc
	v_cmp_gt_f64_e32 vcc, 0, v[95:96]
	v_mov_b32_e32 v101, v119
	v_add_f64 v[99:100], v[99:100], v[101:102]
	v_xor_b32_e32 v101, 0x80000000, v96
	v_cndmask_b32_e32 v102, v96, v101, vcc
	v_cmp_gt_f64_e32 vcc, 0, v[97:98]
	v_mov_b32_e32 v101, v95
	v_cndmask_b32_e32 v104, v98, v103, vcc
	v_mov_b32_e32 v103, v97
	v_add_f64 v[101:102], v[101:102], v[103:104]
	v_cmp_lt_f64_e32 vcc, v[99:100], v[101:102]
	v_cndmask_b32_e32 v117, v117, v95, vcc
	v_mov_b32_e32 v95, s0
	s_add_i32 s0, s0, 1
	v_cndmask_b32_e32 v118, v118, v96, vcc
	v_cndmask_b32_e32 v120, v120, v98, vcc
	v_cndmask_b32_e32 v119, v119, v97, vcc
	v_cndmask_b32_e32 v93, v93, v95, vcc
	s_cmp_lg_u32 s3, s0
	s_cbranch_scc1 .LBB102_799
.LBB102_800:
	s_waitcnt lgkmcnt(0)
	v_cmp_eq_f64_e32 vcc, 0, v[117:118]
	v_cmp_eq_f64_e64 s[0:1], 0, v[119:120]
	s_and_b64 s[0:1], vcc, s[0:1]
	s_and_saveexec_b64 s[18:19], s[0:1]
	s_xor_b64 s[0:1], exec, s[18:19]
; %bb.801:
	v_cmp_ne_u32_e32 vcc, 0, v91
	v_cndmask_b32_e32 v91, 39, v91, vcc
; %bb.802:
	s_andn2_saveexec_b64 s[0:1], s[0:1]
	s_cbranch_execz .LBB102_808
; %bb.803:
	v_cmp_ngt_f64_e64 s[18:19], |v[117:118]|, |v[119:120]|
	s_and_saveexec_b64 s[20:21], s[18:19]
	s_xor_b64 s[18:19], exec, s[20:21]
	s_cbranch_execz .LBB102_805
; %bb.804:
	v_div_scale_f64 v[94:95], s[20:21], v[119:120], v[119:120], v[117:118]
	v_rcp_f64_e32 v[96:97], v[94:95]
	v_fma_f64 v[98:99], -v[94:95], v[96:97], 1.0
	v_fma_f64 v[96:97], v[96:97], v[98:99], v[96:97]
	v_div_scale_f64 v[98:99], vcc, v[117:118], v[119:120], v[117:118]
	v_fma_f64 v[100:101], -v[94:95], v[96:97], 1.0
	v_fma_f64 v[96:97], v[96:97], v[100:101], v[96:97]
	v_mul_f64 v[100:101], v[98:99], v[96:97]
	v_fma_f64 v[94:95], -v[94:95], v[100:101], v[98:99]
	v_div_fmas_f64 v[94:95], v[94:95], v[96:97], v[100:101]
	v_div_fixup_f64 v[94:95], v[94:95], v[119:120], v[117:118]
	v_fma_f64 v[96:97], v[117:118], v[94:95], v[119:120]
	v_div_scale_f64 v[98:99], s[20:21], v[96:97], v[96:97], 1.0
	v_div_scale_f64 v[104:105], vcc, 1.0, v[96:97], 1.0
	v_rcp_f64_e32 v[100:101], v[98:99]
	v_fma_f64 v[102:103], -v[98:99], v[100:101], 1.0
	v_fma_f64 v[100:101], v[100:101], v[102:103], v[100:101]
	v_fma_f64 v[102:103], -v[98:99], v[100:101], 1.0
	v_fma_f64 v[100:101], v[100:101], v[102:103], v[100:101]
	v_mul_f64 v[102:103], v[104:105], v[100:101]
	v_fma_f64 v[98:99], -v[98:99], v[102:103], v[104:105]
	v_div_fmas_f64 v[98:99], v[98:99], v[100:101], v[102:103]
	v_div_fixup_f64 v[119:120], v[98:99], v[96:97], 1.0
	v_mul_f64 v[117:118], v[94:95], v[119:120]
	v_xor_b32_e32 v120, 0x80000000, v120
.LBB102_805:
	s_andn2_saveexec_b64 s[18:19], s[18:19]
	s_cbranch_execz .LBB102_807
; %bb.806:
	v_div_scale_f64 v[94:95], s[20:21], v[117:118], v[117:118], v[119:120]
	v_rcp_f64_e32 v[96:97], v[94:95]
	v_fma_f64 v[98:99], -v[94:95], v[96:97], 1.0
	v_fma_f64 v[96:97], v[96:97], v[98:99], v[96:97]
	v_div_scale_f64 v[98:99], vcc, v[119:120], v[117:118], v[119:120]
	v_fma_f64 v[100:101], -v[94:95], v[96:97], 1.0
	v_fma_f64 v[96:97], v[96:97], v[100:101], v[96:97]
	v_mul_f64 v[100:101], v[98:99], v[96:97]
	v_fma_f64 v[94:95], -v[94:95], v[100:101], v[98:99]
	v_div_fmas_f64 v[94:95], v[94:95], v[96:97], v[100:101]
	v_div_fixup_f64 v[94:95], v[94:95], v[117:118], v[119:120]
	v_fma_f64 v[96:97], v[119:120], v[94:95], v[117:118]
	v_div_scale_f64 v[98:99], s[20:21], v[96:97], v[96:97], 1.0
	v_div_scale_f64 v[104:105], vcc, 1.0, v[96:97], 1.0
	v_rcp_f64_e32 v[100:101], v[98:99]
	v_fma_f64 v[102:103], -v[98:99], v[100:101], 1.0
	v_fma_f64 v[100:101], v[100:101], v[102:103], v[100:101]
	v_fma_f64 v[102:103], -v[98:99], v[100:101], 1.0
	v_fma_f64 v[100:101], v[100:101], v[102:103], v[100:101]
	v_mul_f64 v[102:103], v[104:105], v[100:101]
	v_fma_f64 v[98:99], -v[98:99], v[102:103], v[104:105]
	v_div_fmas_f64 v[98:99], v[98:99], v[100:101], v[102:103]
	v_div_fixup_f64 v[117:118], v[98:99], v[96:97], 1.0
	v_mul_f64 v[119:120], v[94:95], -v[117:118]
.LBB102_807:
	s_or_b64 exec, exec, s[18:19]
.LBB102_808:
	s_or_b64 exec, exec, s[0:1]
	v_cmp_ne_u32_e32 vcc, v92, v93
	s_and_saveexec_b64 s[0:1], vcc
	s_xor_b64 s[0:1], exec, s[0:1]
	s_cbranch_execz .LBB102_814
; %bb.809:
	v_cmp_eq_u32_e32 vcc, 38, v92
	s_and_saveexec_b64 s[18:19], vcc
	s_cbranch_execz .LBB102_813
; %bb.810:
	v_cmp_ne_u32_e32 vcc, 38, v93
	s_xor_b64 s[20:21], s[6:7], -1
	s_and_b64 s[22:23], s[20:21], vcc
	s_and_saveexec_b64 s[20:21], s[22:23]
	s_cbranch_execz .LBB102_812
; %bb.811:
	buffer_load_dword v81, off, s[24:27], 0 offset:416 ; 4-byte Folded Reload
	buffer_load_dword v82, off, s[24:27], 0 offset:420 ; 4-byte Folded Reload
	v_ashrrev_i32_e32 v94, 31, v93
	v_lshlrev_b64 v[94:95], 2, v[93:94]
	s_waitcnt vmcnt(1)
	v_add_co_u32_e32 v94, vcc, v81, v94
	s_waitcnt vmcnt(0)
	v_addc_co_u32_e32 v95, vcc, v82, v95, vcc
	global_load_dword v0, v[94:95], off
	global_load_dword v92, v[81:82], off offset:152
	s_waitcnt vmcnt(1)
	global_store_dword v[81:82], v0, off offset:152
	s_waitcnt vmcnt(1)
	global_store_dword v[94:95], v92, off
.LBB102_812:
	s_or_b64 exec, exec, s[20:21]
	v_mov_b32_e32 v92, v93
	v_mov_b32_e32 v0, v93
.LBB102_813:
	s_or_b64 exec, exec, s[18:19]
.LBB102_814:
	s_andn2_saveexec_b64 s[0:1], s[0:1]
	s_cbranch_execz .LBB102_816
; %bb.815:
	v_mov_b32_e32 v92, 38
	ds_write2_b64 v90, v[45:46], v[47:48] offset0:78 offset1:79
	ds_write2_b64 v90, v[41:42], v[43:44] offset0:80 offset1:81
	;; [unrolled: 1-line block ×13, first 2 shown]
.LBB102_816:
	s_or_b64 exec, exec, s[0:1]
	v_cmp_lt_i32_e32 vcc, 38, v92
	s_waitcnt vmcnt(0) lgkmcnt(0)
	s_barrier
	s_and_saveexec_b64 s[0:1], vcc
	s_cbranch_execz .LBB102_818
; %bb.817:
	v_mul_f64 v[93:94], v[117:118], v[51:52]
	v_mul_f64 v[51:52], v[119:120], v[51:52]
	ds_read2_b64 v[95:98], v90 offset0:78 offset1:79
	v_fma_f64 v[93:94], v[119:120], v[49:50], v[93:94]
	v_fma_f64 v[49:50], v[117:118], v[49:50], -v[51:52]
	s_waitcnt lgkmcnt(0)
	v_mul_f64 v[51:52], v[97:98], v[93:94]
	v_fma_f64 v[51:52], v[95:96], v[49:50], -v[51:52]
	v_mul_f64 v[95:96], v[95:96], v[93:94]
	v_add_f64 v[45:46], v[45:46], -v[51:52]
	v_fma_f64 v[95:96], v[97:98], v[49:50], v[95:96]
	v_add_f64 v[47:48], v[47:48], -v[95:96]
	ds_read2_b64 v[95:98], v90 offset0:80 offset1:81
	s_waitcnt lgkmcnt(0)
	v_mul_f64 v[51:52], v[97:98], v[93:94]
	v_fma_f64 v[51:52], v[95:96], v[49:50], -v[51:52]
	v_mul_f64 v[95:96], v[95:96], v[93:94]
	v_add_f64 v[41:42], v[41:42], -v[51:52]
	v_fma_f64 v[95:96], v[97:98], v[49:50], v[95:96]
	v_add_f64 v[43:44], v[43:44], -v[95:96]
	ds_read2_b64 v[95:98], v90 offset0:82 offset1:83
	;; [unrolled: 8-line block ×12, first 2 shown]
	s_waitcnt lgkmcnt(0)
	v_mul_f64 v[51:52], v[97:98], v[93:94]
	v_fma_f64 v[51:52], v[95:96], v[49:50], -v[51:52]
	v_mul_f64 v[95:96], v[95:96], v[93:94]
	v_add_f64 v[121:122], v[121:122], -v[51:52]
	v_fma_f64 v[95:96], v[97:98], v[49:50], v[95:96]
	v_mov_b32_e32 v51, v93
	v_mov_b32_e32 v52, v94
	v_add_f64 v[123:124], v[123:124], -v[95:96]
.LBB102_818:
	s_or_b64 exec, exec, s[0:1]
	v_lshl_add_u32 v93, v92, 4, v90
	s_barrier
	ds_write2_b64 v93, v[45:46], v[47:48] offset1:1
	s_waitcnt lgkmcnt(0)
	s_barrier
	ds_read2_b64 v[117:120], v90 offset0:78 offset1:79
	s_cmp_lt_i32 s3, 41
	v_mov_b32_e32 v93, 39
	s_cbranch_scc1 .LBB102_821
; %bb.819:
	v_add_u32_e32 v94, 0x280, v90
	s_mov_b32 s0, 40
	v_mov_b32_e32 v93, 39
.LBB102_820:                            ; =>This Inner Loop Header: Depth=1
	s_waitcnt lgkmcnt(0)
	v_cmp_gt_f64_e32 vcc, 0, v[117:118]
	v_xor_b32_e32 v99, 0x80000000, v118
	ds_read2_b64 v[95:98], v94 offset1:1
	v_xor_b32_e32 v101, 0x80000000, v120
	v_add_u32_e32 v94, 16, v94
	s_waitcnt lgkmcnt(0)
	v_xor_b32_e32 v103, 0x80000000, v98
	v_cndmask_b32_e32 v100, v118, v99, vcc
	v_cmp_gt_f64_e32 vcc, 0, v[119:120]
	v_mov_b32_e32 v99, v117
	v_cndmask_b32_e32 v102, v120, v101, vcc
	v_cmp_gt_f64_e32 vcc, 0, v[95:96]
	v_mov_b32_e32 v101, v119
	v_add_f64 v[99:100], v[99:100], v[101:102]
	v_xor_b32_e32 v101, 0x80000000, v96
	v_cndmask_b32_e32 v102, v96, v101, vcc
	v_cmp_gt_f64_e32 vcc, 0, v[97:98]
	v_mov_b32_e32 v101, v95
	v_cndmask_b32_e32 v104, v98, v103, vcc
	v_mov_b32_e32 v103, v97
	v_add_f64 v[101:102], v[101:102], v[103:104]
	v_cmp_lt_f64_e32 vcc, v[99:100], v[101:102]
	v_cndmask_b32_e32 v117, v117, v95, vcc
	v_mov_b32_e32 v95, s0
	s_add_i32 s0, s0, 1
	v_cndmask_b32_e32 v118, v118, v96, vcc
	v_cndmask_b32_e32 v120, v120, v98, vcc
	;; [unrolled: 1-line block ×4, first 2 shown]
	s_cmp_lg_u32 s3, s0
	s_cbranch_scc1 .LBB102_820
.LBB102_821:
	s_waitcnt lgkmcnt(0)
	v_cmp_eq_f64_e32 vcc, 0, v[117:118]
	v_cmp_eq_f64_e64 s[0:1], 0, v[119:120]
	s_and_b64 s[0:1], vcc, s[0:1]
	s_and_saveexec_b64 s[18:19], s[0:1]
	s_xor_b64 s[0:1], exec, s[18:19]
; %bb.822:
	v_cmp_ne_u32_e32 vcc, 0, v91
	v_cndmask_b32_e32 v91, 40, v91, vcc
; %bb.823:
	s_andn2_saveexec_b64 s[0:1], s[0:1]
	s_cbranch_execz .LBB102_829
; %bb.824:
	v_cmp_ngt_f64_e64 s[18:19], |v[117:118]|, |v[119:120]|
	s_and_saveexec_b64 s[20:21], s[18:19]
	s_xor_b64 s[18:19], exec, s[20:21]
	s_cbranch_execz .LBB102_826
; %bb.825:
	v_div_scale_f64 v[94:95], s[20:21], v[119:120], v[119:120], v[117:118]
	v_rcp_f64_e32 v[96:97], v[94:95]
	v_fma_f64 v[98:99], -v[94:95], v[96:97], 1.0
	v_fma_f64 v[96:97], v[96:97], v[98:99], v[96:97]
	v_div_scale_f64 v[98:99], vcc, v[117:118], v[119:120], v[117:118]
	v_fma_f64 v[100:101], -v[94:95], v[96:97], 1.0
	v_fma_f64 v[96:97], v[96:97], v[100:101], v[96:97]
	v_mul_f64 v[100:101], v[98:99], v[96:97]
	v_fma_f64 v[94:95], -v[94:95], v[100:101], v[98:99]
	v_div_fmas_f64 v[94:95], v[94:95], v[96:97], v[100:101]
	v_div_fixup_f64 v[94:95], v[94:95], v[119:120], v[117:118]
	v_fma_f64 v[96:97], v[117:118], v[94:95], v[119:120]
	v_div_scale_f64 v[98:99], s[20:21], v[96:97], v[96:97], 1.0
	v_div_scale_f64 v[104:105], vcc, 1.0, v[96:97], 1.0
	v_rcp_f64_e32 v[100:101], v[98:99]
	v_fma_f64 v[102:103], -v[98:99], v[100:101], 1.0
	v_fma_f64 v[100:101], v[100:101], v[102:103], v[100:101]
	v_fma_f64 v[102:103], -v[98:99], v[100:101], 1.0
	v_fma_f64 v[100:101], v[100:101], v[102:103], v[100:101]
	v_mul_f64 v[102:103], v[104:105], v[100:101]
	v_fma_f64 v[98:99], -v[98:99], v[102:103], v[104:105]
	v_div_fmas_f64 v[98:99], v[98:99], v[100:101], v[102:103]
	v_div_fixup_f64 v[119:120], v[98:99], v[96:97], 1.0
	v_mul_f64 v[117:118], v[94:95], v[119:120]
	v_xor_b32_e32 v120, 0x80000000, v120
.LBB102_826:
	s_andn2_saveexec_b64 s[18:19], s[18:19]
	s_cbranch_execz .LBB102_828
; %bb.827:
	v_div_scale_f64 v[94:95], s[20:21], v[117:118], v[117:118], v[119:120]
	v_rcp_f64_e32 v[96:97], v[94:95]
	v_fma_f64 v[98:99], -v[94:95], v[96:97], 1.0
	v_fma_f64 v[96:97], v[96:97], v[98:99], v[96:97]
	v_div_scale_f64 v[98:99], vcc, v[119:120], v[117:118], v[119:120]
	v_fma_f64 v[100:101], -v[94:95], v[96:97], 1.0
	v_fma_f64 v[96:97], v[96:97], v[100:101], v[96:97]
	v_mul_f64 v[100:101], v[98:99], v[96:97]
	v_fma_f64 v[94:95], -v[94:95], v[100:101], v[98:99]
	v_div_fmas_f64 v[94:95], v[94:95], v[96:97], v[100:101]
	v_div_fixup_f64 v[94:95], v[94:95], v[117:118], v[119:120]
	v_fma_f64 v[96:97], v[119:120], v[94:95], v[117:118]
	v_div_scale_f64 v[98:99], s[20:21], v[96:97], v[96:97], 1.0
	v_div_scale_f64 v[104:105], vcc, 1.0, v[96:97], 1.0
	v_rcp_f64_e32 v[100:101], v[98:99]
	v_fma_f64 v[102:103], -v[98:99], v[100:101], 1.0
	v_fma_f64 v[100:101], v[100:101], v[102:103], v[100:101]
	v_fma_f64 v[102:103], -v[98:99], v[100:101], 1.0
	v_fma_f64 v[100:101], v[100:101], v[102:103], v[100:101]
	v_mul_f64 v[102:103], v[104:105], v[100:101]
	v_fma_f64 v[98:99], -v[98:99], v[102:103], v[104:105]
	v_div_fmas_f64 v[98:99], v[98:99], v[100:101], v[102:103]
	v_div_fixup_f64 v[117:118], v[98:99], v[96:97], 1.0
	v_mul_f64 v[119:120], v[94:95], -v[117:118]
.LBB102_828:
	s_or_b64 exec, exec, s[18:19]
.LBB102_829:
	s_or_b64 exec, exec, s[0:1]
	v_cmp_ne_u32_e32 vcc, v92, v93
	s_and_saveexec_b64 s[0:1], vcc
	s_xor_b64 s[0:1], exec, s[0:1]
	s_cbranch_execz .LBB102_835
; %bb.830:
	v_cmp_eq_u32_e32 vcc, 39, v92
	s_and_saveexec_b64 s[18:19], vcc
	s_cbranch_execz .LBB102_834
; %bb.831:
	v_cmp_ne_u32_e32 vcc, 39, v93
	s_xor_b64 s[20:21], s[6:7], -1
	s_and_b64 s[22:23], s[20:21], vcc
	s_and_saveexec_b64 s[20:21], s[22:23]
	s_cbranch_execz .LBB102_833
; %bb.832:
	buffer_load_dword v81, off, s[24:27], 0 offset:416 ; 4-byte Folded Reload
	buffer_load_dword v82, off, s[24:27], 0 offset:420 ; 4-byte Folded Reload
	v_ashrrev_i32_e32 v94, 31, v93
	v_lshlrev_b64 v[94:95], 2, v[93:94]
	s_waitcnt vmcnt(1)
	v_add_co_u32_e32 v94, vcc, v81, v94
	s_waitcnt vmcnt(0)
	v_addc_co_u32_e32 v95, vcc, v82, v95, vcc
	global_load_dword v0, v[94:95], off
	global_load_dword v92, v[81:82], off offset:156
	s_waitcnt vmcnt(1)
	global_store_dword v[81:82], v0, off offset:156
	s_waitcnt vmcnt(1)
	global_store_dword v[94:95], v92, off
.LBB102_833:
	s_or_b64 exec, exec, s[20:21]
	v_mov_b32_e32 v92, v93
	v_mov_b32_e32 v0, v93
.LBB102_834:
	s_or_b64 exec, exec, s[18:19]
.LBB102_835:
	s_andn2_saveexec_b64 s[0:1], s[0:1]
	s_cbranch_execz .LBB102_837
; %bb.836:
	v_mov_b32_e32 v92, 39
	ds_write2_b64 v90, v[41:42], v[43:44] offset0:80 offset1:81
	ds_write2_b64 v90, v[37:38], v[39:40] offset0:82 offset1:83
	;; [unrolled: 1-line block ×12, first 2 shown]
.LBB102_837:
	s_or_b64 exec, exec, s[0:1]
	v_cmp_lt_i32_e32 vcc, 39, v92
	s_waitcnt vmcnt(0) lgkmcnt(0)
	s_barrier
	s_and_saveexec_b64 s[0:1], vcc
	s_cbranch_execz .LBB102_839
; %bb.838:
	v_mul_f64 v[93:94], v[117:118], v[47:48]
	v_mul_f64 v[47:48], v[119:120], v[47:48]
	ds_read2_b64 v[95:98], v90 offset0:80 offset1:81
	v_fma_f64 v[93:94], v[119:120], v[45:46], v[93:94]
	v_fma_f64 v[45:46], v[117:118], v[45:46], -v[47:48]
	s_waitcnt lgkmcnt(0)
	v_mul_f64 v[47:48], v[97:98], v[93:94]
	v_fma_f64 v[47:48], v[95:96], v[45:46], -v[47:48]
	v_mul_f64 v[95:96], v[95:96], v[93:94]
	v_add_f64 v[41:42], v[41:42], -v[47:48]
	v_fma_f64 v[95:96], v[97:98], v[45:46], v[95:96]
	v_add_f64 v[43:44], v[43:44], -v[95:96]
	ds_read2_b64 v[95:98], v90 offset0:82 offset1:83
	s_waitcnt lgkmcnt(0)
	v_mul_f64 v[47:48], v[97:98], v[93:94]
	v_fma_f64 v[47:48], v[95:96], v[45:46], -v[47:48]
	v_mul_f64 v[95:96], v[95:96], v[93:94]
	v_add_f64 v[37:38], v[37:38], -v[47:48]
	v_fma_f64 v[95:96], v[97:98], v[45:46], v[95:96]
	v_add_f64 v[39:40], v[39:40], -v[95:96]
	ds_read2_b64 v[95:98], v90 offset0:84 offset1:85
	;; [unrolled: 8-line block ×11, first 2 shown]
	s_waitcnt lgkmcnt(0)
	v_mul_f64 v[47:48], v[97:98], v[93:94]
	v_fma_f64 v[47:48], v[95:96], v[45:46], -v[47:48]
	v_mul_f64 v[95:96], v[95:96], v[93:94]
	v_add_f64 v[121:122], v[121:122], -v[47:48]
	v_fma_f64 v[95:96], v[97:98], v[45:46], v[95:96]
	v_mov_b32_e32 v47, v93
	v_mov_b32_e32 v48, v94
	v_add_f64 v[123:124], v[123:124], -v[95:96]
.LBB102_839:
	s_or_b64 exec, exec, s[0:1]
	v_lshl_add_u32 v93, v92, 4, v90
	s_barrier
	ds_write2_b64 v93, v[41:42], v[43:44] offset1:1
	s_waitcnt lgkmcnt(0)
	s_barrier
	ds_read2_b64 v[117:120], v90 offset0:80 offset1:81
	s_cmp_lt_i32 s3, 42
	v_mov_b32_e32 v93, 40
	s_cbranch_scc1 .LBB102_842
; %bb.840:
	v_add_u32_e32 v94, 0x290, v90
	s_mov_b32 s0, 41
	v_mov_b32_e32 v93, 40
.LBB102_841:                            ; =>This Inner Loop Header: Depth=1
	s_waitcnt lgkmcnt(0)
	v_cmp_gt_f64_e32 vcc, 0, v[117:118]
	v_xor_b32_e32 v99, 0x80000000, v118
	ds_read2_b64 v[95:98], v94 offset1:1
	v_xor_b32_e32 v101, 0x80000000, v120
	v_add_u32_e32 v94, 16, v94
	s_waitcnt lgkmcnt(0)
	v_xor_b32_e32 v103, 0x80000000, v98
	v_cndmask_b32_e32 v100, v118, v99, vcc
	v_cmp_gt_f64_e32 vcc, 0, v[119:120]
	v_mov_b32_e32 v99, v117
	v_cndmask_b32_e32 v102, v120, v101, vcc
	v_cmp_gt_f64_e32 vcc, 0, v[95:96]
	v_mov_b32_e32 v101, v119
	v_add_f64 v[99:100], v[99:100], v[101:102]
	v_xor_b32_e32 v101, 0x80000000, v96
	v_cndmask_b32_e32 v102, v96, v101, vcc
	v_cmp_gt_f64_e32 vcc, 0, v[97:98]
	v_mov_b32_e32 v101, v95
	v_cndmask_b32_e32 v104, v98, v103, vcc
	v_mov_b32_e32 v103, v97
	v_add_f64 v[101:102], v[101:102], v[103:104]
	v_cmp_lt_f64_e32 vcc, v[99:100], v[101:102]
	v_cndmask_b32_e32 v117, v117, v95, vcc
	v_mov_b32_e32 v95, s0
	s_add_i32 s0, s0, 1
	v_cndmask_b32_e32 v118, v118, v96, vcc
	v_cndmask_b32_e32 v120, v120, v98, vcc
	;; [unrolled: 1-line block ×4, first 2 shown]
	s_cmp_lg_u32 s3, s0
	s_cbranch_scc1 .LBB102_841
.LBB102_842:
	s_waitcnt lgkmcnt(0)
	v_cmp_eq_f64_e32 vcc, 0, v[117:118]
	v_cmp_eq_f64_e64 s[0:1], 0, v[119:120]
	s_and_b64 s[0:1], vcc, s[0:1]
	s_and_saveexec_b64 s[18:19], s[0:1]
	s_xor_b64 s[0:1], exec, s[18:19]
; %bb.843:
	v_cmp_ne_u32_e32 vcc, 0, v91
	v_cndmask_b32_e32 v91, 41, v91, vcc
; %bb.844:
	s_andn2_saveexec_b64 s[0:1], s[0:1]
	s_cbranch_execz .LBB102_850
; %bb.845:
	v_cmp_ngt_f64_e64 s[18:19], |v[117:118]|, |v[119:120]|
	s_and_saveexec_b64 s[20:21], s[18:19]
	s_xor_b64 s[18:19], exec, s[20:21]
	s_cbranch_execz .LBB102_847
; %bb.846:
	v_div_scale_f64 v[94:95], s[20:21], v[119:120], v[119:120], v[117:118]
	v_rcp_f64_e32 v[96:97], v[94:95]
	v_fma_f64 v[98:99], -v[94:95], v[96:97], 1.0
	v_fma_f64 v[96:97], v[96:97], v[98:99], v[96:97]
	v_div_scale_f64 v[98:99], vcc, v[117:118], v[119:120], v[117:118]
	v_fma_f64 v[100:101], -v[94:95], v[96:97], 1.0
	v_fma_f64 v[96:97], v[96:97], v[100:101], v[96:97]
	v_mul_f64 v[100:101], v[98:99], v[96:97]
	v_fma_f64 v[94:95], -v[94:95], v[100:101], v[98:99]
	v_div_fmas_f64 v[94:95], v[94:95], v[96:97], v[100:101]
	v_div_fixup_f64 v[94:95], v[94:95], v[119:120], v[117:118]
	v_fma_f64 v[96:97], v[117:118], v[94:95], v[119:120]
	v_div_scale_f64 v[98:99], s[20:21], v[96:97], v[96:97], 1.0
	v_div_scale_f64 v[104:105], vcc, 1.0, v[96:97], 1.0
	v_rcp_f64_e32 v[100:101], v[98:99]
	v_fma_f64 v[102:103], -v[98:99], v[100:101], 1.0
	v_fma_f64 v[100:101], v[100:101], v[102:103], v[100:101]
	v_fma_f64 v[102:103], -v[98:99], v[100:101], 1.0
	v_fma_f64 v[100:101], v[100:101], v[102:103], v[100:101]
	v_mul_f64 v[102:103], v[104:105], v[100:101]
	v_fma_f64 v[98:99], -v[98:99], v[102:103], v[104:105]
	v_div_fmas_f64 v[98:99], v[98:99], v[100:101], v[102:103]
	v_div_fixup_f64 v[119:120], v[98:99], v[96:97], 1.0
	v_mul_f64 v[117:118], v[94:95], v[119:120]
	v_xor_b32_e32 v120, 0x80000000, v120
.LBB102_847:
	s_andn2_saveexec_b64 s[18:19], s[18:19]
	s_cbranch_execz .LBB102_849
; %bb.848:
	v_div_scale_f64 v[94:95], s[20:21], v[117:118], v[117:118], v[119:120]
	v_rcp_f64_e32 v[96:97], v[94:95]
	v_fma_f64 v[98:99], -v[94:95], v[96:97], 1.0
	v_fma_f64 v[96:97], v[96:97], v[98:99], v[96:97]
	v_div_scale_f64 v[98:99], vcc, v[119:120], v[117:118], v[119:120]
	v_fma_f64 v[100:101], -v[94:95], v[96:97], 1.0
	v_fma_f64 v[96:97], v[96:97], v[100:101], v[96:97]
	v_mul_f64 v[100:101], v[98:99], v[96:97]
	v_fma_f64 v[94:95], -v[94:95], v[100:101], v[98:99]
	v_div_fmas_f64 v[94:95], v[94:95], v[96:97], v[100:101]
	v_div_fixup_f64 v[94:95], v[94:95], v[117:118], v[119:120]
	v_fma_f64 v[96:97], v[119:120], v[94:95], v[117:118]
	v_div_scale_f64 v[98:99], s[20:21], v[96:97], v[96:97], 1.0
	v_div_scale_f64 v[104:105], vcc, 1.0, v[96:97], 1.0
	v_rcp_f64_e32 v[100:101], v[98:99]
	v_fma_f64 v[102:103], -v[98:99], v[100:101], 1.0
	v_fma_f64 v[100:101], v[100:101], v[102:103], v[100:101]
	v_fma_f64 v[102:103], -v[98:99], v[100:101], 1.0
	v_fma_f64 v[100:101], v[100:101], v[102:103], v[100:101]
	v_mul_f64 v[102:103], v[104:105], v[100:101]
	v_fma_f64 v[98:99], -v[98:99], v[102:103], v[104:105]
	v_div_fmas_f64 v[98:99], v[98:99], v[100:101], v[102:103]
	v_div_fixup_f64 v[117:118], v[98:99], v[96:97], 1.0
	v_mul_f64 v[119:120], v[94:95], -v[117:118]
.LBB102_849:
	s_or_b64 exec, exec, s[18:19]
.LBB102_850:
	s_or_b64 exec, exec, s[0:1]
	v_cmp_ne_u32_e32 vcc, v92, v93
	s_and_saveexec_b64 s[0:1], vcc
	s_xor_b64 s[0:1], exec, s[0:1]
	s_cbranch_execz .LBB102_856
; %bb.851:
	v_cmp_eq_u32_e32 vcc, 40, v92
	s_and_saveexec_b64 s[18:19], vcc
	s_cbranch_execz .LBB102_855
; %bb.852:
	v_cmp_ne_u32_e32 vcc, 40, v93
	s_xor_b64 s[20:21], s[6:7], -1
	s_and_b64 s[22:23], s[20:21], vcc
	s_and_saveexec_b64 s[20:21], s[22:23]
	s_cbranch_execz .LBB102_854
; %bb.853:
	buffer_load_dword v81, off, s[24:27], 0 offset:416 ; 4-byte Folded Reload
	buffer_load_dword v82, off, s[24:27], 0 offset:420 ; 4-byte Folded Reload
	v_ashrrev_i32_e32 v94, 31, v93
	v_lshlrev_b64 v[94:95], 2, v[93:94]
	s_waitcnt vmcnt(1)
	v_add_co_u32_e32 v94, vcc, v81, v94
	s_waitcnt vmcnt(0)
	v_addc_co_u32_e32 v95, vcc, v82, v95, vcc
	global_load_dword v0, v[94:95], off
	global_load_dword v92, v[81:82], off offset:160
	s_waitcnt vmcnt(1)
	global_store_dword v[81:82], v0, off offset:160
	s_waitcnt vmcnt(1)
	global_store_dword v[94:95], v92, off
.LBB102_854:
	s_or_b64 exec, exec, s[20:21]
	v_mov_b32_e32 v92, v93
	v_mov_b32_e32 v0, v93
.LBB102_855:
	s_or_b64 exec, exec, s[18:19]
.LBB102_856:
	s_andn2_saveexec_b64 s[0:1], s[0:1]
	s_cbranch_execz .LBB102_858
; %bb.857:
	v_mov_b32_e32 v92, 40
	ds_write2_b64 v90, v[37:38], v[39:40] offset0:82 offset1:83
	ds_write2_b64 v90, v[33:34], v[35:36] offset0:84 offset1:85
	;; [unrolled: 1-line block ×11, first 2 shown]
.LBB102_858:
	s_or_b64 exec, exec, s[0:1]
	v_cmp_lt_i32_e32 vcc, 40, v92
	s_waitcnt vmcnt(0) lgkmcnt(0)
	s_barrier
	s_and_saveexec_b64 s[0:1], vcc
	s_cbranch_execz .LBB102_860
; %bb.859:
	v_mul_f64 v[93:94], v[117:118], v[43:44]
	v_mul_f64 v[43:44], v[119:120], v[43:44]
	ds_read2_b64 v[95:98], v90 offset0:82 offset1:83
	v_fma_f64 v[93:94], v[119:120], v[41:42], v[93:94]
	v_fma_f64 v[41:42], v[117:118], v[41:42], -v[43:44]
	s_waitcnt lgkmcnt(0)
	v_mul_f64 v[43:44], v[97:98], v[93:94]
	v_fma_f64 v[43:44], v[95:96], v[41:42], -v[43:44]
	v_mul_f64 v[95:96], v[95:96], v[93:94]
	v_add_f64 v[37:38], v[37:38], -v[43:44]
	v_fma_f64 v[95:96], v[97:98], v[41:42], v[95:96]
	v_add_f64 v[39:40], v[39:40], -v[95:96]
	ds_read2_b64 v[95:98], v90 offset0:84 offset1:85
	s_waitcnt lgkmcnt(0)
	v_mul_f64 v[43:44], v[97:98], v[93:94]
	v_fma_f64 v[43:44], v[95:96], v[41:42], -v[43:44]
	v_mul_f64 v[95:96], v[95:96], v[93:94]
	v_add_f64 v[33:34], v[33:34], -v[43:44]
	v_fma_f64 v[95:96], v[97:98], v[41:42], v[95:96]
	v_add_f64 v[35:36], v[35:36], -v[95:96]
	ds_read2_b64 v[95:98], v90 offset0:86 offset1:87
	s_waitcnt lgkmcnt(0)
	v_mul_f64 v[43:44], v[97:98], v[93:94]
	v_fma_f64 v[43:44], v[95:96], v[41:42], -v[43:44]
	v_mul_f64 v[95:96], v[95:96], v[93:94]
	v_add_f64 v[29:30], v[29:30], -v[43:44]
	v_fma_f64 v[95:96], v[97:98], v[41:42], v[95:96]
	v_add_f64 v[31:32], v[31:32], -v[95:96]
	ds_read2_b64 v[95:98], v90 offset0:88 offset1:89
	s_waitcnt lgkmcnt(0)
	v_mul_f64 v[43:44], v[97:98], v[93:94]
	v_fma_f64 v[43:44], v[95:96], v[41:42], -v[43:44]
	v_mul_f64 v[95:96], v[95:96], v[93:94]
	v_add_f64 v[25:26], v[25:26], -v[43:44]
	v_fma_f64 v[95:96], v[97:98], v[41:42], v[95:96]
	v_add_f64 v[27:28], v[27:28], -v[95:96]
	ds_read2_b64 v[95:98], v90 offset0:90 offset1:91
	s_waitcnt lgkmcnt(0)
	v_mul_f64 v[43:44], v[97:98], v[93:94]
	v_fma_f64 v[43:44], v[95:96], v[41:42], -v[43:44]
	v_mul_f64 v[95:96], v[95:96], v[93:94]
	v_add_f64 v[21:22], v[21:22], -v[43:44]
	v_fma_f64 v[95:96], v[97:98], v[41:42], v[95:96]
	v_add_f64 v[23:24], v[23:24], -v[95:96]
	ds_read2_b64 v[95:98], v90 offset0:92 offset1:93
	s_waitcnt lgkmcnt(0)
	v_mul_f64 v[43:44], v[97:98], v[93:94]
	v_fma_f64 v[43:44], v[95:96], v[41:42], -v[43:44]
	v_mul_f64 v[95:96], v[95:96], v[93:94]
	v_add_f64 v[17:18], v[17:18], -v[43:44]
	v_fma_f64 v[95:96], v[97:98], v[41:42], v[95:96]
	v_add_f64 v[19:20], v[19:20], -v[95:96]
	ds_read2_b64 v[95:98], v90 offset0:94 offset1:95
	s_waitcnt lgkmcnt(0)
	v_mul_f64 v[43:44], v[97:98], v[93:94]
	v_fma_f64 v[43:44], v[95:96], v[41:42], -v[43:44]
	v_mul_f64 v[95:96], v[95:96], v[93:94]
	v_add_f64 v[13:14], v[13:14], -v[43:44]
	v_fma_f64 v[95:96], v[97:98], v[41:42], v[95:96]
	v_add_f64 v[15:16], v[15:16], -v[95:96]
	ds_read2_b64 v[95:98], v90 offset0:96 offset1:97
	s_waitcnt lgkmcnt(0)
	v_mul_f64 v[43:44], v[97:98], v[93:94]
	v_fma_f64 v[43:44], v[95:96], v[41:42], -v[43:44]
	v_mul_f64 v[95:96], v[95:96], v[93:94]
	v_add_f64 v[9:10], v[9:10], -v[43:44]
	v_fma_f64 v[95:96], v[97:98], v[41:42], v[95:96]
	v_add_f64 v[11:12], v[11:12], -v[95:96]
	ds_read2_b64 v[95:98], v90 offset0:98 offset1:99
	s_waitcnt lgkmcnt(0)
	v_mul_f64 v[43:44], v[97:98], v[93:94]
	v_fma_f64 v[43:44], v[95:96], v[41:42], -v[43:44]
	v_mul_f64 v[95:96], v[95:96], v[93:94]
	v_add_f64 v[5:6], v[5:6], -v[43:44]
	v_fma_f64 v[95:96], v[97:98], v[41:42], v[95:96]
	v_add_f64 v[7:8], v[7:8], -v[95:96]
	ds_read2_b64 v[95:98], v90 offset0:100 offset1:101
	s_waitcnt lgkmcnt(0)
	v_mul_f64 v[43:44], v[97:98], v[93:94]
	v_fma_f64 v[43:44], v[95:96], v[41:42], -v[43:44]
	v_mul_f64 v[95:96], v[95:96], v[93:94]
	v_add_f64 v[1:2], v[1:2], -v[43:44]
	v_fma_f64 v[95:96], v[97:98], v[41:42], v[95:96]
	v_add_f64 v[3:4], v[3:4], -v[95:96]
	ds_read2_b64 v[95:98], v90 offset0:102 offset1:103
	s_waitcnt lgkmcnt(0)
	v_mul_f64 v[43:44], v[97:98], v[93:94]
	v_fma_f64 v[43:44], v[95:96], v[41:42], -v[43:44]
	v_mul_f64 v[95:96], v[95:96], v[93:94]
	v_add_f64 v[121:122], v[121:122], -v[43:44]
	v_fma_f64 v[95:96], v[97:98], v[41:42], v[95:96]
	v_mov_b32_e32 v43, v93
	v_mov_b32_e32 v44, v94
	v_add_f64 v[123:124], v[123:124], -v[95:96]
.LBB102_860:
	s_or_b64 exec, exec, s[0:1]
	v_lshl_add_u32 v93, v92, 4, v90
	s_barrier
	ds_write2_b64 v93, v[37:38], v[39:40] offset1:1
	s_waitcnt lgkmcnt(0)
	s_barrier
	ds_read2_b64 v[117:120], v90 offset0:82 offset1:83
	s_cmp_lt_i32 s3, 43
	v_mov_b32_e32 v93, 41
	s_cbranch_scc1 .LBB102_863
; %bb.861:
	v_add_u32_e32 v94, 0x2a0, v90
	s_mov_b32 s0, 42
	v_mov_b32_e32 v93, 41
.LBB102_862:                            ; =>This Inner Loop Header: Depth=1
	s_waitcnt lgkmcnt(0)
	v_cmp_gt_f64_e32 vcc, 0, v[117:118]
	v_xor_b32_e32 v99, 0x80000000, v118
	ds_read2_b64 v[95:98], v94 offset1:1
	v_xor_b32_e32 v101, 0x80000000, v120
	v_add_u32_e32 v94, 16, v94
	s_waitcnt lgkmcnt(0)
	v_xor_b32_e32 v103, 0x80000000, v98
	v_cndmask_b32_e32 v100, v118, v99, vcc
	v_cmp_gt_f64_e32 vcc, 0, v[119:120]
	v_mov_b32_e32 v99, v117
	v_cndmask_b32_e32 v102, v120, v101, vcc
	v_cmp_gt_f64_e32 vcc, 0, v[95:96]
	v_mov_b32_e32 v101, v119
	v_add_f64 v[99:100], v[99:100], v[101:102]
	v_xor_b32_e32 v101, 0x80000000, v96
	v_cndmask_b32_e32 v102, v96, v101, vcc
	v_cmp_gt_f64_e32 vcc, 0, v[97:98]
	v_mov_b32_e32 v101, v95
	v_cndmask_b32_e32 v104, v98, v103, vcc
	v_mov_b32_e32 v103, v97
	v_add_f64 v[101:102], v[101:102], v[103:104]
	v_cmp_lt_f64_e32 vcc, v[99:100], v[101:102]
	v_cndmask_b32_e32 v117, v117, v95, vcc
	v_mov_b32_e32 v95, s0
	s_add_i32 s0, s0, 1
	v_cndmask_b32_e32 v118, v118, v96, vcc
	v_cndmask_b32_e32 v120, v120, v98, vcc
	;; [unrolled: 1-line block ×4, first 2 shown]
	s_cmp_lg_u32 s3, s0
	s_cbranch_scc1 .LBB102_862
.LBB102_863:
	s_waitcnt lgkmcnt(0)
	v_cmp_eq_f64_e32 vcc, 0, v[117:118]
	v_cmp_eq_f64_e64 s[0:1], 0, v[119:120]
	s_and_b64 s[0:1], vcc, s[0:1]
	s_and_saveexec_b64 s[18:19], s[0:1]
	s_xor_b64 s[0:1], exec, s[18:19]
; %bb.864:
	v_cmp_ne_u32_e32 vcc, 0, v91
	v_cndmask_b32_e32 v91, 42, v91, vcc
; %bb.865:
	s_andn2_saveexec_b64 s[0:1], s[0:1]
	s_cbranch_execz .LBB102_871
; %bb.866:
	v_cmp_ngt_f64_e64 s[18:19], |v[117:118]|, |v[119:120]|
	s_and_saveexec_b64 s[20:21], s[18:19]
	s_xor_b64 s[18:19], exec, s[20:21]
	s_cbranch_execz .LBB102_868
; %bb.867:
	v_div_scale_f64 v[94:95], s[20:21], v[119:120], v[119:120], v[117:118]
	v_rcp_f64_e32 v[96:97], v[94:95]
	v_fma_f64 v[98:99], -v[94:95], v[96:97], 1.0
	v_fma_f64 v[96:97], v[96:97], v[98:99], v[96:97]
	v_div_scale_f64 v[98:99], vcc, v[117:118], v[119:120], v[117:118]
	v_fma_f64 v[100:101], -v[94:95], v[96:97], 1.0
	v_fma_f64 v[96:97], v[96:97], v[100:101], v[96:97]
	v_mul_f64 v[100:101], v[98:99], v[96:97]
	v_fma_f64 v[94:95], -v[94:95], v[100:101], v[98:99]
	v_div_fmas_f64 v[94:95], v[94:95], v[96:97], v[100:101]
	v_div_fixup_f64 v[94:95], v[94:95], v[119:120], v[117:118]
	v_fma_f64 v[96:97], v[117:118], v[94:95], v[119:120]
	v_div_scale_f64 v[98:99], s[20:21], v[96:97], v[96:97], 1.0
	v_div_scale_f64 v[104:105], vcc, 1.0, v[96:97], 1.0
	v_rcp_f64_e32 v[100:101], v[98:99]
	v_fma_f64 v[102:103], -v[98:99], v[100:101], 1.0
	v_fma_f64 v[100:101], v[100:101], v[102:103], v[100:101]
	v_fma_f64 v[102:103], -v[98:99], v[100:101], 1.0
	v_fma_f64 v[100:101], v[100:101], v[102:103], v[100:101]
	v_mul_f64 v[102:103], v[104:105], v[100:101]
	v_fma_f64 v[98:99], -v[98:99], v[102:103], v[104:105]
	v_div_fmas_f64 v[98:99], v[98:99], v[100:101], v[102:103]
	v_div_fixup_f64 v[119:120], v[98:99], v[96:97], 1.0
	v_mul_f64 v[117:118], v[94:95], v[119:120]
	v_xor_b32_e32 v120, 0x80000000, v120
.LBB102_868:
	s_andn2_saveexec_b64 s[18:19], s[18:19]
	s_cbranch_execz .LBB102_870
; %bb.869:
	v_div_scale_f64 v[94:95], s[20:21], v[117:118], v[117:118], v[119:120]
	v_rcp_f64_e32 v[96:97], v[94:95]
	v_fma_f64 v[98:99], -v[94:95], v[96:97], 1.0
	v_fma_f64 v[96:97], v[96:97], v[98:99], v[96:97]
	v_div_scale_f64 v[98:99], vcc, v[119:120], v[117:118], v[119:120]
	v_fma_f64 v[100:101], -v[94:95], v[96:97], 1.0
	v_fma_f64 v[96:97], v[96:97], v[100:101], v[96:97]
	v_mul_f64 v[100:101], v[98:99], v[96:97]
	v_fma_f64 v[94:95], -v[94:95], v[100:101], v[98:99]
	v_div_fmas_f64 v[94:95], v[94:95], v[96:97], v[100:101]
	v_div_fixup_f64 v[94:95], v[94:95], v[117:118], v[119:120]
	v_fma_f64 v[96:97], v[119:120], v[94:95], v[117:118]
	v_div_scale_f64 v[98:99], s[20:21], v[96:97], v[96:97], 1.0
	v_div_scale_f64 v[104:105], vcc, 1.0, v[96:97], 1.0
	v_rcp_f64_e32 v[100:101], v[98:99]
	v_fma_f64 v[102:103], -v[98:99], v[100:101], 1.0
	v_fma_f64 v[100:101], v[100:101], v[102:103], v[100:101]
	v_fma_f64 v[102:103], -v[98:99], v[100:101], 1.0
	v_fma_f64 v[100:101], v[100:101], v[102:103], v[100:101]
	v_mul_f64 v[102:103], v[104:105], v[100:101]
	v_fma_f64 v[98:99], -v[98:99], v[102:103], v[104:105]
	v_div_fmas_f64 v[98:99], v[98:99], v[100:101], v[102:103]
	v_div_fixup_f64 v[117:118], v[98:99], v[96:97], 1.0
	v_mul_f64 v[119:120], v[94:95], -v[117:118]
.LBB102_870:
	s_or_b64 exec, exec, s[18:19]
.LBB102_871:
	s_or_b64 exec, exec, s[0:1]
	v_cmp_ne_u32_e32 vcc, v92, v93
	s_and_saveexec_b64 s[0:1], vcc
	s_xor_b64 s[0:1], exec, s[0:1]
	s_cbranch_execz .LBB102_877
; %bb.872:
	v_cmp_eq_u32_e32 vcc, 41, v92
	s_and_saveexec_b64 s[18:19], vcc
	s_cbranch_execz .LBB102_876
; %bb.873:
	v_cmp_ne_u32_e32 vcc, 41, v93
	s_xor_b64 s[20:21], s[6:7], -1
	s_and_b64 s[22:23], s[20:21], vcc
	s_and_saveexec_b64 s[20:21], s[22:23]
	s_cbranch_execz .LBB102_875
; %bb.874:
	buffer_load_dword v81, off, s[24:27], 0 offset:416 ; 4-byte Folded Reload
	buffer_load_dword v82, off, s[24:27], 0 offset:420 ; 4-byte Folded Reload
	v_ashrrev_i32_e32 v94, 31, v93
	v_lshlrev_b64 v[94:95], 2, v[93:94]
	s_waitcnt vmcnt(1)
	v_add_co_u32_e32 v94, vcc, v81, v94
	s_waitcnt vmcnt(0)
	v_addc_co_u32_e32 v95, vcc, v82, v95, vcc
	global_load_dword v0, v[94:95], off
	global_load_dword v92, v[81:82], off offset:164
	s_waitcnt vmcnt(1)
	global_store_dword v[81:82], v0, off offset:164
	s_waitcnt vmcnt(1)
	global_store_dword v[94:95], v92, off
.LBB102_875:
	s_or_b64 exec, exec, s[20:21]
	v_mov_b32_e32 v92, v93
	v_mov_b32_e32 v0, v93
.LBB102_876:
	s_or_b64 exec, exec, s[18:19]
.LBB102_877:
	s_andn2_saveexec_b64 s[0:1], s[0:1]
	s_cbranch_execz .LBB102_879
; %bb.878:
	v_mov_b32_e32 v92, 41
	ds_write2_b64 v90, v[33:34], v[35:36] offset0:84 offset1:85
	ds_write2_b64 v90, v[29:30], v[31:32] offset0:86 offset1:87
	;; [unrolled: 1-line block ×10, first 2 shown]
.LBB102_879:
	s_or_b64 exec, exec, s[0:1]
	v_cmp_lt_i32_e32 vcc, 41, v92
	s_waitcnt vmcnt(0) lgkmcnt(0)
	s_barrier
	s_and_saveexec_b64 s[0:1], vcc
	s_cbranch_execz .LBB102_881
; %bb.880:
	v_mul_f64 v[93:94], v[117:118], v[39:40]
	v_mul_f64 v[39:40], v[119:120], v[39:40]
	ds_read2_b64 v[95:98], v90 offset0:84 offset1:85
	v_fma_f64 v[93:94], v[119:120], v[37:38], v[93:94]
	v_fma_f64 v[37:38], v[117:118], v[37:38], -v[39:40]
	s_waitcnt lgkmcnt(0)
	v_mul_f64 v[39:40], v[97:98], v[93:94]
	v_fma_f64 v[39:40], v[95:96], v[37:38], -v[39:40]
	v_mul_f64 v[95:96], v[95:96], v[93:94]
	v_add_f64 v[33:34], v[33:34], -v[39:40]
	v_fma_f64 v[95:96], v[97:98], v[37:38], v[95:96]
	v_add_f64 v[35:36], v[35:36], -v[95:96]
	ds_read2_b64 v[95:98], v90 offset0:86 offset1:87
	s_waitcnt lgkmcnt(0)
	v_mul_f64 v[39:40], v[97:98], v[93:94]
	v_fma_f64 v[39:40], v[95:96], v[37:38], -v[39:40]
	v_mul_f64 v[95:96], v[95:96], v[93:94]
	v_add_f64 v[29:30], v[29:30], -v[39:40]
	v_fma_f64 v[95:96], v[97:98], v[37:38], v[95:96]
	v_add_f64 v[31:32], v[31:32], -v[95:96]
	ds_read2_b64 v[95:98], v90 offset0:88 offset1:89
	;; [unrolled: 8-line block ×9, first 2 shown]
	s_waitcnt lgkmcnt(0)
	v_mul_f64 v[39:40], v[97:98], v[93:94]
	v_fma_f64 v[39:40], v[95:96], v[37:38], -v[39:40]
	v_mul_f64 v[95:96], v[95:96], v[93:94]
	v_add_f64 v[121:122], v[121:122], -v[39:40]
	v_fma_f64 v[95:96], v[97:98], v[37:38], v[95:96]
	v_mov_b32_e32 v39, v93
	v_mov_b32_e32 v40, v94
	v_add_f64 v[123:124], v[123:124], -v[95:96]
.LBB102_881:
	s_or_b64 exec, exec, s[0:1]
	v_lshl_add_u32 v93, v92, 4, v90
	s_barrier
	ds_write2_b64 v93, v[33:34], v[35:36] offset1:1
	s_waitcnt lgkmcnt(0)
	s_barrier
	ds_read2_b64 v[117:120], v90 offset0:84 offset1:85
	s_cmp_lt_i32 s3, 44
	v_mov_b32_e32 v93, 42
	s_cbranch_scc1 .LBB102_884
; %bb.882:
	v_add_u32_e32 v94, 0x2b0, v90
	s_mov_b32 s0, 43
	v_mov_b32_e32 v93, 42
.LBB102_883:                            ; =>This Inner Loop Header: Depth=1
	s_waitcnt lgkmcnt(0)
	v_cmp_gt_f64_e32 vcc, 0, v[117:118]
	v_xor_b32_e32 v99, 0x80000000, v118
	ds_read2_b64 v[95:98], v94 offset1:1
	v_xor_b32_e32 v101, 0x80000000, v120
	v_add_u32_e32 v94, 16, v94
	s_waitcnt lgkmcnt(0)
	v_xor_b32_e32 v103, 0x80000000, v98
	v_cndmask_b32_e32 v100, v118, v99, vcc
	v_cmp_gt_f64_e32 vcc, 0, v[119:120]
	v_mov_b32_e32 v99, v117
	v_cndmask_b32_e32 v102, v120, v101, vcc
	v_cmp_gt_f64_e32 vcc, 0, v[95:96]
	v_mov_b32_e32 v101, v119
	v_add_f64 v[99:100], v[99:100], v[101:102]
	v_xor_b32_e32 v101, 0x80000000, v96
	v_cndmask_b32_e32 v102, v96, v101, vcc
	v_cmp_gt_f64_e32 vcc, 0, v[97:98]
	v_mov_b32_e32 v101, v95
	v_cndmask_b32_e32 v104, v98, v103, vcc
	v_mov_b32_e32 v103, v97
	v_add_f64 v[101:102], v[101:102], v[103:104]
	v_cmp_lt_f64_e32 vcc, v[99:100], v[101:102]
	v_cndmask_b32_e32 v117, v117, v95, vcc
	v_mov_b32_e32 v95, s0
	s_add_i32 s0, s0, 1
	v_cndmask_b32_e32 v118, v118, v96, vcc
	v_cndmask_b32_e32 v120, v120, v98, vcc
	;; [unrolled: 1-line block ×4, first 2 shown]
	s_cmp_lg_u32 s3, s0
	s_cbranch_scc1 .LBB102_883
.LBB102_884:
	s_waitcnt lgkmcnt(0)
	v_cmp_eq_f64_e32 vcc, 0, v[117:118]
	v_cmp_eq_f64_e64 s[0:1], 0, v[119:120]
	s_and_b64 s[0:1], vcc, s[0:1]
	s_and_saveexec_b64 s[18:19], s[0:1]
	s_xor_b64 s[0:1], exec, s[18:19]
; %bb.885:
	v_cmp_ne_u32_e32 vcc, 0, v91
	v_cndmask_b32_e32 v91, 43, v91, vcc
; %bb.886:
	s_andn2_saveexec_b64 s[0:1], s[0:1]
	s_cbranch_execz .LBB102_892
; %bb.887:
	v_cmp_ngt_f64_e64 s[18:19], |v[117:118]|, |v[119:120]|
	s_and_saveexec_b64 s[20:21], s[18:19]
	s_xor_b64 s[18:19], exec, s[20:21]
	s_cbranch_execz .LBB102_889
; %bb.888:
	v_div_scale_f64 v[94:95], s[20:21], v[119:120], v[119:120], v[117:118]
	v_rcp_f64_e32 v[96:97], v[94:95]
	v_fma_f64 v[98:99], -v[94:95], v[96:97], 1.0
	v_fma_f64 v[96:97], v[96:97], v[98:99], v[96:97]
	v_div_scale_f64 v[98:99], vcc, v[117:118], v[119:120], v[117:118]
	v_fma_f64 v[100:101], -v[94:95], v[96:97], 1.0
	v_fma_f64 v[96:97], v[96:97], v[100:101], v[96:97]
	v_mul_f64 v[100:101], v[98:99], v[96:97]
	v_fma_f64 v[94:95], -v[94:95], v[100:101], v[98:99]
	v_div_fmas_f64 v[94:95], v[94:95], v[96:97], v[100:101]
	v_div_fixup_f64 v[94:95], v[94:95], v[119:120], v[117:118]
	v_fma_f64 v[96:97], v[117:118], v[94:95], v[119:120]
	v_div_scale_f64 v[98:99], s[20:21], v[96:97], v[96:97], 1.0
	v_div_scale_f64 v[104:105], vcc, 1.0, v[96:97], 1.0
	v_rcp_f64_e32 v[100:101], v[98:99]
	v_fma_f64 v[102:103], -v[98:99], v[100:101], 1.0
	v_fma_f64 v[100:101], v[100:101], v[102:103], v[100:101]
	v_fma_f64 v[102:103], -v[98:99], v[100:101], 1.0
	v_fma_f64 v[100:101], v[100:101], v[102:103], v[100:101]
	v_mul_f64 v[102:103], v[104:105], v[100:101]
	v_fma_f64 v[98:99], -v[98:99], v[102:103], v[104:105]
	v_div_fmas_f64 v[98:99], v[98:99], v[100:101], v[102:103]
	v_div_fixup_f64 v[119:120], v[98:99], v[96:97], 1.0
	v_mul_f64 v[117:118], v[94:95], v[119:120]
	v_xor_b32_e32 v120, 0x80000000, v120
.LBB102_889:
	s_andn2_saveexec_b64 s[18:19], s[18:19]
	s_cbranch_execz .LBB102_891
; %bb.890:
	v_div_scale_f64 v[94:95], s[20:21], v[117:118], v[117:118], v[119:120]
	v_rcp_f64_e32 v[96:97], v[94:95]
	v_fma_f64 v[98:99], -v[94:95], v[96:97], 1.0
	v_fma_f64 v[96:97], v[96:97], v[98:99], v[96:97]
	v_div_scale_f64 v[98:99], vcc, v[119:120], v[117:118], v[119:120]
	v_fma_f64 v[100:101], -v[94:95], v[96:97], 1.0
	v_fma_f64 v[96:97], v[96:97], v[100:101], v[96:97]
	v_mul_f64 v[100:101], v[98:99], v[96:97]
	v_fma_f64 v[94:95], -v[94:95], v[100:101], v[98:99]
	v_div_fmas_f64 v[94:95], v[94:95], v[96:97], v[100:101]
	v_div_fixup_f64 v[94:95], v[94:95], v[117:118], v[119:120]
	v_fma_f64 v[96:97], v[119:120], v[94:95], v[117:118]
	v_div_scale_f64 v[98:99], s[20:21], v[96:97], v[96:97], 1.0
	v_div_scale_f64 v[104:105], vcc, 1.0, v[96:97], 1.0
	v_rcp_f64_e32 v[100:101], v[98:99]
	v_fma_f64 v[102:103], -v[98:99], v[100:101], 1.0
	v_fma_f64 v[100:101], v[100:101], v[102:103], v[100:101]
	v_fma_f64 v[102:103], -v[98:99], v[100:101], 1.0
	v_fma_f64 v[100:101], v[100:101], v[102:103], v[100:101]
	v_mul_f64 v[102:103], v[104:105], v[100:101]
	v_fma_f64 v[98:99], -v[98:99], v[102:103], v[104:105]
	v_div_fmas_f64 v[98:99], v[98:99], v[100:101], v[102:103]
	v_div_fixup_f64 v[117:118], v[98:99], v[96:97], 1.0
	v_mul_f64 v[119:120], v[94:95], -v[117:118]
.LBB102_891:
	s_or_b64 exec, exec, s[18:19]
.LBB102_892:
	s_or_b64 exec, exec, s[0:1]
	v_cmp_ne_u32_e32 vcc, v92, v93
	s_and_saveexec_b64 s[0:1], vcc
	s_xor_b64 s[0:1], exec, s[0:1]
	s_cbranch_execz .LBB102_898
; %bb.893:
	v_cmp_eq_u32_e32 vcc, 42, v92
	s_and_saveexec_b64 s[18:19], vcc
	s_cbranch_execz .LBB102_897
; %bb.894:
	v_cmp_ne_u32_e32 vcc, 42, v93
	s_xor_b64 s[20:21], s[6:7], -1
	s_and_b64 s[22:23], s[20:21], vcc
	s_and_saveexec_b64 s[20:21], s[22:23]
	s_cbranch_execz .LBB102_896
; %bb.895:
	buffer_load_dword v81, off, s[24:27], 0 offset:416 ; 4-byte Folded Reload
	buffer_load_dword v82, off, s[24:27], 0 offset:420 ; 4-byte Folded Reload
	v_ashrrev_i32_e32 v94, 31, v93
	v_lshlrev_b64 v[94:95], 2, v[93:94]
	s_waitcnt vmcnt(1)
	v_add_co_u32_e32 v94, vcc, v81, v94
	s_waitcnt vmcnt(0)
	v_addc_co_u32_e32 v95, vcc, v82, v95, vcc
	global_load_dword v0, v[94:95], off
	global_load_dword v92, v[81:82], off offset:168
	s_waitcnt vmcnt(1)
	global_store_dword v[81:82], v0, off offset:168
	s_waitcnt vmcnt(1)
	global_store_dword v[94:95], v92, off
.LBB102_896:
	s_or_b64 exec, exec, s[20:21]
	v_mov_b32_e32 v92, v93
	v_mov_b32_e32 v0, v93
.LBB102_897:
	s_or_b64 exec, exec, s[18:19]
.LBB102_898:
	s_andn2_saveexec_b64 s[0:1], s[0:1]
	s_cbranch_execz .LBB102_900
; %bb.899:
	v_mov_b32_e32 v92, 42
	ds_write2_b64 v90, v[29:30], v[31:32] offset0:86 offset1:87
	ds_write2_b64 v90, v[25:26], v[27:28] offset0:88 offset1:89
	;; [unrolled: 1-line block ×9, first 2 shown]
.LBB102_900:
	s_or_b64 exec, exec, s[0:1]
	v_cmp_lt_i32_e32 vcc, 42, v92
	s_waitcnt vmcnt(0) lgkmcnt(0)
	s_barrier
	s_and_saveexec_b64 s[0:1], vcc
	s_cbranch_execz .LBB102_902
; %bb.901:
	v_mul_f64 v[93:94], v[117:118], v[35:36]
	v_mul_f64 v[35:36], v[119:120], v[35:36]
	ds_read2_b64 v[95:98], v90 offset0:86 offset1:87
	v_fma_f64 v[93:94], v[119:120], v[33:34], v[93:94]
	v_fma_f64 v[33:34], v[117:118], v[33:34], -v[35:36]
	s_waitcnt lgkmcnt(0)
	v_mul_f64 v[35:36], v[97:98], v[93:94]
	v_fma_f64 v[35:36], v[95:96], v[33:34], -v[35:36]
	v_mul_f64 v[95:96], v[95:96], v[93:94]
	v_add_f64 v[29:30], v[29:30], -v[35:36]
	v_fma_f64 v[95:96], v[97:98], v[33:34], v[95:96]
	v_add_f64 v[31:32], v[31:32], -v[95:96]
	ds_read2_b64 v[95:98], v90 offset0:88 offset1:89
	s_waitcnt lgkmcnt(0)
	v_mul_f64 v[35:36], v[97:98], v[93:94]
	v_fma_f64 v[35:36], v[95:96], v[33:34], -v[35:36]
	v_mul_f64 v[95:96], v[95:96], v[93:94]
	v_add_f64 v[25:26], v[25:26], -v[35:36]
	v_fma_f64 v[95:96], v[97:98], v[33:34], v[95:96]
	v_add_f64 v[27:28], v[27:28], -v[95:96]
	ds_read2_b64 v[95:98], v90 offset0:90 offset1:91
	s_waitcnt lgkmcnt(0)
	v_mul_f64 v[35:36], v[97:98], v[93:94]
	v_fma_f64 v[35:36], v[95:96], v[33:34], -v[35:36]
	v_mul_f64 v[95:96], v[95:96], v[93:94]
	v_add_f64 v[21:22], v[21:22], -v[35:36]
	v_fma_f64 v[95:96], v[97:98], v[33:34], v[95:96]
	v_add_f64 v[23:24], v[23:24], -v[95:96]
	ds_read2_b64 v[95:98], v90 offset0:92 offset1:93
	s_waitcnt lgkmcnt(0)
	v_mul_f64 v[35:36], v[97:98], v[93:94]
	v_fma_f64 v[35:36], v[95:96], v[33:34], -v[35:36]
	v_mul_f64 v[95:96], v[95:96], v[93:94]
	v_add_f64 v[17:18], v[17:18], -v[35:36]
	v_fma_f64 v[95:96], v[97:98], v[33:34], v[95:96]
	v_add_f64 v[19:20], v[19:20], -v[95:96]
	ds_read2_b64 v[95:98], v90 offset0:94 offset1:95
	s_waitcnt lgkmcnt(0)
	v_mul_f64 v[35:36], v[97:98], v[93:94]
	v_fma_f64 v[35:36], v[95:96], v[33:34], -v[35:36]
	v_mul_f64 v[95:96], v[95:96], v[93:94]
	v_add_f64 v[13:14], v[13:14], -v[35:36]
	v_fma_f64 v[95:96], v[97:98], v[33:34], v[95:96]
	v_add_f64 v[15:16], v[15:16], -v[95:96]
	ds_read2_b64 v[95:98], v90 offset0:96 offset1:97
	s_waitcnt lgkmcnt(0)
	v_mul_f64 v[35:36], v[97:98], v[93:94]
	v_fma_f64 v[35:36], v[95:96], v[33:34], -v[35:36]
	v_mul_f64 v[95:96], v[95:96], v[93:94]
	v_add_f64 v[9:10], v[9:10], -v[35:36]
	v_fma_f64 v[95:96], v[97:98], v[33:34], v[95:96]
	v_add_f64 v[11:12], v[11:12], -v[95:96]
	ds_read2_b64 v[95:98], v90 offset0:98 offset1:99
	s_waitcnt lgkmcnt(0)
	v_mul_f64 v[35:36], v[97:98], v[93:94]
	v_fma_f64 v[35:36], v[95:96], v[33:34], -v[35:36]
	v_mul_f64 v[95:96], v[95:96], v[93:94]
	v_add_f64 v[5:6], v[5:6], -v[35:36]
	v_fma_f64 v[95:96], v[97:98], v[33:34], v[95:96]
	v_add_f64 v[7:8], v[7:8], -v[95:96]
	ds_read2_b64 v[95:98], v90 offset0:100 offset1:101
	s_waitcnt lgkmcnt(0)
	v_mul_f64 v[35:36], v[97:98], v[93:94]
	v_fma_f64 v[35:36], v[95:96], v[33:34], -v[35:36]
	v_mul_f64 v[95:96], v[95:96], v[93:94]
	v_add_f64 v[1:2], v[1:2], -v[35:36]
	v_fma_f64 v[95:96], v[97:98], v[33:34], v[95:96]
	v_add_f64 v[3:4], v[3:4], -v[95:96]
	ds_read2_b64 v[95:98], v90 offset0:102 offset1:103
	s_waitcnt lgkmcnt(0)
	v_mul_f64 v[35:36], v[97:98], v[93:94]
	v_fma_f64 v[35:36], v[95:96], v[33:34], -v[35:36]
	v_mul_f64 v[95:96], v[95:96], v[93:94]
	v_add_f64 v[121:122], v[121:122], -v[35:36]
	v_fma_f64 v[95:96], v[97:98], v[33:34], v[95:96]
	v_mov_b32_e32 v35, v93
	v_mov_b32_e32 v36, v94
	v_add_f64 v[123:124], v[123:124], -v[95:96]
.LBB102_902:
	s_or_b64 exec, exec, s[0:1]
	v_lshl_add_u32 v93, v92, 4, v90
	s_barrier
	ds_write2_b64 v93, v[29:30], v[31:32] offset1:1
	s_waitcnt lgkmcnt(0)
	s_barrier
	ds_read2_b64 v[117:120], v90 offset0:86 offset1:87
	s_cmp_lt_i32 s3, 45
	v_mov_b32_e32 v93, 43
	s_cbranch_scc1 .LBB102_905
; %bb.903:
	v_add_u32_e32 v94, 0x2c0, v90
	s_mov_b32 s0, 44
	v_mov_b32_e32 v93, 43
.LBB102_904:                            ; =>This Inner Loop Header: Depth=1
	s_waitcnt lgkmcnt(0)
	v_cmp_gt_f64_e32 vcc, 0, v[117:118]
	v_xor_b32_e32 v99, 0x80000000, v118
	ds_read2_b64 v[95:98], v94 offset1:1
	v_xor_b32_e32 v101, 0x80000000, v120
	v_add_u32_e32 v94, 16, v94
	s_waitcnt lgkmcnt(0)
	v_xor_b32_e32 v103, 0x80000000, v98
	v_cndmask_b32_e32 v100, v118, v99, vcc
	v_cmp_gt_f64_e32 vcc, 0, v[119:120]
	v_mov_b32_e32 v99, v117
	v_cndmask_b32_e32 v102, v120, v101, vcc
	v_cmp_gt_f64_e32 vcc, 0, v[95:96]
	v_mov_b32_e32 v101, v119
	v_add_f64 v[99:100], v[99:100], v[101:102]
	v_xor_b32_e32 v101, 0x80000000, v96
	v_cndmask_b32_e32 v102, v96, v101, vcc
	v_cmp_gt_f64_e32 vcc, 0, v[97:98]
	v_mov_b32_e32 v101, v95
	v_cndmask_b32_e32 v104, v98, v103, vcc
	v_mov_b32_e32 v103, v97
	v_add_f64 v[101:102], v[101:102], v[103:104]
	v_cmp_lt_f64_e32 vcc, v[99:100], v[101:102]
	v_cndmask_b32_e32 v117, v117, v95, vcc
	v_mov_b32_e32 v95, s0
	s_add_i32 s0, s0, 1
	v_cndmask_b32_e32 v118, v118, v96, vcc
	v_cndmask_b32_e32 v120, v120, v98, vcc
	;; [unrolled: 1-line block ×4, first 2 shown]
	s_cmp_lg_u32 s3, s0
	s_cbranch_scc1 .LBB102_904
.LBB102_905:
	s_waitcnt lgkmcnt(0)
	v_cmp_eq_f64_e32 vcc, 0, v[117:118]
	v_cmp_eq_f64_e64 s[0:1], 0, v[119:120]
	s_and_b64 s[0:1], vcc, s[0:1]
	s_and_saveexec_b64 s[18:19], s[0:1]
	s_xor_b64 s[0:1], exec, s[18:19]
; %bb.906:
	v_cmp_ne_u32_e32 vcc, 0, v91
	v_cndmask_b32_e32 v91, 44, v91, vcc
; %bb.907:
	s_andn2_saveexec_b64 s[0:1], s[0:1]
	s_cbranch_execz .LBB102_913
; %bb.908:
	v_cmp_ngt_f64_e64 s[18:19], |v[117:118]|, |v[119:120]|
	s_and_saveexec_b64 s[20:21], s[18:19]
	s_xor_b64 s[18:19], exec, s[20:21]
	s_cbranch_execz .LBB102_910
; %bb.909:
	v_div_scale_f64 v[94:95], s[20:21], v[119:120], v[119:120], v[117:118]
	v_rcp_f64_e32 v[96:97], v[94:95]
	v_fma_f64 v[98:99], -v[94:95], v[96:97], 1.0
	v_fma_f64 v[96:97], v[96:97], v[98:99], v[96:97]
	v_div_scale_f64 v[98:99], vcc, v[117:118], v[119:120], v[117:118]
	v_fma_f64 v[100:101], -v[94:95], v[96:97], 1.0
	v_fma_f64 v[96:97], v[96:97], v[100:101], v[96:97]
	v_mul_f64 v[100:101], v[98:99], v[96:97]
	v_fma_f64 v[94:95], -v[94:95], v[100:101], v[98:99]
	v_div_fmas_f64 v[94:95], v[94:95], v[96:97], v[100:101]
	v_div_fixup_f64 v[94:95], v[94:95], v[119:120], v[117:118]
	v_fma_f64 v[96:97], v[117:118], v[94:95], v[119:120]
	v_div_scale_f64 v[98:99], s[20:21], v[96:97], v[96:97], 1.0
	v_div_scale_f64 v[104:105], vcc, 1.0, v[96:97], 1.0
	v_rcp_f64_e32 v[100:101], v[98:99]
	v_fma_f64 v[102:103], -v[98:99], v[100:101], 1.0
	v_fma_f64 v[100:101], v[100:101], v[102:103], v[100:101]
	v_fma_f64 v[102:103], -v[98:99], v[100:101], 1.0
	v_fma_f64 v[100:101], v[100:101], v[102:103], v[100:101]
	v_mul_f64 v[102:103], v[104:105], v[100:101]
	v_fma_f64 v[98:99], -v[98:99], v[102:103], v[104:105]
	v_div_fmas_f64 v[98:99], v[98:99], v[100:101], v[102:103]
	v_div_fixup_f64 v[119:120], v[98:99], v[96:97], 1.0
	v_mul_f64 v[117:118], v[94:95], v[119:120]
	v_xor_b32_e32 v120, 0x80000000, v120
.LBB102_910:
	s_andn2_saveexec_b64 s[18:19], s[18:19]
	s_cbranch_execz .LBB102_912
; %bb.911:
	v_div_scale_f64 v[94:95], s[20:21], v[117:118], v[117:118], v[119:120]
	v_rcp_f64_e32 v[96:97], v[94:95]
	v_fma_f64 v[98:99], -v[94:95], v[96:97], 1.0
	v_fma_f64 v[96:97], v[96:97], v[98:99], v[96:97]
	v_div_scale_f64 v[98:99], vcc, v[119:120], v[117:118], v[119:120]
	v_fma_f64 v[100:101], -v[94:95], v[96:97], 1.0
	v_fma_f64 v[96:97], v[96:97], v[100:101], v[96:97]
	v_mul_f64 v[100:101], v[98:99], v[96:97]
	v_fma_f64 v[94:95], -v[94:95], v[100:101], v[98:99]
	v_div_fmas_f64 v[94:95], v[94:95], v[96:97], v[100:101]
	v_div_fixup_f64 v[94:95], v[94:95], v[117:118], v[119:120]
	v_fma_f64 v[96:97], v[119:120], v[94:95], v[117:118]
	v_div_scale_f64 v[98:99], s[20:21], v[96:97], v[96:97], 1.0
	v_div_scale_f64 v[104:105], vcc, 1.0, v[96:97], 1.0
	v_rcp_f64_e32 v[100:101], v[98:99]
	v_fma_f64 v[102:103], -v[98:99], v[100:101], 1.0
	v_fma_f64 v[100:101], v[100:101], v[102:103], v[100:101]
	v_fma_f64 v[102:103], -v[98:99], v[100:101], 1.0
	v_fma_f64 v[100:101], v[100:101], v[102:103], v[100:101]
	v_mul_f64 v[102:103], v[104:105], v[100:101]
	v_fma_f64 v[98:99], -v[98:99], v[102:103], v[104:105]
	v_div_fmas_f64 v[98:99], v[98:99], v[100:101], v[102:103]
	v_div_fixup_f64 v[117:118], v[98:99], v[96:97], 1.0
	v_mul_f64 v[119:120], v[94:95], -v[117:118]
.LBB102_912:
	s_or_b64 exec, exec, s[18:19]
.LBB102_913:
	s_or_b64 exec, exec, s[0:1]
	v_cmp_ne_u32_e32 vcc, v92, v93
	s_and_saveexec_b64 s[0:1], vcc
	s_xor_b64 s[0:1], exec, s[0:1]
	s_cbranch_execz .LBB102_919
; %bb.914:
	v_cmp_eq_u32_e32 vcc, 43, v92
	s_and_saveexec_b64 s[18:19], vcc
	s_cbranch_execz .LBB102_918
; %bb.915:
	v_cmp_ne_u32_e32 vcc, 43, v93
	s_xor_b64 s[20:21], s[6:7], -1
	s_and_b64 s[22:23], s[20:21], vcc
	s_and_saveexec_b64 s[20:21], s[22:23]
	s_cbranch_execz .LBB102_917
; %bb.916:
	buffer_load_dword v81, off, s[24:27], 0 offset:416 ; 4-byte Folded Reload
	buffer_load_dword v82, off, s[24:27], 0 offset:420 ; 4-byte Folded Reload
	v_ashrrev_i32_e32 v94, 31, v93
	v_lshlrev_b64 v[94:95], 2, v[93:94]
	s_waitcnt vmcnt(1)
	v_add_co_u32_e32 v94, vcc, v81, v94
	s_waitcnt vmcnt(0)
	v_addc_co_u32_e32 v95, vcc, v82, v95, vcc
	global_load_dword v0, v[94:95], off
	global_load_dword v92, v[81:82], off offset:172
	s_waitcnt vmcnt(1)
	global_store_dword v[81:82], v0, off offset:172
	s_waitcnt vmcnt(1)
	global_store_dword v[94:95], v92, off
.LBB102_917:
	s_or_b64 exec, exec, s[20:21]
	v_mov_b32_e32 v92, v93
	v_mov_b32_e32 v0, v93
.LBB102_918:
	s_or_b64 exec, exec, s[18:19]
.LBB102_919:
	s_andn2_saveexec_b64 s[0:1], s[0:1]
	s_cbranch_execz .LBB102_921
; %bb.920:
	v_mov_b32_e32 v92, 43
	ds_write2_b64 v90, v[25:26], v[27:28] offset0:88 offset1:89
	ds_write2_b64 v90, v[21:22], v[23:24] offset0:90 offset1:91
	;; [unrolled: 1-line block ×8, first 2 shown]
.LBB102_921:
	s_or_b64 exec, exec, s[0:1]
	v_cmp_lt_i32_e32 vcc, 43, v92
	s_waitcnt vmcnt(0) lgkmcnt(0)
	s_barrier
	s_and_saveexec_b64 s[0:1], vcc
	s_cbranch_execz .LBB102_923
; %bb.922:
	v_mul_f64 v[93:94], v[117:118], v[31:32]
	v_mul_f64 v[31:32], v[119:120], v[31:32]
	ds_read2_b64 v[95:98], v90 offset0:88 offset1:89
	v_fma_f64 v[93:94], v[119:120], v[29:30], v[93:94]
	v_fma_f64 v[29:30], v[117:118], v[29:30], -v[31:32]
	s_waitcnt lgkmcnt(0)
	v_mul_f64 v[31:32], v[97:98], v[93:94]
	v_fma_f64 v[31:32], v[95:96], v[29:30], -v[31:32]
	v_mul_f64 v[95:96], v[95:96], v[93:94]
	v_add_f64 v[25:26], v[25:26], -v[31:32]
	v_fma_f64 v[95:96], v[97:98], v[29:30], v[95:96]
	v_add_f64 v[27:28], v[27:28], -v[95:96]
	ds_read2_b64 v[95:98], v90 offset0:90 offset1:91
	s_waitcnt lgkmcnt(0)
	v_mul_f64 v[31:32], v[97:98], v[93:94]
	v_fma_f64 v[31:32], v[95:96], v[29:30], -v[31:32]
	v_mul_f64 v[95:96], v[95:96], v[93:94]
	v_add_f64 v[21:22], v[21:22], -v[31:32]
	v_fma_f64 v[95:96], v[97:98], v[29:30], v[95:96]
	v_add_f64 v[23:24], v[23:24], -v[95:96]
	ds_read2_b64 v[95:98], v90 offset0:92 offset1:93
	s_waitcnt lgkmcnt(0)
	v_mul_f64 v[31:32], v[97:98], v[93:94]
	v_fma_f64 v[31:32], v[95:96], v[29:30], -v[31:32]
	v_mul_f64 v[95:96], v[95:96], v[93:94]
	v_add_f64 v[17:18], v[17:18], -v[31:32]
	v_fma_f64 v[95:96], v[97:98], v[29:30], v[95:96]
	v_add_f64 v[19:20], v[19:20], -v[95:96]
	ds_read2_b64 v[95:98], v90 offset0:94 offset1:95
	s_waitcnt lgkmcnt(0)
	v_mul_f64 v[31:32], v[97:98], v[93:94]
	v_fma_f64 v[31:32], v[95:96], v[29:30], -v[31:32]
	v_mul_f64 v[95:96], v[95:96], v[93:94]
	v_add_f64 v[13:14], v[13:14], -v[31:32]
	v_fma_f64 v[95:96], v[97:98], v[29:30], v[95:96]
	v_add_f64 v[15:16], v[15:16], -v[95:96]
	ds_read2_b64 v[95:98], v90 offset0:96 offset1:97
	s_waitcnt lgkmcnt(0)
	v_mul_f64 v[31:32], v[97:98], v[93:94]
	v_fma_f64 v[31:32], v[95:96], v[29:30], -v[31:32]
	v_mul_f64 v[95:96], v[95:96], v[93:94]
	v_add_f64 v[9:10], v[9:10], -v[31:32]
	v_fma_f64 v[95:96], v[97:98], v[29:30], v[95:96]
	v_add_f64 v[11:12], v[11:12], -v[95:96]
	ds_read2_b64 v[95:98], v90 offset0:98 offset1:99
	s_waitcnt lgkmcnt(0)
	v_mul_f64 v[31:32], v[97:98], v[93:94]
	v_fma_f64 v[31:32], v[95:96], v[29:30], -v[31:32]
	v_mul_f64 v[95:96], v[95:96], v[93:94]
	v_add_f64 v[5:6], v[5:6], -v[31:32]
	v_fma_f64 v[95:96], v[97:98], v[29:30], v[95:96]
	v_add_f64 v[7:8], v[7:8], -v[95:96]
	ds_read2_b64 v[95:98], v90 offset0:100 offset1:101
	s_waitcnt lgkmcnt(0)
	v_mul_f64 v[31:32], v[97:98], v[93:94]
	v_fma_f64 v[31:32], v[95:96], v[29:30], -v[31:32]
	v_mul_f64 v[95:96], v[95:96], v[93:94]
	v_add_f64 v[1:2], v[1:2], -v[31:32]
	v_fma_f64 v[95:96], v[97:98], v[29:30], v[95:96]
	v_add_f64 v[3:4], v[3:4], -v[95:96]
	ds_read2_b64 v[95:98], v90 offset0:102 offset1:103
	s_waitcnt lgkmcnt(0)
	v_mul_f64 v[31:32], v[97:98], v[93:94]
	v_fma_f64 v[31:32], v[95:96], v[29:30], -v[31:32]
	v_mul_f64 v[95:96], v[95:96], v[93:94]
	v_add_f64 v[121:122], v[121:122], -v[31:32]
	v_fma_f64 v[95:96], v[97:98], v[29:30], v[95:96]
	v_mov_b32_e32 v31, v93
	v_mov_b32_e32 v32, v94
	v_add_f64 v[123:124], v[123:124], -v[95:96]
.LBB102_923:
	s_or_b64 exec, exec, s[0:1]
	v_lshl_add_u32 v93, v92, 4, v90
	s_barrier
	ds_write2_b64 v93, v[25:26], v[27:28] offset1:1
	s_waitcnt lgkmcnt(0)
	s_barrier
	ds_read2_b64 v[117:120], v90 offset0:88 offset1:89
	s_cmp_lt_i32 s3, 46
	v_mov_b32_e32 v93, 44
	s_cbranch_scc1 .LBB102_926
; %bb.924:
	v_add_u32_e32 v94, 0x2d0, v90
	s_mov_b32 s0, 45
	v_mov_b32_e32 v93, 44
.LBB102_925:                            ; =>This Inner Loop Header: Depth=1
	s_waitcnt lgkmcnt(0)
	v_cmp_gt_f64_e32 vcc, 0, v[117:118]
	v_xor_b32_e32 v99, 0x80000000, v118
	ds_read2_b64 v[95:98], v94 offset1:1
	v_xor_b32_e32 v101, 0x80000000, v120
	v_add_u32_e32 v94, 16, v94
	s_waitcnt lgkmcnt(0)
	v_xor_b32_e32 v103, 0x80000000, v98
	v_cndmask_b32_e32 v100, v118, v99, vcc
	v_cmp_gt_f64_e32 vcc, 0, v[119:120]
	v_mov_b32_e32 v99, v117
	v_cndmask_b32_e32 v102, v120, v101, vcc
	v_cmp_gt_f64_e32 vcc, 0, v[95:96]
	v_mov_b32_e32 v101, v119
	v_add_f64 v[99:100], v[99:100], v[101:102]
	v_xor_b32_e32 v101, 0x80000000, v96
	v_cndmask_b32_e32 v102, v96, v101, vcc
	v_cmp_gt_f64_e32 vcc, 0, v[97:98]
	v_mov_b32_e32 v101, v95
	v_cndmask_b32_e32 v104, v98, v103, vcc
	v_mov_b32_e32 v103, v97
	v_add_f64 v[101:102], v[101:102], v[103:104]
	v_cmp_lt_f64_e32 vcc, v[99:100], v[101:102]
	v_cndmask_b32_e32 v117, v117, v95, vcc
	v_mov_b32_e32 v95, s0
	s_add_i32 s0, s0, 1
	v_cndmask_b32_e32 v118, v118, v96, vcc
	v_cndmask_b32_e32 v120, v120, v98, vcc
	;; [unrolled: 1-line block ×4, first 2 shown]
	s_cmp_lg_u32 s3, s0
	s_cbranch_scc1 .LBB102_925
.LBB102_926:
	s_waitcnt lgkmcnt(0)
	v_cmp_eq_f64_e32 vcc, 0, v[117:118]
	v_cmp_eq_f64_e64 s[0:1], 0, v[119:120]
	s_and_b64 s[0:1], vcc, s[0:1]
	s_and_saveexec_b64 s[18:19], s[0:1]
	s_xor_b64 s[0:1], exec, s[18:19]
; %bb.927:
	v_cmp_ne_u32_e32 vcc, 0, v91
	v_cndmask_b32_e32 v91, 45, v91, vcc
; %bb.928:
	s_andn2_saveexec_b64 s[0:1], s[0:1]
	s_cbranch_execz .LBB102_934
; %bb.929:
	v_cmp_ngt_f64_e64 s[18:19], |v[117:118]|, |v[119:120]|
	s_and_saveexec_b64 s[20:21], s[18:19]
	s_xor_b64 s[18:19], exec, s[20:21]
	s_cbranch_execz .LBB102_931
; %bb.930:
	v_div_scale_f64 v[94:95], s[20:21], v[119:120], v[119:120], v[117:118]
	v_rcp_f64_e32 v[96:97], v[94:95]
	v_fma_f64 v[98:99], -v[94:95], v[96:97], 1.0
	v_fma_f64 v[96:97], v[96:97], v[98:99], v[96:97]
	v_div_scale_f64 v[98:99], vcc, v[117:118], v[119:120], v[117:118]
	v_fma_f64 v[100:101], -v[94:95], v[96:97], 1.0
	v_fma_f64 v[96:97], v[96:97], v[100:101], v[96:97]
	v_mul_f64 v[100:101], v[98:99], v[96:97]
	v_fma_f64 v[94:95], -v[94:95], v[100:101], v[98:99]
	v_div_fmas_f64 v[94:95], v[94:95], v[96:97], v[100:101]
	v_div_fixup_f64 v[94:95], v[94:95], v[119:120], v[117:118]
	v_fma_f64 v[96:97], v[117:118], v[94:95], v[119:120]
	v_div_scale_f64 v[98:99], s[20:21], v[96:97], v[96:97], 1.0
	v_div_scale_f64 v[104:105], vcc, 1.0, v[96:97], 1.0
	v_rcp_f64_e32 v[100:101], v[98:99]
	v_fma_f64 v[102:103], -v[98:99], v[100:101], 1.0
	v_fma_f64 v[100:101], v[100:101], v[102:103], v[100:101]
	v_fma_f64 v[102:103], -v[98:99], v[100:101], 1.0
	v_fma_f64 v[100:101], v[100:101], v[102:103], v[100:101]
	v_mul_f64 v[102:103], v[104:105], v[100:101]
	v_fma_f64 v[98:99], -v[98:99], v[102:103], v[104:105]
	v_div_fmas_f64 v[98:99], v[98:99], v[100:101], v[102:103]
	v_div_fixup_f64 v[119:120], v[98:99], v[96:97], 1.0
	v_mul_f64 v[117:118], v[94:95], v[119:120]
	v_xor_b32_e32 v120, 0x80000000, v120
.LBB102_931:
	s_andn2_saveexec_b64 s[18:19], s[18:19]
	s_cbranch_execz .LBB102_933
; %bb.932:
	v_div_scale_f64 v[94:95], s[20:21], v[117:118], v[117:118], v[119:120]
	v_rcp_f64_e32 v[96:97], v[94:95]
	v_fma_f64 v[98:99], -v[94:95], v[96:97], 1.0
	v_fma_f64 v[96:97], v[96:97], v[98:99], v[96:97]
	v_div_scale_f64 v[98:99], vcc, v[119:120], v[117:118], v[119:120]
	v_fma_f64 v[100:101], -v[94:95], v[96:97], 1.0
	v_fma_f64 v[96:97], v[96:97], v[100:101], v[96:97]
	v_mul_f64 v[100:101], v[98:99], v[96:97]
	v_fma_f64 v[94:95], -v[94:95], v[100:101], v[98:99]
	v_div_fmas_f64 v[94:95], v[94:95], v[96:97], v[100:101]
	v_div_fixup_f64 v[94:95], v[94:95], v[117:118], v[119:120]
	v_fma_f64 v[96:97], v[119:120], v[94:95], v[117:118]
	v_div_scale_f64 v[98:99], s[20:21], v[96:97], v[96:97], 1.0
	v_div_scale_f64 v[104:105], vcc, 1.0, v[96:97], 1.0
	v_rcp_f64_e32 v[100:101], v[98:99]
	v_fma_f64 v[102:103], -v[98:99], v[100:101], 1.0
	v_fma_f64 v[100:101], v[100:101], v[102:103], v[100:101]
	v_fma_f64 v[102:103], -v[98:99], v[100:101], 1.0
	v_fma_f64 v[100:101], v[100:101], v[102:103], v[100:101]
	v_mul_f64 v[102:103], v[104:105], v[100:101]
	v_fma_f64 v[98:99], -v[98:99], v[102:103], v[104:105]
	v_div_fmas_f64 v[98:99], v[98:99], v[100:101], v[102:103]
	v_div_fixup_f64 v[117:118], v[98:99], v[96:97], 1.0
	v_mul_f64 v[119:120], v[94:95], -v[117:118]
.LBB102_933:
	s_or_b64 exec, exec, s[18:19]
.LBB102_934:
	s_or_b64 exec, exec, s[0:1]
	v_cmp_ne_u32_e32 vcc, v92, v93
	s_and_saveexec_b64 s[0:1], vcc
	s_xor_b64 s[0:1], exec, s[0:1]
	s_cbranch_execz .LBB102_940
; %bb.935:
	v_cmp_eq_u32_e32 vcc, 44, v92
	s_and_saveexec_b64 s[18:19], vcc
	s_cbranch_execz .LBB102_939
; %bb.936:
	v_cmp_ne_u32_e32 vcc, 44, v93
	s_xor_b64 s[20:21], s[6:7], -1
	s_and_b64 s[22:23], s[20:21], vcc
	s_and_saveexec_b64 s[20:21], s[22:23]
	s_cbranch_execz .LBB102_938
; %bb.937:
	buffer_load_dword v81, off, s[24:27], 0 offset:416 ; 4-byte Folded Reload
	buffer_load_dword v82, off, s[24:27], 0 offset:420 ; 4-byte Folded Reload
	v_ashrrev_i32_e32 v94, 31, v93
	v_lshlrev_b64 v[94:95], 2, v[93:94]
	s_waitcnt vmcnt(1)
	v_add_co_u32_e32 v94, vcc, v81, v94
	s_waitcnt vmcnt(0)
	v_addc_co_u32_e32 v95, vcc, v82, v95, vcc
	global_load_dword v0, v[94:95], off
	global_load_dword v92, v[81:82], off offset:176
	s_waitcnt vmcnt(1)
	global_store_dword v[81:82], v0, off offset:176
	s_waitcnt vmcnt(1)
	global_store_dword v[94:95], v92, off
.LBB102_938:
	s_or_b64 exec, exec, s[20:21]
	v_mov_b32_e32 v92, v93
	v_mov_b32_e32 v0, v93
.LBB102_939:
	s_or_b64 exec, exec, s[18:19]
.LBB102_940:
	s_andn2_saveexec_b64 s[0:1], s[0:1]
	s_cbranch_execz .LBB102_942
; %bb.941:
	v_mov_b32_e32 v92, 44
	ds_write2_b64 v90, v[21:22], v[23:24] offset0:90 offset1:91
	ds_write2_b64 v90, v[17:18], v[19:20] offset0:92 offset1:93
	ds_write2_b64 v90, v[13:14], v[15:16] offset0:94 offset1:95
	ds_write2_b64 v90, v[9:10], v[11:12] offset0:96 offset1:97
	ds_write2_b64 v90, v[5:6], v[7:8] offset0:98 offset1:99
	ds_write2_b64 v90, v[1:2], v[3:4] offset0:100 offset1:101
	ds_write2_b64 v90, v[121:122], v[123:124] offset0:102 offset1:103
.LBB102_942:
	s_or_b64 exec, exec, s[0:1]
	v_cmp_lt_i32_e32 vcc, 44, v92
	s_waitcnt vmcnt(0) lgkmcnt(0)
	s_barrier
	s_and_saveexec_b64 s[0:1], vcc
	s_cbranch_execz .LBB102_944
; %bb.943:
	v_mul_f64 v[93:94], v[117:118], v[27:28]
	v_mul_f64 v[27:28], v[119:120], v[27:28]
	ds_read2_b64 v[95:98], v90 offset0:90 offset1:91
	v_fma_f64 v[93:94], v[119:120], v[25:26], v[93:94]
	v_fma_f64 v[25:26], v[117:118], v[25:26], -v[27:28]
	s_waitcnt lgkmcnt(0)
	v_mul_f64 v[27:28], v[97:98], v[93:94]
	v_fma_f64 v[27:28], v[95:96], v[25:26], -v[27:28]
	v_mul_f64 v[95:96], v[95:96], v[93:94]
	v_add_f64 v[21:22], v[21:22], -v[27:28]
	v_fma_f64 v[95:96], v[97:98], v[25:26], v[95:96]
	v_add_f64 v[23:24], v[23:24], -v[95:96]
	ds_read2_b64 v[95:98], v90 offset0:92 offset1:93
	s_waitcnt lgkmcnt(0)
	v_mul_f64 v[27:28], v[97:98], v[93:94]
	v_fma_f64 v[27:28], v[95:96], v[25:26], -v[27:28]
	v_mul_f64 v[95:96], v[95:96], v[93:94]
	v_add_f64 v[17:18], v[17:18], -v[27:28]
	v_fma_f64 v[95:96], v[97:98], v[25:26], v[95:96]
	v_add_f64 v[19:20], v[19:20], -v[95:96]
	ds_read2_b64 v[95:98], v90 offset0:94 offset1:95
	;; [unrolled: 8-line block ×6, first 2 shown]
	s_waitcnt lgkmcnt(0)
	v_mul_f64 v[27:28], v[97:98], v[93:94]
	v_fma_f64 v[27:28], v[95:96], v[25:26], -v[27:28]
	v_mul_f64 v[95:96], v[95:96], v[93:94]
	v_add_f64 v[121:122], v[121:122], -v[27:28]
	v_fma_f64 v[95:96], v[97:98], v[25:26], v[95:96]
	v_mov_b32_e32 v27, v93
	v_mov_b32_e32 v28, v94
	v_add_f64 v[123:124], v[123:124], -v[95:96]
.LBB102_944:
	s_or_b64 exec, exec, s[0:1]
	v_lshl_add_u32 v93, v92, 4, v90
	s_barrier
	ds_write2_b64 v93, v[21:22], v[23:24] offset1:1
	s_waitcnt lgkmcnt(0)
	s_barrier
	ds_read2_b64 v[117:120], v90 offset0:90 offset1:91
	s_cmp_lt_i32 s3, 47
	v_mov_b32_e32 v93, 45
	s_cbranch_scc1 .LBB102_947
; %bb.945:
	v_add_u32_e32 v94, 0x2e0, v90
	s_mov_b32 s0, 46
	v_mov_b32_e32 v93, 45
.LBB102_946:                            ; =>This Inner Loop Header: Depth=1
	s_waitcnt lgkmcnt(0)
	v_cmp_gt_f64_e32 vcc, 0, v[117:118]
	v_xor_b32_e32 v99, 0x80000000, v118
	ds_read2_b64 v[95:98], v94 offset1:1
	v_xor_b32_e32 v101, 0x80000000, v120
	v_add_u32_e32 v94, 16, v94
	s_waitcnt lgkmcnt(0)
	v_xor_b32_e32 v103, 0x80000000, v98
	v_cndmask_b32_e32 v100, v118, v99, vcc
	v_cmp_gt_f64_e32 vcc, 0, v[119:120]
	v_mov_b32_e32 v99, v117
	v_cndmask_b32_e32 v102, v120, v101, vcc
	v_cmp_gt_f64_e32 vcc, 0, v[95:96]
	v_mov_b32_e32 v101, v119
	v_add_f64 v[99:100], v[99:100], v[101:102]
	v_xor_b32_e32 v101, 0x80000000, v96
	v_cndmask_b32_e32 v102, v96, v101, vcc
	v_cmp_gt_f64_e32 vcc, 0, v[97:98]
	v_mov_b32_e32 v101, v95
	v_cndmask_b32_e32 v104, v98, v103, vcc
	v_mov_b32_e32 v103, v97
	v_add_f64 v[101:102], v[101:102], v[103:104]
	v_cmp_lt_f64_e32 vcc, v[99:100], v[101:102]
	v_cndmask_b32_e32 v117, v117, v95, vcc
	v_mov_b32_e32 v95, s0
	s_add_i32 s0, s0, 1
	v_cndmask_b32_e32 v118, v118, v96, vcc
	v_cndmask_b32_e32 v120, v120, v98, vcc
	;; [unrolled: 1-line block ×4, first 2 shown]
	s_cmp_lg_u32 s3, s0
	s_cbranch_scc1 .LBB102_946
.LBB102_947:
	s_waitcnt lgkmcnt(0)
	v_cmp_eq_f64_e32 vcc, 0, v[117:118]
	v_cmp_eq_f64_e64 s[0:1], 0, v[119:120]
	s_and_b64 s[0:1], vcc, s[0:1]
	s_and_saveexec_b64 s[18:19], s[0:1]
	s_xor_b64 s[0:1], exec, s[18:19]
; %bb.948:
	v_cmp_ne_u32_e32 vcc, 0, v91
	v_cndmask_b32_e32 v91, 46, v91, vcc
; %bb.949:
	s_andn2_saveexec_b64 s[0:1], s[0:1]
	s_cbranch_execz .LBB102_955
; %bb.950:
	v_cmp_ngt_f64_e64 s[18:19], |v[117:118]|, |v[119:120]|
	s_and_saveexec_b64 s[20:21], s[18:19]
	s_xor_b64 s[18:19], exec, s[20:21]
	s_cbranch_execz .LBB102_952
; %bb.951:
	v_div_scale_f64 v[94:95], s[20:21], v[119:120], v[119:120], v[117:118]
	v_rcp_f64_e32 v[96:97], v[94:95]
	v_fma_f64 v[98:99], -v[94:95], v[96:97], 1.0
	v_fma_f64 v[96:97], v[96:97], v[98:99], v[96:97]
	v_div_scale_f64 v[98:99], vcc, v[117:118], v[119:120], v[117:118]
	v_fma_f64 v[100:101], -v[94:95], v[96:97], 1.0
	v_fma_f64 v[96:97], v[96:97], v[100:101], v[96:97]
	v_mul_f64 v[100:101], v[98:99], v[96:97]
	v_fma_f64 v[94:95], -v[94:95], v[100:101], v[98:99]
	v_div_fmas_f64 v[94:95], v[94:95], v[96:97], v[100:101]
	v_div_fixup_f64 v[94:95], v[94:95], v[119:120], v[117:118]
	v_fma_f64 v[96:97], v[117:118], v[94:95], v[119:120]
	v_div_scale_f64 v[98:99], s[20:21], v[96:97], v[96:97], 1.0
	v_div_scale_f64 v[104:105], vcc, 1.0, v[96:97], 1.0
	v_rcp_f64_e32 v[100:101], v[98:99]
	v_fma_f64 v[102:103], -v[98:99], v[100:101], 1.0
	v_fma_f64 v[100:101], v[100:101], v[102:103], v[100:101]
	v_fma_f64 v[102:103], -v[98:99], v[100:101], 1.0
	v_fma_f64 v[100:101], v[100:101], v[102:103], v[100:101]
	v_mul_f64 v[102:103], v[104:105], v[100:101]
	v_fma_f64 v[98:99], -v[98:99], v[102:103], v[104:105]
	v_div_fmas_f64 v[98:99], v[98:99], v[100:101], v[102:103]
	v_div_fixup_f64 v[119:120], v[98:99], v[96:97], 1.0
	v_mul_f64 v[117:118], v[94:95], v[119:120]
	v_xor_b32_e32 v120, 0x80000000, v120
.LBB102_952:
	s_andn2_saveexec_b64 s[18:19], s[18:19]
	s_cbranch_execz .LBB102_954
; %bb.953:
	v_div_scale_f64 v[94:95], s[20:21], v[117:118], v[117:118], v[119:120]
	v_rcp_f64_e32 v[96:97], v[94:95]
	v_fma_f64 v[98:99], -v[94:95], v[96:97], 1.0
	v_fma_f64 v[96:97], v[96:97], v[98:99], v[96:97]
	v_div_scale_f64 v[98:99], vcc, v[119:120], v[117:118], v[119:120]
	v_fma_f64 v[100:101], -v[94:95], v[96:97], 1.0
	v_fma_f64 v[96:97], v[96:97], v[100:101], v[96:97]
	v_mul_f64 v[100:101], v[98:99], v[96:97]
	v_fma_f64 v[94:95], -v[94:95], v[100:101], v[98:99]
	v_div_fmas_f64 v[94:95], v[94:95], v[96:97], v[100:101]
	v_div_fixup_f64 v[94:95], v[94:95], v[117:118], v[119:120]
	v_fma_f64 v[96:97], v[119:120], v[94:95], v[117:118]
	v_div_scale_f64 v[98:99], s[20:21], v[96:97], v[96:97], 1.0
	v_div_scale_f64 v[104:105], vcc, 1.0, v[96:97], 1.0
	v_rcp_f64_e32 v[100:101], v[98:99]
	v_fma_f64 v[102:103], -v[98:99], v[100:101], 1.0
	v_fma_f64 v[100:101], v[100:101], v[102:103], v[100:101]
	v_fma_f64 v[102:103], -v[98:99], v[100:101], 1.0
	v_fma_f64 v[100:101], v[100:101], v[102:103], v[100:101]
	v_mul_f64 v[102:103], v[104:105], v[100:101]
	v_fma_f64 v[98:99], -v[98:99], v[102:103], v[104:105]
	v_div_fmas_f64 v[98:99], v[98:99], v[100:101], v[102:103]
	v_div_fixup_f64 v[117:118], v[98:99], v[96:97], 1.0
	v_mul_f64 v[119:120], v[94:95], -v[117:118]
.LBB102_954:
	s_or_b64 exec, exec, s[18:19]
.LBB102_955:
	s_or_b64 exec, exec, s[0:1]
	v_cmp_ne_u32_e32 vcc, v92, v93
	s_and_saveexec_b64 s[0:1], vcc
	s_xor_b64 s[0:1], exec, s[0:1]
	s_cbranch_execz .LBB102_961
; %bb.956:
	v_cmp_eq_u32_e32 vcc, 45, v92
	s_and_saveexec_b64 s[18:19], vcc
	s_cbranch_execz .LBB102_960
; %bb.957:
	v_cmp_ne_u32_e32 vcc, 45, v93
	s_xor_b64 s[20:21], s[6:7], -1
	s_and_b64 s[22:23], s[20:21], vcc
	s_and_saveexec_b64 s[20:21], s[22:23]
	s_cbranch_execz .LBB102_959
; %bb.958:
	buffer_load_dword v81, off, s[24:27], 0 offset:416 ; 4-byte Folded Reload
	buffer_load_dword v82, off, s[24:27], 0 offset:420 ; 4-byte Folded Reload
	v_ashrrev_i32_e32 v94, 31, v93
	v_lshlrev_b64 v[94:95], 2, v[93:94]
	s_waitcnt vmcnt(1)
	v_add_co_u32_e32 v94, vcc, v81, v94
	s_waitcnt vmcnt(0)
	v_addc_co_u32_e32 v95, vcc, v82, v95, vcc
	global_load_dword v0, v[94:95], off
	global_load_dword v92, v[81:82], off offset:180
	s_waitcnt vmcnt(1)
	global_store_dword v[81:82], v0, off offset:180
	s_waitcnt vmcnt(1)
	global_store_dword v[94:95], v92, off
.LBB102_959:
	s_or_b64 exec, exec, s[20:21]
	v_mov_b32_e32 v92, v93
	v_mov_b32_e32 v0, v93
.LBB102_960:
	s_or_b64 exec, exec, s[18:19]
.LBB102_961:
	s_andn2_saveexec_b64 s[0:1], s[0:1]
	s_cbranch_execz .LBB102_963
; %bb.962:
	v_mov_b32_e32 v92, 45
	ds_write2_b64 v90, v[17:18], v[19:20] offset0:92 offset1:93
	ds_write2_b64 v90, v[13:14], v[15:16] offset0:94 offset1:95
	;; [unrolled: 1-line block ×6, first 2 shown]
.LBB102_963:
	s_or_b64 exec, exec, s[0:1]
	v_cmp_lt_i32_e32 vcc, 45, v92
	s_waitcnt vmcnt(0) lgkmcnt(0)
	s_barrier
	s_and_saveexec_b64 s[0:1], vcc
	s_cbranch_execz .LBB102_965
; %bb.964:
	v_mul_f64 v[93:94], v[117:118], v[23:24]
	v_mul_f64 v[23:24], v[119:120], v[23:24]
	ds_read2_b64 v[95:98], v90 offset0:92 offset1:93
	v_fma_f64 v[93:94], v[119:120], v[21:22], v[93:94]
	v_fma_f64 v[21:22], v[117:118], v[21:22], -v[23:24]
	s_waitcnt lgkmcnt(0)
	v_mul_f64 v[23:24], v[97:98], v[93:94]
	v_fma_f64 v[23:24], v[95:96], v[21:22], -v[23:24]
	v_mul_f64 v[95:96], v[95:96], v[93:94]
	v_add_f64 v[17:18], v[17:18], -v[23:24]
	v_fma_f64 v[95:96], v[97:98], v[21:22], v[95:96]
	v_add_f64 v[19:20], v[19:20], -v[95:96]
	ds_read2_b64 v[95:98], v90 offset0:94 offset1:95
	s_waitcnt lgkmcnt(0)
	v_mul_f64 v[23:24], v[97:98], v[93:94]
	v_fma_f64 v[23:24], v[95:96], v[21:22], -v[23:24]
	v_mul_f64 v[95:96], v[95:96], v[93:94]
	v_add_f64 v[13:14], v[13:14], -v[23:24]
	v_fma_f64 v[95:96], v[97:98], v[21:22], v[95:96]
	v_add_f64 v[15:16], v[15:16], -v[95:96]
	ds_read2_b64 v[95:98], v90 offset0:96 offset1:97
	;; [unrolled: 8-line block ×5, first 2 shown]
	s_waitcnt lgkmcnt(0)
	v_mul_f64 v[23:24], v[97:98], v[93:94]
	v_fma_f64 v[23:24], v[95:96], v[21:22], -v[23:24]
	v_mul_f64 v[95:96], v[95:96], v[93:94]
	v_add_f64 v[121:122], v[121:122], -v[23:24]
	v_fma_f64 v[95:96], v[97:98], v[21:22], v[95:96]
	v_mov_b32_e32 v23, v93
	v_mov_b32_e32 v24, v94
	v_add_f64 v[123:124], v[123:124], -v[95:96]
.LBB102_965:
	s_or_b64 exec, exec, s[0:1]
	v_lshl_add_u32 v93, v92, 4, v90
	s_barrier
	ds_write2_b64 v93, v[17:18], v[19:20] offset1:1
	s_waitcnt lgkmcnt(0)
	s_barrier
	ds_read2_b64 v[117:120], v90 offset0:92 offset1:93
	s_cmp_lt_i32 s3, 48
	v_mov_b32_e32 v93, 46
	s_cbranch_scc1 .LBB102_968
; %bb.966:
	v_add_u32_e32 v94, 0x2f0, v90
	s_mov_b32 s0, 47
	v_mov_b32_e32 v93, 46
.LBB102_967:                            ; =>This Inner Loop Header: Depth=1
	s_waitcnt lgkmcnt(0)
	v_cmp_gt_f64_e32 vcc, 0, v[117:118]
	v_xor_b32_e32 v99, 0x80000000, v118
	ds_read2_b64 v[95:98], v94 offset1:1
	v_xor_b32_e32 v101, 0x80000000, v120
	v_add_u32_e32 v94, 16, v94
	s_waitcnt lgkmcnt(0)
	v_xor_b32_e32 v103, 0x80000000, v98
	v_cndmask_b32_e32 v100, v118, v99, vcc
	v_cmp_gt_f64_e32 vcc, 0, v[119:120]
	v_mov_b32_e32 v99, v117
	v_cndmask_b32_e32 v102, v120, v101, vcc
	v_cmp_gt_f64_e32 vcc, 0, v[95:96]
	v_mov_b32_e32 v101, v119
	v_add_f64 v[99:100], v[99:100], v[101:102]
	v_xor_b32_e32 v101, 0x80000000, v96
	v_cndmask_b32_e32 v102, v96, v101, vcc
	v_cmp_gt_f64_e32 vcc, 0, v[97:98]
	v_mov_b32_e32 v101, v95
	v_cndmask_b32_e32 v104, v98, v103, vcc
	v_mov_b32_e32 v103, v97
	v_add_f64 v[101:102], v[101:102], v[103:104]
	v_cmp_lt_f64_e32 vcc, v[99:100], v[101:102]
	v_cndmask_b32_e32 v117, v117, v95, vcc
	v_mov_b32_e32 v95, s0
	s_add_i32 s0, s0, 1
	v_cndmask_b32_e32 v118, v118, v96, vcc
	v_cndmask_b32_e32 v120, v120, v98, vcc
	;; [unrolled: 1-line block ×4, first 2 shown]
	s_cmp_lg_u32 s3, s0
	s_cbranch_scc1 .LBB102_967
.LBB102_968:
	s_waitcnt lgkmcnt(0)
	v_cmp_eq_f64_e32 vcc, 0, v[117:118]
	v_cmp_eq_f64_e64 s[0:1], 0, v[119:120]
	s_and_b64 s[0:1], vcc, s[0:1]
	s_and_saveexec_b64 s[18:19], s[0:1]
	s_xor_b64 s[0:1], exec, s[18:19]
; %bb.969:
	v_cmp_ne_u32_e32 vcc, 0, v91
	v_cndmask_b32_e32 v91, 47, v91, vcc
; %bb.970:
	s_andn2_saveexec_b64 s[0:1], s[0:1]
	s_cbranch_execz .LBB102_976
; %bb.971:
	v_cmp_ngt_f64_e64 s[18:19], |v[117:118]|, |v[119:120]|
	s_and_saveexec_b64 s[20:21], s[18:19]
	s_xor_b64 s[18:19], exec, s[20:21]
	s_cbranch_execz .LBB102_973
; %bb.972:
	v_div_scale_f64 v[94:95], s[20:21], v[119:120], v[119:120], v[117:118]
	v_rcp_f64_e32 v[96:97], v[94:95]
	v_fma_f64 v[98:99], -v[94:95], v[96:97], 1.0
	v_fma_f64 v[96:97], v[96:97], v[98:99], v[96:97]
	v_div_scale_f64 v[98:99], vcc, v[117:118], v[119:120], v[117:118]
	v_fma_f64 v[100:101], -v[94:95], v[96:97], 1.0
	v_fma_f64 v[96:97], v[96:97], v[100:101], v[96:97]
	v_mul_f64 v[100:101], v[98:99], v[96:97]
	v_fma_f64 v[94:95], -v[94:95], v[100:101], v[98:99]
	v_div_fmas_f64 v[94:95], v[94:95], v[96:97], v[100:101]
	v_div_fixup_f64 v[94:95], v[94:95], v[119:120], v[117:118]
	v_fma_f64 v[96:97], v[117:118], v[94:95], v[119:120]
	v_div_scale_f64 v[98:99], s[20:21], v[96:97], v[96:97], 1.0
	v_div_scale_f64 v[104:105], vcc, 1.0, v[96:97], 1.0
	v_rcp_f64_e32 v[100:101], v[98:99]
	v_fma_f64 v[102:103], -v[98:99], v[100:101], 1.0
	v_fma_f64 v[100:101], v[100:101], v[102:103], v[100:101]
	v_fma_f64 v[102:103], -v[98:99], v[100:101], 1.0
	v_fma_f64 v[100:101], v[100:101], v[102:103], v[100:101]
	v_mul_f64 v[102:103], v[104:105], v[100:101]
	v_fma_f64 v[98:99], -v[98:99], v[102:103], v[104:105]
	v_div_fmas_f64 v[98:99], v[98:99], v[100:101], v[102:103]
	v_div_fixup_f64 v[119:120], v[98:99], v[96:97], 1.0
	v_mul_f64 v[117:118], v[94:95], v[119:120]
	v_xor_b32_e32 v120, 0x80000000, v120
.LBB102_973:
	s_andn2_saveexec_b64 s[18:19], s[18:19]
	s_cbranch_execz .LBB102_975
; %bb.974:
	v_div_scale_f64 v[94:95], s[20:21], v[117:118], v[117:118], v[119:120]
	v_rcp_f64_e32 v[96:97], v[94:95]
	v_fma_f64 v[98:99], -v[94:95], v[96:97], 1.0
	v_fma_f64 v[96:97], v[96:97], v[98:99], v[96:97]
	v_div_scale_f64 v[98:99], vcc, v[119:120], v[117:118], v[119:120]
	v_fma_f64 v[100:101], -v[94:95], v[96:97], 1.0
	v_fma_f64 v[96:97], v[96:97], v[100:101], v[96:97]
	v_mul_f64 v[100:101], v[98:99], v[96:97]
	v_fma_f64 v[94:95], -v[94:95], v[100:101], v[98:99]
	v_div_fmas_f64 v[94:95], v[94:95], v[96:97], v[100:101]
	v_div_fixup_f64 v[94:95], v[94:95], v[117:118], v[119:120]
	v_fma_f64 v[96:97], v[119:120], v[94:95], v[117:118]
	v_div_scale_f64 v[98:99], s[20:21], v[96:97], v[96:97], 1.0
	v_div_scale_f64 v[104:105], vcc, 1.0, v[96:97], 1.0
	v_rcp_f64_e32 v[100:101], v[98:99]
	v_fma_f64 v[102:103], -v[98:99], v[100:101], 1.0
	v_fma_f64 v[100:101], v[100:101], v[102:103], v[100:101]
	v_fma_f64 v[102:103], -v[98:99], v[100:101], 1.0
	v_fma_f64 v[100:101], v[100:101], v[102:103], v[100:101]
	v_mul_f64 v[102:103], v[104:105], v[100:101]
	v_fma_f64 v[98:99], -v[98:99], v[102:103], v[104:105]
	v_div_fmas_f64 v[98:99], v[98:99], v[100:101], v[102:103]
	v_div_fixup_f64 v[117:118], v[98:99], v[96:97], 1.0
	v_mul_f64 v[119:120], v[94:95], -v[117:118]
.LBB102_975:
	s_or_b64 exec, exec, s[18:19]
.LBB102_976:
	s_or_b64 exec, exec, s[0:1]
	v_cmp_ne_u32_e32 vcc, v92, v93
	s_and_saveexec_b64 s[0:1], vcc
	s_xor_b64 s[0:1], exec, s[0:1]
	s_cbranch_execz .LBB102_982
; %bb.977:
	v_cmp_eq_u32_e32 vcc, 46, v92
	s_and_saveexec_b64 s[18:19], vcc
	s_cbranch_execz .LBB102_981
; %bb.978:
	v_cmp_ne_u32_e32 vcc, 46, v93
	s_xor_b64 s[20:21], s[6:7], -1
	s_and_b64 s[22:23], s[20:21], vcc
	s_and_saveexec_b64 s[20:21], s[22:23]
	s_cbranch_execz .LBB102_980
; %bb.979:
	buffer_load_dword v81, off, s[24:27], 0 offset:416 ; 4-byte Folded Reload
	buffer_load_dword v82, off, s[24:27], 0 offset:420 ; 4-byte Folded Reload
	v_ashrrev_i32_e32 v94, 31, v93
	v_lshlrev_b64 v[94:95], 2, v[93:94]
	s_waitcnt vmcnt(1)
	v_add_co_u32_e32 v94, vcc, v81, v94
	s_waitcnt vmcnt(0)
	v_addc_co_u32_e32 v95, vcc, v82, v95, vcc
	global_load_dword v0, v[94:95], off
	global_load_dword v92, v[81:82], off offset:184
	s_waitcnt vmcnt(1)
	global_store_dword v[81:82], v0, off offset:184
	s_waitcnt vmcnt(1)
	global_store_dword v[94:95], v92, off
.LBB102_980:
	s_or_b64 exec, exec, s[20:21]
	v_mov_b32_e32 v92, v93
	v_mov_b32_e32 v0, v93
.LBB102_981:
	s_or_b64 exec, exec, s[18:19]
.LBB102_982:
	s_andn2_saveexec_b64 s[0:1], s[0:1]
	s_cbranch_execz .LBB102_984
; %bb.983:
	v_mov_b32_e32 v92, 46
	ds_write2_b64 v90, v[13:14], v[15:16] offset0:94 offset1:95
	ds_write2_b64 v90, v[9:10], v[11:12] offset0:96 offset1:97
	;; [unrolled: 1-line block ×5, first 2 shown]
.LBB102_984:
	s_or_b64 exec, exec, s[0:1]
	v_cmp_lt_i32_e32 vcc, 46, v92
	s_waitcnt vmcnt(0) lgkmcnt(0)
	s_barrier
	s_and_saveexec_b64 s[0:1], vcc
	s_cbranch_execz .LBB102_986
; %bb.985:
	v_mul_f64 v[93:94], v[117:118], v[19:20]
	v_mul_f64 v[19:20], v[119:120], v[19:20]
	v_fma_f64 v[97:98], v[119:120], v[17:18], v[93:94]
	ds_read2_b64 v[93:96], v90 offset0:94 offset1:95
	v_fma_f64 v[17:18], v[117:118], v[17:18], -v[19:20]
	s_waitcnt lgkmcnt(0)
	v_mul_f64 v[19:20], v[95:96], v[97:98]
	v_fma_f64 v[19:20], v[93:94], v[17:18], -v[19:20]
	v_mul_f64 v[93:94], v[93:94], v[97:98]
	v_add_f64 v[13:14], v[13:14], -v[19:20]
	v_fma_f64 v[93:94], v[95:96], v[17:18], v[93:94]
	v_add_f64 v[15:16], v[15:16], -v[93:94]
	ds_read2_b64 v[93:96], v90 offset0:96 offset1:97
	s_waitcnt lgkmcnt(0)
	v_mul_f64 v[19:20], v[95:96], v[97:98]
	v_fma_f64 v[19:20], v[93:94], v[17:18], -v[19:20]
	v_mul_f64 v[93:94], v[93:94], v[97:98]
	v_add_f64 v[9:10], v[9:10], -v[19:20]
	v_fma_f64 v[93:94], v[95:96], v[17:18], v[93:94]
	v_add_f64 v[11:12], v[11:12], -v[93:94]
	ds_read2_b64 v[93:96], v90 offset0:98 offset1:99
	;; [unrolled: 8-line block ×4, first 2 shown]
	s_waitcnt lgkmcnt(0)
	v_mul_f64 v[19:20], v[95:96], v[97:98]
	v_fma_f64 v[19:20], v[93:94], v[17:18], -v[19:20]
	v_mul_f64 v[93:94], v[93:94], v[97:98]
	v_add_f64 v[121:122], v[121:122], -v[19:20]
	v_fma_f64 v[93:94], v[95:96], v[17:18], v[93:94]
	v_mov_b32_e32 v19, v97
	v_mov_b32_e32 v20, v98
	v_add_f64 v[123:124], v[123:124], -v[93:94]
.LBB102_986:
	s_or_b64 exec, exec, s[0:1]
	v_lshl_add_u32 v93, v92, 4, v90
	s_barrier
	ds_write2_b64 v93, v[13:14], v[15:16] offset1:1
	s_waitcnt lgkmcnt(0)
	s_barrier
	ds_read2_b64 v[117:120], v90 offset0:94 offset1:95
	s_cmp_lt_i32 s3, 49
	v_mov_b32_e32 v93, 47
	s_cbranch_scc1 .LBB102_989
; %bb.987:
	v_add_u32_e32 v94, 0x300, v90
	s_mov_b32 s0, 48
	v_mov_b32_e32 v93, 47
.LBB102_988:                            ; =>This Inner Loop Header: Depth=1
	s_waitcnt lgkmcnt(0)
	v_cmp_gt_f64_e32 vcc, 0, v[117:118]
	v_xor_b32_e32 v99, 0x80000000, v118
	ds_read2_b64 v[95:98], v94 offset1:1
	v_xor_b32_e32 v101, 0x80000000, v120
	v_add_u32_e32 v94, 16, v94
	s_waitcnt lgkmcnt(0)
	v_xor_b32_e32 v103, 0x80000000, v98
	v_cndmask_b32_e32 v100, v118, v99, vcc
	v_cmp_gt_f64_e32 vcc, 0, v[119:120]
	v_mov_b32_e32 v99, v117
	v_cndmask_b32_e32 v102, v120, v101, vcc
	v_cmp_gt_f64_e32 vcc, 0, v[95:96]
	v_mov_b32_e32 v101, v119
	v_add_f64 v[99:100], v[99:100], v[101:102]
	v_xor_b32_e32 v101, 0x80000000, v96
	v_cndmask_b32_e32 v102, v96, v101, vcc
	v_cmp_gt_f64_e32 vcc, 0, v[97:98]
	v_mov_b32_e32 v101, v95
	v_cndmask_b32_e32 v104, v98, v103, vcc
	v_mov_b32_e32 v103, v97
	v_add_f64 v[101:102], v[101:102], v[103:104]
	v_cmp_lt_f64_e32 vcc, v[99:100], v[101:102]
	v_cndmask_b32_e32 v117, v117, v95, vcc
	v_mov_b32_e32 v95, s0
	s_add_i32 s0, s0, 1
	v_cndmask_b32_e32 v118, v118, v96, vcc
	v_cndmask_b32_e32 v120, v120, v98, vcc
	;; [unrolled: 1-line block ×4, first 2 shown]
	s_cmp_lg_u32 s3, s0
	s_cbranch_scc1 .LBB102_988
.LBB102_989:
	s_waitcnt lgkmcnt(0)
	v_cmp_eq_f64_e32 vcc, 0, v[117:118]
	v_cmp_eq_f64_e64 s[0:1], 0, v[119:120]
	s_and_b64 s[0:1], vcc, s[0:1]
	s_and_saveexec_b64 s[18:19], s[0:1]
	s_xor_b64 s[0:1], exec, s[18:19]
; %bb.990:
	v_cmp_ne_u32_e32 vcc, 0, v91
	v_cndmask_b32_e32 v91, 48, v91, vcc
; %bb.991:
	s_andn2_saveexec_b64 s[0:1], s[0:1]
	s_cbranch_execz .LBB102_997
; %bb.992:
	v_cmp_ngt_f64_e64 s[18:19], |v[117:118]|, |v[119:120]|
	s_and_saveexec_b64 s[20:21], s[18:19]
	s_xor_b64 s[18:19], exec, s[20:21]
	s_cbranch_execz .LBB102_994
; %bb.993:
	v_div_scale_f64 v[94:95], s[20:21], v[119:120], v[119:120], v[117:118]
	v_rcp_f64_e32 v[96:97], v[94:95]
	v_fma_f64 v[98:99], -v[94:95], v[96:97], 1.0
	v_fma_f64 v[96:97], v[96:97], v[98:99], v[96:97]
	v_div_scale_f64 v[98:99], vcc, v[117:118], v[119:120], v[117:118]
	v_fma_f64 v[100:101], -v[94:95], v[96:97], 1.0
	v_fma_f64 v[96:97], v[96:97], v[100:101], v[96:97]
	v_mul_f64 v[100:101], v[98:99], v[96:97]
	v_fma_f64 v[94:95], -v[94:95], v[100:101], v[98:99]
	v_div_fmas_f64 v[94:95], v[94:95], v[96:97], v[100:101]
	v_div_fixup_f64 v[94:95], v[94:95], v[119:120], v[117:118]
	v_fma_f64 v[96:97], v[117:118], v[94:95], v[119:120]
	v_div_scale_f64 v[98:99], s[20:21], v[96:97], v[96:97], 1.0
	v_div_scale_f64 v[104:105], vcc, 1.0, v[96:97], 1.0
	v_rcp_f64_e32 v[100:101], v[98:99]
	v_fma_f64 v[102:103], -v[98:99], v[100:101], 1.0
	v_fma_f64 v[100:101], v[100:101], v[102:103], v[100:101]
	v_fma_f64 v[102:103], -v[98:99], v[100:101], 1.0
	v_fma_f64 v[100:101], v[100:101], v[102:103], v[100:101]
	v_mul_f64 v[102:103], v[104:105], v[100:101]
	v_fma_f64 v[98:99], -v[98:99], v[102:103], v[104:105]
	v_div_fmas_f64 v[98:99], v[98:99], v[100:101], v[102:103]
	v_div_fixup_f64 v[119:120], v[98:99], v[96:97], 1.0
	v_mul_f64 v[117:118], v[94:95], v[119:120]
	v_xor_b32_e32 v120, 0x80000000, v120
.LBB102_994:
	s_andn2_saveexec_b64 s[18:19], s[18:19]
	s_cbranch_execz .LBB102_996
; %bb.995:
	v_div_scale_f64 v[94:95], s[20:21], v[117:118], v[117:118], v[119:120]
	v_rcp_f64_e32 v[96:97], v[94:95]
	v_fma_f64 v[98:99], -v[94:95], v[96:97], 1.0
	v_fma_f64 v[96:97], v[96:97], v[98:99], v[96:97]
	v_div_scale_f64 v[98:99], vcc, v[119:120], v[117:118], v[119:120]
	v_fma_f64 v[100:101], -v[94:95], v[96:97], 1.0
	v_fma_f64 v[96:97], v[96:97], v[100:101], v[96:97]
	v_mul_f64 v[100:101], v[98:99], v[96:97]
	v_fma_f64 v[94:95], -v[94:95], v[100:101], v[98:99]
	v_div_fmas_f64 v[94:95], v[94:95], v[96:97], v[100:101]
	v_div_fixup_f64 v[94:95], v[94:95], v[117:118], v[119:120]
	v_fma_f64 v[96:97], v[119:120], v[94:95], v[117:118]
	v_div_scale_f64 v[98:99], s[20:21], v[96:97], v[96:97], 1.0
	v_div_scale_f64 v[104:105], vcc, 1.0, v[96:97], 1.0
	v_rcp_f64_e32 v[100:101], v[98:99]
	v_fma_f64 v[102:103], -v[98:99], v[100:101], 1.0
	v_fma_f64 v[100:101], v[100:101], v[102:103], v[100:101]
	v_fma_f64 v[102:103], -v[98:99], v[100:101], 1.0
	v_fma_f64 v[100:101], v[100:101], v[102:103], v[100:101]
	v_mul_f64 v[102:103], v[104:105], v[100:101]
	v_fma_f64 v[98:99], -v[98:99], v[102:103], v[104:105]
	v_div_fmas_f64 v[98:99], v[98:99], v[100:101], v[102:103]
	v_div_fixup_f64 v[117:118], v[98:99], v[96:97], 1.0
	v_mul_f64 v[119:120], v[94:95], -v[117:118]
.LBB102_996:
	s_or_b64 exec, exec, s[18:19]
.LBB102_997:
	s_or_b64 exec, exec, s[0:1]
	v_cmp_ne_u32_e32 vcc, v92, v93
	s_and_saveexec_b64 s[0:1], vcc
	s_xor_b64 s[0:1], exec, s[0:1]
	s_cbranch_execz .LBB102_1003
; %bb.998:
	v_cmp_eq_u32_e32 vcc, 47, v92
	s_and_saveexec_b64 s[18:19], vcc
	s_cbranch_execz .LBB102_1002
; %bb.999:
	v_cmp_ne_u32_e32 vcc, 47, v93
	s_xor_b64 s[20:21], s[6:7], -1
	s_and_b64 s[22:23], s[20:21], vcc
	s_and_saveexec_b64 s[20:21], s[22:23]
	s_cbranch_execz .LBB102_1001
; %bb.1000:
	buffer_load_dword v81, off, s[24:27], 0 offset:416 ; 4-byte Folded Reload
	buffer_load_dword v82, off, s[24:27], 0 offset:420 ; 4-byte Folded Reload
	v_ashrrev_i32_e32 v94, 31, v93
	v_lshlrev_b64 v[94:95], 2, v[93:94]
	s_waitcnt vmcnt(1)
	v_add_co_u32_e32 v94, vcc, v81, v94
	s_waitcnt vmcnt(0)
	v_addc_co_u32_e32 v95, vcc, v82, v95, vcc
	global_load_dword v0, v[94:95], off
	global_load_dword v92, v[81:82], off offset:188
	s_waitcnt vmcnt(1)
	global_store_dword v[81:82], v0, off offset:188
	s_waitcnt vmcnt(1)
	global_store_dword v[94:95], v92, off
.LBB102_1001:
	s_or_b64 exec, exec, s[20:21]
	v_mov_b32_e32 v92, v93
	v_mov_b32_e32 v0, v93
.LBB102_1002:
	s_or_b64 exec, exec, s[18:19]
.LBB102_1003:
	s_andn2_saveexec_b64 s[0:1], s[0:1]
	s_cbranch_execz .LBB102_1005
; %bb.1004:
	v_mov_b32_e32 v92, 47
	ds_write2_b64 v90, v[9:10], v[11:12] offset0:96 offset1:97
	ds_write2_b64 v90, v[5:6], v[7:8] offset0:98 offset1:99
	;; [unrolled: 1-line block ×4, first 2 shown]
.LBB102_1005:
	s_or_b64 exec, exec, s[0:1]
	v_cmp_lt_i32_e32 vcc, 47, v92
	s_waitcnt vmcnt(0) lgkmcnt(0)
	s_barrier
	s_and_saveexec_b64 s[0:1], vcc
	s_cbranch_execz .LBB102_1007
; %bb.1006:
	v_mul_f64 v[93:94], v[117:118], v[15:16]
	v_mul_f64 v[15:16], v[119:120], v[15:16]
	v_fma_f64 v[97:98], v[119:120], v[13:14], v[93:94]
	ds_read2_b64 v[93:96], v90 offset0:96 offset1:97
	v_fma_f64 v[13:14], v[117:118], v[13:14], -v[15:16]
	s_waitcnt lgkmcnt(0)
	v_mul_f64 v[15:16], v[95:96], v[97:98]
	v_fma_f64 v[15:16], v[93:94], v[13:14], -v[15:16]
	v_mul_f64 v[93:94], v[93:94], v[97:98]
	v_add_f64 v[9:10], v[9:10], -v[15:16]
	v_fma_f64 v[93:94], v[95:96], v[13:14], v[93:94]
	v_add_f64 v[11:12], v[11:12], -v[93:94]
	ds_read2_b64 v[93:96], v90 offset0:98 offset1:99
	s_waitcnt lgkmcnt(0)
	v_mul_f64 v[15:16], v[95:96], v[97:98]
	v_fma_f64 v[15:16], v[93:94], v[13:14], -v[15:16]
	v_mul_f64 v[93:94], v[93:94], v[97:98]
	v_add_f64 v[5:6], v[5:6], -v[15:16]
	v_fma_f64 v[93:94], v[95:96], v[13:14], v[93:94]
	v_add_f64 v[7:8], v[7:8], -v[93:94]
	ds_read2_b64 v[93:96], v90 offset0:100 offset1:101
	;; [unrolled: 8-line block ×3, first 2 shown]
	s_waitcnt lgkmcnt(0)
	v_mul_f64 v[15:16], v[95:96], v[97:98]
	v_fma_f64 v[15:16], v[93:94], v[13:14], -v[15:16]
	v_mul_f64 v[93:94], v[93:94], v[97:98]
	v_add_f64 v[121:122], v[121:122], -v[15:16]
	v_fma_f64 v[93:94], v[95:96], v[13:14], v[93:94]
	v_mov_b32_e32 v15, v97
	v_mov_b32_e32 v16, v98
	v_add_f64 v[123:124], v[123:124], -v[93:94]
.LBB102_1007:
	s_or_b64 exec, exec, s[0:1]
	v_lshl_add_u32 v93, v92, 4, v90
	s_barrier
	ds_write2_b64 v93, v[9:10], v[11:12] offset1:1
	s_waitcnt lgkmcnt(0)
	s_barrier
	ds_read2_b64 v[117:120], v90 offset0:96 offset1:97
	s_cmp_lt_i32 s3, 50
	v_mov_b32_e32 v93, 48
	s_cbranch_scc1 .LBB102_1010
; %bb.1008:
	v_add_u32_e32 v94, 0x310, v90
	s_mov_b32 s0, 49
	v_mov_b32_e32 v93, 48
.LBB102_1009:                           ; =>This Inner Loop Header: Depth=1
	s_waitcnt lgkmcnt(0)
	v_cmp_gt_f64_e32 vcc, 0, v[117:118]
	v_xor_b32_e32 v99, 0x80000000, v118
	ds_read2_b64 v[95:98], v94 offset1:1
	v_xor_b32_e32 v101, 0x80000000, v120
	v_add_u32_e32 v94, 16, v94
	s_waitcnt lgkmcnt(0)
	v_xor_b32_e32 v103, 0x80000000, v98
	v_cndmask_b32_e32 v100, v118, v99, vcc
	v_cmp_gt_f64_e32 vcc, 0, v[119:120]
	v_mov_b32_e32 v99, v117
	v_cndmask_b32_e32 v102, v120, v101, vcc
	v_cmp_gt_f64_e32 vcc, 0, v[95:96]
	v_mov_b32_e32 v101, v119
	v_add_f64 v[99:100], v[99:100], v[101:102]
	v_xor_b32_e32 v101, 0x80000000, v96
	v_cndmask_b32_e32 v102, v96, v101, vcc
	v_cmp_gt_f64_e32 vcc, 0, v[97:98]
	v_mov_b32_e32 v101, v95
	v_cndmask_b32_e32 v104, v98, v103, vcc
	v_mov_b32_e32 v103, v97
	v_add_f64 v[101:102], v[101:102], v[103:104]
	v_cmp_lt_f64_e32 vcc, v[99:100], v[101:102]
	v_cndmask_b32_e32 v117, v117, v95, vcc
	v_mov_b32_e32 v95, s0
	s_add_i32 s0, s0, 1
	v_cndmask_b32_e32 v118, v118, v96, vcc
	v_cndmask_b32_e32 v120, v120, v98, vcc
	;; [unrolled: 1-line block ×4, first 2 shown]
	s_cmp_lg_u32 s3, s0
	s_cbranch_scc1 .LBB102_1009
.LBB102_1010:
	s_waitcnt lgkmcnt(0)
	v_cmp_eq_f64_e32 vcc, 0, v[117:118]
	v_cmp_eq_f64_e64 s[0:1], 0, v[119:120]
	s_and_b64 s[0:1], vcc, s[0:1]
	s_and_saveexec_b64 s[18:19], s[0:1]
	s_xor_b64 s[0:1], exec, s[18:19]
; %bb.1011:
	v_cmp_ne_u32_e32 vcc, 0, v91
	v_cndmask_b32_e32 v91, 49, v91, vcc
; %bb.1012:
	s_andn2_saveexec_b64 s[0:1], s[0:1]
	s_cbranch_execz .LBB102_1018
; %bb.1013:
	v_cmp_ngt_f64_e64 s[18:19], |v[117:118]|, |v[119:120]|
	s_and_saveexec_b64 s[20:21], s[18:19]
	s_xor_b64 s[18:19], exec, s[20:21]
	s_cbranch_execz .LBB102_1015
; %bb.1014:
	v_div_scale_f64 v[94:95], s[20:21], v[119:120], v[119:120], v[117:118]
	v_rcp_f64_e32 v[96:97], v[94:95]
	v_fma_f64 v[98:99], -v[94:95], v[96:97], 1.0
	v_fma_f64 v[96:97], v[96:97], v[98:99], v[96:97]
	v_div_scale_f64 v[98:99], vcc, v[117:118], v[119:120], v[117:118]
	v_fma_f64 v[100:101], -v[94:95], v[96:97], 1.0
	v_fma_f64 v[96:97], v[96:97], v[100:101], v[96:97]
	v_mul_f64 v[100:101], v[98:99], v[96:97]
	v_fma_f64 v[94:95], -v[94:95], v[100:101], v[98:99]
	v_div_fmas_f64 v[94:95], v[94:95], v[96:97], v[100:101]
	v_div_fixup_f64 v[94:95], v[94:95], v[119:120], v[117:118]
	v_fma_f64 v[96:97], v[117:118], v[94:95], v[119:120]
	v_div_scale_f64 v[98:99], s[20:21], v[96:97], v[96:97], 1.0
	v_div_scale_f64 v[104:105], vcc, 1.0, v[96:97], 1.0
	v_rcp_f64_e32 v[100:101], v[98:99]
	v_fma_f64 v[102:103], -v[98:99], v[100:101], 1.0
	v_fma_f64 v[100:101], v[100:101], v[102:103], v[100:101]
	v_fma_f64 v[102:103], -v[98:99], v[100:101], 1.0
	v_fma_f64 v[100:101], v[100:101], v[102:103], v[100:101]
	v_mul_f64 v[102:103], v[104:105], v[100:101]
	v_fma_f64 v[98:99], -v[98:99], v[102:103], v[104:105]
	v_div_fmas_f64 v[98:99], v[98:99], v[100:101], v[102:103]
	v_div_fixup_f64 v[119:120], v[98:99], v[96:97], 1.0
	v_mul_f64 v[117:118], v[94:95], v[119:120]
	v_xor_b32_e32 v120, 0x80000000, v120
.LBB102_1015:
	s_andn2_saveexec_b64 s[18:19], s[18:19]
	s_cbranch_execz .LBB102_1017
; %bb.1016:
	v_div_scale_f64 v[94:95], s[20:21], v[117:118], v[117:118], v[119:120]
	v_rcp_f64_e32 v[96:97], v[94:95]
	v_fma_f64 v[98:99], -v[94:95], v[96:97], 1.0
	v_fma_f64 v[96:97], v[96:97], v[98:99], v[96:97]
	v_div_scale_f64 v[98:99], vcc, v[119:120], v[117:118], v[119:120]
	v_fma_f64 v[100:101], -v[94:95], v[96:97], 1.0
	v_fma_f64 v[96:97], v[96:97], v[100:101], v[96:97]
	v_mul_f64 v[100:101], v[98:99], v[96:97]
	v_fma_f64 v[94:95], -v[94:95], v[100:101], v[98:99]
	v_div_fmas_f64 v[94:95], v[94:95], v[96:97], v[100:101]
	v_div_fixup_f64 v[94:95], v[94:95], v[117:118], v[119:120]
	v_fma_f64 v[96:97], v[119:120], v[94:95], v[117:118]
	v_div_scale_f64 v[98:99], s[20:21], v[96:97], v[96:97], 1.0
	v_div_scale_f64 v[104:105], vcc, 1.0, v[96:97], 1.0
	v_rcp_f64_e32 v[100:101], v[98:99]
	v_fma_f64 v[102:103], -v[98:99], v[100:101], 1.0
	v_fma_f64 v[100:101], v[100:101], v[102:103], v[100:101]
	v_fma_f64 v[102:103], -v[98:99], v[100:101], 1.0
	v_fma_f64 v[100:101], v[100:101], v[102:103], v[100:101]
	v_mul_f64 v[102:103], v[104:105], v[100:101]
	v_fma_f64 v[98:99], -v[98:99], v[102:103], v[104:105]
	v_div_fmas_f64 v[98:99], v[98:99], v[100:101], v[102:103]
	v_div_fixup_f64 v[117:118], v[98:99], v[96:97], 1.0
	v_mul_f64 v[119:120], v[94:95], -v[117:118]
.LBB102_1017:
	s_or_b64 exec, exec, s[18:19]
.LBB102_1018:
	s_or_b64 exec, exec, s[0:1]
	v_cmp_ne_u32_e32 vcc, v92, v93
	s_and_saveexec_b64 s[0:1], vcc
	s_xor_b64 s[0:1], exec, s[0:1]
	s_cbranch_execz .LBB102_1024
; %bb.1019:
	v_cmp_eq_u32_e32 vcc, 48, v92
	s_and_saveexec_b64 s[18:19], vcc
	s_cbranch_execz .LBB102_1023
; %bb.1020:
	v_cmp_ne_u32_e32 vcc, 48, v93
	s_xor_b64 s[20:21], s[6:7], -1
	s_and_b64 s[22:23], s[20:21], vcc
	s_and_saveexec_b64 s[20:21], s[22:23]
	s_cbranch_execz .LBB102_1022
; %bb.1021:
	buffer_load_dword v81, off, s[24:27], 0 offset:416 ; 4-byte Folded Reload
	buffer_load_dword v82, off, s[24:27], 0 offset:420 ; 4-byte Folded Reload
	v_ashrrev_i32_e32 v94, 31, v93
	v_lshlrev_b64 v[94:95], 2, v[93:94]
	s_waitcnt vmcnt(1)
	v_add_co_u32_e32 v94, vcc, v81, v94
	s_waitcnt vmcnt(0)
	v_addc_co_u32_e32 v95, vcc, v82, v95, vcc
	global_load_dword v0, v[94:95], off
	global_load_dword v92, v[81:82], off offset:192
	s_waitcnt vmcnt(1)
	global_store_dword v[81:82], v0, off offset:192
	s_waitcnt vmcnt(1)
	global_store_dword v[94:95], v92, off
.LBB102_1022:
	s_or_b64 exec, exec, s[20:21]
	v_mov_b32_e32 v92, v93
	v_mov_b32_e32 v0, v93
.LBB102_1023:
	s_or_b64 exec, exec, s[18:19]
.LBB102_1024:
	s_andn2_saveexec_b64 s[0:1], s[0:1]
	s_cbranch_execz .LBB102_1026
; %bb.1025:
	v_mov_b32_e32 v92, 48
	ds_write2_b64 v90, v[5:6], v[7:8] offset0:98 offset1:99
	ds_write2_b64 v90, v[1:2], v[3:4] offset0:100 offset1:101
	;; [unrolled: 1-line block ×3, first 2 shown]
.LBB102_1026:
	s_or_b64 exec, exec, s[0:1]
	v_cmp_lt_i32_e32 vcc, 48, v92
	s_waitcnt vmcnt(0) lgkmcnt(0)
	s_barrier
	s_and_saveexec_b64 s[0:1], vcc
	s_cbranch_execz .LBB102_1028
; %bb.1027:
	v_mul_f64 v[93:94], v[117:118], v[11:12]
	v_mul_f64 v[11:12], v[119:120], v[11:12]
	v_fma_f64 v[97:98], v[119:120], v[9:10], v[93:94]
	ds_read2_b64 v[93:96], v90 offset0:98 offset1:99
	v_fma_f64 v[9:10], v[117:118], v[9:10], -v[11:12]
	s_waitcnt lgkmcnt(0)
	v_mul_f64 v[11:12], v[95:96], v[97:98]
	v_fma_f64 v[11:12], v[93:94], v[9:10], -v[11:12]
	v_mul_f64 v[93:94], v[93:94], v[97:98]
	v_add_f64 v[5:6], v[5:6], -v[11:12]
	v_fma_f64 v[93:94], v[95:96], v[9:10], v[93:94]
	v_add_f64 v[7:8], v[7:8], -v[93:94]
	ds_read2_b64 v[93:96], v90 offset0:100 offset1:101
	s_waitcnt lgkmcnt(0)
	v_mul_f64 v[11:12], v[95:96], v[97:98]
	v_fma_f64 v[11:12], v[93:94], v[9:10], -v[11:12]
	v_mul_f64 v[93:94], v[93:94], v[97:98]
	v_add_f64 v[1:2], v[1:2], -v[11:12]
	v_fma_f64 v[93:94], v[95:96], v[9:10], v[93:94]
	v_add_f64 v[3:4], v[3:4], -v[93:94]
	ds_read2_b64 v[93:96], v90 offset0:102 offset1:103
	s_waitcnt lgkmcnt(0)
	v_mul_f64 v[11:12], v[95:96], v[97:98]
	v_fma_f64 v[11:12], v[93:94], v[9:10], -v[11:12]
	v_mul_f64 v[93:94], v[93:94], v[97:98]
	v_add_f64 v[121:122], v[121:122], -v[11:12]
	v_fma_f64 v[93:94], v[95:96], v[9:10], v[93:94]
	v_mov_b32_e32 v11, v97
	v_mov_b32_e32 v12, v98
	v_add_f64 v[123:124], v[123:124], -v[93:94]
.LBB102_1028:
	s_or_b64 exec, exec, s[0:1]
	v_lshl_add_u32 v93, v92, 4, v90
	s_barrier
	ds_write2_b64 v93, v[5:6], v[7:8] offset1:1
	s_waitcnt lgkmcnt(0)
	s_barrier
	ds_read2_b64 v[117:120], v90 offset0:98 offset1:99
	s_cmp_lt_i32 s3, 51
	v_mov_b32_e32 v93, 49
	s_cbranch_scc1 .LBB102_1031
; %bb.1029:
	v_add_u32_e32 v94, 0x320, v90
	s_mov_b32 s0, 50
	v_mov_b32_e32 v93, 49
.LBB102_1030:                           ; =>This Inner Loop Header: Depth=1
	s_waitcnt lgkmcnt(0)
	v_cmp_gt_f64_e32 vcc, 0, v[117:118]
	v_xor_b32_e32 v99, 0x80000000, v118
	ds_read2_b64 v[95:98], v94 offset1:1
	v_xor_b32_e32 v101, 0x80000000, v120
	v_add_u32_e32 v94, 16, v94
	s_waitcnt lgkmcnt(0)
	v_xor_b32_e32 v103, 0x80000000, v98
	v_cndmask_b32_e32 v100, v118, v99, vcc
	v_cmp_gt_f64_e32 vcc, 0, v[119:120]
	v_mov_b32_e32 v99, v117
	v_cndmask_b32_e32 v102, v120, v101, vcc
	v_cmp_gt_f64_e32 vcc, 0, v[95:96]
	v_mov_b32_e32 v101, v119
	v_add_f64 v[99:100], v[99:100], v[101:102]
	v_xor_b32_e32 v101, 0x80000000, v96
	v_cndmask_b32_e32 v102, v96, v101, vcc
	v_cmp_gt_f64_e32 vcc, 0, v[97:98]
	v_mov_b32_e32 v101, v95
	v_cndmask_b32_e32 v104, v98, v103, vcc
	v_mov_b32_e32 v103, v97
	v_add_f64 v[101:102], v[101:102], v[103:104]
	v_cmp_lt_f64_e32 vcc, v[99:100], v[101:102]
	v_cndmask_b32_e32 v117, v117, v95, vcc
	v_mov_b32_e32 v95, s0
	s_add_i32 s0, s0, 1
	v_cndmask_b32_e32 v118, v118, v96, vcc
	v_cndmask_b32_e32 v120, v120, v98, vcc
	;; [unrolled: 1-line block ×4, first 2 shown]
	s_cmp_lg_u32 s3, s0
	s_cbranch_scc1 .LBB102_1030
.LBB102_1031:
	s_waitcnt lgkmcnt(0)
	v_cmp_eq_f64_e32 vcc, 0, v[117:118]
	v_cmp_eq_f64_e64 s[0:1], 0, v[119:120]
	s_and_b64 s[0:1], vcc, s[0:1]
	s_and_saveexec_b64 s[18:19], s[0:1]
	s_xor_b64 s[0:1], exec, s[18:19]
; %bb.1032:
	v_cmp_ne_u32_e32 vcc, 0, v91
	v_cndmask_b32_e32 v91, 50, v91, vcc
; %bb.1033:
	s_andn2_saveexec_b64 s[0:1], s[0:1]
	s_cbranch_execz .LBB102_1039
; %bb.1034:
	v_cmp_ngt_f64_e64 s[18:19], |v[117:118]|, |v[119:120]|
	s_and_saveexec_b64 s[20:21], s[18:19]
	s_xor_b64 s[18:19], exec, s[20:21]
	s_cbranch_execz .LBB102_1036
; %bb.1035:
	v_div_scale_f64 v[94:95], s[20:21], v[119:120], v[119:120], v[117:118]
	v_rcp_f64_e32 v[96:97], v[94:95]
	v_fma_f64 v[98:99], -v[94:95], v[96:97], 1.0
	v_fma_f64 v[96:97], v[96:97], v[98:99], v[96:97]
	v_div_scale_f64 v[98:99], vcc, v[117:118], v[119:120], v[117:118]
	v_fma_f64 v[100:101], -v[94:95], v[96:97], 1.0
	v_fma_f64 v[96:97], v[96:97], v[100:101], v[96:97]
	v_mul_f64 v[100:101], v[98:99], v[96:97]
	v_fma_f64 v[94:95], -v[94:95], v[100:101], v[98:99]
	v_div_fmas_f64 v[94:95], v[94:95], v[96:97], v[100:101]
	v_div_fixup_f64 v[94:95], v[94:95], v[119:120], v[117:118]
	v_fma_f64 v[96:97], v[117:118], v[94:95], v[119:120]
	v_div_scale_f64 v[98:99], s[20:21], v[96:97], v[96:97], 1.0
	v_div_scale_f64 v[104:105], vcc, 1.0, v[96:97], 1.0
	v_rcp_f64_e32 v[100:101], v[98:99]
	v_fma_f64 v[102:103], -v[98:99], v[100:101], 1.0
	v_fma_f64 v[100:101], v[100:101], v[102:103], v[100:101]
	v_fma_f64 v[102:103], -v[98:99], v[100:101], 1.0
	v_fma_f64 v[100:101], v[100:101], v[102:103], v[100:101]
	v_mul_f64 v[102:103], v[104:105], v[100:101]
	v_fma_f64 v[98:99], -v[98:99], v[102:103], v[104:105]
	v_div_fmas_f64 v[98:99], v[98:99], v[100:101], v[102:103]
	v_div_fixup_f64 v[119:120], v[98:99], v[96:97], 1.0
	v_mul_f64 v[117:118], v[94:95], v[119:120]
	v_xor_b32_e32 v120, 0x80000000, v120
.LBB102_1036:
	s_andn2_saveexec_b64 s[18:19], s[18:19]
	s_cbranch_execz .LBB102_1038
; %bb.1037:
	v_div_scale_f64 v[94:95], s[20:21], v[117:118], v[117:118], v[119:120]
	v_rcp_f64_e32 v[96:97], v[94:95]
	v_fma_f64 v[98:99], -v[94:95], v[96:97], 1.0
	v_fma_f64 v[96:97], v[96:97], v[98:99], v[96:97]
	v_div_scale_f64 v[98:99], vcc, v[119:120], v[117:118], v[119:120]
	v_fma_f64 v[100:101], -v[94:95], v[96:97], 1.0
	v_fma_f64 v[96:97], v[96:97], v[100:101], v[96:97]
	v_mul_f64 v[100:101], v[98:99], v[96:97]
	v_fma_f64 v[94:95], -v[94:95], v[100:101], v[98:99]
	v_div_fmas_f64 v[94:95], v[94:95], v[96:97], v[100:101]
	v_div_fixup_f64 v[94:95], v[94:95], v[117:118], v[119:120]
	v_fma_f64 v[96:97], v[119:120], v[94:95], v[117:118]
	v_div_scale_f64 v[98:99], s[20:21], v[96:97], v[96:97], 1.0
	v_div_scale_f64 v[104:105], vcc, 1.0, v[96:97], 1.0
	v_rcp_f64_e32 v[100:101], v[98:99]
	v_fma_f64 v[102:103], -v[98:99], v[100:101], 1.0
	v_fma_f64 v[100:101], v[100:101], v[102:103], v[100:101]
	v_fma_f64 v[102:103], -v[98:99], v[100:101], 1.0
	v_fma_f64 v[100:101], v[100:101], v[102:103], v[100:101]
	v_mul_f64 v[102:103], v[104:105], v[100:101]
	v_fma_f64 v[98:99], -v[98:99], v[102:103], v[104:105]
	v_div_fmas_f64 v[98:99], v[98:99], v[100:101], v[102:103]
	v_div_fixup_f64 v[117:118], v[98:99], v[96:97], 1.0
	v_mul_f64 v[119:120], v[94:95], -v[117:118]
.LBB102_1038:
	s_or_b64 exec, exec, s[18:19]
.LBB102_1039:
	s_or_b64 exec, exec, s[0:1]
	v_cmp_ne_u32_e32 vcc, v92, v93
	s_and_saveexec_b64 s[0:1], vcc
	s_xor_b64 s[0:1], exec, s[0:1]
	s_cbranch_execz .LBB102_1045
; %bb.1040:
	v_cmp_eq_u32_e32 vcc, 49, v92
	s_and_saveexec_b64 s[18:19], vcc
	s_cbranch_execz .LBB102_1044
; %bb.1041:
	v_cmp_ne_u32_e32 vcc, 49, v93
	s_xor_b64 s[20:21], s[6:7], -1
	s_and_b64 s[22:23], s[20:21], vcc
	s_and_saveexec_b64 s[20:21], s[22:23]
	s_cbranch_execz .LBB102_1043
; %bb.1042:
	buffer_load_dword v81, off, s[24:27], 0 offset:416 ; 4-byte Folded Reload
	buffer_load_dword v82, off, s[24:27], 0 offset:420 ; 4-byte Folded Reload
	v_ashrrev_i32_e32 v94, 31, v93
	v_lshlrev_b64 v[94:95], 2, v[93:94]
	s_waitcnt vmcnt(1)
	v_add_co_u32_e32 v94, vcc, v81, v94
	s_waitcnt vmcnt(0)
	v_addc_co_u32_e32 v95, vcc, v82, v95, vcc
	global_load_dword v0, v[94:95], off
	global_load_dword v92, v[81:82], off offset:196
	s_waitcnt vmcnt(1)
	global_store_dword v[81:82], v0, off offset:196
	s_waitcnt vmcnt(1)
	global_store_dword v[94:95], v92, off
.LBB102_1043:
	s_or_b64 exec, exec, s[20:21]
	v_mov_b32_e32 v92, v93
	v_mov_b32_e32 v0, v93
.LBB102_1044:
	s_or_b64 exec, exec, s[18:19]
.LBB102_1045:
	s_andn2_saveexec_b64 s[0:1], s[0:1]
	s_cbranch_execz .LBB102_1047
; %bb.1046:
	v_mov_b32_e32 v92, 49
	ds_write2_b64 v90, v[1:2], v[3:4] offset0:100 offset1:101
	ds_write2_b64 v90, v[121:122], v[123:124] offset0:102 offset1:103
.LBB102_1047:
	s_or_b64 exec, exec, s[0:1]
	v_cmp_lt_i32_e32 vcc, 49, v92
	s_waitcnt vmcnt(0) lgkmcnt(0)
	s_barrier
	s_and_saveexec_b64 s[0:1], vcc
	s_cbranch_execz .LBB102_1049
; %bb.1048:
	v_mul_f64 v[93:94], v[117:118], v[7:8]
	v_mul_f64 v[7:8], v[119:120], v[7:8]
	v_fma_f64 v[97:98], v[119:120], v[5:6], v[93:94]
	ds_read2_b64 v[93:96], v90 offset0:100 offset1:101
	v_fma_f64 v[5:6], v[117:118], v[5:6], -v[7:8]
	s_waitcnt lgkmcnt(0)
	v_mul_f64 v[7:8], v[95:96], v[97:98]
	v_fma_f64 v[7:8], v[93:94], v[5:6], -v[7:8]
	v_mul_f64 v[93:94], v[93:94], v[97:98]
	v_add_f64 v[1:2], v[1:2], -v[7:8]
	v_fma_f64 v[93:94], v[95:96], v[5:6], v[93:94]
	v_add_f64 v[3:4], v[3:4], -v[93:94]
	ds_read2_b64 v[93:96], v90 offset0:102 offset1:103
	s_waitcnt lgkmcnt(0)
	v_mul_f64 v[7:8], v[95:96], v[97:98]
	v_fma_f64 v[7:8], v[93:94], v[5:6], -v[7:8]
	v_mul_f64 v[93:94], v[93:94], v[97:98]
	v_add_f64 v[121:122], v[121:122], -v[7:8]
	v_fma_f64 v[93:94], v[95:96], v[5:6], v[93:94]
	v_mov_b32_e32 v7, v97
	v_mov_b32_e32 v8, v98
	v_add_f64 v[123:124], v[123:124], -v[93:94]
.LBB102_1049:
	s_or_b64 exec, exec, s[0:1]
	v_lshl_add_u32 v93, v92, 4, v90
	s_barrier
	ds_write2_b64 v93, v[1:2], v[3:4] offset1:1
	s_waitcnt lgkmcnt(0)
	s_barrier
	ds_read2_b64 v[117:120], v90 offset0:100 offset1:101
	s_cmp_lt_i32 s3, 52
	v_mov_b32_e32 v93, 50
	s_cbranch_scc1 .LBB102_1052
; %bb.1050:
	v_add_u32_e32 v94, 0x330, v90
	s_mov_b32 s0, 51
	v_mov_b32_e32 v93, 50
.LBB102_1051:                           ; =>This Inner Loop Header: Depth=1
	s_waitcnt lgkmcnt(0)
	v_cmp_gt_f64_e32 vcc, 0, v[117:118]
	v_xor_b32_e32 v99, 0x80000000, v118
	ds_read2_b64 v[95:98], v94 offset1:1
	v_xor_b32_e32 v101, 0x80000000, v120
	v_add_u32_e32 v94, 16, v94
	s_waitcnt lgkmcnt(0)
	v_xor_b32_e32 v103, 0x80000000, v98
	v_cndmask_b32_e32 v100, v118, v99, vcc
	v_cmp_gt_f64_e32 vcc, 0, v[119:120]
	v_mov_b32_e32 v99, v117
	v_cndmask_b32_e32 v102, v120, v101, vcc
	v_cmp_gt_f64_e32 vcc, 0, v[95:96]
	v_mov_b32_e32 v101, v119
	v_add_f64 v[99:100], v[99:100], v[101:102]
	v_xor_b32_e32 v101, 0x80000000, v96
	v_cndmask_b32_e32 v102, v96, v101, vcc
	v_cmp_gt_f64_e32 vcc, 0, v[97:98]
	v_mov_b32_e32 v101, v95
	v_cndmask_b32_e32 v104, v98, v103, vcc
	v_mov_b32_e32 v103, v97
	v_add_f64 v[101:102], v[101:102], v[103:104]
	v_cmp_lt_f64_e32 vcc, v[99:100], v[101:102]
	v_cndmask_b32_e32 v117, v117, v95, vcc
	v_mov_b32_e32 v95, s0
	s_add_i32 s0, s0, 1
	v_cndmask_b32_e32 v118, v118, v96, vcc
	v_cndmask_b32_e32 v120, v120, v98, vcc
	v_cndmask_b32_e32 v119, v119, v97, vcc
	v_cndmask_b32_e32 v93, v93, v95, vcc
	s_cmp_lg_u32 s3, s0
	s_cbranch_scc1 .LBB102_1051
.LBB102_1052:
	s_waitcnt lgkmcnt(0)
	v_cmp_eq_f64_e32 vcc, 0, v[117:118]
	v_cmp_eq_f64_e64 s[0:1], 0, v[119:120]
	s_and_b64 s[0:1], vcc, s[0:1]
	s_and_saveexec_b64 s[18:19], s[0:1]
	s_xor_b64 s[0:1], exec, s[18:19]
; %bb.1053:
	v_cmp_ne_u32_e32 vcc, 0, v91
	v_cndmask_b32_e32 v91, 51, v91, vcc
; %bb.1054:
	s_andn2_saveexec_b64 s[0:1], s[0:1]
	s_cbranch_execz .LBB102_1060
; %bb.1055:
	v_cmp_ngt_f64_e64 s[18:19], |v[117:118]|, |v[119:120]|
	s_and_saveexec_b64 s[20:21], s[18:19]
	s_xor_b64 s[18:19], exec, s[20:21]
	s_cbranch_execz .LBB102_1057
; %bb.1056:
	v_div_scale_f64 v[94:95], s[20:21], v[119:120], v[119:120], v[117:118]
	v_rcp_f64_e32 v[96:97], v[94:95]
	v_fma_f64 v[98:99], -v[94:95], v[96:97], 1.0
	v_fma_f64 v[96:97], v[96:97], v[98:99], v[96:97]
	v_div_scale_f64 v[98:99], vcc, v[117:118], v[119:120], v[117:118]
	v_fma_f64 v[100:101], -v[94:95], v[96:97], 1.0
	v_fma_f64 v[96:97], v[96:97], v[100:101], v[96:97]
	v_mul_f64 v[100:101], v[98:99], v[96:97]
	v_fma_f64 v[94:95], -v[94:95], v[100:101], v[98:99]
	v_div_fmas_f64 v[94:95], v[94:95], v[96:97], v[100:101]
	v_div_fixup_f64 v[94:95], v[94:95], v[119:120], v[117:118]
	v_fma_f64 v[96:97], v[117:118], v[94:95], v[119:120]
	v_div_scale_f64 v[98:99], s[20:21], v[96:97], v[96:97], 1.0
	v_div_scale_f64 v[104:105], vcc, 1.0, v[96:97], 1.0
	v_rcp_f64_e32 v[100:101], v[98:99]
	v_fma_f64 v[102:103], -v[98:99], v[100:101], 1.0
	v_fma_f64 v[100:101], v[100:101], v[102:103], v[100:101]
	v_fma_f64 v[102:103], -v[98:99], v[100:101], 1.0
	v_fma_f64 v[100:101], v[100:101], v[102:103], v[100:101]
	v_mul_f64 v[102:103], v[104:105], v[100:101]
	v_fma_f64 v[98:99], -v[98:99], v[102:103], v[104:105]
	v_div_fmas_f64 v[98:99], v[98:99], v[100:101], v[102:103]
	v_div_fixup_f64 v[119:120], v[98:99], v[96:97], 1.0
	v_mul_f64 v[117:118], v[94:95], v[119:120]
	v_xor_b32_e32 v120, 0x80000000, v120
.LBB102_1057:
	s_andn2_saveexec_b64 s[18:19], s[18:19]
	s_cbranch_execz .LBB102_1059
; %bb.1058:
	v_div_scale_f64 v[94:95], s[20:21], v[117:118], v[117:118], v[119:120]
	v_rcp_f64_e32 v[96:97], v[94:95]
	v_fma_f64 v[98:99], -v[94:95], v[96:97], 1.0
	v_fma_f64 v[96:97], v[96:97], v[98:99], v[96:97]
	v_div_scale_f64 v[98:99], vcc, v[119:120], v[117:118], v[119:120]
	v_fma_f64 v[100:101], -v[94:95], v[96:97], 1.0
	v_fma_f64 v[96:97], v[96:97], v[100:101], v[96:97]
	v_mul_f64 v[100:101], v[98:99], v[96:97]
	v_fma_f64 v[94:95], -v[94:95], v[100:101], v[98:99]
	v_div_fmas_f64 v[94:95], v[94:95], v[96:97], v[100:101]
	v_div_fixup_f64 v[94:95], v[94:95], v[117:118], v[119:120]
	v_fma_f64 v[96:97], v[119:120], v[94:95], v[117:118]
	v_div_scale_f64 v[98:99], s[20:21], v[96:97], v[96:97], 1.0
	v_div_scale_f64 v[104:105], vcc, 1.0, v[96:97], 1.0
	v_rcp_f64_e32 v[100:101], v[98:99]
	v_fma_f64 v[102:103], -v[98:99], v[100:101], 1.0
	v_fma_f64 v[100:101], v[100:101], v[102:103], v[100:101]
	v_fma_f64 v[102:103], -v[98:99], v[100:101], 1.0
	v_fma_f64 v[100:101], v[100:101], v[102:103], v[100:101]
	v_mul_f64 v[102:103], v[104:105], v[100:101]
	v_fma_f64 v[98:99], -v[98:99], v[102:103], v[104:105]
	v_div_fmas_f64 v[98:99], v[98:99], v[100:101], v[102:103]
	v_div_fixup_f64 v[117:118], v[98:99], v[96:97], 1.0
	v_mul_f64 v[119:120], v[94:95], -v[117:118]
.LBB102_1059:
	s_or_b64 exec, exec, s[18:19]
.LBB102_1060:
	s_or_b64 exec, exec, s[0:1]
	v_cmp_ne_u32_e32 vcc, v92, v93
	s_and_saveexec_b64 s[0:1], vcc
	s_xor_b64 s[0:1], exec, s[0:1]
	s_cbranch_execz .LBB102_1066
; %bb.1061:
	v_cmp_eq_u32_e32 vcc, 50, v92
	s_and_saveexec_b64 s[18:19], vcc
	s_cbranch_execz .LBB102_1065
; %bb.1062:
	v_cmp_ne_u32_e32 vcc, 50, v93
	s_xor_b64 s[20:21], s[6:7], -1
	s_and_b64 s[22:23], s[20:21], vcc
	s_and_saveexec_b64 s[20:21], s[22:23]
	s_cbranch_execz .LBB102_1064
; %bb.1063:
	buffer_load_dword v81, off, s[24:27], 0 offset:416 ; 4-byte Folded Reload
	buffer_load_dword v82, off, s[24:27], 0 offset:420 ; 4-byte Folded Reload
	v_ashrrev_i32_e32 v94, 31, v93
	v_lshlrev_b64 v[94:95], 2, v[93:94]
	s_waitcnt vmcnt(1)
	v_add_co_u32_e32 v94, vcc, v81, v94
	s_waitcnt vmcnt(0)
	v_addc_co_u32_e32 v95, vcc, v82, v95, vcc
	global_load_dword v0, v[94:95], off
	global_load_dword v92, v[81:82], off offset:200
	s_waitcnt vmcnt(1)
	global_store_dword v[81:82], v0, off offset:200
	s_waitcnt vmcnt(1)
	global_store_dword v[94:95], v92, off
.LBB102_1064:
	s_or_b64 exec, exec, s[20:21]
	v_mov_b32_e32 v92, v93
	v_mov_b32_e32 v0, v93
.LBB102_1065:
	s_or_b64 exec, exec, s[18:19]
.LBB102_1066:
	s_andn2_saveexec_b64 s[0:1], s[0:1]
; %bb.1067:
	v_mov_b32_e32 v92, 50
	ds_write2_b64 v90, v[121:122], v[123:124] offset0:102 offset1:103
; %bb.1068:
	s_or_b64 exec, exec, s[0:1]
	v_cmp_lt_i32_e32 vcc, 50, v92
	s_waitcnt vmcnt(0) lgkmcnt(0)
	s_barrier
	s_and_saveexec_b64 s[0:1], vcc
	s_cbranch_execz .LBB102_1070
; %bb.1069:
	v_mul_f64 v[93:94], v[117:118], v[3:4]
	v_mul_f64 v[3:4], v[119:120], v[3:4]
	v_fma_f64 v[97:98], v[119:120], v[1:2], v[93:94]
	ds_read2_b64 v[93:96], v90 offset0:102 offset1:103
	v_fma_f64 v[1:2], v[117:118], v[1:2], -v[3:4]
	s_waitcnt lgkmcnt(0)
	v_mul_f64 v[3:4], v[95:96], v[97:98]
	v_fma_f64 v[3:4], v[93:94], v[1:2], -v[3:4]
	v_mul_f64 v[93:94], v[93:94], v[97:98]
	v_add_f64 v[121:122], v[121:122], -v[3:4]
	v_fma_f64 v[93:94], v[95:96], v[1:2], v[93:94]
	v_mov_b32_e32 v3, v97
	v_mov_b32_e32 v4, v98
	v_add_f64 v[123:124], v[123:124], -v[93:94]
.LBB102_1070:
	s_or_b64 exec, exec, s[0:1]
	v_lshl_add_u32 v93, v92, 4, v90
	s_barrier
	ds_write2_b64 v93, v[121:122], v[123:124] offset1:1
	s_waitcnt lgkmcnt(0)
	s_barrier
	ds_read2_b64 v[117:120], v90 offset0:102 offset1:103
	s_cmp_lt_i32 s3, 53
	v_mov_b32_e32 v93, 51
	s_cbranch_scc1 .LBB102_1073
; %bb.1071:
	v_add_u32_e32 v90, 0x340, v90
	s_mov_b32 s0, 52
	v_mov_b32_e32 v93, 51
.LBB102_1072:                           ; =>This Inner Loop Header: Depth=1
	s_waitcnt lgkmcnt(0)
	v_cmp_gt_f64_e32 vcc, 0, v[117:118]
	v_xor_b32_e32 v98, 0x80000000, v118
	ds_read2_b64 v[94:97], v90 offset1:1
	v_xor_b32_e32 v100, 0x80000000, v120
	v_add_u32_e32 v90, 16, v90
	s_waitcnt lgkmcnt(0)
	v_xor_b32_e32 v102, 0x80000000, v97
	v_cndmask_b32_e32 v99, v118, v98, vcc
	v_cmp_gt_f64_e32 vcc, 0, v[119:120]
	v_mov_b32_e32 v98, v117
	v_cndmask_b32_e32 v101, v120, v100, vcc
	v_cmp_gt_f64_e32 vcc, 0, v[94:95]
	v_mov_b32_e32 v100, v119
	v_add_f64 v[98:99], v[98:99], v[100:101]
	v_xor_b32_e32 v100, 0x80000000, v95
	v_cndmask_b32_e32 v101, v95, v100, vcc
	v_cmp_gt_f64_e32 vcc, 0, v[96:97]
	v_mov_b32_e32 v100, v94
	v_cndmask_b32_e32 v103, v97, v102, vcc
	v_mov_b32_e32 v102, v96
	v_add_f64 v[100:101], v[100:101], v[102:103]
	v_cmp_lt_f64_e32 vcc, v[98:99], v[100:101]
	v_cndmask_b32_e32 v117, v117, v94, vcc
	v_mov_b32_e32 v94, s0
	s_add_i32 s0, s0, 1
	v_cndmask_b32_e32 v118, v118, v95, vcc
	v_cndmask_b32_e32 v120, v120, v97, vcc
	;; [unrolled: 1-line block ×4, first 2 shown]
	s_cmp_lg_u32 s3, s0
	s_cbranch_scc1 .LBB102_1072
.LBB102_1073:
	s_waitcnt lgkmcnt(0)
	v_cmp_eq_f64_e32 vcc, 0, v[117:118]
	v_cmp_eq_f64_e64 s[0:1], 0, v[119:120]
	s_and_b64 s[0:1], vcc, s[0:1]
	s_and_saveexec_b64 s[18:19], s[0:1]
	s_xor_b64 s[0:1], exec, s[18:19]
; %bb.1074:
	v_cmp_ne_u32_e32 vcc, 0, v91
	v_cndmask_b32_e32 v91, 52, v91, vcc
; %bb.1075:
	s_andn2_saveexec_b64 s[0:1], s[0:1]
	s_cbranch_execz .LBB102_1081
; %bb.1076:
	v_cmp_ngt_f64_e64 s[18:19], |v[117:118]|, |v[119:120]|
	s_and_saveexec_b64 s[20:21], s[18:19]
	s_xor_b64 s[18:19], exec, s[20:21]
	s_cbranch_execz .LBB102_1078
; %bb.1077:
	v_div_scale_f64 v[94:95], s[20:21], v[119:120], v[119:120], v[117:118]
	v_rcp_f64_e32 v[96:97], v[94:95]
	v_fma_f64 v[98:99], -v[94:95], v[96:97], 1.0
	v_fma_f64 v[96:97], v[96:97], v[98:99], v[96:97]
	v_div_scale_f64 v[98:99], vcc, v[117:118], v[119:120], v[117:118]
	v_fma_f64 v[100:101], -v[94:95], v[96:97], 1.0
	v_fma_f64 v[96:97], v[96:97], v[100:101], v[96:97]
	v_mul_f64 v[100:101], v[98:99], v[96:97]
	v_fma_f64 v[94:95], -v[94:95], v[100:101], v[98:99]
	v_div_fmas_f64 v[94:95], v[94:95], v[96:97], v[100:101]
	v_div_fixup_f64 v[94:95], v[94:95], v[119:120], v[117:118]
	v_fma_f64 v[96:97], v[117:118], v[94:95], v[119:120]
	v_div_scale_f64 v[98:99], s[20:21], v[96:97], v[96:97], 1.0
	v_div_scale_f64 v[104:105], vcc, 1.0, v[96:97], 1.0
	v_rcp_f64_e32 v[100:101], v[98:99]
	v_fma_f64 v[102:103], -v[98:99], v[100:101], 1.0
	v_fma_f64 v[100:101], v[100:101], v[102:103], v[100:101]
	v_fma_f64 v[102:103], -v[98:99], v[100:101], 1.0
	v_fma_f64 v[100:101], v[100:101], v[102:103], v[100:101]
	v_mul_f64 v[102:103], v[104:105], v[100:101]
	v_fma_f64 v[98:99], -v[98:99], v[102:103], v[104:105]
	v_div_fmas_f64 v[98:99], v[98:99], v[100:101], v[102:103]
	v_div_fixup_f64 v[119:120], v[98:99], v[96:97], 1.0
	v_mul_f64 v[117:118], v[94:95], v[119:120]
	v_xor_b32_e32 v120, 0x80000000, v120
.LBB102_1078:
	s_andn2_saveexec_b64 s[18:19], s[18:19]
	s_cbranch_execz .LBB102_1080
; %bb.1079:
	v_div_scale_f64 v[94:95], s[20:21], v[117:118], v[117:118], v[119:120]
	v_rcp_f64_e32 v[96:97], v[94:95]
	v_fma_f64 v[98:99], -v[94:95], v[96:97], 1.0
	v_fma_f64 v[96:97], v[96:97], v[98:99], v[96:97]
	v_div_scale_f64 v[98:99], vcc, v[119:120], v[117:118], v[119:120]
	v_fma_f64 v[100:101], -v[94:95], v[96:97], 1.0
	v_fma_f64 v[96:97], v[96:97], v[100:101], v[96:97]
	v_mul_f64 v[100:101], v[98:99], v[96:97]
	v_fma_f64 v[94:95], -v[94:95], v[100:101], v[98:99]
	v_div_fmas_f64 v[94:95], v[94:95], v[96:97], v[100:101]
	v_div_fixup_f64 v[94:95], v[94:95], v[117:118], v[119:120]
	v_fma_f64 v[96:97], v[119:120], v[94:95], v[117:118]
	v_div_scale_f64 v[98:99], s[20:21], v[96:97], v[96:97], 1.0
	v_div_scale_f64 v[104:105], vcc, 1.0, v[96:97], 1.0
	v_rcp_f64_e32 v[100:101], v[98:99]
	v_fma_f64 v[102:103], -v[98:99], v[100:101], 1.0
	v_fma_f64 v[100:101], v[100:101], v[102:103], v[100:101]
	v_fma_f64 v[102:103], -v[98:99], v[100:101], 1.0
	v_fma_f64 v[100:101], v[100:101], v[102:103], v[100:101]
	v_mul_f64 v[102:103], v[104:105], v[100:101]
	v_fma_f64 v[98:99], -v[98:99], v[102:103], v[104:105]
	v_div_fmas_f64 v[98:99], v[98:99], v[100:101], v[102:103]
	v_div_fixup_f64 v[117:118], v[98:99], v[96:97], 1.0
	v_mul_f64 v[119:120], v[94:95], -v[117:118]
.LBB102_1080:
	s_or_b64 exec, exec, s[18:19]
.LBB102_1081:
	s_or_b64 exec, exec, s[0:1]
	v_cmp_ne_u32_e32 vcc, v92, v93
	v_mov_b32_e32 v94, 51
	s_and_saveexec_b64 s[0:1], vcc
	s_cbranch_execz .LBB102_1087
; %bb.1082:
	v_cmp_eq_u32_e32 vcc, 51, v92
	s_and_saveexec_b64 s[18:19], vcc
	s_cbranch_execz .LBB102_1086
; %bb.1083:
	v_cmp_ne_u32_e32 vcc, 51, v93
	s_xor_b64 s[6:7], s[6:7], -1
	s_and_b64 s[20:21], s[6:7], vcc
	s_and_saveexec_b64 s[6:7], s[20:21]
	s_cbranch_execz .LBB102_1085
; %bb.1084:
	buffer_load_dword v81, off, s[24:27], 0 offset:416 ; 4-byte Folded Reload
	buffer_load_dword v82, off, s[24:27], 0 offset:420 ; 4-byte Folded Reload
	v_ashrrev_i32_e32 v94, 31, v93
	v_lshlrev_b64 v[94:95], 2, v[93:94]
	s_waitcnt vmcnt(1)
	v_add_co_u32_e32 v94, vcc, v81, v94
	s_waitcnt vmcnt(0)
	v_addc_co_u32_e32 v95, vcc, v82, v95, vcc
	global_load_dword v0, v[94:95], off
	global_load_dword v90, v[81:82], off offset:204
	s_waitcnt vmcnt(1)
	global_store_dword v[81:82], v0, off offset:204
	s_waitcnt vmcnt(1)
	global_store_dword v[94:95], v90, off
.LBB102_1085:
	s_or_b64 exec, exec, s[6:7]
	v_mov_b32_e32 v92, v93
	v_mov_b32_e32 v0, v93
.LBB102_1086:
	s_or_b64 exec, exec, s[18:19]
	v_mov_b32_e32 v94, v92
.LBB102_1087:
	s_or_b64 exec, exec, s[0:1]
	v_cmp_gt_i32_e32 vcc, 52, v94
	v_ashrrev_i32_e32 v95, 31, v94
	s_waitcnt vmcnt(0)
	s_barrier
	s_barrier
	s_and_saveexec_b64 s[0:1], vcc
	s_cbranch_execz .LBB102_1089
; %bb.1088:
	v_mul_lo_u32 v90, s15, v109
	v_mul_lo_u32 v96, s14, v110
	v_mad_u64_u32 v[92:93], s[6:7], s14, v109, 0
	s_lshl_b64 s[6:7], s[12:13], 2
	v_add3_u32 v0, v0, s17, 1
	v_add3_u32 v93, v93, v96, v90
	v_lshlrev_b64 v[92:93], 2, v[92:93]
	v_mov_b32_e32 v90, s11
	v_add_co_u32_e32 v92, vcc, s10, v92
	v_addc_co_u32_e32 v90, vcc, v90, v93, vcc
	v_mov_b32_e32 v93, s7
	v_add_co_u32_e32 v96, vcc, s6, v92
	v_addc_co_u32_e32 v90, vcc, v90, v93, vcc
	v_lshlrev_b64 v[92:93], 2, v[94:95]
	v_add_co_u32_e32 v92, vcc, v96, v92
	v_addc_co_u32_e32 v93, vcc, v90, v93, vcc
	global_store_dword v[92:93], v0, off
.LBB102_1089:
	s_or_b64 exec, exec, s[0:1]
	v_mov_b32_e32 v81, v85
	v_mov_b32_e32 v82, v86
	;; [unrolled: 1-line block ×4, first 2 shown]
	v_cmp_eq_u32_e32 vcc, 0, v94
	s_and_saveexec_b64 s[6:7], vcc
	s_cbranch_execz .LBB102_1092
; %bb.1090:
	v_lshlrev_b64 v[92:93], 2, v[109:110]
	v_mov_b32_e32 v0, s5
	v_add_co_u32_e32 v96, vcc, s4, v92
	v_addc_co_u32_e32 v97, vcc, v0, v93, vcc
	global_load_dword v0, v[96:97], off
	v_cmp_ne_u32_e64 s[0:1], 0, v91
	s_waitcnt vmcnt(0)
	v_cmp_eq_u32_e32 vcc, 0, v0
	s_and_b64 s[0:1], vcc, s[0:1]
	s_and_b64 exec, exec, s[0:1]
	s_cbranch_execz .LBB102_1092
; %bb.1091:
	v_add_u32_e32 v0, s17, v91
	global_store_dword v[96:97], v0, off
.LBB102_1092:
	s_or_b64 exec, exec, s[6:7]
	buffer_load_dword v85, off, s[24:27], 0 offset:456 ; 4-byte Folded Reload
	buffer_load_dword v86, off, s[24:27], 0 offset:460 ; 4-byte Folded Reload
	;; [unrolled: 1-line block ×4, first 2 shown]
	v_mul_f64 v[90:91], v[117:118], v[123:124]
	v_mul_f64 v[92:93], v[119:120], v[123:124]
	v_cmp_lt_i32_e32 vcc, 51, v94
	v_mov_b32_e32 v0, s9
	v_fma_f64 v[90:91], v[119:120], v[121:122], v[90:91]
	v_fma_f64 v[92:93], v[117:118], v[121:122], -v[92:93]
	v_cndmask_b32_e32 v120, v124, v91, vcc
	v_cndmask_b32_e32 v119, v123, v90, vcc
	v_lshlrev_b64 v[90:91], 4, v[94:95]
	v_cndmask_b32_e32 v118, v122, v93, vcc
	v_cndmask_b32_e32 v117, v121, v92, vcc
	v_add_co_u32_e32 v90, vcc, v127, v90
	v_addc_co_u32_e32 v91, vcc, v89, v91, vcc
	s_waitcnt vmcnt(0)
	global_store_dwordx4 v[90:91], v[85:88], off
	buffer_load_dword v85, off, s[24:27], 0 offset:440 ; 4-byte Folded Reload
	s_nop 0
	buffer_load_dword v86, off, s[24:27], 0 offset:444 ; 4-byte Folded Reload
	buffer_load_dword v87, off, s[24:27], 0 offset:448 ; 4-byte Folded Reload
	;; [unrolled: 1-line block ×3, first 2 shown]
	v_add_co_u32_e32 v90, vcc, s8, v90
	v_addc_co_u32_e32 v91, vcc, v91, v0, vcc
	s_waitcnt vmcnt(0)
	global_store_dwordx4 v[90:91], v[85:88], off
	buffer_load_dword v85, off, s[24:27], 0 offset:424 ; 4-byte Folded Reload
	s_nop 0
	buffer_load_dword v86, off, s[24:27], 0 offset:428 ; 4-byte Folded Reload
	buffer_load_dword v87, off, s[24:27], 0 offset:432 ; 4-byte Folded Reload
	;; [unrolled: 1-line block ×3, first 2 shown]
	v_add_u32_e32 v90, s16, v94
	v_ashrrev_i32_e32 v91, 31, v90
	v_lshlrev_b64 v[91:92], 4, v[90:91]
	v_add_u32_e32 v90, s2, v90
	v_add_co_u32_e32 v91, vcc, v127, v91
	v_addc_co_u32_e32 v92, vcc, v89, v92, vcc
	s_waitcnt vmcnt(0)
	global_store_dwordx4 v[91:92], v[85:88], off
	buffer_load_dword v85, off, s[24:27], 0 offset:400 ; 4-byte Folded Reload
	s_nop 0
	buffer_load_dword v86, off, s[24:27], 0 offset:404 ; 4-byte Folded Reload
	buffer_load_dword v87, off, s[24:27], 0 offset:408 ; 4-byte Folded Reload
	buffer_load_dword v88, off, s[24:27], 0 offset:412 ; 4-byte Folded Reload
	v_ashrrev_i32_e32 v91, 31, v90
	v_lshlrev_b64 v[91:92], 4, v[90:91]
	v_add_u32_e32 v90, s2, v90
	v_add_co_u32_e32 v91, vcc, v127, v91
	v_addc_co_u32_e32 v92, vcc, v89, v92, vcc
	s_waitcnt vmcnt(0)
	global_store_dwordx4 v[91:92], v[85:88], off
	buffer_load_dword v85, off, s[24:27], 0 offset:384 ; 4-byte Folded Reload
	s_nop 0
	buffer_load_dword v86, off, s[24:27], 0 offset:388 ; 4-byte Folded Reload
	buffer_load_dword v87, off, s[24:27], 0 offset:392 ; 4-byte Folded Reload
	buffer_load_dword v88, off, s[24:27], 0 offset:396 ; 4-byte Folded Reload
	;; [unrolled: 12-line block ×25, first 2 shown]
	v_ashrrev_i32_e32 v91, 31, v90
	v_lshlrev_b64 v[91:92], 4, v[90:91]
	v_add_u32_e32 v90, s2, v90
	v_add_co_u32_e32 v91, vcc, v127, v91
	v_addc_co_u32_e32 v92, vcc, v89, v92, vcc
	s_waitcnt vmcnt(0)
	global_store_dwordx4 v[91:92], v[85:88], off
	buffer_load_dword v85, off, s[24:27], 0 ; 4-byte Folded Reload
	s_nop 0
	buffer_load_dword v86, off, s[24:27], 0 offset:4 ; 4-byte Folded Reload
	buffer_load_dword v87, off, s[24:27], 0 offset:8 ; 4-byte Folded Reload
	;; [unrolled: 1-line block ×3, first 2 shown]
	v_ashrrev_i32_e32 v91, 31, v90
	v_lshlrev_b64 v[91:92], 4, v[90:91]
	v_add_u32_e32 v90, s2, v90
	v_add_co_u32_e32 v91, vcc, v127, v91
	v_addc_co_u32_e32 v92, vcc, v89, v92, vcc
	s_waitcnt vmcnt(0)
	global_store_dwordx4 v[91:92], v[85:88], off
	v_ashrrev_i32_e32 v91, 31, v90
	v_lshlrev_b64 v[91:92], 4, v[90:91]
	v_add_u32_e32 v85, s2, v90
	v_ashrrev_i32_e32 v86, 31, v85
	v_add_co_u32_e32 v91, vcc, v127, v91
	v_lshlrev_b64 v[86:87], 4, v[85:86]
	v_addc_co_u32_e32 v92, vcc, v89, v92, vcc
	v_add_co_u32_e32 v86, vcc, v127, v86
	v_addc_co_u32_e32 v87, vcc, v89, v87, vcc
	global_store_dwordx4 v[91:92], v[111:114], off
	global_store_dwordx4 v[86:87], v[81:84], off
	s_nop 0
	v_add_u32_e32 v81, s2, v85
	v_ashrrev_i32_e32 v82, 31, v81
	v_lshlrev_b64 v[82:83], 4, v[81:82]
	v_add_co_u32_e32 v82, vcc, v127, v82
	v_addc_co_u32_e32 v83, vcc, v89, v83, vcc
	global_store_dwordx4 v[82:83], v[77:80], off
	s_nop 0
	v_add_u32_e32 v77, s2, v81
	v_ashrrev_i32_e32 v78, 31, v77
	v_lshlrev_b64 v[78:79], 4, v[77:78]
	v_add_co_u32_e32 v78, vcc, v127, v78
	v_addc_co_u32_e32 v79, vcc, v89, v79, vcc
	global_store_dwordx4 v[78:79], v[73:76], off
	s_nop 0
	v_add_u32_e32 v73, s2, v77
	v_ashrrev_i32_e32 v74, 31, v73
	v_lshlrev_b64 v[74:75], 4, v[73:74]
	v_add_co_u32_e32 v74, vcc, v127, v74
	v_addc_co_u32_e32 v75, vcc, v89, v75, vcc
	global_store_dwordx4 v[74:75], v[69:72], off
	s_nop 0
	v_add_u32_e32 v69, s2, v73
	v_ashrrev_i32_e32 v70, 31, v69
	v_lshlrev_b64 v[70:71], 4, v[69:70]
	v_add_co_u32_e32 v70, vcc, v127, v70
	v_addc_co_u32_e32 v71, vcc, v89, v71, vcc
	global_store_dwordx4 v[70:71], v[65:68], off
	s_nop 0
	v_add_u32_e32 v65, s2, v69
	v_ashrrev_i32_e32 v66, 31, v65
	v_lshlrev_b64 v[66:67], 4, v[65:66]
	v_add_co_u32_e32 v66, vcc, v127, v66
	v_addc_co_u32_e32 v67, vcc, v89, v67, vcc
	global_store_dwordx4 v[66:67], v[61:64], off
	s_nop 0
	v_add_u32_e32 v61, s2, v65
	v_ashrrev_i32_e32 v62, 31, v61
	v_lshlrev_b64 v[62:63], 4, v[61:62]
	v_add_co_u32_e32 v62, vcc, v127, v62
	v_addc_co_u32_e32 v63, vcc, v89, v63, vcc
	global_store_dwordx4 v[62:63], v[57:60], off
	s_nop 0
	v_add_u32_e32 v57, s2, v61
	v_ashrrev_i32_e32 v58, 31, v57
	v_lshlrev_b64 v[58:59], 4, v[57:58]
	v_add_co_u32_e32 v58, vcc, v127, v58
	v_addc_co_u32_e32 v59, vcc, v89, v59, vcc
	global_store_dwordx4 v[58:59], v[53:56], off
	s_nop 0
	v_add_u32_e32 v53, s2, v57
	v_ashrrev_i32_e32 v54, 31, v53
	v_lshlrev_b64 v[54:55], 4, v[53:54]
	v_add_co_u32_e32 v54, vcc, v127, v54
	v_addc_co_u32_e32 v55, vcc, v89, v55, vcc
	global_store_dwordx4 v[54:55], v[49:52], off
	s_nop 0
	v_add_u32_e32 v49, s2, v53
	v_ashrrev_i32_e32 v50, 31, v49
	v_lshlrev_b64 v[50:51], 4, v[49:50]
	v_add_co_u32_e32 v50, vcc, v127, v50
	v_addc_co_u32_e32 v51, vcc, v89, v51, vcc
	global_store_dwordx4 v[50:51], v[45:48], off
	s_nop 0
	v_add_u32_e32 v45, s2, v49
	v_ashrrev_i32_e32 v46, 31, v45
	v_lshlrev_b64 v[46:47], 4, v[45:46]
	v_add_co_u32_e32 v46, vcc, v127, v46
	v_addc_co_u32_e32 v47, vcc, v89, v47, vcc
	global_store_dwordx4 v[46:47], v[41:44], off
	s_nop 0
	v_add_u32_e32 v41, s2, v45
	v_ashrrev_i32_e32 v42, 31, v41
	v_lshlrev_b64 v[42:43], 4, v[41:42]
	v_add_co_u32_e32 v42, vcc, v127, v42
	v_addc_co_u32_e32 v43, vcc, v89, v43, vcc
	global_store_dwordx4 v[42:43], v[37:40], off
	s_nop 0
	v_add_u32_e32 v37, s2, v41
	v_ashrrev_i32_e32 v38, 31, v37
	v_lshlrev_b64 v[38:39], 4, v[37:38]
	v_add_co_u32_e32 v38, vcc, v127, v38
	v_addc_co_u32_e32 v39, vcc, v89, v39, vcc
	global_store_dwordx4 v[38:39], v[33:36], off
	s_nop 0
	v_add_u32_e32 v33, s2, v37
	v_ashrrev_i32_e32 v34, 31, v33
	v_lshlrev_b64 v[34:35], 4, v[33:34]
	v_add_co_u32_e32 v34, vcc, v127, v34
	v_addc_co_u32_e32 v35, vcc, v89, v35, vcc
	global_store_dwordx4 v[34:35], v[29:32], off
	s_nop 0
	v_add_u32_e32 v29, s2, v33
	v_ashrrev_i32_e32 v30, 31, v29
	v_lshlrev_b64 v[30:31], 4, v[29:30]
	v_add_co_u32_e32 v30, vcc, v127, v30
	v_addc_co_u32_e32 v31, vcc, v89, v31, vcc
	global_store_dwordx4 v[30:31], v[25:28], off
	s_nop 0
	v_add_u32_e32 v25, s2, v29
	v_ashrrev_i32_e32 v26, 31, v25
	v_lshlrev_b64 v[26:27], 4, v[25:26]
	v_add_co_u32_e32 v26, vcc, v127, v26
	v_addc_co_u32_e32 v27, vcc, v89, v27, vcc
	global_store_dwordx4 v[26:27], v[21:24], off
	s_nop 0
	v_add_u32_e32 v21, s2, v25
	v_ashrrev_i32_e32 v22, 31, v21
	v_lshlrev_b64 v[22:23], 4, v[21:22]
	v_add_co_u32_e32 v22, vcc, v127, v22
	v_addc_co_u32_e32 v23, vcc, v89, v23, vcc
	global_store_dwordx4 v[22:23], v[17:20], off
	s_nop 0
	v_add_u32_e32 v17, s2, v21
	v_ashrrev_i32_e32 v18, 31, v17
	v_lshlrev_b64 v[18:19], 4, v[17:18]
	v_add_co_u32_e32 v18, vcc, v127, v18
	v_addc_co_u32_e32 v19, vcc, v89, v19, vcc
	global_store_dwordx4 v[18:19], v[13:16], off
	s_nop 0
	v_add_u32_e32 v13, s2, v17
	v_ashrrev_i32_e32 v14, 31, v13
	v_lshlrev_b64 v[14:15], 4, v[13:14]
	v_add_co_u32_e32 v14, vcc, v127, v14
	v_addc_co_u32_e32 v15, vcc, v89, v15, vcc
	global_store_dwordx4 v[14:15], v[9:12], off
	s_nop 0
	v_add_u32_e32 v9, s2, v13
	v_ashrrev_i32_e32 v10, 31, v9
	v_lshlrev_b64 v[10:11], 4, v[9:10]
	v_add_co_u32_e32 v10, vcc, v127, v10
	v_addc_co_u32_e32 v11, vcc, v89, v11, vcc
	global_store_dwordx4 v[10:11], v[5:8], off
	s_nop 0
	v_add_u32_e32 v5, s2, v9
	v_ashrrev_i32_e32 v6, 31, v5
	v_lshlrev_b64 v[6:7], 4, v[5:6]
	v_add_u32_e32 v0, s2, v5
	v_add_co_u32_e32 v6, vcc, v127, v6
	v_addc_co_u32_e32 v7, vcc, v89, v7, vcc
	global_store_dwordx4 v[6:7], v[1:4], off
	s_nop 0
	v_ashrrev_i32_e32 v1, 31, v0
	v_lshlrev_b64 v[0:1], 4, v[0:1]
	v_add_co_u32_e32 v0, vcc, v127, v0
	v_addc_co_u32_e32 v1, vcc, v89, v1, vcc
	global_store_dwordx4 v[0:1], v[117:120], off
.LBB102_1093:
	s_endpgm
	.section	.rodata,"a",@progbits
	.p2align	6, 0x0
	.amdhsa_kernel _ZN9rocsolver6v33100L18getf2_small_kernelILi52E19rocblas_complex_numIdEiiPS3_EEvT1_T3_lS5_lPS5_llPT2_S5_S5_S7_l
		.amdhsa_group_segment_fixed_size 0
		.amdhsa_private_segment_fixed_size 484
		.amdhsa_kernarg_size 352
		.amdhsa_user_sgpr_count 6
		.amdhsa_user_sgpr_private_segment_buffer 1
		.amdhsa_user_sgpr_dispatch_ptr 0
		.amdhsa_user_sgpr_queue_ptr 0
		.amdhsa_user_sgpr_kernarg_segment_ptr 1
		.amdhsa_user_sgpr_dispatch_id 0
		.amdhsa_user_sgpr_flat_scratch_init 0
		.amdhsa_user_sgpr_private_segment_size 0
		.amdhsa_uses_dynamic_stack 0
		.amdhsa_system_sgpr_private_segment_wavefront_offset 1
		.amdhsa_system_sgpr_workgroup_id_x 1
		.amdhsa_system_sgpr_workgroup_id_y 1
		.amdhsa_system_sgpr_workgroup_id_z 0
		.amdhsa_system_sgpr_workgroup_info 0
		.amdhsa_system_vgpr_workitem_id 1
		.amdhsa_next_free_vgpr 128
		.amdhsa_next_free_sgpr 30
		.amdhsa_reserve_vcc 1
		.amdhsa_reserve_flat_scratch 0
		.amdhsa_float_round_mode_32 0
		.amdhsa_float_round_mode_16_64 0
		.amdhsa_float_denorm_mode_32 3
		.amdhsa_float_denorm_mode_16_64 3
		.amdhsa_dx10_clamp 1
		.amdhsa_ieee_mode 1
		.amdhsa_fp16_overflow 0
		.amdhsa_exception_fp_ieee_invalid_op 0
		.amdhsa_exception_fp_denorm_src 0
		.amdhsa_exception_fp_ieee_div_zero 0
		.amdhsa_exception_fp_ieee_overflow 0
		.amdhsa_exception_fp_ieee_underflow 0
		.amdhsa_exception_fp_ieee_inexact 0
		.amdhsa_exception_int_div_zero 0
	.end_amdhsa_kernel
	.section	.text._ZN9rocsolver6v33100L18getf2_small_kernelILi52E19rocblas_complex_numIdEiiPS3_EEvT1_T3_lS5_lPS5_llPT2_S5_S5_S7_l,"axG",@progbits,_ZN9rocsolver6v33100L18getf2_small_kernelILi52E19rocblas_complex_numIdEiiPS3_EEvT1_T3_lS5_lPS5_llPT2_S5_S5_S7_l,comdat
.Lfunc_end102:
	.size	_ZN9rocsolver6v33100L18getf2_small_kernelILi52E19rocblas_complex_numIdEiiPS3_EEvT1_T3_lS5_lPS5_llPT2_S5_S5_S7_l, .Lfunc_end102-_ZN9rocsolver6v33100L18getf2_small_kernelILi52E19rocblas_complex_numIdEiiPS3_EEvT1_T3_lS5_lPS5_llPT2_S5_S5_S7_l
                                        ; -- End function
	.set _ZN9rocsolver6v33100L18getf2_small_kernelILi52E19rocblas_complex_numIdEiiPS3_EEvT1_T3_lS5_lPS5_llPT2_S5_S5_S7_l.num_vgpr, 128
	.set _ZN9rocsolver6v33100L18getf2_small_kernelILi52E19rocblas_complex_numIdEiiPS3_EEvT1_T3_lS5_lPS5_llPT2_S5_S5_S7_l.num_agpr, 0
	.set _ZN9rocsolver6v33100L18getf2_small_kernelILi52E19rocblas_complex_numIdEiiPS3_EEvT1_T3_lS5_lPS5_llPT2_S5_S5_S7_l.numbered_sgpr, 30
	.set _ZN9rocsolver6v33100L18getf2_small_kernelILi52E19rocblas_complex_numIdEiiPS3_EEvT1_T3_lS5_lPS5_llPT2_S5_S5_S7_l.num_named_barrier, 0
	.set _ZN9rocsolver6v33100L18getf2_small_kernelILi52E19rocblas_complex_numIdEiiPS3_EEvT1_T3_lS5_lPS5_llPT2_S5_S5_S7_l.private_seg_size, 484
	.set _ZN9rocsolver6v33100L18getf2_small_kernelILi52E19rocblas_complex_numIdEiiPS3_EEvT1_T3_lS5_lPS5_llPT2_S5_S5_S7_l.uses_vcc, 1
	.set _ZN9rocsolver6v33100L18getf2_small_kernelILi52E19rocblas_complex_numIdEiiPS3_EEvT1_T3_lS5_lPS5_llPT2_S5_S5_S7_l.uses_flat_scratch, 0
	.set _ZN9rocsolver6v33100L18getf2_small_kernelILi52E19rocblas_complex_numIdEiiPS3_EEvT1_T3_lS5_lPS5_llPT2_S5_S5_S7_l.has_dyn_sized_stack, 0
	.set _ZN9rocsolver6v33100L18getf2_small_kernelILi52E19rocblas_complex_numIdEiiPS3_EEvT1_T3_lS5_lPS5_llPT2_S5_S5_S7_l.has_recursion, 0
	.set _ZN9rocsolver6v33100L18getf2_small_kernelILi52E19rocblas_complex_numIdEiiPS3_EEvT1_T3_lS5_lPS5_llPT2_S5_S5_S7_l.has_indirect_call, 0
	.section	.AMDGPU.csdata,"",@progbits
; Kernel info:
; codeLenInByte = 192216
; TotalNumSgprs: 34
; NumVgprs: 128
; ScratchSize: 484
; MemoryBound: 0
; FloatMode: 240
; IeeeMode: 1
; LDSByteSize: 0 bytes/workgroup (compile time only)
; SGPRBlocks: 4
; VGPRBlocks: 31
; NumSGPRsForWavesPerEU: 34
; NumVGPRsForWavesPerEU: 128
; Occupancy: 2
; WaveLimiterHint : 0
; COMPUTE_PGM_RSRC2:SCRATCH_EN: 1
; COMPUTE_PGM_RSRC2:USER_SGPR: 6
; COMPUTE_PGM_RSRC2:TRAP_HANDLER: 0
; COMPUTE_PGM_RSRC2:TGID_X_EN: 1
; COMPUTE_PGM_RSRC2:TGID_Y_EN: 1
; COMPUTE_PGM_RSRC2:TGID_Z_EN: 0
; COMPUTE_PGM_RSRC2:TIDIG_COMP_CNT: 1
	.section	.text._ZN9rocsolver6v33100L23getf2_npvt_small_kernelILi52E19rocblas_complex_numIdEiiPS3_EEvT1_T3_lS5_lPT2_S5_S5_,"axG",@progbits,_ZN9rocsolver6v33100L23getf2_npvt_small_kernelILi52E19rocblas_complex_numIdEiiPS3_EEvT1_T3_lS5_lPT2_S5_S5_,comdat
	.globl	_ZN9rocsolver6v33100L23getf2_npvt_small_kernelILi52E19rocblas_complex_numIdEiiPS3_EEvT1_T3_lS5_lPT2_S5_S5_ ; -- Begin function _ZN9rocsolver6v33100L23getf2_npvt_small_kernelILi52E19rocblas_complex_numIdEiiPS3_EEvT1_T3_lS5_lPT2_S5_S5_
	.p2align	8
	.type	_ZN9rocsolver6v33100L23getf2_npvt_small_kernelILi52E19rocblas_complex_numIdEiiPS3_EEvT1_T3_lS5_lPT2_S5_S5_,@function
_ZN9rocsolver6v33100L23getf2_npvt_small_kernelILi52E19rocblas_complex_numIdEiiPS3_EEvT1_T3_lS5_lPT2_S5_S5_: ; @_ZN9rocsolver6v33100L23getf2_npvt_small_kernelILi52E19rocblas_complex_numIdEiiPS3_EEvT1_T3_lS5_lPT2_S5_S5_
; %bb.0:
	s_mov_b64 s[22:23], s[2:3]
	s_mov_b64 s[20:21], s[0:1]
	s_load_dword s0, s[4:5], 0x44
	s_load_dwordx2 s[12:13], s[4:5], 0x30
	s_add_u32 s20, s20, s8
	s_addc_u32 s21, s21, 0
	s_waitcnt lgkmcnt(0)
	s_lshr_b32 s2, s0, 16
	s_mul_i32 s7, s7, s2
	v_add_u32_e32 v87, s7, v1
	v_cmp_gt_i32_e32 vcc, s12, v87
	s_and_saveexec_b64 s[0:1], vcc
	s_cbranch_execnz .LBB103_1
; %bb.472:
	s_getpc_b64 s[14:15]
.Lpost_getpc17:
	s_add_u32 s14, s14, (.LBB103_471-.Lpost_getpc17)&4294967295
	s_addc_u32 s15, s15, (.LBB103_471-.Lpost_getpc17)>>32
	s_setpc_b64 s[14:15]
.LBB103_1:
	s_load_dwordx4 s[8:11], s[4:5], 0x20
	s_load_dwordx4 s[16:19], s[4:5], 0x8
	v_ashrrev_i32_e32 v88, 31, v87
	s_mulk_i32 s2, 0x340
	s_waitcnt lgkmcnt(0)
	v_mul_lo_u32 v4, s9, v87
	v_mul_lo_u32 v5, s8, v88
	v_mad_u64_u32 v[2:3], s[0:1], s8, v87, 0
	s_load_dword s0, s[4:5], 0x18
	v_mov_b32_e32 v6, s17
	v_add3_u32 v3, v3, v5, v4
	v_lshlrev_b64 v[2:3], 4, v[2:3]
	s_lshl_b64 s[4:5], s[18:19], 4
	v_add_co_u32_e32 v2, vcc, s16, v2
	v_addc_co_u32_e32 v3, vcc, v6, v3, vcc
	v_mov_b32_e32 v4, s5
	v_add_co_u32_e32 v2, vcc, s4, v2
	s_waitcnt lgkmcnt(0)
	s_add_i32 s1, s0, s0
	v_addc_co_u32_e32 v3, vcc, v3, v4, vcc
	v_add_u32_e32 v4, s1, v0
	v_ashrrev_i32_e32 v5, 31, v4
	v_lshlrev_b64 v[5:6], 4, v[4:5]
	v_add_u32_e32 v4, s0, v4
	v_add_co_u32_e32 v91, vcc, v2, v5
	v_ashrrev_i32_e32 v5, 31, v4
	v_addc_co_u32_e32 v92, vcc, v3, v6, vcc
	v_lshlrev_b64 v[5:6], 4, v[4:5]
	v_add_u32_e32 v4, s0, v4
	v_add_co_u32_e32 v65, vcc, v2, v5
	v_ashrrev_i32_e32 v5, 31, v4
	v_addc_co_u32_e32 v66, vcc, v3, v6, vcc
	;; [unrolled: 5-line block ×48, first 2 shown]
	v_lshlrev_b64 v[5:6], 4, v[4:5]
	v_add_u32_e32 v4, s0, v4
	v_add_co_u32_e32 v121, vcc, v2, v5
	v_ashrrev_i32_e32 v5, 31, v4
	v_lshlrev_b64 v[4:5], 4, v[4:5]
	v_addc_co_u32_e32 v122, vcc, v3, v6, vcc
	v_add_co_u32_e32 v123, vcc, v2, v4
	v_addc_co_u32_e32 v124, vcc, v3, v5, vcc
	v_lshlrev_b32_e32 v4, 4, v0
	v_add_co_u32_e32 v4, vcc, v2, v4
	s_ashr_i32 s1, s0, 31
	v_addc_co_u32_e32 v5, vcc, 0, v3, vcc
	s_lshl_b64 s[0:1], s[0:1], 4
	v_mov_b32_e32 v2, s1
	v_add_co_u32_e32 v69, vcc, s0, v4
	v_addc_co_u32_e32 v70, vcc, v5, v2, vcc
	buffer_store_dword v4, off, s[20:23], 0 offset:856 ; 4-byte Folded Spill
	s_nop 0
	buffer_store_dword v5, off, s[20:23], 0 offset:860 ; 4-byte Folded Spill
	s_movk_i32 s0, 0x340
	s_add_i32 s1, s2, 0
	v_mad_u32_u24 v125, v1, s0, 0
	v_lshl_add_u32 v127, v1, 4, s1
	v_cmp_ne_u32_e64 s[2:3], 0, v0
	v_cmp_eq_u32_e64 s[0:1], 0, v0
	global_load_dwordx4 v[1:4], v[4:5], off
	s_waitcnt vmcnt(0)
	buffer_store_dword v1, off, s[20:23], 0 offset:448 ; 4-byte Folded Spill
	s_nop 0
	buffer_store_dword v2, off, s[20:23], 0 offset:452 ; 4-byte Folded Spill
	buffer_store_dword v3, off, s[20:23], 0 offset:456 ; 4-byte Folded Spill
	;; [unrolled: 1-line block ×4, first 2 shown]
	s_nop 0
	buffer_store_dword v70, off, s[20:23], 0 offset:868 ; 4-byte Folded Spill
	global_load_dwordx4 v[1:4], v[69:70], off
	s_waitcnt vmcnt(0)
	buffer_store_dword v1, off, s[20:23], 0 offset:432 ; 4-byte Folded Spill
	s_nop 0
	buffer_store_dword v2, off, s[20:23], 0 offset:436 ; 4-byte Folded Spill
	buffer_store_dword v3, off, s[20:23], 0 offset:440 ; 4-byte Folded Spill
	;; [unrolled: 1-line block ×3, first 2 shown]
	global_load_dwordx4 v[1:4], v[91:92], off
	s_waitcnt vmcnt(0)
	buffer_store_dword v1, off, s[20:23], 0 offset:416 ; 4-byte Folded Spill
	s_nop 0
	buffer_store_dword v2, off, s[20:23], 0 offset:420 ; 4-byte Folded Spill
	buffer_store_dword v3, off, s[20:23], 0 offset:424 ; 4-byte Folded Spill
	buffer_store_dword v4, off, s[20:23], 0 offset:428 ; 4-byte Folded Spill
	buffer_store_dword v65, off, s[20:23], 0 offset:848 ; 4-byte Folded Spill
	s_nop 0
	buffer_store_dword v66, off, s[20:23], 0 offset:852 ; 4-byte Folded Spill
	global_load_dwordx4 v[1:4], v[65:66], off
	s_waitcnt vmcnt(0)
	buffer_store_dword v1, off, s[20:23], 0 offset:400 ; 4-byte Folded Spill
	s_nop 0
	buffer_store_dword v2, off, s[20:23], 0 offset:404 ; 4-byte Folded Spill
	buffer_store_dword v3, off, s[20:23], 0 offset:408 ; 4-byte Folded Spill
	buffer_store_dword v4, off, s[20:23], 0 offset:412 ; 4-byte Folded Spill
	buffer_store_dword v67, off, s[20:23], 0 offset:840 ; 4-byte Folded Spill
	s_nop 0
	buffer_store_dword v68, off, s[20:23], 0 offset:844 ; 4-byte Folded Spill
	;; [unrolled: 10-line block ×3, first 2 shown]
	global_load_dwordx4 v[1:4], v[7:8], off
	s_waitcnt vmcnt(0)
	buffer_store_dword v1, off, s[20:23], 0 offset:368 ; 4-byte Folded Spill
	s_nop 0
	buffer_store_dword v2, off, s[20:23], 0 offset:372 ; 4-byte Folded Spill
	buffer_store_dword v3, off, s[20:23], 0 offset:376 ; 4-byte Folded Spill
	;; [unrolled: 1-line block ×3, first 2 shown]
	global_load_dwordx4 v[1:4], v[85:86], off
	s_waitcnt vmcnt(0)
	buffer_store_dword v1, off, s[20:23], 0 offset:352 ; 4-byte Folded Spill
	s_nop 0
	buffer_store_dword v2, off, s[20:23], 0 offset:356 ; 4-byte Folded Spill
	buffer_store_dword v3, off, s[20:23], 0 offset:360 ; 4-byte Folded Spill
	buffer_store_dword v4, off, s[20:23], 0 offset:364 ; 4-byte Folded Spill
	buffer_store_dword v9, off, s[20:23], 0 offset:488 ; 4-byte Folded Spill
	s_nop 0
	buffer_store_dword v10, off, s[20:23], 0 offset:492 ; 4-byte Folded Spill
	global_load_dwordx4 v[1:4], v[9:10], off
	s_waitcnt vmcnt(0)
	buffer_store_dword v1, off, s[20:23], 0 offset:336 ; 4-byte Folded Spill
	s_nop 0
	buffer_store_dword v2, off, s[20:23], 0 offset:340 ; 4-byte Folded Spill
	buffer_store_dword v3, off, s[20:23], 0 offset:344 ; 4-byte Folded Spill
	buffer_store_dword v4, off, s[20:23], 0 offset:348 ; 4-byte Folded Spill
	buffer_store_dword v11, off, s[20:23], 0 offset:496 ; 4-byte Folded Spill
	s_nop 0
	buffer_store_dword v12, off, s[20:23], 0 offset:500 ; 4-byte Folded Spill
	;; [unrolled: 10-line block ×17, first 2 shown]
	global_load_dwordx4 v[1:4], v[41:42], off
	s_waitcnt vmcnt(0)
	buffer_store_dword v1, off, s[20:23], 0 offset:80 ; 4-byte Folded Spill
	s_nop 0
	buffer_store_dword v2, off, s[20:23], 0 offset:84 ; 4-byte Folded Spill
	buffer_store_dword v3, off, s[20:23], 0 offset:88 ; 4-byte Folded Spill
	;; [unrolled: 1-line block ×3, first 2 shown]
	global_load_dwordx4 v[1:4], v[81:82], off
	s_waitcnt vmcnt(0)
	buffer_store_dword v1, off, s[20:23], 0 offset:64 ; 4-byte Folded Spill
	s_nop 0
	buffer_store_dword v2, off, s[20:23], 0 offset:68 ; 4-byte Folded Spill
	buffer_store_dword v3, off, s[20:23], 0 offset:72 ; 4-byte Folded Spill
	;; [unrolled: 1-line block ×4, first 2 shown]
	s_nop 0
	buffer_store_dword v44, off, s[20:23], 0 offset:628 ; 4-byte Folded Spill
	global_load_dwordx4 v[1:4], v[43:44], off
	s_waitcnt vmcnt(0)
	buffer_store_dword v1, off, s[20:23], 0 offset:48 ; 4-byte Folded Spill
	s_nop 0
	buffer_store_dword v2, off, s[20:23], 0 offset:52 ; 4-byte Folded Spill
	buffer_store_dword v3, off, s[20:23], 0 offset:56 ; 4-byte Folded Spill
	;; [unrolled: 1-line block ×4, first 2 shown]
	s_nop 0
	buffer_store_dword v46, off, s[20:23], 0 offset:636 ; 4-byte Folded Spill
	global_load_dwordx4 v[69:72], v[45:46], off
	s_nop 0
	buffer_store_dword v47, off, s[20:23], 0 offset:640 ; 4-byte Folded Spill
	s_nop 0
	buffer_store_dword v48, off, s[20:23], 0 offset:644 ; 4-byte Folded Spill
	global_load_dwordx4 v[117:120], v[47:48], off
	s_nop 0
	buffer_store_dword v49, off, s[20:23], 0 offset:648 ; 4-byte Folded Spill
	;; [unrolled: 5-line block ×5, first 2 shown]
	s_nop 0
	buffer_store_dword v56, off, s[20:23], 0 offset:676 ; 4-byte Folded Spill
	global_load_dwordx4 v[5:8], v[55:56], off
	s_waitcnt vmcnt(0)
	buffer_store_dword v5, off, s[20:23], 0 offset:32 ; 4-byte Folded Spill
	s_nop 0
	buffer_store_dword v6, off, s[20:23], 0 offset:36 ; 4-byte Folded Spill
	buffer_store_dword v7, off, s[20:23], 0 offset:40 ; 4-byte Folded Spill
	buffer_store_dword v8, off, s[20:23], 0 offset:44 ; 4-byte Folded Spill
	buffer_store_dword v57, off, s[20:23], 0 offset:680 ; 4-byte Folded Spill
	s_nop 0
	buffer_store_dword v58, off, s[20:23], 0 offset:684 ; 4-byte Folded Spill
	global_load_dwordx4 v[5:8], v[57:58], off
	s_waitcnt vmcnt(0)
	buffer_store_dword v5, off, s[20:23], 0 offset:16 ; 4-byte Folded Spill
	s_nop 0
	buffer_store_dword v6, off, s[20:23], 0 offset:20 ; 4-byte Folded Spill
	buffer_store_dword v7, off, s[20:23], 0 offset:24 ; 4-byte Folded Spill
	;; [unrolled: 1-line block ×4, first 2 shown]
	s_nop 0
	buffer_store_dword v60, off, s[20:23], 0 offset:692 ; 4-byte Folded Spill
	global_load_dwordx4 v[5:8], v[59:60], off
	s_waitcnt vmcnt(0)
	buffer_store_dword v5, off, s[20:23], 0 ; 4-byte Folded Spill
	s_nop 0
	buffer_store_dword v6, off, s[20:23], 0 offset:4 ; 4-byte Folded Spill
	buffer_store_dword v7, off, s[20:23], 0 offset:8 ; 4-byte Folded Spill
	;; [unrolled: 1-line block ×4, first 2 shown]
	s_nop 0
	buffer_store_dword v62, off, s[20:23], 0 offset:700 ; 4-byte Folded Spill
	global_load_dwordx4 v[65:68], v[61:62], off
	s_nop 0
	buffer_store_dword v63, off, s[20:23], 0 offset:704 ; 4-byte Folded Spill
	s_nop 0
	buffer_store_dword v64, off, s[20:23], 0 offset:708 ; 4-byte Folded Spill
	global_load_dwordx4 v[61:64], v[63:64], off
	s_nop 0
	buffer_store_dword v83, off, s[20:23], 0 offset:712 ; 4-byte Folded Spill
	;; [unrolled: 5-line block ×6, first 2 shown]
	s_nop 0
	buffer_store_dword v98, off, s[20:23], 0 offset:748 ; 4-byte Folded Spill
	v_mov_b32_e32 v96, v4
	v_mov_b32_e32 v95, v3
	;; [unrolled: 1-line block ×4, first 2 shown]
	global_load_dwordx4 v[41:44], v[97:98], off
	s_nop 0
	buffer_store_dword v99, off, s[20:23], 0 offset:752 ; 4-byte Folded Spill
	s_nop 0
	buffer_store_dword v100, off, s[20:23], 0 offset:756 ; 4-byte Folded Spill
	global_load_dwordx4 v[1:4], v[99:100], off
	s_nop 0
	buffer_store_dword v101, off, s[20:23], 0 offset:760 ; 4-byte Folded Spill
	s_nop 0
	buffer_store_dword v102, off, s[20:23], 0 offset:764 ; 4-byte Folded Spill
	;; [unrolled: 5-line block ×8, first 2 shown]
	v_mov_b32_e32 v112, v12
	v_mov_b32_e32 v111, v11
	;; [unrolled: 1-line block ×4, first 2 shown]
	global_load_dwordx4 v[9:12], v[113:114], off
	s_nop 0
	buffer_store_dword v115, off, s[20:23], 0 offset:816 ; 4-byte Folded Spill
	s_nop 0
	buffer_store_dword v116, off, s[20:23], 0 offset:820 ; 4-byte Folded Spill
	global_load_dwordx4 v[5:8], v[115:116], off
	s_nop 0
	buffer_store_dword v121, off, s[20:23], 0 offset:824 ; 4-byte Folded Spill
	s_nop 0
	buffer_store_dword v122, off, s[20:23], 0 offset:828 ; 4-byte Folded Spill
	v_mov_b32_e32 v116, v40
	v_mov_b32_e32 v115, v39
	;; [unrolled: 1-line block ×4, first 2 shown]
	s_waitcnt vmcnt(26)
	v_mov_b32_e32 v40, v4
	v_mov_b32_e32 v39, v3
	;; [unrolled: 1-line block ×4, first 2 shown]
	global_load_dwordx4 v[1:4], v[121:122], off
	s_nop 0
	buffer_store_dword v123, off, s[20:23], 0 offset:832 ; 4-byte Folded Spill
	s_nop 0
	buffer_store_dword v124, off, s[20:23], 0 offset:836 ; 4-byte Folded Spill
	global_load_dwordx4 v[73:76], v[123:124], off
	v_mov_b32_e32 v124, v72
	v_mov_b32_e32 v123, v71
	;; [unrolled: 1-line block ×4, first 2 shown]
	s_and_saveexec_b64 s[6:7], s[0:1]
	s_cbranch_execz .LBB103_8
; %bb.2:
	buffer_load_dword v69, off, s[20:23], 0 offset:448 ; 4-byte Folded Reload
	buffer_load_dword v70, off, s[20:23], 0 offset:452 ; 4-byte Folded Reload
	;; [unrolled: 1-line block ×4, first 2 shown]
	s_waitcnt vmcnt(0)
	ds_write2_b64 v127, v[69:70], v[71:72] offset1:1
	buffer_load_dword v69, off, s[20:23], 0 offset:432 ; 4-byte Folded Reload
	buffer_load_dword v70, off, s[20:23], 0 offset:436 ; 4-byte Folded Reload
	buffer_load_dword v71, off, s[20:23], 0 offset:440 ; 4-byte Folded Reload
	buffer_load_dword v72, off, s[20:23], 0 offset:444 ; 4-byte Folded Reload
	s_waitcnt vmcnt(0)
	ds_write2_b64 v125, v[69:70], v[71:72] offset0:2 offset1:3
	buffer_load_dword v69, off, s[20:23], 0 offset:416 ; 4-byte Folded Reload
	buffer_load_dword v70, off, s[20:23], 0 offset:420 ; 4-byte Folded Reload
	buffer_load_dword v71, off, s[20:23], 0 offset:424 ; 4-byte Folded Reload
	buffer_load_dword v72, off, s[20:23], 0 offset:428 ; 4-byte Folded Reload
	s_waitcnt vmcnt(0)
	ds_write2_b64 v125, v[69:70], v[71:72] offset0:4 offset1:5
	buffer_load_dword v69, off, s[20:23], 0 offset:400 ; 4-byte Folded Reload
	buffer_load_dword v70, off, s[20:23], 0 offset:404 ; 4-byte Folded Reload
	buffer_load_dword v71, off, s[20:23], 0 offset:408 ; 4-byte Folded Reload
	buffer_load_dword v72, off, s[20:23], 0 offset:412 ; 4-byte Folded Reload
	s_waitcnt vmcnt(0)
	ds_write2_b64 v125, v[69:70], v[71:72] offset0:6 offset1:7
	buffer_load_dword v69, off, s[20:23], 0 offset:384 ; 4-byte Folded Reload
	buffer_load_dword v70, off, s[20:23], 0 offset:388 ; 4-byte Folded Reload
	buffer_load_dword v71, off, s[20:23], 0 offset:392 ; 4-byte Folded Reload
	buffer_load_dword v72, off, s[20:23], 0 offset:396 ; 4-byte Folded Reload
	s_waitcnt vmcnt(0)
	ds_write2_b64 v125, v[69:70], v[71:72] offset0:8 offset1:9
	buffer_load_dword v69, off, s[20:23], 0 offset:368 ; 4-byte Folded Reload
	buffer_load_dword v70, off, s[20:23], 0 offset:372 ; 4-byte Folded Reload
	buffer_load_dword v71, off, s[20:23], 0 offset:376 ; 4-byte Folded Reload
	buffer_load_dword v72, off, s[20:23], 0 offset:380 ; 4-byte Folded Reload
	s_waitcnt vmcnt(0)
	ds_write2_b64 v125, v[69:70], v[71:72] offset0:10 offset1:11
	buffer_load_dword v69, off, s[20:23], 0 offset:352 ; 4-byte Folded Reload
	buffer_load_dword v70, off, s[20:23], 0 offset:356 ; 4-byte Folded Reload
	buffer_load_dword v71, off, s[20:23], 0 offset:360 ; 4-byte Folded Reload
	buffer_load_dword v72, off, s[20:23], 0 offset:364 ; 4-byte Folded Reload
	s_waitcnt vmcnt(0)
	ds_write2_b64 v125, v[69:70], v[71:72] offset0:12 offset1:13
	buffer_load_dword v69, off, s[20:23], 0 offset:336 ; 4-byte Folded Reload
	buffer_load_dword v70, off, s[20:23], 0 offset:340 ; 4-byte Folded Reload
	buffer_load_dword v71, off, s[20:23], 0 offset:344 ; 4-byte Folded Reload
	buffer_load_dword v72, off, s[20:23], 0 offset:348 ; 4-byte Folded Reload
	s_waitcnt vmcnt(0)
	ds_write2_b64 v125, v[69:70], v[71:72] offset0:14 offset1:15
	buffer_load_dword v69, off, s[20:23], 0 offset:320 ; 4-byte Folded Reload
	buffer_load_dword v70, off, s[20:23], 0 offset:324 ; 4-byte Folded Reload
	buffer_load_dword v71, off, s[20:23], 0 offset:328 ; 4-byte Folded Reload
	buffer_load_dword v72, off, s[20:23], 0 offset:332 ; 4-byte Folded Reload
	s_waitcnt vmcnt(0)
	ds_write2_b64 v125, v[69:70], v[71:72] offset0:16 offset1:17
	buffer_load_dword v69, off, s[20:23], 0 offset:304 ; 4-byte Folded Reload
	buffer_load_dword v70, off, s[20:23], 0 offset:308 ; 4-byte Folded Reload
	buffer_load_dword v71, off, s[20:23], 0 offset:312 ; 4-byte Folded Reload
	buffer_load_dword v72, off, s[20:23], 0 offset:316 ; 4-byte Folded Reload
	s_waitcnt vmcnt(0)
	ds_write2_b64 v125, v[69:70], v[71:72] offset0:18 offset1:19
	buffer_load_dword v69, off, s[20:23], 0 offset:288 ; 4-byte Folded Reload
	buffer_load_dword v70, off, s[20:23], 0 offset:292 ; 4-byte Folded Reload
	buffer_load_dword v71, off, s[20:23], 0 offset:296 ; 4-byte Folded Reload
	buffer_load_dword v72, off, s[20:23], 0 offset:300 ; 4-byte Folded Reload
	s_waitcnt vmcnt(0)
	ds_write2_b64 v125, v[69:70], v[71:72] offset0:20 offset1:21
	buffer_load_dword v69, off, s[20:23], 0 offset:272 ; 4-byte Folded Reload
	buffer_load_dword v70, off, s[20:23], 0 offset:276 ; 4-byte Folded Reload
	buffer_load_dword v71, off, s[20:23], 0 offset:280 ; 4-byte Folded Reload
	buffer_load_dword v72, off, s[20:23], 0 offset:284 ; 4-byte Folded Reload
	s_waitcnt vmcnt(0)
	ds_write2_b64 v125, v[69:70], v[71:72] offset0:22 offset1:23
	buffer_load_dword v69, off, s[20:23], 0 offset:256 ; 4-byte Folded Reload
	buffer_load_dword v70, off, s[20:23], 0 offset:260 ; 4-byte Folded Reload
	buffer_load_dword v71, off, s[20:23], 0 offset:264 ; 4-byte Folded Reload
	buffer_load_dword v72, off, s[20:23], 0 offset:268 ; 4-byte Folded Reload
	s_waitcnt vmcnt(0)
	ds_write2_b64 v125, v[69:70], v[71:72] offset0:24 offset1:25
	buffer_load_dword v69, off, s[20:23], 0 offset:240 ; 4-byte Folded Reload
	buffer_load_dword v70, off, s[20:23], 0 offset:244 ; 4-byte Folded Reload
	buffer_load_dword v71, off, s[20:23], 0 offset:248 ; 4-byte Folded Reload
	buffer_load_dword v72, off, s[20:23], 0 offset:252 ; 4-byte Folded Reload
	s_waitcnt vmcnt(0)
	ds_write2_b64 v125, v[69:70], v[71:72] offset0:26 offset1:27
	buffer_load_dword v69, off, s[20:23], 0 offset:224 ; 4-byte Folded Reload
	buffer_load_dword v70, off, s[20:23], 0 offset:228 ; 4-byte Folded Reload
	buffer_load_dword v71, off, s[20:23], 0 offset:232 ; 4-byte Folded Reload
	buffer_load_dword v72, off, s[20:23], 0 offset:236 ; 4-byte Folded Reload
	s_waitcnt vmcnt(0)
	ds_write2_b64 v125, v[69:70], v[71:72] offset0:28 offset1:29
	buffer_load_dword v69, off, s[20:23], 0 offset:208 ; 4-byte Folded Reload
	buffer_load_dword v70, off, s[20:23], 0 offset:212 ; 4-byte Folded Reload
	buffer_load_dword v71, off, s[20:23], 0 offset:216 ; 4-byte Folded Reload
	buffer_load_dword v72, off, s[20:23], 0 offset:220 ; 4-byte Folded Reload
	s_waitcnt vmcnt(0)
	ds_write2_b64 v125, v[69:70], v[71:72] offset0:30 offset1:31
	buffer_load_dword v69, off, s[20:23], 0 offset:192 ; 4-byte Folded Reload
	buffer_load_dword v70, off, s[20:23], 0 offset:196 ; 4-byte Folded Reload
	buffer_load_dword v71, off, s[20:23], 0 offset:200 ; 4-byte Folded Reload
	buffer_load_dword v72, off, s[20:23], 0 offset:204 ; 4-byte Folded Reload
	s_waitcnt vmcnt(0)
	ds_write2_b64 v125, v[69:70], v[71:72] offset0:32 offset1:33
	buffer_load_dword v69, off, s[20:23], 0 offset:176 ; 4-byte Folded Reload
	buffer_load_dword v70, off, s[20:23], 0 offset:180 ; 4-byte Folded Reload
	buffer_load_dword v71, off, s[20:23], 0 offset:184 ; 4-byte Folded Reload
	buffer_load_dword v72, off, s[20:23], 0 offset:188 ; 4-byte Folded Reload
	s_waitcnt vmcnt(0)
	ds_write2_b64 v125, v[69:70], v[71:72] offset0:34 offset1:35
	buffer_load_dword v69, off, s[20:23], 0 offset:160 ; 4-byte Folded Reload
	buffer_load_dword v70, off, s[20:23], 0 offset:164 ; 4-byte Folded Reload
	buffer_load_dword v71, off, s[20:23], 0 offset:168 ; 4-byte Folded Reload
	buffer_load_dword v72, off, s[20:23], 0 offset:172 ; 4-byte Folded Reload
	s_waitcnt vmcnt(0)
	ds_write2_b64 v125, v[69:70], v[71:72] offset0:36 offset1:37
	buffer_load_dword v69, off, s[20:23], 0 offset:144 ; 4-byte Folded Reload
	buffer_load_dword v70, off, s[20:23], 0 offset:148 ; 4-byte Folded Reload
	buffer_load_dword v71, off, s[20:23], 0 offset:152 ; 4-byte Folded Reload
	buffer_load_dword v72, off, s[20:23], 0 offset:156 ; 4-byte Folded Reload
	s_waitcnt vmcnt(0)
	ds_write2_b64 v125, v[69:70], v[71:72] offset0:38 offset1:39
	buffer_load_dword v69, off, s[20:23], 0 offset:128 ; 4-byte Folded Reload
	buffer_load_dword v70, off, s[20:23], 0 offset:132 ; 4-byte Folded Reload
	buffer_load_dword v71, off, s[20:23], 0 offset:136 ; 4-byte Folded Reload
	buffer_load_dword v72, off, s[20:23], 0 offset:140 ; 4-byte Folded Reload
	s_waitcnt vmcnt(0)
	ds_write2_b64 v125, v[69:70], v[71:72] offset0:40 offset1:41
	buffer_load_dword v69, off, s[20:23], 0 offset:112 ; 4-byte Folded Reload
	buffer_load_dword v70, off, s[20:23], 0 offset:116 ; 4-byte Folded Reload
	buffer_load_dword v71, off, s[20:23], 0 offset:120 ; 4-byte Folded Reload
	buffer_load_dword v72, off, s[20:23], 0 offset:124 ; 4-byte Folded Reload
	s_waitcnt vmcnt(0)
	ds_write2_b64 v125, v[69:70], v[71:72] offset0:42 offset1:43
	buffer_load_dword v69, off, s[20:23], 0 offset:96 ; 4-byte Folded Reload
	buffer_load_dword v70, off, s[20:23], 0 offset:100 ; 4-byte Folded Reload
	buffer_load_dword v71, off, s[20:23], 0 offset:104 ; 4-byte Folded Reload
	buffer_load_dword v72, off, s[20:23], 0 offset:108 ; 4-byte Folded Reload
	s_waitcnt vmcnt(0)
	ds_write2_b64 v125, v[69:70], v[71:72] offset0:44 offset1:45
	buffer_load_dword v69, off, s[20:23], 0 offset:80 ; 4-byte Folded Reload
	buffer_load_dword v70, off, s[20:23], 0 offset:84 ; 4-byte Folded Reload
	buffer_load_dword v71, off, s[20:23], 0 offset:88 ; 4-byte Folded Reload
	buffer_load_dword v72, off, s[20:23], 0 offset:92 ; 4-byte Folded Reload
	s_waitcnt vmcnt(0)
	ds_write2_b64 v125, v[69:70], v[71:72] offset0:46 offset1:47
	buffer_load_dword v69, off, s[20:23], 0 offset:64 ; 4-byte Folded Reload
	buffer_load_dword v70, off, s[20:23], 0 offset:68 ; 4-byte Folded Reload
	buffer_load_dword v71, off, s[20:23], 0 offset:72 ; 4-byte Folded Reload
	buffer_load_dword v72, off, s[20:23], 0 offset:76 ; 4-byte Folded Reload
	s_waitcnt vmcnt(0)
	ds_write2_b64 v125, v[69:70], v[71:72] offset0:48 offset1:49
	buffer_load_dword v69, off, s[20:23], 0 offset:48 ; 4-byte Folded Reload
	buffer_load_dword v70, off, s[20:23], 0 offset:52 ; 4-byte Folded Reload
	buffer_load_dword v71, off, s[20:23], 0 offset:56 ; 4-byte Folded Reload
	buffer_load_dword v72, off, s[20:23], 0 offset:60 ; 4-byte Folded Reload
	s_waitcnt vmcnt(0)
	ds_write2_b64 v125, v[69:70], v[71:72] offset0:50 offset1:51
	ds_write2_b64 v125, v[121:122], v[123:124] offset0:52 offset1:53
	ds_write2_b64 v125, v[117:118], v[119:120] offset0:54 offset1:55
	;; [unrolled: 1-line block ×5, first 2 shown]
	buffer_load_dword v77, off, s[20:23], 0 offset:32 ; 4-byte Folded Reload
	buffer_load_dword v78, off, s[20:23], 0 offset:36 ; 4-byte Folded Reload
	;; [unrolled: 1-line block ×4, first 2 shown]
	v_mov_b32_e32 v69, v73
	v_mov_b32_e32 v70, v74
	;; [unrolled: 1-line block ×4, first 2 shown]
	s_waitcnt vmcnt(0)
	ds_write2_b64 v125, v[77:78], v[79:80] offset0:62 offset1:63
	buffer_load_dword v73, off, s[20:23], 0 offset:16 ; 4-byte Folded Reload
	buffer_load_dword v74, off, s[20:23], 0 offset:20 ; 4-byte Folded Reload
	;; [unrolled: 1-line block ×4, first 2 shown]
	s_waitcnt vmcnt(0)
	ds_write2_b64 v125, v[73:74], v[75:76] offset0:64 offset1:65
	v_mov_b32_e32 v76, v72
	v_mov_b32_e32 v75, v71
	v_mov_b32_e32 v74, v70
	v_mov_b32_e32 v73, v69
	buffer_load_dword v69, off, s[20:23], 0 ; 4-byte Folded Reload
	buffer_load_dword v70, off, s[20:23], 0 offset:4 ; 4-byte Folded Reload
	buffer_load_dword v71, off, s[20:23], 0 offset:8 ; 4-byte Folded Reload
	;; [unrolled: 1-line block ×3, first 2 shown]
	s_waitcnt vmcnt(0)
	ds_write2_b64 v125, v[69:70], v[71:72] offset0:66 offset1:67
	ds_write2_b64 v125, v[65:66], v[67:68] offset0:68 offset1:69
	ds_write2_b64 v125, v[61:62], v[63:64] offset0:70 offset1:71
	ds_write2_b64 v125, v[57:58], v[59:60] offset0:72 offset1:73
	ds_write2_b64 v125, v[53:54], v[55:56] offset0:74 offset1:75
	ds_write2_b64 v125, v[49:50], v[51:52] offset0:76 offset1:77
	ds_write2_b64 v125, v[45:46], v[47:48] offset0:78 offset1:79
	ds_write2_b64 v125, v[41:42], v[43:44] offset0:80 offset1:81
	ds_write2_b64 v125, v[37:38], v[39:40] offset0:82 offset1:83
	ds_write2_b64 v125, v[33:34], v[35:36] offset0:84 offset1:85
	ds_write2_b64 v125, v[29:30], v[31:32] offset0:86 offset1:87
	ds_write2_b64 v125, v[25:26], v[27:28] offset0:88 offset1:89
	ds_write2_b64 v125, v[21:22], v[23:24] offset0:90 offset1:91
	ds_write2_b64 v125, v[17:18], v[19:20] offset0:92 offset1:93
	ds_write2_b64 v125, v[13:14], v[15:16] offset0:94 offset1:95
	ds_write2_b64 v125, v[9:10], v[11:12] offset0:96 offset1:97
	ds_write2_b64 v125, v[5:6], v[7:8] offset0:98 offset1:99
	ds_write2_b64 v125, v[1:2], v[3:4] offset0:100 offset1:101
	ds_write2_b64 v125, v[73:74], v[75:76] offset0:102 offset1:103
	ds_read2_b64 v[97:100], v127 offset1:1
	s_waitcnt lgkmcnt(0)
	v_cmp_neq_f64_e32 vcc, 0, v[97:98]
	v_cmp_neq_f64_e64 s[4:5], 0, v[99:100]
	s_or_b64 s[4:5], vcc, s[4:5]
	s_and_b64 exec, exec, s[4:5]
	s_cbranch_execz .LBB103_8
; %bb.3:
	v_cmp_ngt_f64_e64 s[4:5], |v[97:98]|, |v[99:100]|
                                        ; implicit-def: $vgpr101_vgpr102
	s_and_saveexec_b64 s[8:9], s[4:5]
	s_xor_b64 s[4:5], exec, s[8:9]
                                        ; implicit-def: $vgpr103_vgpr104
	s_cbranch_execz .LBB103_5
; %bb.4:
	v_div_scale_f64 v[101:102], s[8:9], v[99:100], v[99:100], v[97:98]
	v_rcp_f64_e32 v[103:104], v[101:102]
	v_fma_f64 v[105:106], -v[101:102], v[103:104], 1.0
	v_fma_f64 v[103:104], v[103:104], v[105:106], v[103:104]
	v_div_scale_f64 v[105:106], vcc, v[97:98], v[99:100], v[97:98]
	v_fma_f64 v[107:108], -v[101:102], v[103:104], 1.0
	v_fma_f64 v[103:104], v[103:104], v[107:108], v[103:104]
	v_mul_f64 v[107:108], v[105:106], v[103:104]
	v_fma_f64 v[101:102], -v[101:102], v[107:108], v[105:106]
	v_div_fmas_f64 v[101:102], v[101:102], v[103:104], v[107:108]
	v_div_fixup_f64 v[101:102], v[101:102], v[99:100], v[97:98]
	v_fma_f64 v[97:98], v[97:98], v[101:102], v[99:100]
	v_div_scale_f64 v[99:100], s[8:9], v[97:98], v[97:98], 1.0
	v_div_scale_f64 v[107:108], vcc, 1.0, v[97:98], 1.0
	v_rcp_f64_e32 v[103:104], v[99:100]
	v_fma_f64 v[105:106], -v[99:100], v[103:104], 1.0
	v_fma_f64 v[103:104], v[103:104], v[105:106], v[103:104]
	v_fma_f64 v[105:106], -v[99:100], v[103:104], 1.0
	v_fma_f64 v[103:104], v[103:104], v[105:106], v[103:104]
	v_mul_f64 v[105:106], v[107:108], v[103:104]
	v_fma_f64 v[99:100], -v[99:100], v[105:106], v[107:108]
	v_div_fmas_f64 v[99:100], v[99:100], v[103:104], v[105:106]
	v_div_fixup_f64 v[103:104], v[99:100], v[97:98], 1.0
                                        ; implicit-def: $vgpr97_vgpr98
	v_mul_f64 v[101:102], v[101:102], v[103:104]
	v_xor_b32_e32 v104, 0x80000000, v104
.LBB103_5:
	s_andn2_saveexec_b64 s[4:5], s[4:5]
	s_cbranch_execz .LBB103_7
; %bb.6:
	v_div_scale_f64 v[101:102], s[8:9], v[97:98], v[97:98], v[99:100]
	v_rcp_f64_e32 v[103:104], v[101:102]
	v_fma_f64 v[105:106], -v[101:102], v[103:104], 1.0
	v_fma_f64 v[103:104], v[103:104], v[105:106], v[103:104]
	v_div_scale_f64 v[105:106], vcc, v[99:100], v[97:98], v[99:100]
	v_fma_f64 v[107:108], -v[101:102], v[103:104], 1.0
	v_fma_f64 v[103:104], v[103:104], v[107:108], v[103:104]
	v_mul_f64 v[107:108], v[105:106], v[103:104]
	v_fma_f64 v[101:102], -v[101:102], v[107:108], v[105:106]
	v_div_fmas_f64 v[101:102], v[101:102], v[103:104], v[107:108]
	v_div_fixup_f64 v[103:104], v[101:102], v[97:98], v[99:100]
	v_fma_f64 v[97:98], v[99:100], v[103:104], v[97:98]
	v_div_scale_f64 v[99:100], s[8:9], v[97:98], v[97:98], 1.0
	v_div_scale_f64 v[107:108], vcc, 1.0, v[97:98], 1.0
	v_rcp_f64_e32 v[101:102], v[99:100]
	v_fma_f64 v[105:106], -v[99:100], v[101:102], 1.0
	v_fma_f64 v[101:102], v[101:102], v[105:106], v[101:102]
	v_fma_f64 v[105:106], -v[99:100], v[101:102], 1.0
	v_fma_f64 v[101:102], v[101:102], v[105:106], v[101:102]
	v_mul_f64 v[105:106], v[107:108], v[101:102]
	v_fma_f64 v[99:100], -v[99:100], v[105:106], v[107:108]
	v_div_fmas_f64 v[99:100], v[99:100], v[101:102], v[105:106]
	v_div_fixup_f64 v[101:102], v[99:100], v[97:98], 1.0
	v_mul_f64 v[103:104], v[103:104], -v[101:102]
.LBB103_7:
	s_or_b64 exec, exec, s[4:5]
	ds_write2_b64 v127, v[101:102], v[103:104] offset1:1
.LBB103_8:
	s_or_b64 exec, exec, s[6:7]
	s_waitcnt vmcnt(0) lgkmcnt(0)
	s_barrier
	ds_read2_b64 v[69:72], v127 offset1:1
	s_waitcnt lgkmcnt(0)
	buffer_store_dword v69, off, s[20:23], 0 offset:872 ; 4-byte Folded Spill
	s_nop 0
	buffer_store_dword v70, off, s[20:23], 0 offset:876 ; 4-byte Folded Spill
	buffer_store_dword v71, off, s[20:23], 0 offset:880 ; 4-byte Folded Spill
	;; [unrolled: 1-line block ×3, first 2 shown]
	s_and_saveexec_b64 s[4:5], s[2:3]
	s_cbranch_execz .LBB103_10
; %bb.9:
	buffer_load_dword v103, off, s[20:23], 0 offset:448 ; 4-byte Folded Reload
	buffer_load_dword v104, off, s[20:23], 0 offset:452 ; 4-byte Folded Reload
	;; [unrolled: 1-line block ×8, first 2 shown]
	s_waitcnt vmcnt(2)
	v_mul_f64 v[99:100], v[69:70], v[105:106]
	s_waitcnt vmcnt(0)
	v_mul_f64 v[97:98], v[71:72], v[105:106]
	v_fma_f64 v[105:106], v[71:72], v[103:104], v[99:100]
	ds_read2_b64 v[99:102], v125 offset0:2 offset1:3
	v_fma_f64 v[97:98], v[69:70], v[103:104], -v[97:98]
	buffer_load_dword v69, off, s[20:23], 0 offset:432 ; 4-byte Folded Reload
	buffer_load_dword v70, off, s[20:23], 0 offset:436 ; 4-byte Folded Reload
	buffer_load_dword v71, off, s[20:23], 0 offset:440 ; 4-byte Folded Reload
	buffer_load_dword v72, off, s[20:23], 0 offset:444 ; 4-byte Folded Reload
	s_waitcnt lgkmcnt(0)
	v_mul_f64 v[103:104], v[101:102], v[105:106]
	v_fma_f64 v[103:104], v[99:100], v[97:98], -v[103:104]
	v_mul_f64 v[99:100], v[99:100], v[105:106]
	v_fma_f64 v[99:100], v[101:102], v[97:98], v[99:100]
	s_waitcnt vmcnt(2)
	v_add_f64 v[69:70], v[69:70], -v[103:104]
	s_waitcnt vmcnt(0)
	v_add_f64 v[71:72], v[71:72], -v[99:100]
	buffer_store_dword v69, off, s[20:23], 0 offset:432 ; 4-byte Folded Spill
	s_nop 0
	buffer_store_dword v70, off, s[20:23], 0 offset:436 ; 4-byte Folded Spill
	buffer_store_dword v71, off, s[20:23], 0 offset:440 ; 4-byte Folded Spill
	buffer_store_dword v72, off, s[20:23], 0 offset:444 ; 4-byte Folded Spill
	ds_read2_b64 v[99:102], v125 offset0:4 offset1:5
	buffer_load_dword v69, off, s[20:23], 0 offset:416 ; 4-byte Folded Reload
	buffer_load_dword v70, off, s[20:23], 0 offset:420 ; 4-byte Folded Reload
	buffer_load_dword v71, off, s[20:23], 0 offset:424 ; 4-byte Folded Reload
	buffer_load_dword v72, off, s[20:23], 0 offset:428 ; 4-byte Folded Reload
	s_waitcnt lgkmcnt(0)
	v_mul_f64 v[103:104], v[101:102], v[105:106]
	v_fma_f64 v[103:104], v[99:100], v[97:98], -v[103:104]
	v_mul_f64 v[99:100], v[99:100], v[105:106]
	v_fma_f64 v[99:100], v[101:102], v[97:98], v[99:100]
	s_waitcnt vmcnt(2)
	v_add_f64 v[69:70], v[69:70], -v[103:104]
	s_waitcnt vmcnt(0)
	v_add_f64 v[71:72], v[71:72], -v[99:100]
	buffer_store_dword v69, off, s[20:23], 0 offset:416 ; 4-byte Folded Spill
	s_nop 0
	buffer_store_dword v70, off, s[20:23], 0 offset:420 ; 4-byte Folded Spill
	buffer_store_dword v71, off, s[20:23], 0 offset:424 ; 4-byte Folded Spill
	buffer_store_dword v72, off, s[20:23], 0 offset:428 ; 4-byte Folded Spill
	ds_read2_b64 v[99:102], v125 offset0:6 offset1:7
	;; [unrolled: 19-line block ×25, first 2 shown]
	v_mov_b32_e32 v69, v73
	v_mov_b32_e32 v70, v74
	;; [unrolled: 1-line block ×4, first 2 shown]
	s_waitcnt lgkmcnt(0)
	v_mul_f64 v[103:104], v[101:102], v[105:106]
	v_fma_f64 v[103:104], v[99:100], v[97:98], -v[103:104]
	v_mul_f64 v[99:100], v[99:100], v[105:106]
	v_add_f64 v[121:122], v[121:122], -v[103:104]
	v_fma_f64 v[99:100], v[101:102], v[97:98], v[99:100]
	v_add_f64 v[123:124], v[123:124], -v[99:100]
	ds_read2_b64 v[99:102], v125 offset0:54 offset1:55
	s_waitcnt lgkmcnt(0)
	v_mul_f64 v[103:104], v[101:102], v[105:106]
	v_fma_f64 v[103:104], v[99:100], v[97:98], -v[103:104]
	v_mul_f64 v[99:100], v[99:100], v[105:106]
	v_add_f64 v[117:118], v[117:118], -v[103:104]
	v_fma_f64 v[99:100], v[101:102], v[97:98], v[99:100]
	v_add_f64 v[119:120], v[119:120], -v[99:100]
	ds_read2_b64 v[99:102], v125 offset0:56 offset1:57
	;; [unrolled: 8-line block ×5, first 2 shown]
	buffer_load_dword v77, off, s[20:23], 0 offset:32 ; 4-byte Folded Reload
	buffer_load_dword v78, off, s[20:23], 0 offset:36 ; 4-byte Folded Reload
	;; [unrolled: 1-line block ×4, first 2 shown]
	s_waitcnt lgkmcnt(0)
	v_mul_f64 v[103:104], v[101:102], v[105:106]
	v_fma_f64 v[103:104], v[99:100], v[97:98], -v[103:104]
	v_mul_f64 v[99:100], v[99:100], v[105:106]
	v_fma_f64 v[99:100], v[101:102], v[97:98], v[99:100]
	s_waitcnt vmcnt(2)
	v_add_f64 v[77:78], v[77:78], -v[103:104]
	s_waitcnt vmcnt(0)
	v_add_f64 v[79:80], v[79:80], -v[99:100]
	buffer_store_dword v77, off, s[20:23], 0 offset:32 ; 4-byte Folded Spill
	s_nop 0
	buffer_store_dword v78, off, s[20:23], 0 offset:36 ; 4-byte Folded Spill
	buffer_store_dword v79, off, s[20:23], 0 offset:40 ; 4-byte Folded Spill
	;; [unrolled: 1-line block ×3, first 2 shown]
	ds_read2_b64 v[99:102], v125 offset0:64 offset1:65
	buffer_load_dword v73, off, s[20:23], 0 offset:16 ; 4-byte Folded Reload
	buffer_load_dword v74, off, s[20:23], 0 offset:20 ; 4-byte Folded Reload
	;; [unrolled: 1-line block ×4, first 2 shown]
	s_waitcnt lgkmcnt(0)
	v_mul_f64 v[103:104], v[101:102], v[105:106]
	v_fma_f64 v[103:104], v[99:100], v[97:98], -v[103:104]
	v_mul_f64 v[99:100], v[99:100], v[105:106]
	v_fma_f64 v[99:100], v[101:102], v[97:98], v[99:100]
	s_waitcnt vmcnt(2)
	v_add_f64 v[73:74], v[73:74], -v[103:104]
	s_waitcnt vmcnt(0)
	v_add_f64 v[75:76], v[75:76], -v[99:100]
	buffer_store_dword v73, off, s[20:23], 0 offset:16 ; 4-byte Folded Spill
	s_nop 0
	buffer_store_dword v74, off, s[20:23], 0 offset:20 ; 4-byte Folded Spill
	buffer_store_dword v75, off, s[20:23], 0 offset:24 ; 4-byte Folded Spill
	buffer_store_dword v76, off, s[20:23], 0 offset:28 ; 4-byte Folded Spill
	v_mov_b32_e32 v76, v72
	v_mov_b32_e32 v75, v71
	;; [unrolled: 1-line block ×4, first 2 shown]
	ds_read2_b64 v[99:102], v125 offset0:66 offset1:67
	buffer_load_dword v69, off, s[20:23], 0 ; 4-byte Folded Reload
	buffer_load_dword v70, off, s[20:23], 0 offset:4 ; 4-byte Folded Reload
	buffer_load_dword v71, off, s[20:23], 0 offset:8 ; 4-byte Folded Reload
	;; [unrolled: 1-line block ×3, first 2 shown]
	s_waitcnt lgkmcnt(0)
	v_mul_f64 v[103:104], v[101:102], v[105:106]
	v_fma_f64 v[103:104], v[99:100], v[97:98], -v[103:104]
	v_mul_f64 v[99:100], v[99:100], v[105:106]
	v_fma_f64 v[99:100], v[101:102], v[97:98], v[99:100]
	s_waitcnt vmcnt(2)
	v_add_f64 v[69:70], v[69:70], -v[103:104]
	s_waitcnt vmcnt(0)
	v_add_f64 v[71:72], v[71:72], -v[99:100]
	buffer_store_dword v69, off, s[20:23], 0 ; 4-byte Folded Spill
	s_nop 0
	buffer_store_dword v70, off, s[20:23], 0 offset:4 ; 4-byte Folded Spill
	buffer_store_dword v71, off, s[20:23], 0 offset:8 ; 4-byte Folded Spill
	;; [unrolled: 1-line block ×3, first 2 shown]
	ds_read2_b64 v[99:102], v125 offset0:68 offset1:69
	s_waitcnt lgkmcnt(0)
	v_mul_f64 v[103:104], v[101:102], v[105:106]
	v_fma_f64 v[103:104], v[99:100], v[97:98], -v[103:104]
	v_mul_f64 v[99:100], v[99:100], v[105:106]
	v_add_f64 v[65:66], v[65:66], -v[103:104]
	v_fma_f64 v[99:100], v[101:102], v[97:98], v[99:100]
	v_add_f64 v[67:68], v[67:68], -v[99:100]
	ds_read2_b64 v[99:102], v125 offset0:70 offset1:71
	s_waitcnt lgkmcnt(0)
	v_mul_f64 v[103:104], v[101:102], v[105:106]
	v_fma_f64 v[103:104], v[99:100], v[97:98], -v[103:104]
	v_mul_f64 v[99:100], v[99:100], v[105:106]
	v_add_f64 v[61:62], v[61:62], -v[103:104]
	v_fma_f64 v[99:100], v[101:102], v[97:98], v[99:100]
	v_add_f64 v[63:64], v[63:64], -v[99:100]
	;; [unrolled: 8-line block ×16, first 2 shown]
	ds_read2_b64 v[99:102], v125 offset0:100 offset1:101
	s_waitcnt lgkmcnt(0)
	v_mul_f64 v[103:104], v[101:102], v[105:106]
	v_fma_f64 v[103:104], v[99:100], v[97:98], -v[103:104]
	v_mul_f64 v[99:100], v[99:100], v[105:106]
	v_add_f64 v[1:2], v[1:2], -v[103:104]
	v_fma_f64 v[99:100], v[101:102], v[97:98], v[99:100]
	ds_read2_b64 v[101:104], v125 offset0:102 offset1:103
	v_add_f64 v[3:4], v[3:4], -v[99:100]
	s_waitcnt lgkmcnt(0)
	v_mul_f64 v[99:100], v[103:104], v[105:106]
	v_fma_f64 v[99:100], v[101:102], v[97:98], -v[99:100]
	v_mul_f64 v[101:102], v[101:102], v[105:106]
	v_add_f64 v[73:74], v[73:74], -v[99:100]
	v_fma_f64 v[101:102], v[103:104], v[97:98], v[101:102]
	v_mov_b32_e32 v104, v98
	v_mov_b32_e32 v103, v97
	buffer_store_dword v103, off, s[20:23], 0 offset:448 ; 4-byte Folded Spill
	s_nop 0
	buffer_store_dword v104, off, s[20:23], 0 offset:452 ; 4-byte Folded Spill
	buffer_store_dword v105, off, s[20:23], 0 offset:456 ; 4-byte Folded Spill
	;; [unrolled: 1-line block ×3, first 2 shown]
	v_add_f64 v[75:76], v[75:76], -v[101:102]
.LBB103_10:
	s_or_b64 exec, exec, s[4:5]
	v_cmp_eq_u32_e32 vcc, 1, v0
	s_waitcnt vmcnt(0)
	s_barrier
	s_and_saveexec_b64 s[4:5], vcc
	s_cbranch_execz .LBB103_17
; %bb.11:
	buffer_load_dword v69, off, s[20:23], 0 offset:432 ; 4-byte Folded Reload
	buffer_load_dword v70, off, s[20:23], 0 offset:436 ; 4-byte Folded Reload
	;; [unrolled: 1-line block ×4, first 2 shown]
	s_waitcnt vmcnt(0)
	ds_write2_b64 v127, v[69:70], v[71:72] offset1:1
	buffer_load_dword v69, off, s[20:23], 0 offset:416 ; 4-byte Folded Reload
	buffer_load_dword v70, off, s[20:23], 0 offset:420 ; 4-byte Folded Reload
	buffer_load_dword v71, off, s[20:23], 0 offset:424 ; 4-byte Folded Reload
	buffer_load_dword v72, off, s[20:23], 0 offset:428 ; 4-byte Folded Reload
	s_waitcnt vmcnt(0)
	ds_write2_b64 v125, v[69:70], v[71:72] offset0:4 offset1:5
	buffer_load_dword v69, off, s[20:23], 0 offset:400 ; 4-byte Folded Reload
	buffer_load_dword v70, off, s[20:23], 0 offset:404 ; 4-byte Folded Reload
	buffer_load_dword v71, off, s[20:23], 0 offset:408 ; 4-byte Folded Reload
	buffer_load_dword v72, off, s[20:23], 0 offset:412 ; 4-byte Folded Reload
	s_waitcnt vmcnt(0)
	ds_write2_b64 v125, v[69:70], v[71:72] offset0:6 offset1:7
	;; [unrolled: 6-line block ×24, first 2 shown]
	ds_write2_b64 v125, v[121:122], v[123:124] offset0:52 offset1:53
	ds_write2_b64 v125, v[117:118], v[119:120] offset0:54 offset1:55
	;; [unrolled: 1-line block ×5, first 2 shown]
	buffer_load_dword v77, off, s[20:23], 0 offset:32 ; 4-byte Folded Reload
	buffer_load_dword v78, off, s[20:23], 0 offset:36 ; 4-byte Folded Reload
	buffer_load_dword v79, off, s[20:23], 0 offset:40 ; 4-byte Folded Reload
	buffer_load_dword v80, off, s[20:23], 0 offset:44 ; 4-byte Folded Reload
	v_mov_b32_e32 v69, v73
	v_mov_b32_e32 v70, v74
	;; [unrolled: 1-line block ×4, first 2 shown]
	s_waitcnt vmcnt(0)
	ds_write2_b64 v125, v[77:78], v[79:80] offset0:62 offset1:63
	buffer_load_dword v73, off, s[20:23], 0 offset:16 ; 4-byte Folded Reload
	buffer_load_dword v74, off, s[20:23], 0 offset:20 ; 4-byte Folded Reload
	;; [unrolled: 1-line block ×4, first 2 shown]
	s_waitcnt vmcnt(0)
	ds_write2_b64 v125, v[73:74], v[75:76] offset0:64 offset1:65
	v_mov_b32_e32 v76, v72
	v_mov_b32_e32 v75, v71
	;; [unrolled: 1-line block ×4, first 2 shown]
	buffer_load_dword v69, off, s[20:23], 0 ; 4-byte Folded Reload
	buffer_load_dword v70, off, s[20:23], 0 offset:4 ; 4-byte Folded Reload
	buffer_load_dword v71, off, s[20:23], 0 offset:8 ; 4-byte Folded Reload
	buffer_load_dword v72, off, s[20:23], 0 offset:12 ; 4-byte Folded Reload
	s_waitcnt vmcnt(0)
	ds_write2_b64 v125, v[69:70], v[71:72] offset0:66 offset1:67
	ds_write2_b64 v125, v[65:66], v[67:68] offset0:68 offset1:69
	;; [unrolled: 1-line block ×19, first 2 shown]
	ds_read2_b64 v[97:100], v127 offset1:1
	s_waitcnt lgkmcnt(0)
	v_cmp_neq_f64_e32 vcc, 0, v[97:98]
	v_cmp_neq_f64_e64 s[2:3], 0, v[99:100]
	s_or_b64 s[2:3], vcc, s[2:3]
	s_and_b64 exec, exec, s[2:3]
	s_cbranch_execz .LBB103_17
; %bb.12:
	v_cmp_ngt_f64_e64 s[2:3], |v[97:98]|, |v[99:100]|
                                        ; implicit-def: $vgpr101_vgpr102
	s_and_saveexec_b64 s[6:7], s[2:3]
	s_xor_b64 s[2:3], exec, s[6:7]
                                        ; implicit-def: $vgpr103_vgpr104
	s_cbranch_execz .LBB103_14
; %bb.13:
	v_div_scale_f64 v[101:102], s[6:7], v[99:100], v[99:100], v[97:98]
	v_rcp_f64_e32 v[103:104], v[101:102]
	v_fma_f64 v[105:106], -v[101:102], v[103:104], 1.0
	v_fma_f64 v[103:104], v[103:104], v[105:106], v[103:104]
	v_div_scale_f64 v[105:106], vcc, v[97:98], v[99:100], v[97:98]
	v_fma_f64 v[107:108], -v[101:102], v[103:104], 1.0
	v_fma_f64 v[103:104], v[103:104], v[107:108], v[103:104]
	v_mul_f64 v[107:108], v[105:106], v[103:104]
	v_fma_f64 v[101:102], -v[101:102], v[107:108], v[105:106]
	v_div_fmas_f64 v[101:102], v[101:102], v[103:104], v[107:108]
	v_div_fixup_f64 v[101:102], v[101:102], v[99:100], v[97:98]
	v_fma_f64 v[97:98], v[97:98], v[101:102], v[99:100]
	v_div_scale_f64 v[99:100], s[6:7], v[97:98], v[97:98], 1.0
	v_div_scale_f64 v[107:108], vcc, 1.0, v[97:98], 1.0
	v_rcp_f64_e32 v[103:104], v[99:100]
	v_fma_f64 v[105:106], -v[99:100], v[103:104], 1.0
	v_fma_f64 v[103:104], v[103:104], v[105:106], v[103:104]
	v_fma_f64 v[105:106], -v[99:100], v[103:104], 1.0
	v_fma_f64 v[103:104], v[103:104], v[105:106], v[103:104]
	v_mul_f64 v[105:106], v[107:108], v[103:104]
	v_fma_f64 v[99:100], -v[99:100], v[105:106], v[107:108]
	v_div_fmas_f64 v[99:100], v[99:100], v[103:104], v[105:106]
	v_div_fixup_f64 v[103:104], v[99:100], v[97:98], 1.0
                                        ; implicit-def: $vgpr97_vgpr98
	v_mul_f64 v[101:102], v[101:102], v[103:104]
	v_xor_b32_e32 v104, 0x80000000, v104
.LBB103_14:
	s_andn2_saveexec_b64 s[2:3], s[2:3]
	s_cbranch_execz .LBB103_16
; %bb.15:
	v_div_scale_f64 v[101:102], s[6:7], v[97:98], v[97:98], v[99:100]
	v_rcp_f64_e32 v[103:104], v[101:102]
	v_fma_f64 v[105:106], -v[101:102], v[103:104], 1.0
	v_fma_f64 v[103:104], v[103:104], v[105:106], v[103:104]
	v_div_scale_f64 v[105:106], vcc, v[99:100], v[97:98], v[99:100]
	v_fma_f64 v[107:108], -v[101:102], v[103:104], 1.0
	v_fma_f64 v[103:104], v[103:104], v[107:108], v[103:104]
	v_mul_f64 v[107:108], v[105:106], v[103:104]
	v_fma_f64 v[101:102], -v[101:102], v[107:108], v[105:106]
	v_div_fmas_f64 v[101:102], v[101:102], v[103:104], v[107:108]
	v_div_fixup_f64 v[103:104], v[101:102], v[97:98], v[99:100]
	v_fma_f64 v[97:98], v[99:100], v[103:104], v[97:98]
	v_div_scale_f64 v[99:100], s[6:7], v[97:98], v[97:98], 1.0
	v_div_scale_f64 v[107:108], vcc, 1.0, v[97:98], 1.0
	v_rcp_f64_e32 v[101:102], v[99:100]
	v_fma_f64 v[105:106], -v[99:100], v[101:102], 1.0
	v_fma_f64 v[101:102], v[101:102], v[105:106], v[101:102]
	v_fma_f64 v[105:106], -v[99:100], v[101:102], 1.0
	v_fma_f64 v[101:102], v[101:102], v[105:106], v[101:102]
	v_mul_f64 v[105:106], v[107:108], v[101:102]
	v_fma_f64 v[99:100], -v[99:100], v[105:106], v[107:108]
	v_div_fmas_f64 v[99:100], v[99:100], v[101:102], v[105:106]
	v_div_fixup_f64 v[101:102], v[99:100], v[97:98], 1.0
	v_mul_f64 v[103:104], v[103:104], -v[101:102]
.LBB103_16:
	s_or_b64 exec, exec, s[2:3]
	ds_write2_b64 v127, v[101:102], v[103:104] offset1:1
.LBB103_17:
	s_or_b64 exec, exec, s[4:5]
	s_waitcnt lgkmcnt(0)
	s_barrier
	ds_read2_b64 v[69:72], v127 offset1:1
	v_cmp_lt_u32_e32 vcc, 1, v0
	s_waitcnt lgkmcnt(0)
	buffer_store_dword v69, off, s[20:23], 0 offset:888 ; 4-byte Folded Spill
	s_nop 0
	buffer_store_dword v70, off, s[20:23], 0 offset:892 ; 4-byte Folded Spill
	buffer_store_dword v71, off, s[20:23], 0 offset:896 ; 4-byte Folded Spill
	;; [unrolled: 1-line block ×3, first 2 shown]
	s_and_saveexec_b64 s[2:3], vcc
	s_cbranch_execz .LBB103_19
; %bb.18:
	buffer_load_dword v103, off, s[20:23], 0 offset:432 ; 4-byte Folded Reload
	buffer_load_dword v104, off, s[20:23], 0 offset:436 ; 4-byte Folded Reload
	;; [unrolled: 1-line block ×8, first 2 shown]
	s_waitcnt vmcnt(2)
	v_mul_f64 v[99:100], v[69:70], v[105:106]
	s_waitcnt vmcnt(0)
	v_mul_f64 v[97:98], v[71:72], v[105:106]
	v_fma_f64 v[105:106], v[71:72], v[103:104], v[99:100]
	ds_read2_b64 v[99:102], v125 offset0:4 offset1:5
	v_fma_f64 v[97:98], v[69:70], v[103:104], -v[97:98]
	buffer_load_dword v69, off, s[20:23], 0 offset:416 ; 4-byte Folded Reload
	buffer_load_dword v70, off, s[20:23], 0 offset:420 ; 4-byte Folded Reload
	buffer_load_dword v71, off, s[20:23], 0 offset:424 ; 4-byte Folded Reload
	buffer_load_dword v72, off, s[20:23], 0 offset:428 ; 4-byte Folded Reload
	s_waitcnt lgkmcnt(0)
	v_mul_f64 v[103:104], v[101:102], v[105:106]
	v_fma_f64 v[103:104], v[99:100], v[97:98], -v[103:104]
	v_mul_f64 v[99:100], v[99:100], v[105:106]
	v_fma_f64 v[99:100], v[101:102], v[97:98], v[99:100]
	s_waitcnt vmcnt(2)
	v_add_f64 v[69:70], v[69:70], -v[103:104]
	s_waitcnt vmcnt(0)
	v_add_f64 v[71:72], v[71:72], -v[99:100]
	buffer_store_dword v69, off, s[20:23], 0 offset:416 ; 4-byte Folded Spill
	s_nop 0
	buffer_store_dword v70, off, s[20:23], 0 offset:420 ; 4-byte Folded Spill
	buffer_store_dword v71, off, s[20:23], 0 offset:424 ; 4-byte Folded Spill
	buffer_store_dword v72, off, s[20:23], 0 offset:428 ; 4-byte Folded Spill
	ds_read2_b64 v[99:102], v125 offset0:6 offset1:7
	buffer_load_dword v69, off, s[20:23], 0 offset:400 ; 4-byte Folded Reload
	buffer_load_dword v70, off, s[20:23], 0 offset:404 ; 4-byte Folded Reload
	buffer_load_dword v71, off, s[20:23], 0 offset:408 ; 4-byte Folded Reload
	buffer_load_dword v72, off, s[20:23], 0 offset:412 ; 4-byte Folded Reload
	s_waitcnt lgkmcnt(0)
	v_mul_f64 v[103:104], v[101:102], v[105:106]
	v_fma_f64 v[103:104], v[99:100], v[97:98], -v[103:104]
	v_mul_f64 v[99:100], v[99:100], v[105:106]
	v_fma_f64 v[99:100], v[101:102], v[97:98], v[99:100]
	s_waitcnt vmcnt(2)
	v_add_f64 v[69:70], v[69:70], -v[103:104]
	s_waitcnt vmcnt(0)
	v_add_f64 v[71:72], v[71:72], -v[99:100]
	buffer_store_dword v69, off, s[20:23], 0 offset:400 ; 4-byte Folded Spill
	s_nop 0
	buffer_store_dword v70, off, s[20:23], 0 offset:404 ; 4-byte Folded Spill
	buffer_store_dword v71, off, s[20:23], 0 offset:408 ; 4-byte Folded Spill
	buffer_store_dword v72, off, s[20:23], 0 offset:412 ; 4-byte Folded Spill
	ds_read2_b64 v[99:102], v125 offset0:8 offset1:9
	;; [unrolled: 19-line block ×24, first 2 shown]
	v_mov_b32_e32 v69, v73
	v_mov_b32_e32 v70, v74
	;; [unrolled: 1-line block ×4, first 2 shown]
	s_waitcnt lgkmcnt(0)
	v_mul_f64 v[103:104], v[101:102], v[105:106]
	v_fma_f64 v[103:104], v[99:100], v[97:98], -v[103:104]
	v_mul_f64 v[99:100], v[99:100], v[105:106]
	v_add_f64 v[121:122], v[121:122], -v[103:104]
	v_fma_f64 v[99:100], v[101:102], v[97:98], v[99:100]
	v_add_f64 v[123:124], v[123:124], -v[99:100]
	ds_read2_b64 v[99:102], v125 offset0:54 offset1:55
	s_waitcnt lgkmcnt(0)
	v_mul_f64 v[103:104], v[101:102], v[105:106]
	v_fma_f64 v[103:104], v[99:100], v[97:98], -v[103:104]
	v_mul_f64 v[99:100], v[99:100], v[105:106]
	v_add_f64 v[117:118], v[117:118], -v[103:104]
	v_fma_f64 v[99:100], v[101:102], v[97:98], v[99:100]
	v_add_f64 v[119:120], v[119:120], -v[99:100]
	ds_read2_b64 v[99:102], v125 offset0:56 offset1:57
	;; [unrolled: 8-line block ×5, first 2 shown]
	buffer_load_dword v77, off, s[20:23], 0 offset:32 ; 4-byte Folded Reload
	buffer_load_dword v78, off, s[20:23], 0 offset:36 ; 4-byte Folded Reload
	;; [unrolled: 1-line block ×4, first 2 shown]
	s_waitcnt lgkmcnt(0)
	v_mul_f64 v[103:104], v[101:102], v[105:106]
	v_fma_f64 v[103:104], v[99:100], v[97:98], -v[103:104]
	v_mul_f64 v[99:100], v[99:100], v[105:106]
	v_fma_f64 v[99:100], v[101:102], v[97:98], v[99:100]
	s_waitcnt vmcnt(2)
	v_add_f64 v[77:78], v[77:78], -v[103:104]
	s_waitcnt vmcnt(0)
	v_add_f64 v[79:80], v[79:80], -v[99:100]
	buffer_store_dword v77, off, s[20:23], 0 offset:32 ; 4-byte Folded Spill
	s_nop 0
	buffer_store_dword v78, off, s[20:23], 0 offset:36 ; 4-byte Folded Spill
	buffer_store_dword v79, off, s[20:23], 0 offset:40 ; 4-byte Folded Spill
	;; [unrolled: 1-line block ×3, first 2 shown]
	ds_read2_b64 v[99:102], v125 offset0:64 offset1:65
	buffer_load_dword v73, off, s[20:23], 0 offset:16 ; 4-byte Folded Reload
	buffer_load_dword v74, off, s[20:23], 0 offset:20 ; 4-byte Folded Reload
	;; [unrolled: 1-line block ×4, first 2 shown]
	s_waitcnt lgkmcnt(0)
	v_mul_f64 v[103:104], v[101:102], v[105:106]
	v_fma_f64 v[103:104], v[99:100], v[97:98], -v[103:104]
	v_mul_f64 v[99:100], v[99:100], v[105:106]
	v_fma_f64 v[99:100], v[101:102], v[97:98], v[99:100]
	s_waitcnt vmcnt(2)
	v_add_f64 v[73:74], v[73:74], -v[103:104]
	s_waitcnt vmcnt(0)
	v_add_f64 v[75:76], v[75:76], -v[99:100]
	buffer_store_dword v73, off, s[20:23], 0 offset:16 ; 4-byte Folded Spill
	s_nop 0
	buffer_store_dword v74, off, s[20:23], 0 offset:20 ; 4-byte Folded Spill
	buffer_store_dword v75, off, s[20:23], 0 offset:24 ; 4-byte Folded Spill
	;; [unrolled: 1-line block ×3, first 2 shown]
	v_mov_b32_e32 v76, v72
	v_mov_b32_e32 v75, v71
	;; [unrolled: 1-line block ×4, first 2 shown]
	ds_read2_b64 v[99:102], v125 offset0:66 offset1:67
	buffer_load_dword v69, off, s[20:23], 0 ; 4-byte Folded Reload
	buffer_load_dword v70, off, s[20:23], 0 offset:4 ; 4-byte Folded Reload
	buffer_load_dword v71, off, s[20:23], 0 offset:8 ; 4-byte Folded Reload
	;; [unrolled: 1-line block ×3, first 2 shown]
	s_waitcnt lgkmcnt(0)
	v_mul_f64 v[103:104], v[101:102], v[105:106]
	v_fma_f64 v[103:104], v[99:100], v[97:98], -v[103:104]
	v_mul_f64 v[99:100], v[99:100], v[105:106]
	v_fma_f64 v[99:100], v[101:102], v[97:98], v[99:100]
	s_waitcnt vmcnt(2)
	v_add_f64 v[69:70], v[69:70], -v[103:104]
	s_waitcnt vmcnt(0)
	v_add_f64 v[71:72], v[71:72], -v[99:100]
	buffer_store_dword v69, off, s[20:23], 0 ; 4-byte Folded Spill
	s_nop 0
	buffer_store_dword v70, off, s[20:23], 0 offset:4 ; 4-byte Folded Spill
	buffer_store_dword v71, off, s[20:23], 0 offset:8 ; 4-byte Folded Spill
	;; [unrolled: 1-line block ×3, first 2 shown]
	ds_read2_b64 v[99:102], v125 offset0:68 offset1:69
	s_waitcnt lgkmcnt(0)
	v_mul_f64 v[103:104], v[101:102], v[105:106]
	v_fma_f64 v[103:104], v[99:100], v[97:98], -v[103:104]
	v_mul_f64 v[99:100], v[99:100], v[105:106]
	v_add_f64 v[65:66], v[65:66], -v[103:104]
	v_fma_f64 v[99:100], v[101:102], v[97:98], v[99:100]
	v_add_f64 v[67:68], v[67:68], -v[99:100]
	ds_read2_b64 v[99:102], v125 offset0:70 offset1:71
	s_waitcnt lgkmcnt(0)
	v_mul_f64 v[103:104], v[101:102], v[105:106]
	v_fma_f64 v[103:104], v[99:100], v[97:98], -v[103:104]
	v_mul_f64 v[99:100], v[99:100], v[105:106]
	v_add_f64 v[61:62], v[61:62], -v[103:104]
	v_fma_f64 v[99:100], v[101:102], v[97:98], v[99:100]
	v_add_f64 v[63:64], v[63:64], -v[99:100]
	;; [unrolled: 8-line block ×16, first 2 shown]
	ds_read2_b64 v[99:102], v125 offset0:100 offset1:101
	s_waitcnt lgkmcnt(0)
	v_mul_f64 v[103:104], v[101:102], v[105:106]
	v_fma_f64 v[103:104], v[99:100], v[97:98], -v[103:104]
	v_mul_f64 v[99:100], v[99:100], v[105:106]
	v_add_f64 v[1:2], v[1:2], -v[103:104]
	v_fma_f64 v[99:100], v[101:102], v[97:98], v[99:100]
	ds_read2_b64 v[101:104], v125 offset0:102 offset1:103
	v_add_f64 v[3:4], v[3:4], -v[99:100]
	s_waitcnt lgkmcnt(0)
	v_mul_f64 v[99:100], v[103:104], v[105:106]
	v_fma_f64 v[99:100], v[101:102], v[97:98], -v[99:100]
	v_mul_f64 v[101:102], v[101:102], v[105:106]
	v_add_f64 v[73:74], v[73:74], -v[99:100]
	v_fma_f64 v[101:102], v[103:104], v[97:98], v[101:102]
	v_mov_b32_e32 v104, v98
	v_mov_b32_e32 v103, v97
	buffer_store_dword v103, off, s[20:23], 0 offset:432 ; 4-byte Folded Spill
	s_nop 0
	buffer_store_dword v104, off, s[20:23], 0 offset:436 ; 4-byte Folded Spill
	buffer_store_dword v105, off, s[20:23], 0 offset:440 ; 4-byte Folded Spill
	;; [unrolled: 1-line block ×3, first 2 shown]
	v_add_f64 v[75:76], v[75:76], -v[101:102]
.LBB103_19:
	s_or_b64 exec, exec, s[2:3]
	v_cmp_eq_u32_e32 vcc, 2, v0
	s_waitcnt vmcnt(0)
	s_barrier
	s_and_saveexec_b64 s[4:5], vcc
	s_cbranch_execz .LBB103_26
; %bb.20:
	buffer_load_dword v69, off, s[20:23], 0 offset:416 ; 4-byte Folded Reload
	buffer_load_dword v70, off, s[20:23], 0 offset:420 ; 4-byte Folded Reload
	;; [unrolled: 1-line block ×4, first 2 shown]
	s_waitcnt vmcnt(0)
	ds_write2_b64 v127, v[69:70], v[71:72] offset1:1
	buffer_load_dword v69, off, s[20:23], 0 offset:400 ; 4-byte Folded Reload
	buffer_load_dword v70, off, s[20:23], 0 offset:404 ; 4-byte Folded Reload
	buffer_load_dword v71, off, s[20:23], 0 offset:408 ; 4-byte Folded Reload
	buffer_load_dword v72, off, s[20:23], 0 offset:412 ; 4-byte Folded Reload
	s_waitcnt vmcnt(0)
	ds_write2_b64 v125, v[69:70], v[71:72] offset0:6 offset1:7
	buffer_load_dword v69, off, s[20:23], 0 offset:384 ; 4-byte Folded Reload
	buffer_load_dword v70, off, s[20:23], 0 offset:388 ; 4-byte Folded Reload
	buffer_load_dword v71, off, s[20:23], 0 offset:392 ; 4-byte Folded Reload
	buffer_load_dword v72, off, s[20:23], 0 offset:396 ; 4-byte Folded Reload
	s_waitcnt vmcnt(0)
	ds_write2_b64 v125, v[69:70], v[71:72] offset0:8 offset1:9
	;; [unrolled: 6-line block ×23, first 2 shown]
	ds_write2_b64 v125, v[121:122], v[123:124] offset0:52 offset1:53
	ds_write2_b64 v125, v[117:118], v[119:120] offset0:54 offset1:55
	;; [unrolled: 1-line block ×5, first 2 shown]
	buffer_load_dword v77, off, s[20:23], 0 offset:32 ; 4-byte Folded Reload
	buffer_load_dword v78, off, s[20:23], 0 offset:36 ; 4-byte Folded Reload
	;; [unrolled: 1-line block ×4, first 2 shown]
	v_mov_b32_e32 v69, v73
	v_mov_b32_e32 v70, v74
	;; [unrolled: 1-line block ×4, first 2 shown]
	s_waitcnt vmcnt(0)
	ds_write2_b64 v125, v[77:78], v[79:80] offset0:62 offset1:63
	buffer_load_dword v73, off, s[20:23], 0 offset:16 ; 4-byte Folded Reload
	buffer_load_dword v74, off, s[20:23], 0 offset:20 ; 4-byte Folded Reload
	;; [unrolled: 1-line block ×4, first 2 shown]
	s_waitcnt vmcnt(0)
	ds_write2_b64 v125, v[73:74], v[75:76] offset0:64 offset1:65
	v_mov_b32_e32 v76, v72
	v_mov_b32_e32 v75, v71
	v_mov_b32_e32 v74, v70
	v_mov_b32_e32 v73, v69
	buffer_load_dword v69, off, s[20:23], 0 ; 4-byte Folded Reload
	buffer_load_dword v70, off, s[20:23], 0 offset:4 ; 4-byte Folded Reload
	buffer_load_dword v71, off, s[20:23], 0 offset:8 ; 4-byte Folded Reload
	;; [unrolled: 1-line block ×3, first 2 shown]
	s_waitcnt vmcnt(0)
	ds_write2_b64 v125, v[69:70], v[71:72] offset0:66 offset1:67
	ds_write2_b64 v125, v[65:66], v[67:68] offset0:68 offset1:69
	;; [unrolled: 1-line block ×19, first 2 shown]
	ds_read2_b64 v[97:100], v127 offset1:1
	s_waitcnt lgkmcnt(0)
	v_cmp_neq_f64_e32 vcc, 0, v[97:98]
	v_cmp_neq_f64_e64 s[2:3], 0, v[99:100]
	s_or_b64 s[2:3], vcc, s[2:3]
	s_and_b64 exec, exec, s[2:3]
	s_cbranch_execz .LBB103_26
; %bb.21:
	v_cmp_ngt_f64_e64 s[2:3], |v[97:98]|, |v[99:100]|
                                        ; implicit-def: $vgpr101_vgpr102
	s_and_saveexec_b64 s[6:7], s[2:3]
	s_xor_b64 s[2:3], exec, s[6:7]
                                        ; implicit-def: $vgpr103_vgpr104
	s_cbranch_execz .LBB103_23
; %bb.22:
	v_div_scale_f64 v[101:102], s[6:7], v[99:100], v[99:100], v[97:98]
	v_rcp_f64_e32 v[103:104], v[101:102]
	v_fma_f64 v[105:106], -v[101:102], v[103:104], 1.0
	v_fma_f64 v[103:104], v[103:104], v[105:106], v[103:104]
	v_div_scale_f64 v[105:106], vcc, v[97:98], v[99:100], v[97:98]
	v_fma_f64 v[107:108], -v[101:102], v[103:104], 1.0
	v_fma_f64 v[103:104], v[103:104], v[107:108], v[103:104]
	v_mul_f64 v[107:108], v[105:106], v[103:104]
	v_fma_f64 v[101:102], -v[101:102], v[107:108], v[105:106]
	v_div_fmas_f64 v[101:102], v[101:102], v[103:104], v[107:108]
	v_div_fixup_f64 v[101:102], v[101:102], v[99:100], v[97:98]
	v_fma_f64 v[97:98], v[97:98], v[101:102], v[99:100]
	v_div_scale_f64 v[99:100], s[6:7], v[97:98], v[97:98], 1.0
	v_div_scale_f64 v[107:108], vcc, 1.0, v[97:98], 1.0
	v_rcp_f64_e32 v[103:104], v[99:100]
	v_fma_f64 v[105:106], -v[99:100], v[103:104], 1.0
	v_fma_f64 v[103:104], v[103:104], v[105:106], v[103:104]
	v_fma_f64 v[105:106], -v[99:100], v[103:104], 1.0
	v_fma_f64 v[103:104], v[103:104], v[105:106], v[103:104]
	v_mul_f64 v[105:106], v[107:108], v[103:104]
	v_fma_f64 v[99:100], -v[99:100], v[105:106], v[107:108]
	v_div_fmas_f64 v[99:100], v[99:100], v[103:104], v[105:106]
	v_div_fixup_f64 v[103:104], v[99:100], v[97:98], 1.0
                                        ; implicit-def: $vgpr97_vgpr98
	v_mul_f64 v[101:102], v[101:102], v[103:104]
	v_xor_b32_e32 v104, 0x80000000, v104
.LBB103_23:
	s_andn2_saveexec_b64 s[2:3], s[2:3]
	s_cbranch_execz .LBB103_25
; %bb.24:
	v_div_scale_f64 v[101:102], s[6:7], v[97:98], v[97:98], v[99:100]
	v_rcp_f64_e32 v[103:104], v[101:102]
	v_fma_f64 v[105:106], -v[101:102], v[103:104], 1.0
	v_fma_f64 v[103:104], v[103:104], v[105:106], v[103:104]
	v_div_scale_f64 v[105:106], vcc, v[99:100], v[97:98], v[99:100]
	v_fma_f64 v[107:108], -v[101:102], v[103:104], 1.0
	v_fma_f64 v[103:104], v[103:104], v[107:108], v[103:104]
	v_mul_f64 v[107:108], v[105:106], v[103:104]
	v_fma_f64 v[101:102], -v[101:102], v[107:108], v[105:106]
	v_div_fmas_f64 v[101:102], v[101:102], v[103:104], v[107:108]
	v_div_fixup_f64 v[103:104], v[101:102], v[97:98], v[99:100]
	v_fma_f64 v[97:98], v[99:100], v[103:104], v[97:98]
	v_div_scale_f64 v[99:100], s[6:7], v[97:98], v[97:98], 1.0
	v_div_scale_f64 v[107:108], vcc, 1.0, v[97:98], 1.0
	v_rcp_f64_e32 v[101:102], v[99:100]
	v_fma_f64 v[105:106], -v[99:100], v[101:102], 1.0
	v_fma_f64 v[101:102], v[101:102], v[105:106], v[101:102]
	v_fma_f64 v[105:106], -v[99:100], v[101:102], 1.0
	v_fma_f64 v[101:102], v[101:102], v[105:106], v[101:102]
	v_mul_f64 v[105:106], v[107:108], v[101:102]
	v_fma_f64 v[99:100], -v[99:100], v[105:106], v[107:108]
	v_div_fmas_f64 v[99:100], v[99:100], v[101:102], v[105:106]
	v_div_fixup_f64 v[101:102], v[99:100], v[97:98], 1.0
	v_mul_f64 v[103:104], v[103:104], -v[101:102]
.LBB103_25:
	s_or_b64 exec, exec, s[2:3]
	ds_write2_b64 v127, v[101:102], v[103:104] offset1:1
.LBB103_26:
	s_or_b64 exec, exec, s[4:5]
	s_waitcnt lgkmcnt(0)
	s_barrier
	ds_read2_b64 v[69:72], v127 offset1:1
	v_cmp_lt_u32_e32 vcc, 2, v0
	s_waitcnt lgkmcnt(0)
	buffer_store_dword v69, off, s[20:23], 0 offset:904 ; 4-byte Folded Spill
	s_nop 0
	buffer_store_dword v70, off, s[20:23], 0 offset:908 ; 4-byte Folded Spill
	buffer_store_dword v71, off, s[20:23], 0 offset:912 ; 4-byte Folded Spill
	;; [unrolled: 1-line block ×3, first 2 shown]
	s_and_saveexec_b64 s[2:3], vcc
	s_cbranch_execz .LBB103_28
; %bb.27:
	buffer_load_dword v103, off, s[20:23], 0 offset:416 ; 4-byte Folded Reload
	buffer_load_dword v104, off, s[20:23], 0 offset:420 ; 4-byte Folded Reload
	;; [unrolled: 1-line block ×8, first 2 shown]
	s_waitcnt vmcnt(2)
	v_mul_f64 v[99:100], v[69:70], v[105:106]
	s_waitcnt vmcnt(0)
	v_mul_f64 v[97:98], v[71:72], v[105:106]
	v_fma_f64 v[105:106], v[71:72], v[103:104], v[99:100]
	ds_read2_b64 v[99:102], v125 offset0:6 offset1:7
	v_fma_f64 v[97:98], v[69:70], v[103:104], -v[97:98]
	buffer_load_dword v69, off, s[20:23], 0 offset:400 ; 4-byte Folded Reload
	buffer_load_dword v70, off, s[20:23], 0 offset:404 ; 4-byte Folded Reload
	buffer_load_dword v71, off, s[20:23], 0 offset:408 ; 4-byte Folded Reload
	buffer_load_dword v72, off, s[20:23], 0 offset:412 ; 4-byte Folded Reload
	s_waitcnt lgkmcnt(0)
	v_mul_f64 v[103:104], v[101:102], v[105:106]
	v_fma_f64 v[103:104], v[99:100], v[97:98], -v[103:104]
	v_mul_f64 v[99:100], v[99:100], v[105:106]
	v_fma_f64 v[99:100], v[101:102], v[97:98], v[99:100]
	s_waitcnt vmcnt(2)
	v_add_f64 v[69:70], v[69:70], -v[103:104]
	s_waitcnt vmcnt(0)
	v_add_f64 v[71:72], v[71:72], -v[99:100]
	buffer_store_dword v69, off, s[20:23], 0 offset:400 ; 4-byte Folded Spill
	s_nop 0
	buffer_store_dword v70, off, s[20:23], 0 offset:404 ; 4-byte Folded Spill
	buffer_store_dword v71, off, s[20:23], 0 offset:408 ; 4-byte Folded Spill
	buffer_store_dword v72, off, s[20:23], 0 offset:412 ; 4-byte Folded Spill
	ds_read2_b64 v[99:102], v125 offset0:8 offset1:9
	buffer_load_dword v69, off, s[20:23], 0 offset:384 ; 4-byte Folded Reload
	buffer_load_dword v70, off, s[20:23], 0 offset:388 ; 4-byte Folded Reload
	buffer_load_dword v71, off, s[20:23], 0 offset:392 ; 4-byte Folded Reload
	buffer_load_dword v72, off, s[20:23], 0 offset:396 ; 4-byte Folded Reload
	s_waitcnt lgkmcnt(0)
	v_mul_f64 v[103:104], v[101:102], v[105:106]
	v_fma_f64 v[103:104], v[99:100], v[97:98], -v[103:104]
	v_mul_f64 v[99:100], v[99:100], v[105:106]
	v_fma_f64 v[99:100], v[101:102], v[97:98], v[99:100]
	s_waitcnt vmcnt(2)
	v_add_f64 v[69:70], v[69:70], -v[103:104]
	s_waitcnt vmcnt(0)
	v_add_f64 v[71:72], v[71:72], -v[99:100]
	buffer_store_dword v69, off, s[20:23], 0 offset:384 ; 4-byte Folded Spill
	s_nop 0
	buffer_store_dword v70, off, s[20:23], 0 offset:388 ; 4-byte Folded Spill
	buffer_store_dword v71, off, s[20:23], 0 offset:392 ; 4-byte Folded Spill
	buffer_store_dword v72, off, s[20:23], 0 offset:396 ; 4-byte Folded Spill
	ds_read2_b64 v[99:102], v125 offset0:10 offset1:11
	;; [unrolled: 19-line block ×23, first 2 shown]
	v_mov_b32_e32 v69, v73
	v_mov_b32_e32 v70, v74
	;; [unrolled: 1-line block ×4, first 2 shown]
	s_waitcnt lgkmcnt(0)
	v_mul_f64 v[103:104], v[101:102], v[105:106]
	v_fma_f64 v[103:104], v[99:100], v[97:98], -v[103:104]
	v_mul_f64 v[99:100], v[99:100], v[105:106]
	v_add_f64 v[121:122], v[121:122], -v[103:104]
	v_fma_f64 v[99:100], v[101:102], v[97:98], v[99:100]
	v_add_f64 v[123:124], v[123:124], -v[99:100]
	ds_read2_b64 v[99:102], v125 offset0:54 offset1:55
	s_waitcnt lgkmcnt(0)
	v_mul_f64 v[103:104], v[101:102], v[105:106]
	v_fma_f64 v[103:104], v[99:100], v[97:98], -v[103:104]
	v_mul_f64 v[99:100], v[99:100], v[105:106]
	v_add_f64 v[117:118], v[117:118], -v[103:104]
	v_fma_f64 v[99:100], v[101:102], v[97:98], v[99:100]
	v_add_f64 v[119:120], v[119:120], -v[99:100]
	ds_read2_b64 v[99:102], v125 offset0:56 offset1:57
	s_waitcnt lgkmcnt(0)
	v_mul_f64 v[103:104], v[101:102], v[105:106]
	v_fma_f64 v[103:104], v[99:100], v[97:98], -v[103:104]
	v_mul_f64 v[99:100], v[99:100], v[105:106]
	v_add_f64 v[109:110], v[109:110], -v[103:104]
	v_fma_f64 v[99:100], v[101:102], v[97:98], v[99:100]
	v_add_f64 v[111:112], v[111:112], -v[99:100]
	ds_read2_b64 v[99:102], v125 offset0:58 offset1:59
	s_waitcnt lgkmcnt(0)
	v_mul_f64 v[103:104], v[101:102], v[105:106]
	v_fma_f64 v[103:104], v[99:100], v[97:98], -v[103:104]
	v_mul_f64 v[99:100], v[99:100], v[105:106]
	v_add_f64 v[113:114], v[113:114], -v[103:104]
	v_fma_f64 v[99:100], v[101:102], v[97:98], v[99:100]
	v_add_f64 v[115:116], v[115:116], -v[99:100]
	ds_read2_b64 v[99:102], v125 offset0:60 offset1:61
	s_waitcnt lgkmcnt(0)
	v_mul_f64 v[103:104], v[101:102], v[105:106]
	v_fma_f64 v[103:104], v[99:100], v[97:98], -v[103:104]
	v_mul_f64 v[99:100], v[99:100], v[105:106]
	v_add_f64 v[93:94], v[93:94], -v[103:104]
	v_fma_f64 v[99:100], v[101:102], v[97:98], v[99:100]
	v_add_f64 v[95:96], v[95:96], -v[99:100]
	ds_read2_b64 v[99:102], v125 offset0:62 offset1:63
	buffer_load_dword v77, off, s[20:23], 0 offset:32 ; 4-byte Folded Reload
	buffer_load_dword v78, off, s[20:23], 0 offset:36 ; 4-byte Folded Reload
	;; [unrolled: 1-line block ×4, first 2 shown]
	s_waitcnt lgkmcnt(0)
	v_mul_f64 v[103:104], v[101:102], v[105:106]
	v_fma_f64 v[103:104], v[99:100], v[97:98], -v[103:104]
	v_mul_f64 v[99:100], v[99:100], v[105:106]
	v_fma_f64 v[99:100], v[101:102], v[97:98], v[99:100]
	s_waitcnt vmcnt(2)
	v_add_f64 v[77:78], v[77:78], -v[103:104]
	s_waitcnt vmcnt(0)
	v_add_f64 v[79:80], v[79:80], -v[99:100]
	buffer_store_dword v77, off, s[20:23], 0 offset:32 ; 4-byte Folded Spill
	s_nop 0
	buffer_store_dword v78, off, s[20:23], 0 offset:36 ; 4-byte Folded Spill
	buffer_store_dword v79, off, s[20:23], 0 offset:40 ; 4-byte Folded Spill
	;; [unrolled: 1-line block ×3, first 2 shown]
	ds_read2_b64 v[99:102], v125 offset0:64 offset1:65
	buffer_load_dword v73, off, s[20:23], 0 offset:16 ; 4-byte Folded Reload
	buffer_load_dword v74, off, s[20:23], 0 offset:20 ; 4-byte Folded Reload
	;; [unrolled: 1-line block ×4, first 2 shown]
	s_waitcnt lgkmcnt(0)
	v_mul_f64 v[103:104], v[101:102], v[105:106]
	v_fma_f64 v[103:104], v[99:100], v[97:98], -v[103:104]
	v_mul_f64 v[99:100], v[99:100], v[105:106]
	v_fma_f64 v[99:100], v[101:102], v[97:98], v[99:100]
	s_waitcnt vmcnt(2)
	v_add_f64 v[73:74], v[73:74], -v[103:104]
	s_waitcnt vmcnt(0)
	v_add_f64 v[75:76], v[75:76], -v[99:100]
	buffer_store_dword v73, off, s[20:23], 0 offset:16 ; 4-byte Folded Spill
	s_nop 0
	buffer_store_dword v74, off, s[20:23], 0 offset:20 ; 4-byte Folded Spill
	buffer_store_dword v75, off, s[20:23], 0 offset:24 ; 4-byte Folded Spill
	;; [unrolled: 1-line block ×3, first 2 shown]
	v_mov_b32_e32 v76, v72
	v_mov_b32_e32 v75, v71
	;; [unrolled: 1-line block ×4, first 2 shown]
	ds_read2_b64 v[99:102], v125 offset0:66 offset1:67
	buffer_load_dword v69, off, s[20:23], 0 ; 4-byte Folded Reload
	buffer_load_dword v70, off, s[20:23], 0 offset:4 ; 4-byte Folded Reload
	buffer_load_dword v71, off, s[20:23], 0 offset:8 ; 4-byte Folded Reload
	;; [unrolled: 1-line block ×3, first 2 shown]
	s_waitcnt lgkmcnt(0)
	v_mul_f64 v[103:104], v[101:102], v[105:106]
	v_fma_f64 v[103:104], v[99:100], v[97:98], -v[103:104]
	v_mul_f64 v[99:100], v[99:100], v[105:106]
	v_fma_f64 v[99:100], v[101:102], v[97:98], v[99:100]
	s_waitcnt vmcnt(2)
	v_add_f64 v[69:70], v[69:70], -v[103:104]
	s_waitcnt vmcnt(0)
	v_add_f64 v[71:72], v[71:72], -v[99:100]
	buffer_store_dword v69, off, s[20:23], 0 ; 4-byte Folded Spill
	s_nop 0
	buffer_store_dword v70, off, s[20:23], 0 offset:4 ; 4-byte Folded Spill
	buffer_store_dword v71, off, s[20:23], 0 offset:8 ; 4-byte Folded Spill
	;; [unrolled: 1-line block ×3, first 2 shown]
	ds_read2_b64 v[99:102], v125 offset0:68 offset1:69
	s_waitcnt lgkmcnt(0)
	v_mul_f64 v[103:104], v[101:102], v[105:106]
	v_fma_f64 v[103:104], v[99:100], v[97:98], -v[103:104]
	v_mul_f64 v[99:100], v[99:100], v[105:106]
	v_add_f64 v[65:66], v[65:66], -v[103:104]
	v_fma_f64 v[99:100], v[101:102], v[97:98], v[99:100]
	v_add_f64 v[67:68], v[67:68], -v[99:100]
	ds_read2_b64 v[99:102], v125 offset0:70 offset1:71
	s_waitcnt lgkmcnt(0)
	v_mul_f64 v[103:104], v[101:102], v[105:106]
	v_fma_f64 v[103:104], v[99:100], v[97:98], -v[103:104]
	v_mul_f64 v[99:100], v[99:100], v[105:106]
	v_add_f64 v[61:62], v[61:62], -v[103:104]
	v_fma_f64 v[99:100], v[101:102], v[97:98], v[99:100]
	v_add_f64 v[63:64], v[63:64], -v[99:100]
	;; [unrolled: 8-line block ×16, first 2 shown]
	ds_read2_b64 v[99:102], v125 offset0:100 offset1:101
	s_waitcnt lgkmcnt(0)
	v_mul_f64 v[103:104], v[101:102], v[105:106]
	v_fma_f64 v[103:104], v[99:100], v[97:98], -v[103:104]
	v_mul_f64 v[99:100], v[99:100], v[105:106]
	v_add_f64 v[1:2], v[1:2], -v[103:104]
	v_fma_f64 v[99:100], v[101:102], v[97:98], v[99:100]
	ds_read2_b64 v[101:104], v125 offset0:102 offset1:103
	v_add_f64 v[3:4], v[3:4], -v[99:100]
	s_waitcnt lgkmcnt(0)
	v_mul_f64 v[99:100], v[103:104], v[105:106]
	v_fma_f64 v[99:100], v[101:102], v[97:98], -v[99:100]
	v_mul_f64 v[101:102], v[101:102], v[105:106]
	v_add_f64 v[73:74], v[73:74], -v[99:100]
	v_fma_f64 v[101:102], v[103:104], v[97:98], v[101:102]
	v_mov_b32_e32 v104, v98
	v_mov_b32_e32 v103, v97
	buffer_store_dword v103, off, s[20:23], 0 offset:416 ; 4-byte Folded Spill
	s_nop 0
	buffer_store_dword v104, off, s[20:23], 0 offset:420 ; 4-byte Folded Spill
	buffer_store_dword v105, off, s[20:23], 0 offset:424 ; 4-byte Folded Spill
	;; [unrolled: 1-line block ×3, first 2 shown]
	v_add_f64 v[75:76], v[75:76], -v[101:102]
.LBB103_28:
	s_or_b64 exec, exec, s[2:3]
	v_cmp_eq_u32_e32 vcc, 3, v0
	s_waitcnt vmcnt(0)
	s_barrier
	s_and_saveexec_b64 s[4:5], vcc
	s_cbranch_execz .LBB103_35
; %bb.29:
	buffer_load_dword v69, off, s[20:23], 0 offset:400 ; 4-byte Folded Reload
	buffer_load_dword v70, off, s[20:23], 0 offset:404 ; 4-byte Folded Reload
	;; [unrolled: 1-line block ×4, first 2 shown]
	s_waitcnt vmcnt(0)
	ds_write2_b64 v127, v[69:70], v[71:72] offset1:1
	buffer_load_dword v69, off, s[20:23], 0 offset:384 ; 4-byte Folded Reload
	buffer_load_dword v70, off, s[20:23], 0 offset:388 ; 4-byte Folded Reload
	buffer_load_dword v71, off, s[20:23], 0 offset:392 ; 4-byte Folded Reload
	buffer_load_dword v72, off, s[20:23], 0 offset:396 ; 4-byte Folded Reload
	s_waitcnt vmcnt(0)
	ds_write2_b64 v125, v[69:70], v[71:72] offset0:8 offset1:9
	buffer_load_dword v69, off, s[20:23], 0 offset:368 ; 4-byte Folded Reload
	buffer_load_dword v70, off, s[20:23], 0 offset:372 ; 4-byte Folded Reload
	buffer_load_dword v71, off, s[20:23], 0 offset:376 ; 4-byte Folded Reload
	buffer_load_dword v72, off, s[20:23], 0 offset:380 ; 4-byte Folded Reload
	s_waitcnt vmcnt(0)
	ds_write2_b64 v125, v[69:70], v[71:72] offset0:10 offset1:11
	;; [unrolled: 6-line block ×22, first 2 shown]
	ds_write2_b64 v125, v[121:122], v[123:124] offset0:52 offset1:53
	ds_write2_b64 v125, v[117:118], v[119:120] offset0:54 offset1:55
	;; [unrolled: 1-line block ×5, first 2 shown]
	buffer_load_dword v77, off, s[20:23], 0 offset:32 ; 4-byte Folded Reload
	buffer_load_dword v78, off, s[20:23], 0 offset:36 ; 4-byte Folded Reload
	;; [unrolled: 1-line block ×4, first 2 shown]
	v_mov_b32_e32 v69, v73
	v_mov_b32_e32 v70, v74
	;; [unrolled: 1-line block ×4, first 2 shown]
	s_waitcnt vmcnt(0)
	ds_write2_b64 v125, v[77:78], v[79:80] offset0:62 offset1:63
	buffer_load_dword v73, off, s[20:23], 0 offset:16 ; 4-byte Folded Reload
	buffer_load_dword v74, off, s[20:23], 0 offset:20 ; 4-byte Folded Reload
	;; [unrolled: 1-line block ×4, first 2 shown]
	s_waitcnt vmcnt(0)
	ds_write2_b64 v125, v[73:74], v[75:76] offset0:64 offset1:65
	v_mov_b32_e32 v76, v72
	v_mov_b32_e32 v75, v71
	;; [unrolled: 1-line block ×4, first 2 shown]
	buffer_load_dword v69, off, s[20:23], 0 ; 4-byte Folded Reload
	buffer_load_dword v70, off, s[20:23], 0 offset:4 ; 4-byte Folded Reload
	buffer_load_dword v71, off, s[20:23], 0 offset:8 ; 4-byte Folded Reload
	;; [unrolled: 1-line block ×3, first 2 shown]
	s_waitcnt vmcnt(0)
	ds_write2_b64 v125, v[69:70], v[71:72] offset0:66 offset1:67
	ds_write2_b64 v125, v[65:66], v[67:68] offset0:68 offset1:69
	;; [unrolled: 1-line block ×19, first 2 shown]
	ds_read2_b64 v[97:100], v127 offset1:1
	s_waitcnt lgkmcnt(0)
	v_cmp_neq_f64_e32 vcc, 0, v[97:98]
	v_cmp_neq_f64_e64 s[2:3], 0, v[99:100]
	s_or_b64 s[2:3], vcc, s[2:3]
	s_and_b64 exec, exec, s[2:3]
	s_cbranch_execz .LBB103_35
; %bb.30:
	v_cmp_ngt_f64_e64 s[2:3], |v[97:98]|, |v[99:100]|
                                        ; implicit-def: $vgpr101_vgpr102
	s_and_saveexec_b64 s[6:7], s[2:3]
	s_xor_b64 s[2:3], exec, s[6:7]
                                        ; implicit-def: $vgpr103_vgpr104
	s_cbranch_execz .LBB103_32
; %bb.31:
	v_div_scale_f64 v[101:102], s[6:7], v[99:100], v[99:100], v[97:98]
	v_rcp_f64_e32 v[103:104], v[101:102]
	v_fma_f64 v[105:106], -v[101:102], v[103:104], 1.0
	v_fma_f64 v[103:104], v[103:104], v[105:106], v[103:104]
	v_div_scale_f64 v[105:106], vcc, v[97:98], v[99:100], v[97:98]
	v_fma_f64 v[107:108], -v[101:102], v[103:104], 1.0
	v_fma_f64 v[103:104], v[103:104], v[107:108], v[103:104]
	v_mul_f64 v[107:108], v[105:106], v[103:104]
	v_fma_f64 v[101:102], -v[101:102], v[107:108], v[105:106]
	v_div_fmas_f64 v[101:102], v[101:102], v[103:104], v[107:108]
	v_div_fixup_f64 v[101:102], v[101:102], v[99:100], v[97:98]
	v_fma_f64 v[97:98], v[97:98], v[101:102], v[99:100]
	v_div_scale_f64 v[99:100], s[6:7], v[97:98], v[97:98], 1.0
	v_div_scale_f64 v[107:108], vcc, 1.0, v[97:98], 1.0
	v_rcp_f64_e32 v[103:104], v[99:100]
	v_fma_f64 v[105:106], -v[99:100], v[103:104], 1.0
	v_fma_f64 v[103:104], v[103:104], v[105:106], v[103:104]
	v_fma_f64 v[105:106], -v[99:100], v[103:104], 1.0
	v_fma_f64 v[103:104], v[103:104], v[105:106], v[103:104]
	v_mul_f64 v[105:106], v[107:108], v[103:104]
	v_fma_f64 v[99:100], -v[99:100], v[105:106], v[107:108]
	v_div_fmas_f64 v[99:100], v[99:100], v[103:104], v[105:106]
	v_div_fixup_f64 v[103:104], v[99:100], v[97:98], 1.0
                                        ; implicit-def: $vgpr97_vgpr98
	v_mul_f64 v[101:102], v[101:102], v[103:104]
	v_xor_b32_e32 v104, 0x80000000, v104
.LBB103_32:
	s_andn2_saveexec_b64 s[2:3], s[2:3]
	s_cbranch_execz .LBB103_34
; %bb.33:
	v_div_scale_f64 v[101:102], s[6:7], v[97:98], v[97:98], v[99:100]
	v_rcp_f64_e32 v[103:104], v[101:102]
	v_fma_f64 v[105:106], -v[101:102], v[103:104], 1.0
	v_fma_f64 v[103:104], v[103:104], v[105:106], v[103:104]
	v_div_scale_f64 v[105:106], vcc, v[99:100], v[97:98], v[99:100]
	v_fma_f64 v[107:108], -v[101:102], v[103:104], 1.0
	v_fma_f64 v[103:104], v[103:104], v[107:108], v[103:104]
	v_mul_f64 v[107:108], v[105:106], v[103:104]
	v_fma_f64 v[101:102], -v[101:102], v[107:108], v[105:106]
	v_div_fmas_f64 v[101:102], v[101:102], v[103:104], v[107:108]
	v_div_fixup_f64 v[103:104], v[101:102], v[97:98], v[99:100]
	v_fma_f64 v[97:98], v[99:100], v[103:104], v[97:98]
	v_div_scale_f64 v[99:100], s[6:7], v[97:98], v[97:98], 1.0
	v_div_scale_f64 v[107:108], vcc, 1.0, v[97:98], 1.0
	v_rcp_f64_e32 v[101:102], v[99:100]
	v_fma_f64 v[105:106], -v[99:100], v[101:102], 1.0
	v_fma_f64 v[101:102], v[101:102], v[105:106], v[101:102]
	v_fma_f64 v[105:106], -v[99:100], v[101:102], 1.0
	v_fma_f64 v[101:102], v[101:102], v[105:106], v[101:102]
	v_mul_f64 v[105:106], v[107:108], v[101:102]
	v_fma_f64 v[99:100], -v[99:100], v[105:106], v[107:108]
	v_div_fmas_f64 v[99:100], v[99:100], v[101:102], v[105:106]
	v_div_fixup_f64 v[101:102], v[99:100], v[97:98], 1.0
	v_mul_f64 v[103:104], v[103:104], -v[101:102]
.LBB103_34:
	s_or_b64 exec, exec, s[2:3]
	ds_write2_b64 v127, v[101:102], v[103:104] offset1:1
.LBB103_35:
	s_or_b64 exec, exec, s[4:5]
	s_waitcnt lgkmcnt(0)
	s_barrier
	ds_read2_b64 v[69:72], v127 offset1:1
	v_cmp_lt_u32_e32 vcc, 3, v0
	s_waitcnt lgkmcnt(0)
	buffer_store_dword v69, off, s[20:23], 0 offset:920 ; 4-byte Folded Spill
	s_nop 0
	buffer_store_dword v70, off, s[20:23], 0 offset:924 ; 4-byte Folded Spill
	buffer_store_dword v71, off, s[20:23], 0 offset:928 ; 4-byte Folded Spill
	;; [unrolled: 1-line block ×3, first 2 shown]
	s_and_saveexec_b64 s[2:3], vcc
	s_cbranch_execz .LBB103_37
; %bb.36:
	buffer_load_dword v103, off, s[20:23], 0 offset:400 ; 4-byte Folded Reload
	buffer_load_dword v104, off, s[20:23], 0 offset:404 ; 4-byte Folded Reload
	;; [unrolled: 1-line block ×8, first 2 shown]
	s_waitcnt vmcnt(2)
	v_mul_f64 v[99:100], v[69:70], v[105:106]
	s_waitcnt vmcnt(0)
	v_mul_f64 v[97:98], v[71:72], v[105:106]
	v_fma_f64 v[105:106], v[71:72], v[103:104], v[99:100]
	ds_read2_b64 v[99:102], v125 offset0:8 offset1:9
	v_fma_f64 v[97:98], v[69:70], v[103:104], -v[97:98]
	buffer_load_dword v69, off, s[20:23], 0 offset:384 ; 4-byte Folded Reload
	buffer_load_dword v70, off, s[20:23], 0 offset:388 ; 4-byte Folded Reload
	buffer_load_dword v71, off, s[20:23], 0 offset:392 ; 4-byte Folded Reload
	buffer_load_dword v72, off, s[20:23], 0 offset:396 ; 4-byte Folded Reload
	s_waitcnt lgkmcnt(0)
	v_mul_f64 v[103:104], v[101:102], v[105:106]
	v_fma_f64 v[103:104], v[99:100], v[97:98], -v[103:104]
	v_mul_f64 v[99:100], v[99:100], v[105:106]
	v_fma_f64 v[99:100], v[101:102], v[97:98], v[99:100]
	s_waitcnt vmcnt(2)
	v_add_f64 v[69:70], v[69:70], -v[103:104]
	s_waitcnt vmcnt(0)
	v_add_f64 v[71:72], v[71:72], -v[99:100]
	buffer_store_dword v69, off, s[20:23], 0 offset:384 ; 4-byte Folded Spill
	s_nop 0
	buffer_store_dword v70, off, s[20:23], 0 offset:388 ; 4-byte Folded Spill
	buffer_store_dword v71, off, s[20:23], 0 offset:392 ; 4-byte Folded Spill
	buffer_store_dword v72, off, s[20:23], 0 offset:396 ; 4-byte Folded Spill
	ds_read2_b64 v[99:102], v125 offset0:10 offset1:11
	buffer_load_dword v69, off, s[20:23], 0 offset:368 ; 4-byte Folded Reload
	buffer_load_dword v70, off, s[20:23], 0 offset:372 ; 4-byte Folded Reload
	buffer_load_dword v71, off, s[20:23], 0 offset:376 ; 4-byte Folded Reload
	buffer_load_dword v72, off, s[20:23], 0 offset:380 ; 4-byte Folded Reload
	s_waitcnt lgkmcnt(0)
	v_mul_f64 v[103:104], v[101:102], v[105:106]
	v_fma_f64 v[103:104], v[99:100], v[97:98], -v[103:104]
	v_mul_f64 v[99:100], v[99:100], v[105:106]
	v_fma_f64 v[99:100], v[101:102], v[97:98], v[99:100]
	s_waitcnt vmcnt(2)
	v_add_f64 v[69:70], v[69:70], -v[103:104]
	s_waitcnt vmcnt(0)
	v_add_f64 v[71:72], v[71:72], -v[99:100]
	buffer_store_dword v69, off, s[20:23], 0 offset:368 ; 4-byte Folded Spill
	s_nop 0
	buffer_store_dword v70, off, s[20:23], 0 offset:372 ; 4-byte Folded Spill
	buffer_store_dword v71, off, s[20:23], 0 offset:376 ; 4-byte Folded Spill
	buffer_store_dword v72, off, s[20:23], 0 offset:380 ; 4-byte Folded Spill
	ds_read2_b64 v[99:102], v125 offset0:12 offset1:13
	;; [unrolled: 19-line block ×22, first 2 shown]
	v_mov_b32_e32 v69, v73
	v_mov_b32_e32 v70, v74
	v_mov_b32_e32 v71, v75
	v_mov_b32_e32 v72, v76
	s_waitcnt lgkmcnt(0)
	v_mul_f64 v[103:104], v[101:102], v[105:106]
	v_fma_f64 v[103:104], v[99:100], v[97:98], -v[103:104]
	v_mul_f64 v[99:100], v[99:100], v[105:106]
	v_add_f64 v[121:122], v[121:122], -v[103:104]
	v_fma_f64 v[99:100], v[101:102], v[97:98], v[99:100]
	v_add_f64 v[123:124], v[123:124], -v[99:100]
	ds_read2_b64 v[99:102], v125 offset0:54 offset1:55
	s_waitcnt lgkmcnt(0)
	v_mul_f64 v[103:104], v[101:102], v[105:106]
	v_fma_f64 v[103:104], v[99:100], v[97:98], -v[103:104]
	v_mul_f64 v[99:100], v[99:100], v[105:106]
	v_add_f64 v[117:118], v[117:118], -v[103:104]
	v_fma_f64 v[99:100], v[101:102], v[97:98], v[99:100]
	v_add_f64 v[119:120], v[119:120], -v[99:100]
	ds_read2_b64 v[99:102], v125 offset0:56 offset1:57
	;; [unrolled: 8-line block ×5, first 2 shown]
	buffer_load_dword v77, off, s[20:23], 0 offset:32 ; 4-byte Folded Reload
	buffer_load_dword v78, off, s[20:23], 0 offset:36 ; 4-byte Folded Reload
	;; [unrolled: 1-line block ×4, first 2 shown]
	s_waitcnt lgkmcnt(0)
	v_mul_f64 v[103:104], v[101:102], v[105:106]
	v_fma_f64 v[103:104], v[99:100], v[97:98], -v[103:104]
	v_mul_f64 v[99:100], v[99:100], v[105:106]
	v_fma_f64 v[99:100], v[101:102], v[97:98], v[99:100]
	s_waitcnt vmcnt(2)
	v_add_f64 v[77:78], v[77:78], -v[103:104]
	s_waitcnt vmcnt(0)
	v_add_f64 v[79:80], v[79:80], -v[99:100]
	buffer_store_dword v77, off, s[20:23], 0 offset:32 ; 4-byte Folded Spill
	s_nop 0
	buffer_store_dword v78, off, s[20:23], 0 offset:36 ; 4-byte Folded Spill
	buffer_store_dword v79, off, s[20:23], 0 offset:40 ; 4-byte Folded Spill
	;; [unrolled: 1-line block ×3, first 2 shown]
	ds_read2_b64 v[99:102], v125 offset0:64 offset1:65
	buffer_load_dword v73, off, s[20:23], 0 offset:16 ; 4-byte Folded Reload
	buffer_load_dword v74, off, s[20:23], 0 offset:20 ; 4-byte Folded Reload
	;; [unrolled: 1-line block ×4, first 2 shown]
	s_waitcnt lgkmcnt(0)
	v_mul_f64 v[103:104], v[101:102], v[105:106]
	v_fma_f64 v[103:104], v[99:100], v[97:98], -v[103:104]
	v_mul_f64 v[99:100], v[99:100], v[105:106]
	v_fma_f64 v[99:100], v[101:102], v[97:98], v[99:100]
	s_waitcnt vmcnt(2)
	v_add_f64 v[73:74], v[73:74], -v[103:104]
	s_waitcnt vmcnt(0)
	v_add_f64 v[75:76], v[75:76], -v[99:100]
	buffer_store_dword v73, off, s[20:23], 0 offset:16 ; 4-byte Folded Spill
	s_nop 0
	buffer_store_dword v74, off, s[20:23], 0 offset:20 ; 4-byte Folded Spill
	buffer_store_dword v75, off, s[20:23], 0 offset:24 ; 4-byte Folded Spill
	;; [unrolled: 1-line block ×3, first 2 shown]
	v_mov_b32_e32 v76, v72
	v_mov_b32_e32 v75, v71
	;; [unrolled: 1-line block ×4, first 2 shown]
	ds_read2_b64 v[99:102], v125 offset0:66 offset1:67
	buffer_load_dword v69, off, s[20:23], 0 ; 4-byte Folded Reload
	buffer_load_dword v70, off, s[20:23], 0 offset:4 ; 4-byte Folded Reload
	buffer_load_dword v71, off, s[20:23], 0 offset:8 ; 4-byte Folded Reload
	;; [unrolled: 1-line block ×3, first 2 shown]
	s_waitcnt lgkmcnt(0)
	v_mul_f64 v[103:104], v[101:102], v[105:106]
	v_fma_f64 v[103:104], v[99:100], v[97:98], -v[103:104]
	v_mul_f64 v[99:100], v[99:100], v[105:106]
	v_fma_f64 v[99:100], v[101:102], v[97:98], v[99:100]
	s_waitcnt vmcnt(2)
	v_add_f64 v[69:70], v[69:70], -v[103:104]
	s_waitcnt vmcnt(0)
	v_add_f64 v[71:72], v[71:72], -v[99:100]
	buffer_store_dword v69, off, s[20:23], 0 ; 4-byte Folded Spill
	s_nop 0
	buffer_store_dword v70, off, s[20:23], 0 offset:4 ; 4-byte Folded Spill
	buffer_store_dword v71, off, s[20:23], 0 offset:8 ; 4-byte Folded Spill
	;; [unrolled: 1-line block ×3, first 2 shown]
	ds_read2_b64 v[99:102], v125 offset0:68 offset1:69
	s_waitcnt lgkmcnt(0)
	v_mul_f64 v[103:104], v[101:102], v[105:106]
	v_fma_f64 v[103:104], v[99:100], v[97:98], -v[103:104]
	v_mul_f64 v[99:100], v[99:100], v[105:106]
	v_add_f64 v[65:66], v[65:66], -v[103:104]
	v_fma_f64 v[99:100], v[101:102], v[97:98], v[99:100]
	v_add_f64 v[67:68], v[67:68], -v[99:100]
	ds_read2_b64 v[99:102], v125 offset0:70 offset1:71
	s_waitcnt lgkmcnt(0)
	v_mul_f64 v[103:104], v[101:102], v[105:106]
	v_fma_f64 v[103:104], v[99:100], v[97:98], -v[103:104]
	v_mul_f64 v[99:100], v[99:100], v[105:106]
	v_add_f64 v[61:62], v[61:62], -v[103:104]
	v_fma_f64 v[99:100], v[101:102], v[97:98], v[99:100]
	v_add_f64 v[63:64], v[63:64], -v[99:100]
	;; [unrolled: 8-line block ×16, first 2 shown]
	ds_read2_b64 v[99:102], v125 offset0:100 offset1:101
	s_waitcnt lgkmcnt(0)
	v_mul_f64 v[103:104], v[101:102], v[105:106]
	v_fma_f64 v[103:104], v[99:100], v[97:98], -v[103:104]
	v_mul_f64 v[99:100], v[99:100], v[105:106]
	v_add_f64 v[1:2], v[1:2], -v[103:104]
	v_fma_f64 v[99:100], v[101:102], v[97:98], v[99:100]
	ds_read2_b64 v[101:104], v125 offset0:102 offset1:103
	v_add_f64 v[3:4], v[3:4], -v[99:100]
	s_waitcnt lgkmcnt(0)
	v_mul_f64 v[99:100], v[103:104], v[105:106]
	v_fma_f64 v[99:100], v[101:102], v[97:98], -v[99:100]
	v_mul_f64 v[101:102], v[101:102], v[105:106]
	v_add_f64 v[73:74], v[73:74], -v[99:100]
	v_fma_f64 v[101:102], v[103:104], v[97:98], v[101:102]
	v_mov_b32_e32 v104, v98
	v_mov_b32_e32 v103, v97
	buffer_store_dword v103, off, s[20:23], 0 offset:400 ; 4-byte Folded Spill
	s_nop 0
	buffer_store_dword v104, off, s[20:23], 0 offset:404 ; 4-byte Folded Spill
	buffer_store_dword v105, off, s[20:23], 0 offset:408 ; 4-byte Folded Spill
	;; [unrolled: 1-line block ×3, first 2 shown]
	v_add_f64 v[75:76], v[75:76], -v[101:102]
.LBB103_37:
	s_or_b64 exec, exec, s[2:3]
	v_cmp_eq_u32_e32 vcc, 4, v0
	s_waitcnt vmcnt(0)
	s_barrier
	s_and_saveexec_b64 s[4:5], vcc
	s_cbranch_execz .LBB103_44
; %bb.38:
	buffer_load_dword v69, off, s[20:23], 0 offset:384 ; 4-byte Folded Reload
	buffer_load_dword v70, off, s[20:23], 0 offset:388 ; 4-byte Folded Reload
	buffer_load_dword v71, off, s[20:23], 0 offset:392 ; 4-byte Folded Reload
	buffer_load_dword v72, off, s[20:23], 0 offset:396 ; 4-byte Folded Reload
	s_waitcnt vmcnt(0)
	ds_write2_b64 v127, v[69:70], v[71:72] offset1:1
	buffer_load_dword v69, off, s[20:23], 0 offset:368 ; 4-byte Folded Reload
	buffer_load_dword v70, off, s[20:23], 0 offset:372 ; 4-byte Folded Reload
	buffer_load_dword v71, off, s[20:23], 0 offset:376 ; 4-byte Folded Reload
	buffer_load_dword v72, off, s[20:23], 0 offset:380 ; 4-byte Folded Reload
	s_waitcnt vmcnt(0)
	ds_write2_b64 v125, v[69:70], v[71:72] offset0:10 offset1:11
	buffer_load_dword v69, off, s[20:23], 0 offset:352 ; 4-byte Folded Reload
	buffer_load_dword v70, off, s[20:23], 0 offset:356 ; 4-byte Folded Reload
	buffer_load_dword v71, off, s[20:23], 0 offset:360 ; 4-byte Folded Reload
	buffer_load_dword v72, off, s[20:23], 0 offset:364 ; 4-byte Folded Reload
	s_waitcnt vmcnt(0)
	ds_write2_b64 v125, v[69:70], v[71:72] offset0:12 offset1:13
	;; [unrolled: 6-line block ×21, first 2 shown]
	ds_write2_b64 v125, v[121:122], v[123:124] offset0:52 offset1:53
	ds_write2_b64 v125, v[117:118], v[119:120] offset0:54 offset1:55
	;; [unrolled: 1-line block ×5, first 2 shown]
	buffer_load_dword v77, off, s[20:23], 0 offset:32 ; 4-byte Folded Reload
	buffer_load_dword v78, off, s[20:23], 0 offset:36 ; 4-byte Folded Reload
	;; [unrolled: 1-line block ×4, first 2 shown]
	v_mov_b32_e32 v69, v73
	v_mov_b32_e32 v70, v74
	;; [unrolled: 1-line block ×4, first 2 shown]
	s_waitcnt vmcnt(0)
	ds_write2_b64 v125, v[77:78], v[79:80] offset0:62 offset1:63
	buffer_load_dword v73, off, s[20:23], 0 offset:16 ; 4-byte Folded Reload
	buffer_load_dword v74, off, s[20:23], 0 offset:20 ; 4-byte Folded Reload
	;; [unrolled: 1-line block ×4, first 2 shown]
	s_waitcnt vmcnt(0)
	ds_write2_b64 v125, v[73:74], v[75:76] offset0:64 offset1:65
	v_mov_b32_e32 v76, v72
	v_mov_b32_e32 v75, v71
	;; [unrolled: 1-line block ×4, first 2 shown]
	buffer_load_dword v69, off, s[20:23], 0 ; 4-byte Folded Reload
	buffer_load_dword v70, off, s[20:23], 0 offset:4 ; 4-byte Folded Reload
	buffer_load_dword v71, off, s[20:23], 0 offset:8 ; 4-byte Folded Reload
	;; [unrolled: 1-line block ×3, first 2 shown]
	s_waitcnt vmcnt(0)
	ds_write2_b64 v125, v[69:70], v[71:72] offset0:66 offset1:67
	ds_write2_b64 v125, v[65:66], v[67:68] offset0:68 offset1:69
	ds_write2_b64 v125, v[61:62], v[63:64] offset0:70 offset1:71
	ds_write2_b64 v125, v[57:58], v[59:60] offset0:72 offset1:73
	ds_write2_b64 v125, v[53:54], v[55:56] offset0:74 offset1:75
	ds_write2_b64 v125, v[49:50], v[51:52] offset0:76 offset1:77
	ds_write2_b64 v125, v[45:46], v[47:48] offset0:78 offset1:79
	ds_write2_b64 v125, v[41:42], v[43:44] offset0:80 offset1:81
	ds_write2_b64 v125, v[37:38], v[39:40] offset0:82 offset1:83
	ds_write2_b64 v125, v[33:34], v[35:36] offset0:84 offset1:85
	ds_write2_b64 v125, v[29:30], v[31:32] offset0:86 offset1:87
	ds_write2_b64 v125, v[25:26], v[27:28] offset0:88 offset1:89
	ds_write2_b64 v125, v[21:22], v[23:24] offset0:90 offset1:91
	ds_write2_b64 v125, v[17:18], v[19:20] offset0:92 offset1:93
	ds_write2_b64 v125, v[13:14], v[15:16] offset0:94 offset1:95
	ds_write2_b64 v125, v[9:10], v[11:12] offset0:96 offset1:97
	ds_write2_b64 v125, v[5:6], v[7:8] offset0:98 offset1:99
	ds_write2_b64 v125, v[1:2], v[3:4] offset0:100 offset1:101
	ds_write2_b64 v125, v[73:74], v[75:76] offset0:102 offset1:103
	ds_read2_b64 v[97:100], v127 offset1:1
	s_waitcnt lgkmcnt(0)
	v_cmp_neq_f64_e32 vcc, 0, v[97:98]
	v_cmp_neq_f64_e64 s[2:3], 0, v[99:100]
	s_or_b64 s[2:3], vcc, s[2:3]
	s_and_b64 exec, exec, s[2:3]
	s_cbranch_execz .LBB103_44
; %bb.39:
	v_cmp_ngt_f64_e64 s[2:3], |v[97:98]|, |v[99:100]|
                                        ; implicit-def: $vgpr101_vgpr102
	s_and_saveexec_b64 s[6:7], s[2:3]
	s_xor_b64 s[2:3], exec, s[6:7]
                                        ; implicit-def: $vgpr103_vgpr104
	s_cbranch_execz .LBB103_41
; %bb.40:
	v_div_scale_f64 v[101:102], s[6:7], v[99:100], v[99:100], v[97:98]
	v_rcp_f64_e32 v[103:104], v[101:102]
	v_fma_f64 v[105:106], -v[101:102], v[103:104], 1.0
	v_fma_f64 v[103:104], v[103:104], v[105:106], v[103:104]
	v_div_scale_f64 v[105:106], vcc, v[97:98], v[99:100], v[97:98]
	v_fma_f64 v[107:108], -v[101:102], v[103:104], 1.0
	v_fma_f64 v[103:104], v[103:104], v[107:108], v[103:104]
	v_mul_f64 v[107:108], v[105:106], v[103:104]
	v_fma_f64 v[101:102], -v[101:102], v[107:108], v[105:106]
	v_div_fmas_f64 v[101:102], v[101:102], v[103:104], v[107:108]
	v_div_fixup_f64 v[101:102], v[101:102], v[99:100], v[97:98]
	v_fma_f64 v[97:98], v[97:98], v[101:102], v[99:100]
	v_div_scale_f64 v[99:100], s[6:7], v[97:98], v[97:98], 1.0
	v_div_scale_f64 v[107:108], vcc, 1.0, v[97:98], 1.0
	v_rcp_f64_e32 v[103:104], v[99:100]
	v_fma_f64 v[105:106], -v[99:100], v[103:104], 1.0
	v_fma_f64 v[103:104], v[103:104], v[105:106], v[103:104]
	v_fma_f64 v[105:106], -v[99:100], v[103:104], 1.0
	v_fma_f64 v[103:104], v[103:104], v[105:106], v[103:104]
	v_mul_f64 v[105:106], v[107:108], v[103:104]
	v_fma_f64 v[99:100], -v[99:100], v[105:106], v[107:108]
	v_div_fmas_f64 v[99:100], v[99:100], v[103:104], v[105:106]
	v_div_fixup_f64 v[103:104], v[99:100], v[97:98], 1.0
                                        ; implicit-def: $vgpr97_vgpr98
	v_mul_f64 v[101:102], v[101:102], v[103:104]
	v_xor_b32_e32 v104, 0x80000000, v104
.LBB103_41:
	s_andn2_saveexec_b64 s[2:3], s[2:3]
	s_cbranch_execz .LBB103_43
; %bb.42:
	v_div_scale_f64 v[101:102], s[6:7], v[97:98], v[97:98], v[99:100]
	v_rcp_f64_e32 v[103:104], v[101:102]
	v_fma_f64 v[105:106], -v[101:102], v[103:104], 1.0
	v_fma_f64 v[103:104], v[103:104], v[105:106], v[103:104]
	v_div_scale_f64 v[105:106], vcc, v[99:100], v[97:98], v[99:100]
	v_fma_f64 v[107:108], -v[101:102], v[103:104], 1.0
	v_fma_f64 v[103:104], v[103:104], v[107:108], v[103:104]
	v_mul_f64 v[107:108], v[105:106], v[103:104]
	v_fma_f64 v[101:102], -v[101:102], v[107:108], v[105:106]
	v_div_fmas_f64 v[101:102], v[101:102], v[103:104], v[107:108]
	v_div_fixup_f64 v[103:104], v[101:102], v[97:98], v[99:100]
	v_fma_f64 v[97:98], v[99:100], v[103:104], v[97:98]
	v_div_scale_f64 v[99:100], s[6:7], v[97:98], v[97:98], 1.0
	v_div_scale_f64 v[107:108], vcc, 1.0, v[97:98], 1.0
	v_rcp_f64_e32 v[101:102], v[99:100]
	v_fma_f64 v[105:106], -v[99:100], v[101:102], 1.0
	v_fma_f64 v[101:102], v[101:102], v[105:106], v[101:102]
	v_fma_f64 v[105:106], -v[99:100], v[101:102], 1.0
	v_fma_f64 v[101:102], v[101:102], v[105:106], v[101:102]
	v_mul_f64 v[105:106], v[107:108], v[101:102]
	v_fma_f64 v[99:100], -v[99:100], v[105:106], v[107:108]
	v_div_fmas_f64 v[99:100], v[99:100], v[101:102], v[105:106]
	v_div_fixup_f64 v[101:102], v[99:100], v[97:98], 1.0
	v_mul_f64 v[103:104], v[103:104], -v[101:102]
.LBB103_43:
	s_or_b64 exec, exec, s[2:3]
	ds_write2_b64 v127, v[101:102], v[103:104] offset1:1
.LBB103_44:
	s_or_b64 exec, exec, s[4:5]
	s_waitcnt lgkmcnt(0)
	s_barrier
	ds_read2_b64 v[69:72], v127 offset1:1
	v_cmp_lt_u32_e32 vcc, 4, v0
	s_waitcnt lgkmcnt(0)
	buffer_store_dword v69, off, s[20:23], 0 offset:936 ; 4-byte Folded Spill
	s_nop 0
	buffer_store_dword v70, off, s[20:23], 0 offset:940 ; 4-byte Folded Spill
	buffer_store_dword v71, off, s[20:23], 0 offset:944 ; 4-byte Folded Spill
	buffer_store_dword v72, off, s[20:23], 0 offset:948 ; 4-byte Folded Spill
	s_and_saveexec_b64 s[2:3], vcc
	s_cbranch_execz .LBB103_46
; %bb.45:
	buffer_load_dword v103, off, s[20:23], 0 offset:384 ; 4-byte Folded Reload
	buffer_load_dword v104, off, s[20:23], 0 offset:388 ; 4-byte Folded Reload
	;; [unrolled: 1-line block ×8, first 2 shown]
	s_waitcnt vmcnt(2)
	v_mul_f64 v[99:100], v[69:70], v[105:106]
	s_waitcnt vmcnt(0)
	v_mul_f64 v[97:98], v[71:72], v[105:106]
	v_fma_f64 v[105:106], v[71:72], v[103:104], v[99:100]
	ds_read2_b64 v[99:102], v125 offset0:10 offset1:11
	v_fma_f64 v[97:98], v[69:70], v[103:104], -v[97:98]
	buffer_load_dword v69, off, s[20:23], 0 offset:368 ; 4-byte Folded Reload
	buffer_load_dword v70, off, s[20:23], 0 offset:372 ; 4-byte Folded Reload
	buffer_load_dword v71, off, s[20:23], 0 offset:376 ; 4-byte Folded Reload
	buffer_load_dword v72, off, s[20:23], 0 offset:380 ; 4-byte Folded Reload
	s_waitcnt lgkmcnt(0)
	v_mul_f64 v[103:104], v[101:102], v[105:106]
	v_fma_f64 v[103:104], v[99:100], v[97:98], -v[103:104]
	v_mul_f64 v[99:100], v[99:100], v[105:106]
	v_fma_f64 v[99:100], v[101:102], v[97:98], v[99:100]
	s_waitcnt vmcnt(2)
	v_add_f64 v[69:70], v[69:70], -v[103:104]
	s_waitcnt vmcnt(0)
	v_add_f64 v[71:72], v[71:72], -v[99:100]
	buffer_store_dword v69, off, s[20:23], 0 offset:368 ; 4-byte Folded Spill
	s_nop 0
	buffer_store_dword v70, off, s[20:23], 0 offset:372 ; 4-byte Folded Spill
	buffer_store_dword v71, off, s[20:23], 0 offset:376 ; 4-byte Folded Spill
	buffer_store_dword v72, off, s[20:23], 0 offset:380 ; 4-byte Folded Spill
	ds_read2_b64 v[99:102], v125 offset0:12 offset1:13
	buffer_load_dword v69, off, s[20:23], 0 offset:352 ; 4-byte Folded Reload
	buffer_load_dword v70, off, s[20:23], 0 offset:356 ; 4-byte Folded Reload
	buffer_load_dword v71, off, s[20:23], 0 offset:360 ; 4-byte Folded Reload
	buffer_load_dword v72, off, s[20:23], 0 offset:364 ; 4-byte Folded Reload
	s_waitcnt lgkmcnt(0)
	v_mul_f64 v[103:104], v[101:102], v[105:106]
	v_fma_f64 v[103:104], v[99:100], v[97:98], -v[103:104]
	v_mul_f64 v[99:100], v[99:100], v[105:106]
	v_fma_f64 v[99:100], v[101:102], v[97:98], v[99:100]
	s_waitcnt vmcnt(2)
	v_add_f64 v[69:70], v[69:70], -v[103:104]
	s_waitcnt vmcnt(0)
	v_add_f64 v[71:72], v[71:72], -v[99:100]
	buffer_store_dword v69, off, s[20:23], 0 offset:352 ; 4-byte Folded Spill
	s_nop 0
	buffer_store_dword v70, off, s[20:23], 0 offset:356 ; 4-byte Folded Spill
	buffer_store_dword v71, off, s[20:23], 0 offset:360 ; 4-byte Folded Spill
	buffer_store_dword v72, off, s[20:23], 0 offset:364 ; 4-byte Folded Spill
	ds_read2_b64 v[99:102], v125 offset0:14 offset1:15
	;; [unrolled: 19-line block ×21, first 2 shown]
	v_mov_b32_e32 v69, v73
	v_mov_b32_e32 v70, v74
	;; [unrolled: 1-line block ×4, first 2 shown]
	s_waitcnt lgkmcnt(0)
	v_mul_f64 v[103:104], v[101:102], v[105:106]
	v_fma_f64 v[103:104], v[99:100], v[97:98], -v[103:104]
	v_mul_f64 v[99:100], v[99:100], v[105:106]
	v_add_f64 v[121:122], v[121:122], -v[103:104]
	v_fma_f64 v[99:100], v[101:102], v[97:98], v[99:100]
	v_add_f64 v[123:124], v[123:124], -v[99:100]
	ds_read2_b64 v[99:102], v125 offset0:54 offset1:55
	s_waitcnt lgkmcnt(0)
	v_mul_f64 v[103:104], v[101:102], v[105:106]
	v_fma_f64 v[103:104], v[99:100], v[97:98], -v[103:104]
	v_mul_f64 v[99:100], v[99:100], v[105:106]
	v_add_f64 v[117:118], v[117:118], -v[103:104]
	v_fma_f64 v[99:100], v[101:102], v[97:98], v[99:100]
	v_add_f64 v[119:120], v[119:120], -v[99:100]
	ds_read2_b64 v[99:102], v125 offset0:56 offset1:57
	;; [unrolled: 8-line block ×5, first 2 shown]
	buffer_load_dword v77, off, s[20:23], 0 offset:32 ; 4-byte Folded Reload
	buffer_load_dword v78, off, s[20:23], 0 offset:36 ; 4-byte Folded Reload
	;; [unrolled: 1-line block ×4, first 2 shown]
	s_waitcnt lgkmcnt(0)
	v_mul_f64 v[103:104], v[101:102], v[105:106]
	v_fma_f64 v[103:104], v[99:100], v[97:98], -v[103:104]
	v_mul_f64 v[99:100], v[99:100], v[105:106]
	v_fma_f64 v[99:100], v[101:102], v[97:98], v[99:100]
	s_waitcnt vmcnt(2)
	v_add_f64 v[77:78], v[77:78], -v[103:104]
	s_waitcnt vmcnt(0)
	v_add_f64 v[79:80], v[79:80], -v[99:100]
	buffer_store_dword v77, off, s[20:23], 0 offset:32 ; 4-byte Folded Spill
	s_nop 0
	buffer_store_dword v78, off, s[20:23], 0 offset:36 ; 4-byte Folded Spill
	buffer_store_dword v79, off, s[20:23], 0 offset:40 ; 4-byte Folded Spill
	;; [unrolled: 1-line block ×3, first 2 shown]
	ds_read2_b64 v[99:102], v125 offset0:64 offset1:65
	buffer_load_dword v73, off, s[20:23], 0 offset:16 ; 4-byte Folded Reload
	buffer_load_dword v74, off, s[20:23], 0 offset:20 ; 4-byte Folded Reload
	buffer_load_dword v75, off, s[20:23], 0 offset:24 ; 4-byte Folded Reload
	buffer_load_dword v76, off, s[20:23], 0 offset:28 ; 4-byte Folded Reload
	s_waitcnt lgkmcnt(0)
	v_mul_f64 v[103:104], v[101:102], v[105:106]
	v_fma_f64 v[103:104], v[99:100], v[97:98], -v[103:104]
	v_mul_f64 v[99:100], v[99:100], v[105:106]
	v_fma_f64 v[99:100], v[101:102], v[97:98], v[99:100]
	s_waitcnt vmcnt(2)
	v_add_f64 v[73:74], v[73:74], -v[103:104]
	s_waitcnt vmcnt(0)
	v_add_f64 v[75:76], v[75:76], -v[99:100]
	buffer_store_dword v73, off, s[20:23], 0 offset:16 ; 4-byte Folded Spill
	s_nop 0
	buffer_store_dword v74, off, s[20:23], 0 offset:20 ; 4-byte Folded Spill
	buffer_store_dword v75, off, s[20:23], 0 offset:24 ; 4-byte Folded Spill
	;; [unrolled: 1-line block ×3, first 2 shown]
	v_mov_b32_e32 v76, v72
	v_mov_b32_e32 v75, v71
	;; [unrolled: 1-line block ×4, first 2 shown]
	ds_read2_b64 v[99:102], v125 offset0:66 offset1:67
	buffer_load_dword v69, off, s[20:23], 0 ; 4-byte Folded Reload
	buffer_load_dword v70, off, s[20:23], 0 offset:4 ; 4-byte Folded Reload
	buffer_load_dword v71, off, s[20:23], 0 offset:8 ; 4-byte Folded Reload
	;; [unrolled: 1-line block ×3, first 2 shown]
	s_waitcnt lgkmcnt(0)
	v_mul_f64 v[103:104], v[101:102], v[105:106]
	v_fma_f64 v[103:104], v[99:100], v[97:98], -v[103:104]
	v_mul_f64 v[99:100], v[99:100], v[105:106]
	v_fma_f64 v[99:100], v[101:102], v[97:98], v[99:100]
	s_waitcnt vmcnt(2)
	v_add_f64 v[69:70], v[69:70], -v[103:104]
	s_waitcnt vmcnt(0)
	v_add_f64 v[71:72], v[71:72], -v[99:100]
	buffer_store_dword v69, off, s[20:23], 0 ; 4-byte Folded Spill
	s_nop 0
	buffer_store_dword v70, off, s[20:23], 0 offset:4 ; 4-byte Folded Spill
	buffer_store_dword v71, off, s[20:23], 0 offset:8 ; 4-byte Folded Spill
	;; [unrolled: 1-line block ×3, first 2 shown]
	ds_read2_b64 v[99:102], v125 offset0:68 offset1:69
	s_waitcnt lgkmcnt(0)
	v_mul_f64 v[103:104], v[101:102], v[105:106]
	v_fma_f64 v[103:104], v[99:100], v[97:98], -v[103:104]
	v_mul_f64 v[99:100], v[99:100], v[105:106]
	v_add_f64 v[65:66], v[65:66], -v[103:104]
	v_fma_f64 v[99:100], v[101:102], v[97:98], v[99:100]
	v_add_f64 v[67:68], v[67:68], -v[99:100]
	ds_read2_b64 v[99:102], v125 offset0:70 offset1:71
	s_waitcnt lgkmcnt(0)
	v_mul_f64 v[103:104], v[101:102], v[105:106]
	v_fma_f64 v[103:104], v[99:100], v[97:98], -v[103:104]
	v_mul_f64 v[99:100], v[99:100], v[105:106]
	v_add_f64 v[61:62], v[61:62], -v[103:104]
	v_fma_f64 v[99:100], v[101:102], v[97:98], v[99:100]
	v_add_f64 v[63:64], v[63:64], -v[99:100]
	;; [unrolled: 8-line block ×16, first 2 shown]
	ds_read2_b64 v[99:102], v125 offset0:100 offset1:101
	s_waitcnt lgkmcnt(0)
	v_mul_f64 v[103:104], v[101:102], v[105:106]
	v_fma_f64 v[103:104], v[99:100], v[97:98], -v[103:104]
	v_mul_f64 v[99:100], v[99:100], v[105:106]
	v_add_f64 v[1:2], v[1:2], -v[103:104]
	v_fma_f64 v[99:100], v[101:102], v[97:98], v[99:100]
	ds_read2_b64 v[101:104], v125 offset0:102 offset1:103
	v_add_f64 v[3:4], v[3:4], -v[99:100]
	s_waitcnt lgkmcnt(0)
	v_mul_f64 v[99:100], v[103:104], v[105:106]
	v_fma_f64 v[99:100], v[101:102], v[97:98], -v[99:100]
	v_mul_f64 v[101:102], v[101:102], v[105:106]
	v_add_f64 v[73:74], v[73:74], -v[99:100]
	v_fma_f64 v[101:102], v[103:104], v[97:98], v[101:102]
	v_mov_b32_e32 v104, v98
	v_mov_b32_e32 v103, v97
	buffer_store_dword v103, off, s[20:23], 0 offset:384 ; 4-byte Folded Spill
	s_nop 0
	buffer_store_dword v104, off, s[20:23], 0 offset:388 ; 4-byte Folded Spill
	buffer_store_dword v105, off, s[20:23], 0 offset:392 ; 4-byte Folded Spill
	;; [unrolled: 1-line block ×3, first 2 shown]
	v_add_f64 v[75:76], v[75:76], -v[101:102]
.LBB103_46:
	s_or_b64 exec, exec, s[2:3]
	v_cmp_eq_u32_e32 vcc, 5, v0
	s_waitcnt vmcnt(0)
	s_barrier
	s_and_saveexec_b64 s[4:5], vcc
	s_cbranch_execz .LBB103_53
; %bb.47:
	buffer_load_dword v69, off, s[20:23], 0 offset:368 ; 4-byte Folded Reload
	buffer_load_dword v70, off, s[20:23], 0 offset:372 ; 4-byte Folded Reload
	;; [unrolled: 1-line block ×4, first 2 shown]
	s_waitcnt vmcnt(0)
	ds_write2_b64 v127, v[69:70], v[71:72] offset1:1
	buffer_load_dword v69, off, s[20:23], 0 offset:352 ; 4-byte Folded Reload
	buffer_load_dword v70, off, s[20:23], 0 offset:356 ; 4-byte Folded Reload
	buffer_load_dword v71, off, s[20:23], 0 offset:360 ; 4-byte Folded Reload
	buffer_load_dword v72, off, s[20:23], 0 offset:364 ; 4-byte Folded Reload
	s_waitcnt vmcnt(0)
	ds_write2_b64 v125, v[69:70], v[71:72] offset0:12 offset1:13
	buffer_load_dword v69, off, s[20:23], 0 offset:336 ; 4-byte Folded Reload
	buffer_load_dword v70, off, s[20:23], 0 offset:340 ; 4-byte Folded Reload
	buffer_load_dword v71, off, s[20:23], 0 offset:344 ; 4-byte Folded Reload
	buffer_load_dword v72, off, s[20:23], 0 offset:348 ; 4-byte Folded Reload
	s_waitcnt vmcnt(0)
	ds_write2_b64 v125, v[69:70], v[71:72] offset0:14 offset1:15
	;; [unrolled: 6-line block ×20, first 2 shown]
	ds_write2_b64 v125, v[121:122], v[123:124] offset0:52 offset1:53
	ds_write2_b64 v125, v[117:118], v[119:120] offset0:54 offset1:55
	;; [unrolled: 1-line block ×5, first 2 shown]
	buffer_load_dword v77, off, s[20:23], 0 offset:32 ; 4-byte Folded Reload
	buffer_load_dword v78, off, s[20:23], 0 offset:36 ; 4-byte Folded Reload
	;; [unrolled: 1-line block ×4, first 2 shown]
	v_mov_b32_e32 v69, v73
	v_mov_b32_e32 v70, v74
	;; [unrolled: 1-line block ×4, first 2 shown]
	s_waitcnt vmcnt(0)
	ds_write2_b64 v125, v[77:78], v[79:80] offset0:62 offset1:63
	buffer_load_dword v73, off, s[20:23], 0 offset:16 ; 4-byte Folded Reload
	buffer_load_dword v74, off, s[20:23], 0 offset:20 ; 4-byte Folded Reload
	;; [unrolled: 1-line block ×4, first 2 shown]
	s_waitcnt vmcnt(0)
	ds_write2_b64 v125, v[73:74], v[75:76] offset0:64 offset1:65
	v_mov_b32_e32 v76, v72
	v_mov_b32_e32 v75, v71
	;; [unrolled: 1-line block ×4, first 2 shown]
	buffer_load_dword v69, off, s[20:23], 0 ; 4-byte Folded Reload
	buffer_load_dword v70, off, s[20:23], 0 offset:4 ; 4-byte Folded Reload
	buffer_load_dword v71, off, s[20:23], 0 offset:8 ; 4-byte Folded Reload
	;; [unrolled: 1-line block ×3, first 2 shown]
	s_waitcnt vmcnt(0)
	ds_write2_b64 v125, v[69:70], v[71:72] offset0:66 offset1:67
	ds_write2_b64 v125, v[65:66], v[67:68] offset0:68 offset1:69
	;; [unrolled: 1-line block ×19, first 2 shown]
	ds_read2_b64 v[97:100], v127 offset1:1
	s_waitcnt lgkmcnt(0)
	v_cmp_neq_f64_e32 vcc, 0, v[97:98]
	v_cmp_neq_f64_e64 s[2:3], 0, v[99:100]
	s_or_b64 s[2:3], vcc, s[2:3]
	s_and_b64 exec, exec, s[2:3]
	s_cbranch_execz .LBB103_53
; %bb.48:
	v_cmp_ngt_f64_e64 s[2:3], |v[97:98]|, |v[99:100]|
                                        ; implicit-def: $vgpr101_vgpr102
	s_and_saveexec_b64 s[6:7], s[2:3]
	s_xor_b64 s[2:3], exec, s[6:7]
                                        ; implicit-def: $vgpr103_vgpr104
	s_cbranch_execz .LBB103_50
; %bb.49:
	v_div_scale_f64 v[101:102], s[6:7], v[99:100], v[99:100], v[97:98]
	v_rcp_f64_e32 v[103:104], v[101:102]
	v_fma_f64 v[105:106], -v[101:102], v[103:104], 1.0
	v_fma_f64 v[103:104], v[103:104], v[105:106], v[103:104]
	v_div_scale_f64 v[105:106], vcc, v[97:98], v[99:100], v[97:98]
	v_fma_f64 v[107:108], -v[101:102], v[103:104], 1.0
	v_fma_f64 v[103:104], v[103:104], v[107:108], v[103:104]
	v_mul_f64 v[107:108], v[105:106], v[103:104]
	v_fma_f64 v[101:102], -v[101:102], v[107:108], v[105:106]
	v_div_fmas_f64 v[101:102], v[101:102], v[103:104], v[107:108]
	v_div_fixup_f64 v[101:102], v[101:102], v[99:100], v[97:98]
	v_fma_f64 v[97:98], v[97:98], v[101:102], v[99:100]
	v_div_scale_f64 v[99:100], s[6:7], v[97:98], v[97:98], 1.0
	v_div_scale_f64 v[107:108], vcc, 1.0, v[97:98], 1.0
	v_rcp_f64_e32 v[103:104], v[99:100]
	v_fma_f64 v[105:106], -v[99:100], v[103:104], 1.0
	v_fma_f64 v[103:104], v[103:104], v[105:106], v[103:104]
	v_fma_f64 v[105:106], -v[99:100], v[103:104], 1.0
	v_fma_f64 v[103:104], v[103:104], v[105:106], v[103:104]
	v_mul_f64 v[105:106], v[107:108], v[103:104]
	v_fma_f64 v[99:100], -v[99:100], v[105:106], v[107:108]
	v_div_fmas_f64 v[99:100], v[99:100], v[103:104], v[105:106]
	v_div_fixup_f64 v[103:104], v[99:100], v[97:98], 1.0
                                        ; implicit-def: $vgpr97_vgpr98
	v_mul_f64 v[101:102], v[101:102], v[103:104]
	v_xor_b32_e32 v104, 0x80000000, v104
.LBB103_50:
	s_andn2_saveexec_b64 s[2:3], s[2:3]
	s_cbranch_execz .LBB103_52
; %bb.51:
	v_div_scale_f64 v[101:102], s[6:7], v[97:98], v[97:98], v[99:100]
	v_rcp_f64_e32 v[103:104], v[101:102]
	v_fma_f64 v[105:106], -v[101:102], v[103:104], 1.0
	v_fma_f64 v[103:104], v[103:104], v[105:106], v[103:104]
	v_div_scale_f64 v[105:106], vcc, v[99:100], v[97:98], v[99:100]
	v_fma_f64 v[107:108], -v[101:102], v[103:104], 1.0
	v_fma_f64 v[103:104], v[103:104], v[107:108], v[103:104]
	v_mul_f64 v[107:108], v[105:106], v[103:104]
	v_fma_f64 v[101:102], -v[101:102], v[107:108], v[105:106]
	v_div_fmas_f64 v[101:102], v[101:102], v[103:104], v[107:108]
	v_div_fixup_f64 v[103:104], v[101:102], v[97:98], v[99:100]
	v_fma_f64 v[97:98], v[99:100], v[103:104], v[97:98]
	v_div_scale_f64 v[99:100], s[6:7], v[97:98], v[97:98], 1.0
	v_div_scale_f64 v[107:108], vcc, 1.0, v[97:98], 1.0
	v_rcp_f64_e32 v[101:102], v[99:100]
	v_fma_f64 v[105:106], -v[99:100], v[101:102], 1.0
	v_fma_f64 v[101:102], v[101:102], v[105:106], v[101:102]
	v_fma_f64 v[105:106], -v[99:100], v[101:102], 1.0
	v_fma_f64 v[101:102], v[101:102], v[105:106], v[101:102]
	v_mul_f64 v[105:106], v[107:108], v[101:102]
	v_fma_f64 v[99:100], -v[99:100], v[105:106], v[107:108]
	v_div_fmas_f64 v[99:100], v[99:100], v[101:102], v[105:106]
	v_div_fixup_f64 v[101:102], v[99:100], v[97:98], 1.0
	v_mul_f64 v[103:104], v[103:104], -v[101:102]
.LBB103_52:
	s_or_b64 exec, exec, s[2:3]
	ds_write2_b64 v127, v[101:102], v[103:104] offset1:1
.LBB103_53:
	s_or_b64 exec, exec, s[4:5]
	s_waitcnt lgkmcnt(0)
	s_barrier
	ds_read2_b64 v[69:72], v127 offset1:1
	v_cmp_lt_u32_e32 vcc, 5, v0
	s_waitcnt lgkmcnt(0)
	buffer_store_dword v69, off, s[20:23], 0 offset:952 ; 4-byte Folded Spill
	s_nop 0
	buffer_store_dword v70, off, s[20:23], 0 offset:956 ; 4-byte Folded Spill
	buffer_store_dword v71, off, s[20:23], 0 offset:960 ; 4-byte Folded Spill
	;; [unrolled: 1-line block ×3, first 2 shown]
	s_and_saveexec_b64 s[2:3], vcc
	s_cbranch_execz .LBB103_55
; %bb.54:
	buffer_load_dword v103, off, s[20:23], 0 offset:368 ; 4-byte Folded Reload
	buffer_load_dword v104, off, s[20:23], 0 offset:372 ; 4-byte Folded Reload
	;; [unrolled: 1-line block ×8, first 2 shown]
	s_waitcnt vmcnt(2)
	v_mul_f64 v[99:100], v[69:70], v[105:106]
	s_waitcnt vmcnt(0)
	v_mul_f64 v[97:98], v[71:72], v[105:106]
	v_fma_f64 v[105:106], v[71:72], v[103:104], v[99:100]
	ds_read2_b64 v[99:102], v125 offset0:12 offset1:13
	v_fma_f64 v[97:98], v[69:70], v[103:104], -v[97:98]
	buffer_load_dword v69, off, s[20:23], 0 offset:352 ; 4-byte Folded Reload
	buffer_load_dword v70, off, s[20:23], 0 offset:356 ; 4-byte Folded Reload
	buffer_load_dword v71, off, s[20:23], 0 offset:360 ; 4-byte Folded Reload
	buffer_load_dword v72, off, s[20:23], 0 offset:364 ; 4-byte Folded Reload
	s_waitcnt lgkmcnt(0)
	v_mul_f64 v[103:104], v[101:102], v[105:106]
	v_fma_f64 v[103:104], v[99:100], v[97:98], -v[103:104]
	v_mul_f64 v[99:100], v[99:100], v[105:106]
	v_fma_f64 v[99:100], v[101:102], v[97:98], v[99:100]
	s_waitcnt vmcnt(2)
	v_add_f64 v[69:70], v[69:70], -v[103:104]
	s_waitcnt vmcnt(0)
	v_add_f64 v[71:72], v[71:72], -v[99:100]
	buffer_store_dword v69, off, s[20:23], 0 offset:352 ; 4-byte Folded Spill
	s_nop 0
	buffer_store_dword v70, off, s[20:23], 0 offset:356 ; 4-byte Folded Spill
	buffer_store_dword v71, off, s[20:23], 0 offset:360 ; 4-byte Folded Spill
	buffer_store_dword v72, off, s[20:23], 0 offset:364 ; 4-byte Folded Spill
	ds_read2_b64 v[99:102], v125 offset0:14 offset1:15
	buffer_load_dword v69, off, s[20:23], 0 offset:336 ; 4-byte Folded Reload
	buffer_load_dword v70, off, s[20:23], 0 offset:340 ; 4-byte Folded Reload
	buffer_load_dword v71, off, s[20:23], 0 offset:344 ; 4-byte Folded Reload
	buffer_load_dword v72, off, s[20:23], 0 offset:348 ; 4-byte Folded Reload
	s_waitcnt lgkmcnt(0)
	v_mul_f64 v[103:104], v[101:102], v[105:106]
	v_fma_f64 v[103:104], v[99:100], v[97:98], -v[103:104]
	v_mul_f64 v[99:100], v[99:100], v[105:106]
	v_fma_f64 v[99:100], v[101:102], v[97:98], v[99:100]
	s_waitcnt vmcnt(2)
	v_add_f64 v[69:70], v[69:70], -v[103:104]
	s_waitcnt vmcnt(0)
	v_add_f64 v[71:72], v[71:72], -v[99:100]
	buffer_store_dword v69, off, s[20:23], 0 offset:336 ; 4-byte Folded Spill
	s_nop 0
	buffer_store_dword v70, off, s[20:23], 0 offset:340 ; 4-byte Folded Spill
	buffer_store_dword v71, off, s[20:23], 0 offset:344 ; 4-byte Folded Spill
	buffer_store_dword v72, off, s[20:23], 0 offset:348 ; 4-byte Folded Spill
	ds_read2_b64 v[99:102], v125 offset0:16 offset1:17
	;; [unrolled: 19-line block ×20, first 2 shown]
	v_mov_b32_e32 v69, v73
	v_mov_b32_e32 v70, v74
	;; [unrolled: 1-line block ×4, first 2 shown]
	s_waitcnt lgkmcnt(0)
	v_mul_f64 v[103:104], v[101:102], v[105:106]
	v_fma_f64 v[103:104], v[99:100], v[97:98], -v[103:104]
	v_mul_f64 v[99:100], v[99:100], v[105:106]
	v_add_f64 v[121:122], v[121:122], -v[103:104]
	v_fma_f64 v[99:100], v[101:102], v[97:98], v[99:100]
	v_add_f64 v[123:124], v[123:124], -v[99:100]
	ds_read2_b64 v[99:102], v125 offset0:54 offset1:55
	s_waitcnt lgkmcnt(0)
	v_mul_f64 v[103:104], v[101:102], v[105:106]
	v_fma_f64 v[103:104], v[99:100], v[97:98], -v[103:104]
	v_mul_f64 v[99:100], v[99:100], v[105:106]
	v_add_f64 v[117:118], v[117:118], -v[103:104]
	v_fma_f64 v[99:100], v[101:102], v[97:98], v[99:100]
	v_add_f64 v[119:120], v[119:120], -v[99:100]
	ds_read2_b64 v[99:102], v125 offset0:56 offset1:57
	s_waitcnt lgkmcnt(0)
	v_mul_f64 v[103:104], v[101:102], v[105:106]
	v_fma_f64 v[103:104], v[99:100], v[97:98], -v[103:104]
	v_mul_f64 v[99:100], v[99:100], v[105:106]
	v_add_f64 v[109:110], v[109:110], -v[103:104]
	v_fma_f64 v[99:100], v[101:102], v[97:98], v[99:100]
	v_add_f64 v[111:112], v[111:112], -v[99:100]
	ds_read2_b64 v[99:102], v125 offset0:58 offset1:59
	s_waitcnt lgkmcnt(0)
	v_mul_f64 v[103:104], v[101:102], v[105:106]
	v_fma_f64 v[103:104], v[99:100], v[97:98], -v[103:104]
	v_mul_f64 v[99:100], v[99:100], v[105:106]
	v_add_f64 v[113:114], v[113:114], -v[103:104]
	v_fma_f64 v[99:100], v[101:102], v[97:98], v[99:100]
	v_add_f64 v[115:116], v[115:116], -v[99:100]
	ds_read2_b64 v[99:102], v125 offset0:60 offset1:61
	s_waitcnt lgkmcnt(0)
	v_mul_f64 v[103:104], v[101:102], v[105:106]
	v_fma_f64 v[103:104], v[99:100], v[97:98], -v[103:104]
	v_mul_f64 v[99:100], v[99:100], v[105:106]
	v_add_f64 v[93:94], v[93:94], -v[103:104]
	v_fma_f64 v[99:100], v[101:102], v[97:98], v[99:100]
	v_add_f64 v[95:96], v[95:96], -v[99:100]
	ds_read2_b64 v[99:102], v125 offset0:62 offset1:63
	buffer_load_dword v77, off, s[20:23], 0 offset:32 ; 4-byte Folded Reload
	buffer_load_dword v78, off, s[20:23], 0 offset:36 ; 4-byte Folded Reload
	;; [unrolled: 1-line block ×4, first 2 shown]
	s_waitcnt lgkmcnt(0)
	v_mul_f64 v[103:104], v[101:102], v[105:106]
	v_fma_f64 v[103:104], v[99:100], v[97:98], -v[103:104]
	v_mul_f64 v[99:100], v[99:100], v[105:106]
	v_fma_f64 v[99:100], v[101:102], v[97:98], v[99:100]
	s_waitcnt vmcnt(2)
	v_add_f64 v[77:78], v[77:78], -v[103:104]
	s_waitcnt vmcnt(0)
	v_add_f64 v[79:80], v[79:80], -v[99:100]
	buffer_store_dword v77, off, s[20:23], 0 offset:32 ; 4-byte Folded Spill
	s_nop 0
	buffer_store_dword v78, off, s[20:23], 0 offset:36 ; 4-byte Folded Spill
	buffer_store_dword v79, off, s[20:23], 0 offset:40 ; 4-byte Folded Spill
	;; [unrolled: 1-line block ×3, first 2 shown]
	ds_read2_b64 v[99:102], v125 offset0:64 offset1:65
	buffer_load_dword v73, off, s[20:23], 0 offset:16 ; 4-byte Folded Reload
	buffer_load_dword v74, off, s[20:23], 0 offset:20 ; 4-byte Folded Reload
	;; [unrolled: 1-line block ×4, first 2 shown]
	s_waitcnt lgkmcnt(0)
	v_mul_f64 v[103:104], v[101:102], v[105:106]
	v_fma_f64 v[103:104], v[99:100], v[97:98], -v[103:104]
	v_mul_f64 v[99:100], v[99:100], v[105:106]
	v_fma_f64 v[99:100], v[101:102], v[97:98], v[99:100]
	s_waitcnt vmcnt(2)
	v_add_f64 v[73:74], v[73:74], -v[103:104]
	s_waitcnt vmcnt(0)
	v_add_f64 v[75:76], v[75:76], -v[99:100]
	buffer_store_dword v73, off, s[20:23], 0 offset:16 ; 4-byte Folded Spill
	s_nop 0
	buffer_store_dword v74, off, s[20:23], 0 offset:20 ; 4-byte Folded Spill
	buffer_store_dword v75, off, s[20:23], 0 offset:24 ; 4-byte Folded Spill
	;; [unrolled: 1-line block ×3, first 2 shown]
	v_mov_b32_e32 v76, v72
	v_mov_b32_e32 v75, v71
	;; [unrolled: 1-line block ×4, first 2 shown]
	ds_read2_b64 v[99:102], v125 offset0:66 offset1:67
	buffer_load_dword v69, off, s[20:23], 0 ; 4-byte Folded Reload
	buffer_load_dword v70, off, s[20:23], 0 offset:4 ; 4-byte Folded Reload
	buffer_load_dword v71, off, s[20:23], 0 offset:8 ; 4-byte Folded Reload
	;; [unrolled: 1-line block ×3, first 2 shown]
	s_waitcnt lgkmcnt(0)
	v_mul_f64 v[103:104], v[101:102], v[105:106]
	v_fma_f64 v[103:104], v[99:100], v[97:98], -v[103:104]
	v_mul_f64 v[99:100], v[99:100], v[105:106]
	v_fma_f64 v[99:100], v[101:102], v[97:98], v[99:100]
	s_waitcnt vmcnt(2)
	v_add_f64 v[69:70], v[69:70], -v[103:104]
	s_waitcnt vmcnt(0)
	v_add_f64 v[71:72], v[71:72], -v[99:100]
	buffer_store_dword v69, off, s[20:23], 0 ; 4-byte Folded Spill
	s_nop 0
	buffer_store_dword v70, off, s[20:23], 0 offset:4 ; 4-byte Folded Spill
	buffer_store_dword v71, off, s[20:23], 0 offset:8 ; 4-byte Folded Spill
	;; [unrolled: 1-line block ×3, first 2 shown]
	ds_read2_b64 v[99:102], v125 offset0:68 offset1:69
	s_waitcnt lgkmcnt(0)
	v_mul_f64 v[103:104], v[101:102], v[105:106]
	v_fma_f64 v[103:104], v[99:100], v[97:98], -v[103:104]
	v_mul_f64 v[99:100], v[99:100], v[105:106]
	v_add_f64 v[65:66], v[65:66], -v[103:104]
	v_fma_f64 v[99:100], v[101:102], v[97:98], v[99:100]
	v_add_f64 v[67:68], v[67:68], -v[99:100]
	ds_read2_b64 v[99:102], v125 offset0:70 offset1:71
	s_waitcnt lgkmcnt(0)
	v_mul_f64 v[103:104], v[101:102], v[105:106]
	v_fma_f64 v[103:104], v[99:100], v[97:98], -v[103:104]
	v_mul_f64 v[99:100], v[99:100], v[105:106]
	v_add_f64 v[61:62], v[61:62], -v[103:104]
	v_fma_f64 v[99:100], v[101:102], v[97:98], v[99:100]
	v_add_f64 v[63:64], v[63:64], -v[99:100]
	;; [unrolled: 8-line block ×16, first 2 shown]
	ds_read2_b64 v[99:102], v125 offset0:100 offset1:101
	s_waitcnt lgkmcnt(0)
	v_mul_f64 v[103:104], v[101:102], v[105:106]
	v_fma_f64 v[103:104], v[99:100], v[97:98], -v[103:104]
	v_mul_f64 v[99:100], v[99:100], v[105:106]
	v_add_f64 v[1:2], v[1:2], -v[103:104]
	v_fma_f64 v[99:100], v[101:102], v[97:98], v[99:100]
	ds_read2_b64 v[101:104], v125 offset0:102 offset1:103
	v_add_f64 v[3:4], v[3:4], -v[99:100]
	s_waitcnt lgkmcnt(0)
	v_mul_f64 v[99:100], v[103:104], v[105:106]
	v_fma_f64 v[99:100], v[101:102], v[97:98], -v[99:100]
	v_mul_f64 v[101:102], v[101:102], v[105:106]
	v_add_f64 v[73:74], v[73:74], -v[99:100]
	v_fma_f64 v[101:102], v[103:104], v[97:98], v[101:102]
	v_mov_b32_e32 v104, v98
	v_mov_b32_e32 v103, v97
	buffer_store_dword v103, off, s[20:23], 0 offset:368 ; 4-byte Folded Spill
	s_nop 0
	buffer_store_dword v104, off, s[20:23], 0 offset:372 ; 4-byte Folded Spill
	buffer_store_dword v105, off, s[20:23], 0 offset:376 ; 4-byte Folded Spill
	;; [unrolled: 1-line block ×3, first 2 shown]
	v_add_f64 v[75:76], v[75:76], -v[101:102]
.LBB103_55:
	s_or_b64 exec, exec, s[2:3]
	v_cmp_eq_u32_e32 vcc, 6, v0
	s_waitcnt vmcnt(0)
	s_barrier
	s_and_saveexec_b64 s[4:5], vcc
	s_cbranch_execz .LBB103_62
; %bb.56:
	buffer_load_dword v69, off, s[20:23], 0 offset:352 ; 4-byte Folded Reload
	buffer_load_dword v70, off, s[20:23], 0 offset:356 ; 4-byte Folded Reload
	;; [unrolled: 1-line block ×4, first 2 shown]
	s_waitcnt vmcnt(0)
	ds_write2_b64 v127, v[69:70], v[71:72] offset1:1
	buffer_load_dword v69, off, s[20:23], 0 offset:336 ; 4-byte Folded Reload
	buffer_load_dword v70, off, s[20:23], 0 offset:340 ; 4-byte Folded Reload
	buffer_load_dword v71, off, s[20:23], 0 offset:344 ; 4-byte Folded Reload
	buffer_load_dword v72, off, s[20:23], 0 offset:348 ; 4-byte Folded Reload
	s_waitcnt vmcnt(0)
	ds_write2_b64 v125, v[69:70], v[71:72] offset0:14 offset1:15
	buffer_load_dword v69, off, s[20:23], 0 offset:320 ; 4-byte Folded Reload
	buffer_load_dword v70, off, s[20:23], 0 offset:324 ; 4-byte Folded Reload
	buffer_load_dword v71, off, s[20:23], 0 offset:328 ; 4-byte Folded Reload
	buffer_load_dword v72, off, s[20:23], 0 offset:332 ; 4-byte Folded Reload
	s_waitcnt vmcnt(0)
	ds_write2_b64 v125, v[69:70], v[71:72] offset0:16 offset1:17
	;; [unrolled: 6-line block ×19, first 2 shown]
	ds_write2_b64 v125, v[121:122], v[123:124] offset0:52 offset1:53
	ds_write2_b64 v125, v[117:118], v[119:120] offset0:54 offset1:55
	;; [unrolled: 1-line block ×5, first 2 shown]
	buffer_load_dword v77, off, s[20:23], 0 offset:32 ; 4-byte Folded Reload
	buffer_load_dword v78, off, s[20:23], 0 offset:36 ; 4-byte Folded Reload
	;; [unrolled: 1-line block ×4, first 2 shown]
	v_mov_b32_e32 v69, v73
	v_mov_b32_e32 v70, v74
	;; [unrolled: 1-line block ×4, first 2 shown]
	s_waitcnt vmcnt(0)
	ds_write2_b64 v125, v[77:78], v[79:80] offset0:62 offset1:63
	buffer_load_dword v73, off, s[20:23], 0 offset:16 ; 4-byte Folded Reload
	buffer_load_dword v74, off, s[20:23], 0 offset:20 ; 4-byte Folded Reload
	;; [unrolled: 1-line block ×4, first 2 shown]
	s_waitcnt vmcnt(0)
	ds_write2_b64 v125, v[73:74], v[75:76] offset0:64 offset1:65
	v_mov_b32_e32 v76, v72
	v_mov_b32_e32 v75, v71
	;; [unrolled: 1-line block ×4, first 2 shown]
	buffer_load_dword v69, off, s[20:23], 0 ; 4-byte Folded Reload
	buffer_load_dword v70, off, s[20:23], 0 offset:4 ; 4-byte Folded Reload
	buffer_load_dword v71, off, s[20:23], 0 offset:8 ; 4-byte Folded Reload
	buffer_load_dword v72, off, s[20:23], 0 offset:12 ; 4-byte Folded Reload
	s_waitcnt vmcnt(0)
	ds_write2_b64 v125, v[69:70], v[71:72] offset0:66 offset1:67
	ds_write2_b64 v125, v[65:66], v[67:68] offset0:68 offset1:69
	;; [unrolled: 1-line block ×19, first 2 shown]
	ds_read2_b64 v[97:100], v127 offset1:1
	s_waitcnt lgkmcnt(0)
	v_cmp_neq_f64_e32 vcc, 0, v[97:98]
	v_cmp_neq_f64_e64 s[2:3], 0, v[99:100]
	s_or_b64 s[2:3], vcc, s[2:3]
	s_and_b64 exec, exec, s[2:3]
	s_cbranch_execz .LBB103_62
; %bb.57:
	v_cmp_ngt_f64_e64 s[2:3], |v[97:98]|, |v[99:100]|
                                        ; implicit-def: $vgpr101_vgpr102
	s_and_saveexec_b64 s[6:7], s[2:3]
	s_xor_b64 s[2:3], exec, s[6:7]
                                        ; implicit-def: $vgpr103_vgpr104
	s_cbranch_execz .LBB103_59
; %bb.58:
	v_div_scale_f64 v[101:102], s[6:7], v[99:100], v[99:100], v[97:98]
	v_rcp_f64_e32 v[103:104], v[101:102]
	v_fma_f64 v[105:106], -v[101:102], v[103:104], 1.0
	v_fma_f64 v[103:104], v[103:104], v[105:106], v[103:104]
	v_div_scale_f64 v[105:106], vcc, v[97:98], v[99:100], v[97:98]
	v_fma_f64 v[107:108], -v[101:102], v[103:104], 1.0
	v_fma_f64 v[103:104], v[103:104], v[107:108], v[103:104]
	v_mul_f64 v[107:108], v[105:106], v[103:104]
	v_fma_f64 v[101:102], -v[101:102], v[107:108], v[105:106]
	v_div_fmas_f64 v[101:102], v[101:102], v[103:104], v[107:108]
	v_div_fixup_f64 v[101:102], v[101:102], v[99:100], v[97:98]
	v_fma_f64 v[97:98], v[97:98], v[101:102], v[99:100]
	v_div_scale_f64 v[99:100], s[6:7], v[97:98], v[97:98], 1.0
	v_div_scale_f64 v[107:108], vcc, 1.0, v[97:98], 1.0
	v_rcp_f64_e32 v[103:104], v[99:100]
	v_fma_f64 v[105:106], -v[99:100], v[103:104], 1.0
	v_fma_f64 v[103:104], v[103:104], v[105:106], v[103:104]
	v_fma_f64 v[105:106], -v[99:100], v[103:104], 1.0
	v_fma_f64 v[103:104], v[103:104], v[105:106], v[103:104]
	v_mul_f64 v[105:106], v[107:108], v[103:104]
	v_fma_f64 v[99:100], -v[99:100], v[105:106], v[107:108]
	v_div_fmas_f64 v[99:100], v[99:100], v[103:104], v[105:106]
	v_div_fixup_f64 v[103:104], v[99:100], v[97:98], 1.0
                                        ; implicit-def: $vgpr97_vgpr98
	v_mul_f64 v[101:102], v[101:102], v[103:104]
	v_xor_b32_e32 v104, 0x80000000, v104
.LBB103_59:
	s_andn2_saveexec_b64 s[2:3], s[2:3]
	s_cbranch_execz .LBB103_61
; %bb.60:
	v_div_scale_f64 v[101:102], s[6:7], v[97:98], v[97:98], v[99:100]
	v_rcp_f64_e32 v[103:104], v[101:102]
	v_fma_f64 v[105:106], -v[101:102], v[103:104], 1.0
	v_fma_f64 v[103:104], v[103:104], v[105:106], v[103:104]
	v_div_scale_f64 v[105:106], vcc, v[99:100], v[97:98], v[99:100]
	v_fma_f64 v[107:108], -v[101:102], v[103:104], 1.0
	v_fma_f64 v[103:104], v[103:104], v[107:108], v[103:104]
	v_mul_f64 v[107:108], v[105:106], v[103:104]
	v_fma_f64 v[101:102], -v[101:102], v[107:108], v[105:106]
	v_div_fmas_f64 v[101:102], v[101:102], v[103:104], v[107:108]
	v_div_fixup_f64 v[103:104], v[101:102], v[97:98], v[99:100]
	v_fma_f64 v[97:98], v[99:100], v[103:104], v[97:98]
	v_div_scale_f64 v[99:100], s[6:7], v[97:98], v[97:98], 1.0
	v_div_scale_f64 v[107:108], vcc, 1.0, v[97:98], 1.0
	v_rcp_f64_e32 v[101:102], v[99:100]
	v_fma_f64 v[105:106], -v[99:100], v[101:102], 1.0
	v_fma_f64 v[101:102], v[101:102], v[105:106], v[101:102]
	v_fma_f64 v[105:106], -v[99:100], v[101:102], 1.0
	v_fma_f64 v[101:102], v[101:102], v[105:106], v[101:102]
	v_mul_f64 v[105:106], v[107:108], v[101:102]
	v_fma_f64 v[99:100], -v[99:100], v[105:106], v[107:108]
	v_div_fmas_f64 v[99:100], v[99:100], v[101:102], v[105:106]
	v_div_fixup_f64 v[101:102], v[99:100], v[97:98], 1.0
	v_mul_f64 v[103:104], v[103:104], -v[101:102]
.LBB103_61:
	s_or_b64 exec, exec, s[2:3]
	ds_write2_b64 v127, v[101:102], v[103:104] offset1:1
.LBB103_62:
	s_or_b64 exec, exec, s[4:5]
	s_waitcnt lgkmcnt(0)
	s_barrier
	ds_read2_b64 v[69:72], v127 offset1:1
	v_cmp_lt_u32_e32 vcc, 6, v0
	s_waitcnt lgkmcnt(0)
	buffer_store_dword v69, off, s[20:23], 0 offset:968 ; 4-byte Folded Spill
	s_nop 0
	buffer_store_dword v70, off, s[20:23], 0 offset:972 ; 4-byte Folded Spill
	buffer_store_dword v71, off, s[20:23], 0 offset:976 ; 4-byte Folded Spill
	;; [unrolled: 1-line block ×3, first 2 shown]
	s_and_saveexec_b64 s[2:3], vcc
	s_cbranch_execz .LBB103_64
; %bb.63:
	buffer_load_dword v103, off, s[20:23], 0 offset:352 ; 4-byte Folded Reload
	buffer_load_dword v104, off, s[20:23], 0 offset:356 ; 4-byte Folded Reload
	;; [unrolled: 1-line block ×8, first 2 shown]
	s_waitcnt vmcnt(2)
	v_mul_f64 v[99:100], v[69:70], v[105:106]
	s_waitcnt vmcnt(0)
	v_mul_f64 v[97:98], v[71:72], v[105:106]
	v_fma_f64 v[105:106], v[71:72], v[103:104], v[99:100]
	ds_read2_b64 v[99:102], v125 offset0:14 offset1:15
	v_fma_f64 v[97:98], v[69:70], v[103:104], -v[97:98]
	buffer_load_dword v69, off, s[20:23], 0 offset:336 ; 4-byte Folded Reload
	buffer_load_dword v70, off, s[20:23], 0 offset:340 ; 4-byte Folded Reload
	buffer_load_dword v71, off, s[20:23], 0 offset:344 ; 4-byte Folded Reload
	buffer_load_dword v72, off, s[20:23], 0 offset:348 ; 4-byte Folded Reload
	s_waitcnt lgkmcnt(0)
	v_mul_f64 v[103:104], v[101:102], v[105:106]
	v_fma_f64 v[103:104], v[99:100], v[97:98], -v[103:104]
	v_mul_f64 v[99:100], v[99:100], v[105:106]
	v_fma_f64 v[99:100], v[101:102], v[97:98], v[99:100]
	s_waitcnt vmcnt(2)
	v_add_f64 v[69:70], v[69:70], -v[103:104]
	s_waitcnt vmcnt(0)
	v_add_f64 v[71:72], v[71:72], -v[99:100]
	buffer_store_dword v69, off, s[20:23], 0 offset:336 ; 4-byte Folded Spill
	s_nop 0
	buffer_store_dword v70, off, s[20:23], 0 offset:340 ; 4-byte Folded Spill
	buffer_store_dword v71, off, s[20:23], 0 offset:344 ; 4-byte Folded Spill
	buffer_store_dword v72, off, s[20:23], 0 offset:348 ; 4-byte Folded Spill
	ds_read2_b64 v[99:102], v125 offset0:16 offset1:17
	buffer_load_dword v69, off, s[20:23], 0 offset:320 ; 4-byte Folded Reload
	buffer_load_dword v70, off, s[20:23], 0 offset:324 ; 4-byte Folded Reload
	buffer_load_dword v71, off, s[20:23], 0 offset:328 ; 4-byte Folded Reload
	buffer_load_dword v72, off, s[20:23], 0 offset:332 ; 4-byte Folded Reload
	s_waitcnt lgkmcnt(0)
	v_mul_f64 v[103:104], v[101:102], v[105:106]
	v_fma_f64 v[103:104], v[99:100], v[97:98], -v[103:104]
	v_mul_f64 v[99:100], v[99:100], v[105:106]
	v_fma_f64 v[99:100], v[101:102], v[97:98], v[99:100]
	s_waitcnt vmcnt(2)
	v_add_f64 v[69:70], v[69:70], -v[103:104]
	s_waitcnt vmcnt(0)
	v_add_f64 v[71:72], v[71:72], -v[99:100]
	buffer_store_dword v69, off, s[20:23], 0 offset:320 ; 4-byte Folded Spill
	s_nop 0
	buffer_store_dword v70, off, s[20:23], 0 offset:324 ; 4-byte Folded Spill
	buffer_store_dword v71, off, s[20:23], 0 offset:328 ; 4-byte Folded Spill
	buffer_store_dword v72, off, s[20:23], 0 offset:332 ; 4-byte Folded Spill
	ds_read2_b64 v[99:102], v125 offset0:18 offset1:19
	buffer_load_dword v69, off, s[20:23], 0 offset:304 ; 4-byte Folded Reload
	buffer_load_dword v70, off, s[20:23], 0 offset:308 ; 4-byte Folded Reload
	buffer_load_dword v71, off, s[20:23], 0 offset:312 ; 4-byte Folded Reload
	buffer_load_dword v72, off, s[20:23], 0 offset:316 ; 4-byte Folded Reload
	s_waitcnt lgkmcnt(0)
	v_mul_f64 v[103:104], v[101:102], v[105:106]
	v_fma_f64 v[103:104], v[99:100], v[97:98], -v[103:104]
	v_mul_f64 v[99:100], v[99:100], v[105:106]
	v_fma_f64 v[99:100], v[101:102], v[97:98], v[99:100]
	s_waitcnt vmcnt(2)
	v_add_f64 v[69:70], v[69:70], -v[103:104]
	s_waitcnt vmcnt(0)
	v_add_f64 v[71:72], v[71:72], -v[99:100]
	buffer_store_dword v69, off, s[20:23], 0 offset:304 ; 4-byte Folded Spill
	s_nop 0
	buffer_store_dword v70, off, s[20:23], 0 offset:308 ; 4-byte Folded Spill
	buffer_store_dword v71, off, s[20:23], 0 offset:312 ; 4-byte Folded Spill
	buffer_store_dword v72, off, s[20:23], 0 offset:316 ; 4-byte Folded Spill
	ds_read2_b64 v[99:102], v125 offset0:20 offset1:21
	buffer_load_dword v69, off, s[20:23], 0 offset:288 ; 4-byte Folded Reload
	buffer_load_dword v70, off, s[20:23], 0 offset:292 ; 4-byte Folded Reload
	buffer_load_dword v71, off, s[20:23], 0 offset:296 ; 4-byte Folded Reload
	buffer_load_dword v72, off, s[20:23], 0 offset:300 ; 4-byte Folded Reload
	s_waitcnt lgkmcnt(0)
	v_mul_f64 v[103:104], v[101:102], v[105:106]
	v_fma_f64 v[103:104], v[99:100], v[97:98], -v[103:104]
	v_mul_f64 v[99:100], v[99:100], v[105:106]
	v_fma_f64 v[99:100], v[101:102], v[97:98], v[99:100]
	s_waitcnt vmcnt(2)
	v_add_f64 v[69:70], v[69:70], -v[103:104]
	s_waitcnt vmcnt(0)
	v_add_f64 v[71:72], v[71:72], -v[99:100]
	buffer_store_dword v69, off, s[20:23], 0 offset:288 ; 4-byte Folded Spill
	s_nop 0
	buffer_store_dword v70, off, s[20:23], 0 offset:292 ; 4-byte Folded Spill
	buffer_store_dword v71, off, s[20:23], 0 offset:296 ; 4-byte Folded Spill
	buffer_store_dword v72, off, s[20:23], 0 offset:300 ; 4-byte Folded Spill
	ds_read2_b64 v[99:102], v125 offset0:22 offset1:23
	buffer_load_dword v69, off, s[20:23], 0 offset:272 ; 4-byte Folded Reload
	buffer_load_dword v70, off, s[20:23], 0 offset:276 ; 4-byte Folded Reload
	buffer_load_dword v71, off, s[20:23], 0 offset:280 ; 4-byte Folded Reload
	buffer_load_dword v72, off, s[20:23], 0 offset:284 ; 4-byte Folded Reload
	s_waitcnt lgkmcnt(0)
	v_mul_f64 v[103:104], v[101:102], v[105:106]
	v_fma_f64 v[103:104], v[99:100], v[97:98], -v[103:104]
	v_mul_f64 v[99:100], v[99:100], v[105:106]
	v_fma_f64 v[99:100], v[101:102], v[97:98], v[99:100]
	s_waitcnt vmcnt(2)
	v_add_f64 v[69:70], v[69:70], -v[103:104]
	s_waitcnt vmcnt(0)
	v_add_f64 v[71:72], v[71:72], -v[99:100]
	buffer_store_dword v69, off, s[20:23], 0 offset:272 ; 4-byte Folded Spill
	s_nop 0
	buffer_store_dword v70, off, s[20:23], 0 offset:276 ; 4-byte Folded Spill
	buffer_store_dword v71, off, s[20:23], 0 offset:280 ; 4-byte Folded Spill
	buffer_store_dword v72, off, s[20:23], 0 offset:284 ; 4-byte Folded Spill
	ds_read2_b64 v[99:102], v125 offset0:24 offset1:25
	buffer_load_dword v69, off, s[20:23], 0 offset:256 ; 4-byte Folded Reload
	buffer_load_dword v70, off, s[20:23], 0 offset:260 ; 4-byte Folded Reload
	buffer_load_dword v71, off, s[20:23], 0 offset:264 ; 4-byte Folded Reload
	buffer_load_dword v72, off, s[20:23], 0 offset:268 ; 4-byte Folded Reload
	s_waitcnt lgkmcnt(0)
	v_mul_f64 v[103:104], v[101:102], v[105:106]
	v_fma_f64 v[103:104], v[99:100], v[97:98], -v[103:104]
	v_mul_f64 v[99:100], v[99:100], v[105:106]
	v_fma_f64 v[99:100], v[101:102], v[97:98], v[99:100]
	s_waitcnt vmcnt(2)
	v_add_f64 v[69:70], v[69:70], -v[103:104]
	s_waitcnt vmcnt(0)
	v_add_f64 v[71:72], v[71:72], -v[99:100]
	buffer_store_dword v69, off, s[20:23], 0 offset:256 ; 4-byte Folded Spill
	s_nop 0
	buffer_store_dword v70, off, s[20:23], 0 offset:260 ; 4-byte Folded Spill
	buffer_store_dword v71, off, s[20:23], 0 offset:264 ; 4-byte Folded Spill
	buffer_store_dword v72, off, s[20:23], 0 offset:268 ; 4-byte Folded Spill
	ds_read2_b64 v[99:102], v125 offset0:26 offset1:27
	buffer_load_dword v69, off, s[20:23], 0 offset:240 ; 4-byte Folded Reload
	buffer_load_dword v70, off, s[20:23], 0 offset:244 ; 4-byte Folded Reload
	buffer_load_dword v71, off, s[20:23], 0 offset:248 ; 4-byte Folded Reload
	buffer_load_dword v72, off, s[20:23], 0 offset:252 ; 4-byte Folded Reload
	s_waitcnt lgkmcnt(0)
	v_mul_f64 v[103:104], v[101:102], v[105:106]
	v_fma_f64 v[103:104], v[99:100], v[97:98], -v[103:104]
	v_mul_f64 v[99:100], v[99:100], v[105:106]
	v_fma_f64 v[99:100], v[101:102], v[97:98], v[99:100]
	s_waitcnt vmcnt(2)
	v_add_f64 v[69:70], v[69:70], -v[103:104]
	s_waitcnt vmcnt(0)
	v_add_f64 v[71:72], v[71:72], -v[99:100]
	buffer_store_dword v69, off, s[20:23], 0 offset:240 ; 4-byte Folded Spill
	s_nop 0
	buffer_store_dword v70, off, s[20:23], 0 offset:244 ; 4-byte Folded Spill
	buffer_store_dword v71, off, s[20:23], 0 offset:248 ; 4-byte Folded Spill
	buffer_store_dword v72, off, s[20:23], 0 offset:252 ; 4-byte Folded Spill
	ds_read2_b64 v[99:102], v125 offset0:28 offset1:29
	buffer_load_dword v69, off, s[20:23], 0 offset:224 ; 4-byte Folded Reload
	buffer_load_dword v70, off, s[20:23], 0 offset:228 ; 4-byte Folded Reload
	buffer_load_dword v71, off, s[20:23], 0 offset:232 ; 4-byte Folded Reload
	buffer_load_dword v72, off, s[20:23], 0 offset:236 ; 4-byte Folded Reload
	s_waitcnt lgkmcnt(0)
	v_mul_f64 v[103:104], v[101:102], v[105:106]
	v_fma_f64 v[103:104], v[99:100], v[97:98], -v[103:104]
	v_mul_f64 v[99:100], v[99:100], v[105:106]
	v_fma_f64 v[99:100], v[101:102], v[97:98], v[99:100]
	s_waitcnt vmcnt(2)
	v_add_f64 v[69:70], v[69:70], -v[103:104]
	s_waitcnt vmcnt(0)
	v_add_f64 v[71:72], v[71:72], -v[99:100]
	buffer_store_dword v69, off, s[20:23], 0 offset:224 ; 4-byte Folded Spill
	s_nop 0
	buffer_store_dword v70, off, s[20:23], 0 offset:228 ; 4-byte Folded Spill
	buffer_store_dword v71, off, s[20:23], 0 offset:232 ; 4-byte Folded Spill
	buffer_store_dword v72, off, s[20:23], 0 offset:236 ; 4-byte Folded Spill
	ds_read2_b64 v[99:102], v125 offset0:30 offset1:31
	buffer_load_dword v69, off, s[20:23], 0 offset:208 ; 4-byte Folded Reload
	buffer_load_dword v70, off, s[20:23], 0 offset:212 ; 4-byte Folded Reload
	buffer_load_dword v71, off, s[20:23], 0 offset:216 ; 4-byte Folded Reload
	buffer_load_dword v72, off, s[20:23], 0 offset:220 ; 4-byte Folded Reload
	s_waitcnt lgkmcnt(0)
	v_mul_f64 v[103:104], v[101:102], v[105:106]
	v_fma_f64 v[103:104], v[99:100], v[97:98], -v[103:104]
	v_mul_f64 v[99:100], v[99:100], v[105:106]
	v_fma_f64 v[99:100], v[101:102], v[97:98], v[99:100]
	s_waitcnt vmcnt(2)
	v_add_f64 v[69:70], v[69:70], -v[103:104]
	s_waitcnt vmcnt(0)
	v_add_f64 v[71:72], v[71:72], -v[99:100]
	buffer_store_dword v69, off, s[20:23], 0 offset:208 ; 4-byte Folded Spill
	s_nop 0
	buffer_store_dword v70, off, s[20:23], 0 offset:212 ; 4-byte Folded Spill
	buffer_store_dword v71, off, s[20:23], 0 offset:216 ; 4-byte Folded Spill
	buffer_store_dword v72, off, s[20:23], 0 offset:220 ; 4-byte Folded Spill
	ds_read2_b64 v[99:102], v125 offset0:32 offset1:33
	buffer_load_dword v69, off, s[20:23], 0 offset:192 ; 4-byte Folded Reload
	buffer_load_dword v70, off, s[20:23], 0 offset:196 ; 4-byte Folded Reload
	buffer_load_dword v71, off, s[20:23], 0 offset:200 ; 4-byte Folded Reload
	buffer_load_dword v72, off, s[20:23], 0 offset:204 ; 4-byte Folded Reload
	s_waitcnt lgkmcnt(0)
	v_mul_f64 v[103:104], v[101:102], v[105:106]
	v_fma_f64 v[103:104], v[99:100], v[97:98], -v[103:104]
	v_mul_f64 v[99:100], v[99:100], v[105:106]
	v_fma_f64 v[99:100], v[101:102], v[97:98], v[99:100]
	s_waitcnt vmcnt(2)
	v_add_f64 v[69:70], v[69:70], -v[103:104]
	s_waitcnt vmcnt(0)
	v_add_f64 v[71:72], v[71:72], -v[99:100]
	buffer_store_dword v69, off, s[20:23], 0 offset:192 ; 4-byte Folded Spill
	s_nop 0
	buffer_store_dword v70, off, s[20:23], 0 offset:196 ; 4-byte Folded Spill
	buffer_store_dword v71, off, s[20:23], 0 offset:200 ; 4-byte Folded Spill
	buffer_store_dword v72, off, s[20:23], 0 offset:204 ; 4-byte Folded Spill
	ds_read2_b64 v[99:102], v125 offset0:34 offset1:35
	buffer_load_dword v69, off, s[20:23], 0 offset:176 ; 4-byte Folded Reload
	buffer_load_dword v70, off, s[20:23], 0 offset:180 ; 4-byte Folded Reload
	buffer_load_dword v71, off, s[20:23], 0 offset:184 ; 4-byte Folded Reload
	buffer_load_dword v72, off, s[20:23], 0 offset:188 ; 4-byte Folded Reload
	s_waitcnt lgkmcnt(0)
	v_mul_f64 v[103:104], v[101:102], v[105:106]
	v_fma_f64 v[103:104], v[99:100], v[97:98], -v[103:104]
	v_mul_f64 v[99:100], v[99:100], v[105:106]
	v_fma_f64 v[99:100], v[101:102], v[97:98], v[99:100]
	s_waitcnt vmcnt(2)
	v_add_f64 v[69:70], v[69:70], -v[103:104]
	s_waitcnt vmcnt(0)
	v_add_f64 v[71:72], v[71:72], -v[99:100]
	buffer_store_dword v69, off, s[20:23], 0 offset:176 ; 4-byte Folded Spill
	s_nop 0
	buffer_store_dword v70, off, s[20:23], 0 offset:180 ; 4-byte Folded Spill
	buffer_store_dword v71, off, s[20:23], 0 offset:184 ; 4-byte Folded Spill
	buffer_store_dword v72, off, s[20:23], 0 offset:188 ; 4-byte Folded Spill
	ds_read2_b64 v[99:102], v125 offset0:36 offset1:37
	buffer_load_dword v69, off, s[20:23], 0 offset:160 ; 4-byte Folded Reload
	buffer_load_dword v70, off, s[20:23], 0 offset:164 ; 4-byte Folded Reload
	buffer_load_dword v71, off, s[20:23], 0 offset:168 ; 4-byte Folded Reload
	buffer_load_dword v72, off, s[20:23], 0 offset:172 ; 4-byte Folded Reload
	s_waitcnt lgkmcnt(0)
	v_mul_f64 v[103:104], v[101:102], v[105:106]
	v_fma_f64 v[103:104], v[99:100], v[97:98], -v[103:104]
	v_mul_f64 v[99:100], v[99:100], v[105:106]
	v_fma_f64 v[99:100], v[101:102], v[97:98], v[99:100]
	s_waitcnt vmcnt(2)
	v_add_f64 v[69:70], v[69:70], -v[103:104]
	s_waitcnt vmcnt(0)
	v_add_f64 v[71:72], v[71:72], -v[99:100]
	buffer_store_dword v69, off, s[20:23], 0 offset:160 ; 4-byte Folded Spill
	s_nop 0
	buffer_store_dword v70, off, s[20:23], 0 offset:164 ; 4-byte Folded Spill
	buffer_store_dword v71, off, s[20:23], 0 offset:168 ; 4-byte Folded Spill
	buffer_store_dword v72, off, s[20:23], 0 offset:172 ; 4-byte Folded Spill
	ds_read2_b64 v[99:102], v125 offset0:38 offset1:39
	buffer_load_dword v69, off, s[20:23], 0 offset:144 ; 4-byte Folded Reload
	buffer_load_dword v70, off, s[20:23], 0 offset:148 ; 4-byte Folded Reload
	buffer_load_dword v71, off, s[20:23], 0 offset:152 ; 4-byte Folded Reload
	buffer_load_dword v72, off, s[20:23], 0 offset:156 ; 4-byte Folded Reload
	s_waitcnt lgkmcnt(0)
	v_mul_f64 v[103:104], v[101:102], v[105:106]
	v_fma_f64 v[103:104], v[99:100], v[97:98], -v[103:104]
	v_mul_f64 v[99:100], v[99:100], v[105:106]
	v_fma_f64 v[99:100], v[101:102], v[97:98], v[99:100]
	s_waitcnt vmcnt(2)
	v_add_f64 v[69:70], v[69:70], -v[103:104]
	s_waitcnt vmcnt(0)
	v_add_f64 v[71:72], v[71:72], -v[99:100]
	buffer_store_dword v69, off, s[20:23], 0 offset:144 ; 4-byte Folded Spill
	s_nop 0
	buffer_store_dword v70, off, s[20:23], 0 offset:148 ; 4-byte Folded Spill
	buffer_store_dword v71, off, s[20:23], 0 offset:152 ; 4-byte Folded Spill
	buffer_store_dword v72, off, s[20:23], 0 offset:156 ; 4-byte Folded Spill
	ds_read2_b64 v[99:102], v125 offset0:40 offset1:41
	buffer_load_dword v69, off, s[20:23], 0 offset:128 ; 4-byte Folded Reload
	buffer_load_dword v70, off, s[20:23], 0 offset:132 ; 4-byte Folded Reload
	buffer_load_dword v71, off, s[20:23], 0 offset:136 ; 4-byte Folded Reload
	buffer_load_dword v72, off, s[20:23], 0 offset:140 ; 4-byte Folded Reload
	s_waitcnt lgkmcnt(0)
	v_mul_f64 v[103:104], v[101:102], v[105:106]
	v_fma_f64 v[103:104], v[99:100], v[97:98], -v[103:104]
	v_mul_f64 v[99:100], v[99:100], v[105:106]
	v_fma_f64 v[99:100], v[101:102], v[97:98], v[99:100]
	s_waitcnt vmcnt(2)
	v_add_f64 v[69:70], v[69:70], -v[103:104]
	s_waitcnt vmcnt(0)
	v_add_f64 v[71:72], v[71:72], -v[99:100]
	buffer_store_dword v69, off, s[20:23], 0 offset:128 ; 4-byte Folded Spill
	s_nop 0
	buffer_store_dword v70, off, s[20:23], 0 offset:132 ; 4-byte Folded Spill
	buffer_store_dword v71, off, s[20:23], 0 offset:136 ; 4-byte Folded Spill
	buffer_store_dword v72, off, s[20:23], 0 offset:140 ; 4-byte Folded Spill
	ds_read2_b64 v[99:102], v125 offset0:42 offset1:43
	buffer_load_dword v69, off, s[20:23], 0 offset:112 ; 4-byte Folded Reload
	buffer_load_dword v70, off, s[20:23], 0 offset:116 ; 4-byte Folded Reload
	buffer_load_dword v71, off, s[20:23], 0 offset:120 ; 4-byte Folded Reload
	buffer_load_dword v72, off, s[20:23], 0 offset:124 ; 4-byte Folded Reload
	s_waitcnt lgkmcnt(0)
	v_mul_f64 v[103:104], v[101:102], v[105:106]
	v_fma_f64 v[103:104], v[99:100], v[97:98], -v[103:104]
	v_mul_f64 v[99:100], v[99:100], v[105:106]
	v_fma_f64 v[99:100], v[101:102], v[97:98], v[99:100]
	s_waitcnt vmcnt(2)
	v_add_f64 v[69:70], v[69:70], -v[103:104]
	s_waitcnt vmcnt(0)
	v_add_f64 v[71:72], v[71:72], -v[99:100]
	buffer_store_dword v69, off, s[20:23], 0 offset:112 ; 4-byte Folded Spill
	s_nop 0
	buffer_store_dword v70, off, s[20:23], 0 offset:116 ; 4-byte Folded Spill
	buffer_store_dword v71, off, s[20:23], 0 offset:120 ; 4-byte Folded Spill
	buffer_store_dword v72, off, s[20:23], 0 offset:124 ; 4-byte Folded Spill
	ds_read2_b64 v[99:102], v125 offset0:44 offset1:45
	buffer_load_dword v69, off, s[20:23], 0 offset:96 ; 4-byte Folded Reload
	buffer_load_dword v70, off, s[20:23], 0 offset:100 ; 4-byte Folded Reload
	buffer_load_dword v71, off, s[20:23], 0 offset:104 ; 4-byte Folded Reload
	buffer_load_dword v72, off, s[20:23], 0 offset:108 ; 4-byte Folded Reload
	s_waitcnt lgkmcnt(0)
	v_mul_f64 v[103:104], v[101:102], v[105:106]
	v_fma_f64 v[103:104], v[99:100], v[97:98], -v[103:104]
	v_mul_f64 v[99:100], v[99:100], v[105:106]
	v_fma_f64 v[99:100], v[101:102], v[97:98], v[99:100]
	s_waitcnt vmcnt(2)
	v_add_f64 v[69:70], v[69:70], -v[103:104]
	s_waitcnt vmcnt(0)
	v_add_f64 v[71:72], v[71:72], -v[99:100]
	buffer_store_dword v69, off, s[20:23], 0 offset:96 ; 4-byte Folded Spill
	s_nop 0
	buffer_store_dword v70, off, s[20:23], 0 offset:100 ; 4-byte Folded Spill
	buffer_store_dword v71, off, s[20:23], 0 offset:104 ; 4-byte Folded Spill
	buffer_store_dword v72, off, s[20:23], 0 offset:108 ; 4-byte Folded Spill
	ds_read2_b64 v[99:102], v125 offset0:46 offset1:47
	buffer_load_dword v69, off, s[20:23], 0 offset:80 ; 4-byte Folded Reload
	buffer_load_dword v70, off, s[20:23], 0 offset:84 ; 4-byte Folded Reload
	buffer_load_dword v71, off, s[20:23], 0 offset:88 ; 4-byte Folded Reload
	buffer_load_dword v72, off, s[20:23], 0 offset:92 ; 4-byte Folded Reload
	s_waitcnt lgkmcnt(0)
	v_mul_f64 v[103:104], v[101:102], v[105:106]
	v_fma_f64 v[103:104], v[99:100], v[97:98], -v[103:104]
	v_mul_f64 v[99:100], v[99:100], v[105:106]
	v_fma_f64 v[99:100], v[101:102], v[97:98], v[99:100]
	s_waitcnt vmcnt(2)
	v_add_f64 v[69:70], v[69:70], -v[103:104]
	s_waitcnt vmcnt(0)
	v_add_f64 v[71:72], v[71:72], -v[99:100]
	buffer_store_dword v69, off, s[20:23], 0 offset:80 ; 4-byte Folded Spill
	s_nop 0
	buffer_store_dword v70, off, s[20:23], 0 offset:84 ; 4-byte Folded Spill
	buffer_store_dword v71, off, s[20:23], 0 offset:88 ; 4-byte Folded Spill
	buffer_store_dword v72, off, s[20:23], 0 offset:92 ; 4-byte Folded Spill
	ds_read2_b64 v[99:102], v125 offset0:48 offset1:49
	buffer_load_dword v69, off, s[20:23], 0 offset:64 ; 4-byte Folded Reload
	buffer_load_dword v70, off, s[20:23], 0 offset:68 ; 4-byte Folded Reload
	buffer_load_dword v71, off, s[20:23], 0 offset:72 ; 4-byte Folded Reload
	buffer_load_dword v72, off, s[20:23], 0 offset:76 ; 4-byte Folded Reload
	s_waitcnt lgkmcnt(0)
	v_mul_f64 v[103:104], v[101:102], v[105:106]
	v_fma_f64 v[103:104], v[99:100], v[97:98], -v[103:104]
	v_mul_f64 v[99:100], v[99:100], v[105:106]
	v_fma_f64 v[99:100], v[101:102], v[97:98], v[99:100]
	s_waitcnt vmcnt(2)
	v_add_f64 v[69:70], v[69:70], -v[103:104]
	s_waitcnt vmcnt(0)
	v_add_f64 v[71:72], v[71:72], -v[99:100]
	buffer_store_dword v69, off, s[20:23], 0 offset:64 ; 4-byte Folded Spill
	s_nop 0
	buffer_store_dword v70, off, s[20:23], 0 offset:68 ; 4-byte Folded Spill
	buffer_store_dword v71, off, s[20:23], 0 offset:72 ; 4-byte Folded Spill
	buffer_store_dword v72, off, s[20:23], 0 offset:76 ; 4-byte Folded Spill
	ds_read2_b64 v[99:102], v125 offset0:50 offset1:51
	buffer_load_dword v69, off, s[20:23], 0 offset:48 ; 4-byte Folded Reload
	buffer_load_dword v70, off, s[20:23], 0 offset:52 ; 4-byte Folded Reload
	buffer_load_dword v71, off, s[20:23], 0 offset:56 ; 4-byte Folded Reload
	buffer_load_dword v72, off, s[20:23], 0 offset:60 ; 4-byte Folded Reload
	s_waitcnt lgkmcnt(0)
	v_mul_f64 v[103:104], v[101:102], v[105:106]
	v_fma_f64 v[103:104], v[99:100], v[97:98], -v[103:104]
	v_mul_f64 v[99:100], v[99:100], v[105:106]
	v_fma_f64 v[99:100], v[101:102], v[97:98], v[99:100]
	s_waitcnt vmcnt(2)
	v_add_f64 v[69:70], v[69:70], -v[103:104]
	s_waitcnt vmcnt(0)
	v_add_f64 v[71:72], v[71:72], -v[99:100]
	buffer_store_dword v69, off, s[20:23], 0 offset:48 ; 4-byte Folded Spill
	s_nop 0
	buffer_store_dword v70, off, s[20:23], 0 offset:52 ; 4-byte Folded Spill
	buffer_store_dword v71, off, s[20:23], 0 offset:56 ; 4-byte Folded Spill
	buffer_store_dword v72, off, s[20:23], 0 offset:60 ; 4-byte Folded Spill
	ds_read2_b64 v[99:102], v125 offset0:52 offset1:53
	v_mov_b32_e32 v69, v73
	v_mov_b32_e32 v70, v74
	;; [unrolled: 1-line block ×4, first 2 shown]
	s_waitcnt lgkmcnt(0)
	v_mul_f64 v[103:104], v[101:102], v[105:106]
	v_fma_f64 v[103:104], v[99:100], v[97:98], -v[103:104]
	v_mul_f64 v[99:100], v[99:100], v[105:106]
	v_add_f64 v[121:122], v[121:122], -v[103:104]
	v_fma_f64 v[99:100], v[101:102], v[97:98], v[99:100]
	v_add_f64 v[123:124], v[123:124], -v[99:100]
	ds_read2_b64 v[99:102], v125 offset0:54 offset1:55
	s_waitcnt lgkmcnt(0)
	v_mul_f64 v[103:104], v[101:102], v[105:106]
	v_fma_f64 v[103:104], v[99:100], v[97:98], -v[103:104]
	v_mul_f64 v[99:100], v[99:100], v[105:106]
	v_add_f64 v[117:118], v[117:118], -v[103:104]
	v_fma_f64 v[99:100], v[101:102], v[97:98], v[99:100]
	v_add_f64 v[119:120], v[119:120], -v[99:100]
	ds_read2_b64 v[99:102], v125 offset0:56 offset1:57
	;; [unrolled: 8-line block ×5, first 2 shown]
	buffer_load_dword v77, off, s[20:23], 0 offset:32 ; 4-byte Folded Reload
	buffer_load_dword v78, off, s[20:23], 0 offset:36 ; 4-byte Folded Reload
	;; [unrolled: 1-line block ×4, first 2 shown]
	s_waitcnt lgkmcnt(0)
	v_mul_f64 v[103:104], v[101:102], v[105:106]
	v_fma_f64 v[103:104], v[99:100], v[97:98], -v[103:104]
	v_mul_f64 v[99:100], v[99:100], v[105:106]
	v_fma_f64 v[99:100], v[101:102], v[97:98], v[99:100]
	s_waitcnt vmcnt(2)
	v_add_f64 v[77:78], v[77:78], -v[103:104]
	s_waitcnt vmcnt(0)
	v_add_f64 v[79:80], v[79:80], -v[99:100]
	buffer_store_dword v77, off, s[20:23], 0 offset:32 ; 4-byte Folded Spill
	s_nop 0
	buffer_store_dword v78, off, s[20:23], 0 offset:36 ; 4-byte Folded Spill
	buffer_store_dword v79, off, s[20:23], 0 offset:40 ; 4-byte Folded Spill
	;; [unrolled: 1-line block ×3, first 2 shown]
	ds_read2_b64 v[99:102], v125 offset0:64 offset1:65
	buffer_load_dword v73, off, s[20:23], 0 offset:16 ; 4-byte Folded Reload
	buffer_load_dword v74, off, s[20:23], 0 offset:20 ; 4-byte Folded Reload
	;; [unrolled: 1-line block ×4, first 2 shown]
	s_waitcnt lgkmcnt(0)
	v_mul_f64 v[103:104], v[101:102], v[105:106]
	v_fma_f64 v[103:104], v[99:100], v[97:98], -v[103:104]
	v_mul_f64 v[99:100], v[99:100], v[105:106]
	v_fma_f64 v[99:100], v[101:102], v[97:98], v[99:100]
	s_waitcnt vmcnt(2)
	v_add_f64 v[73:74], v[73:74], -v[103:104]
	s_waitcnt vmcnt(0)
	v_add_f64 v[75:76], v[75:76], -v[99:100]
	buffer_store_dword v73, off, s[20:23], 0 offset:16 ; 4-byte Folded Spill
	s_nop 0
	buffer_store_dword v74, off, s[20:23], 0 offset:20 ; 4-byte Folded Spill
	buffer_store_dword v75, off, s[20:23], 0 offset:24 ; 4-byte Folded Spill
	;; [unrolled: 1-line block ×3, first 2 shown]
	v_mov_b32_e32 v76, v72
	v_mov_b32_e32 v75, v71
	;; [unrolled: 1-line block ×4, first 2 shown]
	ds_read2_b64 v[99:102], v125 offset0:66 offset1:67
	buffer_load_dword v69, off, s[20:23], 0 ; 4-byte Folded Reload
	buffer_load_dword v70, off, s[20:23], 0 offset:4 ; 4-byte Folded Reload
	buffer_load_dword v71, off, s[20:23], 0 offset:8 ; 4-byte Folded Reload
	;; [unrolled: 1-line block ×3, first 2 shown]
	s_waitcnt lgkmcnt(0)
	v_mul_f64 v[103:104], v[101:102], v[105:106]
	v_fma_f64 v[103:104], v[99:100], v[97:98], -v[103:104]
	v_mul_f64 v[99:100], v[99:100], v[105:106]
	v_fma_f64 v[99:100], v[101:102], v[97:98], v[99:100]
	s_waitcnt vmcnt(2)
	v_add_f64 v[69:70], v[69:70], -v[103:104]
	s_waitcnt vmcnt(0)
	v_add_f64 v[71:72], v[71:72], -v[99:100]
	buffer_store_dword v69, off, s[20:23], 0 ; 4-byte Folded Spill
	s_nop 0
	buffer_store_dword v70, off, s[20:23], 0 offset:4 ; 4-byte Folded Spill
	buffer_store_dword v71, off, s[20:23], 0 offset:8 ; 4-byte Folded Spill
	buffer_store_dword v72, off, s[20:23], 0 offset:12 ; 4-byte Folded Spill
	ds_read2_b64 v[99:102], v125 offset0:68 offset1:69
	s_waitcnt lgkmcnt(0)
	v_mul_f64 v[103:104], v[101:102], v[105:106]
	v_fma_f64 v[103:104], v[99:100], v[97:98], -v[103:104]
	v_mul_f64 v[99:100], v[99:100], v[105:106]
	v_add_f64 v[65:66], v[65:66], -v[103:104]
	v_fma_f64 v[99:100], v[101:102], v[97:98], v[99:100]
	v_add_f64 v[67:68], v[67:68], -v[99:100]
	ds_read2_b64 v[99:102], v125 offset0:70 offset1:71
	s_waitcnt lgkmcnt(0)
	v_mul_f64 v[103:104], v[101:102], v[105:106]
	v_fma_f64 v[103:104], v[99:100], v[97:98], -v[103:104]
	v_mul_f64 v[99:100], v[99:100], v[105:106]
	v_add_f64 v[61:62], v[61:62], -v[103:104]
	v_fma_f64 v[99:100], v[101:102], v[97:98], v[99:100]
	v_add_f64 v[63:64], v[63:64], -v[99:100]
	;; [unrolled: 8-line block ×16, first 2 shown]
	ds_read2_b64 v[99:102], v125 offset0:100 offset1:101
	s_waitcnt lgkmcnt(0)
	v_mul_f64 v[103:104], v[101:102], v[105:106]
	v_fma_f64 v[103:104], v[99:100], v[97:98], -v[103:104]
	v_mul_f64 v[99:100], v[99:100], v[105:106]
	v_add_f64 v[1:2], v[1:2], -v[103:104]
	v_fma_f64 v[99:100], v[101:102], v[97:98], v[99:100]
	ds_read2_b64 v[101:104], v125 offset0:102 offset1:103
	v_add_f64 v[3:4], v[3:4], -v[99:100]
	s_waitcnt lgkmcnt(0)
	v_mul_f64 v[99:100], v[103:104], v[105:106]
	v_fma_f64 v[99:100], v[101:102], v[97:98], -v[99:100]
	v_mul_f64 v[101:102], v[101:102], v[105:106]
	v_add_f64 v[73:74], v[73:74], -v[99:100]
	v_fma_f64 v[101:102], v[103:104], v[97:98], v[101:102]
	v_mov_b32_e32 v104, v98
	v_mov_b32_e32 v103, v97
	buffer_store_dword v103, off, s[20:23], 0 offset:352 ; 4-byte Folded Spill
	s_nop 0
	buffer_store_dword v104, off, s[20:23], 0 offset:356 ; 4-byte Folded Spill
	buffer_store_dword v105, off, s[20:23], 0 offset:360 ; 4-byte Folded Spill
	;; [unrolled: 1-line block ×3, first 2 shown]
	v_add_f64 v[75:76], v[75:76], -v[101:102]
.LBB103_64:
	s_or_b64 exec, exec, s[2:3]
	v_cmp_eq_u32_e32 vcc, 7, v0
	s_waitcnt vmcnt(0)
	s_barrier
	s_and_saveexec_b64 s[4:5], vcc
	s_cbranch_execz .LBB103_71
; %bb.65:
	buffer_load_dword v69, off, s[20:23], 0 offset:336 ; 4-byte Folded Reload
	buffer_load_dword v70, off, s[20:23], 0 offset:340 ; 4-byte Folded Reload
	;; [unrolled: 1-line block ×4, first 2 shown]
	s_waitcnt vmcnt(0)
	ds_write2_b64 v127, v[69:70], v[71:72] offset1:1
	buffer_load_dword v69, off, s[20:23], 0 offset:320 ; 4-byte Folded Reload
	buffer_load_dword v70, off, s[20:23], 0 offset:324 ; 4-byte Folded Reload
	buffer_load_dword v71, off, s[20:23], 0 offset:328 ; 4-byte Folded Reload
	buffer_load_dword v72, off, s[20:23], 0 offset:332 ; 4-byte Folded Reload
	s_waitcnt vmcnt(0)
	ds_write2_b64 v125, v[69:70], v[71:72] offset0:16 offset1:17
	buffer_load_dword v69, off, s[20:23], 0 offset:304 ; 4-byte Folded Reload
	buffer_load_dword v70, off, s[20:23], 0 offset:308 ; 4-byte Folded Reload
	buffer_load_dword v71, off, s[20:23], 0 offset:312 ; 4-byte Folded Reload
	buffer_load_dword v72, off, s[20:23], 0 offset:316 ; 4-byte Folded Reload
	s_waitcnt vmcnt(0)
	ds_write2_b64 v125, v[69:70], v[71:72] offset0:18 offset1:19
	;; [unrolled: 6-line block ×18, first 2 shown]
	ds_write2_b64 v125, v[121:122], v[123:124] offset0:52 offset1:53
	ds_write2_b64 v125, v[117:118], v[119:120] offset0:54 offset1:55
	;; [unrolled: 1-line block ×5, first 2 shown]
	buffer_load_dword v77, off, s[20:23], 0 offset:32 ; 4-byte Folded Reload
	buffer_load_dword v78, off, s[20:23], 0 offset:36 ; 4-byte Folded Reload
	;; [unrolled: 1-line block ×4, first 2 shown]
	v_mov_b32_e32 v69, v73
	v_mov_b32_e32 v70, v74
	;; [unrolled: 1-line block ×4, first 2 shown]
	s_waitcnt vmcnt(0)
	ds_write2_b64 v125, v[77:78], v[79:80] offset0:62 offset1:63
	buffer_load_dword v73, off, s[20:23], 0 offset:16 ; 4-byte Folded Reload
	buffer_load_dword v74, off, s[20:23], 0 offset:20 ; 4-byte Folded Reload
	;; [unrolled: 1-line block ×4, first 2 shown]
	s_waitcnt vmcnt(0)
	ds_write2_b64 v125, v[73:74], v[75:76] offset0:64 offset1:65
	v_mov_b32_e32 v76, v72
	v_mov_b32_e32 v75, v71
	;; [unrolled: 1-line block ×4, first 2 shown]
	buffer_load_dword v69, off, s[20:23], 0 ; 4-byte Folded Reload
	buffer_load_dword v70, off, s[20:23], 0 offset:4 ; 4-byte Folded Reload
	buffer_load_dword v71, off, s[20:23], 0 offset:8 ; 4-byte Folded Reload
	buffer_load_dword v72, off, s[20:23], 0 offset:12 ; 4-byte Folded Reload
	s_waitcnt vmcnt(0)
	ds_write2_b64 v125, v[69:70], v[71:72] offset0:66 offset1:67
	ds_write2_b64 v125, v[65:66], v[67:68] offset0:68 offset1:69
	ds_write2_b64 v125, v[61:62], v[63:64] offset0:70 offset1:71
	ds_write2_b64 v125, v[57:58], v[59:60] offset0:72 offset1:73
	ds_write2_b64 v125, v[53:54], v[55:56] offset0:74 offset1:75
	ds_write2_b64 v125, v[49:50], v[51:52] offset0:76 offset1:77
	ds_write2_b64 v125, v[45:46], v[47:48] offset0:78 offset1:79
	ds_write2_b64 v125, v[41:42], v[43:44] offset0:80 offset1:81
	ds_write2_b64 v125, v[37:38], v[39:40] offset0:82 offset1:83
	ds_write2_b64 v125, v[33:34], v[35:36] offset0:84 offset1:85
	ds_write2_b64 v125, v[29:30], v[31:32] offset0:86 offset1:87
	ds_write2_b64 v125, v[25:26], v[27:28] offset0:88 offset1:89
	ds_write2_b64 v125, v[21:22], v[23:24] offset0:90 offset1:91
	ds_write2_b64 v125, v[17:18], v[19:20] offset0:92 offset1:93
	ds_write2_b64 v125, v[13:14], v[15:16] offset0:94 offset1:95
	ds_write2_b64 v125, v[9:10], v[11:12] offset0:96 offset1:97
	ds_write2_b64 v125, v[5:6], v[7:8] offset0:98 offset1:99
	ds_write2_b64 v125, v[1:2], v[3:4] offset0:100 offset1:101
	ds_write2_b64 v125, v[73:74], v[75:76] offset0:102 offset1:103
	ds_read2_b64 v[97:100], v127 offset1:1
	s_waitcnt lgkmcnt(0)
	v_cmp_neq_f64_e32 vcc, 0, v[97:98]
	v_cmp_neq_f64_e64 s[2:3], 0, v[99:100]
	s_or_b64 s[2:3], vcc, s[2:3]
	s_and_b64 exec, exec, s[2:3]
	s_cbranch_execz .LBB103_71
; %bb.66:
	v_cmp_ngt_f64_e64 s[2:3], |v[97:98]|, |v[99:100]|
                                        ; implicit-def: $vgpr101_vgpr102
	s_and_saveexec_b64 s[6:7], s[2:3]
	s_xor_b64 s[2:3], exec, s[6:7]
                                        ; implicit-def: $vgpr103_vgpr104
	s_cbranch_execz .LBB103_68
; %bb.67:
	v_div_scale_f64 v[101:102], s[6:7], v[99:100], v[99:100], v[97:98]
	v_rcp_f64_e32 v[103:104], v[101:102]
	v_fma_f64 v[105:106], -v[101:102], v[103:104], 1.0
	v_fma_f64 v[103:104], v[103:104], v[105:106], v[103:104]
	v_div_scale_f64 v[105:106], vcc, v[97:98], v[99:100], v[97:98]
	v_fma_f64 v[107:108], -v[101:102], v[103:104], 1.0
	v_fma_f64 v[103:104], v[103:104], v[107:108], v[103:104]
	v_mul_f64 v[107:108], v[105:106], v[103:104]
	v_fma_f64 v[101:102], -v[101:102], v[107:108], v[105:106]
	v_div_fmas_f64 v[101:102], v[101:102], v[103:104], v[107:108]
	v_div_fixup_f64 v[101:102], v[101:102], v[99:100], v[97:98]
	v_fma_f64 v[97:98], v[97:98], v[101:102], v[99:100]
	v_div_scale_f64 v[99:100], s[6:7], v[97:98], v[97:98], 1.0
	v_div_scale_f64 v[107:108], vcc, 1.0, v[97:98], 1.0
	v_rcp_f64_e32 v[103:104], v[99:100]
	v_fma_f64 v[105:106], -v[99:100], v[103:104], 1.0
	v_fma_f64 v[103:104], v[103:104], v[105:106], v[103:104]
	v_fma_f64 v[105:106], -v[99:100], v[103:104], 1.0
	v_fma_f64 v[103:104], v[103:104], v[105:106], v[103:104]
	v_mul_f64 v[105:106], v[107:108], v[103:104]
	v_fma_f64 v[99:100], -v[99:100], v[105:106], v[107:108]
	v_div_fmas_f64 v[99:100], v[99:100], v[103:104], v[105:106]
	v_div_fixup_f64 v[103:104], v[99:100], v[97:98], 1.0
                                        ; implicit-def: $vgpr97_vgpr98
	v_mul_f64 v[101:102], v[101:102], v[103:104]
	v_xor_b32_e32 v104, 0x80000000, v104
.LBB103_68:
	s_andn2_saveexec_b64 s[2:3], s[2:3]
	s_cbranch_execz .LBB103_70
; %bb.69:
	v_div_scale_f64 v[101:102], s[6:7], v[97:98], v[97:98], v[99:100]
	v_rcp_f64_e32 v[103:104], v[101:102]
	v_fma_f64 v[105:106], -v[101:102], v[103:104], 1.0
	v_fma_f64 v[103:104], v[103:104], v[105:106], v[103:104]
	v_div_scale_f64 v[105:106], vcc, v[99:100], v[97:98], v[99:100]
	v_fma_f64 v[107:108], -v[101:102], v[103:104], 1.0
	v_fma_f64 v[103:104], v[103:104], v[107:108], v[103:104]
	v_mul_f64 v[107:108], v[105:106], v[103:104]
	v_fma_f64 v[101:102], -v[101:102], v[107:108], v[105:106]
	v_div_fmas_f64 v[101:102], v[101:102], v[103:104], v[107:108]
	v_div_fixup_f64 v[103:104], v[101:102], v[97:98], v[99:100]
	v_fma_f64 v[97:98], v[99:100], v[103:104], v[97:98]
	v_div_scale_f64 v[99:100], s[6:7], v[97:98], v[97:98], 1.0
	v_div_scale_f64 v[107:108], vcc, 1.0, v[97:98], 1.0
	v_rcp_f64_e32 v[101:102], v[99:100]
	v_fma_f64 v[105:106], -v[99:100], v[101:102], 1.0
	v_fma_f64 v[101:102], v[101:102], v[105:106], v[101:102]
	v_fma_f64 v[105:106], -v[99:100], v[101:102], 1.0
	v_fma_f64 v[101:102], v[101:102], v[105:106], v[101:102]
	v_mul_f64 v[105:106], v[107:108], v[101:102]
	v_fma_f64 v[99:100], -v[99:100], v[105:106], v[107:108]
	v_div_fmas_f64 v[99:100], v[99:100], v[101:102], v[105:106]
	v_div_fixup_f64 v[101:102], v[99:100], v[97:98], 1.0
	v_mul_f64 v[103:104], v[103:104], -v[101:102]
.LBB103_70:
	s_or_b64 exec, exec, s[2:3]
	ds_write2_b64 v127, v[101:102], v[103:104] offset1:1
.LBB103_71:
	s_or_b64 exec, exec, s[4:5]
	s_waitcnt lgkmcnt(0)
	s_barrier
	ds_read2_b64 v[69:72], v127 offset1:1
	v_cmp_lt_u32_e32 vcc, 7, v0
	s_waitcnt lgkmcnt(0)
	buffer_store_dword v69, off, s[20:23], 0 offset:984 ; 4-byte Folded Spill
	s_nop 0
	buffer_store_dword v70, off, s[20:23], 0 offset:988 ; 4-byte Folded Spill
	buffer_store_dword v71, off, s[20:23], 0 offset:992 ; 4-byte Folded Spill
	buffer_store_dword v72, off, s[20:23], 0 offset:996 ; 4-byte Folded Spill
	s_and_saveexec_b64 s[2:3], vcc
	s_cbranch_execz .LBB103_73
; %bb.72:
	buffer_load_dword v103, off, s[20:23], 0 offset:336 ; 4-byte Folded Reload
	buffer_load_dword v104, off, s[20:23], 0 offset:340 ; 4-byte Folded Reload
	;; [unrolled: 1-line block ×8, first 2 shown]
	s_waitcnt vmcnt(2)
	v_mul_f64 v[99:100], v[69:70], v[105:106]
	s_waitcnt vmcnt(0)
	v_mul_f64 v[97:98], v[71:72], v[105:106]
	v_fma_f64 v[105:106], v[71:72], v[103:104], v[99:100]
	ds_read2_b64 v[99:102], v125 offset0:16 offset1:17
	v_fma_f64 v[97:98], v[69:70], v[103:104], -v[97:98]
	buffer_load_dword v69, off, s[20:23], 0 offset:320 ; 4-byte Folded Reload
	buffer_load_dword v70, off, s[20:23], 0 offset:324 ; 4-byte Folded Reload
	buffer_load_dword v71, off, s[20:23], 0 offset:328 ; 4-byte Folded Reload
	buffer_load_dword v72, off, s[20:23], 0 offset:332 ; 4-byte Folded Reload
	s_waitcnt lgkmcnt(0)
	v_mul_f64 v[103:104], v[101:102], v[105:106]
	v_fma_f64 v[103:104], v[99:100], v[97:98], -v[103:104]
	v_mul_f64 v[99:100], v[99:100], v[105:106]
	v_fma_f64 v[99:100], v[101:102], v[97:98], v[99:100]
	s_waitcnt vmcnt(2)
	v_add_f64 v[69:70], v[69:70], -v[103:104]
	s_waitcnt vmcnt(0)
	v_add_f64 v[71:72], v[71:72], -v[99:100]
	buffer_store_dword v69, off, s[20:23], 0 offset:320 ; 4-byte Folded Spill
	s_nop 0
	buffer_store_dword v70, off, s[20:23], 0 offset:324 ; 4-byte Folded Spill
	buffer_store_dword v71, off, s[20:23], 0 offset:328 ; 4-byte Folded Spill
	buffer_store_dword v72, off, s[20:23], 0 offset:332 ; 4-byte Folded Spill
	ds_read2_b64 v[99:102], v125 offset0:18 offset1:19
	buffer_load_dword v69, off, s[20:23], 0 offset:304 ; 4-byte Folded Reload
	buffer_load_dword v70, off, s[20:23], 0 offset:308 ; 4-byte Folded Reload
	buffer_load_dword v71, off, s[20:23], 0 offset:312 ; 4-byte Folded Reload
	buffer_load_dword v72, off, s[20:23], 0 offset:316 ; 4-byte Folded Reload
	s_waitcnt lgkmcnt(0)
	v_mul_f64 v[103:104], v[101:102], v[105:106]
	v_fma_f64 v[103:104], v[99:100], v[97:98], -v[103:104]
	v_mul_f64 v[99:100], v[99:100], v[105:106]
	v_fma_f64 v[99:100], v[101:102], v[97:98], v[99:100]
	s_waitcnt vmcnt(2)
	v_add_f64 v[69:70], v[69:70], -v[103:104]
	s_waitcnt vmcnt(0)
	v_add_f64 v[71:72], v[71:72], -v[99:100]
	buffer_store_dword v69, off, s[20:23], 0 offset:304 ; 4-byte Folded Spill
	s_nop 0
	buffer_store_dword v70, off, s[20:23], 0 offset:308 ; 4-byte Folded Spill
	buffer_store_dword v71, off, s[20:23], 0 offset:312 ; 4-byte Folded Spill
	buffer_store_dword v72, off, s[20:23], 0 offset:316 ; 4-byte Folded Spill
	ds_read2_b64 v[99:102], v125 offset0:20 offset1:21
	;; [unrolled: 19-line block ×18, first 2 shown]
	v_mov_b32_e32 v69, v73
	v_mov_b32_e32 v70, v74
	;; [unrolled: 1-line block ×4, first 2 shown]
	s_waitcnt lgkmcnt(0)
	v_mul_f64 v[103:104], v[101:102], v[105:106]
	v_fma_f64 v[103:104], v[99:100], v[97:98], -v[103:104]
	v_mul_f64 v[99:100], v[99:100], v[105:106]
	v_add_f64 v[121:122], v[121:122], -v[103:104]
	v_fma_f64 v[99:100], v[101:102], v[97:98], v[99:100]
	v_add_f64 v[123:124], v[123:124], -v[99:100]
	ds_read2_b64 v[99:102], v125 offset0:54 offset1:55
	s_waitcnt lgkmcnt(0)
	v_mul_f64 v[103:104], v[101:102], v[105:106]
	v_fma_f64 v[103:104], v[99:100], v[97:98], -v[103:104]
	v_mul_f64 v[99:100], v[99:100], v[105:106]
	v_add_f64 v[117:118], v[117:118], -v[103:104]
	v_fma_f64 v[99:100], v[101:102], v[97:98], v[99:100]
	v_add_f64 v[119:120], v[119:120], -v[99:100]
	ds_read2_b64 v[99:102], v125 offset0:56 offset1:57
	;; [unrolled: 8-line block ×5, first 2 shown]
	buffer_load_dword v77, off, s[20:23], 0 offset:32 ; 4-byte Folded Reload
	buffer_load_dword v78, off, s[20:23], 0 offset:36 ; 4-byte Folded Reload
	;; [unrolled: 1-line block ×4, first 2 shown]
	s_waitcnt lgkmcnt(0)
	v_mul_f64 v[103:104], v[101:102], v[105:106]
	v_fma_f64 v[103:104], v[99:100], v[97:98], -v[103:104]
	v_mul_f64 v[99:100], v[99:100], v[105:106]
	v_fma_f64 v[99:100], v[101:102], v[97:98], v[99:100]
	s_waitcnt vmcnt(2)
	v_add_f64 v[77:78], v[77:78], -v[103:104]
	s_waitcnt vmcnt(0)
	v_add_f64 v[79:80], v[79:80], -v[99:100]
	buffer_store_dword v77, off, s[20:23], 0 offset:32 ; 4-byte Folded Spill
	s_nop 0
	buffer_store_dword v78, off, s[20:23], 0 offset:36 ; 4-byte Folded Spill
	buffer_store_dword v79, off, s[20:23], 0 offset:40 ; 4-byte Folded Spill
	;; [unrolled: 1-line block ×3, first 2 shown]
	ds_read2_b64 v[99:102], v125 offset0:64 offset1:65
	buffer_load_dword v73, off, s[20:23], 0 offset:16 ; 4-byte Folded Reload
	buffer_load_dword v74, off, s[20:23], 0 offset:20 ; 4-byte Folded Reload
	;; [unrolled: 1-line block ×4, first 2 shown]
	s_waitcnt lgkmcnt(0)
	v_mul_f64 v[103:104], v[101:102], v[105:106]
	v_fma_f64 v[103:104], v[99:100], v[97:98], -v[103:104]
	v_mul_f64 v[99:100], v[99:100], v[105:106]
	v_fma_f64 v[99:100], v[101:102], v[97:98], v[99:100]
	s_waitcnt vmcnt(2)
	v_add_f64 v[73:74], v[73:74], -v[103:104]
	s_waitcnt vmcnt(0)
	v_add_f64 v[75:76], v[75:76], -v[99:100]
	buffer_store_dword v73, off, s[20:23], 0 offset:16 ; 4-byte Folded Spill
	s_nop 0
	buffer_store_dword v74, off, s[20:23], 0 offset:20 ; 4-byte Folded Spill
	buffer_store_dword v75, off, s[20:23], 0 offset:24 ; 4-byte Folded Spill
	;; [unrolled: 1-line block ×3, first 2 shown]
	v_mov_b32_e32 v76, v72
	v_mov_b32_e32 v75, v71
	;; [unrolled: 1-line block ×4, first 2 shown]
	ds_read2_b64 v[99:102], v125 offset0:66 offset1:67
	buffer_load_dword v69, off, s[20:23], 0 ; 4-byte Folded Reload
	buffer_load_dword v70, off, s[20:23], 0 offset:4 ; 4-byte Folded Reload
	buffer_load_dword v71, off, s[20:23], 0 offset:8 ; 4-byte Folded Reload
	;; [unrolled: 1-line block ×3, first 2 shown]
	s_waitcnt lgkmcnt(0)
	v_mul_f64 v[103:104], v[101:102], v[105:106]
	v_fma_f64 v[103:104], v[99:100], v[97:98], -v[103:104]
	v_mul_f64 v[99:100], v[99:100], v[105:106]
	v_fma_f64 v[99:100], v[101:102], v[97:98], v[99:100]
	s_waitcnt vmcnt(2)
	v_add_f64 v[69:70], v[69:70], -v[103:104]
	s_waitcnt vmcnt(0)
	v_add_f64 v[71:72], v[71:72], -v[99:100]
	buffer_store_dword v69, off, s[20:23], 0 ; 4-byte Folded Spill
	s_nop 0
	buffer_store_dword v70, off, s[20:23], 0 offset:4 ; 4-byte Folded Spill
	buffer_store_dword v71, off, s[20:23], 0 offset:8 ; 4-byte Folded Spill
	;; [unrolled: 1-line block ×3, first 2 shown]
	ds_read2_b64 v[99:102], v125 offset0:68 offset1:69
	s_waitcnt lgkmcnt(0)
	v_mul_f64 v[103:104], v[101:102], v[105:106]
	v_fma_f64 v[103:104], v[99:100], v[97:98], -v[103:104]
	v_mul_f64 v[99:100], v[99:100], v[105:106]
	v_add_f64 v[65:66], v[65:66], -v[103:104]
	v_fma_f64 v[99:100], v[101:102], v[97:98], v[99:100]
	v_add_f64 v[67:68], v[67:68], -v[99:100]
	ds_read2_b64 v[99:102], v125 offset0:70 offset1:71
	s_waitcnt lgkmcnt(0)
	v_mul_f64 v[103:104], v[101:102], v[105:106]
	v_fma_f64 v[103:104], v[99:100], v[97:98], -v[103:104]
	v_mul_f64 v[99:100], v[99:100], v[105:106]
	v_add_f64 v[61:62], v[61:62], -v[103:104]
	v_fma_f64 v[99:100], v[101:102], v[97:98], v[99:100]
	v_add_f64 v[63:64], v[63:64], -v[99:100]
	;; [unrolled: 8-line block ×16, first 2 shown]
	ds_read2_b64 v[99:102], v125 offset0:100 offset1:101
	s_waitcnt lgkmcnt(0)
	v_mul_f64 v[103:104], v[101:102], v[105:106]
	v_fma_f64 v[103:104], v[99:100], v[97:98], -v[103:104]
	v_mul_f64 v[99:100], v[99:100], v[105:106]
	v_add_f64 v[1:2], v[1:2], -v[103:104]
	v_fma_f64 v[99:100], v[101:102], v[97:98], v[99:100]
	ds_read2_b64 v[101:104], v125 offset0:102 offset1:103
	v_add_f64 v[3:4], v[3:4], -v[99:100]
	s_waitcnt lgkmcnt(0)
	v_mul_f64 v[99:100], v[103:104], v[105:106]
	v_fma_f64 v[99:100], v[101:102], v[97:98], -v[99:100]
	v_mul_f64 v[101:102], v[101:102], v[105:106]
	v_add_f64 v[73:74], v[73:74], -v[99:100]
	v_fma_f64 v[101:102], v[103:104], v[97:98], v[101:102]
	v_mov_b32_e32 v104, v98
	v_mov_b32_e32 v103, v97
	buffer_store_dword v103, off, s[20:23], 0 offset:336 ; 4-byte Folded Spill
	s_nop 0
	buffer_store_dword v104, off, s[20:23], 0 offset:340 ; 4-byte Folded Spill
	buffer_store_dword v105, off, s[20:23], 0 offset:344 ; 4-byte Folded Spill
	;; [unrolled: 1-line block ×3, first 2 shown]
	v_add_f64 v[75:76], v[75:76], -v[101:102]
.LBB103_73:
	s_or_b64 exec, exec, s[2:3]
	v_cmp_eq_u32_e32 vcc, 8, v0
	s_waitcnt vmcnt(0)
	s_barrier
	s_and_saveexec_b64 s[4:5], vcc
	s_cbranch_execz .LBB103_80
; %bb.74:
	buffer_load_dword v69, off, s[20:23], 0 offset:320 ; 4-byte Folded Reload
	buffer_load_dword v70, off, s[20:23], 0 offset:324 ; 4-byte Folded Reload
	;; [unrolled: 1-line block ×4, first 2 shown]
	s_waitcnt vmcnt(0)
	ds_write2_b64 v127, v[69:70], v[71:72] offset1:1
	buffer_load_dword v69, off, s[20:23], 0 offset:304 ; 4-byte Folded Reload
	buffer_load_dword v70, off, s[20:23], 0 offset:308 ; 4-byte Folded Reload
	buffer_load_dword v71, off, s[20:23], 0 offset:312 ; 4-byte Folded Reload
	buffer_load_dword v72, off, s[20:23], 0 offset:316 ; 4-byte Folded Reload
	s_waitcnt vmcnt(0)
	ds_write2_b64 v125, v[69:70], v[71:72] offset0:18 offset1:19
	buffer_load_dword v69, off, s[20:23], 0 offset:288 ; 4-byte Folded Reload
	buffer_load_dword v70, off, s[20:23], 0 offset:292 ; 4-byte Folded Reload
	buffer_load_dword v71, off, s[20:23], 0 offset:296 ; 4-byte Folded Reload
	buffer_load_dword v72, off, s[20:23], 0 offset:300 ; 4-byte Folded Reload
	s_waitcnt vmcnt(0)
	ds_write2_b64 v125, v[69:70], v[71:72] offset0:20 offset1:21
	buffer_load_dword v69, off, s[20:23], 0 offset:272 ; 4-byte Folded Reload
	buffer_load_dword v70, off, s[20:23], 0 offset:276 ; 4-byte Folded Reload
	buffer_load_dword v71, off, s[20:23], 0 offset:280 ; 4-byte Folded Reload
	buffer_load_dword v72, off, s[20:23], 0 offset:284 ; 4-byte Folded Reload
	s_waitcnt vmcnt(0)
	ds_write2_b64 v125, v[69:70], v[71:72] offset0:22 offset1:23
	buffer_load_dword v69, off, s[20:23], 0 offset:256 ; 4-byte Folded Reload
	buffer_load_dword v70, off, s[20:23], 0 offset:260 ; 4-byte Folded Reload
	buffer_load_dword v71, off, s[20:23], 0 offset:264 ; 4-byte Folded Reload
	buffer_load_dword v72, off, s[20:23], 0 offset:268 ; 4-byte Folded Reload
	s_waitcnt vmcnt(0)
	ds_write2_b64 v125, v[69:70], v[71:72] offset0:24 offset1:25
	buffer_load_dword v69, off, s[20:23], 0 offset:240 ; 4-byte Folded Reload
	buffer_load_dword v70, off, s[20:23], 0 offset:244 ; 4-byte Folded Reload
	buffer_load_dword v71, off, s[20:23], 0 offset:248 ; 4-byte Folded Reload
	buffer_load_dword v72, off, s[20:23], 0 offset:252 ; 4-byte Folded Reload
	s_waitcnt vmcnt(0)
	ds_write2_b64 v125, v[69:70], v[71:72] offset0:26 offset1:27
	buffer_load_dword v69, off, s[20:23], 0 offset:224 ; 4-byte Folded Reload
	buffer_load_dword v70, off, s[20:23], 0 offset:228 ; 4-byte Folded Reload
	buffer_load_dword v71, off, s[20:23], 0 offset:232 ; 4-byte Folded Reload
	buffer_load_dword v72, off, s[20:23], 0 offset:236 ; 4-byte Folded Reload
	s_waitcnt vmcnt(0)
	ds_write2_b64 v125, v[69:70], v[71:72] offset0:28 offset1:29
	buffer_load_dword v69, off, s[20:23], 0 offset:208 ; 4-byte Folded Reload
	buffer_load_dword v70, off, s[20:23], 0 offset:212 ; 4-byte Folded Reload
	buffer_load_dword v71, off, s[20:23], 0 offset:216 ; 4-byte Folded Reload
	buffer_load_dword v72, off, s[20:23], 0 offset:220 ; 4-byte Folded Reload
	s_waitcnt vmcnt(0)
	ds_write2_b64 v125, v[69:70], v[71:72] offset0:30 offset1:31
	buffer_load_dword v69, off, s[20:23], 0 offset:192 ; 4-byte Folded Reload
	buffer_load_dword v70, off, s[20:23], 0 offset:196 ; 4-byte Folded Reload
	buffer_load_dword v71, off, s[20:23], 0 offset:200 ; 4-byte Folded Reload
	buffer_load_dword v72, off, s[20:23], 0 offset:204 ; 4-byte Folded Reload
	s_waitcnt vmcnt(0)
	ds_write2_b64 v125, v[69:70], v[71:72] offset0:32 offset1:33
	buffer_load_dword v69, off, s[20:23], 0 offset:176 ; 4-byte Folded Reload
	buffer_load_dword v70, off, s[20:23], 0 offset:180 ; 4-byte Folded Reload
	buffer_load_dword v71, off, s[20:23], 0 offset:184 ; 4-byte Folded Reload
	buffer_load_dword v72, off, s[20:23], 0 offset:188 ; 4-byte Folded Reload
	s_waitcnt vmcnt(0)
	ds_write2_b64 v125, v[69:70], v[71:72] offset0:34 offset1:35
	buffer_load_dword v69, off, s[20:23], 0 offset:160 ; 4-byte Folded Reload
	buffer_load_dword v70, off, s[20:23], 0 offset:164 ; 4-byte Folded Reload
	buffer_load_dword v71, off, s[20:23], 0 offset:168 ; 4-byte Folded Reload
	buffer_load_dword v72, off, s[20:23], 0 offset:172 ; 4-byte Folded Reload
	s_waitcnt vmcnt(0)
	ds_write2_b64 v125, v[69:70], v[71:72] offset0:36 offset1:37
	buffer_load_dword v69, off, s[20:23], 0 offset:144 ; 4-byte Folded Reload
	buffer_load_dword v70, off, s[20:23], 0 offset:148 ; 4-byte Folded Reload
	buffer_load_dword v71, off, s[20:23], 0 offset:152 ; 4-byte Folded Reload
	buffer_load_dword v72, off, s[20:23], 0 offset:156 ; 4-byte Folded Reload
	s_waitcnt vmcnt(0)
	ds_write2_b64 v125, v[69:70], v[71:72] offset0:38 offset1:39
	buffer_load_dword v69, off, s[20:23], 0 offset:128 ; 4-byte Folded Reload
	buffer_load_dword v70, off, s[20:23], 0 offset:132 ; 4-byte Folded Reload
	buffer_load_dword v71, off, s[20:23], 0 offset:136 ; 4-byte Folded Reload
	buffer_load_dword v72, off, s[20:23], 0 offset:140 ; 4-byte Folded Reload
	s_waitcnt vmcnt(0)
	ds_write2_b64 v125, v[69:70], v[71:72] offset0:40 offset1:41
	buffer_load_dword v69, off, s[20:23], 0 offset:112 ; 4-byte Folded Reload
	buffer_load_dword v70, off, s[20:23], 0 offset:116 ; 4-byte Folded Reload
	buffer_load_dword v71, off, s[20:23], 0 offset:120 ; 4-byte Folded Reload
	buffer_load_dword v72, off, s[20:23], 0 offset:124 ; 4-byte Folded Reload
	s_waitcnt vmcnt(0)
	ds_write2_b64 v125, v[69:70], v[71:72] offset0:42 offset1:43
	buffer_load_dword v69, off, s[20:23], 0 offset:96 ; 4-byte Folded Reload
	buffer_load_dword v70, off, s[20:23], 0 offset:100 ; 4-byte Folded Reload
	buffer_load_dword v71, off, s[20:23], 0 offset:104 ; 4-byte Folded Reload
	buffer_load_dword v72, off, s[20:23], 0 offset:108 ; 4-byte Folded Reload
	s_waitcnt vmcnt(0)
	ds_write2_b64 v125, v[69:70], v[71:72] offset0:44 offset1:45
	buffer_load_dword v69, off, s[20:23], 0 offset:80 ; 4-byte Folded Reload
	buffer_load_dword v70, off, s[20:23], 0 offset:84 ; 4-byte Folded Reload
	buffer_load_dword v71, off, s[20:23], 0 offset:88 ; 4-byte Folded Reload
	buffer_load_dword v72, off, s[20:23], 0 offset:92 ; 4-byte Folded Reload
	s_waitcnt vmcnt(0)
	ds_write2_b64 v125, v[69:70], v[71:72] offset0:46 offset1:47
	buffer_load_dword v69, off, s[20:23], 0 offset:64 ; 4-byte Folded Reload
	buffer_load_dword v70, off, s[20:23], 0 offset:68 ; 4-byte Folded Reload
	buffer_load_dword v71, off, s[20:23], 0 offset:72 ; 4-byte Folded Reload
	buffer_load_dword v72, off, s[20:23], 0 offset:76 ; 4-byte Folded Reload
	s_waitcnt vmcnt(0)
	ds_write2_b64 v125, v[69:70], v[71:72] offset0:48 offset1:49
	buffer_load_dword v69, off, s[20:23], 0 offset:48 ; 4-byte Folded Reload
	buffer_load_dword v70, off, s[20:23], 0 offset:52 ; 4-byte Folded Reload
	buffer_load_dword v71, off, s[20:23], 0 offset:56 ; 4-byte Folded Reload
	buffer_load_dword v72, off, s[20:23], 0 offset:60 ; 4-byte Folded Reload
	s_waitcnt vmcnt(0)
	ds_write2_b64 v125, v[69:70], v[71:72] offset0:50 offset1:51
	ds_write2_b64 v125, v[121:122], v[123:124] offset0:52 offset1:53
	ds_write2_b64 v125, v[117:118], v[119:120] offset0:54 offset1:55
	;; [unrolled: 1-line block ×5, first 2 shown]
	buffer_load_dword v77, off, s[20:23], 0 offset:32 ; 4-byte Folded Reload
	buffer_load_dword v78, off, s[20:23], 0 offset:36 ; 4-byte Folded Reload
	;; [unrolled: 1-line block ×4, first 2 shown]
	v_mov_b32_e32 v69, v73
	v_mov_b32_e32 v70, v74
	;; [unrolled: 1-line block ×4, first 2 shown]
	s_waitcnt vmcnt(0)
	ds_write2_b64 v125, v[77:78], v[79:80] offset0:62 offset1:63
	buffer_load_dword v73, off, s[20:23], 0 offset:16 ; 4-byte Folded Reload
	buffer_load_dword v74, off, s[20:23], 0 offset:20 ; 4-byte Folded Reload
	buffer_load_dword v75, off, s[20:23], 0 offset:24 ; 4-byte Folded Reload
	buffer_load_dword v76, off, s[20:23], 0 offset:28 ; 4-byte Folded Reload
	s_waitcnt vmcnt(0)
	ds_write2_b64 v125, v[73:74], v[75:76] offset0:64 offset1:65
	v_mov_b32_e32 v76, v72
	v_mov_b32_e32 v75, v71
	;; [unrolled: 1-line block ×4, first 2 shown]
	buffer_load_dword v69, off, s[20:23], 0 ; 4-byte Folded Reload
	buffer_load_dword v70, off, s[20:23], 0 offset:4 ; 4-byte Folded Reload
	buffer_load_dword v71, off, s[20:23], 0 offset:8 ; 4-byte Folded Reload
	buffer_load_dword v72, off, s[20:23], 0 offset:12 ; 4-byte Folded Reload
	s_waitcnt vmcnt(0)
	ds_write2_b64 v125, v[69:70], v[71:72] offset0:66 offset1:67
	ds_write2_b64 v125, v[65:66], v[67:68] offset0:68 offset1:69
	;; [unrolled: 1-line block ×19, first 2 shown]
	ds_read2_b64 v[97:100], v127 offset1:1
	s_waitcnt lgkmcnt(0)
	v_cmp_neq_f64_e32 vcc, 0, v[97:98]
	v_cmp_neq_f64_e64 s[2:3], 0, v[99:100]
	s_or_b64 s[2:3], vcc, s[2:3]
	s_and_b64 exec, exec, s[2:3]
	s_cbranch_execz .LBB103_80
; %bb.75:
	v_cmp_ngt_f64_e64 s[2:3], |v[97:98]|, |v[99:100]|
                                        ; implicit-def: $vgpr101_vgpr102
	s_and_saveexec_b64 s[6:7], s[2:3]
	s_xor_b64 s[2:3], exec, s[6:7]
                                        ; implicit-def: $vgpr103_vgpr104
	s_cbranch_execz .LBB103_77
; %bb.76:
	v_div_scale_f64 v[101:102], s[6:7], v[99:100], v[99:100], v[97:98]
	v_rcp_f64_e32 v[103:104], v[101:102]
	v_fma_f64 v[105:106], -v[101:102], v[103:104], 1.0
	v_fma_f64 v[103:104], v[103:104], v[105:106], v[103:104]
	v_div_scale_f64 v[105:106], vcc, v[97:98], v[99:100], v[97:98]
	v_fma_f64 v[107:108], -v[101:102], v[103:104], 1.0
	v_fma_f64 v[103:104], v[103:104], v[107:108], v[103:104]
	v_mul_f64 v[107:108], v[105:106], v[103:104]
	v_fma_f64 v[101:102], -v[101:102], v[107:108], v[105:106]
	v_div_fmas_f64 v[101:102], v[101:102], v[103:104], v[107:108]
	v_div_fixup_f64 v[101:102], v[101:102], v[99:100], v[97:98]
	v_fma_f64 v[97:98], v[97:98], v[101:102], v[99:100]
	v_div_scale_f64 v[99:100], s[6:7], v[97:98], v[97:98], 1.0
	v_div_scale_f64 v[107:108], vcc, 1.0, v[97:98], 1.0
	v_rcp_f64_e32 v[103:104], v[99:100]
	v_fma_f64 v[105:106], -v[99:100], v[103:104], 1.0
	v_fma_f64 v[103:104], v[103:104], v[105:106], v[103:104]
	v_fma_f64 v[105:106], -v[99:100], v[103:104], 1.0
	v_fma_f64 v[103:104], v[103:104], v[105:106], v[103:104]
	v_mul_f64 v[105:106], v[107:108], v[103:104]
	v_fma_f64 v[99:100], -v[99:100], v[105:106], v[107:108]
	v_div_fmas_f64 v[99:100], v[99:100], v[103:104], v[105:106]
	v_div_fixup_f64 v[103:104], v[99:100], v[97:98], 1.0
                                        ; implicit-def: $vgpr97_vgpr98
	v_mul_f64 v[101:102], v[101:102], v[103:104]
	v_xor_b32_e32 v104, 0x80000000, v104
.LBB103_77:
	s_andn2_saveexec_b64 s[2:3], s[2:3]
	s_cbranch_execz .LBB103_79
; %bb.78:
	v_div_scale_f64 v[101:102], s[6:7], v[97:98], v[97:98], v[99:100]
	v_rcp_f64_e32 v[103:104], v[101:102]
	v_fma_f64 v[105:106], -v[101:102], v[103:104], 1.0
	v_fma_f64 v[103:104], v[103:104], v[105:106], v[103:104]
	v_div_scale_f64 v[105:106], vcc, v[99:100], v[97:98], v[99:100]
	v_fma_f64 v[107:108], -v[101:102], v[103:104], 1.0
	v_fma_f64 v[103:104], v[103:104], v[107:108], v[103:104]
	v_mul_f64 v[107:108], v[105:106], v[103:104]
	v_fma_f64 v[101:102], -v[101:102], v[107:108], v[105:106]
	v_div_fmas_f64 v[101:102], v[101:102], v[103:104], v[107:108]
	v_div_fixup_f64 v[103:104], v[101:102], v[97:98], v[99:100]
	v_fma_f64 v[97:98], v[99:100], v[103:104], v[97:98]
	v_div_scale_f64 v[99:100], s[6:7], v[97:98], v[97:98], 1.0
	v_div_scale_f64 v[107:108], vcc, 1.0, v[97:98], 1.0
	v_rcp_f64_e32 v[101:102], v[99:100]
	v_fma_f64 v[105:106], -v[99:100], v[101:102], 1.0
	v_fma_f64 v[101:102], v[101:102], v[105:106], v[101:102]
	v_fma_f64 v[105:106], -v[99:100], v[101:102], 1.0
	v_fma_f64 v[101:102], v[101:102], v[105:106], v[101:102]
	v_mul_f64 v[105:106], v[107:108], v[101:102]
	v_fma_f64 v[99:100], -v[99:100], v[105:106], v[107:108]
	v_div_fmas_f64 v[99:100], v[99:100], v[101:102], v[105:106]
	v_div_fixup_f64 v[101:102], v[99:100], v[97:98], 1.0
	v_mul_f64 v[103:104], v[103:104], -v[101:102]
.LBB103_79:
	s_or_b64 exec, exec, s[2:3]
	ds_write2_b64 v127, v[101:102], v[103:104] offset1:1
.LBB103_80:
	s_or_b64 exec, exec, s[4:5]
	s_waitcnt lgkmcnt(0)
	s_barrier
	ds_read2_b64 v[69:72], v127 offset1:1
	v_cmp_lt_u32_e32 vcc, 8, v0
	s_waitcnt lgkmcnt(0)
	buffer_store_dword v69, off, s[20:23], 0 offset:1000 ; 4-byte Folded Spill
	s_nop 0
	buffer_store_dword v70, off, s[20:23], 0 offset:1004 ; 4-byte Folded Spill
	buffer_store_dword v71, off, s[20:23], 0 offset:1008 ; 4-byte Folded Spill
	;; [unrolled: 1-line block ×3, first 2 shown]
	s_and_saveexec_b64 s[2:3], vcc
	s_cbranch_execz .LBB103_82
; %bb.81:
	buffer_load_dword v103, off, s[20:23], 0 offset:320 ; 4-byte Folded Reload
	buffer_load_dword v104, off, s[20:23], 0 offset:324 ; 4-byte Folded Reload
	;; [unrolled: 1-line block ×8, first 2 shown]
	s_waitcnt vmcnt(2)
	v_mul_f64 v[99:100], v[69:70], v[105:106]
	s_waitcnt vmcnt(0)
	v_mul_f64 v[97:98], v[71:72], v[105:106]
	v_fma_f64 v[105:106], v[71:72], v[103:104], v[99:100]
	ds_read2_b64 v[99:102], v125 offset0:18 offset1:19
	v_fma_f64 v[97:98], v[69:70], v[103:104], -v[97:98]
	buffer_load_dword v69, off, s[20:23], 0 offset:304 ; 4-byte Folded Reload
	buffer_load_dword v70, off, s[20:23], 0 offset:308 ; 4-byte Folded Reload
	buffer_load_dword v71, off, s[20:23], 0 offset:312 ; 4-byte Folded Reload
	buffer_load_dword v72, off, s[20:23], 0 offset:316 ; 4-byte Folded Reload
	s_waitcnt lgkmcnt(0)
	v_mul_f64 v[103:104], v[101:102], v[105:106]
	v_fma_f64 v[103:104], v[99:100], v[97:98], -v[103:104]
	v_mul_f64 v[99:100], v[99:100], v[105:106]
	v_fma_f64 v[99:100], v[101:102], v[97:98], v[99:100]
	s_waitcnt vmcnt(2)
	v_add_f64 v[69:70], v[69:70], -v[103:104]
	s_waitcnt vmcnt(0)
	v_add_f64 v[71:72], v[71:72], -v[99:100]
	buffer_store_dword v69, off, s[20:23], 0 offset:304 ; 4-byte Folded Spill
	s_nop 0
	buffer_store_dword v70, off, s[20:23], 0 offset:308 ; 4-byte Folded Spill
	buffer_store_dword v71, off, s[20:23], 0 offset:312 ; 4-byte Folded Spill
	buffer_store_dword v72, off, s[20:23], 0 offset:316 ; 4-byte Folded Spill
	ds_read2_b64 v[99:102], v125 offset0:20 offset1:21
	buffer_load_dword v69, off, s[20:23], 0 offset:288 ; 4-byte Folded Reload
	buffer_load_dword v70, off, s[20:23], 0 offset:292 ; 4-byte Folded Reload
	buffer_load_dword v71, off, s[20:23], 0 offset:296 ; 4-byte Folded Reload
	buffer_load_dword v72, off, s[20:23], 0 offset:300 ; 4-byte Folded Reload
	s_waitcnt lgkmcnt(0)
	v_mul_f64 v[103:104], v[101:102], v[105:106]
	v_fma_f64 v[103:104], v[99:100], v[97:98], -v[103:104]
	v_mul_f64 v[99:100], v[99:100], v[105:106]
	v_fma_f64 v[99:100], v[101:102], v[97:98], v[99:100]
	s_waitcnt vmcnt(2)
	v_add_f64 v[69:70], v[69:70], -v[103:104]
	s_waitcnt vmcnt(0)
	v_add_f64 v[71:72], v[71:72], -v[99:100]
	buffer_store_dword v69, off, s[20:23], 0 offset:288 ; 4-byte Folded Spill
	s_nop 0
	buffer_store_dword v70, off, s[20:23], 0 offset:292 ; 4-byte Folded Spill
	buffer_store_dword v71, off, s[20:23], 0 offset:296 ; 4-byte Folded Spill
	buffer_store_dword v72, off, s[20:23], 0 offset:300 ; 4-byte Folded Spill
	ds_read2_b64 v[99:102], v125 offset0:22 offset1:23
	;; [unrolled: 19-line block ×17, first 2 shown]
	v_mov_b32_e32 v69, v73
	v_mov_b32_e32 v70, v74
	;; [unrolled: 1-line block ×4, first 2 shown]
	s_waitcnt lgkmcnt(0)
	v_mul_f64 v[103:104], v[101:102], v[105:106]
	v_fma_f64 v[103:104], v[99:100], v[97:98], -v[103:104]
	v_mul_f64 v[99:100], v[99:100], v[105:106]
	v_add_f64 v[121:122], v[121:122], -v[103:104]
	v_fma_f64 v[99:100], v[101:102], v[97:98], v[99:100]
	v_add_f64 v[123:124], v[123:124], -v[99:100]
	ds_read2_b64 v[99:102], v125 offset0:54 offset1:55
	s_waitcnt lgkmcnt(0)
	v_mul_f64 v[103:104], v[101:102], v[105:106]
	v_fma_f64 v[103:104], v[99:100], v[97:98], -v[103:104]
	v_mul_f64 v[99:100], v[99:100], v[105:106]
	v_add_f64 v[117:118], v[117:118], -v[103:104]
	v_fma_f64 v[99:100], v[101:102], v[97:98], v[99:100]
	v_add_f64 v[119:120], v[119:120], -v[99:100]
	ds_read2_b64 v[99:102], v125 offset0:56 offset1:57
	s_waitcnt lgkmcnt(0)
	v_mul_f64 v[103:104], v[101:102], v[105:106]
	v_fma_f64 v[103:104], v[99:100], v[97:98], -v[103:104]
	v_mul_f64 v[99:100], v[99:100], v[105:106]
	v_add_f64 v[109:110], v[109:110], -v[103:104]
	v_fma_f64 v[99:100], v[101:102], v[97:98], v[99:100]
	v_add_f64 v[111:112], v[111:112], -v[99:100]
	ds_read2_b64 v[99:102], v125 offset0:58 offset1:59
	s_waitcnt lgkmcnt(0)
	v_mul_f64 v[103:104], v[101:102], v[105:106]
	v_fma_f64 v[103:104], v[99:100], v[97:98], -v[103:104]
	v_mul_f64 v[99:100], v[99:100], v[105:106]
	v_add_f64 v[113:114], v[113:114], -v[103:104]
	v_fma_f64 v[99:100], v[101:102], v[97:98], v[99:100]
	v_add_f64 v[115:116], v[115:116], -v[99:100]
	ds_read2_b64 v[99:102], v125 offset0:60 offset1:61
	s_waitcnt lgkmcnt(0)
	v_mul_f64 v[103:104], v[101:102], v[105:106]
	v_fma_f64 v[103:104], v[99:100], v[97:98], -v[103:104]
	v_mul_f64 v[99:100], v[99:100], v[105:106]
	v_add_f64 v[93:94], v[93:94], -v[103:104]
	v_fma_f64 v[99:100], v[101:102], v[97:98], v[99:100]
	v_add_f64 v[95:96], v[95:96], -v[99:100]
	ds_read2_b64 v[99:102], v125 offset0:62 offset1:63
	buffer_load_dword v77, off, s[20:23], 0 offset:32 ; 4-byte Folded Reload
	buffer_load_dword v78, off, s[20:23], 0 offset:36 ; 4-byte Folded Reload
	buffer_load_dword v79, off, s[20:23], 0 offset:40 ; 4-byte Folded Reload
	buffer_load_dword v80, off, s[20:23], 0 offset:44 ; 4-byte Folded Reload
	s_waitcnt lgkmcnt(0)
	v_mul_f64 v[103:104], v[101:102], v[105:106]
	v_fma_f64 v[103:104], v[99:100], v[97:98], -v[103:104]
	v_mul_f64 v[99:100], v[99:100], v[105:106]
	v_fma_f64 v[99:100], v[101:102], v[97:98], v[99:100]
	s_waitcnt vmcnt(2)
	v_add_f64 v[77:78], v[77:78], -v[103:104]
	s_waitcnt vmcnt(0)
	v_add_f64 v[79:80], v[79:80], -v[99:100]
	buffer_store_dword v77, off, s[20:23], 0 offset:32 ; 4-byte Folded Spill
	s_nop 0
	buffer_store_dword v78, off, s[20:23], 0 offset:36 ; 4-byte Folded Spill
	buffer_store_dword v79, off, s[20:23], 0 offset:40 ; 4-byte Folded Spill
	;; [unrolled: 1-line block ×3, first 2 shown]
	ds_read2_b64 v[99:102], v125 offset0:64 offset1:65
	buffer_load_dword v73, off, s[20:23], 0 offset:16 ; 4-byte Folded Reload
	buffer_load_dword v74, off, s[20:23], 0 offset:20 ; 4-byte Folded Reload
	;; [unrolled: 1-line block ×4, first 2 shown]
	s_waitcnt lgkmcnt(0)
	v_mul_f64 v[103:104], v[101:102], v[105:106]
	v_fma_f64 v[103:104], v[99:100], v[97:98], -v[103:104]
	v_mul_f64 v[99:100], v[99:100], v[105:106]
	v_fma_f64 v[99:100], v[101:102], v[97:98], v[99:100]
	s_waitcnt vmcnt(2)
	v_add_f64 v[73:74], v[73:74], -v[103:104]
	s_waitcnt vmcnt(0)
	v_add_f64 v[75:76], v[75:76], -v[99:100]
	buffer_store_dword v73, off, s[20:23], 0 offset:16 ; 4-byte Folded Spill
	s_nop 0
	buffer_store_dword v74, off, s[20:23], 0 offset:20 ; 4-byte Folded Spill
	buffer_store_dword v75, off, s[20:23], 0 offset:24 ; 4-byte Folded Spill
	;; [unrolled: 1-line block ×3, first 2 shown]
	v_mov_b32_e32 v76, v72
	v_mov_b32_e32 v75, v71
	;; [unrolled: 1-line block ×4, first 2 shown]
	ds_read2_b64 v[99:102], v125 offset0:66 offset1:67
	buffer_load_dword v69, off, s[20:23], 0 ; 4-byte Folded Reload
	buffer_load_dword v70, off, s[20:23], 0 offset:4 ; 4-byte Folded Reload
	buffer_load_dword v71, off, s[20:23], 0 offset:8 ; 4-byte Folded Reload
	;; [unrolled: 1-line block ×3, first 2 shown]
	s_waitcnt lgkmcnt(0)
	v_mul_f64 v[103:104], v[101:102], v[105:106]
	v_fma_f64 v[103:104], v[99:100], v[97:98], -v[103:104]
	v_mul_f64 v[99:100], v[99:100], v[105:106]
	v_fma_f64 v[99:100], v[101:102], v[97:98], v[99:100]
	s_waitcnt vmcnt(2)
	v_add_f64 v[69:70], v[69:70], -v[103:104]
	s_waitcnt vmcnt(0)
	v_add_f64 v[71:72], v[71:72], -v[99:100]
	buffer_store_dword v69, off, s[20:23], 0 ; 4-byte Folded Spill
	s_nop 0
	buffer_store_dword v70, off, s[20:23], 0 offset:4 ; 4-byte Folded Spill
	buffer_store_dword v71, off, s[20:23], 0 offset:8 ; 4-byte Folded Spill
	;; [unrolled: 1-line block ×3, first 2 shown]
	ds_read2_b64 v[99:102], v125 offset0:68 offset1:69
	s_waitcnt lgkmcnt(0)
	v_mul_f64 v[103:104], v[101:102], v[105:106]
	v_fma_f64 v[103:104], v[99:100], v[97:98], -v[103:104]
	v_mul_f64 v[99:100], v[99:100], v[105:106]
	v_add_f64 v[65:66], v[65:66], -v[103:104]
	v_fma_f64 v[99:100], v[101:102], v[97:98], v[99:100]
	v_add_f64 v[67:68], v[67:68], -v[99:100]
	ds_read2_b64 v[99:102], v125 offset0:70 offset1:71
	s_waitcnt lgkmcnt(0)
	v_mul_f64 v[103:104], v[101:102], v[105:106]
	v_fma_f64 v[103:104], v[99:100], v[97:98], -v[103:104]
	v_mul_f64 v[99:100], v[99:100], v[105:106]
	v_add_f64 v[61:62], v[61:62], -v[103:104]
	v_fma_f64 v[99:100], v[101:102], v[97:98], v[99:100]
	v_add_f64 v[63:64], v[63:64], -v[99:100]
	;; [unrolled: 8-line block ×16, first 2 shown]
	ds_read2_b64 v[99:102], v125 offset0:100 offset1:101
	s_waitcnt lgkmcnt(0)
	v_mul_f64 v[103:104], v[101:102], v[105:106]
	v_fma_f64 v[103:104], v[99:100], v[97:98], -v[103:104]
	v_mul_f64 v[99:100], v[99:100], v[105:106]
	v_add_f64 v[1:2], v[1:2], -v[103:104]
	v_fma_f64 v[99:100], v[101:102], v[97:98], v[99:100]
	ds_read2_b64 v[101:104], v125 offset0:102 offset1:103
	v_add_f64 v[3:4], v[3:4], -v[99:100]
	s_waitcnt lgkmcnt(0)
	v_mul_f64 v[99:100], v[103:104], v[105:106]
	v_fma_f64 v[99:100], v[101:102], v[97:98], -v[99:100]
	v_mul_f64 v[101:102], v[101:102], v[105:106]
	v_add_f64 v[73:74], v[73:74], -v[99:100]
	v_fma_f64 v[101:102], v[103:104], v[97:98], v[101:102]
	v_mov_b32_e32 v104, v98
	v_mov_b32_e32 v103, v97
	buffer_store_dword v103, off, s[20:23], 0 offset:320 ; 4-byte Folded Spill
	s_nop 0
	buffer_store_dword v104, off, s[20:23], 0 offset:324 ; 4-byte Folded Spill
	buffer_store_dword v105, off, s[20:23], 0 offset:328 ; 4-byte Folded Spill
	;; [unrolled: 1-line block ×3, first 2 shown]
	v_add_f64 v[75:76], v[75:76], -v[101:102]
.LBB103_82:
	s_or_b64 exec, exec, s[2:3]
	v_cmp_eq_u32_e32 vcc, 9, v0
	s_waitcnt vmcnt(0)
	s_barrier
	s_and_saveexec_b64 s[4:5], vcc
	s_cbranch_execz .LBB103_89
; %bb.83:
	buffer_load_dword v69, off, s[20:23], 0 offset:304 ; 4-byte Folded Reload
	buffer_load_dword v70, off, s[20:23], 0 offset:308 ; 4-byte Folded Reload
	;; [unrolled: 1-line block ×4, first 2 shown]
	s_waitcnt vmcnt(0)
	ds_write2_b64 v127, v[69:70], v[71:72] offset1:1
	buffer_load_dword v69, off, s[20:23], 0 offset:288 ; 4-byte Folded Reload
	buffer_load_dword v70, off, s[20:23], 0 offset:292 ; 4-byte Folded Reload
	buffer_load_dword v71, off, s[20:23], 0 offset:296 ; 4-byte Folded Reload
	buffer_load_dword v72, off, s[20:23], 0 offset:300 ; 4-byte Folded Reload
	s_waitcnt vmcnt(0)
	ds_write2_b64 v125, v[69:70], v[71:72] offset0:20 offset1:21
	buffer_load_dword v69, off, s[20:23], 0 offset:272 ; 4-byte Folded Reload
	buffer_load_dword v70, off, s[20:23], 0 offset:276 ; 4-byte Folded Reload
	buffer_load_dword v71, off, s[20:23], 0 offset:280 ; 4-byte Folded Reload
	buffer_load_dword v72, off, s[20:23], 0 offset:284 ; 4-byte Folded Reload
	s_waitcnt vmcnt(0)
	ds_write2_b64 v125, v[69:70], v[71:72] offset0:22 offset1:23
	;; [unrolled: 6-line block ×16, first 2 shown]
	ds_write2_b64 v125, v[121:122], v[123:124] offset0:52 offset1:53
	ds_write2_b64 v125, v[117:118], v[119:120] offset0:54 offset1:55
	;; [unrolled: 1-line block ×5, first 2 shown]
	buffer_load_dword v77, off, s[20:23], 0 offset:32 ; 4-byte Folded Reload
	buffer_load_dword v78, off, s[20:23], 0 offset:36 ; 4-byte Folded Reload
	;; [unrolled: 1-line block ×4, first 2 shown]
	v_mov_b32_e32 v69, v73
	v_mov_b32_e32 v70, v74
	v_mov_b32_e32 v71, v75
	v_mov_b32_e32 v72, v76
	s_waitcnt vmcnt(0)
	ds_write2_b64 v125, v[77:78], v[79:80] offset0:62 offset1:63
	buffer_load_dword v73, off, s[20:23], 0 offset:16 ; 4-byte Folded Reload
	buffer_load_dword v74, off, s[20:23], 0 offset:20 ; 4-byte Folded Reload
	;; [unrolled: 1-line block ×4, first 2 shown]
	s_waitcnt vmcnt(0)
	ds_write2_b64 v125, v[73:74], v[75:76] offset0:64 offset1:65
	v_mov_b32_e32 v76, v72
	v_mov_b32_e32 v75, v71
	;; [unrolled: 1-line block ×4, first 2 shown]
	buffer_load_dword v69, off, s[20:23], 0 ; 4-byte Folded Reload
	buffer_load_dword v70, off, s[20:23], 0 offset:4 ; 4-byte Folded Reload
	buffer_load_dword v71, off, s[20:23], 0 offset:8 ; 4-byte Folded Reload
	;; [unrolled: 1-line block ×3, first 2 shown]
	s_waitcnt vmcnt(0)
	ds_write2_b64 v125, v[69:70], v[71:72] offset0:66 offset1:67
	ds_write2_b64 v125, v[65:66], v[67:68] offset0:68 offset1:69
	;; [unrolled: 1-line block ×19, first 2 shown]
	ds_read2_b64 v[97:100], v127 offset1:1
	s_waitcnt lgkmcnt(0)
	v_cmp_neq_f64_e32 vcc, 0, v[97:98]
	v_cmp_neq_f64_e64 s[2:3], 0, v[99:100]
	s_or_b64 s[2:3], vcc, s[2:3]
	s_and_b64 exec, exec, s[2:3]
	s_cbranch_execz .LBB103_89
; %bb.84:
	v_cmp_ngt_f64_e64 s[2:3], |v[97:98]|, |v[99:100]|
                                        ; implicit-def: $vgpr101_vgpr102
	s_and_saveexec_b64 s[6:7], s[2:3]
	s_xor_b64 s[2:3], exec, s[6:7]
                                        ; implicit-def: $vgpr103_vgpr104
	s_cbranch_execz .LBB103_86
; %bb.85:
	v_div_scale_f64 v[101:102], s[6:7], v[99:100], v[99:100], v[97:98]
	v_rcp_f64_e32 v[103:104], v[101:102]
	v_fma_f64 v[105:106], -v[101:102], v[103:104], 1.0
	v_fma_f64 v[103:104], v[103:104], v[105:106], v[103:104]
	v_div_scale_f64 v[105:106], vcc, v[97:98], v[99:100], v[97:98]
	v_fma_f64 v[107:108], -v[101:102], v[103:104], 1.0
	v_fma_f64 v[103:104], v[103:104], v[107:108], v[103:104]
	v_mul_f64 v[107:108], v[105:106], v[103:104]
	v_fma_f64 v[101:102], -v[101:102], v[107:108], v[105:106]
	v_div_fmas_f64 v[101:102], v[101:102], v[103:104], v[107:108]
	v_div_fixup_f64 v[101:102], v[101:102], v[99:100], v[97:98]
	v_fma_f64 v[97:98], v[97:98], v[101:102], v[99:100]
	v_div_scale_f64 v[99:100], s[6:7], v[97:98], v[97:98], 1.0
	v_div_scale_f64 v[107:108], vcc, 1.0, v[97:98], 1.0
	v_rcp_f64_e32 v[103:104], v[99:100]
	v_fma_f64 v[105:106], -v[99:100], v[103:104], 1.0
	v_fma_f64 v[103:104], v[103:104], v[105:106], v[103:104]
	v_fma_f64 v[105:106], -v[99:100], v[103:104], 1.0
	v_fma_f64 v[103:104], v[103:104], v[105:106], v[103:104]
	v_mul_f64 v[105:106], v[107:108], v[103:104]
	v_fma_f64 v[99:100], -v[99:100], v[105:106], v[107:108]
	v_div_fmas_f64 v[99:100], v[99:100], v[103:104], v[105:106]
	v_div_fixup_f64 v[103:104], v[99:100], v[97:98], 1.0
                                        ; implicit-def: $vgpr97_vgpr98
	v_mul_f64 v[101:102], v[101:102], v[103:104]
	v_xor_b32_e32 v104, 0x80000000, v104
.LBB103_86:
	s_andn2_saveexec_b64 s[2:3], s[2:3]
	s_cbranch_execz .LBB103_88
; %bb.87:
	v_div_scale_f64 v[101:102], s[6:7], v[97:98], v[97:98], v[99:100]
	v_rcp_f64_e32 v[103:104], v[101:102]
	v_fma_f64 v[105:106], -v[101:102], v[103:104], 1.0
	v_fma_f64 v[103:104], v[103:104], v[105:106], v[103:104]
	v_div_scale_f64 v[105:106], vcc, v[99:100], v[97:98], v[99:100]
	v_fma_f64 v[107:108], -v[101:102], v[103:104], 1.0
	v_fma_f64 v[103:104], v[103:104], v[107:108], v[103:104]
	v_mul_f64 v[107:108], v[105:106], v[103:104]
	v_fma_f64 v[101:102], -v[101:102], v[107:108], v[105:106]
	v_div_fmas_f64 v[101:102], v[101:102], v[103:104], v[107:108]
	v_div_fixup_f64 v[103:104], v[101:102], v[97:98], v[99:100]
	v_fma_f64 v[97:98], v[99:100], v[103:104], v[97:98]
	v_div_scale_f64 v[99:100], s[6:7], v[97:98], v[97:98], 1.0
	v_div_scale_f64 v[107:108], vcc, 1.0, v[97:98], 1.0
	v_rcp_f64_e32 v[101:102], v[99:100]
	v_fma_f64 v[105:106], -v[99:100], v[101:102], 1.0
	v_fma_f64 v[101:102], v[101:102], v[105:106], v[101:102]
	v_fma_f64 v[105:106], -v[99:100], v[101:102], 1.0
	v_fma_f64 v[101:102], v[101:102], v[105:106], v[101:102]
	v_mul_f64 v[105:106], v[107:108], v[101:102]
	v_fma_f64 v[99:100], -v[99:100], v[105:106], v[107:108]
	v_div_fmas_f64 v[99:100], v[99:100], v[101:102], v[105:106]
	v_div_fixup_f64 v[101:102], v[99:100], v[97:98], 1.0
	v_mul_f64 v[103:104], v[103:104], -v[101:102]
.LBB103_88:
	s_or_b64 exec, exec, s[2:3]
	ds_write2_b64 v127, v[101:102], v[103:104] offset1:1
.LBB103_89:
	s_or_b64 exec, exec, s[4:5]
	s_waitcnt lgkmcnt(0)
	s_barrier
	ds_read2_b64 v[69:72], v127 offset1:1
	v_cmp_lt_u32_e32 vcc, 9, v0
	s_waitcnt lgkmcnt(0)
	buffer_store_dword v69, off, s[20:23], 0 offset:1016 ; 4-byte Folded Spill
	s_nop 0
	buffer_store_dword v70, off, s[20:23], 0 offset:1020 ; 4-byte Folded Spill
	buffer_store_dword v71, off, s[20:23], 0 offset:1024 ; 4-byte Folded Spill
	;; [unrolled: 1-line block ×3, first 2 shown]
	s_and_saveexec_b64 s[2:3], vcc
	s_cbranch_execz .LBB103_91
; %bb.90:
	buffer_load_dword v103, off, s[20:23], 0 offset:304 ; 4-byte Folded Reload
	buffer_load_dword v104, off, s[20:23], 0 offset:308 ; 4-byte Folded Reload
	;; [unrolled: 1-line block ×8, first 2 shown]
	s_waitcnt vmcnt(2)
	v_mul_f64 v[99:100], v[69:70], v[105:106]
	s_waitcnt vmcnt(0)
	v_mul_f64 v[97:98], v[71:72], v[105:106]
	v_fma_f64 v[105:106], v[71:72], v[103:104], v[99:100]
	ds_read2_b64 v[99:102], v125 offset0:20 offset1:21
	v_fma_f64 v[97:98], v[69:70], v[103:104], -v[97:98]
	buffer_load_dword v69, off, s[20:23], 0 offset:288 ; 4-byte Folded Reload
	buffer_load_dword v70, off, s[20:23], 0 offset:292 ; 4-byte Folded Reload
	buffer_load_dword v71, off, s[20:23], 0 offset:296 ; 4-byte Folded Reload
	buffer_load_dword v72, off, s[20:23], 0 offset:300 ; 4-byte Folded Reload
	s_waitcnt lgkmcnt(0)
	v_mul_f64 v[103:104], v[101:102], v[105:106]
	v_fma_f64 v[103:104], v[99:100], v[97:98], -v[103:104]
	v_mul_f64 v[99:100], v[99:100], v[105:106]
	v_fma_f64 v[99:100], v[101:102], v[97:98], v[99:100]
	s_waitcnt vmcnt(2)
	v_add_f64 v[69:70], v[69:70], -v[103:104]
	s_waitcnt vmcnt(0)
	v_add_f64 v[71:72], v[71:72], -v[99:100]
	buffer_store_dword v69, off, s[20:23], 0 offset:288 ; 4-byte Folded Spill
	s_nop 0
	buffer_store_dword v70, off, s[20:23], 0 offset:292 ; 4-byte Folded Spill
	buffer_store_dword v71, off, s[20:23], 0 offset:296 ; 4-byte Folded Spill
	buffer_store_dword v72, off, s[20:23], 0 offset:300 ; 4-byte Folded Spill
	ds_read2_b64 v[99:102], v125 offset0:22 offset1:23
	buffer_load_dword v69, off, s[20:23], 0 offset:272 ; 4-byte Folded Reload
	buffer_load_dword v70, off, s[20:23], 0 offset:276 ; 4-byte Folded Reload
	buffer_load_dword v71, off, s[20:23], 0 offset:280 ; 4-byte Folded Reload
	buffer_load_dword v72, off, s[20:23], 0 offset:284 ; 4-byte Folded Reload
	s_waitcnt lgkmcnt(0)
	v_mul_f64 v[103:104], v[101:102], v[105:106]
	v_fma_f64 v[103:104], v[99:100], v[97:98], -v[103:104]
	v_mul_f64 v[99:100], v[99:100], v[105:106]
	v_fma_f64 v[99:100], v[101:102], v[97:98], v[99:100]
	s_waitcnt vmcnt(2)
	v_add_f64 v[69:70], v[69:70], -v[103:104]
	s_waitcnt vmcnt(0)
	v_add_f64 v[71:72], v[71:72], -v[99:100]
	buffer_store_dword v69, off, s[20:23], 0 offset:272 ; 4-byte Folded Spill
	s_nop 0
	buffer_store_dword v70, off, s[20:23], 0 offset:276 ; 4-byte Folded Spill
	buffer_store_dword v71, off, s[20:23], 0 offset:280 ; 4-byte Folded Spill
	buffer_store_dword v72, off, s[20:23], 0 offset:284 ; 4-byte Folded Spill
	ds_read2_b64 v[99:102], v125 offset0:24 offset1:25
	;; [unrolled: 19-line block ×16, first 2 shown]
	v_mov_b32_e32 v69, v73
	v_mov_b32_e32 v70, v74
	;; [unrolled: 1-line block ×4, first 2 shown]
	s_waitcnt lgkmcnt(0)
	v_mul_f64 v[103:104], v[101:102], v[105:106]
	v_fma_f64 v[103:104], v[99:100], v[97:98], -v[103:104]
	v_mul_f64 v[99:100], v[99:100], v[105:106]
	v_add_f64 v[121:122], v[121:122], -v[103:104]
	v_fma_f64 v[99:100], v[101:102], v[97:98], v[99:100]
	v_add_f64 v[123:124], v[123:124], -v[99:100]
	ds_read2_b64 v[99:102], v125 offset0:54 offset1:55
	s_waitcnt lgkmcnt(0)
	v_mul_f64 v[103:104], v[101:102], v[105:106]
	v_fma_f64 v[103:104], v[99:100], v[97:98], -v[103:104]
	v_mul_f64 v[99:100], v[99:100], v[105:106]
	v_add_f64 v[117:118], v[117:118], -v[103:104]
	v_fma_f64 v[99:100], v[101:102], v[97:98], v[99:100]
	v_add_f64 v[119:120], v[119:120], -v[99:100]
	ds_read2_b64 v[99:102], v125 offset0:56 offset1:57
	s_waitcnt lgkmcnt(0)
	v_mul_f64 v[103:104], v[101:102], v[105:106]
	v_fma_f64 v[103:104], v[99:100], v[97:98], -v[103:104]
	v_mul_f64 v[99:100], v[99:100], v[105:106]
	v_add_f64 v[109:110], v[109:110], -v[103:104]
	v_fma_f64 v[99:100], v[101:102], v[97:98], v[99:100]
	v_add_f64 v[111:112], v[111:112], -v[99:100]
	ds_read2_b64 v[99:102], v125 offset0:58 offset1:59
	s_waitcnt lgkmcnt(0)
	v_mul_f64 v[103:104], v[101:102], v[105:106]
	v_fma_f64 v[103:104], v[99:100], v[97:98], -v[103:104]
	v_mul_f64 v[99:100], v[99:100], v[105:106]
	v_add_f64 v[113:114], v[113:114], -v[103:104]
	v_fma_f64 v[99:100], v[101:102], v[97:98], v[99:100]
	v_add_f64 v[115:116], v[115:116], -v[99:100]
	ds_read2_b64 v[99:102], v125 offset0:60 offset1:61
	s_waitcnt lgkmcnt(0)
	v_mul_f64 v[103:104], v[101:102], v[105:106]
	v_fma_f64 v[103:104], v[99:100], v[97:98], -v[103:104]
	v_mul_f64 v[99:100], v[99:100], v[105:106]
	v_add_f64 v[93:94], v[93:94], -v[103:104]
	v_fma_f64 v[99:100], v[101:102], v[97:98], v[99:100]
	v_add_f64 v[95:96], v[95:96], -v[99:100]
	ds_read2_b64 v[99:102], v125 offset0:62 offset1:63
	buffer_load_dword v77, off, s[20:23], 0 offset:32 ; 4-byte Folded Reload
	buffer_load_dword v78, off, s[20:23], 0 offset:36 ; 4-byte Folded Reload
	;; [unrolled: 1-line block ×4, first 2 shown]
	s_waitcnt lgkmcnt(0)
	v_mul_f64 v[103:104], v[101:102], v[105:106]
	v_fma_f64 v[103:104], v[99:100], v[97:98], -v[103:104]
	v_mul_f64 v[99:100], v[99:100], v[105:106]
	v_fma_f64 v[99:100], v[101:102], v[97:98], v[99:100]
	s_waitcnt vmcnt(2)
	v_add_f64 v[77:78], v[77:78], -v[103:104]
	s_waitcnt vmcnt(0)
	v_add_f64 v[79:80], v[79:80], -v[99:100]
	buffer_store_dword v77, off, s[20:23], 0 offset:32 ; 4-byte Folded Spill
	s_nop 0
	buffer_store_dword v78, off, s[20:23], 0 offset:36 ; 4-byte Folded Spill
	buffer_store_dword v79, off, s[20:23], 0 offset:40 ; 4-byte Folded Spill
	buffer_store_dword v80, off, s[20:23], 0 offset:44 ; 4-byte Folded Spill
	ds_read2_b64 v[99:102], v125 offset0:64 offset1:65
	buffer_load_dword v73, off, s[20:23], 0 offset:16 ; 4-byte Folded Reload
	buffer_load_dword v74, off, s[20:23], 0 offset:20 ; 4-byte Folded Reload
	;; [unrolled: 1-line block ×4, first 2 shown]
	s_waitcnt lgkmcnt(0)
	v_mul_f64 v[103:104], v[101:102], v[105:106]
	v_fma_f64 v[103:104], v[99:100], v[97:98], -v[103:104]
	v_mul_f64 v[99:100], v[99:100], v[105:106]
	v_fma_f64 v[99:100], v[101:102], v[97:98], v[99:100]
	s_waitcnt vmcnt(2)
	v_add_f64 v[73:74], v[73:74], -v[103:104]
	s_waitcnt vmcnt(0)
	v_add_f64 v[75:76], v[75:76], -v[99:100]
	buffer_store_dword v73, off, s[20:23], 0 offset:16 ; 4-byte Folded Spill
	s_nop 0
	buffer_store_dword v74, off, s[20:23], 0 offset:20 ; 4-byte Folded Spill
	buffer_store_dword v75, off, s[20:23], 0 offset:24 ; 4-byte Folded Spill
	;; [unrolled: 1-line block ×3, first 2 shown]
	v_mov_b32_e32 v76, v72
	v_mov_b32_e32 v75, v71
	;; [unrolled: 1-line block ×4, first 2 shown]
	ds_read2_b64 v[99:102], v125 offset0:66 offset1:67
	buffer_load_dword v69, off, s[20:23], 0 ; 4-byte Folded Reload
	buffer_load_dword v70, off, s[20:23], 0 offset:4 ; 4-byte Folded Reload
	buffer_load_dword v71, off, s[20:23], 0 offset:8 ; 4-byte Folded Reload
	;; [unrolled: 1-line block ×3, first 2 shown]
	s_waitcnt lgkmcnt(0)
	v_mul_f64 v[103:104], v[101:102], v[105:106]
	v_fma_f64 v[103:104], v[99:100], v[97:98], -v[103:104]
	v_mul_f64 v[99:100], v[99:100], v[105:106]
	v_fma_f64 v[99:100], v[101:102], v[97:98], v[99:100]
	s_waitcnt vmcnt(2)
	v_add_f64 v[69:70], v[69:70], -v[103:104]
	s_waitcnt vmcnt(0)
	v_add_f64 v[71:72], v[71:72], -v[99:100]
	buffer_store_dword v69, off, s[20:23], 0 ; 4-byte Folded Spill
	s_nop 0
	buffer_store_dword v70, off, s[20:23], 0 offset:4 ; 4-byte Folded Spill
	buffer_store_dword v71, off, s[20:23], 0 offset:8 ; 4-byte Folded Spill
	;; [unrolled: 1-line block ×3, first 2 shown]
	ds_read2_b64 v[99:102], v125 offset0:68 offset1:69
	s_waitcnt lgkmcnt(0)
	v_mul_f64 v[103:104], v[101:102], v[105:106]
	v_fma_f64 v[103:104], v[99:100], v[97:98], -v[103:104]
	v_mul_f64 v[99:100], v[99:100], v[105:106]
	v_add_f64 v[65:66], v[65:66], -v[103:104]
	v_fma_f64 v[99:100], v[101:102], v[97:98], v[99:100]
	v_add_f64 v[67:68], v[67:68], -v[99:100]
	ds_read2_b64 v[99:102], v125 offset0:70 offset1:71
	s_waitcnt lgkmcnt(0)
	v_mul_f64 v[103:104], v[101:102], v[105:106]
	v_fma_f64 v[103:104], v[99:100], v[97:98], -v[103:104]
	v_mul_f64 v[99:100], v[99:100], v[105:106]
	v_add_f64 v[61:62], v[61:62], -v[103:104]
	v_fma_f64 v[99:100], v[101:102], v[97:98], v[99:100]
	v_add_f64 v[63:64], v[63:64], -v[99:100]
	;; [unrolled: 8-line block ×17, first 2 shown]
	ds_read2_b64 v[99:102], v125 offset0:102 offset1:103
	s_waitcnt lgkmcnt(0)
	v_mul_f64 v[103:104], v[101:102], v[105:106]
	v_fma_f64 v[103:104], v[99:100], v[97:98], -v[103:104]
	v_mul_f64 v[99:100], v[99:100], v[105:106]
	v_add_f64 v[73:74], v[73:74], -v[103:104]
	v_fma_f64 v[99:100], v[101:102], v[97:98], v[99:100]
	v_mov_b32_e32 v104, v98
	v_mov_b32_e32 v103, v97
	buffer_store_dword v103, off, s[20:23], 0 offset:304 ; 4-byte Folded Spill
	s_nop 0
	buffer_store_dword v104, off, s[20:23], 0 offset:308 ; 4-byte Folded Spill
	buffer_store_dword v105, off, s[20:23], 0 offset:312 ; 4-byte Folded Spill
	buffer_store_dword v106, off, s[20:23], 0 offset:316 ; 4-byte Folded Spill
	v_add_f64 v[75:76], v[75:76], -v[99:100]
.LBB103_91:
	s_or_b64 exec, exec, s[2:3]
	v_cmp_eq_u32_e32 vcc, 10, v0
	s_waitcnt vmcnt(0)
	s_barrier
	s_and_saveexec_b64 s[4:5], vcc
	s_cbranch_execz .LBB103_98
; %bb.92:
	buffer_load_dword v69, off, s[20:23], 0 offset:288 ; 4-byte Folded Reload
	buffer_load_dword v70, off, s[20:23], 0 offset:292 ; 4-byte Folded Reload
	;; [unrolled: 1-line block ×4, first 2 shown]
	s_waitcnt vmcnt(0)
	ds_write2_b64 v127, v[69:70], v[71:72] offset1:1
	buffer_load_dword v69, off, s[20:23], 0 offset:272 ; 4-byte Folded Reload
	buffer_load_dword v70, off, s[20:23], 0 offset:276 ; 4-byte Folded Reload
	buffer_load_dword v71, off, s[20:23], 0 offset:280 ; 4-byte Folded Reload
	buffer_load_dword v72, off, s[20:23], 0 offset:284 ; 4-byte Folded Reload
	s_waitcnt vmcnt(0)
	ds_write2_b64 v125, v[69:70], v[71:72] offset0:22 offset1:23
	buffer_load_dword v69, off, s[20:23], 0 offset:256 ; 4-byte Folded Reload
	buffer_load_dword v70, off, s[20:23], 0 offset:260 ; 4-byte Folded Reload
	buffer_load_dword v71, off, s[20:23], 0 offset:264 ; 4-byte Folded Reload
	buffer_load_dword v72, off, s[20:23], 0 offset:268 ; 4-byte Folded Reload
	s_waitcnt vmcnt(0)
	ds_write2_b64 v125, v[69:70], v[71:72] offset0:24 offset1:25
	;; [unrolled: 6-line block ×15, first 2 shown]
	ds_write2_b64 v125, v[121:122], v[123:124] offset0:52 offset1:53
	ds_write2_b64 v125, v[117:118], v[119:120] offset0:54 offset1:55
	;; [unrolled: 1-line block ×5, first 2 shown]
	buffer_load_dword v77, off, s[20:23], 0 offset:32 ; 4-byte Folded Reload
	buffer_load_dword v78, off, s[20:23], 0 offset:36 ; 4-byte Folded Reload
	;; [unrolled: 1-line block ×4, first 2 shown]
	v_mov_b32_e32 v69, v73
	v_mov_b32_e32 v70, v74
	;; [unrolled: 1-line block ×4, first 2 shown]
	s_waitcnt vmcnt(0)
	ds_write2_b64 v125, v[77:78], v[79:80] offset0:62 offset1:63
	buffer_load_dword v73, off, s[20:23], 0 offset:16 ; 4-byte Folded Reload
	buffer_load_dword v74, off, s[20:23], 0 offset:20 ; 4-byte Folded Reload
	;; [unrolled: 1-line block ×4, first 2 shown]
	s_waitcnt vmcnt(0)
	ds_write2_b64 v125, v[73:74], v[75:76] offset0:64 offset1:65
	v_mov_b32_e32 v76, v72
	v_mov_b32_e32 v75, v71
	;; [unrolled: 1-line block ×4, first 2 shown]
	buffer_load_dword v69, off, s[20:23], 0 ; 4-byte Folded Reload
	buffer_load_dword v70, off, s[20:23], 0 offset:4 ; 4-byte Folded Reload
	buffer_load_dword v71, off, s[20:23], 0 offset:8 ; 4-byte Folded Reload
	;; [unrolled: 1-line block ×3, first 2 shown]
	s_waitcnt vmcnt(0)
	ds_write2_b64 v125, v[69:70], v[71:72] offset0:66 offset1:67
	ds_write2_b64 v125, v[65:66], v[67:68] offset0:68 offset1:69
	;; [unrolled: 1-line block ×19, first 2 shown]
	ds_read2_b64 v[97:100], v127 offset1:1
	s_waitcnt lgkmcnt(0)
	v_cmp_neq_f64_e32 vcc, 0, v[97:98]
	v_cmp_neq_f64_e64 s[2:3], 0, v[99:100]
	s_or_b64 s[2:3], vcc, s[2:3]
	s_and_b64 exec, exec, s[2:3]
	s_cbranch_execz .LBB103_98
; %bb.93:
	v_cmp_ngt_f64_e64 s[2:3], |v[97:98]|, |v[99:100]|
                                        ; implicit-def: $vgpr101_vgpr102
	s_and_saveexec_b64 s[6:7], s[2:3]
	s_xor_b64 s[2:3], exec, s[6:7]
                                        ; implicit-def: $vgpr103_vgpr104
	s_cbranch_execz .LBB103_95
; %bb.94:
	v_div_scale_f64 v[101:102], s[6:7], v[99:100], v[99:100], v[97:98]
	v_rcp_f64_e32 v[103:104], v[101:102]
	v_fma_f64 v[105:106], -v[101:102], v[103:104], 1.0
	v_fma_f64 v[103:104], v[103:104], v[105:106], v[103:104]
	v_div_scale_f64 v[105:106], vcc, v[97:98], v[99:100], v[97:98]
	v_fma_f64 v[107:108], -v[101:102], v[103:104], 1.0
	v_fma_f64 v[103:104], v[103:104], v[107:108], v[103:104]
	v_mul_f64 v[107:108], v[105:106], v[103:104]
	v_fma_f64 v[101:102], -v[101:102], v[107:108], v[105:106]
	v_div_fmas_f64 v[101:102], v[101:102], v[103:104], v[107:108]
	v_div_fixup_f64 v[101:102], v[101:102], v[99:100], v[97:98]
	v_fma_f64 v[97:98], v[97:98], v[101:102], v[99:100]
	v_div_scale_f64 v[99:100], s[6:7], v[97:98], v[97:98], 1.0
	v_div_scale_f64 v[107:108], vcc, 1.0, v[97:98], 1.0
	v_rcp_f64_e32 v[103:104], v[99:100]
	v_fma_f64 v[105:106], -v[99:100], v[103:104], 1.0
	v_fma_f64 v[103:104], v[103:104], v[105:106], v[103:104]
	v_fma_f64 v[105:106], -v[99:100], v[103:104], 1.0
	v_fma_f64 v[103:104], v[103:104], v[105:106], v[103:104]
	v_mul_f64 v[105:106], v[107:108], v[103:104]
	v_fma_f64 v[99:100], -v[99:100], v[105:106], v[107:108]
	v_div_fmas_f64 v[99:100], v[99:100], v[103:104], v[105:106]
	v_div_fixup_f64 v[103:104], v[99:100], v[97:98], 1.0
                                        ; implicit-def: $vgpr97_vgpr98
	v_mul_f64 v[101:102], v[101:102], v[103:104]
	v_xor_b32_e32 v104, 0x80000000, v104
.LBB103_95:
	s_andn2_saveexec_b64 s[2:3], s[2:3]
	s_cbranch_execz .LBB103_97
; %bb.96:
	v_div_scale_f64 v[101:102], s[6:7], v[97:98], v[97:98], v[99:100]
	v_rcp_f64_e32 v[103:104], v[101:102]
	v_fma_f64 v[105:106], -v[101:102], v[103:104], 1.0
	v_fma_f64 v[103:104], v[103:104], v[105:106], v[103:104]
	v_div_scale_f64 v[105:106], vcc, v[99:100], v[97:98], v[99:100]
	v_fma_f64 v[107:108], -v[101:102], v[103:104], 1.0
	v_fma_f64 v[103:104], v[103:104], v[107:108], v[103:104]
	v_mul_f64 v[107:108], v[105:106], v[103:104]
	v_fma_f64 v[101:102], -v[101:102], v[107:108], v[105:106]
	v_div_fmas_f64 v[101:102], v[101:102], v[103:104], v[107:108]
	v_div_fixup_f64 v[103:104], v[101:102], v[97:98], v[99:100]
	v_fma_f64 v[97:98], v[99:100], v[103:104], v[97:98]
	v_div_scale_f64 v[99:100], s[6:7], v[97:98], v[97:98], 1.0
	v_div_scale_f64 v[107:108], vcc, 1.0, v[97:98], 1.0
	v_rcp_f64_e32 v[101:102], v[99:100]
	v_fma_f64 v[105:106], -v[99:100], v[101:102], 1.0
	v_fma_f64 v[101:102], v[101:102], v[105:106], v[101:102]
	v_fma_f64 v[105:106], -v[99:100], v[101:102], 1.0
	v_fma_f64 v[101:102], v[101:102], v[105:106], v[101:102]
	v_mul_f64 v[105:106], v[107:108], v[101:102]
	v_fma_f64 v[99:100], -v[99:100], v[105:106], v[107:108]
	v_div_fmas_f64 v[99:100], v[99:100], v[101:102], v[105:106]
	v_div_fixup_f64 v[101:102], v[99:100], v[97:98], 1.0
	v_mul_f64 v[103:104], v[103:104], -v[101:102]
.LBB103_97:
	s_or_b64 exec, exec, s[2:3]
	ds_write2_b64 v127, v[101:102], v[103:104] offset1:1
.LBB103_98:
	s_or_b64 exec, exec, s[4:5]
	s_waitcnt lgkmcnt(0)
	s_barrier
	ds_read2_b64 v[69:72], v127 offset1:1
	v_cmp_lt_u32_e32 vcc, 10, v0
	s_waitcnt lgkmcnt(0)
	buffer_store_dword v69, off, s[20:23], 0 offset:1032 ; 4-byte Folded Spill
	s_nop 0
	buffer_store_dword v70, off, s[20:23], 0 offset:1036 ; 4-byte Folded Spill
	buffer_store_dword v71, off, s[20:23], 0 offset:1040 ; 4-byte Folded Spill
	;; [unrolled: 1-line block ×3, first 2 shown]
	s_and_saveexec_b64 s[2:3], vcc
	s_cbranch_execz .LBB103_100
; %bb.99:
	buffer_load_dword v103, off, s[20:23], 0 offset:288 ; 4-byte Folded Reload
	buffer_load_dword v104, off, s[20:23], 0 offset:292 ; 4-byte Folded Reload
	;; [unrolled: 1-line block ×8, first 2 shown]
	s_waitcnt vmcnt(2)
	v_mul_f64 v[99:100], v[69:70], v[105:106]
	s_waitcnt vmcnt(0)
	v_mul_f64 v[97:98], v[71:72], v[105:106]
	v_fma_f64 v[105:106], v[71:72], v[103:104], v[99:100]
	ds_read2_b64 v[99:102], v125 offset0:22 offset1:23
	v_fma_f64 v[97:98], v[69:70], v[103:104], -v[97:98]
	buffer_load_dword v69, off, s[20:23], 0 offset:272 ; 4-byte Folded Reload
	buffer_load_dword v70, off, s[20:23], 0 offset:276 ; 4-byte Folded Reload
	buffer_load_dword v71, off, s[20:23], 0 offset:280 ; 4-byte Folded Reload
	buffer_load_dword v72, off, s[20:23], 0 offset:284 ; 4-byte Folded Reload
	s_waitcnt lgkmcnt(0)
	v_mul_f64 v[103:104], v[101:102], v[105:106]
	v_fma_f64 v[103:104], v[99:100], v[97:98], -v[103:104]
	v_mul_f64 v[99:100], v[99:100], v[105:106]
	v_fma_f64 v[99:100], v[101:102], v[97:98], v[99:100]
	s_waitcnt vmcnt(2)
	v_add_f64 v[69:70], v[69:70], -v[103:104]
	s_waitcnt vmcnt(0)
	v_add_f64 v[71:72], v[71:72], -v[99:100]
	buffer_store_dword v69, off, s[20:23], 0 offset:272 ; 4-byte Folded Spill
	s_nop 0
	buffer_store_dword v70, off, s[20:23], 0 offset:276 ; 4-byte Folded Spill
	buffer_store_dword v71, off, s[20:23], 0 offset:280 ; 4-byte Folded Spill
	buffer_store_dword v72, off, s[20:23], 0 offset:284 ; 4-byte Folded Spill
	ds_read2_b64 v[99:102], v125 offset0:24 offset1:25
	buffer_load_dword v69, off, s[20:23], 0 offset:256 ; 4-byte Folded Reload
	buffer_load_dword v70, off, s[20:23], 0 offset:260 ; 4-byte Folded Reload
	buffer_load_dword v71, off, s[20:23], 0 offset:264 ; 4-byte Folded Reload
	buffer_load_dword v72, off, s[20:23], 0 offset:268 ; 4-byte Folded Reload
	s_waitcnt lgkmcnt(0)
	v_mul_f64 v[103:104], v[101:102], v[105:106]
	v_fma_f64 v[103:104], v[99:100], v[97:98], -v[103:104]
	v_mul_f64 v[99:100], v[99:100], v[105:106]
	v_fma_f64 v[99:100], v[101:102], v[97:98], v[99:100]
	s_waitcnt vmcnt(2)
	v_add_f64 v[69:70], v[69:70], -v[103:104]
	s_waitcnt vmcnt(0)
	v_add_f64 v[71:72], v[71:72], -v[99:100]
	buffer_store_dword v69, off, s[20:23], 0 offset:256 ; 4-byte Folded Spill
	s_nop 0
	buffer_store_dword v70, off, s[20:23], 0 offset:260 ; 4-byte Folded Spill
	buffer_store_dword v71, off, s[20:23], 0 offset:264 ; 4-byte Folded Spill
	buffer_store_dword v72, off, s[20:23], 0 offset:268 ; 4-byte Folded Spill
	ds_read2_b64 v[99:102], v125 offset0:26 offset1:27
	;; [unrolled: 19-line block ×15, first 2 shown]
	v_mov_b32_e32 v69, v73
	v_mov_b32_e32 v70, v74
	;; [unrolled: 1-line block ×4, first 2 shown]
	s_waitcnt lgkmcnt(0)
	v_mul_f64 v[103:104], v[101:102], v[105:106]
	v_fma_f64 v[103:104], v[99:100], v[97:98], -v[103:104]
	v_mul_f64 v[99:100], v[99:100], v[105:106]
	v_add_f64 v[121:122], v[121:122], -v[103:104]
	v_fma_f64 v[99:100], v[101:102], v[97:98], v[99:100]
	v_add_f64 v[123:124], v[123:124], -v[99:100]
	ds_read2_b64 v[99:102], v125 offset0:54 offset1:55
	s_waitcnt lgkmcnt(0)
	v_mul_f64 v[103:104], v[101:102], v[105:106]
	v_fma_f64 v[103:104], v[99:100], v[97:98], -v[103:104]
	v_mul_f64 v[99:100], v[99:100], v[105:106]
	v_add_f64 v[117:118], v[117:118], -v[103:104]
	v_fma_f64 v[99:100], v[101:102], v[97:98], v[99:100]
	v_add_f64 v[119:120], v[119:120], -v[99:100]
	ds_read2_b64 v[99:102], v125 offset0:56 offset1:57
	;; [unrolled: 8-line block ×5, first 2 shown]
	buffer_load_dword v77, off, s[20:23], 0 offset:32 ; 4-byte Folded Reload
	buffer_load_dword v78, off, s[20:23], 0 offset:36 ; 4-byte Folded Reload
	;; [unrolled: 1-line block ×4, first 2 shown]
	s_waitcnt lgkmcnt(0)
	v_mul_f64 v[103:104], v[101:102], v[105:106]
	v_fma_f64 v[103:104], v[99:100], v[97:98], -v[103:104]
	v_mul_f64 v[99:100], v[99:100], v[105:106]
	v_fma_f64 v[99:100], v[101:102], v[97:98], v[99:100]
	s_waitcnt vmcnt(2)
	v_add_f64 v[77:78], v[77:78], -v[103:104]
	s_waitcnt vmcnt(0)
	v_add_f64 v[79:80], v[79:80], -v[99:100]
	buffer_store_dword v77, off, s[20:23], 0 offset:32 ; 4-byte Folded Spill
	s_nop 0
	buffer_store_dword v78, off, s[20:23], 0 offset:36 ; 4-byte Folded Spill
	buffer_store_dword v79, off, s[20:23], 0 offset:40 ; 4-byte Folded Spill
	;; [unrolled: 1-line block ×3, first 2 shown]
	ds_read2_b64 v[99:102], v125 offset0:64 offset1:65
	buffer_load_dword v73, off, s[20:23], 0 offset:16 ; 4-byte Folded Reload
	buffer_load_dword v74, off, s[20:23], 0 offset:20 ; 4-byte Folded Reload
	;; [unrolled: 1-line block ×4, first 2 shown]
	s_waitcnt lgkmcnt(0)
	v_mul_f64 v[103:104], v[101:102], v[105:106]
	v_fma_f64 v[103:104], v[99:100], v[97:98], -v[103:104]
	v_mul_f64 v[99:100], v[99:100], v[105:106]
	v_fma_f64 v[99:100], v[101:102], v[97:98], v[99:100]
	s_waitcnt vmcnt(2)
	v_add_f64 v[73:74], v[73:74], -v[103:104]
	s_waitcnt vmcnt(0)
	v_add_f64 v[75:76], v[75:76], -v[99:100]
	buffer_store_dword v73, off, s[20:23], 0 offset:16 ; 4-byte Folded Spill
	s_nop 0
	buffer_store_dword v74, off, s[20:23], 0 offset:20 ; 4-byte Folded Spill
	buffer_store_dword v75, off, s[20:23], 0 offset:24 ; 4-byte Folded Spill
	;; [unrolled: 1-line block ×3, first 2 shown]
	v_mov_b32_e32 v76, v72
	v_mov_b32_e32 v75, v71
	;; [unrolled: 1-line block ×4, first 2 shown]
	ds_read2_b64 v[99:102], v125 offset0:66 offset1:67
	buffer_load_dword v69, off, s[20:23], 0 ; 4-byte Folded Reload
	buffer_load_dword v70, off, s[20:23], 0 offset:4 ; 4-byte Folded Reload
	buffer_load_dword v71, off, s[20:23], 0 offset:8 ; 4-byte Folded Reload
	;; [unrolled: 1-line block ×3, first 2 shown]
	s_waitcnt lgkmcnt(0)
	v_mul_f64 v[103:104], v[101:102], v[105:106]
	v_fma_f64 v[103:104], v[99:100], v[97:98], -v[103:104]
	v_mul_f64 v[99:100], v[99:100], v[105:106]
	v_fma_f64 v[99:100], v[101:102], v[97:98], v[99:100]
	s_waitcnt vmcnt(2)
	v_add_f64 v[69:70], v[69:70], -v[103:104]
	s_waitcnt vmcnt(0)
	v_add_f64 v[71:72], v[71:72], -v[99:100]
	buffer_store_dword v69, off, s[20:23], 0 ; 4-byte Folded Spill
	s_nop 0
	buffer_store_dword v70, off, s[20:23], 0 offset:4 ; 4-byte Folded Spill
	buffer_store_dword v71, off, s[20:23], 0 offset:8 ; 4-byte Folded Spill
	;; [unrolled: 1-line block ×3, first 2 shown]
	ds_read2_b64 v[99:102], v125 offset0:68 offset1:69
	s_waitcnt lgkmcnt(0)
	v_mul_f64 v[103:104], v[101:102], v[105:106]
	v_fma_f64 v[103:104], v[99:100], v[97:98], -v[103:104]
	v_mul_f64 v[99:100], v[99:100], v[105:106]
	v_add_f64 v[65:66], v[65:66], -v[103:104]
	v_fma_f64 v[99:100], v[101:102], v[97:98], v[99:100]
	v_add_f64 v[67:68], v[67:68], -v[99:100]
	ds_read2_b64 v[99:102], v125 offset0:70 offset1:71
	s_waitcnt lgkmcnt(0)
	v_mul_f64 v[103:104], v[101:102], v[105:106]
	v_fma_f64 v[103:104], v[99:100], v[97:98], -v[103:104]
	v_mul_f64 v[99:100], v[99:100], v[105:106]
	v_add_f64 v[61:62], v[61:62], -v[103:104]
	v_fma_f64 v[99:100], v[101:102], v[97:98], v[99:100]
	v_add_f64 v[63:64], v[63:64], -v[99:100]
	;; [unrolled: 8-line block ×17, first 2 shown]
	ds_read2_b64 v[99:102], v125 offset0:102 offset1:103
	s_waitcnt lgkmcnt(0)
	v_mul_f64 v[103:104], v[101:102], v[105:106]
	v_fma_f64 v[103:104], v[99:100], v[97:98], -v[103:104]
	v_mul_f64 v[99:100], v[99:100], v[105:106]
	v_add_f64 v[73:74], v[73:74], -v[103:104]
	v_fma_f64 v[99:100], v[101:102], v[97:98], v[99:100]
	v_mov_b32_e32 v104, v98
	v_mov_b32_e32 v103, v97
	buffer_store_dword v103, off, s[20:23], 0 offset:288 ; 4-byte Folded Spill
	s_nop 0
	buffer_store_dword v104, off, s[20:23], 0 offset:292 ; 4-byte Folded Spill
	buffer_store_dword v105, off, s[20:23], 0 offset:296 ; 4-byte Folded Spill
	;; [unrolled: 1-line block ×3, first 2 shown]
	v_add_f64 v[75:76], v[75:76], -v[99:100]
.LBB103_100:
	s_or_b64 exec, exec, s[2:3]
	v_cmp_eq_u32_e32 vcc, 11, v0
	s_waitcnt vmcnt(0)
	s_barrier
	s_and_saveexec_b64 s[4:5], vcc
	s_cbranch_execz .LBB103_107
; %bb.101:
	buffer_load_dword v69, off, s[20:23], 0 offset:272 ; 4-byte Folded Reload
	buffer_load_dword v70, off, s[20:23], 0 offset:276 ; 4-byte Folded Reload
	;; [unrolled: 1-line block ×4, first 2 shown]
	s_waitcnt vmcnt(0)
	ds_write2_b64 v127, v[69:70], v[71:72] offset1:1
	buffer_load_dword v69, off, s[20:23], 0 offset:256 ; 4-byte Folded Reload
	buffer_load_dword v70, off, s[20:23], 0 offset:260 ; 4-byte Folded Reload
	buffer_load_dword v71, off, s[20:23], 0 offset:264 ; 4-byte Folded Reload
	buffer_load_dword v72, off, s[20:23], 0 offset:268 ; 4-byte Folded Reload
	s_waitcnt vmcnt(0)
	ds_write2_b64 v125, v[69:70], v[71:72] offset0:24 offset1:25
	buffer_load_dword v69, off, s[20:23], 0 offset:240 ; 4-byte Folded Reload
	buffer_load_dword v70, off, s[20:23], 0 offset:244 ; 4-byte Folded Reload
	buffer_load_dword v71, off, s[20:23], 0 offset:248 ; 4-byte Folded Reload
	buffer_load_dword v72, off, s[20:23], 0 offset:252 ; 4-byte Folded Reload
	s_waitcnt vmcnt(0)
	ds_write2_b64 v125, v[69:70], v[71:72] offset0:26 offset1:27
	buffer_load_dword v69, off, s[20:23], 0 offset:224 ; 4-byte Folded Reload
	buffer_load_dword v70, off, s[20:23], 0 offset:228 ; 4-byte Folded Reload
	buffer_load_dword v71, off, s[20:23], 0 offset:232 ; 4-byte Folded Reload
	buffer_load_dword v72, off, s[20:23], 0 offset:236 ; 4-byte Folded Reload
	s_waitcnt vmcnt(0)
	ds_write2_b64 v125, v[69:70], v[71:72] offset0:28 offset1:29
	buffer_load_dword v69, off, s[20:23], 0 offset:208 ; 4-byte Folded Reload
	buffer_load_dword v70, off, s[20:23], 0 offset:212 ; 4-byte Folded Reload
	buffer_load_dword v71, off, s[20:23], 0 offset:216 ; 4-byte Folded Reload
	buffer_load_dword v72, off, s[20:23], 0 offset:220 ; 4-byte Folded Reload
	s_waitcnt vmcnt(0)
	ds_write2_b64 v125, v[69:70], v[71:72] offset0:30 offset1:31
	buffer_load_dword v69, off, s[20:23], 0 offset:192 ; 4-byte Folded Reload
	buffer_load_dword v70, off, s[20:23], 0 offset:196 ; 4-byte Folded Reload
	buffer_load_dword v71, off, s[20:23], 0 offset:200 ; 4-byte Folded Reload
	buffer_load_dword v72, off, s[20:23], 0 offset:204 ; 4-byte Folded Reload
	s_waitcnt vmcnt(0)
	ds_write2_b64 v125, v[69:70], v[71:72] offset0:32 offset1:33
	buffer_load_dword v69, off, s[20:23], 0 offset:176 ; 4-byte Folded Reload
	buffer_load_dword v70, off, s[20:23], 0 offset:180 ; 4-byte Folded Reload
	buffer_load_dword v71, off, s[20:23], 0 offset:184 ; 4-byte Folded Reload
	buffer_load_dword v72, off, s[20:23], 0 offset:188 ; 4-byte Folded Reload
	s_waitcnt vmcnt(0)
	ds_write2_b64 v125, v[69:70], v[71:72] offset0:34 offset1:35
	buffer_load_dword v69, off, s[20:23], 0 offset:160 ; 4-byte Folded Reload
	buffer_load_dword v70, off, s[20:23], 0 offset:164 ; 4-byte Folded Reload
	buffer_load_dword v71, off, s[20:23], 0 offset:168 ; 4-byte Folded Reload
	buffer_load_dword v72, off, s[20:23], 0 offset:172 ; 4-byte Folded Reload
	s_waitcnt vmcnt(0)
	ds_write2_b64 v125, v[69:70], v[71:72] offset0:36 offset1:37
	buffer_load_dword v69, off, s[20:23], 0 offset:144 ; 4-byte Folded Reload
	buffer_load_dword v70, off, s[20:23], 0 offset:148 ; 4-byte Folded Reload
	buffer_load_dword v71, off, s[20:23], 0 offset:152 ; 4-byte Folded Reload
	buffer_load_dword v72, off, s[20:23], 0 offset:156 ; 4-byte Folded Reload
	s_waitcnt vmcnt(0)
	ds_write2_b64 v125, v[69:70], v[71:72] offset0:38 offset1:39
	buffer_load_dword v69, off, s[20:23], 0 offset:128 ; 4-byte Folded Reload
	buffer_load_dword v70, off, s[20:23], 0 offset:132 ; 4-byte Folded Reload
	buffer_load_dword v71, off, s[20:23], 0 offset:136 ; 4-byte Folded Reload
	buffer_load_dword v72, off, s[20:23], 0 offset:140 ; 4-byte Folded Reload
	s_waitcnt vmcnt(0)
	ds_write2_b64 v125, v[69:70], v[71:72] offset0:40 offset1:41
	buffer_load_dword v69, off, s[20:23], 0 offset:112 ; 4-byte Folded Reload
	buffer_load_dword v70, off, s[20:23], 0 offset:116 ; 4-byte Folded Reload
	buffer_load_dword v71, off, s[20:23], 0 offset:120 ; 4-byte Folded Reload
	buffer_load_dword v72, off, s[20:23], 0 offset:124 ; 4-byte Folded Reload
	s_waitcnt vmcnt(0)
	ds_write2_b64 v125, v[69:70], v[71:72] offset0:42 offset1:43
	buffer_load_dword v69, off, s[20:23], 0 offset:96 ; 4-byte Folded Reload
	buffer_load_dword v70, off, s[20:23], 0 offset:100 ; 4-byte Folded Reload
	buffer_load_dword v71, off, s[20:23], 0 offset:104 ; 4-byte Folded Reload
	buffer_load_dword v72, off, s[20:23], 0 offset:108 ; 4-byte Folded Reload
	s_waitcnt vmcnt(0)
	ds_write2_b64 v125, v[69:70], v[71:72] offset0:44 offset1:45
	buffer_load_dword v69, off, s[20:23], 0 offset:80 ; 4-byte Folded Reload
	buffer_load_dword v70, off, s[20:23], 0 offset:84 ; 4-byte Folded Reload
	buffer_load_dword v71, off, s[20:23], 0 offset:88 ; 4-byte Folded Reload
	buffer_load_dword v72, off, s[20:23], 0 offset:92 ; 4-byte Folded Reload
	s_waitcnt vmcnt(0)
	ds_write2_b64 v125, v[69:70], v[71:72] offset0:46 offset1:47
	buffer_load_dword v69, off, s[20:23], 0 offset:64 ; 4-byte Folded Reload
	buffer_load_dword v70, off, s[20:23], 0 offset:68 ; 4-byte Folded Reload
	buffer_load_dword v71, off, s[20:23], 0 offset:72 ; 4-byte Folded Reload
	buffer_load_dword v72, off, s[20:23], 0 offset:76 ; 4-byte Folded Reload
	s_waitcnt vmcnt(0)
	ds_write2_b64 v125, v[69:70], v[71:72] offset0:48 offset1:49
	buffer_load_dword v69, off, s[20:23], 0 offset:48 ; 4-byte Folded Reload
	buffer_load_dword v70, off, s[20:23], 0 offset:52 ; 4-byte Folded Reload
	buffer_load_dword v71, off, s[20:23], 0 offset:56 ; 4-byte Folded Reload
	buffer_load_dword v72, off, s[20:23], 0 offset:60 ; 4-byte Folded Reload
	s_waitcnt vmcnt(0)
	ds_write2_b64 v125, v[69:70], v[71:72] offset0:50 offset1:51
	ds_write2_b64 v125, v[121:122], v[123:124] offset0:52 offset1:53
	ds_write2_b64 v125, v[117:118], v[119:120] offset0:54 offset1:55
	;; [unrolled: 1-line block ×5, first 2 shown]
	buffer_load_dword v77, off, s[20:23], 0 offset:32 ; 4-byte Folded Reload
	buffer_load_dword v78, off, s[20:23], 0 offset:36 ; 4-byte Folded Reload
	;; [unrolled: 1-line block ×4, first 2 shown]
	v_mov_b32_e32 v69, v73
	v_mov_b32_e32 v70, v74
	;; [unrolled: 1-line block ×4, first 2 shown]
	s_waitcnt vmcnt(0)
	ds_write2_b64 v125, v[77:78], v[79:80] offset0:62 offset1:63
	buffer_load_dword v73, off, s[20:23], 0 offset:16 ; 4-byte Folded Reload
	buffer_load_dword v74, off, s[20:23], 0 offset:20 ; 4-byte Folded Reload
	;; [unrolled: 1-line block ×4, first 2 shown]
	s_waitcnt vmcnt(0)
	ds_write2_b64 v125, v[73:74], v[75:76] offset0:64 offset1:65
	v_mov_b32_e32 v76, v72
	v_mov_b32_e32 v75, v71
	v_mov_b32_e32 v74, v70
	v_mov_b32_e32 v73, v69
	buffer_load_dword v69, off, s[20:23], 0 ; 4-byte Folded Reload
	buffer_load_dword v70, off, s[20:23], 0 offset:4 ; 4-byte Folded Reload
	buffer_load_dword v71, off, s[20:23], 0 offset:8 ; 4-byte Folded Reload
	;; [unrolled: 1-line block ×3, first 2 shown]
	s_waitcnt vmcnt(0)
	ds_write2_b64 v125, v[69:70], v[71:72] offset0:66 offset1:67
	ds_write2_b64 v125, v[65:66], v[67:68] offset0:68 offset1:69
	ds_write2_b64 v125, v[61:62], v[63:64] offset0:70 offset1:71
	ds_write2_b64 v125, v[57:58], v[59:60] offset0:72 offset1:73
	ds_write2_b64 v125, v[53:54], v[55:56] offset0:74 offset1:75
	ds_write2_b64 v125, v[49:50], v[51:52] offset0:76 offset1:77
	ds_write2_b64 v125, v[45:46], v[47:48] offset0:78 offset1:79
	ds_write2_b64 v125, v[41:42], v[43:44] offset0:80 offset1:81
	ds_write2_b64 v125, v[37:38], v[39:40] offset0:82 offset1:83
	ds_write2_b64 v125, v[33:34], v[35:36] offset0:84 offset1:85
	ds_write2_b64 v125, v[29:30], v[31:32] offset0:86 offset1:87
	ds_write2_b64 v125, v[25:26], v[27:28] offset0:88 offset1:89
	ds_write2_b64 v125, v[21:22], v[23:24] offset0:90 offset1:91
	ds_write2_b64 v125, v[17:18], v[19:20] offset0:92 offset1:93
	ds_write2_b64 v125, v[13:14], v[15:16] offset0:94 offset1:95
	ds_write2_b64 v125, v[9:10], v[11:12] offset0:96 offset1:97
	ds_write2_b64 v125, v[5:6], v[7:8] offset0:98 offset1:99
	ds_write2_b64 v125, v[1:2], v[3:4] offset0:100 offset1:101
	ds_write2_b64 v125, v[73:74], v[75:76] offset0:102 offset1:103
	ds_read2_b64 v[97:100], v127 offset1:1
	s_waitcnt lgkmcnt(0)
	v_cmp_neq_f64_e32 vcc, 0, v[97:98]
	v_cmp_neq_f64_e64 s[2:3], 0, v[99:100]
	s_or_b64 s[2:3], vcc, s[2:3]
	s_and_b64 exec, exec, s[2:3]
	s_cbranch_execz .LBB103_107
; %bb.102:
	v_cmp_ngt_f64_e64 s[2:3], |v[97:98]|, |v[99:100]|
                                        ; implicit-def: $vgpr101_vgpr102
	s_and_saveexec_b64 s[6:7], s[2:3]
	s_xor_b64 s[2:3], exec, s[6:7]
                                        ; implicit-def: $vgpr103_vgpr104
	s_cbranch_execz .LBB103_104
; %bb.103:
	v_div_scale_f64 v[101:102], s[6:7], v[99:100], v[99:100], v[97:98]
	v_rcp_f64_e32 v[103:104], v[101:102]
	v_fma_f64 v[105:106], -v[101:102], v[103:104], 1.0
	v_fma_f64 v[103:104], v[103:104], v[105:106], v[103:104]
	v_div_scale_f64 v[105:106], vcc, v[97:98], v[99:100], v[97:98]
	v_fma_f64 v[107:108], -v[101:102], v[103:104], 1.0
	v_fma_f64 v[103:104], v[103:104], v[107:108], v[103:104]
	v_mul_f64 v[107:108], v[105:106], v[103:104]
	v_fma_f64 v[101:102], -v[101:102], v[107:108], v[105:106]
	v_div_fmas_f64 v[101:102], v[101:102], v[103:104], v[107:108]
	v_div_fixup_f64 v[101:102], v[101:102], v[99:100], v[97:98]
	v_fma_f64 v[97:98], v[97:98], v[101:102], v[99:100]
	v_div_scale_f64 v[99:100], s[6:7], v[97:98], v[97:98], 1.0
	v_div_scale_f64 v[107:108], vcc, 1.0, v[97:98], 1.0
	v_rcp_f64_e32 v[103:104], v[99:100]
	v_fma_f64 v[105:106], -v[99:100], v[103:104], 1.0
	v_fma_f64 v[103:104], v[103:104], v[105:106], v[103:104]
	v_fma_f64 v[105:106], -v[99:100], v[103:104], 1.0
	v_fma_f64 v[103:104], v[103:104], v[105:106], v[103:104]
	v_mul_f64 v[105:106], v[107:108], v[103:104]
	v_fma_f64 v[99:100], -v[99:100], v[105:106], v[107:108]
	v_div_fmas_f64 v[99:100], v[99:100], v[103:104], v[105:106]
	v_div_fixup_f64 v[103:104], v[99:100], v[97:98], 1.0
                                        ; implicit-def: $vgpr97_vgpr98
	v_mul_f64 v[101:102], v[101:102], v[103:104]
	v_xor_b32_e32 v104, 0x80000000, v104
.LBB103_104:
	s_andn2_saveexec_b64 s[2:3], s[2:3]
	s_cbranch_execz .LBB103_106
; %bb.105:
	v_div_scale_f64 v[101:102], s[6:7], v[97:98], v[97:98], v[99:100]
	v_rcp_f64_e32 v[103:104], v[101:102]
	v_fma_f64 v[105:106], -v[101:102], v[103:104], 1.0
	v_fma_f64 v[103:104], v[103:104], v[105:106], v[103:104]
	v_div_scale_f64 v[105:106], vcc, v[99:100], v[97:98], v[99:100]
	v_fma_f64 v[107:108], -v[101:102], v[103:104], 1.0
	v_fma_f64 v[103:104], v[103:104], v[107:108], v[103:104]
	v_mul_f64 v[107:108], v[105:106], v[103:104]
	v_fma_f64 v[101:102], -v[101:102], v[107:108], v[105:106]
	v_div_fmas_f64 v[101:102], v[101:102], v[103:104], v[107:108]
	v_div_fixup_f64 v[103:104], v[101:102], v[97:98], v[99:100]
	v_fma_f64 v[97:98], v[99:100], v[103:104], v[97:98]
	v_div_scale_f64 v[99:100], s[6:7], v[97:98], v[97:98], 1.0
	v_div_scale_f64 v[107:108], vcc, 1.0, v[97:98], 1.0
	v_rcp_f64_e32 v[101:102], v[99:100]
	v_fma_f64 v[105:106], -v[99:100], v[101:102], 1.0
	v_fma_f64 v[101:102], v[101:102], v[105:106], v[101:102]
	v_fma_f64 v[105:106], -v[99:100], v[101:102], 1.0
	v_fma_f64 v[101:102], v[101:102], v[105:106], v[101:102]
	v_mul_f64 v[105:106], v[107:108], v[101:102]
	v_fma_f64 v[99:100], -v[99:100], v[105:106], v[107:108]
	v_div_fmas_f64 v[99:100], v[99:100], v[101:102], v[105:106]
	v_div_fixup_f64 v[101:102], v[99:100], v[97:98], 1.0
	v_mul_f64 v[103:104], v[103:104], -v[101:102]
.LBB103_106:
	s_or_b64 exec, exec, s[2:3]
	ds_write2_b64 v127, v[101:102], v[103:104] offset1:1
.LBB103_107:
	s_or_b64 exec, exec, s[4:5]
	s_waitcnt lgkmcnt(0)
	s_barrier
	ds_read2_b64 v[69:72], v127 offset1:1
	v_cmp_lt_u32_e32 vcc, 11, v0
	s_waitcnt lgkmcnt(0)
	buffer_store_dword v69, off, s[20:23], 0 offset:1048 ; 4-byte Folded Spill
	s_nop 0
	buffer_store_dword v70, off, s[20:23], 0 offset:1052 ; 4-byte Folded Spill
	buffer_store_dword v71, off, s[20:23], 0 offset:1056 ; 4-byte Folded Spill
	buffer_store_dword v72, off, s[20:23], 0 offset:1060 ; 4-byte Folded Spill
	s_and_saveexec_b64 s[2:3], vcc
	s_cbranch_execz .LBB103_109
; %bb.108:
	buffer_load_dword v103, off, s[20:23], 0 offset:272 ; 4-byte Folded Reload
	buffer_load_dword v104, off, s[20:23], 0 offset:276 ; 4-byte Folded Reload
	;; [unrolled: 1-line block ×8, first 2 shown]
	s_waitcnt vmcnt(2)
	v_mul_f64 v[99:100], v[69:70], v[105:106]
	s_waitcnt vmcnt(0)
	v_mul_f64 v[97:98], v[71:72], v[105:106]
	v_fma_f64 v[105:106], v[71:72], v[103:104], v[99:100]
	ds_read2_b64 v[99:102], v125 offset0:24 offset1:25
	v_fma_f64 v[97:98], v[69:70], v[103:104], -v[97:98]
	buffer_load_dword v69, off, s[20:23], 0 offset:256 ; 4-byte Folded Reload
	buffer_load_dword v70, off, s[20:23], 0 offset:260 ; 4-byte Folded Reload
	buffer_load_dword v71, off, s[20:23], 0 offset:264 ; 4-byte Folded Reload
	buffer_load_dword v72, off, s[20:23], 0 offset:268 ; 4-byte Folded Reload
	s_waitcnt lgkmcnt(0)
	v_mul_f64 v[103:104], v[101:102], v[105:106]
	v_fma_f64 v[103:104], v[99:100], v[97:98], -v[103:104]
	v_mul_f64 v[99:100], v[99:100], v[105:106]
	v_fma_f64 v[99:100], v[101:102], v[97:98], v[99:100]
	s_waitcnt vmcnt(2)
	v_add_f64 v[69:70], v[69:70], -v[103:104]
	s_waitcnt vmcnt(0)
	v_add_f64 v[71:72], v[71:72], -v[99:100]
	buffer_store_dword v69, off, s[20:23], 0 offset:256 ; 4-byte Folded Spill
	s_nop 0
	buffer_store_dword v70, off, s[20:23], 0 offset:260 ; 4-byte Folded Spill
	buffer_store_dword v71, off, s[20:23], 0 offset:264 ; 4-byte Folded Spill
	buffer_store_dword v72, off, s[20:23], 0 offset:268 ; 4-byte Folded Spill
	ds_read2_b64 v[99:102], v125 offset0:26 offset1:27
	buffer_load_dword v69, off, s[20:23], 0 offset:240 ; 4-byte Folded Reload
	buffer_load_dword v70, off, s[20:23], 0 offset:244 ; 4-byte Folded Reload
	buffer_load_dword v71, off, s[20:23], 0 offset:248 ; 4-byte Folded Reload
	buffer_load_dword v72, off, s[20:23], 0 offset:252 ; 4-byte Folded Reload
	s_waitcnt lgkmcnt(0)
	v_mul_f64 v[103:104], v[101:102], v[105:106]
	v_fma_f64 v[103:104], v[99:100], v[97:98], -v[103:104]
	v_mul_f64 v[99:100], v[99:100], v[105:106]
	v_fma_f64 v[99:100], v[101:102], v[97:98], v[99:100]
	s_waitcnt vmcnt(2)
	v_add_f64 v[69:70], v[69:70], -v[103:104]
	s_waitcnt vmcnt(0)
	v_add_f64 v[71:72], v[71:72], -v[99:100]
	buffer_store_dword v69, off, s[20:23], 0 offset:240 ; 4-byte Folded Spill
	s_nop 0
	buffer_store_dword v70, off, s[20:23], 0 offset:244 ; 4-byte Folded Spill
	buffer_store_dword v71, off, s[20:23], 0 offset:248 ; 4-byte Folded Spill
	buffer_store_dword v72, off, s[20:23], 0 offset:252 ; 4-byte Folded Spill
	ds_read2_b64 v[99:102], v125 offset0:28 offset1:29
	;; [unrolled: 19-line block ×14, first 2 shown]
	v_mov_b32_e32 v69, v73
	v_mov_b32_e32 v70, v74
	;; [unrolled: 1-line block ×4, first 2 shown]
	s_waitcnt lgkmcnt(0)
	v_mul_f64 v[103:104], v[101:102], v[105:106]
	v_fma_f64 v[103:104], v[99:100], v[97:98], -v[103:104]
	v_mul_f64 v[99:100], v[99:100], v[105:106]
	v_add_f64 v[121:122], v[121:122], -v[103:104]
	v_fma_f64 v[99:100], v[101:102], v[97:98], v[99:100]
	v_add_f64 v[123:124], v[123:124], -v[99:100]
	ds_read2_b64 v[99:102], v125 offset0:54 offset1:55
	s_waitcnt lgkmcnt(0)
	v_mul_f64 v[103:104], v[101:102], v[105:106]
	v_fma_f64 v[103:104], v[99:100], v[97:98], -v[103:104]
	v_mul_f64 v[99:100], v[99:100], v[105:106]
	v_add_f64 v[117:118], v[117:118], -v[103:104]
	v_fma_f64 v[99:100], v[101:102], v[97:98], v[99:100]
	v_add_f64 v[119:120], v[119:120], -v[99:100]
	ds_read2_b64 v[99:102], v125 offset0:56 offset1:57
	;; [unrolled: 8-line block ×5, first 2 shown]
	buffer_load_dword v77, off, s[20:23], 0 offset:32 ; 4-byte Folded Reload
	buffer_load_dword v78, off, s[20:23], 0 offset:36 ; 4-byte Folded Reload
	;; [unrolled: 1-line block ×4, first 2 shown]
	s_waitcnt lgkmcnt(0)
	v_mul_f64 v[103:104], v[101:102], v[105:106]
	v_fma_f64 v[103:104], v[99:100], v[97:98], -v[103:104]
	v_mul_f64 v[99:100], v[99:100], v[105:106]
	v_fma_f64 v[99:100], v[101:102], v[97:98], v[99:100]
	s_waitcnt vmcnt(2)
	v_add_f64 v[77:78], v[77:78], -v[103:104]
	s_waitcnt vmcnt(0)
	v_add_f64 v[79:80], v[79:80], -v[99:100]
	buffer_store_dword v77, off, s[20:23], 0 offset:32 ; 4-byte Folded Spill
	s_nop 0
	buffer_store_dword v78, off, s[20:23], 0 offset:36 ; 4-byte Folded Spill
	buffer_store_dword v79, off, s[20:23], 0 offset:40 ; 4-byte Folded Spill
	;; [unrolled: 1-line block ×3, first 2 shown]
	ds_read2_b64 v[99:102], v125 offset0:64 offset1:65
	buffer_load_dword v73, off, s[20:23], 0 offset:16 ; 4-byte Folded Reload
	buffer_load_dword v74, off, s[20:23], 0 offset:20 ; 4-byte Folded Reload
	;; [unrolled: 1-line block ×4, first 2 shown]
	s_waitcnt lgkmcnt(0)
	v_mul_f64 v[103:104], v[101:102], v[105:106]
	v_fma_f64 v[103:104], v[99:100], v[97:98], -v[103:104]
	v_mul_f64 v[99:100], v[99:100], v[105:106]
	v_fma_f64 v[99:100], v[101:102], v[97:98], v[99:100]
	s_waitcnt vmcnt(2)
	v_add_f64 v[73:74], v[73:74], -v[103:104]
	s_waitcnt vmcnt(0)
	v_add_f64 v[75:76], v[75:76], -v[99:100]
	buffer_store_dword v73, off, s[20:23], 0 offset:16 ; 4-byte Folded Spill
	s_nop 0
	buffer_store_dword v74, off, s[20:23], 0 offset:20 ; 4-byte Folded Spill
	buffer_store_dword v75, off, s[20:23], 0 offset:24 ; 4-byte Folded Spill
	;; [unrolled: 1-line block ×3, first 2 shown]
	v_mov_b32_e32 v76, v72
	v_mov_b32_e32 v75, v71
	;; [unrolled: 1-line block ×4, first 2 shown]
	ds_read2_b64 v[99:102], v125 offset0:66 offset1:67
	buffer_load_dword v69, off, s[20:23], 0 ; 4-byte Folded Reload
	buffer_load_dword v70, off, s[20:23], 0 offset:4 ; 4-byte Folded Reload
	buffer_load_dword v71, off, s[20:23], 0 offset:8 ; 4-byte Folded Reload
	;; [unrolled: 1-line block ×3, first 2 shown]
	s_waitcnt lgkmcnt(0)
	v_mul_f64 v[103:104], v[101:102], v[105:106]
	v_fma_f64 v[103:104], v[99:100], v[97:98], -v[103:104]
	v_mul_f64 v[99:100], v[99:100], v[105:106]
	v_fma_f64 v[99:100], v[101:102], v[97:98], v[99:100]
	s_waitcnt vmcnt(2)
	v_add_f64 v[69:70], v[69:70], -v[103:104]
	s_waitcnt vmcnt(0)
	v_add_f64 v[71:72], v[71:72], -v[99:100]
	buffer_store_dword v69, off, s[20:23], 0 ; 4-byte Folded Spill
	s_nop 0
	buffer_store_dword v70, off, s[20:23], 0 offset:4 ; 4-byte Folded Spill
	buffer_store_dword v71, off, s[20:23], 0 offset:8 ; 4-byte Folded Spill
	;; [unrolled: 1-line block ×3, first 2 shown]
	ds_read2_b64 v[99:102], v125 offset0:68 offset1:69
	s_waitcnt lgkmcnt(0)
	v_mul_f64 v[103:104], v[101:102], v[105:106]
	v_fma_f64 v[103:104], v[99:100], v[97:98], -v[103:104]
	v_mul_f64 v[99:100], v[99:100], v[105:106]
	v_add_f64 v[65:66], v[65:66], -v[103:104]
	v_fma_f64 v[99:100], v[101:102], v[97:98], v[99:100]
	v_add_f64 v[67:68], v[67:68], -v[99:100]
	ds_read2_b64 v[99:102], v125 offset0:70 offset1:71
	s_waitcnt lgkmcnt(0)
	v_mul_f64 v[103:104], v[101:102], v[105:106]
	v_fma_f64 v[103:104], v[99:100], v[97:98], -v[103:104]
	v_mul_f64 v[99:100], v[99:100], v[105:106]
	v_add_f64 v[61:62], v[61:62], -v[103:104]
	v_fma_f64 v[99:100], v[101:102], v[97:98], v[99:100]
	v_add_f64 v[63:64], v[63:64], -v[99:100]
	;; [unrolled: 8-line block ×17, first 2 shown]
	ds_read2_b64 v[99:102], v125 offset0:102 offset1:103
	s_waitcnt lgkmcnt(0)
	v_mul_f64 v[103:104], v[101:102], v[105:106]
	v_fma_f64 v[103:104], v[99:100], v[97:98], -v[103:104]
	v_mul_f64 v[99:100], v[99:100], v[105:106]
	v_add_f64 v[73:74], v[73:74], -v[103:104]
	v_fma_f64 v[99:100], v[101:102], v[97:98], v[99:100]
	v_mov_b32_e32 v104, v98
	v_mov_b32_e32 v103, v97
	buffer_store_dword v103, off, s[20:23], 0 offset:272 ; 4-byte Folded Spill
	s_nop 0
	buffer_store_dword v104, off, s[20:23], 0 offset:276 ; 4-byte Folded Spill
	buffer_store_dword v105, off, s[20:23], 0 offset:280 ; 4-byte Folded Spill
	;; [unrolled: 1-line block ×3, first 2 shown]
	v_add_f64 v[75:76], v[75:76], -v[99:100]
.LBB103_109:
	s_or_b64 exec, exec, s[2:3]
	v_cmp_eq_u32_e32 vcc, 12, v0
	s_waitcnt vmcnt(0)
	s_barrier
	s_and_saveexec_b64 s[4:5], vcc
	s_cbranch_execz .LBB103_116
; %bb.110:
	buffer_load_dword v69, off, s[20:23], 0 offset:256 ; 4-byte Folded Reload
	buffer_load_dword v70, off, s[20:23], 0 offset:260 ; 4-byte Folded Reload
	;; [unrolled: 1-line block ×4, first 2 shown]
	s_waitcnt vmcnt(0)
	ds_write2_b64 v127, v[69:70], v[71:72] offset1:1
	buffer_load_dword v69, off, s[20:23], 0 offset:240 ; 4-byte Folded Reload
	buffer_load_dword v70, off, s[20:23], 0 offset:244 ; 4-byte Folded Reload
	buffer_load_dword v71, off, s[20:23], 0 offset:248 ; 4-byte Folded Reload
	buffer_load_dword v72, off, s[20:23], 0 offset:252 ; 4-byte Folded Reload
	s_waitcnt vmcnt(0)
	ds_write2_b64 v125, v[69:70], v[71:72] offset0:26 offset1:27
	buffer_load_dword v69, off, s[20:23], 0 offset:224 ; 4-byte Folded Reload
	buffer_load_dword v70, off, s[20:23], 0 offset:228 ; 4-byte Folded Reload
	buffer_load_dword v71, off, s[20:23], 0 offset:232 ; 4-byte Folded Reload
	buffer_load_dword v72, off, s[20:23], 0 offset:236 ; 4-byte Folded Reload
	s_waitcnt vmcnt(0)
	ds_write2_b64 v125, v[69:70], v[71:72] offset0:28 offset1:29
	;; [unrolled: 6-line block ×13, first 2 shown]
	ds_write2_b64 v125, v[121:122], v[123:124] offset0:52 offset1:53
	ds_write2_b64 v125, v[117:118], v[119:120] offset0:54 offset1:55
	;; [unrolled: 1-line block ×5, first 2 shown]
	buffer_load_dword v77, off, s[20:23], 0 offset:32 ; 4-byte Folded Reload
	buffer_load_dword v78, off, s[20:23], 0 offset:36 ; 4-byte Folded Reload
	;; [unrolled: 1-line block ×4, first 2 shown]
	v_mov_b32_e32 v69, v73
	v_mov_b32_e32 v70, v74
	;; [unrolled: 1-line block ×4, first 2 shown]
	s_waitcnt vmcnt(0)
	ds_write2_b64 v125, v[77:78], v[79:80] offset0:62 offset1:63
	buffer_load_dword v73, off, s[20:23], 0 offset:16 ; 4-byte Folded Reload
	buffer_load_dword v74, off, s[20:23], 0 offset:20 ; 4-byte Folded Reload
	buffer_load_dword v75, off, s[20:23], 0 offset:24 ; 4-byte Folded Reload
	buffer_load_dword v76, off, s[20:23], 0 offset:28 ; 4-byte Folded Reload
	s_waitcnt vmcnt(0)
	ds_write2_b64 v125, v[73:74], v[75:76] offset0:64 offset1:65
	v_mov_b32_e32 v76, v72
	v_mov_b32_e32 v75, v71
	;; [unrolled: 1-line block ×4, first 2 shown]
	buffer_load_dword v69, off, s[20:23], 0 ; 4-byte Folded Reload
	buffer_load_dword v70, off, s[20:23], 0 offset:4 ; 4-byte Folded Reload
	buffer_load_dword v71, off, s[20:23], 0 offset:8 ; 4-byte Folded Reload
	;; [unrolled: 1-line block ×3, first 2 shown]
	s_waitcnt vmcnt(0)
	ds_write2_b64 v125, v[69:70], v[71:72] offset0:66 offset1:67
	ds_write2_b64 v125, v[65:66], v[67:68] offset0:68 offset1:69
	;; [unrolled: 1-line block ×19, first 2 shown]
	ds_read2_b64 v[97:100], v127 offset1:1
	s_waitcnt lgkmcnt(0)
	v_cmp_neq_f64_e32 vcc, 0, v[97:98]
	v_cmp_neq_f64_e64 s[2:3], 0, v[99:100]
	s_or_b64 s[2:3], vcc, s[2:3]
	s_and_b64 exec, exec, s[2:3]
	s_cbranch_execz .LBB103_116
; %bb.111:
	v_cmp_ngt_f64_e64 s[2:3], |v[97:98]|, |v[99:100]|
                                        ; implicit-def: $vgpr101_vgpr102
	s_and_saveexec_b64 s[6:7], s[2:3]
	s_xor_b64 s[2:3], exec, s[6:7]
                                        ; implicit-def: $vgpr103_vgpr104
	s_cbranch_execz .LBB103_113
; %bb.112:
	v_div_scale_f64 v[101:102], s[6:7], v[99:100], v[99:100], v[97:98]
	v_rcp_f64_e32 v[103:104], v[101:102]
	v_fma_f64 v[105:106], -v[101:102], v[103:104], 1.0
	v_fma_f64 v[103:104], v[103:104], v[105:106], v[103:104]
	v_div_scale_f64 v[105:106], vcc, v[97:98], v[99:100], v[97:98]
	v_fma_f64 v[107:108], -v[101:102], v[103:104], 1.0
	v_fma_f64 v[103:104], v[103:104], v[107:108], v[103:104]
	v_mul_f64 v[107:108], v[105:106], v[103:104]
	v_fma_f64 v[101:102], -v[101:102], v[107:108], v[105:106]
	v_div_fmas_f64 v[101:102], v[101:102], v[103:104], v[107:108]
	v_div_fixup_f64 v[101:102], v[101:102], v[99:100], v[97:98]
	v_fma_f64 v[97:98], v[97:98], v[101:102], v[99:100]
	v_div_scale_f64 v[99:100], s[6:7], v[97:98], v[97:98], 1.0
	v_div_scale_f64 v[107:108], vcc, 1.0, v[97:98], 1.0
	v_rcp_f64_e32 v[103:104], v[99:100]
	v_fma_f64 v[105:106], -v[99:100], v[103:104], 1.0
	v_fma_f64 v[103:104], v[103:104], v[105:106], v[103:104]
	v_fma_f64 v[105:106], -v[99:100], v[103:104], 1.0
	v_fma_f64 v[103:104], v[103:104], v[105:106], v[103:104]
	v_mul_f64 v[105:106], v[107:108], v[103:104]
	v_fma_f64 v[99:100], -v[99:100], v[105:106], v[107:108]
	v_div_fmas_f64 v[99:100], v[99:100], v[103:104], v[105:106]
	v_div_fixup_f64 v[103:104], v[99:100], v[97:98], 1.0
                                        ; implicit-def: $vgpr97_vgpr98
	v_mul_f64 v[101:102], v[101:102], v[103:104]
	v_xor_b32_e32 v104, 0x80000000, v104
.LBB103_113:
	s_andn2_saveexec_b64 s[2:3], s[2:3]
	s_cbranch_execz .LBB103_115
; %bb.114:
	v_div_scale_f64 v[101:102], s[6:7], v[97:98], v[97:98], v[99:100]
	v_rcp_f64_e32 v[103:104], v[101:102]
	v_fma_f64 v[105:106], -v[101:102], v[103:104], 1.0
	v_fma_f64 v[103:104], v[103:104], v[105:106], v[103:104]
	v_div_scale_f64 v[105:106], vcc, v[99:100], v[97:98], v[99:100]
	v_fma_f64 v[107:108], -v[101:102], v[103:104], 1.0
	v_fma_f64 v[103:104], v[103:104], v[107:108], v[103:104]
	v_mul_f64 v[107:108], v[105:106], v[103:104]
	v_fma_f64 v[101:102], -v[101:102], v[107:108], v[105:106]
	v_div_fmas_f64 v[101:102], v[101:102], v[103:104], v[107:108]
	v_div_fixup_f64 v[103:104], v[101:102], v[97:98], v[99:100]
	v_fma_f64 v[97:98], v[99:100], v[103:104], v[97:98]
	v_div_scale_f64 v[99:100], s[6:7], v[97:98], v[97:98], 1.0
	v_div_scale_f64 v[107:108], vcc, 1.0, v[97:98], 1.0
	v_rcp_f64_e32 v[101:102], v[99:100]
	v_fma_f64 v[105:106], -v[99:100], v[101:102], 1.0
	v_fma_f64 v[101:102], v[101:102], v[105:106], v[101:102]
	v_fma_f64 v[105:106], -v[99:100], v[101:102], 1.0
	v_fma_f64 v[101:102], v[101:102], v[105:106], v[101:102]
	v_mul_f64 v[105:106], v[107:108], v[101:102]
	v_fma_f64 v[99:100], -v[99:100], v[105:106], v[107:108]
	v_div_fmas_f64 v[99:100], v[99:100], v[101:102], v[105:106]
	v_div_fixup_f64 v[101:102], v[99:100], v[97:98], 1.0
	v_mul_f64 v[103:104], v[103:104], -v[101:102]
.LBB103_115:
	s_or_b64 exec, exec, s[2:3]
	ds_write2_b64 v127, v[101:102], v[103:104] offset1:1
.LBB103_116:
	s_or_b64 exec, exec, s[4:5]
	s_waitcnt lgkmcnt(0)
	s_barrier
	ds_read2_b64 v[69:72], v127 offset1:1
	v_cmp_lt_u32_e32 vcc, 12, v0
	s_waitcnt lgkmcnt(0)
	buffer_store_dword v69, off, s[20:23], 0 offset:1064 ; 4-byte Folded Spill
	s_nop 0
	buffer_store_dword v70, off, s[20:23], 0 offset:1068 ; 4-byte Folded Spill
	buffer_store_dword v71, off, s[20:23], 0 offset:1072 ; 4-byte Folded Spill
	;; [unrolled: 1-line block ×3, first 2 shown]
	s_and_saveexec_b64 s[2:3], vcc
	s_cbranch_execz .LBB103_118
; %bb.117:
	buffer_load_dword v103, off, s[20:23], 0 offset:256 ; 4-byte Folded Reload
	buffer_load_dword v104, off, s[20:23], 0 offset:260 ; 4-byte Folded Reload
	;; [unrolled: 1-line block ×8, first 2 shown]
	s_waitcnt vmcnt(2)
	v_mul_f64 v[99:100], v[69:70], v[105:106]
	s_waitcnt vmcnt(0)
	v_mul_f64 v[97:98], v[71:72], v[105:106]
	v_fma_f64 v[105:106], v[71:72], v[103:104], v[99:100]
	ds_read2_b64 v[99:102], v125 offset0:26 offset1:27
	v_fma_f64 v[97:98], v[69:70], v[103:104], -v[97:98]
	buffer_load_dword v69, off, s[20:23], 0 offset:240 ; 4-byte Folded Reload
	buffer_load_dword v70, off, s[20:23], 0 offset:244 ; 4-byte Folded Reload
	buffer_load_dword v71, off, s[20:23], 0 offset:248 ; 4-byte Folded Reload
	buffer_load_dword v72, off, s[20:23], 0 offset:252 ; 4-byte Folded Reload
	s_waitcnt lgkmcnt(0)
	v_mul_f64 v[103:104], v[101:102], v[105:106]
	v_fma_f64 v[103:104], v[99:100], v[97:98], -v[103:104]
	v_mul_f64 v[99:100], v[99:100], v[105:106]
	v_fma_f64 v[99:100], v[101:102], v[97:98], v[99:100]
	s_waitcnt vmcnt(2)
	v_add_f64 v[69:70], v[69:70], -v[103:104]
	s_waitcnt vmcnt(0)
	v_add_f64 v[71:72], v[71:72], -v[99:100]
	buffer_store_dword v69, off, s[20:23], 0 offset:240 ; 4-byte Folded Spill
	s_nop 0
	buffer_store_dword v70, off, s[20:23], 0 offset:244 ; 4-byte Folded Spill
	buffer_store_dword v71, off, s[20:23], 0 offset:248 ; 4-byte Folded Spill
	buffer_store_dword v72, off, s[20:23], 0 offset:252 ; 4-byte Folded Spill
	ds_read2_b64 v[99:102], v125 offset0:28 offset1:29
	buffer_load_dword v69, off, s[20:23], 0 offset:224 ; 4-byte Folded Reload
	buffer_load_dword v70, off, s[20:23], 0 offset:228 ; 4-byte Folded Reload
	buffer_load_dword v71, off, s[20:23], 0 offset:232 ; 4-byte Folded Reload
	buffer_load_dword v72, off, s[20:23], 0 offset:236 ; 4-byte Folded Reload
	s_waitcnt lgkmcnt(0)
	v_mul_f64 v[103:104], v[101:102], v[105:106]
	v_fma_f64 v[103:104], v[99:100], v[97:98], -v[103:104]
	v_mul_f64 v[99:100], v[99:100], v[105:106]
	v_fma_f64 v[99:100], v[101:102], v[97:98], v[99:100]
	s_waitcnt vmcnt(2)
	v_add_f64 v[69:70], v[69:70], -v[103:104]
	s_waitcnt vmcnt(0)
	v_add_f64 v[71:72], v[71:72], -v[99:100]
	buffer_store_dword v69, off, s[20:23], 0 offset:224 ; 4-byte Folded Spill
	s_nop 0
	buffer_store_dword v70, off, s[20:23], 0 offset:228 ; 4-byte Folded Spill
	buffer_store_dword v71, off, s[20:23], 0 offset:232 ; 4-byte Folded Spill
	buffer_store_dword v72, off, s[20:23], 0 offset:236 ; 4-byte Folded Spill
	ds_read2_b64 v[99:102], v125 offset0:30 offset1:31
	;; [unrolled: 19-line block ×13, first 2 shown]
	v_mov_b32_e32 v69, v73
	v_mov_b32_e32 v70, v74
	;; [unrolled: 1-line block ×4, first 2 shown]
	s_waitcnt lgkmcnt(0)
	v_mul_f64 v[103:104], v[101:102], v[105:106]
	v_fma_f64 v[103:104], v[99:100], v[97:98], -v[103:104]
	v_mul_f64 v[99:100], v[99:100], v[105:106]
	v_add_f64 v[121:122], v[121:122], -v[103:104]
	v_fma_f64 v[99:100], v[101:102], v[97:98], v[99:100]
	v_add_f64 v[123:124], v[123:124], -v[99:100]
	ds_read2_b64 v[99:102], v125 offset0:54 offset1:55
	s_waitcnt lgkmcnt(0)
	v_mul_f64 v[103:104], v[101:102], v[105:106]
	v_fma_f64 v[103:104], v[99:100], v[97:98], -v[103:104]
	v_mul_f64 v[99:100], v[99:100], v[105:106]
	v_add_f64 v[117:118], v[117:118], -v[103:104]
	v_fma_f64 v[99:100], v[101:102], v[97:98], v[99:100]
	v_add_f64 v[119:120], v[119:120], -v[99:100]
	ds_read2_b64 v[99:102], v125 offset0:56 offset1:57
	;; [unrolled: 8-line block ×5, first 2 shown]
	buffer_load_dword v77, off, s[20:23], 0 offset:32 ; 4-byte Folded Reload
	buffer_load_dword v78, off, s[20:23], 0 offset:36 ; 4-byte Folded Reload
	;; [unrolled: 1-line block ×4, first 2 shown]
	s_waitcnt lgkmcnt(0)
	v_mul_f64 v[103:104], v[101:102], v[105:106]
	v_fma_f64 v[103:104], v[99:100], v[97:98], -v[103:104]
	v_mul_f64 v[99:100], v[99:100], v[105:106]
	v_fma_f64 v[99:100], v[101:102], v[97:98], v[99:100]
	s_waitcnt vmcnt(2)
	v_add_f64 v[77:78], v[77:78], -v[103:104]
	s_waitcnt vmcnt(0)
	v_add_f64 v[79:80], v[79:80], -v[99:100]
	buffer_store_dword v77, off, s[20:23], 0 offset:32 ; 4-byte Folded Spill
	s_nop 0
	buffer_store_dword v78, off, s[20:23], 0 offset:36 ; 4-byte Folded Spill
	buffer_store_dword v79, off, s[20:23], 0 offset:40 ; 4-byte Folded Spill
	;; [unrolled: 1-line block ×3, first 2 shown]
	ds_read2_b64 v[99:102], v125 offset0:64 offset1:65
	buffer_load_dword v73, off, s[20:23], 0 offset:16 ; 4-byte Folded Reload
	buffer_load_dword v74, off, s[20:23], 0 offset:20 ; 4-byte Folded Reload
	buffer_load_dword v75, off, s[20:23], 0 offset:24 ; 4-byte Folded Reload
	buffer_load_dword v76, off, s[20:23], 0 offset:28 ; 4-byte Folded Reload
	s_waitcnt lgkmcnt(0)
	v_mul_f64 v[103:104], v[101:102], v[105:106]
	v_fma_f64 v[103:104], v[99:100], v[97:98], -v[103:104]
	v_mul_f64 v[99:100], v[99:100], v[105:106]
	v_fma_f64 v[99:100], v[101:102], v[97:98], v[99:100]
	s_waitcnt vmcnt(2)
	v_add_f64 v[73:74], v[73:74], -v[103:104]
	s_waitcnt vmcnt(0)
	v_add_f64 v[75:76], v[75:76], -v[99:100]
	buffer_store_dword v73, off, s[20:23], 0 offset:16 ; 4-byte Folded Spill
	s_nop 0
	buffer_store_dword v74, off, s[20:23], 0 offset:20 ; 4-byte Folded Spill
	buffer_store_dword v75, off, s[20:23], 0 offset:24 ; 4-byte Folded Spill
	buffer_store_dword v76, off, s[20:23], 0 offset:28 ; 4-byte Folded Spill
	v_mov_b32_e32 v76, v72
	v_mov_b32_e32 v75, v71
	;; [unrolled: 1-line block ×4, first 2 shown]
	ds_read2_b64 v[99:102], v125 offset0:66 offset1:67
	buffer_load_dword v69, off, s[20:23], 0 ; 4-byte Folded Reload
	buffer_load_dword v70, off, s[20:23], 0 offset:4 ; 4-byte Folded Reload
	buffer_load_dword v71, off, s[20:23], 0 offset:8 ; 4-byte Folded Reload
	buffer_load_dword v72, off, s[20:23], 0 offset:12 ; 4-byte Folded Reload
	s_waitcnt lgkmcnt(0)
	v_mul_f64 v[103:104], v[101:102], v[105:106]
	v_fma_f64 v[103:104], v[99:100], v[97:98], -v[103:104]
	v_mul_f64 v[99:100], v[99:100], v[105:106]
	v_fma_f64 v[99:100], v[101:102], v[97:98], v[99:100]
	s_waitcnt vmcnt(2)
	v_add_f64 v[69:70], v[69:70], -v[103:104]
	s_waitcnt vmcnt(0)
	v_add_f64 v[71:72], v[71:72], -v[99:100]
	buffer_store_dword v69, off, s[20:23], 0 ; 4-byte Folded Spill
	s_nop 0
	buffer_store_dword v70, off, s[20:23], 0 offset:4 ; 4-byte Folded Spill
	buffer_store_dword v71, off, s[20:23], 0 offset:8 ; 4-byte Folded Spill
	;; [unrolled: 1-line block ×3, first 2 shown]
	ds_read2_b64 v[99:102], v125 offset0:68 offset1:69
	s_waitcnt lgkmcnt(0)
	v_mul_f64 v[103:104], v[101:102], v[105:106]
	v_fma_f64 v[103:104], v[99:100], v[97:98], -v[103:104]
	v_mul_f64 v[99:100], v[99:100], v[105:106]
	v_add_f64 v[65:66], v[65:66], -v[103:104]
	v_fma_f64 v[99:100], v[101:102], v[97:98], v[99:100]
	v_add_f64 v[67:68], v[67:68], -v[99:100]
	ds_read2_b64 v[99:102], v125 offset0:70 offset1:71
	s_waitcnt lgkmcnt(0)
	v_mul_f64 v[103:104], v[101:102], v[105:106]
	v_fma_f64 v[103:104], v[99:100], v[97:98], -v[103:104]
	v_mul_f64 v[99:100], v[99:100], v[105:106]
	v_add_f64 v[61:62], v[61:62], -v[103:104]
	v_fma_f64 v[99:100], v[101:102], v[97:98], v[99:100]
	v_add_f64 v[63:64], v[63:64], -v[99:100]
	;; [unrolled: 8-line block ×17, first 2 shown]
	ds_read2_b64 v[99:102], v125 offset0:102 offset1:103
	s_waitcnt lgkmcnt(0)
	v_mul_f64 v[103:104], v[101:102], v[105:106]
	v_fma_f64 v[103:104], v[99:100], v[97:98], -v[103:104]
	v_mul_f64 v[99:100], v[99:100], v[105:106]
	v_add_f64 v[73:74], v[73:74], -v[103:104]
	v_fma_f64 v[99:100], v[101:102], v[97:98], v[99:100]
	v_mov_b32_e32 v104, v98
	v_mov_b32_e32 v103, v97
	buffer_store_dword v103, off, s[20:23], 0 offset:256 ; 4-byte Folded Spill
	s_nop 0
	buffer_store_dword v104, off, s[20:23], 0 offset:260 ; 4-byte Folded Spill
	buffer_store_dword v105, off, s[20:23], 0 offset:264 ; 4-byte Folded Spill
	;; [unrolled: 1-line block ×3, first 2 shown]
	v_add_f64 v[75:76], v[75:76], -v[99:100]
.LBB103_118:
	s_or_b64 exec, exec, s[2:3]
	v_cmp_eq_u32_e32 vcc, 13, v0
	s_waitcnt vmcnt(0)
	s_barrier
	s_and_saveexec_b64 s[4:5], vcc
	s_cbranch_execz .LBB103_125
; %bb.119:
	buffer_load_dword v69, off, s[20:23], 0 offset:240 ; 4-byte Folded Reload
	buffer_load_dword v70, off, s[20:23], 0 offset:244 ; 4-byte Folded Reload
	buffer_load_dword v71, off, s[20:23], 0 offset:248 ; 4-byte Folded Reload
	buffer_load_dword v72, off, s[20:23], 0 offset:252 ; 4-byte Folded Reload
	s_waitcnt vmcnt(0)
	ds_write2_b64 v127, v[69:70], v[71:72] offset1:1
	buffer_load_dword v69, off, s[20:23], 0 offset:224 ; 4-byte Folded Reload
	buffer_load_dword v70, off, s[20:23], 0 offset:228 ; 4-byte Folded Reload
	buffer_load_dword v71, off, s[20:23], 0 offset:232 ; 4-byte Folded Reload
	buffer_load_dword v72, off, s[20:23], 0 offset:236 ; 4-byte Folded Reload
	s_waitcnt vmcnt(0)
	ds_write2_b64 v125, v[69:70], v[71:72] offset0:28 offset1:29
	buffer_load_dword v69, off, s[20:23], 0 offset:208 ; 4-byte Folded Reload
	buffer_load_dword v70, off, s[20:23], 0 offset:212 ; 4-byte Folded Reload
	buffer_load_dword v71, off, s[20:23], 0 offset:216 ; 4-byte Folded Reload
	buffer_load_dword v72, off, s[20:23], 0 offset:220 ; 4-byte Folded Reload
	s_waitcnt vmcnt(0)
	ds_write2_b64 v125, v[69:70], v[71:72] offset0:30 offset1:31
	;; [unrolled: 6-line block ×12, first 2 shown]
	ds_write2_b64 v125, v[121:122], v[123:124] offset0:52 offset1:53
	ds_write2_b64 v125, v[117:118], v[119:120] offset0:54 offset1:55
	ds_write2_b64 v125, v[109:110], v[111:112] offset0:56 offset1:57
	ds_write2_b64 v125, v[113:114], v[115:116] offset0:58 offset1:59
	ds_write2_b64 v125, v[93:94], v[95:96] offset0:60 offset1:61
	buffer_load_dword v77, off, s[20:23], 0 offset:32 ; 4-byte Folded Reload
	buffer_load_dword v78, off, s[20:23], 0 offset:36 ; 4-byte Folded Reload
	;; [unrolled: 1-line block ×4, first 2 shown]
	v_mov_b32_e32 v69, v73
	v_mov_b32_e32 v70, v74
	v_mov_b32_e32 v71, v75
	v_mov_b32_e32 v72, v76
	s_waitcnt vmcnt(0)
	ds_write2_b64 v125, v[77:78], v[79:80] offset0:62 offset1:63
	buffer_load_dword v73, off, s[20:23], 0 offset:16 ; 4-byte Folded Reload
	buffer_load_dword v74, off, s[20:23], 0 offset:20 ; 4-byte Folded Reload
	;; [unrolled: 1-line block ×4, first 2 shown]
	s_waitcnt vmcnt(0)
	ds_write2_b64 v125, v[73:74], v[75:76] offset0:64 offset1:65
	v_mov_b32_e32 v76, v72
	v_mov_b32_e32 v75, v71
	;; [unrolled: 1-line block ×4, first 2 shown]
	buffer_load_dword v69, off, s[20:23], 0 ; 4-byte Folded Reload
	buffer_load_dword v70, off, s[20:23], 0 offset:4 ; 4-byte Folded Reload
	buffer_load_dword v71, off, s[20:23], 0 offset:8 ; 4-byte Folded Reload
	;; [unrolled: 1-line block ×3, first 2 shown]
	s_waitcnt vmcnt(0)
	ds_write2_b64 v125, v[69:70], v[71:72] offset0:66 offset1:67
	ds_write2_b64 v125, v[65:66], v[67:68] offset0:68 offset1:69
	;; [unrolled: 1-line block ×19, first 2 shown]
	ds_read2_b64 v[97:100], v127 offset1:1
	s_waitcnt lgkmcnt(0)
	v_cmp_neq_f64_e32 vcc, 0, v[97:98]
	v_cmp_neq_f64_e64 s[2:3], 0, v[99:100]
	s_or_b64 s[2:3], vcc, s[2:3]
	s_and_b64 exec, exec, s[2:3]
	s_cbranch_execz .LBB103_125
; %bb.120:
	v_cmp_ngt_f64_e64 s[2:3], |v[97:98]|, |v[99:100]|
                                        ; implicit-def: $vgpr101_vgpr102
	s_and_saveexec_b64 s[6:7], s[2:3]
	s_xor_b64 s[2:3], exec, s[6:7]
                                        ; implicit-def: $vgpr103_vgpr104
	s_cbranch_execz .LBB103_122
; %bb.121:
	v_div_scale_f64 v[101:102], s[6:7], v[99:100], v[99:100], v[97:98]
	v_rcp_f64_e32 v[103:104], v[101:102]
	v_fma_f64 v[105:106], -v[101:102], v[103:104], 1.0
	v_fma_f64 v[103:104], v[103:104], v[105:106], v[103:104]
	v_div_scale_f64 v[105:106], vcc, v[97:98], v[99:100], v[97:98]
	v_fma_f64 v[107:108], -v[101:102], v[103:104], 1.0
	v_fma_f64 v[103:104], v[103:104], v[107:108], v[103:104]
	v_mul_f64 v[107:108], v[105:106], v[103:104]
	v_fma_f64 v[101:102], -v[101:102], v[107:108], v[105:106]
	v_div_fmas_f64 v[101:102], v[101:102], v[103:104], v[107:108]
	v_div_fixup_f64 v[101:102], v[101:102], v[99:100], v[97:98]
	v_fma_f64 v[97:98], v[97:98], v[101:102], v[99:100]
	v_div_scale_f64 v[99:100], s[6:7], v[97:98], v[97:98], 1.0
	v_div_scale_f64 v[107:108], vcc, 1.0, v[97:98], 1.0
	v_rcp_f64_e32 v[103:104], v[99:100]
	v_fma_f64 v[105:106], -v[99:100], v[103:104], 1.0
	v_fma_f64 v[103:104], v[103:104], v[105:106], v[103:104]
	v_fma_f64 v[105:106], -v[99:100], v[103:104], 1.0
	v_fma_f64 v[103:104], v[103:104], v[105:106], v[103:104]
	v_mul_f64 v[105:106], v[107:108], v[103:104]
	v_fma_f64 v[99:100], -v[99:100], v[105:106], v[107:108]
	v_div_fmas_f64 v[99:100], v[99:100], v[103:104], v[105:106]
	v_div_fixup_f64 v[103:104], v[99:100], v[97:98], 1.0
                                        ; implicit-def: $vgpr97_vgpr98
	v_mul_f64 v[101:102], v[101:102], v[103:104]
	v_xor_b32_e32 v104, 0x80000000, v104
.LBB103_122:
	s_andn2_saveexec_b64 s[2:3], s[2:3]
	s_cbranch_execz .LBB103_124
; %bb.123:
	v_div_scale_f64 v[101:102], s[6:7], v[97:98], v[97:98], v[99:100]
	v_rcp_f64_e32 v[103:104], v[101:102]
	v_fma_f64 v[105:106], -v[101:102], v[103:104], 1.0
	v_fma_f64 v[103:104], v[103:104], v[105:106], v[103:104]
	v_div_scale_f64 v[105:106], vcc, v[99:100], v[97:98], v[99:100]
	v_fma_f64 v[107:108], -v[101:102], v[103:104], 1.0
	v_fma_f64 v[103:104], v[103:104], v[107:108], v[103:104]
	v_mul_f64 v[107:108], v[105:106], v[103:104]
	v_fma_f64 v[101:102], -v[101:102], v[107:108], v[105:106]
	v_div_fmas_f64 v[101:102], v[101:102], v[103:104], v[107:108]
	v_div_fixup_f64 v[103:104], v[101:102], v[97:98], v[99:100]
	v_fma_f64 v[97:98], v[99:100], v[103:104], v[97:98]
	v_div_scale_f64 v[99:100], s[6:7], v[97:98], v[97:98], 1.0
	v_div_scale_f64 v[107:108], vcc, 1.0, v[97:98], 1.0
	v_rcp_f64_e32 v[101:102], v[99:100]
	v_fma_f64 v[105:106], -v[99:100], v[101:102], 1.0
	v_fma_f64 v[101:102], v[101:102], v[105:106], v[101:102]
	v_fma_f64 v[105:106], -v[99:100], v[101:102], 1.0
	v_fma_f64 v[101:102], v[101:102], v[105:106], v[101:102]
	v_mul_f64 v[105:106], v[107:108], v[101:102]
	v_fma_f64 v[99:100], -v[99:100], v[105:106], v[107:108]
	v_div_fmas_f64 v[99:100], v[99:100], v[101:102], v[105:106]
	v_div_fixup_f64 v[101:102], v[99:100], v[97:98], 1.0
	v_mul_f64 v[103:104], v[103:104], -v[101:102]
.LBB103_124:
	s_or_b64 exec, exec, s[2:3]
	ds_write2_b64 v127, v[101:102], v[103:104] offset1:1
.LBB103_125:
	s_or_b64 exec, exec, s[4:5]
	s_waitcnt lgkmcnt(0)
	s_barrier
	ds_read2_b64 v[69:72], v127 offset1:1
	v_cmp_lt_u32_e32 vcc, 13, v0
	s_waitcnt lgkmcnt(0)
	buffer_store_dword v69, off, s[20:23], 0 offset:1080 ; 4-byte Folded Spill
	s_nop 0
	buffer_store_dword v70, off, s[20:23], 0 offset:1084 ; 4-byte Folded Spill
	buffer_store_dword v71, off, s[20:23], 0 offset:1088 ; 4-byte Folded Spill
	;; [unrolled: 1-line block ×3, first 2 shown]
	s_and_saveexec_b64 s[2:3], vcc
	s_cbranch_execz .LBB103_127
; %bb.126:
	buffer_load_dword v103, off, s[20:23], 0 offset:240 ; 4-byte Folded Reload
	buffer_load_dword v104, off, s[20:23], 0 offset:244 ; 4-byte Folded Reload
	;; [unrolled: 1-line block ×8, first 2 shown]
	s_waitcnt vmcnt(2)
	v_mul_f64 v[99:100], v[69:70], v[105:106]
	s_waitcnt vmcnt(0)
	v_mul_f64 v[97:98], v[71:72], v[105:106]
	v_fma_f64 v[105:106], v[71:72], v[103:104], v[99:100]
	ds_read2_b64 v[99:102], v125 offset0:28 offset1:29
	v_fma_f64 v[97:98], v[69:70], v[103:104], -v[97:98]
	buffer_load_dword v69, off, s[20:23], 0 offset:224 ; 4-byte Folded Reload
	buffer_load_dword v70, off, s[20:23], 0 offset:228 ; 4-byte Folded Reload
	buffer_load_dword v71, off, s[20:23], 0 offset:232 ; 4-byte Folded Reload
	buffer_load_dword v72, off, s[20:23], 0 offset:236 ; 4-byte Folded Reload
	s_waitcnt lgkmcnt(0)
	v_mul_f64 v[103:104], v[101:102], v[105:106]
	v_fma_f64 v[103:104], v[99:100], v[97:98], -v[103:104]
	v_mul_f64 v[99:100], v[99:100], v[105:106]
	v_fma_f64 v[99:100], v[101:102], v[97:98], v[99:100]
	s_waitcnt vmcnt(2)
	v_add_f64 v[69:70], v[69:70], -v[103:104]
	s_waitcnt vmcnt(0)
	v_add_f64 v[71:72], v[71:72], -v[99:100]
	buffer_store_dword v69, off, s[20:23], 0 offset:224 ; 4-byte Folded Spill
	s_nop 0
	buffer_store_dword v70, off, s[20:23], 0 offset:228 ; 4-byte Folded Spill
	buffer_store_dword v71, off, s[20:23], 0 offset:232 ; 4-byte Folded Spill
	buffer_store_dword v72, off, s[20:23], 0 offset:236 ; 4-byte Folded Spill
	ds_read2_b64 v[99:102], v125 offset0:30 offset1:31
	buffer_load_dword v69, off, s[20:23], 0 offset:208 ; 4-byte Folded Reload
	buffer_load_dword v70, off, s[20:23], 0 offset:212 ; 4-byte Folded Reload
	buffer_load_dword v71, off, s[20:23], 0 offset:216 ; 4-byte Folded Reload
	buffer_load_dword v72, off, s[20:23], 0 offset:220 ; 4-byte Folded Reload
	s_waitcnt lgkmcnt(0)
	v_mul_f64 v[103:104], v[101:102], v[105:106]
	v_fma_f64 v[103:104], v[99:100], v[97:98], -v[103:104]
	v_mul_f64 v[99:100], v[99:100], v[105:106]
	v_fma_f64 v[99:100], v[101:102], v[97:98], v[99:100]
	s_waitcnt vmcnt(2)
	v_add_f64 v[69:70], v[69:70], -v[103:104]
	s_waitcnt vmcnt(0)
	v_add_f64 v[71:72], v[71:72], -v[99:100]
	buffer_store_dword v69, off, s[20:23], 0 offset:208 ; 4-byte Folded Spill
	s_nop 0
	buffer_store_dword v70, off, s[20:23], 0 offset:212 ; 4-byte Folded Spill
	buffer_store_dword v71, off, s[20:23], 0 offset:216 ; 4-byte Folded Spill
	buffer_store_dword v72, off, s[20:23], 0 offset:220 ; 4-byte Folded Spill
	ds_read2_b64 v[99:102], v125 offset0:32 offset1:33
	;; [unrolled: 19-line block ×12, first 2 shown]
	v_mov_b32_e32 v69, v73
	v_mov_b32_e32 v70, v74
	;; [unrolled: 1-line block ×4, first 2 shown]
	s_waitcnt lgkmcnt(0)
	v_mul_f64 v[103:104], v[101:102], v[105:106]
	v_fma_f64 v[103:104], v[99:100], v[97:98], -v[103:104]
	v_mul_f64 v[99:100], v[99:100], v[105:106]
	v_add_f64 v[121:122], v[121:122], -v[103:104]
	v_fma_f64 v[99:100], v[101:102], v[97:98], v[99:100]
	v_add_f64 v[123:124], v[123:124], -v[99:100]
	ds_read2_b64 v[99:102], v125 offset0:54 offset1:55
	s_waitcnt lgkmcnt(0)
	v_mul_f64 v[103:104], v[101:102], v[105:106]
	v_fma_f64 v[103:104], v[99:100], v[97:98], -v[103:104]
	v_mul_f64 v[99:100], v[99:100], v[105:106]
	v_add_f64 v[117:118], v[117:118], -v[103:104]
	v_fma_f64 v[99:100], v[101:102], v[97:98], v[99:100]
	v_add_f64 v[119:120], v[119:120], -v[99:100]
	ds_read2_b64 v[99:102], v125 offset0:56 offset1:57
	;; [unrolled: 8-line block ×5, first 2 shown]
	buffer_load_dword v77, off, s[20:23], 0 offset:32 ; 4-byte Folded Reload
	buffer_load_dword v78, off, s[20:23], 0 offset:36 ; 4-byte Folded Reload
	buffer_load_dword v79, off, s[20:23], 0 offset:40 ; 4-byte Folded Reload
	buffer_load_dword v80, off, s[20:23], 0 offset:44 ; 4-byte Folded Reload
	s_waitcnt lgkmcnt(0)
	v_mul_f64 v[103:104], v[101:102], v[105:106]
	v_fma_f64 v[103:104], v[99:100], v[97:98], -v[103:104]
	v_mul_f64 v[99:100], v[99:100], v[105:106]
	v_fma_f64 v[99:100], v[101:102], v[97:98], v[99:100]
	s_waitcnt vmcnt(2)
	v_add_f64 v[77:78], v[77:78], -v[103:104]
	s_waitcnt vmcnt(0)
	v_add_f64 v[79:80], v[79:80], -v[99:100]
	buffer_store_dword v77, off, s[20:23], 0 offset:32 ; 4-byte Folded Spill
	s_nop 0
	buffer_store_dword v78, off, s[20:23], 0 offset:36 ; 4-byte Folded Spill
	buffer_store_dword v79, off, s[20:23], 0 offset:40 ; 4-byte Folded Spill
	;; [unrolled: 1-line block ×3, first 2 shown]
	ds_read2_b64 v[99:102], v125 offset0:64 offset1:65
	buffer_load_dword v73, off, s[20:23], 0 offset:16 ; 4-byte Folded Reload
	buffer_load_dword v74, off, s[20:23], 0 offset:20 ; 4-byte Folded Reload
	;; [unrolled: 1-line block ×4, first 2 shown]
	s_waitcnt lgkmcnt(0)
	v_mul_f64 v[103:104], v[101:102], v[105:106]
	v_fma_f64 v[103:104], v[99:100], v[97:98], -v[103:104]
	v_mul_f64 v[99:100], v[99:100], v[105:106]
	v_fma_f64 v[99:100], v[101:102], v[97:98], v[99:100]
	s_waitcnt vmcnt(2)
	v_add_f64 v[73:74], v[73:74], -v[103:104]
	s_waitcnt vmcnt(0)
	v_add_f64 v[75:76], v[75:76], -v[99:100]
	buffer_store_dword v73, off, s[20:23], 0 offset:16 ; 4-byte Folded Spill
	s_nop 0
	buffer_store_dword v74, off, s[20:23], 0 offset:20 ; 4-byte Folded Spill
	buffer_store_dword v75, off, s[20:23], 0 offset:24 ; 4-byte Folded Spill
	;; [unrolled: 1-line block ×3, first 2 shown]
	v_mov_b32_e32 v76, v72
	v_mov_b32_e32 v75, v71
	;; [unrolled: 1-line block ×4, first 2 shown]
	ds_read2_b64 v[99:102], v125 offset0:66 offset1:67
	buffer_load_dword v69, off, s[20:23], 0 ; 4-byte Folded Reload
	buffer_load_dword v70, off, s[20:23], 0 offset:4 ; 4-byte Folded Reload
	buffer_load_dword v71, off, s[20:23], 0 offset:8 ; 4-byte Folded Reload
	;; [unrolled: 1-line block ×3, first 2 shown]
	s_waitcnt lgkmcnt(0)
	v_mul_f64 v[103:104], v[101:102], v[105:106]
	v_fma_f64 v[103:104], v[99:100], v[97:98], -v[103:104]
	v_mul_f64 v[99:100], v[99:100], v[105:106]
	v_fma_f64 v[99:100], v[101:102], v[97:98], v[99:100]
	s_waitcnt vmcnt(2)
	v_add_f64 v[69:70], v[69:70], -v[103:104]
	s_waitcnt vmcnt(0)
	v_add_f64 v[71:72], v[71:72], -v[99:100]
	buffer_store_dword v69, off, s[20:23], 0 ; 4-byte Folded Spill
	s_nop 0
	buffer_store_dword v70, off, s[20:23], 0 offset:4 ; 4-byte Folded Spill
	buffer_store_dword v71, off, s[20:23], 0 offset:8 ; 4-byte Folded Spill
	;; [unrolled: 1-line block ×3, first 2 shown]
	ds_read2_b64 v[99:102], v125 offset0:68 offset1:69
	s_waitcnt lgkmcnt(0)
	v_mul_f64 v[103:104], v[101:102], v[105:106]
	v_fma_f64 v[103:104], v[99:100], v[97:98], -v[103:104]
	v_mul_f64 v[99:100], v[99:100], v[105:106]
	v_add_f64 v[65:66], v[65:66], -v[103:104]
	v_fma_f64 v[99:100], v[101:102], v[97:98], v[99:100]
	v_add_f64 v[67:68], v[67:68], -v[99:100]
	ds_read2_b64 v[99:102], v125 offset0:70 offset1:71
	s_waitcnt lgkmcnt(0)
	v_mul_f64 v[103:104], v[101:102], v[105:106]
	v_fma_f64 v[103:104], v[99:100], v[97:98], -v[103:104]
	v_mul_f64 v[99:100], v[99:100], v[105:106]
	v_add_f64 v[61:62], v[61:62], -v[103:104]
	v_fma_f64 v[99:100], v[101:102], v[97:98], v[99:100]
	v_add_f64 v[63:64], v[63:64], -v[99:100]
	;; [unrolled: 8-line block ×17, first 2 shown]
	ds_read2_b64 v[99:102], v125 offset0:102 offset1:103
	s_waitcnt lgkmcnt(0)
	v_mul_f64 v[103:104], v[101:102], v[105:106]
	v_fma_f64 v[103:104], v[99:100], v[97:98], -v[103:104]
	v_mul_f64 v[99:100], v[99:100], v[105:106]
	v_add_f64 v[73:74], v[73:74], -v[103:104]
	v_fma_f64 v[99:100], v[101:102], v[97:98], v[99:100]
	v_mov_b32_e32 v104, v98
	v_mov_b32_e32 v103, v97
	buffer_store_dword v103, off, s[20:23], 0 offset:240 ; 4-byte Folded Spill
	s_nop 0
	buffer_store_dword v104, off, s[20:23], 0 offset:244 ; 4-byte Folded Spill
	buffer_store_dword v105, off, s[20:23], 0 offset:248 ; 4-byte Folded Spill
	;; [unrolled: 1-line block ×3, first 2 shown]
	v_add_f64 v[75:76], v[75:76], -v[99:100]
.LBB103_127:
	s_or_b64 exec, exec, s[2:3]
	v_cmp_eq_u32_e32 vcc, 14, v0
	s_waitcnt vmcnt(0)
	s_barrier
	s_and_saveexec_b64 s[4:5], vcc
	s_cbranch_execz .LBB103_134
; %bb.128:
	buffer_load_dword v69, off, s[20:23], 0 offset:224 ; 4-byte Folded Reload
	buffer_load_dword v70, off, s[20:23], 0 offset:228 ; 4-byte Folded Reload
	;; [unrolled: 1-line block ×4, first 2 shown]
	s_waitcnt vmcnt(0)
	ds_write2_b64 v127, v[69:70], v[71:72] offset1:1
	buffer_load_dword v69, off, s[20:23], 0 offset:208 ; 4-byte Folded Reload
	buffer_load_dword v70, off, s[20:23], 0 offset:212 ; 4-byte Folded Reload
	buffer_load_dword v71, off, s[20:23], 0 offset:216 ; 4-byte Folded Reload
	buffer_load_dword v72, off, s[20:23], 0 offset:220 ; 4-byte Folded Reload
	s_waitcnt vmcnt(0)
	ds_write2_b64 v125, v[69:70], v[71:72] offset0:30 offset1:31
	buffer_load_dword v69, off, s[20:23], 0 offset:192 ; 4-byte Folded Reload
	buffer_load_dword v70, off, s[20:23], 0 offset:196 ; 4-byte Folded Reload
	buffer_load_dword v71, off, s[20:23], 0 offset:200 ; 4-byte Folded Reload
	buffer_load_dword v72, off, s[20:23], 0 offset:204 ; 4-byte Folded Reload
	s_waitcnt vmcnt(0)
	ds_write2_b64 v125, v[69:70], v[71:72] offset0:32 offset1:33
	;; [unrolled: 6-line block ×11, first 2 shown]
	ds_write2_b64 v125, v[121:122], v[123:124] offset0:52 offset1:53
	ds_write2_b64 v125, v[117:118], v[119:120] offset0:54 offset1:55
	;; [unrolled: 1-line block ×5, first 2 shown]
	buffer_load_dword v77, off, s[20:23], 0 offset:32 ; 4-byte Folded Reload
	buffer_load_dword v78, off, s[20:23], 0 offset:36 ; 4-byte Folded Reload
	;; [unrolled: 1-line block ×4, first 2 shown]
	v_mov_b32_e32 v69, v73
	v_mov_b32_e32 v70, v74
	;; [unrolled: 1-line block ×4, first 2 shown]
	s_waitcnt vmcnt(0)
	ds_write2_b64 v125, v[77:78], v[79:80] offset0:62 offset1:63
	buffer_load_dword v73, off, s[20:23], 0 offset:16 ; 4-byte Folded Reload
	buffer_load_dword v74, off, s[20:23], 0 offset:20 ; 4-byte Folded Reload
	;; [unrolled: 1-line block ×4, first 2 shown]
	s_waitcnt vmcnt(0)
	ds_write2_b64 v125, v[73:74], v[75:76] offset0:64 offset1:65
	v_mov_b32_e32 v76, v72
	v_mov_b32_e32 v75, v71
	;; [unrolled: 1-line block ×4, first 2 shown]
	buffer_load_dword v69, off, s[20:23], 0 ; 4-byte Folded Reload
	buffer_load_dword v70, off, s[20:23], 0 offset:4 ; 4-byte Folded Reload
	buffer_load_dword v71, off, s[20:23], 0 offset:8 ; 4-byte Folded Reload
	;; [unrolled: 1-line block ×3, first 2 shown]
	s_waitcnt vmcnt(0)
	ds_write2_b64 v125, v[69:70], v[71:72] offset0:66 offset1:67
	ds_write2_b64 v125, v[65:66], v[67:68] offset0:68 offset1:69
	;; [unrolled: 1-line block ×19, first 2 shown]
	ds_read2_b64 v[97:100], v127 offset1:1
	s_waitcnt lgkmcnt(0)
	v_cmp_neq_f64_e32 vcc, 0, v[97:98]
	v_cmp_neq_f64_e64 s[2:3], 0, v[99:100]
	s_or_b64 s[2:3], vcc, s[2:3]
	s_and_b64 exec, exec, s[2:3]
	s_cbranch_execz .LBB103_134
; %bb.129:
	v_cmp_ngt_f64_e64 s[2:3], |v[97:98]|, |v[99:100]|
                                        ; implicit-def: $vgpr101_vgpr102
	s_and_saveexec_b64 s[6:7], s[2:3]
	s_xor_b64 s[2:3], exec, s[6:7]
                                        ; implicit-def: $vgpr103_vgpr104
	s_cbranch_execz .LBB103_131
; %bb.130:
	v_div_scale_f64 v[101:102], s[6:7], v[99:100], v[99:100], v[97:98]
	v_rcp_f64_e32 v[103:104], v[101:102]
	v_fma_f64 v[105:106], -v[101:102], v[103:104], 1.0
	v_fma_f64 v[103:104], v[103:104], v[105:106], v[103:104]
	v_div_scale_f64 v[105:106], vcc, v[97:98], v[99:100], v[97:98]
	v_fma_f64 v[107:108], -v[101:102], v[103:104], 1.0
	v_fma_f64 v[103:104], v[103:104], v[107:108], v[103:104]
	v_mul_f64 v[107:108], v[105:106], v[103:104]
	v_fma_f64 v[101:102], -v[101:102], v[107:108], v[105:106]
	v_div_fmas_f64 v[101:102], v[101:102], v[103:104], v[107:108]
	v_div_fixup_f64 v[101:102], v[101:102], v[99:100], v[97:98]
	v_fma_f64 v[97:98], v[97:98], v[101:102], v[99:100]
	v_div_scale_f64 v[99:100], s[6:7], v[97:98], v[97:98], 1.0
	v_div_scale_f64 v[107:108], vcc, 1.0, v[97:98], 1.0
	v_rcp_f64_e32 v[103:104], v[99:100]
	v_fma_f64 v[105:106], -v[99:100], v[103:104], 1.0
	v_fma_f64 v[103:104], v[103:104], v[105:106], v[103:104]
	v_fma_f64 v[105:106], -v[99:100], v[103:104], 1.0
	v_fma_f64 v[103:104], v[103:104], v[105:106], v[103:104]
	v_mul_f64 v[105:106], v[107:108], v[103:104]
	v_fma_f64 v[99:100], -v[99:100], v[105:106], v[107:108]
	v_div_fmas_f64 v[99:100], v[99:100], v[103:104], v[105:106]
	v_div_fixup_f64 v[103:104], v[99:100], v[97:98], 1.0
                                        ; implicit-def: $vgpr97_vgpr98
	v_mul_f64 v[101:102], v[101:102], v[103:104]
	v_xor_b32_e32 v104, 0x80000000, v104
.LBB103_131:
	s_andn2_saveexec_b64 s[2:3], s[2:3]
	s_cbranch_execz .LBB103_133
; %bb.132:
	v_div_scale_f64 v[101:102], s[6:7], v[97:98], v[97:98], v[99:100]
	v_rcp_f64_e32 v[103:104], v[101:102]
	v_fma_f64 v[105:106], -v[101:102], v[103:104], 1.0
	v_fma_f64 v[103:104], v[103:104], v[105:106], v[103:104]
	v_div_scale_f64 v[105:106], vcc, v[99:100], v[97:98], v[99:100]
	v_fma_f64 v[107:108], -v[101:102], v[103:104], 1.0
	v_fma_f64 v[103:104], v[103:104], v[107:108], v[103:104]
	v_mul_f64 v[107:108], v[105:106], v[103:104]
	v_fma_f64 v[101:102], -v[101:102], v[107:108], v[105:106]
	v_div_fmas_f64 v[101:102], v[101:102], v[103:104], v[107:108]
	v_div_fixup_f64 v[103:104], v[101:102], v[97:98], v[99:100]
	v_fma_f64 v[97:98], v[99:100], v[103:104], v[97:98]
	v_div_scale_f64 v[99:100], s[6:7], v[97:98], v[97:98], 1.0
	v_div_scale_f64 v[107:108], vcc, 1.0, v[97:98], 1.0
	v_rcp_f64_e32 v[101:102], v[99:100]
	v_fma_f64 v[105:106], -v[99:100], v[101:102], 1.0
	v_fma_f64 v[101:102], v[101:102], v[105:106], v[101:102]
	v_fma_f64 v[105:106], -v[99:100], v[101:102], 1.0
	v_fma_f64 v[101:102], v[101:102], v[105:106], v[101:102]
	v_mul_f64 v[105:106], v[107:108], v[101:102]
	v_fma_f64 v[99:100], -v[99:100], v[105:106], v[107:108]
	v_div_fmas_f64 v[99:100], v[99:100], v[101:102], v[105:106]
	v_div_fixup_f64 v[101:102], v[99:100], v[97:98], 1.0
	v_mul_f64 v[103:104], v[103:104], -v[101:102]
.LBB103_133:
	s_or_b64 exec, exec, s[2:3]
	ds_write2_b64 v127, v[101:102], v[103:104] offset1:1
.LBB103_134:
	s_or_b64 exec, exec, s[4:5]
	s_waitcnt lgkmcnt(0)
	s_barrier
	ds_read2_b64 v[69:72], v127 offset1:1
	v_cmp_lt_u32_e32 vcc, 14, v0
	s_waitcnt lgkmcnt(0)
	buffer_store_dword v69, off, s[20:23], 0 offset:1096 ; 4-byte Folded Spill
	s_nop 0
	buffer_store_dword v70, off, s[20:23], 0 offset:1100 ; 4-byte Folded Spill
	buffer_store_dword v71, off, s[20:23], 0 offset:1104 ; 4-byte Folded Spill
	;; [unrolled: 1-line block ×3, first 2 shown]
	s_and_saveexec_b64 s[2:3], vcc
	s_cbranch_execz .LBB103_136
; %bb.135:
	buffer_load_dword v103, off, s[20:23], 0 offset:224 ; 4-byte Folded Reload
	buffer_load_dword v104, off, s[20:23], 0 offset:228 ; 4-byte Folded Reload
	;; [unrolled: 1-line block ×8, first 2 shown]
	s_waitcnt vmcnt(2)
	v_mul_f64 v[99:100], v[69:70], v[105:106]
	s_waitcnt vmcnt(0)
	v_mul_f64 v[97:98], v[71:72], v[105:106]
	v_fma_f64 v[105:106], v[71:72], v[103:104], v[99:100]
	ds_read2_b64 v[99:102], v125 offset0:30 offset1:31
	v_fma_f64 v[97:98], v[69:70], v[103:104], -v[97:98]
	buffer_load_dword v69, off, s[20:23], 0 offset:208 ; 4-byte Folded Reload
	buffer_load_dword v70, off, s[20:23], 0 offset:212 ; 4-byte Folded Reload
	buffer_load_dword v71, off, s[20:23], 0 offset:216 ; 4-byte Folded Reload
	buffer_load_dword v72, off, s[20:23], 0 offset:220 ; 4-byte Folded Reload
	s_waitcnt lgkmcnt(0)
	v_mul_f64 v[103:104], v[101:102], v[105:106]
	v_fma_f64 v[103:104], v[99:100], v[97:98], -v[103:104]
	v_mul_f64 v[99:100], v[99:100], v[105:106]
	v_fma_f64 v[99:100], v[101:102], v[97:98], v[99:100]
	s_waitcnt vmcnt(2)
	v_add_f64 v[69:70], v[69:70], -v[103:104]
	s_waitcnt vmcnt(0)
	v_add_f64 v[71:72], v[71:72], -v[99:100]
	buffer_store_dword v69, off, s[20:23], 0 offset:208 ; 4-byte Folded Spill
	s_nop 0
	buffer_store_dword v70, off, s[20:23], 0 offset:212 ; 4-byte Folded Spill
	buffer_store_dword v71, off, s[20:23], 0 offset:216 ; 4-byte Folded Spill
	buffer_store_dword v72, off, s[20:23], 0 offset:220 ; 4-byte Folded Spill
	ds_read2_b64 v[99:102], v125 offset0:32 offset1:33
	buffer_load_dword v69, off, s[20:23], 0 offset:192 ; 4-byte Folded Reload
	buffer_load_dword v70, off, s[20:23], 0 offset:196 ; 4-byte Folded Reload
	buffer_load_dword v71, off, s[20:23], 0 offset:200 ; 4-byte Folded Reload
	buffer_load_dword v72, off, s[20:23], 0 offset:204 ; 4-byte Folded Reload
	s_waitcnt lgkmcnt(0)
	v_mul_f64 v[103:104], v[101:102], v[105:106]
	v_fma_f64 v[103:104], v[99:100], v[97:98], -v[103:104]
	v_mul_f64 v[99:100], v[99:100], v[105:106]
	v_fma_f64 v[99:100], v[101:102], v[97:98], v[99:100]
	s_waitcnt vmcnt(2)
	v_add_f64 v[69:70], v[69:70], -v[103:104]
	s_waitcnt vmcnt(0)
	v_add_f64 v[71:72], v[71:72], -v[99:100]
	buffer_store_dword v69, off, s[20:23], 0 offset:192 ; 4-byte Folded Spill
	s_nop 0
	buffer_store_dword v70, off, s[20:23], 0 offset:196 ; 4-byte Folded Spill
	buffer_store_dword v71, off, s[20:23], 0 offset:200 ; 4-byte Folded Spill
	buffer_store_dword v72, off, s[20:23], 0 offset:204 ; 4-byte Folded Spill
	ds_read2_b64 v[99:102], v125 offset0:34 offset1:35
	;; [unrolled: 19-line block ×11, first 2 shown]
	v_mov_b32_e32 v69, v73
	v_mov_b32_e32 v70, v74
	;; [unrolled: 1-line block ×4, first 2 shown]
	s_waitcnt lgkmcnt(0)
	v_mul_f64 v[103:104], v[101:102], v[105:106]
	v_fma_f64 v[103:104], v[99:100], v[97:98], -v[103:104]
	v_mul_f64 v[99:100], v[99:100], v[105:106]
	v_add_f64 v[121:122], v[121:122], -v[103:104]
	v_fma_f64 v[99:100], v[101:102], v[97:98], v[99:100]
	v_add_f64 v[123:124], v[123:124], -v[99:100]
	ds_read2_b64 v[99:102], v125 offset0:54 offset1:55
	s_waitcnt lgkmcnt(0)
	v_mul_f64 v[103:104], v[101:102], v[105:106]
	v_fma_f64 v[103:104], v[99:100], v[97:98], -v[103:104]
	v_mul_f64 v[99:100], v[99:100], v[105:106]
	v_add_f64 v[117:118], v[117:118], -v[103:104]
	v_fma_f64 v[99:100], v[101:102], v[97:98], v[99:100]
	v_add_f64 v[119:120], v[119:120], -v[99:100]
	ds_read2_b64 v[99:102], v125 offset0:56 offset1:57
	;; [unrolled: 8-line block ×5, first 2 shown]
	buffer_load_dword v77, off, s[20:23], 0 offset:32 ; 4-byte Folded Reload
	buffer_load_dword v78, off, s[20:23], 0 offset:36 ; 4-byte Folded Reload
	;; [unrolled: 1-line block ×4, first 2 shown]
	s_waitcnt lgkmcnt(0)
	v_mul_f64 v[103:104], v[101:102], v[105:106]
	v_fma_f64 v[103:104], v[99:100], v[97:98], -v[103:104]
	v_mul_f64 v[99:100], v[99:100], v[105:106]
	v_fma_f64 v[99:100], v[101:102], v[97:98], v[99:100]
	s_waitcnt vmcnt(2)
	v_add_f64 v[77:78], v[77:78], -v[103:104]
	s_waitcnt vmcnt(0)
	v_add_f64 v[79:80], v[79:80], -v[99:100]
	buffer_store_dword v77, off, s[20:23], 0 offset:32 ; 4-byte Folded Spill
	s_nop 0
	buffer_store_dword v78, off, s[20:23], 0 offset:36 ; 4-byte Folded Spill
	buffer_store_dword v79, off, s[20:23], 0 offset:40 ; 4-byte Folded Spill
	;; [unrolled: 1-line block ×3, first 2 shown]
	ds_read2_b64 v[99:102], v125 offset0:64 offset1:65
	buffer_load_dword v73, off, s[20:23], 0 offset:16 ; 4-byte Folded Reload
	buffer_load_dword v74, off, s[20:23], 0 offset:20 ; 4-byte Folded Reload
	;; [unrolled: 1-line block ×4, first 2 shown]
	s_waitcnt lgkmcnt(0)
	v_mul_f64 v[103:104], v[101:102], v[105:106]
	v_fma_f64 v[103:104], v[99:100], v[97:98], -v[103:104]
	v_mul_f64 v[99:100], v[99:100], v[105:106]
	v_fma_f64 v[99:100], v[101:102], v[97:98], v[99:100]
	s_waitcnt vmcnt(2)
	v_add_f64 v[73:74], v[73:74], -v[103:104]
	s_waitcnt vmcnt(0)
	v_add_f64 v[75:76], v[75:76], -v[99:100]
	buffer_store_dword v73, off, s[20:23], 0 offset:16 ; 4-byte Folded Spill
	s_nop 0
	buffer_store_dword v74, off, s[20:23], 0 offset:20 ; 4-byte Folded Spill
	buffer_store_dword v75, off, s[20:23], 0 offset:24 ; 4-byte Folded Spill
	;; [unrolled: 1-line block ×3, first 2 shown]
	v_mov_b32_e32 v76, v72
	v_mov_b32_e32 v75, v71
	;; [unrolled: 1-line block ×4, first 2 shown]
	ds_read2_b64 v[99:102], v125 offset0:66 offset1:67
	buffer_load_dword v69, off, s[20:23], 0 ; 4-byte Folded Reload
	buffer_load_dword v70, off, s[20:23], 0 offset:4 ; 4-byte Folded Reload
	buffer_load_dword v71, off, s[20:23], 0 offset:8 ; 4-byte Folded Reload
	;; [unrolled: 1-line block ×3, first 2 shown]
	s_waitcnt lgkmcnt(0)
	v_mul_f64 v[103:104], v[101:102], v[105:106]
	v_fma_f64 v[103:104], v[99:100], v[97:98], -v[103:104]
	v_mul_f64 v[99:100], v[99:100], v[105:106]
	v_fma_f64 v[99:100], v[101:102], v[97:98], v[99:100]
	s_waitcnt vmcnt(2)
	v_add_f64 v[69:70], v[69:70], -v[103:104]
	s_waitcnt vmcnt(0)
	v_add_f64 v[71:72], v[71:72], -v[99:100]
	buffer_store_dword v69, off, s[20:23], 0 ; 4-byte Folded Spill
	s_nop 0
	buffer_store_dword v70, off, s[20:23], 0 offset:4 ; 4-byte Folded Spill
	buffer_store_dword v71, off, s[20:23], 0 offset:8 ; 4-byte Folded Spill
	;; [unrolled: 1-line block ×3, first 2 shown]
	ds_read2_b64 v[99:102], v125 offset0:68 offset1:69
	s_waitcnt lgkmcnt(0)
	v_mul_f64 v[103:104], v[101:102], v[105:106]
	v_fma_f64 v[103:104], v[99:100], v[97:98], -v[103:104]
	v_mul_f64 v[99:100], v[99:100], v[105:106]
	v_add_f64 v[65:66], v[65:66], -v[103:104]
	v_fma_f64 v[99:100], v[101:102], v[97:98], v[99:100]
	v_add_f64 v[67:68], v[67:68], -v[99:100]
	ds_read2_b64 v[99:102], v125 offset0:70 offset1:71
	s_waitcnt lgkmcnt(0)
	v_mul_f64 v[103:104], v[101:102], v[105:106]
	v_fma_f64 v[103:104], v[99:100], v[97:98], -v[103:104]
	v_mul_f64 v[99:100], v[99:100], v[105:106]
	v_add_f64 v[61:62], v[61:62], -v[103:104]
	v_fma_f64 v[99:100], v[101:102], v[97:98], v[99:100]
	v_add_f64 v[63:64], v[63:64], -v[99:100]
	ds_read2_b64 v[99:102], v125 offset0:72 offset1:73
	s_waitcnt lgkmcnt(0)
	v_mul_f64 v[103:104], v[101:102], v[105:106]
	v_fma_f64 v[103:104], v[99:100], v[97:98], -v[103:104]
	v_mul_f64 v[99:100], v[99:100], v[105:106]
	v_add_f64 v[57:58], v[57:58], -v[103:104]
	v_fma_f64 v[99:100], v[101:102], v[97:98], v[99:100]
	v_add_f64 v[59:60], v[59:60], -v[99:100]
	ds_read2_b64 v[99:102], v125 offset0:74 offset1:75
	s_waitcnt lgkmcnt(0)
	v_mul_f64 v[103:104], v[101:102], v[105:106]
	v_fma_f64 v[103:104], v[99:100], v[97:98], -v[103:104]
	v_mul_f64 v[99:100], v[99:100], v[105:106]
	v_add_f64 v[53:54], v[53:54], -v[103:104]
	v_fma_f64 v[99:100], v[101:102], v[97:98], v[99:100]
	v_add_f64 v[55:56], v[55:56], -v[99:100]
	ds_read2_b64 v[99:102], v125 offset0:76 offset1:77
	s_waitcnt lgkmcnt(0)
	v_mul_f64 v[103:104], v[101:102], v[105:106]
	v_fma_f64 v[103:104], v[99:100], v[97:98], -v[103:104]
	v_mul_f64 v[99:100], v[99:100], v[105:106]
	v_add_f64 v[49:50], v[49:50], -v[103:104]
	v_fma_f64 v[99:100], v[101:102], v[97:98], v[99:100]
	v_add_f64 v[51:52], v[51:52], -v[99:100]
	ds_read2_b64 v[99:102], v125 offset0:78 offset1:79
	s_waitcnt lgkmcnt(0)
	v_mul_f64 v[103:104], v[101:102], v[105:106]
	v_fma_f64 v[103:104], v[99:100], v[97:98], -v[103:104]
	v_mul_f64 v[99:100], v[99:100], v[105:106]
	v_add_f64 v[45:46], v[45:46], -v[103:104]
	v_fma_f64 v[99:100], v[101:102], v[97:98], v[99:100]
	v_add_f64 v[47:48], v[47:48], -v[99:100]
	ds_read2_b64 v[99:102], v125 offset0:80 offset1:81
	s_waitcnt lgkmcnt(0)
	v_mul_f64 v[103:104], v[101:102], v[105:106]
	v_fma_f64 v[103:104], v[99:100], v[97:98], -v[103:104]
	v_mul_f64 v[99:100], v[99:100], v[105:106]
	v_add_f64 v[41:42], v[41:42], -v[103:104]
	v_fma_f64 v[99:100], v[101:102], v[97:98], v[99:100]
	v_add_f64 v[43:44], v[43:44], -v[99:100]
	ds_read2_b64 v[99:102], v125 offset0:82 offset1:83
	s_waitcnt lgkmcnt(0)
	v_mul_f64 v[103:104], v[101:102], v[105:106]
	v_fma_f64 v[103:104], v[99:100], v[97:98], -v[103:104]
	v_mul_f64 v[99:100], v[99:100], v[105:106]
	v_add_f64 v[37:38], v[37:38], -v[103:104]
	v_fma_f64 v[99:100], v[101:102], v[97:98], v[99:100]
	v_add_f64 v[39:40], v[39:40], -v[99:100]
	ds_read2_b64 v[99:102], v125 offset0:84 offset1:85
	s_waitcnt lgkmcnt(0)
	v_mul_f64 v[103:104], v[101:102], v[105:106]
	v_fma_f64 v[103:104], v[99:100], v[97:98], -v[103:104]
	v_mul_f64 v[99:100], v[99:100], v[105:106]
	v_add_f64 v[33:34], v[33:34], -v[103:104]
	v_fma_f64 v[99:100], v[101:102], v[97:98], v[99:100]
	v_add_f64 v[35:36], v[35:36], -v[99:100]
	ds_read2_b64 v[99:102], v125 offset0:86 offset1:87
	s_waitcnt lgkmcnt(0)
	v_mul_f64 v[103:104], v[101:102], v[105:106]
	v_fma_f64 v[103:104], v[99:100], v[97:98], -v[103:104]
	v_mul_f64 v[99:100], v[99:100], v[105:106]
	v_add_f64 v[29:30], v[29:30], -v[103:104]
	v_fma_f64 v[99:100], v[101:102], v[97:98], v[99:100]
	v_add_f64 v[31:32], v[31:32], -v[99:100]
	ds_read2_b64 v[99:102], v125 offset0:88 offset1:89
	s_waitcnt lgkmcnt(0)
	v_mul_f64 v[103:104], v[101:102], v[105:106]
	v_fma_f64 v[103:104], v[99:100], v[97:98], -v[103:104]
	v_mul_f64 v[99:100], v[99:100], v[105:106]
	v_add_f64 v[25:26], v[25:26], -v[103:104]
	v_fma_f64 v[99:100], v[101:102], v[97:98], v[99:100]
	v_add_f64 v[27:28], v[27:28], -v[99:100]
	ds_read2_b64 v[99:102], v125 offset0:90 offset1:91
	s_waitcnt lgkmcnt(0)
	v_mul_f64 v[103:104], v[101:102], v[105:106]
	v_fma_f64 v[103:104], v[99:100], v[97:98], -v[103:104]
	v_mul_f64 v[99:100], v[99:100], v[105:106]
	v_add_f64 v[21:22], v[21:22], -v[103:104]
	v_fma_f64 v[99:100], v[101:102], v[97:98], v[99:100]
	v_add_f64 v[23:24], v[23:24], -v[99:100]
	ds_read2_b64 v[99:102], v125 offset0:92 offset1:93
	s_waitcnt lgkmcnt(0)
	v_mul_f64 v[103:104], v[101:102], v[105:106]
	v_fma_f64 v[103:104], v[99:100], v[97:98], -v[103:104]
	v_mul_f64 v[99:100], v[99:100], v[105:106]
	v_add_f64 v[17:18], v[17:18], -v[103:104]
	v_fma_f64 v[99:100], v[101:102], v[97:98], v[99:100]
	v_add_f64 v[19:20], v[19:20], -v[99:100]
	ds_read2_b64 v[99:102], v125 offset0:94 offset1:95
	s_waitcnt lgkmcnt(0)
	v_mul_f64 v[103:104], v[101:102], v[105:106]
	v_fma_f64 v[103:104], v[99:100], v[97:98], -v[103:104]
	v_mul_f64 v[99:100], v[99:100], v[105:106]
	v_add_f64 v[13:14], v[13:14], -v[103:104]
	v_fma_f64 v[99:100], v[101:102], v[97:98], v[99:100]
	v_add_f64 v[15:16], v[15:16], -v[99:100]
	ds_read2_b64 v[99:102], v125 offset0:96 offset1:97
	s_waitcnt lgkmcnt(0)
	v_mul_f64 v[103:104], v[101:102], v[105:106]
	v_fma_f64 v[103:104], v[99:100], v[97:98], -v[103:104]
	v_mul_f64 v[99:100], v[99:100], v[105:106]
	v_add_f64 v[9:10], v[9:10], -v[103:104]
	v_fma_f64 v[99:100], v[101:102], v[97:98], v[99:100]
	v_add_f64 v[11:12], v[11:12], -v[99:100]
	ds_read2_b64 v[99:102], v125 offset0:98 offset1:99
	s_waitcnt lgkmcnt(0)
	v_mul_f64 v[103:104], v[101:102], v[105:106]
	v_fma_f64 v[103:104], v[99:100], v[97:98], -v[103:104]
	v_mul_f64 v[99:100], v[99:100], v[105:106]
	v_add_f64 v[5:6], v[5:6], -v[103:104]
	v_fma_f64 v[99:100], v[101:102], v[97:98], v[99:100]
	v_add_f64 v[7:8], v[7:8], -v[99:100]
	ds_read2_b64 v[99:102], v125 offset0:100 offset1:101
	s_waitcnt lgkmcnt(0)
	v_mul_f64 v[103:104], v[101:102], v[105:106]
	v_fma_f64 v[103:104], v[99:100], v[97:98], -v[103:104]
	v_mul_f64 v[99:100], v[99:100], v[105:106]
	v_add_f64 v[1:2], v[1:2], -v[103:104]
	v_fma_f64 v[99:100], v[101:102], v[97:98], v[99:100]
	v_add_f64 v[3:4], v[3:4], -v[99:100]
	ds_read2_b64 v[99:102], v125 offset0:102 offset1:103
	s_waitcnt lgkmcnt(0)
	v_mul_f64 v[103:104], v[101:102], v[105:106]
	v_fma_f64 v[103:104], v[99:100], v[97:98], -v[103:104]
	v_mul_f64 v[99:100], v[99:100], v[105:106]
	v_add_f64 v[73:74], v[73:74], -v[103:104]
	v_fma_f64 v[99:100], v[101:102], v[97:98], v[99:100]
	v_mov_b32_e32 v104, v98
	v_mov_b32_e32 v103, v97
	buffer_store_dword v103, off, s[20:23], 0 offset:224 ; 4-byte Folded Spill
	s_nop 0
	buffer_store_dword v104, off, s[20:23], 0 offset:228 ; 4-byte Folded Spill
	buffer_store_dword v105, off, s[20:23], 0 offset:232 ; 4-byte Folded Spill
	;; [unrolled: 1-line block ×3, first 2 shown]
	v_add_f64 v[75:76], v[75:76], -v[99:100]
.LBB103_136:
	s_or_b64 exec, exec, s[2:3]
	v_cmp_eq_u32_e32 vcc, 15, v0
	s_waitcnt vmcnt(0)
	s_barrier
	s_and_saveexec_b64 s[4:5], vcc
	s_cbranch_execz .LBB103_143
; %bb.137:
	buffer_load_dword v69, off, s[20:23], 0 offset:208 ; 4-byte Folded Reload
	buffer_load_dword v70, off, s[20:23], 0 offset:212 ; 4-byte Folded Reload
	;; [unrolled: 1-line block ×4, first 2 shown]
	s_waitcnt vmcnt(0)
	ds_write2_b64 v127, v[69:70], v[71:72] offset1:1
	buffer_load_dword v69, off, s[20:23], 0 offset:192 ; 4-byte Folded Reload
	buffer_load_dword v70, off, s[20:23], 0 offset:196 ; 4-byte Folded Reload
	buffer_load_dword v71, off, s[20:23], 0 offset:200 ; 4-byte Folded Reload
	buffer_load_dword v72, off, s[20:23], 0 offset:204 ; 4-byte Folded Reload
	s_waitcnt vmcnt(0)
	ds_write2_b64 v125, v[69:70], v[71:72] offset0:32 offset1:33
	buffer_load_dword v69, off, s[20:23], 0 offset:176 ; 4-byte Folded Reload
	buffer_load_dword v70, off, s[20:23], 0 offset:180 ; 4-byte Folded Reload
	buffer_load_dword v71, off, s[20:23], 0 offset:184 ; 4-byte Folded Reload
	buffer_load_dword v72, off, s[20:23], 0 offset:188 ; 4-byte Folded Reload
	s_waitcnt vmcnt(0)
	ds_write2_b64 v125, v[69:70], v[71:72] offset0:34 offset1:35
	;; [unrolled: 6-line block ×10, first 2 shown]
	ds_write2_b64 v125, v[121:122], v[123:124] offset0:52 offset1:53
	ds_write2_b64 v125, v[117:118], v[119:120] offset0:54 offset1:55
	;; [unrolled: 1-line block ×5, first 2 shown]
	buffer_load_dword v77, off, s[20:23], 0 offset:32 ; 4-byte Folded Reload
	buffer_load_dword v78, off, s[20:23], 0 offset:36 ; 4-byte Folded Reload
	;; [unrolled: 1-line block ×4, first 2 shown]
	v_mov_b32_e32 v69, v73
	v_mov_b32_e32 v70, v74
	;; [unrolled: 1-line block ×4, first 2 shown]
	s_waitcnt vmcnt(0)
	ds_write2_b64 v125, v[77:78], v[79:80] offset0:62 offset1:63
	buffer_load_dword v73, off, s[20:23], 0 offset:16 ; 4-byte Folded Reload
	buffer_load_dword v74, off, s[20:23], 0 offset:20 ; 4-byte Folded Reload
	;; [unrolled: 1-line block ×4, first 2 shown]
	s_waitcnt vmcnt(0)
	ds_write2_b64 v125, v[73:74], v[75:76] offset0:64 offset1:65
	v_mov_b32_e32 v76, v72
	v_mov_b32_e32 v75, v71
	;; [unrolled: 1-line block ×4, first 2 shown]
	buffer_load_dword v69, off, s[20:23], 0 ; 4-byte Folded Reload
	buffer_load_dword v70, off, s[20:23], 0 offset:4 ; 4-byte Folded Reload
	buffer_load_dword v71, off, s[20:23], 0 offset:8 ; 4-byte Folded Reload
	;; [unrolled: 1-line block ×3, first 2 shown]
	s_waitcnt vmcnt(0)
	ds_write2_b64 v125, v[69:70], v[71:72] offset0:66 offset1:67
	ds_write2_b64 v125, v[65:66], v[67:68] offset0:68 offset1:69
	ds_write2_b64 v125, v[61:62], v[63:64] offset0:70 offset1:71
	ds_write2_b64 v125, v[57:58], v[59:60] offset0:72 offset1:73
	ds_write2_b64 v125, v[53:54], v[55:56] offset0:74 offset1:75
	ds_write2_b64 v125, v[49:50], v[51:52] offset0:76 offset1:77
	ds_write2_b64 v125, v[45:46], v[47:48] offset0:78 offset1:79
	ds_write2_b64 v125, v[41:42], v[43:44] offset0:80 offset1:81
	ds_write2_b64 v125, v[37:38], v[39:40] offset0:82 offset1:83
	ds_write2_b64 v125, v[33:34], v[35:36] offset0:84 offset1:85
	ds_write2_b64 v125, v[29:30], v[31:32] offset0:86 offset1:87
	ds_write2_b64 v125, v[25:26], v[27:28] offset0:88 offset1:89
	ds_write2_b64 v125, v[21:22], v[23:24] offset0:90 offset1:91
	ds_write2_b64 v125, v[17:18], v[19:20] offset0:92 offset1:93
	ds_write2_b64 v125, v[13:14], v[15:16] offset0:94 offset1:95
	ds_write2_b64 v125, v[9:10], v[11:12] offset0:96 offset1:97
	ds_write2_b64 v125, v[5:6], v[7:8] offset0:98 offset1:99
	ds_write2_b64 v125, v[1:2], v[3:4] offset0:100 offset1:101
	ds_write2_b64 v125, v[73:74], v[75:76] offset0:102 offset1:103
	ds_read2_b64 v[97:100], v127 offset1:1
	s_waitcnt lgkmcnt(0)
	v_cmp_neq_f64_e32 vcc, 0, v[97:98]
	v_cmp_neq_f64_e64 s[2:3], 0, v[99:100]
	s_or_b64 s[2:3], vcc, s[2:3]
	s_and_b64 exec, exec, s[2:3]
	s_cbranch_execz .LBB103_143
; %bb.138:
	v_cmp_ngt_f64_e64 s[2:3], |v[97:98]|, |v[99:100]|
                                        ; implicit-def: $vgpr101_vgpr102
	s_and_saveexec_b64 s[6:7], s[2:3]
	s_xor_b64 s[2:3], exec, s[6:7]
                                        ; implicit-def: $vgpr103_vgpr104
	s_cbranch_execz .LBB103_140
; %bb.139:
	v_div_scale_f64 v[101:102], s[6:7], v[99:100], v[99:100], v[97:98]
	v_rcp_f64_e32 v[103:104], v[101:102]
	v_fma_f64 v[105:106], -v[101:102], v[103:104], 1.0
	v_fma_f64 v[103:104], v[103:104], v[105:106], v[103:104]
	v_div_scale_f64 v[105:106], vcc, v[97:98], v[99:100], v[97:98]
	v_fma_f64 v[107:108], -v[101:102], v[103:104], 1.0
	v_fma_f64 v[103:104], v[103:104], v[107:108], v[103:104]
	v_mul_f64 v[107:108], v[105:106], v[103:104]
	v_fma_f64 v[101:102], -v[101:102], v[107:108], v[105:106]
	v_div_fmas_f64 v[101:102], v[101:102], v[103:104], v[107:108]
	v_div_fixup_f64 v[101:102], v[101:102], v[99:100], v[97:98]
	v_fma_f64 v[97:98], v[97:98], v[101:102], v[99:100]
	v_div_scale_f64 v[99:100], s[6:7], v[97:98], v[97:98], 1.0
	v_div_scale_f64 v[107:108], vcc, 1.0, v[97:98], 1.0
	v_rcp_f64_e32 v[103:104], v[99:100]
	v_fma_f64 v[105:106], -v[99:100], v[103:104], 1.0
	v_fma_f64 v[103:104], v[103:104], v[105:106], v[103:104]
	v_fma_f64 v[105:106], -v[99:100], v[103:104], 1.0
	v_fma_f64 v[103:104], v[103:104], v[105:106], v[103:104]
	v_mul_f64 v[105:106], v[107:108], v[103:104]
	v_fma_f64 v[99:100], -v[99:100], v[105:106], v[107:108]
	v_div_fmas_f64 v[99:100], v[99:100], v[103:104], v[105:106]
	v_div_fixup_f64 v[103:104], v[99:100], v[97:98], 1.0
                                        ; implicit-def: $vgpr97_vgpr98
	v_mul_f64 v[101:102], v[101:102], v[103:104]
	v_xor_b32_e32 v104, 0x80000000, v104
.LBB103_140:
	s_andn2_saveexec_b64 s[2:3], s[2:3]
	s_cbranch_execz .LBB103_142
; %bb.141:
	v_div_scale_f64 v[101:102], s[6:7], v[97:98], v[97:98], v[99:100]
	v_rcp_f64_e32 v[103:104], v[101:102]
	v_fma_f64 v[105:106], -v[101:102], v[103:104], 1.0
	v_fma_f64 v[103:104], v[103:104], v[105:106], v[103:104]
	v_div_scale_f64 v[105:106], vcc, v[99:100], v[97:98], v[99:100]
	v_fma_f64 v[107:108], -v[101:102], v[103:104], 1.0
	v_fma_f64 v[103:104], v[103:104], v[107:108], v[103:104]
	v_mul_f64 v[107:108], v[105:106], v[103:104]
	v_fma_f64 v[101:102], -v[101:102], v[107:108], v[105:106]
	v_div_fmas_f64 v[101:102], v[101:102], v[103:104], v[107:108]
	v_div_fixup_f64 v[103:104], v[101:102], v[97:98], v[99:100]
	v_fma_f64 v[97:98], v[99:100], v[103:104], v[97:98]
	v_div_scale_f64 v[99:100], s[6:7], v[97:98], v[97:98], 1.0
	v_div_scale_f64 v[107:108], vcc, 1.0, v[97:98], 1.0
	v_rcp_f64_e32 v[101:102], v[99:100]
	v_fma_f64 v[105:106], -v[99:100], v[101:102], 1.0
	v_fma_f64 v[101:102], v[101:102], v[105:106], v[101:102]
	v_fma_f64 v[105:106], -v[99:100], v[101:102], 1.0
	v_fma_f64 v[101:102], v[101:102], v[105:106], v[101:102]
	v_mul_f64 v[105:106], v[107:108], v[101:102]
	v_fma_f64 v[99:100], -v[99:100], v[105:106], v[107:108]
	v_div_fmas_f64 v[99:100], v[99:100], v[101:102], v[105:106]
	v_div_fixup_f64 v[101:102], v[99:100], v[97:98], 1.0
	v_mul_f64 v[103:104], v[103:104], -v[101:102]
.LBB103_142:
	s_or_b64 exec, exec, s[2:3]
	ds_write2_b64 v127, v[101:102], v[103:104] offset1:1
.LBB103_143:
	s_or_b64 exec, exec, s[4:5]
	s_waitcnt lgkmcnt(0)
	s_barrier
	ds_read2_b64 v[69:72], v127 offset1:1
	v_cmp_lt_u32_e32 vcc, 15, v0
	s_waitcnt lgkmcnt(0)
	buffer_store_dword v69, off, s[20:23], 0 offset:1112 ; 4-byte Folded Spill
	s_nop 0
	buffer_store_dword v70, off, s[20:23], 0 offset:1116 ; 4-byte Folded Spill
	buffer_store_dword v71, off, s[20:23], 0 offset:1120 ; 4-byte Folded Spill
	;; [unrolled: 1-line block ×3, first 2 shown]
	s_and_saveexec_b64 s[2:3], vcc
	s_cbranch_execz .LBB103_145
; %bb.144:
	buffer_load_dword v103, off, s[20:23], 0 offset:208 ; 4-byte Folded Reload
	buffer_load_dword v104, off, s[20:23], 0 offset:212 ; 4-byte Folded Reload
	;; [unrolled: 1-line block ×8, first 2 shown]
	s_waitcnt vmcnt(2)
	v_mul_f64 v[99:100], v[69:70], v[105:106]
	s_waitcnt vmcnt(0)
	v_mul_f64 v[97:98], v[71:72], v[105:106]
	v_fma_f64 v[105:106], v[71:72], v[103:104], v[99:100]
	ds_read2_b64 v[99:102], v125 offset0:32 offset1:33
	v_fma_f64 v[97:98], v[69:70], v[103:104], -v[97:98]
	buffer_load_dword v69, off, s[20:23], 0 offset:192 ; 4-byte Folded Reload
	buffer_load_dword v70, off, s[20:23], 0 offset:196 ; 4-byte Folded Reload
	buffer_load_dword v71, off, s[20:23], 0 offset:200 ; 4-byte Folded Reload
	buffer_load_dword v72, off, s[20:23], 0 offset:204 ; 4-byte Folded Reload
	s_waitcnt lgkmcnt(0)
	v_mul_f64 v[103:104], v[101:102], v[105:106]
	v_fma_f64 v[103:104], v[99:100], v[97:98], -v[103:104]
	v_mul_f64 v[99:100], v[99:100], v[105:106]
	v_fma_f64 v[99:100], v[101:102], v[97:98], v[99:100]
	s_waitcnt vmcnt(2)
	v_add_f64 v[69:70], v[69:70], -v[103:104]
	s_waitcnt vmcnt(0)
	v_add_f64 v[71:72], v[71:72], -v[99:100]
	buffer_store_dword v69, off, s[20:23], 0 offset:192 ; 4-byte Folded Spill
	s_nop 0
	buffer_store_dword v70, off, s[20:23], 0 offset:196 ; 4-byte Folded Spill
	buffer_store_dword v71, off, s[20:23], 0 offset:200 ; 4-byte Folded Spill
	buffer_store_dword v72, off, s[20:23], 0 offset:204 ; 4-byte Folded Spill
	ds_read2_b64 v[99:102], v125 offset0:34 offset1:35
	buffer_load_dword v69, off, s[20:23], 0 offset:176 ; 4-byte Folded Reload
	buffer_load_dword v70, off, s[20:23], 0 offset:180 ; 4-byte Folded Reload
	buffer_load_dword v71, off, s[20:23], 0 offset:184 ; 4-byte Folded Reload
	buffer_load_dword v72, off, s[20:23], 0 offset:188 ; 4-byte Folded Reload
	s_waitcnt lgkmcnt(0)
	v_mul_f64 v[103:104], v[101:102], v[105:106]
	v_fma_f64 v[103:104], v[99:100], v[97:98], -v[103:104]
	v_mul_f64 v[99:100], v[99:100], v[105:106]
	v_fma_f64 v[99:100], v[101:102], v[97:98], v[99:100]
	s_waitcnt vmcnt(2)
	v_add_f64 v[69:70], v[69:70], -v[103:104]
	s_waitcnt vmcnt(0)
	v_add_f64 v[71:72], v[71:72], -v[99:100]
	buffer_store_dword v69, off, s[20:23], 0 offset:176 ; 4-byte Folded Spill
	s_nop 0
	buffer_store_dword v70, off, s[20:23], 0 offset:180 ; 4-byte Folded Spill
	buffer_store_dword v71, off, s[20:23], 0 offset:184 ; 4-byte Folded Spill
	buffer_store_dword v72, off, s[20:23], 0 offset:188 ; 4-byte Folded Spill
	ds_read2_b64 v[99:102], v125 offset0:36 offset1:37
	;; [unrolled: 19-line block ×10, first 2 shown]
	v_mov_b32_e32 v69, v73
	v_mov_b32_e32 v70, v74
	;; [unrolled: 1-line block ×4, first 2 shown]
	s_waitcnt lgkmcnt(0)
	v_mul_f64 v[103:104], v[101:102], v[105:106]
	v_fma_f64 v[103:104], v[99:100], v[97:98], -v[103:104]
	v_mul_f64 v[99:100], v[99:100], v[105:106]
	v_add_f64 v[121:122], v[121:122], -v[103:104]
	v_fma_f64 v[99:100], v[101:102], v[97:98], v[99:100]
	v_add_f64 v[123:124], v[123:124], -v[99:100]
	ds_read2_b64 v[99:102], v125 offset0:54 offset1:55
	s_waitcnt lgkmcnt(0)
	v_mul_f64 v[103:104], v[101:102], v[105:106]
	v_fma_f64 v[103:104], v[99:100], v[97:98], -v[103:104]
	v_mul_f64 v[99:100], v[99:100], v[105:106]
	v_add_f64 v[117:118], v[117:118], -v[103:104]
	v_fma_f64 v[99:100], v[101:102], v[97:98], v[99:100]
	v_add_f64 v[119:120], v[119:120], -v[99:100]
	ds_read2_b64 v[99:102], v125 offset0:56 offset1:57
	;; [unrolled: 8-line block ×5, first 2 shown]
	buffer_load_dword v77, off, s[20:23], 0 offset:32 ; 4-byte Folded Reload
	buffer_load_dword v78, off, s[20:23], 0 offset:36 ; 4-byte Folded Reload
	buffer_load_dword v79, off, s[20:23], 0 offset:40 ; 4-byte Folded Reload
	buffer_load_dword v80, off, s[20:23], 0 offset:44 ; 4-byte Folded Reload
	s_waitcnt lgkmcnt(0)
	v_mul_f64 v[103:104], v[101:102], v[105:106]
	v_fma_f64 v[103:104], v[99:100], v[97:98], -v[103:104]
	v_mul_f64 v[99:100], v[99:100], v[105:106]
	v_fma_f64 v[99:100], v[101:102], v[97:98], v[99:100]
	s_waitcnt vmcnt(2)
	v_add_f64 v[77:78], v[77:78], -v[103:104]
	s_waitcnt vmcnt(0)
	v_add_f64 v[79:80], v[79:80], -v[99:100]
	buffer_store_dword v77, off, s[20:23], 0 offset:32 ; 4-byte Folded Spill
	s_nop 0
	buffer_store_dword v78, off, s[20:23], 0 offset:36 ; 4-byte Folded Spill
	buffer_store_dword v79, off, s[20:23], 0 offset:40 ; 4-byte Folded Spill
	;; [unrolled: 1-line block ×3, first 2 shown]
	ds_read2_b64 v[99:102], v125 offset0:64 offset1:65
	buffer_load_dword v73, off, s[20:23], 0 offset:16 ; 4-byte Folded Reload
	buffer_load_dword v74, off, s[20:23], 0 offset:20 ; 4-byte Folded Reload
	buffer_load_dword v75, off, s[20:23], 0 offset:24 ; 4-byte Folded Reload
	buffer_load_dword v76, off, s[20:23], 0 offset:28 ; 4-byte Folded Reload
	s_waitcnt lgkmcnt(0)
	v_mul_f64 v[103:104], v[101:102], v[105:106]
	v_fma_f64 v[103:104], v[99:100], v[97:98], -v[103:104]
	v_mul_f64 v[99:100], v[99:100], v[105:106]
	v_fma_f64 v[99:100], v[101:102], v[97:98], v[99:100]
	s_waitcnt vmcnt(2)
	v_add_f64 v[73:74], v[73:74], -v[103:104]
	s_waitcnt vmcnt(0)
	v_add_f64 v[75:76], v[75:76], -v[99:100]
	buffer_store_dword v73, off, s[20:23], 0 offset:16 ; 4-byte Folded Spill
	s_nop 0
	buffer_store_dword v74, off, s[20:23], 0 offset:20 ; 4-byte Folded Spill
	buffer_store_dword v75, off, s[20:23], 0 offset:24 ; 4-byte Folded Spill
	;; [unrolled: 1-line block ×3, first 2 shown]
	v_mov_b32_e32 v76, v72
	v_mov_b32_e32 v75, v71
	;; [unrolled: 1-line block ×4, first 2 shown]
	ds_read2_b64 v[99:102], v125 offset0:66 offset1:67
	buffer_load_dword v69, off, s[20:23], 0 ; 4-byte Folded Reload
	buffer_load_dword v70, off, s[20:23], 0 offset:4 ; 4-byte Folded Reload
	buffer_load_dword v71, off, s[20:23], 0 offset:8 ; 4-byte Folded Reload
	;; [unrolled: 1-line block ×3, first 2 shown]
	s_waitcnt lgkmcnt(0)
	v_mul_f64 v[103:104], v[101:102], v[105:106]
	v_fma_f64 v[103:104], v[99:100], v[97:98], -v[103:104]
	v_mul_f64 v[99:100], v[99:100], v[105:106]
	v_fma_f64 v[99:100], v[101:102], v[97:98], v[99:100]
	s_waitcnt vmcnt(2)
	v_add_f64 v[69:70], v[69:70], -v[103:104]
	s_waitcnt vmcnt(0)
	v_add_f64 v[71:72], v[71:72], -v[99:100]
	buffer_store_dword v69, off, s[20:23], 0 ; 4-byte Folded Spill
	s_nop 0
	buffer_store_dword v70, off, s[20:23], 0 offset:4 ; 4-byte Folded Spill
	buffer_store_dword v71, off, s[20:23], 0 offset:8 ; 4-byte Folded Spill
	;; [unrolled: 1-line block ×3, first 2 shown]
	ds_read2_b64 v[99:102], v125 offset0:68 offset1:69
	s_waitcnt lgkmcnt(0)
	v_mul_f64 v[103:104], v[101:102], v[105:106]
	v_fma_f64 v[103:104], v[99:100], v[97:98], -v[103:104]
	v_mul_f64 v[99:100], v[99:100], v[105:106]
	v_add_f64 v[65:66], v[65:66], -v[103:104]
	v_fma_f64 v[99:100], v[101:102], v[97:98], v[99:100]
	v_add_f64 v[67:68], v[67:68], -v[99:100]
	ds_read2_b64 v[99:102], v125 offset0:70 offset1:71
	s_waitcnt lgkmcnt(0)
	v_mul_f64 v[103:104], v[101:102], v[105:106]
	v_fma_f64 v[103:104], v[99:100], v[97:98], -v[103:104]
	v_mul_f64 v[99:100], v[99:100], v[105:106]
	v_add_f64 v[61:62], v[61:62], -v[103:104]
	v_fma_f64 v[99:100], v[101:102], v[97:98], v[99:100]
	v_add_f64 v[63:64], v[63:64], -v[99:100]
	;; [unrolled: 8-line block ×17, first 2 shown]
	ds_read2_b64 v[99:102], v125 offset0:102 offset1:103
	s_waitcnt lgkmcnt(0)
	v_mul_f64 v[103:104], v[101:102], v[105:106]
	v_fma_f64 v[103:104], v[99:100], v[97:98], -v[103:104]
	v_mul_f64 v[99:100], v[99:100], v[105:106]
	v_add_f64 v[73:74], v[73:74], -v[103:104]
	v_fma_f64 v[99:100], v[101:102], v[97:98], v[99:100]
	v_mov_b32_e32 v104, v98
	v_mov_b32_e32 v103, v97
	buffer_store_dword v103, off, s[20:23], 0 offset:208 ; 4-byte Folded Spill
	s_nop 0
	buffer_store_dword v104, off, s[20:23], 0 offset:212 ; 4-byte Folded Spill
	buffer_store_dword v105, off, s[20:23], 0 offset:216 ; 4-byte Folded Spill
	;; [unrolled: 1-line block ×3, first 2 shown]
	v_add_f64 v[75:76], v[75:76], -v[99:100]
.LBB103_145:
	s_or_b64 exec, exec, s[2:3]
	v_cmp_eq_u32_e32 vcc, 16, v0
	s_waitcnt vmcnt(0)
	s_barrier
	s_and_saveexec_b64 s[4:5], vcc
	s_cbranch_execz .LBB103_152
; %bb.146:
	buffer_load_dword v69, off, s[20:23], 0 offset:192 ; 4-byte Folded Reload
	buffer_load_dword v70, off, s[20:23], 0 offset:196 ; 4-byte Folded Reload
	;; [unrolled: 1-line block ×4, first 2 shown]
	s_waitcnt vmcnt(0)
	ds_write2_b64 v127, v[69:70], v[71:72] offset1:1
	buffer_load_dword v69, off, s[20:23], 0 offset:176 ; 4-byte Folded Reload
	buffer_load_dword v70, off, s[20:23], 0 offset:180 ; 4-byte Folded Reload
	buffer_load_dword v71, off, s[20:23], 0 offset:184 ; 4-byte Folded Reload
	buffer_load_dword v72, off, s[20:23], 0 offset:188 ; 4-byte Folded Reload
	s_waitcnt vmcnt(0)
	ds_write2_b64 v125, v[69:70], v[71:72] offset0:34 offset1:35
	buffer_load_dword v69, off, s[20:23], 0 offset:160 ; 4-byte Folded Reload
	buffer_load_dword v70, off, s[20:23], 0 offset:164 ; 4-byte Folded Reload
	buffer_load_dword v71, off, s[20:23], 0 offset:168 ; 4-byte Folded Reload
	buffer_load_dword v72, off, s[20:23], 0 offset:172 ; 4-byte Folded Reload
	s_waitcnt vmcnt(0)
	ds_write2_b64 v125, v[69:70], v[71:72] offset0:36 offset1:37
	;; [unrolled: 6-line block ×9, first 2 shown]
	ds_write2_b64 v125, v[121:122], v[123:124] offset0:52 offset1:53
	ds_write2_b64 v125, v[117:118], v[119:120] offset0:54 offset1:55
	;; [unrolled: 1-line block ×5, first 2 shown]
	buffer_load_dword v77, off, s[20:23], 0 offset:32 ; 4-byte Folded Reload
	buffer_load_dword v78, off, s[20:23], 0 offset:36 ; 4-byte Folded Reload
	;; [unrolled: 1-line block ×4, first 2 shown]
	v_mov_b32_e32 v69, v73
	v_mov_b32_e32 v70, v74
	;; [unrolled: 1-line block ×4, first 2 shown]
	s_waitcnt vmcnt(0)
	ds_write2_b64 v125, v[77:78], v[79:80] offset0:62 offset1:63
	buffer_load_dword v73, off, s[20:23], 0 offset:16 ; 4-byte Folded Reload
	buffer_load_dword v74, off, s[20:23], 0 offset:20 ; 4-byte Folded Reload
	;; [unrolled: 1-line block ×4, first 2 shown]
	s_waitcnt vmcnt(0)
	ds_write2_b64 v125, v[73:74], v[75:76] offset0:64 offset1:65
	v_mov_b32_e32 v76, v72
	v_mov_b32_e32 v75, v71
	;; [unrolled: 1-line block ×4, first 2 shown]
	buffer_load_dword v69, off, s[20:23], 0 ; 4-byte Folded Reload
	buffer_load_dword v70, off, s[20:23], 0 offset:4 ; 4-byte Folded Reload
	buffer_load_dword v71, off, s[20:23], 0 offset:8 ; 4-byte Folded Reload
	buffer_load_dword v72, off, s[20:23], 0 offset:12 ; 4-byte Folded Reload
	s_waitcnt vmcnt(0)
	ds_write2_b64 v125, v[69:70], v[71:72] offset0:66 offset1:67
	ds_write2_b64 v125, v[65:66], v[67:68] offset0:68 offset1:69
	;; [unrolled: 1-line block ×19, first 2 shown]
	ds_read2_b64 v[97:100], v127 offset1:1
	s_waitcnt lgkmcnt(0)
	v_cmp_neq_f64_e32 vcc, 0, v[97:98]
	v_cmp_neq_f64_e64 s[2:3], 0, v[99:100]
	s_or_b64 s[2:3], vcc, s[2:3]
	s_and_b64 exec, exec, s[2:3]
	s_cbranch_execz .LBB103_152
; %bb.147:
	v_cmp_ngt_f64_e64 s[2:3], |v[97:98]|, |v[99:100]|
                                        ; implicit-def: $vgpr101_vgpr102
	s_and_saveexec_b64 s[6:7], s[2:3]
	s_xor_b64 s[2:3], exec, s[6:7]
                                        ; implicit-def: $vgpr103_vgpr104
	s_cbranch_execz .LBB103_149
; %bb.148:
	v_div_scale_f64 v[101:102], s[6:7], v[99:100], v[99:100], v[97:98]
	v_rcp_f64_e32 v[103:104], v[101:102]
	v_fma_f64 v[105:106], -v[101:102], v[103:104], 1.0
	v_fma_f64 v[103:104], v[103:104], v[105:106], v[103:104]
	v_div_scale_f64 v[105:106], vcc, v[97:98], v[99:100], v[97:98]
	v_fma_f64 v[107:108], -v[101:102], v[103:104], 1.0
	v_fma_f64 v[103:104], v[103:104], v[107:108], v[103:104]
	v_mul_f64 v[107:108], v[105:106], v[103:104]
	v_fma_f64 v[101:102], -v[101:102], v[107:108], v[105:106]
	v_div_fmas_f64 v[101:102], v[101:102], v[103:104], v[107:108]
	v_div_fixup_f64 v[101:102], v[101:102], v[99:100], v[97:98]
	v_fma_f64 v[97:98], v[97:98], v[101:102], v[99:100]
	v_div_scale_f64 v[99:100], s[6:7], v[97:98], v[97:98], 1.0
	v_div_scale_f64 v[107:108], vcc, 1.0, v[97:98], 1.0
	v_rcp_f64_e32 v[103:104], v[99:100]
	v_fma_f64 v[105:106], -v[99:100], v[103:104], 1.0
	v_fma_f64 v[103:104], v[103:104], v[105:106], v[103:104]
	v_fma_f64 v[105:106], -v[99:100], v[103:104], 1.0
	v_fma_f64 v[103:104], v[103:104], v[105:106], v[103:104]
	v_mul_f64 v[105:106], v[107:108], v[103:104]
	v_fma_f64 v[99:100], -v[99:100], v[105:106], v[107:108]
	v_div_fmas_f64 v[99:100], v[99:100], v[103:104], v[105:106]
	v_div_fixup_f64 v[103:104], v[99:100], v[97:98], 1.0
                                        ; implicit-def: $vgpr97_vgpr98
	v_mul_f64 v[101:102], v[101:102], v[103:104]
	v_xor_b32_e32 v104, 0x80000000, v104
.LBB103_149:
	s_andn2_saveexec_b64 s[2:3], s[2:3]
	s_cbranch_execz .LBB103_151
; %bb.150:
	v_div_scale_f64 v[101:102], s[6:7], v[97:98], v[97:98], v[99:100]
	v_rcp_f64_e32 v[103:104], v[101:102]
	v_fma_f64 v[105:106], -v[101:102], v[103:104], 1.0
	v_fma_f64 v[103:104], v[103:104], v[105:106], v[103:104]
	v_div_scale_f64 v[105:106], vcc, v[99:100], v[97:98], v[99:100]
	v_fma_f64 v[107:108], -v[101:102], v[103:104], 1.0
	v_fma_f64 v[103:104], v[103:104], v[107:108], v[103:104]
	v_mul_f64 v[107:108], v[105:106], v[103:104]
	v_fma_f64 v[101:102], -v[101:102], v[107:108], v[105:106]
	v_div_fmas_f64 v[101:102], v[101:102], v[103:104], v[107:108]
	v_div_fixup_f64 v[103:104], v[101:102], v[97:98], v[99:100]
	v_fma_f64 v[97:98], v[99:100], v[103:104], v[97:98]
	v_div_scale_f64 v[99:100], s[6:7], v[97:98], v[97:98], 1.0
	v_div_scale_f64 v[107:108], vcc, 1.0, v[97:98], 1.0
	v_rcp_f64_e32 v[101:102], v[99:100]
	v_fma_f64 v[105:106], -v[99:100], v[101:102], 1.0
	v_fma_f64 v[101:102], v[101:102], v[105:106], v[101:102]
	v_fma_f64 v[105:106], -v[99:100], v[101:102], 1.0
	v_fma_f64 v[101:102], v[101:102], v[105:106], v[101:102]
	v_mul_f64 v[105:106], v[107:108], v[101:102]
	v_fma_f64 v[99:100], -v[99:100], v[105:106], v[107:108]
	v_div_fmas_f64 v[99:100], v[99:100], v[101:102], v[105:106]
	v_div_fixup_f64 v[101:102], v[99:100], v[97:98], 1.0
	v_mul_f64 v[103:104], v[103:104], -v[101:102]
.LBB103_151:
	s_or_b64 exec, exec, s[2:3]
	ds_write2_b64 v127, v[101:102], v[103:104] offset1:1
.LBB103_152:
	s_or_b64 exec, exec, s[4:5]
	s_waitcnt lgkmcnt(0)
	s_barrier
	ds_read2_b64 v[69:72], v127 offset1:1
	v_cmp_lt_u32_e32 vcc, 16, v0
	s_waitcnt lgkmcnt(0)
	buffer_store_dword v69, off, s[20:23], 0 offset:1128 ; 4-byte Folded Spill
	s_nop 0
	buffer_store_dword v70, off, s[20:23], 0 offset:1132 ; 4-byte Folded Spill
	buffer_store_dword v71, off, s[20:23], 0 offset:1136 ; 4-byte Folded Spill
	;; [unrolled: 1-line block ×3, first 2 shown]
	s_and_saveexec_b64 s[2:3], vcc
	s_cbranch_execz .LBB103_154
; %bb.153:
	buffer_load_dword v103, off, s[20:23], 0 offset:192 ; 4-byte Folded Reload
	buffer_load_dword v104, off, s[20:23], 0 offset:196 ; 4-byte Folded Reload
	;; [unrolled: 1-line block ×8, first 2 shown]
	s_waitcnt vmcnt(2)
	v_mul_f64 v[99:100], v[69:70], v[105:106]
	s_waitcnt vmcnt(0)
	v_mul_f64 v[97:98], v[71:72], v[105:106]
	v_fma_f64 v[105:106], v[71:72], v[103:104], v[99:100]
	ds_read2_b64 v[99:102], v125 offset0:34 offset1:35
	v_fma_f64 v[97:98], v[69:70], v[103:104], -v[97:98]
	buffer_load_dword v69, off, s[20:23], 0 offset:176 ; 4-byte Folded Reload
	buffer_load_dword v70, off, s[20:23], 0 offset:180 ; 4-byte Folded Reload
	buffer_load_dword v71, off, s[20:23], 0 offset:184 ; 4-byte Folded Reload
	buffer_load_dword v72, off, s[20:23], 0 offset:188 ; 4-byte Folded Reload
	s_waitcnt lgkmcnt(0)
	v_mul_f64 v[103:104], v[101:102], v[105:106]
	v_fma_f64 v[103:104], v[99:100], v[97:98], -v[103:104]
	v_mul_f64 v[99:100], v[99:100], v[105:106]
	v_fma_f64 v[99:100], v[101:102], v[97:98], v[99:100]
	s_waitcnt vmcnt(2)
	v_add_f64 v[69:70], v[69:70], -v[103:104]
	s_waitcnt vmcnt(0)
	v_add_f64 v[71:72], v[71:72], -v[99:100]
	buffer_store_dword v69, off, s[20:23], 0 offset:176 ; 4-byte Folded Spill
	s_nop 0
	buffer_store_dword v70, off, s[20:23], 0 offset:180 ; 4-byte Folded Spill
	buffer_store_dword v71, off, s[20:23], 0 offset:184 ; 4-byte Folded Spill
	buffer_store_dword v72, off, s[20:23], 0 offset:188 ; 4-byte Folded Spill
	ds_read2_b64 v[99:102], v125 offset0:36 offset1:37
	buffer_load_dword v69, off, s[20:23], 0 offset:160 ; 4-byte Folded Reload
	buffer_load_dword v70, off, s[20:23], 0 offset:164 ; 4-byte Folded Reload
	buffer_load_dword v71, off, s[20:23], 0 offset:168 ; 4-byte Folded Reload
	buffer_load_dword v72, off, s[20:23], 0 offset:172 ; 4-byte Folded Reload
	s_waitcnt lgkmcnt(0)
	v_mul_f64 v[103:104], v[101:102], v[105:106]
	v_fma_f64 v[103:104], v[99:100], v[97:98], -v[103:104]
	v_mul_f64 v[99:100], v[99:100], v[105:106]
	v_fma_f64 v[99:100], v[101:102], v[97:98], v[99:100]
	s_waitcnt vmcnt(2)
	v_add_f64 v[69:70], v[69:70], -v[103:104]
	s_waitcnt vmcnt(0)
	v_add_f64 v[71:72], v[71:72], -v[99:100]
	buffer_store_dword v69, off, s[20:23], 0 offset:160 ; 4-byte Folded Spill
	s_nop 0
	buffer_store_dword v70, off, s[20:23], 0 offset:164 ; 4-byte Folded Spill
	buffer_store_dword v71, off, s[20:23], 0 offset:168 ; 4-byte Folded Spill
	buffer_store_dword v72, off, s[20:23], 0 offset:172 ; 4-byte Folded Spill
	ds_read2_b64 v[99:102], v125 offset0:38 offset1:39
	;; [unrolled: 19-line block ×9, first 2 shown]
	v_mov_b32_e32 v69, v73
	v_mov_b32_e32 v70, v74
	;; [unrolled: 1-line block ×4, first 2 shown]
	s_waitcnt lgkmcnt(0)
	v_mul_f64 v[103:104], v[101:102], v[105:106]
	v_fma_f64 v[103:104], v[99:100], v[97:98], -v[103:104]
	v_mul_f64 v[99:100], v[99:100], v[105:106]
	v_add_f64 v[121:122], v[121:122], -v[103:104]
	v_fma_f64 v[99:100], v[101:102], v[97:98], v[99:100]
	v_add_f64 v[123:124], v[123:124], -v[99:100]
	ds_read2_b64 v[99:102], v125 offset0:54 offset1:55
	s_waitcnt lgkmcnt(0)
	v_mul_f64 v[103:104], v[101:102], v[105:106]
	v_fma_f64 v[103:104], v[99:100], v[97:98], -v[103:104]
	v_mul_f64 v[99:100], v[99:100], v[105:106]
	v_add_f64 v[117:118], v[117:118], -v[103:104]
	v_fma_f64 v[99:100], v[101:102], v[97:98], v[99:100]
	v_add_f64 v[119:120], v[119:120], -v[99:100]
	ds_read2_b64 v[99:102], v125 offset0:56 offset1:57
	;; [unrolled: 8-line block ×5, first 2 shown]
	buffer_load_dword v77, off, s[20:23], 0 offset:32 ; 4-byte Folded Reload
	buffer_load_dword v78, off, s[20:23], 0 offset:36 ; 4-byte Folded Reload
	;; [unrolled: 1-line block ×4, first 2 shown]
	s_waitcnt lgkmcnt(0)
	v_mul_f64 v[103:104], v[101:102], v[105:106]
	v_fma_f64 v[103:104], v[99:100], v[97:98], -v[103:104]
	v_mul_f64 v[99:100], v[99:100], v[105:106]
	v_fma_f64 v[99:100], v[101:102], v[97:98], v[99:100]
	s_waitcnt vmcnt(2)
	v_add_f64 v[77:78], v[77:78], -v[103:104]
	s_waitcnt vmcnt(0)
	v_add_f64 v[79:80], v[79:80], -v[99:100]
	buffer_store_dword v77, off, s[20:23], 0 offset:32 ; 4-byte Folded Spill
	s_nop 0
	buffer_store_dword v78, off, s[20:23], 0 offset:36 ; 4-byte Folded Spill
	buffer_store_dword v79, off, s[20:23], 0 offset:40 ; 4-byte Folded Spill
	;; [unrolled: 1-line block ×3, first 2 shown]
	ds_read2_b64 v[99:102], v125 offset0:64 offset1:65
	buffer_load_dword v73, off, s[20:23], 0 offset:16 ; 4-byte Folded Reload
	buffer_load_dword v74, off, s[20:23], 0 offset:20 ; 4-byte Folded Reload
	;; [unrolled: 1-line block ×4, first 2 shown]
	s_waitcnt lgkmcnt(0)
	v_mul_f64 v[103:104], v[101:102], v[105:106]
	v_fma_f64 v[103:104], v[99:100], v[97:98], -v[103:104]
	v_mul_f64 v[99:100], v[99:100], v[105:106]
	v_fma_f64 v[99:100], v[101:102], v[97:98], v[99:100]
	s_waitcnt vmcnt(2)
	v_add_f64 v[73:74], v[73:74], -v[103:104]
	s_waitcnt vmcnt(0)
	v_add_f64 v[75:76], v[75:76], -v[99:100]
	buffer_store_dword v73, off, s[20:23], 0 offset:16 ; 4-byte Folded Spill
	s_nop 0
	buffer_store_dword v74, off, s[20:23], 0 offset:20 ; 4-byte Folded Spill
	buffer_store_dword v75, off, s[20:23], 0 offset:24 ; 4-byte Folded Spill
	;; [unrolled: 1-line block ×3, first 2 shown]
	v_mov_b32_e32 v76, v72
	v_mov_b32_e32 v75, v71
	;; [unrolled: 1-line block ×4, first 2 shown]
	ds_read2_b64 v[99:102], v125 offset0:66 offset1:67
	buffer_load_dword v69, off, s[20:23], 0 ; 4-byte Folded Reload
	buffer_load_dword v70, off, s[20:23], 0 offset:4 ; 4-byte Folded Reload
	buffer_load_dword v71, off, s[20:23], 0 offset:8 ; 4-byte Folded Reload
	buffer_load_dword v72, off, s[20:23], 0 offset:12 ; 4-byte Folded Reload
	s_waitcnt lgkmcnt(0)
	v_mul_f64 v[103:104], v[101:102], v[105:106]
	v_fma_f64 v[103:104], v[99:100], v[97:98], -v[103:104]
	v_mul_f64 v[99:100], v[99:100], v[105:106]
	v_fma_f64 v[99:100], v[101:102], v[97:98], v[99:100]
	s_waitcnt vmcnt(2)
	v_add_f64 v[69:70], v[69:70], -v[103:104]
	s_waitcnt vmcnt(0)
	v_add_f64 v[71:72], v[71:72], -v[99:100]
	buffer_store_dword v69, off, s[20:23], 0 ; 4-byte Folded Spill
	s_nop 0
	buffer_store_dword v70, off, s[20:23], 0 offset:4 ; 4-byte Folded Spill
	buffer_store_dword v71, off, s[20:23], 0 offset:8 ; 4-byte Folded Spill
	;; [unrolled: 1-line block ×3, first 2 shown]
	ds_read2_b64 v[99:102], v125 offset0:68 offset1:69
	s_waitcnt lgkmcnt(0)
	v_mul_f64 v[103:104], v[101:102], v[105:106]
	v_fma_f64 v[103:104], v[99:100], v[97:98], -v[103:104]
	v_mul_f64 v[99:100], v[99:100], v[105:106]
	v_add_f64 v[65:66], v[65:66], -v[103:104]
	v_fma_f64 v[99:100], v[101:102], v[97:98], v[99:100]
	v_add_f64 v[67:68], v[67:68], -v[99:100]
	ds_read2_b64 v[99:102], v125 offset0:70 offset1:71
	s_waitcnt lgkmcnt(0)
	v_mul_f64 v[103:104], v[101:102], v[105:106]
	v_fma_f64 v[103:104], v[99:100], v[97:98], -v[103:104]
	v_mul_f64 v[99:100], v[99:100], v[105:106]
	v_add_f64 v[61:62], v[61:62], -v[103:104]
	v_fma_f64 v[99:100], v[101:102], v[97:98], v[99:100]
	v_add_f64 v[63:64], v[63:64], -v[99:100]
	;; [unrolled: 8-line block ×17, first 2 shown]
	ds_read2_b64 v[99:102], v125 offset0:102 offset1:103
	s_waitcnt lgkmcnt(0)
	v_mul_f64 v[103:104], v[101:102], v[105:106]
	v_fma_f64 v[103:104], v[99:100], v[97:98], -v[103:104]
	v_mul_f64 v[99:100], v[99:100], v[105:106]
	v_add_f64 v[73:74], v[73:74], -v[103:104]
	v_fma_f64 v[99:100], v[101:102], v[97:98], v[99:100]
	v_mov_b32_e32 v104, v98
	v_mov_b32_e32 v103, v97
	buffer_store_dword v103, off, s[20:23], 0 offset:192 ; 4-byte Folded Spill
	s_nop 0
	buffer_store_dword v104, off, s[20:23], 0 offset:196 ; 4-byte Folded Spill
	buffer_store_dword v105, off, s[20:23], 0 offset:200 ; 4-byte Folded Spill
	;; [unrolled: 1-line block ×3, first 2 shown]
	v_add_f64 v[75:76], v[75:76], -v[99:100]
.LBB103_154:
	s_or_b64 exec, exec, s[2:3]
	v_cmp_eq_u32_e32 vcc, 17, v0
	s_waitcnt vmcnt(0)
	s_barrier
	s_and_saveexec_b64 s[4:5], vcc
	s_cbranch_execz .LBB103_161
; %bb.155:
	buffer_load_dword v69, off, s[20:23], 0 offset:176 ; 4-byte Folded Reload
	buffer_load_dword v70, off, s[20:23], 0 offset:180 ; 4-byte Folded Reload
	;; [unrolled: 1-line block ×4, first 2 shown]
	s_waitcnt vmcnt(0)
	ds_write2_b64 v127, v[69:70], v[71:72] offset1:1
	buffer_load_dword v69, off, s[20:23], 0 offset:160 ; 4-byte Folded Reload
	buffer_load_dword v70, off, s[20:23], 0 offset:164 ; 4-byte Folded Reload
	buffer_load_dword v71, off, s[20:23], 0 offset:168 ; 4-byte Folded Reload
	buffer_load_dword v72, off, s[20:23], 0 offset:172 ; 4-byte Folded Reload
	s_waitcnt vmcnt(0)
	ds_write2_b64 v125, v[69:70], v[71:72] offset0:36 offset1:37
	buffer_load_dword v69, off, s[20:23], 0 offset:144 ; 4-byte Folded Reload
	buffer_load_dword v70, off, s[20:23], 0 offset:148 ; 4-byte Folded Reload
	buffer_load_dword v71, off, s[20:23], 0 offset:152 ; 4-byte Folded Reload
	buffer_load_dword v72, off, s[20:23], 0 offset:156 ; 4-byte Folded Reload
	s_waitcnt vmcnt(0)
	ds_write2_b64 v125, v[69:70], v[71:72] offset0:38 offset1:39
	buffer_load_dword v69, off, s[20:23], 0 offset:128 ; 4-byte Folded Reload
	buffer_load_dword v70, off, s[20:23], 0 offset:132 ; 4-byte Folded Reload
	buffer_load_dword v71, off, s[20:23], 0 offset:136 ; 4-byte Folded Reload
	buffer_load_dword v72, off, s[20:23], 0 offset:140 ; 4-byte Folded Reload
	s_waitcnt vmcnt(0)
	ds_write2_b64 v125, v[69:70], v[71:72] offset0:40 offset1:41
	buffer_load_dword v69, off, s[20:23], 0 offset:112 ; 4-byte Folded Reload
	buffer_load_dword v70, off, s[20:23], 0 offset:116 ; 4-byte Folded Reload
	buffer_load_dword v71, off, s[20:23], 0 offset:120 ; 4-byte Folded Reload
	buffer_load_dword v72, off, s[20:23], 0 offset:124 ; 4-byte Folded Reload
	s_waitcnt vmcnt(0)
	ds_write2_b64 v125, v[69:70], v[71:72] offset0:42 offset1:43
	buffer_load_dword v69, off, s[20:23], 0 offset:96 ; 4-byte Folded Reload
	buffer_load_dword v70, off, s[20:23], 0 offset:100 ; 4-byte Folded Reload
	buffer_load_dword v71, off, s[20:23], 0 offset:104 ; 4-byte Folded Reload
	buffer_load_dword v72, off, s[20:23], 0 offset:108 ; 4-byte Folded Reload
	s_waitcnt vmcnt(0)
	ds_write2_b64 v125, v[69:70], v[71:72] offset0:44 offset1:45
	buffer_load_dword v69, off, s[20:23], 0 offset:80 ; 4-byte Folded Reload
	buffer_load_dword v70, off, s[20:23], 0 offset:84 ; 4-byte Folded Reload
	buffer_load_dword v71, off, s[20:23], 0 offset:88 ; 4-byte Folded Reload
	buffer_load_dword v72, off, s[20:23], 0 offset:92 ; 4-byte Folded Reload
	s_waitcnt vmcnt(0)
	ds_write2_b64 v125, v[69:70], v[71:72] offset0:46 offset1:47
	buffer_load_dword v69, off, s[20:23], 0 offset:64 ; 4-byte Folded Reload
	buffer_load_dword v70, off, s[20:23], 0 offset:68 ; 4-byte Folded Reload
	buffer_load_dword v71, off, s[20:23], 0 offset:72 ; 4-byte Folded Reload
	buffer_load_dword v72, off, s[20:23], 0 offset:76 ; 4-byte Folded Reload
	s_waitcnt vmcnt(0)
	ds_write2_b64 v125, v[69:70], v[71:72] offset0:48 offset1:49
	buffer_load_dword v69, off, s[20:23], 0 offset:48 ; 4-byte Folded Reload
	buffer_load_dword v70, off, s[20:23], 0 offset:52 ; 4-byte Folded Reload
	buffer_load_dword v71, off, s[20:23], 0 offset:56 ; 4-byte Folded Reload
	buffer_load_dword v72, off, s[20:23], 0 offset:60 ; 4-byte Folded Reload
	s_waitcnt vmcnt(0)
	ds_write2_b64 v125, v[69:70], v[71:72] offset0:50 offset1:51
	ds_write2_b64 v125, v[121:122], v[123:124] offset0:52 offset1:53
	ds_write2_b64 v125, v[117:118], v[119:120] offset0:54 offset1:55
	;; [unrolled: 1-line block ×5, first 2 shown]
	buffer_load_dword v77, off, s[20:23], 0 offset:32 ; 4-byte Folded Reload
	buffer_load_dword v78, off, s[20:23], 0 offset:36 ; 4-byte Folded Reload
	;; [unrolled: 1-line block ×4, first 2 shown]
	v_mov_b32_e32 v69, v73
	v_mov_b32_e32 v70, v74
	;; [unrolled: 1-line block ×4, first 2 shown]
	s_waitcnt vmcnt(0)
	ds_write2_b64 v125, v[77:78], v[79:80] offset0:62 offset1:63
	buffer_load_dword v73, off, s[20:23], 0 offset:16 ; 4-byte Folded Reload
	buffer_load_dword v74, off, s[20:23], 0 offset:20 ; 4-byte Folded Reload
	buffer_load_dword v75, off, s[20:23], 0 offset:24 ; 4-byte Folded Reload
	buffer_load_dword v76, off, s[20:23], 0 offset:28 ; 4-byte Folded Reload
	s_waitcnt vmcnt(0)
	ds_write2_b64 v125, v[73:74], v[75:76] offset0:64 offset1:65
	v_mov_b32_e32 v76, v72
	v_mov_b32_e32 v75, v71
	;; [unrolled: 1-line block ×4, first 2 shown]
	buffer_load_dword v69, off, s[20:23], 0 ; 4-byte Folded Reload
	buffer_load_dword v70, off, s[20:23], 0 offset:4 ; 4-byte Folded Reload
	buffer_load_dword v71, off, s[20:23], 0 offset:8 ; 4-byte Folded Reload
	;; [unrolled: 1-line block ×3, first 2 shown]
	s_waitcnt vmcnt(0)
	ds_write2_b64 v125, v[69:70], v[71:72] offset0:66 offset1:67
	ds_write2_b64 v125, v[65:66], v[67:68] offset0:68 offset1:69
	;; [unrolled: 1-line block ×19, first 2 shown]
	ds_read2_b64 v[97:100], v127 offset1:1
	s_waitcnt lgkmcnt(0)
	v_cmp_neq_f64_e32 vcc, 0, v[97:98]
	v_cmp_neq_f64_e64 s[2:3], 0, v[99:100]
	s_or_b64 s[2:3], vcc, s[2:3]
	s_and_b64 exec, exec, s[2:3]
	s_cbranch_execz .LBB103_161
; %bb.156:
	v_cmp_ngt_f64_e64 s[2:3], |v[97:98]|, |v[99:100]|
                                        ; implicit-def: $vgpr101_vgpr102
	s_and_saveexec_b64 s[6:7], s[2:3]
	s_xor_b64 s[2:3], exec, s[6:7]
                                        ; implicit-def: $vgpr103_vgpr104
	s_cbranch_execz .LBB103_158
; %bb.157:
	v_div_scale_f64 v[101:102], s[6:7], v[99:100], v[99:100], v[97:98]
	v_rcp_f64_e32 v[103:104], v[101:102]
	v_fma_f64 v[105:106], -v[101:102], v[103:104], 1.0
	v_fma_f64 v[103:104], v[103:104], v[105:106], v[103:104]
	v_div_scale_f64 v[105:106], vcc, v[97:98], v[99:100], v[97:98]
	v_fma_f64 v[107:108], -v[101:102], v[103:104], 1.0
	v_fma_f64 v[103:104], v[103:104], v[107:108], v[103:104]
	v_mul_f64 v[107:108], v[105:106], v[103:104]
	v_fma_f64 v[101:102], -v[101:102], v[107:108], v[105:106]
	v_div_fmas_f64 v[101:102], v[101:102], v[103:104], v[107:108]
	v_div_fixup_f64 v[101:102], v[101:102], v[99:100], v[97:98]
	v_fma_f64 v[97:98], v[97:98], v[101:102], v[99:100]
	v_div_scale_f64 v[99:100], s[6:7], v[97:98], v[97:98], 1.0
	v_div_scale_f64 v[107:108], vcc, 1.0, v[97:98], 1.0
	v_rcp_f64_e32 v[103:104], v[99:100]
	v_fma_f64 v[105:106], -v[99:100], v[103:104], 1.0
	v_fma_f64 v[103:104], v[103:104], v[105:106], v[103:104]
	v_fma_f64 v[105:106], -v[99:100], v[103:104], 1.0
	v_fma_f64 v[103:104], v[103:104], v[105:106], v[103:104]
	v_mul_f64 v[105:106], v[107:108], v[103:104]
	v_fma_f64 v[99:100], -v[99:100], v[105:106], v[107:108]
	v_div_fmas_f64 v[99:100], v[99:100], v[103:104], v[105:106]
	v_div_fixup_f64 v[103:104], v[99:100], v[97:98], 1.0
                                        ; implicit-def: $vgpr97_vgpr98
	v_mul_f64 v[101:102], v[101:102], v[103:104]
	v_xor_b32_e32 v104, 0x80000000, v104
.LBB103_158:
	s_andn2_saveexec_b64 s[2:3], s[2:3]
	s_cbranch_execz .LBB103_160
; %bb.159:
	v_div_scale_f64 v[101:102], s[6:7], v[97:98], v[97:98], v[99:100]
	v_rcp_f64_e32 v[103:104], v[101:102]
	v_fma_f64 v[105:106], -v[101:102], v[103:104], 1.0
	v_fma_f64 v[103:104], v[103:104], v[105:106], v[103:104]
	v_div_scale_f64 v[105:106], vcc, v[99:100], v[97:98], v[99:100]
	v_fma_f64 v[107:108], -v[101:102], v[103:104], 1.0
	v_fma_f64 v[103:104], v[103:104], v[107:108], v[103:104]
	v_mul_f64 v[107:108], v[105:106], v[103:104]
	v_fma_f64 v[101:102], -v[101:102], v[107:108], v[105:106]
	v_div_fmas_f64 v[101:102], v[101:102], v[103:104], v[107:108]
	v_div_fixup_f64 v[103:104], v[101:102], v[97:98], v[99:100]
	v_fma_f64 v[97:98], v[99:100], v[103:104], v[97:98]
	v_div_scale_f64 v[99:100], s[6:7], v[97:98], v[97:98], 1.0
	v_div_scale_f64 v[107:108], vcc, 1.0, v[97:98], 1.0
	v_rcp_f64_e32 v[101:102], v[99:100]
	v_fma_f64 v[105:106], -v[99:100], v[101:102], 1.0
	v_fma_f64 v[101:102], v[101:102], v[105:106], v[101:102]
	v_fma_f64 v[105:106], -v[99:100], v[101:102], 1.0
	v_fma_f64 v[101:102], v[101:102], v[105:106], v[101:102]
	v_mul_f64 v[105:106], v[107:108], v[101:102]
	v_fma_f64 v[99:100], -v[99:100], v[105:106], v[107:108]
	v_div_fmas_f64 v[99:100], v[99:100], v[101:102], v[105:106]
	v_div_fixup_f64 v[101:102], v[99:100], v[97:98], 1.0
	v_mul_f64 v[103:104], v[103:104], -v[101:102]
.LBB103_160:
	s_or_b64 exec, exec, s[2:3]
	ds_write2_b64 v127, v[101:102], v[103:104] offset1:1
.LBB103_161:
	s_or_b64 exec, exec, s[4:5]
	s_waitcnt lgkmcnt(0)
	s_barrier
	ds_read2_b64 v[69:72], v127 offset1:1
	v_cmp_lt_u32_e32 vcc, 17, v0
	s_waitcnt lgkmcnt(0)
	buffer_store_dword v69, off, s[20:23], 0 offset:1144 ; 4-byte Folded Spill
	s_nop 0
	buffer_store_dword v70, off, s[20:23], 0 offset:1148 ; 4-byte Folded Spill
	buffer_store_dword v71, off, s[20:23], 0 offset:1152 ; 4-byte Folded Spill
	;; [unrolled: 1-line block ×3, first 2 shown]
	s_and_saveexec_b64 s[2:3], vcc
	s_cbranch_execz .LBB103_163
; %bb.162:
	buffer_load_dword v103, off, s[20:23], 0 offset:176 ; 4-byte Folded Reload
	buffer_load_dword v104, off, s[20:23], 0 offset:180 ; 4-byte Folded Reload
	;; [unrolled: 1-line block ×8, first 2 shown]
	s_waitcnt vmcnt(2)
	v_mul_f64 v[99:100], v[69:70], v[105:106]
	s_waitcnt vmcnt(0)
	v_mul_f64 v[97:98], v[71:72], v[105:106]
	v_fma_f64 v[105:106], v[71:72], v[103:104], v[99:100]
	ds_read2_b64 v[99:102], v125 offset0:36 offset1:37
	v_fma_f64 v[97:98], v[69:70], v[103:104], -v[97:98]
	buffer_load_dword v69, off, s[20:23], 0 offset:160 ; 4-byte Folded Reload
	buffer_load_dword v70, off, s[20:23], 0 offset:164 ; 4-byte Folded Reload
	buffer_load_dword v71, off, s[20:23], 0 offset:168 ; 4-byte Folded Reload
	buffer_load_dword v72, off, s[20:23], 0 offset:172 ; 4-byte Folded Reload
	s_waitcnt lgkmcnt(0)
	v_mul_f64 v[103:104], v[101:102], v[105:106]
	v_fma_f64 v[103:104], v[99:100], v[97:98], -v[103:104]
	v_mul_f64 v[99:100], v[99:100], v[105:106]
	v_fma_f64 v[99:100], v[101:102], v[97:98], v[99:100]
	s_waitcnt vmcnt(2)
	v_add_f64 v[69:70], v[69:70], -v[103:104]
	s_waitcnt vmcnt(0)
	v_add_f64 v[71:72], v[71:72], -v[99:100]
	buffer_store_dword v69, off, s[20:23], 0 offset:160 ; 4-byte Folded Spill
	s_nop 0
	buffer_store_dword v70, off, s[20:23], 0 offset:164 ; 4-byte Folded Spill
	buffer_store_dword v71, off, s[20:23], 0 offset:168 ; 4-byte Folded Spill
	buffer_store_dword v72, off, s[20:23], 0 offset:172 ; 4-byte Folded Spill
	ds_read2_b64 v[99:102], v125 offset0:38 offset1:39
	buffer_load_dword v69, off, s[20:23], 0 offset:144 ; 4-byte Folded Reload
	buffer_load_dword v70, off, s[20:23], 0 offset:148 ; 4-byte Folded Reload
	buffer_load_dword v71, off, s[20:23], 0 offset:152 ; 4-byte Folded Reload
	buffer_load_dword v72, off, s[20:23], 0 offset:156 ; 4-byte Folded Reload
	s_waitcnt lgkmcnt(0)
	v_mul_f64 v[103:104], v[101:102], v[105:106]
	v_fma_f64 v[103:104], v[99:100], v[97:98], -v[103:104]
	v_mul_f64 v[99:100], v[99:100], v[105:106]
	v_fma_f64 v[99:100], v[101:102], v[97:98], v[99:100]
	s_waitcnt vmcnt(2)
	v_add_f64 v[69:70], v[69:70], -v[103:104]
	s_waitcnt vmcnt(0)
	v_add_f64 v[71:72], v[71:72], -v[99:100]
	buffer_store_dword v69, off, s[20:23], 0 offset:144 ; 4-byte Folded Spill
	s_nop 0
	buffer_store_dword v70, off, s[20:23], 0 offset:148 ; 4-byte Folded Spill
	buffer_store_dword v71, off, s[20:23], 0 offset:152 ; 4-byte Folded Spill
	buffer_store_dword v72, off, s[20:23], 0 offset:156 ; 4-byte Folded Spill
	ds_read2_b64 v[99:102], v125 offset0:40 offset1:41
	;; [unrolled: 19-line block ×8, first 2 shown]
	v_mov_b32_e32 v69, v73
	v_mov_b32_e32 v70, v74
	;; [unrolled: 1-line block ×4, first 2 shown]
	s_waitcnt lgkmcnt(0)
	v_mul_f64 v[103:104], v[101:102], v[105:106]
	v_fma_f64 v[103:104], v[99:100], v[97:98], -v[103:104]
	v_mul_f64 v[99:100], v[99:100], v[105:106]
	v_add_f64 v[121:122], v[121:122], -v[103:104]
	v_fma_f64 v[99:100], v[101:102], v[97:98], v[99:100]
	v_add_f64 v[123:124], v[123:124], -v[99:100]
	ds_read2_b64 v[99:102], v125 offset0:54 offset1:55
	s_waitcnt lgkmcnt(0)
	v_mul_f64 v[103:104], v[101:102], v[105:106]
	v_fma_f64 v[103:104], v[99:100], v[97:98], -v[103:104]
	v_mul_f64 v[99:100], v[99:100], v[105:106]
	v_add_f64 v[117:118], v[117:118], -v[103:104]
	v_fma_f64 v[99:100], v[101:102], v[97:98], v[99:100]
	v_add_f64 v[119:120], v[119:120], -v[99:100]
	ds_read2_b64 v[99:102], v125 offset0:56 offset1:57
	;; [unrolled: 8-line block ×5, first 2 shown]
	buffer_load_dword v77, off, s[20:23], 0 offset:32 ; 4-byte Folded Reload
	buffer_load_dword v78, off, s[20:23], 0 offset:36 ; 4-byte Folded Reload
	;; [unrolled: 1-line block ×4, first 2 shown]
	s_waitcnt lgkmcnt(0)
	v_mul_f64 v[103:104], v[101:102], v[105:106]
	v_fma_f64 v[103:104], v[99:100], v[97:98], -v[103:104]
	v_mul_f64 v[99:100], v[99:100], v[105:106]
	v_fma_f64 v[99:100], v[101:102], v[97:98], v[99:100]
	s_waitcnt vmcnt(2)
	v_add_f64 v[77:78], v[77:78], -v[103:104]
	s_waitcnt vmcnt(0)
	v_add_f64 v[79:80], v[79:80], -v[99:100]
	buffer_store_dword v77, off, s[20:23], 0 offset:32 ; 4-byte Folded Spill
	s_nop 0
	buffer_store_dword v78, off, s[20:23], 0 offset:36 ; 4-byte Folded Spill
	buffer_store_dword v79, off, s[20:23], 0 offset:40 ; 4-byte Folded Spill
	;; [unrolled: 1-line block ×3, first 2 shown]
	ds_read2_b64 v[99:102], v125 offset0:64 offset1:65
	buffer_load_dword v73, off, s[20:23], 0 offset:16 ; 4-byte Folded Reload
	buffer_load_dword v74, off, s[20:23], 0 offset:20 ; 4-byte Folded Reload
	;; [unrolled: 1-line block ×4, first 2 shown]
	s_waitcnt lgkmcnt(0)
	v_mul_f64 v[103:104], v[101:102], v[105:106]
	v_fma_f64 v[103:104], v[99:100], v[97:98], -v[103:104]
	v_mul_f64 v[99:100], v[99:100], v[105:106]
	v_fma_f64 v[99:100], v[101:102], v[97:98], v[99:100]
	s_waitcnt vmcnt(2)
	v_add_f64 v[73:74], v[73:74], -v[103:104]
	s_waitcnt vmcnt(0)
	v_add_f64 v[75:76], v[75:76], -v[99:100]
	buffer_store_dword v73, off, s[20:23], 0 offset:16 ; 4-byte Folded Spill
	s_nop 0
	buffer_store_dword v74, off, s[20:23], 0 offset:20 ; 4-byte Folded Spill
	buffer_store_dword v75, off, s[20:23], 0 offset:24 ; 4-byte Folded Spill
	;; [unrolled: 1-line block ×3, first 2 shown]
	v_mov_b32_e32 v76, v72
	v_mov_b32_e32 v75, v71
	;; [unrolled: 1-line block ×4, first 2 shown]
	ds_read2_b64 v[99:102], v125 offset0:66 offset1:67
	buffer_load_dword v69, off, s[20:23], 0 ; 4-byte Folded Reload
	buffer_load_dword v70, off, s[20:23], 0 offset:4 ; 4-byte Folded Reload
	buffer_load_dword v71, off, s[20:23], 0 offset:8 ; 4-byte Folded Reload
	;; [unrolled: 1-line block ×3, first 2 shown]
	s_waitcnt lgkmcnt(0)
	v_mul_f64 v[103:104], v[101:102], v[105:106]
	v_fma_f64 v[103:104], v[99:100], v[97:98], -v[103:104]
	v_mul_f64 v[99:100], v[99:100], v[105:106]
	v_fma_f64 v[99:100], v[101:102], v[97:98], v[99:100]
	s_waitcnt vmcnt(2)
	v_add_f64 v[69:70], v[69:70], -v[103:104]
	s_waitcnt vmcnt(0)
	v_add_f64 v[71:72], v[71:72], -v[99:100]
	buffer_store_dword v69, off, s[20:23], 0 ; 4-byte Folded Spill
	s_nop 0
	buffer_store_dword v70, off, s[20:23], 0 offset:4 ; 4-byte Folded Spill
	buffer_store_dword v71, off, s[20:23], 0 offset:8 ; 4-byte Folded Spill
	;; [unrolled: 1-line block ×3, first 2 shown]
	ds_read2_b64 v[99:102], v125 offset0:68 offset1:69
	s_waitcnt lgkmcnt(0)
	v_mul_f64 v[103:104], v[101:102], v[105:106]
	v_fma_f64 v[103:104], v[99:100], v[97:98], -v[103:104]
	v_mul_f64 v[99:100], v[99:100], v[105:106]
	v_add_f64 v[65:66], v[65:66], -v[103:104]
	v_fma_f64 v[99:100], v[101:102], v[97:98], v[99:100]
	v_add_f64 v[67:68], v[67:68], -v[99:100]
	ds_read2_b64 v[99:102], v125 offset0:70 offset1:71
	s_waitcnt lgkmcnt(0)
	v_mul_f64 v[103:104], v[101:102], v[105:106]
	v_fma_f64 v[103:104], v[99:100], v[97:98], -v[103:104]
	v_mul_f64 v[99:100], v[99:100], v[105:106]
	v_add_f64 v[61:62], v[61:62], -v[103:104]
	v_fma_f64 v[99:100], v[101:102], v[97:98], v[99:100]
	v_add_f64 v[63:64], v[63:64], -v[99:100]
	;; [unrolled: 8-line block ×17, first 2 shown]
	ds_read2_b64 v[99:102], v125 offset0:102 offset1:103
	s_waitcnt lgkmcnt(0)
	v_mul_f64 v[103:104], v[101:102], v[105:106]
	v_fma_f64 v[103:104], v[99:100], v[97:98], -v[103:104]
	v_mul_f64 v[99:100], v[99:100], v[105:106]
	v_add_f64 v[73:74], v[73:74], -v[103:104]
	v_fma_f64 v[99:100], v[101:102], v[97:98], v[99:100]
	v_mov_b32_e32 v104, v98
	v_mov_b32_e32 v103, v97
	buffer_store_dword v103, off, s[20:23], 0 offset:176 ; 4-byte Folded Spill
	s_nop 0
	buffer_store_dword v104, off, s[20:23], 0 offset:180 ; 4-byte Folded Spill
	buffer_store_dword v105, off, s[20:23], 0 offset:184 ; 4-byte Folded Spill
	;; [unrolled: 1-line block ×3, first 2 shown]
	v_add_f64 v[75:76], v[75:76], -v[99:100]
.LBB103_163:
	s_or_b64 exec, exec, s[2:3]
	v_cmp_eq_u32_e32 vcc, 18, v0
	s_waitcnt vmcnt(0)
	s_barrier
	s_and_saveexec_b64 s[4:5], vcc
	s_cbranch_execz .LBB103_170
; %bb.164:
	buffer_load_dword v69, off, s[20:23], 0 offset:160 ; 4-byte Folded Reload
	buffer_load_dword v70, off, s[20:23], 0 offset:164 ; 4-byte Folded Reload
	;; [unrolled: 1-line block ×4, first 2 shown]
	s_waitcnt vmcnt(0)
	ds_write2_b64 v127, v[69:70], v[71:72] offset1:1
	buffer_load_dword v69, off, s[20:23], 0 offset:144 ; 4-byte Folded Reload
	buffer_load_dword v70, off, s[20:23], 0 offset:148 ; 4-byte Folded Reload
	buffer_load_dword v71, off, s[20:23], 0 offset:152 ; 4-byte Folded Reload
	buffer_load_dword v72, off, s[20:23], 0 offset:156 ; 4-byte Folded Reload
	s_waitcnt vmcnt(0)
	ds_write2_b64 v125, v[69:70], v[71:72] offset0:38 offset1:39
	buffer_load_dword v69, off, s[20:23], 0 offset:128 ; 4-byte Folded Reload
	buffer_load_dword v70, off, s[20:23], 0 offset:132 ; 4-byte Folded Reload
	buffer_load_dword v71, off, s[20:23], 0 offset:136 ; 4-byte Folded Reload
	buffer_load_dword v72, off, s[20:23], 0 offset:140 ; 4-byte Folded Reload
	s_waitcnt vmcnt(0)
	ds_write2_b64 v125, v[69:70], v[71:72] offset0:40 offset1:41
	;; [unrolled: 6-line block ×7, first 2 shown]
	ds_write2_b64 v125, v[121:122], v[123:124] offset0:52 offset1:53
	ds_write2_b64 v125, v[117:118], v[119:120] offset0:54 offset1:55
	;; [unrolled: 1-line block ×5, first 2 shown]
	buffer_load_dword v77, off, s[20:23], 0 offset:32 ; 4-byte Folded Reload
	buffer_load_dword v78, off, s[20:23], 0 offset:36 ; 4-byte Folded Reload
	;; [unrolled: 1-line block ×4, first 2 shown]
	v_mov_b32_e32 v69, v73
	v_mov_b32_e32 v70, v74
	v_mov_b32_e32 v71, v75
	v_mov_b32_e32 v72, v76
	s_waitcnt vmcnt(0)
	ds_write2_b64 v125, v[77:78], v[79:80] offset0:62 offset1:63
	buffer_load_dword v73, off, s[20:23], 0 offset:16 ; 4-byte Folded Reload
	buffer_load_dword v74, off, s[20:23], 0 offset:20 ; 4-byte Folded Reload
	;; [unrolled: 1-line block ×4, first 2 shown]
	s_waitcnt vmcnt(0)
	ds_write2_b64 v125, v[73:74], v[75:76] offset0:64 offset1:65
	v_mov_b32_e32 v76, v72
	v_mov_b32_e32 v75, v71
	;; [unrolled: 1-line block ×4, first 2 shown]
	buffer_load_dword v69, off, s[20:23], 0 ; 4-byte Folded Reload
	buffer_load_dword v70, off, s[20:23], 0 offset:4 ; 4-byte Folded Reload
	buffer_load_dword v71, off, s[20:23], 0 offset:8 ; 4-byte Folded Reload
	;; [unrolled: 1-line block ×3, first 2 shown]
	s_waitcnt vmcnt(0)
	ds_write2_b64 v125, v[69:70], v[71:72] offset0:66 offset1:67
	ds_write2_b64 v125, v[65:66], v[67:68] offset0:68 offset1:69
	;; [unrolled: 1-line block ×19, first 2 shown]
	ds_read2_b64 v[97:100], v127 offset1:1
	s_waitcnt lgkmcnt(0)
	v_cmp_neq_f64_e32 vcc, 0, v[97:98]
	v_cmp_neq_f64_e64 s[2:3], 0, v[99:100]
	s_or_b64 s[2:3], vcc, s[2:3]
	s_and_b64 exec, exec, s[2:3]
	s_cbranch_execz .LBB103_170
; %bb.165:
	v_cmp_ngt_f64_e64 s[2:3], |v[97:98]|, |v[99:100]|
                                        ; implicit-def: $vgpr101_vgpr102
	s_and_saveexec_b64 s[6:7], s[2:3]
	s_xor_b64 s[2:3], exec, s[6:7]
                                        ; implicit-def: $vgpr103_vgpr104
	s_cbranch_execz .LBB103_167
; %bb.166:
	v_div_scale_f64 v[101:102], s[6:7], v[99:100], v[99:100], v[97:98]
	v_rcp_f64_e32 v[103:104], v[101:102]
	v_fma_f64 v[105:106], -v[101:102], v[103:104], 1.0
	v_fma_f64 v[103:104], v[103:104], v[105:106], v[103:104]
	v_div_scale_f64 v[105:106], vcc, v[97:98], v[99:100], v[97:98]
	v_fma_f64 v[107:108], -v[101:102], v[103:104], 1.0
	v_fma_f64 v[103:104], v[103:104], v[107:108], v[103:104]
	v_mul_f64 v[107:108], v[105:106], v[103:104]
	v_fma_f64 v[101:102], -v[101:102], v[107:108], v[105:106]
	v_div_fmas_f64 v[101:102], v[101:102], v[103:104], v[107:108]
	v_div_fixup_f64 v[101:102], v[101:102], v[99:100], v[97:98]
	v_fma_f64 v[97:98], v[97:98], v[101:102], v[99:100]
	v_div_scale_f64 v[99:100], s[6:7], v[97:98], v[97:98], 1.0
	v_div_scale_f64 v[107:108], vcc, 1.0, v[97:98], 1.0
	v_rcp_f64_e32 v[103:104], v[99:100]
	v_fma_f64 v[105:106], -v[99:100], v[103:104], 1.0
	v_fma_f64 v[103:104], v[103:104], v[105:106], v[103:104]
	v_fma_f64 v[105:106], -v[99:100], v[103:104], 1.0
	v_fma_f64 v[103:104], v[103:104], v[105:106], v[103:104]
	v_mul_f64 v[105:106], v[107:108], v[103:104]
	v_fma_f64 v[99:100], -v[99:100], v[105:106], v[107:108]
	v_div_fmas_f64 v[99:100], v[99:100], v[103:104], v[105:106]
	v_div_fixup_f64 v[103:104], v[99:100], v[97:98], 1.0
                                        ; implicit-def: $vgpr97_vgpr98
	v_mul_f64 v[101:102], v[101:102], v[103:104]
	v_xor_b32_e32 v104, 0x80000000, v104
.LBB103_167:
	s_andn2_saveexec_b64 s[2:3], s[2:3]
	s_cbranch_execz .LBB103_169
; %bb.168:
	v_div_scale_f64 v[101:102], s[6:7], v[97:98], v[97:98], v[99:100]
	v_rcp_f64_e32 v[103:104], v[101:102]
	v_fma_f64 v[105:106], -v[101:102], v[103:104], 1.0
	v_fma_f64 v[103:104], v[103:104], v[105:106], v[103:104]
	v_div_scale_f64 v[105:106], vcc, v[99:100], v[97:98], v[99:100]
	v_fma_f64 v[107:108], -v[101:102], v[103:104], 1.0
	v_fma_f64 v[103:104], v[103:104], v[107:108], v[103:104]
	v_mul_f64 v[107:108], v[105:106], v[103:104]
	v_fma_f64 v[101:102], -v[101:102], v[107:108], v[105:106]
	v_div_fmas_f64 v[101:102], v[101:102], v[103:104], v[107:108]
	v_div_fixup_f64 v[103:104], v[101:102], v[97:98], v[99:100]
	v_fma_f64 v[97:98], v[99:100], v[103:104], v[97:98]
	v_div_scale_f64 v[99:100], s[6:7], v[97:98], v[97:98], 1.0
	v_div_scale_f64 v[107:108], vcc, 1.0, v[97:98], 1.0
	v_rcp_f64_e32 v[101:102], v[99:100]
	v_fma_f64 v[105:106], -v[99:100], v[101:102], 1.0
	v_fma_f64 v[101:102], v[101:102], v[105:106], v[101:102]
	v_fma_f64 v[105:106], -v[99:100], v[101:102], 1.0
	v_fma_f64 v[101:102], v[101:102], v[105:106], v[101:102]
	v_mul_f64 v[105:106], v[107:108], v[101:102]
	v_fma_f64 v[99:100], -v[99:100], v[105:106], v[107:108]
	v_div_fmas_f64 v[99:100], v[99:100], v[101:102], v[105:106]
	v_div_fixup_f64 v[101:102], v[99:100], v[97:98], 1.0
	v_mul_f64 v[103:104], v[103:104], -v[101:102]
.LBB103_169:
	s_or_b64 exec, exec, s[2:3]
	ds_write2_b64 v127, v[101:102], v[103:104] offset1:1
.LBB103_170:
	s_or_b64 exec, exec, s[4:5]
	s_waitcnt lgkmcnt(0)
	s_barrier
	ds_read2_b64 v[69:72], v127 offset1:1
	v_cmp_lt_u32_e32 vcc, 18, v0
	s_waitcnt lgkmcnt(0)
	buffer_store_dword v69, off, s[20:23], 0 offset:1160 ; 4-byte Folded Spill
	s_nop 0
	buffer_store_dword v70, off, s[20:23], 0 offset:1164 ; 4-byte Folded Spill
	buffer_store_dword v71, off, s[20:23], 0 offset:1168 ; 4-byte Folded Spill
	;; [unrolled: 1-line block ×3, first 2 shown]
	s_and_saveexec_b64 s[2:3], vcc
	s_cbranch_execz .LBB103_172
; %bb.171:
	buffer_load_dword v103, off, s[20:23], 0 offset:160 ; 4-byte Folded Reload
	buffer_load_dword v104, off, s[20:23], 0 offset:164 ; 4-byte Folded Reload
	;; [unrolled: 1-line block ×8, first 2 shown]
	s_waitcnt vmcnt(2)
	v_mul_f64 v[99:100], v[69:70], v[105:106]
	s_waitcnt vmcnt(0)
	v_mul_f64 v[97:98], v[71:72], v[105:106]
	v_fma_f64 v[105:106], v[71:72], v[103:104], v[99:100]
	ds_read2_b64 v[99:102], v125 offset0:38 offset1:39
	v_fma_f64 v[97:98], v[69:70], v[103:104], -v[97:98]
	buffer_load_dword v69, off, s[20:23], 0 offset:144 ; 4-byte Folded Reload
	buffer_load_dword v70, off, s[20:23], 0 offset:148 ; 4-byte Folded Reload
	buffer_load_dword v71, off, s[20:23], 0 offset:152 ; 4-byte Folded Reload
	buffer_load_dword v72, off, s[20:23], 0 offset:156 ; 4-byte Folded Reload
	s_waitcnt lgkmcnt(0)
	v_mul_f64 v[103:104], v[101:102], v[105:106]
	v_fma_f64 v[103:104], v[99:100], v[97:98], -v[103:104]
	v_mul_f64 v[99:100], v[99:100], v[105:106]
	v_fma_f64 v[99:100], v[101:102], v[97:98], v[99:100]
	s_waitcnt vmcnt(2)
	v_add_f64 v[69:70], v[69:70], -v[103:104]
	s_waitcnt vmcnt(0)
	v_add_f64 v[71:72], v[71:72], -v[99:100]
	buffer_store_dword v69, off, s[20:23], 0 offset:144 ; 4-byte Folded Spill
	s_nop 0
	buffer_store_dword v70, off, s[20:23], 0 offset:148 ; 4-byte Folded Spill
	buffer_store_dword v71, off, s[20:23], 0 offset:152 ; 4-byte Folded Spill
	buffer_store_dword v72, off, s[20:23], 0 offset:156 ; 4-byte Folded Spill
	ds_read2_b64 v[99:102], v125 offset0:40 offset1:41
	buffer_load_dword v69, off, s[20:23], 0 offset:128 ; 4-byte Folded Reload
	buffer_load_dword v70, off, s[20:23], 0 offset:132 ; 4-byte Folded Reload
	buffer_load_dword v71, off, s[20:23], 0 offset:136 ; 4-byte Folded Reload
	buffer_load_dword v72, off, s[20:23], 0 offset:140 ; 4-byte Folded Reload
	s_waitcnt lgkmcnt(0)
	v_mul_f64 v[103:104], v[101:102], v[105:106]
	v_fma_f64 v[103:104], v[99:100], v[97:98], -v[103:104]
	v_mul_f64 v[99:100], v[99:100], v[105:106]
	v_fma_f64 v[99:100], v[101:102], v[97:98], v[99:100]
	s_waitcnt vmcnt(2)
	v_add_f64 v[69:70], v[69:70], -v[103:104]
	s_waitcnt vmcnt(0)
	v_add_f64 v[71:72], v[71:72], -v[99:100]
	buffer_store_dword v69, off, s[20:23], 0 offset:128 ; 4-byte Folded Spill
	s_nop 0
	buffer_store_dword v70, off, s[20:23], 0 offset:132 ; 4-byte Folded Spill
	buffer_store_dword v71, off, s[20:23], 0 offset:136 ; 4-byte Folded Spill
	buffer_store_dword v72, off, s[20:23], 0 offset:140 ; 4-byte Folded Spill
	ds_read2_b64 v[99:102], v125 offset0:42 offset1:43
	;; [unrolled: 19-line block ×7, first 2 shown]
	v_mov_b32_e32 v69, v73
	v_mov_b32_e32 v70, v74
	;; [unrolled: 1-line block ×4, first 2 shown]
	s_waitcnt lgkmcnt(0)
	v_mul_f64 v[103:104], v[101:102], v[105:106]
	v_fma_f64 v[103:104], v[99:100], v[97:98], -v[103:104]
	v_mul_f64 v[99:100], v[99:100], v[105:106]
	v_add_f64 v[121:122], v[121:122], -v[103:104]
	v_fma_f64 v[99:100], v[101:102], v[97:98], v[99:100]
	v_add_f64 v[123:124], v[123:124], -v[99:100]
	ds_read2_b64 v[99:102], v125 offset0:54 offset1:55
	s_waitcnt lgkmcnt(0)
	v_mul_f64 v[103:104], v[101:102], v[105:106]
	v_fma_f64 v[103:104], v[99:100], v[97:98], -v[103:104]
	v_mul_f64 v[99:100], v[99:100], v[105:106]
	v_add_f64 v[117:118], v[117:118], -v[103:104]
	v_fma_f64 v[99:100], v[101:102], v[97:98], v[99:100]
	v_add_f64 v[119:120], v[119:120], -v[99:100]
	ds_read2_b64 v[99:102], v125 offset0:56 offset1:57
	;; [unrolled: 8-line block ×5, first 2 shown]
	buffer_load_dword v77, off, s[20:23], 0 offset:32 ; 4-byte Folded Reload
	buffer_load_dword v78, off, s[20:23], 0 offset:36 ; 4-byte Folded Reload
	;; [unrolled: 1-line block ×4, first 2 shown]
	s_waitcnt lgkmcnt(0)
	v_mul_f64 v[103:104], v[101:102], v[105:106]
	v_fma_f64 v[103:104], v[99:100], v[97:98], -v[103:104]
	v_mul_f64 v[99:100], v[99:100], v[105:106]
	v_fma_f64 v[99:100], v[101:102], v[97:98], v[99:100]
	s_waitcnt vmcnt(2)
	v_add_f64 v[77:78], v[77:78], -v[103:104]
	s_waitcnt vmcnt(0)
	v_add_f64 v[79:80], v[79:80], -v[99:100]
	buffer_store_dword v77, off, s[20:23], 0 offset:32 ; 4-byte Folded Spill
	s_nop 0
	buffer_store_dword v78, off, s[20:23], 0 offset:36 ; 4-byte Folded Spill
	buffer_store_dword v79, off, s[20:23], 0 offset:40 ; 4-byte Folded Spill
	;; [unrolled: 1-line block ×3, first 2 shown]
	ds_read2_b64 v[99:102], v125 offset0:64 offset1:65
	buffer_load_dword v73, off, s[20:23], 0 offset:16 ; 4-byte Folded Reload
	buffer_load_dword v74, off, s[20:23], 0 offset:20 ; 4-byte Folded Reload
	;; [unrolled: 1-line block ×4, first 2 shown]
	s_waitcnt lgkmcnt(0)
	v_mul_f64 v[103:104], v[101:102], v[105:106]
	v_fma_f64 v[103:104], v[99:100], v[97:98], -v[103:104]
	v_mul_f64 v[99:100], v[99:100], v[105:106]
	v_fma_f64 v[99:100], v[101:102], v[97:98], v[99:100]
	s_waitcnt vmcnt(2)
	v_add_f64 v[73:74], v[73:74], -v[103:104]
	s_waitcnt vmcnt(0)
	v_add_f64 v[75:76], v[75:76], -v[99:100]
	buffer_store_dword v73, off, s[20:23], 0 offset:16 ; 4-byte Folded Spill
	s_nop 0
	buffer_store_dword v74, off, s[20:23], 0 offset:20 ; 4-byte Folded Spill
	buffer_store_dword v75, off, s[20:23], 0 offset:24 ; 4-byte Folded Spill
	;; [unrolled: 1-line block ×3, first 2 shown]
	v_mov_b32_e32 v76, v72
	v_mov_b32_e32 v75, v71
	;; [unrolled: 1-line block ×4, first 2 shown]
	ds_read2_b64 v[99:102], v125 offset0:66 offset1:67
	buffer_load_dword v69, off, s[20:23], 0 ; 4-byte Folded Reload
	buffer_load_dword v70, off, s[20:23], 0 offset:4 ; 4-byte Folded Reload
	buffer_load_dword v71, off, s[20:23], 0 offset:8 ; 4-byte Folded Reload
	;; [unrolled: 1-line block ×3, first 2 shown]
	s_waitcnt lgkmcnt(0)
	v_mul_f64 v[103:104], v[101:102], v[105:106]
	v_fma_f64 v[103:104], v[99:100], v[97:98], -v[103:104]
	v_mul_f64 v[99:100], v[99:100], v[105:106]
	v_fma_f64 v[99:100], v[101:102], v[97:98], v[99:100]
	s_waitcnt vmcnt(2)
	v_add_f64 v[69:70], v[69:70], -v[103:104]
	s_waitcnt vmcnt(0)
	v_add_f64 v[71:72], v[71:72], -v[99:100]
	buffer_store_dword v69, off, s[20:23], 0 ; 4-byte Folded Spill
	s_nop 0
	buffer_store_dword v70, off, s[20:23], 0 offset:4 ; 4-byte Folded Spill
	buffer_store_dword v71, off, s[20:23], 0 offset:8 ; 4-byte Folded Spill
	;; [unrolled: 1-line block ×3, first 2 shown]
	ds_read2_b64 v[99:102], v125 offset0:68 offset1:69
	s_waitcnt lgkmcnt(0)
	v_mul_f64 v[103:104], v[101:102], v[105:106]
	v_fma_f64 v[103:104], v[99:100], v[97:98], -v[103:104]
	v_mul_f64 v[99:100], v[99:100], v[105:106]
	v_add_f64 v[65:66], v[65:66], -v[103:104]
	v_fma_f64 v[99:100], v[101:102], v[97:98], v[99:100]
	v_add_f64 v[67:68], v[67:68], -v[99:100]
	ds_read2_b64 v[99:102], v125 offset0:70 offset1:71
	s_waitcnt lgkmcnt(0)
	v_mul_f64 v[103:104], v[101:102], v[105:106]
	v_fma_f64 v[103:104], v[99:100], v[97:98], -v[103:104]
	v_mul_f64 v[99:100], v[99:100], v[105:106]
	v_add_f64 v[61:62], v[61:62], -v[103:104]
	v_fma_f64 v[99:100], v[101:102], v[97:98], v[99:100]
	v_add_f64 v[63:64], v[63:64], -v[99:100]
	ds_read2_b64 v[99:102], v125 offset0:72 offset1:73
	s_waitcnt lgkmcnt(0)
	v_mul_f64 v[103:104], v[101:102], v[105:106]
	v_fma_f64 v[103:104], v[99:100], v[97:98], -v[103:104]
	v_mul_f64 v[99:100], v[99:100], v[105:106]
	v_add_f64 v[57:58], v[57:58], -v[103:104]
	v_fma_f64 v[99:100], v[101:102], v[97:98], v[99:100]
	v_add_f64 v[59:60], v[59:60], -v[99:100]
	ds_read2_b64 v[99:102], v125 offset0:74 offset1:75
	s_waitcnt lgkmcnt(0)
	v_mul_f64 v[103:104], v[101:102], v[105:106]
	v_fma_f64 v[103:104], v[99:100], v[97:98], -v[103:104]
	v_mul_f64 v[99:100], v[99:100], v[105:106]
	v_add_f64 v[53:54], v[53:54], -v[103:104]
	v_fma_f64 v[99:100], v[101:102], v[97:98], v[99:100]
	v_add_f64 v[55:56], v[55:56], -v[99:100]
	ds_read2_b64 v[99:102], v125 offset0:76 offset1:77
	s_waitcnt lgkmcnt(0)
	v_mul_f64 v[103:104], v[101:102], v[105:106]
	v_fma_f64 v[103:104], v[99:100], v[97:98], -v[103:104]
	v_mul_f64 v[99:100], v[99:100], v[105:106]
	v_add_f64 v[49:50], v[49:50], -v[103:104]
	v_fma_f64 v[99:100], v[101:102], v[97:98], v[99:100]
	v_add_f64 v[51:52], v[51:52], -v[99:100]
	ds_read2_b64 v[99:102], v125 offset0:78 offset1:79
	s_waitcnt lgkmcnt(0)
	v_mul_f64 v[103:104], v[101:102], v[105:106]
	v_fma_f64 v[103:104], v[99:100], v[97:98], -v[103:104]
	v_mul_f64 v[99:100], v[99:100], v[105:106]
	v_add_f64 v[45:46], v[45:46], -v[103:104]
	v_fma_f64 v[99:100], v[101:102], v[97:98], v[99:100]
	v_add_f64 v[47:48], v[47:48], -v[99:100]
	ds_read2_b64 v[99:102], v125 offset0:80 offset1:81
	s_waitcnt lgkmcnt(0)
	v_mul_f64 v[103:104], v[101:102], v[105:106]
	v_fma_f64 v[103:104], v[99:100], v[97:98], -v[103:104]
	v_mul_f64 v[99:100], v[99:100], v[105:106]
	v_add_f64 v[41:42], v[41:42], -v[103:104]
	v_fma_f64 v[99:100], v[101:102], v[97:98], v[99:100]
	v_add_f64 v[43:44], v[43:44], -v[99:100]
	ds_read2_b64 v[99:102], v125 offset0:82 offset1:83
	s_waitcnt lgkmcnt(0)
	v_mul_f64 v[103:104], v[101:102], v[105:106]
	v_fma_f64 v[103:104], v[99:100], v[97:98], -v[103:104]
	v_mul_f64 v[99:100], v[99:100], v[105:106]
	v_add_f64 v[37:38], v[37:38], -v[103:104]
	v_fma_f64 v[99:100], v[101:102], v[97:98], v[99:100]
	v_add_f64 v[39:40], v[39:40], -v[99:100]
	ds_read2_b64 v[99:102], v125 offset0:84 offset1:85
	s_waitcnt lgkmcnt(0)
	v_mul_f64 v[103:104], v[101:102], v[105:106]
	v_fma_f64 v[103:104], v[99:100], v[97:98], -v[103:104]
	v_mul_f64 v[99:100], v[99:100], v[105:106]
	v_add_f64 v[33:34], v[33:34], -v[103:104]
	v_fma_f64 v[99:100], v[101:102], v[97:98], v[99:100]
	v_add_f64 v[35:36], v[35:36], -v[99:100]
	ds_read2_b64 v[99:102], v125 offset0:86 offset1:87
	s_waitcnt lgkmcnt(0)
	v_mul_f64 v[103:104], v[101:102], v[105:106]
	v_fma_f64 v[103:104], v[99:100], v[97:98], -v[103:104]
	v_mul_f64 v[99:100], v[99:100], v[105:106]
	v_add_f64 v[29:30], v[29:30], -v[103:104]
	v_fma_f64 v[99:100], v[101:102], v[97:98], v[99:100]
	v_add_f64 v[31:32], v[31:32], -v[99:100]
	ds_read2_b64 v[99:102], v125 offset0:88 offset1:89
	s_waitcnt lgkmcnt(0)
	v_mul_f64 v[103:104], v[101:102], v[105:106]
	v_fma_f64 v[103:104], v[99:100], v[97:98], -v[103:104]
	v_mul_f64 v[99:100], v[99:100], v[105:106]
	v_add_f64 v[25:26], v[25:26], -v[103:104]
	v_fma_f64 v[99:100], v[101:102], v[97:98], v[99:100]
	v_add_f64 v[27:28], v[27:28], -v[99:100]
	ds_read2_b64 v[99:102], v125 offset0:90 offset1:91
	s_waitcnt lgkmcnt(0)
	v_mul_f64 v[103:104], v[101:102], v[105:106]
	v_fma_f64 v[103:104], v[99:100], v[97:98], -v[103:104]
	v_mul_f64 v[99:100], v[99:100], v[105:106]
	v_add_f64 v[21:22], v[21:22], -v[103:104]
	v_fma_f64 v[99:100], v[101:102], v[97:98], v[99:100]
	v_add_f64 v[23:24], v[23:24], -v[99:100]
	ds_read2_b64 v[99:102], v125 offset0:92 offset1:93
	s_waitcnt lgkmcnt(0)
	v_mul_f64 v[103:104], v[101:102], v[105:106]
	v_fma_f64 v[103:104], v[99:100], v[97:98], -v[103:104]
	v_mul_f64 v[99:100], v[99:100], v[105:106]
	v_add_f64 v[17:18], v[17:18], -v[103:104]
	v_fma_f64 v[99:100], v[101:102], v[97:98], v[99:100]
	v_add_f64 v[19:20], v[19:20], -v[99:100]
	ds_read2_b64 v[99:102], v125 offset0:94 offset1:95
	s_waitcnt lgkmcnt(0)
	v_mul_f64 v[103:104], v[101:102], v[105:106]
	v_fma_f64 v[103:104], v[99:100], v[97:98], -v[103:104]
	v_mul_f64 v[99:100], v[99:100], v[105:106]
	v_add_f64 v[13:14], v[13:14], -v[103:104]
	v_fma_f64 v[99:100], v[101:102], v[97:98], v[99:100]
	v_add_f64 v[15:16], v[15:16], -v[99:100]
	ds_read2_b64 v[99:102], v125 offset0:96 offset1:97
	s_waitcnt lgkmcnt(0)
	v_mul_f64 v[103:104], v[101:102], v[105:106]
	v_fma_f64 v[103:104], v[99:100], v[97:98], -v[103:104]
	v_mul_f64 v[99:100], v[99:100], v[105:106]
	v_add_f64 v[9:10], v[9:10], -v[103:104]
	v_fma_f64 v[99:100], v[101:102], v[97:98], v[99:100]
	v_add_f64 v[11:12], v[11:12], -v[99:100]
	ds_read2_b64 v[99:102], v125 offset0:98 offset1:99
	s_waitcnt lgkmcnt(0)
	v_mul_f64 v[103:104], v[101:102], v[105:106]
	v_fma_f64 v[103:104], v[99:100], v[97:98], -v[103:104]
	v_mul_f64 v[99:100], v[99:100], v[105:106]
	v_add_f64 v[5:6], v[5:6], -v[103:104]
	v_fma_f64 v[99:100], v[101:102], v[97:98], v[99:100]
	v_add_f64 v[7:8], v[7:8], -v[99:100]
	ds_read2_b64 v[99:102], v125 offset0:100 offset1:101
	s_waitcnt lgkmcnt(0)
	v_mul_f64 v[103:104], v[101:102], v[105:106]
	v_fma_f64 v[103:104], v[99:100], v[97:98], -v[103:104]
	v_mul_f64 v[99:100], v[99:100], v[105:106]
	v_add_f64 v[1:2], v[1:2], -v[103:104]
	v_fma_f64 v[99:100], v[101:102], v[97:98], v[99:100]
	v_add_f64 v[3:4], v[3:4], -v[99:100]
	ds_read2_b64 v[99:102], v125 offset0:102 offset1:103
	s_waitcnt lgkmcnt(0)
	v_mul_f64 v[103:104], v[101:102], v[105:106]
	v_fma_f64 v[103:104], v[99:100], v[97:98], -v[103:104]
	v_mul_f64 v[99:100], v[99:100], v[105:106]
	v_add_f64 v[73:74], v[73:74], -v[103:104]
	v_fma_f64 v[99:100], v[101:102], v[97:98], v[99:100]
	v_mov_b32_e32 v104, v98
	v_mov_b32_e32 v103, v97
	buffer_store_dword v103, off, s[20:23], 0 offset:160 ; 4-byte Folded Spill
	s_nop 0
	buffer_store_dword v104, off, s[20:23], 0 offset:164 ; 4-byte Folded Spill
	buffer_store_dword v105, off, s[20:23], 0 offset:168 ; 4-byte Folded Spill
	;; [unrolled: 1-line block ×3, first 2 shown]
	v_add_f64 v[75:76], v[75:76], -v[99:100]
.LBB103_172:
	s_or_b64 exec, exec, s[2:3]
	v_cmp_eq_u32_e32 vcc, 19, v0
	s_waitcnt vmcnt(0)
	s_barrier
	s_and_saveexec_b64 s[4:5], vcc
	s_cbranch_execz .LBB103_179
; %bb.173:
	buffer_load_dword v69, off, s[20:23], 0 offset:144 ; 4-byte Folded Reload
	buffer_load_dword v70, off, s[20:23], 0 offset:148 ; 4-byte Folded Reload
	;; [unrolled: 1-line block ×4, first 2 shown]
	s_waitcnt vmcnt(0)
	ds_write2_b64 v127, v[69:70], v[71:72] offset1:1
	buffer_load_dword v69, off, s[20:23], 0 offset:128 ; 4-byte Folded Reload
	buffer_load_dword v70, off, s[20:23], 0 offset:132 ; 4-byte Folded Reload
	buffer_load_dword v71, off, s[20:23], 0 offset:136 ; 4-byte Folded Reload
	buffer_load_dword v72, off, s[20:23], 0 offset:140 ; 4-byte Folded Reload
	s_waitcnt vmcnt(0)
	ds_write2_b64 v125, v[69:70], v[71:72] offset0:40 offset1:41
	buffer_load_dword v69, off, s[20:23], 0 offset:112 ; 4-byte Folded Reload
	buffer_load_dword v70, off, s[20:23], 0 offset:116 ; 4-byte Folded Reload
	buffer_load_dword v71, off, s[20:23], 0 offset:120 ; 4-byte Folded Reload
	buffer_load_dword v72, off, s[20:23], 0 offset:124 ; 4-byte Folded Reload
	s_waitcnt vmcnt(0)
	ds_write2_b64 v125, v[69:70], v[71:72] offset0:42 offset1:43
	;; [unrolled: 6-line block ×6, first 2 shown]
	ds_write2_b64 v125, v[121:122], v[123:124] offset0:52 offset1:53
	ds_write2_b64 v125, v[117:118], v[119:120] offset0:54 offset1:55
	;; [unrolled: 1-line block ×5, first 2 shown]
	buffer_load_dword v77, off, s[20:23], 0 offset:32 ; 4-byte Folded Reload
	buffer_load_dword v78, off, s[20:23], 0 offset:36 ; 4-byte Folded Reload
	;; [unrolled: 1-line block ×4, first 2 shown]
	v_mov_b32_e32 v69, v73
	v_mov_b32_e32 v70, v74
	;; [unrolled: 1-line block ×4, first 2 shown]
	s_waitcnt vmcnt(0)
	ds_write2_b64 v125, v[77:78], v[79:80] offset0:62 offset1:63
	buffer_load_dword v73, off, s[20:23], 0 offset:16 ; 4-byte Folded Reload
	buffer_load_dword v74, off, s[20:23], 0 offset:20 ; 4-byte Folded Reload
	;; [unrolled: 1-line block ×4, first 2 shown]
	s_waitcnt vmcnt(0)
	ds_write2_b64 v125, v[73:74], v[75:76] offset0:64 offset1:65
	v_mov_b32_e32 v76, v72
	v_mov_b32_e32 v75, v71
	v_mov_b32_e32 v74, v70
	v_mov_b32_e32 v73, v69
	buffer_load_dword v69, off, s[20:23], 0 ; 4-byte Folded Reload
	buffer_load_dword v70, off, s[20:23], 0 offset:4 ; 4-byte Folded Reload
	buffer_load_dword v71, off, s[20:23], 0 offset:8 ; 4-byte Folded Reload
	;; [unrolled: 1-line block ×3, first 2 shown]
	s_waitcnt vmcnt(0)
	ds_write2_b64 v125, v[69:70], v[71:72] offset0:66 offset1:67
	ds_write2_b64 v125, v[65:66], v[67:68] offset0:68 offset1:69
	;; [unrolled: 1-line block ×19, first 2 shown]
	ds_read2_b64 v[97:100], v127 offset1:1
	s_waitcnt lgkmcnt(0)
	v_cmp_neq_f64_e32 vcc, 0, v[97:98]
	v_cmp_neq_f64_e64 s[2:3], 0, v[99:100]
	s_or_b64 s[2:3], vcc, s[2:3]
	s_and_b64 exec, exec, s[2:3]
	s_cbranch_execz .LBB103_179
; %bb.174:
	v_cmp_ngt_f64_e64 s[2:3], |v[97:98]|, |v[99:100]|
                                        ; implicit-def: $vgpr101_vgpr102
	s_and_saveexec_b64 s[6:7], s[2:3]
	s_xor_b64 s[2:3], exec, s[6:7]
                                        ; implicit-def: $vgpr103_vgpr104
	s_cbranch_execz .LBB103_176
; %bb.175:
	v_div_scale_f64 v[101:102], s[6:7], v[99:100], v[99:100], v[97:98]
	v_rcp_f64_e32 v[103:104], v[101:102]
	v_fma_f64 v[105:106], -v[101:102], v[103:104], 1.0
	v_fma_f64 v[103:104], v[103:104], v[105:106], v[103:104]
	v_div_scale_f64 v[105:106], vcc, v[97:98], v[99:100], v[97:98]
	v_fma_f64 v[107:108], -v[101:102], v[103:104], 1.0
	v_fma_f64 v[103:104], v[103:104], v[107:108], v[103:104]
	v_mul_f64 v[107:108], v[105:106], v[103:104]
	v_fma_f64 v[101:102], -v[101:102], v[107:108], v[105:106]
	v_div_fmas_f64 v[101:102], v[101:102], v[103:104], v[107:108]
	v_div_fixup_f64 v[101:102], v[101:102], v[99:100], v[97:98]
	v_fma_f64 v[97:98], v[97:98], v[101:102], v[99:100]
	v_div_scale_f64 v[99:100], s[6:7], v[97:98], v[97:98], 1.0
	v_div_scale_f64 v[107:108], vcc, 1.0, v[97:98], 1.0
	v_rcp_f64_e32 v[103:104], v[99:100]
	v_fma_f64 v[105:106], -v[99:100], v[103:104], 1.0
	v_fma_f64 v[103:104], v[103:104], v[105:106], v[103:104]
	v_fma_f64 v[105:106], -v[99:100], v[103:104], 1.0
	v_fma_f64 v[103:104], v[103:104], v[105:106], v[103:104]
	v_mul_f64 v[105:106], v[107:108], v[103:104]
	v_fma_f64 v[99:100], -v[99:100], v[105:106], v[107:108]
	v_div_fmas_f64 v[99:100], v[99:100], v[103:104], v[105:106]
	v_div_fixup_f64 v[103:104], v[99:100], v[97:98], 1.0
                                        ; implicit-def: $vgpr97_vgpr98
	v_mul_f64 v[101:102], v[101:102], v[103:104]
	v_xor_b32_e32 v104, 0x80000000, v104
.LBB103_176:
	s_andn2_saveexec_b64 s[2:3], s[2:3]
	s_cbranch_execz .LBB103_178
; %bb.177:
	v_div_scale_f64 v[101:102], s[6:7], v[97:98], v[97:98], v[99:100]
	v_rcp_f64_e32 v[103:104], v[101:102]
	v_fma_f64 v[105:106], -v[101:102], v[103:104], 1.0
	v_fma_f64 v[103:104], v[103:104], v[105:106], v[103:104]
	v_div_scale_f64 v[105:106], vcc, v[99:100], v[97:98], v[99:100]
	v_fma_f64 v[107:108], -v[101:102], v[103:104], 1.0
	v_fma_f64 v[103:104], v[103:104], v[107:108], v[103:104]
	v_mul_f64 v[107:108], v[105:106], v[103:104]
	v_fma_f64 v[101:102], -v[101:102], v[107:108], v[105:106]
	v_div_fmas_f64 v[101:102], v[101:102], v[103:104], v[107:108]
	v_div_fixup_f64 v[103:104], v[101:102], v[97:98], v[99:100]
	v_fma_f64 v[97:98], v[99:100], v[103:104], v[97:98]
	v_div_scale_f64 v[99:100], s[6:7], v[97:98], v[97:98], 1.0
	v_div_scale_f64 v[107:108], vcc, 1.0, v[97:98], 1.0
	v_rcp_f64_e32 v[101:102], v[99:100]
	v_fma_f64 v[105:106], -v[99:100], v[101:102], 1.0
	v_fma_f64 v[101:102], v[101:102], v[105:106], v[101:102]
	v_fma_f64 v[105:106], -v[99:100], v[101:102], 1.0
	v_fma_f64 v[101:102], v[101:102], v[105:106], v[101:102]
	v_mul_f64 v[105:106], v[107:108], v[101:102]
	v_fma_f64 v[99:100], -v[99:100], v[105:106], v[107:108]
	v_div_fmas_f64 v[99:100], v[99:100], v[101:102], v[105:106]
	v_div_fixup_f64 v[101:102], v[99:100], v[97:98], 1.0
	v_mul_f64 v[103:104], v[103:104], -v[101:102]
.LBB103_178:
	s_or_b64 exec, exec, s[2:3]
	ds_write2_b64 v127, v[101:102], v[103:104] offset1:1
.LBB103_179:
	s_or_b64 exec, exec, s[4:5]
	s_waitcnt lgkmcnt(0)
	s_barrier
	ds_read2_b64 v[69:72], v127 offset1:1
	v_cmp_lt_u32_e32 vcc, 19, v0
	s_waitcnt lgkmcnt(0)
	buffer_store_dword v69, off, s[20:23], 0 offset:1176 ; 4-byte Folded Spill
	s_nop 0
	buffer_store_dword v70, off, s[20:23], 0 offset:1180 ; 4-byte Folded Spill
	buffer_store_dword v71, off, s[20:23], 0 offset:1184 ; 4-byte Folded Spill
	;; [unrolled: 1-line block ×3, first 2 shown]
	s_and_saveexec_b64 s[2:3], vcc
	s_cbranch_execz .LBB103_181
; %bb.180:
	buffer_load_dword v103, off, s[20:23], 0 offset:144 ; 4-byte Folded Reload
	buffer_load_dword v104, off, s[20:23], 0 offset:148 ; 4-byte Folded Reload
	;; [unrolled: 1-line block ×8, first 2 shown]
	s_waitcnt vmcnt(2)
	v_mul_f64 v[99:100], v[69:70], v[105:106]
	s_waitcnt vmcnt(0)
	v_mul_f64 v[97:98], v[71:72], v[105:106]
	v_fma_f64 v[105:106], v[71:72], v[103:104], v[99:100]
	ds_read2_b64 v[99:102], v125 offset0:40 offset1:41
	v_fma_f64 v[97:98], v[69:70], v[103:104], -v[97:98]
	buffer_load_dword v69, off, s[20:23], 0 offset:128 ; 4-byte Folded Reload
	buffer_load_dword v70, off, s[20:23], 0 offset:132 ; 4-byte Folded Reload
	buffer_load_dword v71, off, s[20:23], 0 offset:136 ; 4-byte Folded Reload
	buffer_load_dword v72, off, s[20:23], 0 offset:140 ; 4-byte Folded Reload
	s_waitcnt lgkmcnt(0)
	v_mul_f64 v[103:104], v[101:102], v[105:106]
	v_fma_f64 v[103:104], v[99:100], v[97:98], -v[103:104]
	v_mul_f64 v[99:100], v[99:100], v[105:106]
	v_fma_f64 v[99:100], v[101:102], v[97:98], v[99:100]
	s_waitcnt vmcnt(2)
	v_add_f64 v[69:70], v[69:70], -v[103:104]
	s_waitcnt vmcnt(0)
	v_add_f64 v[71:72], v[71:72], -v[99:100]
	buffer_store_dword v69, off, s[20:23], 0 offset:128 ; 4-byte Folded Spill
	s_nop 0
	buffer_store_dword v70, off, s[20:23], 0 offset:132 ; 4-byte Folded Spill
	buffer_store_dword v71, off, s[20:23], 0 offset:136 ; 4-byte Folded Spill
	buffer_store_dword v72, off, s[20:23], 0 offset:140 ; 4-byte Folded Spill
	ds_read2_b64 v[99:102], v125 offset0:42 offset1:43
	buffer_load_dword v69, off, s[20:23], 0 offset:112 ; 4-byte Folded Reload
	buffer_load_dword v70, off, s[20:23], 0 offset:116 ; 4-byte Folded Reload
	buffer_load_dword v71, off, s[20:23], 0 offset:120 ; 4-byte Folded Reload
	buffer_load_dword v72, off, s[20:23], 0 offset:124 ; 4-byte Folded Reload
	s_waitcnt lgkmcnt(0)
	v_mul_f64 v[103:104], v[101:102], v[105:106]
	v_fma_f64 v[103:104], v[99:100], v[97:98], -v[103:104]
	v_mul_f64 v[99:100], v[99:100], v[105:106]
	v_fma_f64 v[99:100], v[101:102], v[97:98], v[99:100]
	s_waitcnt vmcnt(2)
	v_add_f64 v[69:70], v[69:70], -v[103:104]
	s_waitcnt vmcnt(0)
	v_add_f64 v[71:72], v[71:72], -v[99:100]
	buffer_store_dword v69, off, s[20:23], 0 offset:112 ; 4-byte Folded Spill
	s_nop 0
	buffer_store_dword v70, off, s[20:23], 0 offset:116 ; 4-byte Folded Spill
	buffer_store_dword v71, off, s[20:23], 0 offset:120 ; 4-byte Folded Spill
	buffer_store_dword v72, off, s[20:23], 0 offset:124 ; 4-byte Folded Spill
	ds_read2_b64 v[99:102], v125 offset0:44 offset1:45
	;; [unrolled: 19-line block ×6, first 2 shown]
	v_mov_b32_e32 v69, v73
	v_mov_b32_e32 v70, v74
	;; [unrolled: 1-line block ×4, first 2 shown]
	s_waitcnt lgkmcnt(0)
	v_mul_f64 v[103:104], v[101:102], v[105:106]
	v_fma_f64 v[103:104], v[99:100], v[97:98], -v[103:104]
	v_mul_f64 v[99:100], v[99:100], v[105:106]
	v_add_f64 v[121:122], v[121:122], -v[103:104]
	v_fma_f64 v[99:100], v[101:102], v[97:98], v[99:100]
	v_add_f64 v[123:124], v[123:124], -v[99:100]
	ds_read2_b64 v[99:102], v125 offset0:54 offset1:55
	s_waitcnt lgkmcnt(0)
	v_mul_f64 v[103:104], v[101:102], v[105:106]
	v_fma_f64 v[103:104], v[99:100], v[97:98], -v[103:104]
	v_mul_f64 v[99:100], v[99:100], v[105:106]
	v_add_f64 v[117:118], v[117:118], -v[103:104]
	v_fma_f64 v[99:100], v[101:102], v[97:98], v[99:100]
	v_add_f64 v[119:120], v[119:120], -v[99:100]
	ds_read2_b64 v[99:102], v125 offset0:56 offset1:57
	;; [unrolled: 8-line block ×5, first 2 shown]
	buffer_load_dword v77, off, s[20:23], 0 offset:32 ; 4-byte Folded Reload
	buffer_load_dword v78, off, s[20:23], 0 offset:36 ; 4-byte Folded Reload
	;; [unrolled: 1-line block ×4, first 2 shown]
	s_waitcnt lgkmcnt(0)
	v_mul_f64 v[103:104], v[101:102], v[105:106]
	v_fma_f64 v[103:104], v[99:100], v[97:98], -v[103:104]
	v_mul_f64 v[99:100], v[99:100], v[105:106]
	v_fma_f64 v[99:100], v[101:102], v[97:98], v[99:100]
	s_waitcnt vmcnt(2)
	v_add_f64 v[77:78], v[77:78], -v[103:104]
	s_waitcnt vmcnt(0)
	v_add_f64 v[79:80], v[79:80], -v[99:100]
	buffer_store_dword v77, off, s[20:23], 0 offset:32 ; 4-byte Folded Spill
	s_nop 0
	buffer_store_dword v78, off, s[20:23], 0 offset:36 ; 4-byte Folded Spill
	buffer_store_dword v79, off, s[20:23], 0 offset:40 ; 4-byte Folded Spill
	;; [unrolled: 1-line block ×3, first 2 shown]
	ds_read2_b64 v[99:102], v125 offset0:64 offset1:65
	buffer_load_dword v73, off, s[20:23], 0 offset:16 ; 4-byte Folded Reload
	buffer_load_dword v74, off, s[20:23], 0 offset:20 ; 4-byte Folded Reload
	;; [unrolled: 1-line block ×4, first 2 shown]
	s_waitcnt lgkmcnt(0)
	v_mul_f64 v[103:104], v[101:102], v[105:106]
	v_fma_f64 v[103:104], v[99:100], v[97:98], -v[103:104]
	v_mul_f64 v[99:100], v[99:100], v[105:106]
	v_fma_f64 v[99:100], v[101:102], v[97:98], v[99:100]
	s_waitcnt vmcnt(2)
	v_add_f64 v[73:74], v[73:74], -v[103:104]
	s_waitcnt vmcnt(0)
	v_add_f64 v[75:76], v[75:76], -v[99:100]
	buffer_store_dword v73, off, s[20:23], 0 offset:16 ; 4-byte Folded Spill
	s_nop 0
	buffer_store_dword v74, off, s[20:23], 0 offset:20 ; 4-byte Folded Spill
	buffer_store_dword v75, off, s[20:23], 0 offset:24 ; 4-byte Folded Spill
	;; [unrolled: 1-line block ×3, first 2 shown]
	v_mov_b32_e32 v76, v72
	v_mov_b32_e32 v75, v71
	;; [unrolled: 1-line block ×4, first 2 shown]
	ds_read2_b64 v[99:102], v125 offset0:66 offset1:67
	buffer_load_dword v69, off, s[20:23], 0 ; 4-byte Folded Reload
	buffer_load_dword v70, off, s[20:23], 0 offset:4 ; 4-byte Folded Reload
	buffer_load_dword v71, off, s[20:23], 0 offset:8 ; 4-byte Folded Reload
	;; [unrolled: 1-line block ×3, first 2 shown]
	s_waitcnt lgkmcnt(0)
	v_mul_f64 v[103:104], v[101:102], v[105:106]
	v_fma_f64 v[103:104], v[99:100], v[97:98], -v[103:104]
	v_mul_f64 v[99:100], v[99:100], v[105:106]
	v_fma_f64 v[99:100], v[101:102], v[97:98], v[99:100]
	s_waitcnt vmcnt(2)
	v_add_f64 v[69:70], v[69:70], -v[103:104]
	s_waitcnt vmcnt(0)
	v_add_f64 v[71:72], v[71:72], -v[99:100]
	buffer_store_dword v69, off, s[20:23], 0 ; 4-byte Folded Spill
	s_nop 0
	buffer_store_dword v70, off, s[20:23], 0 offset:4 ; 4-byte Folded Spill
	buffer_store_dword v71, off, s[20:23], 0 offset:8 ; 4-byte Folded Spill
	;; [unrolled: 1-line block ×3, first 2 shown]
	ds_read2_b64 v[99:102], v125 offset0:68 offset1:69
	s_waitcnt lgkmcnt(0)
	v_mul_f64 v[103:104], v[101:102], v[105:106]
	v_fma_f64 v[103:104], v[99:100], v[97:98], -v[103:104]
	v_mul_f64 v[99:100], v[99:100], v[105:106]
	v_add_f64 v[65:66], v[65:66], -v[103:104]
	v_fma_f64 v[99:100], v[101:102], v[97:98], v[99:100]
	v_add_f64 v[67:68], v[67:68], -v[99:100]
	ds_read2_b64 v[99:102], v125 offset0:70 offset1:71
	s_waitcnt lgkmcnt(0)
	v_mul_f64 v[103:104], v[101:102], v[105:106]
	v_fma_f64 v[103:104], v[99:100], v[97:98], -v[103:104]
	v_mul_f64 v[99:100], v[99:100], v[105:106]
	v_add_f64 v[61:62], v[61:62], -v[103:104]
	v_fma_f64 v[99:100], v[101:102], v[97:98], v[99:100]
	v_add_f64 v[63:64], v[63:64], -v[99:100]
	ds_read2_b64 v[99:102], v125 offset0:72 offset1:73
	s_waitcnt lgkmcnt(0)
	v_mul_f64 v[103:104], v[101:102], v[105:106]
	v_fma_f64 v[103:104], v[99:100], v[97:98], -v[103:104]
	v_mul_f64 v[99:100], v[99:100], v[105:106]
	v_add_f64 v[57:58], v[57:58], -v[103:104]
	v_fma_f64 v[99:100], v[101:102], v[97:98], v[99:100]
	v_add_f64 v[59:60], v[59:60], -v[99:100]
	ds_read2_b64 v[99:102], v125 offset0:74 offset1:75
	s_waitcnt lgkmcnt(0)
	v_mul_f64 v[103:104], v[101:102], v[105:106]
	v_fma_f64 v[103:104], v[99:100], v[97:98], -v[103:104]
	v_mul_f64 v[99:100], v[99:100], v[105:106]
	v_add_f64 v[53:54], v[53:54], -v[103:104]
	v_fma_f64 v[99:100], v[101:102], v[97:98], v[99:100]
	v_add_f64 v[55:56], v[55:56], -v[99:100]
	ds_read2_b64 v[99:102], v125 offset0:76 offset1:77
	s_waitcnt lgkmcnt(0)
	v_mul_f64 v[103:104], v[101:102], v[105:106]
	v_fma_f64 v[103:104], v[99:100], v[97:98], -v[103:104]
	v_mul_f64 v[99:100], v[99:100], v[105:106]
	v_add_f64 v[49:50], v[49:50], -v[103:104]
	v_fma_f64 v[99:100], v[101:102], v[97:98], v[99:100]
	v_add_f64 v[51:52], v[51:52], -v[99:100]
	ds_read2_b64 v[99:102], v125 offset0:78 offset1:79
	s_waitcnt lgkmcnt(0)
	v_mul_f64 v[103:104], v[101:102], v[105:106]
	v_fma_f64 v[103:104], v[99:100], v[97:98], -v[103:104]
	v_mul_f64 v[99:100], v[99:100], v[105:106]
	v_add_f64 v[45:46], v[45:46], -v[103:104]
	v_fma_f64 v[99:100], v[101:102], v[97:98], v[99:100]
	v_add_f64 v[47:48], v[47:48], -v[99:100]
	ds_read2_b64 v[99:102], v125 offset0:80 offset1:81
	s_waitcnt lgkmcnt(0)
	v_mul_f64 v[103:104], v[101:102], v[105:106]
	v_fma_f64 v[103:104], v[99:100], v[97:98], -v[103:104]
	v_mul_f64 v[99:100], v[99:100], v[105:106]
	v_add_f64 v[41:42], v[41:42], -v[103:104]
	v_fma_f64 v[99:100], v[101:102], v[97:98], v[99:100]
	v_add_f64 v[43:44], v[43:44], -v[99:100]
	ds_read2_b64 v[99:102], v125 offset0:82 offset1:83
	s_waitcnt lgkmcnt(0)
	v_mul_f64 v[103:104], v[101:102], v[105:106]
	v_fma_f64 v[103:104], v[99:100], v[97:98], -v[103:104]
	v_mul_f64 v[99:100], v[99:100], v[105:106]
	v_add_f64 v[37:38], v[37:38], -v[103:104]
	v_fma_f64 v[99:100], v[101:102], v[97:98], v[99:100]
	v_add_f64 v[39:40], v[39:40], -v[99:100]
	ds_read2_b64 v[99:102], v125 offset0:84 offset1:85
	s_waitcnt lgkmcnt(0)
	v_mul_f64 v[103:104], v[101:102], v[105:106]
	v_fma_f64 v[103:104], v[99:100], v[97:98], -v[103:104]
	v_mul_f64 v[99:100], v[99:100], v[105:106]
	v_add_f64 v[33:34], v[33:34], -v[103:104]
	v_fma_f64 v[99:100], v[101:102], v[97:98], v[99:100]
	v_add_f64 v[35:36], v[35:36], -v[99:100]
	ds_read2_b64 v[99:102], v125 offset0:86 offset1:87
	s_waitcnt lgkmcnt(0)
	v_mul_f64 v[103:104], v[101:102], v[105:106]
	v_fma_f64 v[103:104], v[99:100], v[97:98], -v[103:104]
	v_mul_f64 v[99:100], v[99:100], v[105:106]
	v_add_f64 v[29:30], v[29:30], -v[103:104]
	v_fma_f64 v[99:100], v[101:102], v[97:98], v[99:100]
	v_add_f64 v[31:32], v[31:32], -v[99:100]
	ds_read2_b64 v[99:102], v125 offset0:88 offset1:89
	s_waitcnt lgkmcnt(0)
	v_mul_f64 v[103:104], v[101:102], v[105:106]
	v_fma_f64 v[103:104], v[99:100], v[97:98], -v[103:104]
	v_mul_f64 v[99:100], v[99:100], v[105:106]
	v_add_f64 v[25:26], v[25:26], -v[103:104]
	v_fma_f64 v[99:100], v[101:102], v[97:98], v[99:100]
	v_add_f64 v[27:28], v[27:28], -v[99:100]
	ds_read2_b64 v[99:102], v125 offset0:90 offset1:91
	s_waitcnt lgkmcnt(0)
	v_mul_f64 v[103:104], v[101:102], v[105:106]
	v_fma_f64 v[103:104], v[99:100], v[97:98], -v[103:104]
	v_mul_f64 v[99:100], v[99:100], v[105:106]
	v_add_f64 v[21:22], v[21:22], -v[103:104]
	v_fma_f64 v[99:100], v[101:102], v[97:98], v[99:100]
	v_add_f64 v[23:24], v[23:24], -v[99:100]
	ds_read2_b64 v[99:102], v125 offset0:92 offset1:93
	s_waitcnt lgkmcnt(0)
	v_mul_f64 v[103:104], v[101:102], v[105:106]
	v_fma_f64 v[103:104], v[99:100], v[97:98], -v[103:104]
	v_mul_f64 v[99:100], v[99:100], v[105:106]
	v_add_f64 v[17:18], v[17:18], -v[103:104]
	v_fma_f64 v[99:100], v[101:102], v[97:98], v[99:100]
	v_add_f64 v[19:20], v[19:20], -v[99:100]
	ds_read2_b64 v[99:102], v125 offset0:94 offset1:95
	s_waitcnt lgkmcnt(0)
	v_mul_f64 v[103:104], v[101:102], v[105:106]
	v_fma_f64 v[103:104], v[99:100], v[97:98], -v[103:104]
	v_mul_f64 v[99:100], v[99:100], v[105:106]
	v_add_f64 v[13:14], v[13:14], -v[103:104]
	v_fma_f64 v[99:100], v[101:102], v[97:98], v[99:100]
	v_add_f64 v[15:16], v[15:16], -v[99:100]
	ds_read2_b64 v[99:102], v125 offset0:96 offset1:97
	s_waitcnt lgkmcnt(0)
	v_mul_f64 v[103:104], v[101:102], v[105:106]
	v_fma_f64 v[103:104], v[99:100], v[97:98], -v[103:104]
	v_mul_f64 v[99:100], v[99:100], v[105:106]
	v_add_f64 v[9:10], v[9:10], -v[103:104]
	v_fma_f64 v[99:100], v[101:102], v[97:98], v[99:100]
	v_add_f64 v[11:12], v[11:12], -v[99:100]
	ds_read2_b64 v[99:102], v125 offset0:98 offset1:99
	s_waitcnt lgkmcnt(0)
	v_mul_f64 v[103:104], v[101:102], v[105:106]
	v_fma_f64 v[103:104], v[99:100], v[97:98], -v[103:104]
	v_mul_f64 v[99:100], v[99:100], v[105:106]
	v_add_f64 v[5:6], v[5:6], -v[103:104]
	v_fma_f64 v[99:100], v[101:102], v[97:98], v[99:100]
	v_add_f64 v[7:8], v[7:8], -v[99:100]
	ds_read2_b64 v[99:102], v125 offset0:100 offset1:101
	s_waitcnt lgkmcnt(0)
	v_mul_f64 v[103:104], v[101:102], v[105:106]
	v_fma_f64 v[103:104], v[99:100], v[97:98], -v[103:104]
	v_mul_f64 v[99:100], v[99:100], v[105:106]
	v_add_f64 v[1:2], v[1:2], -v[103:104]
	v_fma_f64 v[99:100], v[101:102], v[97:98], v[99:100]
	v_add_f64 v[3:4], v[3:4], -v[99:100]
	ds_read2_b64 v[99:102], v125 offset0:102 offset1:103
	s_waitcnt lgkmcnt(0)
	v_mul_f64 v[103:104], v[101:102], v[105:106]
	v_fma_f64 v[103:104], v[99:100], v[97:98], -v[103:104]
	v_mul_f64 v[99:100], v[99:100], v[105:106]
	v_add_f64 v[73:74], v[73:74], -v[103:104]
	v_fma_f64 v[99:100], v[101:102], v[97:98], v[99:100]
	v_mov_b32_e32 v104, v98
	v_mov_b32_e32 v103, v97
	buffer_store_dword v103, off, s[20:23], 0 offset:144 ; 4-byte Folded Spill
	s_nop 0
	buffer_store_dword v104, off, s[20:23], 0 offset:148 ; 4-byte Folded Spill
	buffer_store_dword v105, off, s[20:23], 0 offset:152 ; 4-byte Folded Spill
	;; [unrolled: 1-line block ×3, first 2 shown]
	v_add_f64 v[75:76], v[75:76], -v[99:100]
.LBB103_181:
	s_or_b64 exec, exec, s[2:3]
	v_cmp_eq_u32_e32 vcc, 20, v0
	s_waitcnt vmcnt(0)
	s_barrier
	s_and_saveexec_b64 s[4:5], vcc
	s_cbranch_execz .LBB103_188
; %bb.182:
	buffer_load_dword v69, off, s[20:23], 0 offset:128 ; 4-byte Folded Reload
	buffer_load_dword v70, off, s[20:23], 0 offset:132 ; 4-byte Folded Reload
	;; [unrolled: 1-line block ×4, first 2 shown]
	s_waitcnt vmcnt(0)
	ds_write2_b64 v127, v[69:70], v[71:72] offset1:1
	buffer_load_dword v69, off, s[20:23], 0 offset:112 ; 4-byte Folded Reload
	buffer_load_dword v70, off, s[20:23], 0 offset:116 ; 4-byte Folded Reload
	buffer_load_dword v71, off, s[20:23], 0 offset:120 ; 4-byte Folded Reload
	buffer_load_dword v72, off, s[20:23], 0 offset:124 ; 4-byte Folded Reload
	s_waitcnt vmcnt(0)
	ds_write2_b64 v125, v[69:70], v[71:72] offset0:42 offset1:43
	buffer_load_dword v69, off, s[20:23], 0 offset:96 ; 4-byte Folded Reload
	buffer_load_dword v70, off, s[20:23], 0 offset:100 ; 4-byte Folded Reload
	buffer_load_dword v71, off, s[20:23], 0 offset:104 ; 4-byte Folded Reload
	buffer_load_dword v72, off, s[20:23], 0 offset:108 ; 4-byte Folded Reload
	s_waitcnt vmcnt(0)
	ds_write2_b64 v125, v[69:70], v[71:72] offset0:44 offset1:45
	;; [unrolled: 6-line block ×5, first 2 shown]
	ds_write2_b64 v125, v[121:122], v[123:124] offset0:52 offset1:53
	ds_write2_b64 v125, v[117:118], v[119:120] offset0:54 offset1:55
	;; [unrolled: 1-line block ×5, first 2 shown]
	buffer_load_dword v77, off, s[20:23], 0 offset:32 ; 4-byte Folded Reload
	buffer_load_dword v78, off, s[20:23], 0 offset:36 ; 4-byte Folded Reload
	;; [unrolled: 1-line block ×4, first 2 shown]
	v_mov_b32_e32 v69, v73
	v_mov_b32_e32 v70, v74
	;; [unrolled: 1-line block ×4, first 2 shown]
	s_waitcnt vmcnt(0)
	ds_write2_b64 v125, v[77:78], v[79:80] offset0:62 offset1:63
	buffer_load_dword v73, off, s[20:23], 0 offset:16 ; 4-byte Folded Reload
	buffer_load_dword v74, off, s[20:23], 0 offset:20 ; 4-byte Folded Reload
	;; [unrolled: 1-line block ×4, first 2 shown]
	s_waitcnt vmcnt(0)
	ds_write2_b64 v125, v[73:74], v[75:76] offset0:64 offset1:65
	v_mov_b32_e32 v76, v72
	v_mov_b32_e32 v75, v71
	;; [unrolled: 1-line block ×4, first 2 shown]
	buffer_load_dword v69, off, s[20:23], 0 ; 4-byte Folded Reload
	buffer_load_dword v70, off, s[20:23], 0 offset:4 ; 4-byte Folded Reload
	buffer_load_dword v71, off, s[20:23], 0 offset:8 ; 4-byte Folded Reload
	;; [unrolled: 1-line block ×3, first 2 shown]
	s_waitcnt vmcnt(0)
	ds_write2_b64 v125, v[69:70], v[71:72] offset0:66 offset1:67
	ds_write2_b64 v125, v[65:66], v[67:68] offset0:68 offset1:69
	;; [unrolled: 1-line block ×19, first 2 shown]
	ds_read2_b64 v[97:100], v127 offset1:1
	s_waitcnt lgkmcnt(0)
	v_cmp_neq_f64_e32 vcc, 0, v[97:98]
	v_cmp_neq_f64_e64 s[2:3], 0, v[99:100]
	s_or_b64 s[2:3], vcc, s[2:3]
	s_and_b64 exec, exec, s[2:3]
	s_cbranch_execz .LBB103_188
; %bb.183:
	v_cmp_ngt_f64_e64 s[2:3], |v[97:98]|, |v[99:100]|
                                        ; implicit-def: $vgpr101_vgpr102
	s_and_saveexec_b64 s[6:7], s[2:3]
	s_xor_b64 s[2:3], exec, s[6:7]
                                        ; implicit-def: $vgpr103_vgpr104
	s_cbranch_execz .LBB103_185
; %bb.184:
	v_div_scale_f64 v[101:102], s[6:7], v[99:100], v[99:100], v[97:98]
	v_rcp_f64_e32 v[103:104], v[101:102]
	v_fma_f64 v[105:106], -v[101:102], v[103:104], 1.0
	v_fma_f64 v[103:104], v[103:104], v[105:106], v[103:104]
	v_div_scale_f64 v[105:106], vcc, v[97:98], v[99:100], v[97:98]
	v_fma_f64 v[107:108], -v[101:102], v[103:104], 1.0
	v_fma_f64 v[103:104], v[103:104], v[107:108], v[103:104]
	v_mul_f64 v[107:108], v[105:106], v[103:104]
	v_fma_f64 v[101:102], -v[101:102], v[107:108], v[105:106]
	v_div_fmas_f64 v[101:102], v[101:102], v[103:104], v[107:108]
	v_div_fixup_f64 v[101:102], v[101:102], v[99:100], v[97:98]
	v_fma_f64 v[97:98], v[97:98], v[101:102], v[99:100]
	v_div_scale_f64 v[99:100], s[6:7], v[97:98], v[97:98], 1.0
	v_div_scale_f64 v[107:108], vcc, 1.0, v[97:98], 1.0
	v_rcp_f64_e32 v[103:104], v[99:100]
	v_fma_f64 v[105:106], -v[99:100], v[103:104], 1.0
	v_fma_f64 v[103:104], v[103:104], v[105:106], v[103:104]
	v_fma_f64 v[105:106], -v[99:100], v[103:104], 1.0
	v_fma_f64 v[103:104], v[103:104], v[105:106], v[103:104]
	v_mul_f64 v[105:106], v[107:108], v[103:104]
	v_fma_f64 v[99:100], -v[99:100], v[105:106], v[107:108]
	v_div_fmas_f64 v[99:100], v[99:100], v[103:104], v[105:106]
	v_div_fixup_f64 v[103:104], v[99:100], v[97:98], 1.0
                                        ; implicit-def: $vgpr97_vgpr98
	v_mul_f64 v[101:102], v[101:102], v[103:104]
	v_xor_b32_e32 v104, 0x80000000, v104
.LBB103_185:
	s_andn2_saveexec_b64 s[2:3], s[2:3]
	s_cbranch_execz .LBB103_187
; %bb.186:
	v_div_scale_f64 v[101:102], s[6:7], v[97:98], v[97:98], v[99:100]
	v_rcp_f64_e32 v[103:104], v[101:102]
	v_fma_f64 v[105:106], -v[101:102], v[103:104], 1.0
	v_fma_f64 v[103:104], v[103:104], v[105:106], v[103:104]
	v_div_scale_f64 v[105:106], vcc, v[99:100], v[97:98], v[99:100]
	v_fma_f64 v[107:108], -v[101:102], v[103:104], 1.0
	v_fma_f64 v[103:104], v[103:104], v[107:108], v[103:104]
	v_mul_f64 v[107:108], v[105:106], v[103:104]
	v_fma_f64 v[101:102], -v[101:102], v[107:108], v[105:106]
	v_div_fmas_f64 v[101:102], v[101:102], v[103:104], v[107:108]
	v_div_fixup_f64 v[103:104], v[101:102], v[97:98], v[99:100]
	v_fma_f64 v[97:98], v[99:100], v[103:104], v[97:98]
	v_div_scale_f64 v[99:100], s[6:7], v[97:98], v[97:98], 1.0
	v_div_scale_f64 v[107:108], vcc, 1.0, v[97:98], 1.0
	v_rcp_f64_e32 v[101:102], v[99:100]
	v_fma_f64 v[105:106], -v[99:100], v[101:102], 1.0
	v_fma_f64 v[101:102], v[101:102], v[105:106], v[101:102]
	v_fma_f64 v[105:106], -v[99:100], v[101:102], 1.0
	v_fma_f64 v[101:102], v[101:102], v[105:106], v[101:102]
	v_mul_f64 v[105:106], v[107:108], v[101:102]
	v_fma_f64 v[99:100], -v[99:100], v[105:106], v[107:108]
	v_div_fmas_f64 v[99:100], v[99:100], v[101:102], v[105:106]
	v_div_fixup_f64 v[101:102], v[99:100], v[97:98], 1.0
	v_mul_f64 v[103:104], v[103:104], -v[101:102]
.LBB103_187:
	s_or_b64 exec, exec, s[2:3]
	ds_write2_b64 v127, v[101:102], v[103:104] offset1:1
.LBB103_188:
	s_or_b64 exec, exec, s[4:5]
	s_waitcnt lgkmcnt(0)
	s_barrier
	ds_read2_b64 v[69:72], v127 offset1:1
	v_cmp_lt_u32_e32 vcc, 20, v0
	s_waitcnt lgkmcnt(0)
	buffer_store_dword v69, off, s[20:23], 0 offset:1192 ; 4-byte Folded Spill
	s_nop 0
	buffer_store_dword v70, off, s[20:23], 0 offset:1196 ; 4-byte Folded Spill
	buffer_store_dword v71, off, s[20:23], 0 offset:1200 ; 4-byte Folded Spill
	;; [unrolled: 1-line block ×3, first 2 shown]
	s_and_saveexec_b64 s[2:3], vcc
	s_cbranch_execz .LBB103_190
; %bb.189:
	buffer_load_dword v103, off, s[20:23], 0 offset:128 ; 4-byte Folded Reload
	buffer_load_dword v104, off, s[20:23], 0 offset:132 ; 4-byte Folded Reload
	;; [unrolled: 1-line block ×8, first 2 shown]
	s_waitcnt vmcnt(2)
	v_mul_f64 v[99:100], v[69:70], v[105:106]
	s_waitcnt vmcnt(0)
	v_mul_f64 v[97:98], v[71:72], v[105:106]
	v_fma_f64 v[105:106], v[71:72], v[103:104], v[99:100]
	ds_read2_b64 v[99:102], v125 offset0:42 offset1:43
	v_fma_f64 v[97:98], v[69:70], v[103:104], -v[97:98]
	buffer_load_dword v69, off, s[20:23], 0 offset:112 ; 4-byte Folded Reload
	buffer_load_dword v70, off, s[20:23], 0 offset:116 ; 4-byte Folded Reload
	buffer_load_dword v71, off, s[20:23], 0 offset:120 ; 4-byte Folded Reload
	buffer_load_dword v72, off, s[20:23], 0 offset:124 ; 4-byte Folded Reload
	s_waitcnt lgkmcnt(0)
	v_mul_f64 v[103:104], v[101:102], v[105:106]
	v_fma_f64 v[103:104], v[99:100], v[97:98], -v[103:104]
	v_mul_f64 v[99:100], v[99:100], v[105:106]
	v_fma_f64 v[99:100], v[101:102], v[97:98], v[99:100]
	s_waitcnt vmcnt(2)
	v_add_f64 v[69:70], v[69:70], -v[103:104]
	s_waitcnt vmcnt(0)
	v_add_f64 v[71:72], v[71:72], -v[99:100]
	buffer_store_dword v69, off, s[20:23], 0 offset:112 ; 4-byte Folded Spill
	s_nop 0
	buffer_store_dword v70, off, s[20:23], 0 offset:116 ; 4-byte Folded Spill
	buffer_store_dword v71, off, s[20:23], 0 offset:120 ; 4-byte Folded Spill
	buffer_store_dword v72, off, s[20:23], 0 offset:124 ; 4-byte Folded Spill
	ds_read2_b64 v[99:102], v125 offset0:44 offset1:45
	buffer_load_dword v69, off, s[20:23], 0 offset:96 ; 4-byte Folded Reload
	buffer_load_dword v70, off, s[20:23], 0 offset:100 ; 4-byte Folded Reload
	buffer_load_dword v71, off, s[20:23], 0 offset:104 ; 4-byte Folded Reload
	buffer_load_dword v72, off, s[20:23], 0 offset:108 ; 4-byte Folded Reload
	s_waitcnt lgkmcnt(0)
	v_mul_f64 v[103:104], v[101:102], v[105:106]
	v_fma_f64 v[103:104], v[99:100], v[97:98], -v[103:104]
	v_mul_f64 v[99:100], v[99:100], v[105:106]
	v_fma_f64 v[99:100], v[101:102], v[97:98], v[99:100]
	s_waitcnt vmcnt(2)
	v_add_f64 v[69:70], v[69:70], -v[103:104]
	s_waitcnt vmcnt(0)
	v_add_f64 v[71:72], v[71:72], -v[99:100]
	buffer_store_dword v69, off, s[20:23], 0 offset:96 ; 4-byte Folded Spill
	s_nop 0
	buffer_store_dword v70, off, s[20:23], 0 offset:100 ; 4-byte Folded Spill
	buffer_store_dword v71, off, s[20:23], 0 offset:104 ; 4-byte Folded Spill
	buffer_store_dword v72, off, s[20:23], 0 offset:108 ; 4-byte Folded Spill
	ds_read2_b64 v[99:102], v125 offset0:46 offset1:47
	;; [unrolled: 19-line block ×5, first 2 shown]
	v_mov_b32_e32 v69, v73
	v_mov_b32_e32 v70, v74
	;; [unrolled: 1-line block ×4, first 2 shown]
	s_waitcnt lgkmcnt(0)
	v_mul_f64 v[103:104], v[101:102], v[105:106]
	v_fma_f64 v[103:104], v[99:100], v[97:98], -v[103:104]
	v_mul_f64 v[99:100], v[99:100], v[105:106]
	v_add_f64 v[121:122], v[121:122], -v[103:104]
	v_fma_f64 v[99:100], v[101:102], v[97:98], v[99:100]
	v_add_f64 v[123:124], v[123:124], -v[99:100]
	ds_read2_b64 v[99:102], v125 offset0:54 offset1:55
	s_waitcnt lgkmcnt(0)
	v_mul_f64 v[103:104], v[101:102], v[105:106]
	v_fma_f64 v[103:104], v[99:100], v[97:98], -v[103:104]
	v_mul_f64 v[99:100], v[99:100], v[105:106]
	v_add_f64 v[117:118], v[117:118], -v[103:104]
	v_fma_f64 v[99:100], v[101:102], v[97:98], v[99:100]
	v_add_f64 v[119:120], v[119:120], -v[99:100]
	ds_read2_b64 v[99:102], v125 offset0:56 offset1:57
	;; [unrolled: 8-line block ×5, first 2 shown]
	buffer_load_dword v77, off, s[20:23], 0 offset:32 ; 4-byte Folded Reload
	buffer_load_dword v78, off, s[20:23], 0 offset:36 ; 4-byte Folded Reload
	;; [unrolled: 1-line block ×4, first 2 shown]
	s_waitcnt lgkmcnt(0)
	v_mul_f64 v[103:104], v[101:102], v[105:106]
	v_fma_f64 v[103:104], v[99:100], v[97:98], -v[103:104]
	v_mul_f64 v[99:100], v[99:100], v[105:106]
	v_fma_f64 v[99:100], v[101:102], v[97:98], v[99:100]
	s_waitcnt vmcnt(2)
	v_add_f64 v[77:78], v[77:78], -v[103:104]
	s_waitcnt vmcnt(0)
	v_add_f64 v[79:80], v[79:80], -v[99:100]
	buffer_store_dword v77, off, s[20:23], 0 offset:32 ; 4-byte Folded Spill
	s_nop 0
	buffer_store_dword v78, off, s[20:23], 0 offset:36 ; 4-byte Folded Spill
	buffer_store_dword v79, off, s[20:23], 0 offset:40 ; 4-byte Folded Spill
	;; [unrolled: 1-line block ×3, first 2 shown]
	ds_read2_b64 v[99:102], v125 offset0:64 offset1:65
	buffer_load_dword v73, off, s[20:23], 0 offset:16 ; 4-byte Folded Reload
	buffer_load_dword v74, off, s[20:23], 0 offset:20 ; 4-byte Folded Reload
	;; [unrolled: 1-line block ×4, first 2 shown]
	s_waitcnt lgkmcnt(0)
	v_mul_f64 v[103:104], v[101:102], v[105:106]
	v_fma_f64 v[103:104], v[99:100], v[97:98], -v[103:104]
	v_mul_f64 v[99:100], v[99:100], v[105:106]
	v_fma_f64 v[99:100], v[101:102], v[97:98], v[99:100]
	s_waitcnt vmcnt(2)
	v_add_f64 v[73:74], v[73:74], -v[103:104]
	s_waitcnt vmcnt(0)
	v_add_f64 v[75:76], v[75:76], -v[99:100]
	buffer_store_dword v73, off, s[20:23], 0 offset:16 ; 4-byte Folded Spill
	s_nop 0
	buffer_store_dword v74, off, s[20:23], 0 offset:20 ; 4-byte Folded Spill
	buffer_store_dword v75, off, s[20:23], 0 offset:24 ; 4-byte Folded Spill
	;; [unrolled: 1-line block ×3, first 2 shown]
	v_mov_b32_e32 v76, v72
	v_mov_b32_e32 v75, v71
	;; [unrolled: 1-line block ×4, first 2 shown]
	ds_read2_b64 v[99:102], v125 offset0:66 offset1:67
	buffer_load_dword v69, off, s[20:23], 0 ; 4-byte Folded Reload
	buffer_load_dword v70, off, s[20:23], 0 offset:4 ; 4-byte Folded Reload
	buffer_load_dword v71, off, s[20:23], 0 offset:8 ; 4-byte Folded Reload
	;; [unrolled: 1-line block ×3, first 2 shown]
	s_waitcnt lgkmcnt(0)
	v_mul_f64 v[103:104], v[101:102], v[105:106]
	v_fma_f64 v[103:104], v[99:100], v[97:98], -v[103:104]
	v_mul_f64 v[99:100], v[99:100], v[105:106]
	v_fma_f64 v[99:100], v[101:102], v[97:98], v[99:100]
	s_waitcnt vmcnt(2)
	v_add_f64 v[69:70], v[69:70], -v[103:104]
	s_waitcnt vmcnt(0)
	v_add_f64 v[71:72], v[71:72], -v[99:100]
	buffer_store_dword v69, off, s[20:23], 0 ; 4-byte Folded Spill
	s_nop 0
	buffer_store_dword v70, off, s[20:23], 0 offset:4 ; 4-byte Folded Spill
	buffer_store_dword v71, off, s[20:23], 0 offset:8 ; 4-byte Folded Spill
	buffer_store_dword v72, off, s[20:23], 0 offset:12 ; 4-byte Folded Spill
	ds_read2_b64 v[99:102], v125 offset0:68 offset1:69
	s_waitcnt lgkmcnt(0)
	v_mul_f64 v[103:104], v[101:102], v[105:106]
	v_fma_f64 v[103:104], v[99:100], v[97:98], -v[103:104]
	v_mul_f64 v[99:100], v[99:100], v[105:106]
	v_add_f64 v[65:66], v[65:66], -v[103:104]
	v_fma_f64 v[99:100], v[101:102], v[97:98], v[99:100]
	v_add_f64 v[67:68], v[67:68], -v[99:100]
	ds_read2_b64 v[99:102], v125 offset0:70 offset1:71
	s_waitcnt lgkmcnt(0)
	v_mul_f64 v[103:104], v[101:102], v[105:106]
	v_fma_f64 v[103:104], v[99:100], v[97:98], -v[103:104]
	v_mul_f64 v[99:100], v[99:100], v[105:106]
	v_add_f64 v[61:62], v[61:62], -v[103:104]
	v_fma_f64 v[99:100], v[101:102], v[97:98], v[99:100]
	v_add_f64 v[63:64], v[63:64], -v[99:100]
	;; [unrolled: 8-line block ×17, first 2 shown]
	ds_read2_b64 v[99:102], v125 offset0:102 offset1:103
	s_waitcnt lgkmcnt(0)
	v_mul_f64 v[103:104], v[101:102], v[105:106]
	v_fma_f64 v[103:104], v[99:100], v[97:98], -v[103:104]
	v_mul_f64 v[99:100], v[99:100], v[105:106]
	v_add_f64 v[73:74], v[73:74], -v[103:104]
	v_fma_f64 v[99:100], v[101:102], v[97:98], v[99:100]
	v_mov_b32_e32 v104, v98
	v_mov_b32_e32 v103, v97
	buffer_store_dword v103, off, s[20:23], 0 offset:128 ; 4-byte Folded Spill
	s_nop 0
	buffer_store_dword v104, off, s[20:23], 0 offset:132 ; 4-byte Folded Spill
	buffer_store_dword v105, off, s[20:23], 0 offset:136 ; 4-byte Folded Spill
	;; [unrolled: 1-line block ×3, first 2 shown]
	v_add_f64 v[75:76], v[75:76], -v[99:100]
.LBB103_190:
	s_or_b64 exec, exec, s[2:3]
	v_cmp_eq_u32_e32 vcc, 21, v0
	s_waitcnt vmcnt(0)
	s_barrier
	s_and_saveexec_b64 s[4:5], vcc
	s_cbranch_execz .LBB103_197
; %bb.191:
	buffer_load_dword v69, off, s[20:23], 0 offset:112 ; 4-byte Folded Reload
	buffer_load_dword v70, off, s[20:23], 0 offset:116 ; 4-byte Folded Reload
	;; [unrolled: 1-line block ×4, first 2 shown]
	s_waitcnt vmcnt(0)
	ds_write2_b64 v127, v[69:70], v[71:72] offset1:1
	buffer_load_dword v69, off, s[20:23], 0 offset:96 ; 4-byte Folded Reload
	buffer_load_dword v70, off, s[20:23], 0 offset:100 ; 4-byte Folded Reload
	buffer_load_dword v71, off, s[20:23], 0 offset:104 ; 4-byte Folded Reload
	buffer_load_dword v72, off, s[20:23], 0 offset:108 ; 4-byte Folded Reload
	s_waitcnt vmcnt(0)
	ds_write2_b64 v125, v[69:70], v[71:72] offset0:44 offset1:45
	buffer_load_dword v69, off, s[20:23], 0 offset:80 ; 4-byte Folded Reload
	buffer_load_dword v70, off, s[20:23], 0 offset:84 ; 4-byte Folded Reload
	buffer_load_dword v71, off, s[20:23], 0 offset:88 ; 4-byte Folded Reload
	buffer_load_dword v72, off, s[20:23], 0 offset:92 ; 4-byte Folded Reload
	s_waitcnt vmcnt(0)
	ds_write2_b64 v125, v[69:70], v[71:72] offset0:46 offset1:47
	;; [unrolled: 6-line block ×4, first 2 shown]
	ds_write2_b64 v125, v[121:122], v[123:124] offset0:52 offset1:53
	ds_write2_b64 v125, v[117:118], v[119:120] offset0:54 offset1:55
	;; [unrolled: 1-line block ×5, first 2 shown]
	buffer_load_dword v77, off, s[20:23], 0 offset:32 ; 4-byte Folded Reload
	buffer_load_dword v78, off, s[20:23], 0 offset:36 ; 4-byte Folded Reload
	;; [unrolled: 1-line block ×4, first 2 shown]
	v_mov_b32_e32 v69, v73
	v_mov_b32_e32 v70, v74
	;; [unrolled: 1-line block ×4, first 2 shown]
	s_waitcnt vmcnt(0)
	ds_write2_b64 v125, v[77:78], v[79:80] offset0:62 offset1:63
	buffer_load_dword v73, off, s[20:23], 0 offset:16 ; 4-byte Folded Reload
	buffer_load_dword v74, off, s[20:23], 0 offset:20 ; 4-byte Folded Reload
	;; [unrolled: 1-line block ×4, first 2 shown]
	s_waitcnt vmcnt(0)
	ds_write2_b64 v125, v[73:74], v[75:76] offset0:64 offset1:65
	v_mov_b32_e32 v76, v72
	v_mov_b32_e32 v75, v71
	;; [unrolled: 1-line block ×4, first 2 shown]
	buffer_load_dword v69, off, s[20:23], 0 ; 4-byte Folded Reload
	buffer_load_dword v70, off, s[20:23], 0 offset:4 ; 4-byte Folded Reload
	buffer_load_dword v71, off, s[20:23], 0 offset:8 ; 4-byte Folded Reload
	;; [unrolled: 1-line block ×3, first 2 shown]
	s_waitcnt vmcnt(0)
	ds_write2_b64 v125, v[69:70], v[71:72] offset0:66 offset1:67
	ds_write2_b64 v125, v[65:66], v[67:68] offset0:68 offset1:69
	;; [unrolled: 1-line block ×19, first 2 shown]
	ds_read2_b64 v[97:100], v127 offset1:1
	s_waitcnt lgkmcnt(0)
	v_cmp_neq_f64_e32 vcc, 0, v[97:98]
	v_cmp_neq_f64_e64 s[2:3], 0, v[99:100]
	s_or_b64 s[2:3], vcc, s[2:3]
	s_and_b64 exec, exec, s[2:3]
	s_cbranch_execz .LBB103_197
; %bb.192:
	v_cmp_ngt_f64_e64 s[2:3], |v[97:98]|, |v[99:100]|
                                        ; implicit-def: $vgpr101_vgpr102
	s_and_saveexec_b64 s[6:7], s[2:3]
	s_xor_b64 s[2:3], exec, s[6:7]
                                        ; implicit-def: $vgpr103_vgpr104
	s_cbranch_execz .LBB103_194
; %bb.193:
	v_div_scale_f64 v[101:102], s[6:7], v[99:100], v[99:100], v[97:98]
	v_rcp_f64_e32 v[103:104], v[101:102]
	v_fma_f64 v[105:106], -v[101:102], v[103:104], 1.0
	v_fma_f64 v[103:104], v[103:104], v[105:106], v[103:104]
	v_div_scale_f64 v[105:106], vcc, v[97:98], v[99:100], v[97:98]
	v_fma_f64 v[107:108], -v[101:102], v[103:104], 1.0
	v_fma_f64 v[103:104], v[103:104], v[107:108], v[103:104]
	v_mul_f64 v[107:108], v[105:106], v[103:104]
	v_fma_f64 v[101:102], -v[101:102], v[107:108], v[105:106]
	v_div_fmas_f64 v[101:102], v[101:102], v[103:104], v[107:108]
	v_div_fixup_f64 v[101:102], v[101:102], v[99:100], v[97:98]
	v_fma_f64 v[97:98], v[97:98], v[101:102], v[99:100]
	v_div_scale_f64 v[99:100], s[6:7], v[97:98], v[97:98], 1.0
	v_div_scale_f64 v[107:108], vcc, 1.0, v[97:98], 1.0
	v_rcp_f64_e32 v[103:104], v[99:100]
	v_fma_f64 v[105:106], -v[99:100], v[103:104], 1.0
	v_fma_f64 v[103:104], v[103:104], v[105:106], v[103:104]
	v_fma_f64 v[105:106], -v[99:100], v[103:104], 1.0
	v_fma_f64 v[103:104], v[103:104], v[105:106], v[103:104]
	v_mul_f64 v[105:106], v[107:108], v[103:104]
	v_fma_f64 v[99:100], -v[99:100], v[105:106], v[107:108]
	v_div_fmas_f64 v[99:100], v[99:100], v[103:104], v[105:106]
	v_div_fixup_f64 v[103:104], v[99:100], v[97:98], 1.0
                                        ; implicit-def: $vgpr97_vgpr98
	v_mul_f64 v[101:102], v[101:102], v[103:104]
	v_xor_b32_e32 v104, 0x80000000, v104
.LBB103_194:
	s_andn2_saveexec_b64 s[2:3], s[2:3]
	s_cbranch_execz .LBB103_196
; %bb.195:
	v_div_scale_f64 v[101:102], s[6:7], v[97:98], v[97:98], v[99:100]
	v_rcp_f64_e32 v[103:104], v[101:102]
	v_fma_f64 v[105:106], -v[101:102], v[103:104], 1.0
	v_fma_f64 v[103:104], v[103:104], v[105:106], v[103:104]
	v_div_scale_f64 v[105:106], vcc, v[99:100], v[97:98], v[99:100]
	v_fma_f64 v[107:108], -v[101:102], v[103:104], 1.0
	v_fma_f64 v[103:104], v[103:104], v[107:108], v[103:104]
	v_mul_f64 v[107:108], v[105:106], v[103:104]
	v_fma_f64 v[101:102], -v[101:102], v[107:108], v[105:106]
	v_div_fmas_f64 v[101:102], v[101:102], v[103:104], v[107:108]
	v_div_fixup_f64 v[103:104], v[101:102], v[97:98], v[99:100]
	v_fma_f64 v[97:98], v[99:100], v[103:104], v[97:98]
	v_div_scale_f64 v[99:100], s[6:7], v[97:98], v[97:98], 1.0
	v_div_scale_f64 v[107:108], vcc, 1.0, v[97:98], 1.0
	v_rcp_f64_e32 v[101:102], v[99:100]
	v_fma_f64 v[105:106], -v[99:100], v[101:102], 1.0
	v_fma_f64 v[101:102], v[101:102], v[105:106], v[101:102]
	v_fma_f64 v[105:106], -v[99:100], v[101:102], 1.0
	v_fma_f64 v[101:102], v[101:102], v[105:106], v[101:102]
	v_mul_f64 v[105:106], v[107:108], v[101:102]
	v_fma_f64 v[99:100], -v[99:100], v[105:106], v[107:108]
	v_div_fmas_f64 v[99:100], v[99:100], v[101:102], v[105:106]
	v_div_fixup_f64 v[101:102], v[99:100], v[97:98], 1.0
	v_mul_f64 v[103:104], v[103:104], -v[101:102]
.LBB103_196:
	s_or_b64 exec, exec, s[2:3]
	ds_write2_b64 v127, v[101:102], v[103:104] offset1:1
.LBB103_197:
	s_or_b64 exec, exec, s[4:5]
	s_waitcnt lgkmcnt(0)
	s_barrier
	ds_read2_b64 v[69:72], v127 offset1:1
	v_cmp_lt_u32_e32 vcc, 21, v0
	s_waitcnt lgkmcnt(0)
	buffer_store_dword v69, off, s[20:23], 0 offset:1208 ; 4-byte Folded Spill
	s_nop 0
	buffer_store_dword v70, off, s[20:23], 0 offset:1212 ; 4-byte Folded Spill
	buffer_store_dword v71, off, s[20:23], 0 offset:1216 ; 4-byte Folded Spill
	;; [unrolled: 1-line block ×3, first 2 shown]
	s_and_saveexec_b64 s[2:3], vcc
	s_cbranch_execz .LBB103_199
; %bb.198:
	buffer_load_dword v103, off, s[20:23], 0 offset:112 ; 4-byte Folded Reload
	buffer_load_dword v104, off, s[20:23], 0 offset:116 ; 4-byte Folded Reload
	buffer_load_dword v105, off, s[20:23], 0 offset:120 ; 4-byte Folded Reload
	buffer_load_dword v106, off, s[20:23], 0 offset:124 ; 4-byte Folded Reload
	buffer_load_dword v69, off, s[20:23], 0 offset:1208 ; 4-byte Folded Reload
	buffer_load_dword v70, off, s[20:23], 0 offset:1212 ; 4-byte Folded Reload
	buffer_load_dword v71, off, s[20:23], 0 offset:1216 ; 4-byte Folded Reload
	buffer_load_dword v72, off, s[20:23], 0 offset:1220 ; 4-byte Folded Reload
	s_waitcnt vmcnt(2)
	v_mul_f64 v[99:100], v[69:70], v[105:106]
	s_waitcnt vmcnt(0)
	v_mul_f64 v[97:98], v[71:72], v[105:106]
	v_fma_f64 v[105:106], v[71:72], v[103:104], v[99:100]
	ds_read2_b64 v[99:102], v125 offset0:44 offset1:45
	v_fma_f64 v[97:98], v[69:70], v[103:104], -v[97:98]
	buffer_load_dword v69, off, s[20:23], 0 offset:96 ; 4-byte Folded Reload
	buffer_load_dword v70, off, s[20:23], 0 offset:100 ; 4-byte Folded Reload
	buffer_load_dword v71, off, s[20:23], 0 offset:104 ; 4-byte Folded Reload
	buffer_load_dword v72, off, s[20:23], 0 offset:108 ; 4-byte Folded Reload
	s_waitcnt lgkmcnt(0)
	v_mul_f64 v[103:104], v[101:102], v[105:106]
	v_fma_f64 v[103:104], v[99:100], v[97:98], -v[103:104]
	v_mul_f64 v[99:100], v[99:100], v[105:106]
	v_fma_f64 v[99:100], v[101:102], v[97:98], v[99:100]
	s_waitcnt vmcnt(2)
	v_add_f64 v[69:70], v[69:70], -v[103:104]
	s_waitcnt vmcnt(0)
	v_add_f64 v[71:72], v[71:72], -v[99:100]
	buffer_store_dword v69, off, s[20:23], 0 offset:96 ; 4-byte Folded Spill
	s_nop 0
	buffer_store_dword v70, off, s[20:23], 0 offset:100 ; 4-byte Folded Spill
	buffer_store_dword v71, off, s[20:23], 0 offset:104 ; 4-byte Folded Spill
	buffer_store_dword v72, off, s[20:23], 0 offset:108 ; 4-byte Folded Spill
	ds_read2_b64 v[99:102], v125 offset0:46 offset1:47
	buffer_load_dword v69, off, s[20:23], 0 offset:80 ; 4-byte Folded Reload
	buffer_load_dword v70, off, s[20:23], 0 offset:84 ; 4-byte Folded Reload
	buffer_load_dword v71, off, s[20:23], 0 offset:88 ; 4-byte Folded Reload
	buffer_load_dword v72, off, s[20:23], 0 offset:92 ; 4-byte Folded Reload
	s_waitcnt lgkmcnt(0)
	v_mul_f64 v[103:104], v[101:102], v[105:106]
	v_fma_f64 v[103:104], v[99:100], v[97:98], -v[103:104]
	v_mul_f64 v[99:100], v[99:100], v[105:106]
	v_fma_f64 v[99:100], v[101:102], v[97:98], v[99:100]
	s_waitcnt vmcnt(2)
	v_add_f64 v[69:70], v[69:70], -v[103:104]
	s_waitcnt vmcnt(0)
	v_add_f64 v[71:72], v[71:72], -v[99:100]
	buffer_store_dword v69, off, s[20:23], 0 offset:80 ; 4-byte Folded Spill
	s_nop 0
	buffer_store_dword v70, off, s[20:23], 0 offset:84 ; 4-byte Folded Spill
	buffer_store_dword v71, off, s[20:23], 0 offset:88 ; 4-byte Folded Spill
	buffer_store_dword v72, off, s[20:23], 0 offset:92 ; 4-byte Folded Spill
	ds_read2_b64 v[99:102], v125 offset0:48 offset1:49
	;; [unrolled: 19-line block ×4, first 2 shown]
	v_mov_b32_e32 v69, v73
	v_mov_b32_e32 v70, v74
	;; [unrolled: 1-line block ×4, first 2 shown]
	s_waitcnt lgkmcnt(0)
	v_mul_f64 v[103:104], v[101:102], v[105:106]
	v_fma_f64 v[103:104], v[99:100], v[97:98], -v[103:104]
	v_mul_f64 v[99:100], v[99:100], v[105:106]
	v_add_f64 v[121:122], v[121:122], -v[103:104]
	v_fma_f64 v[99:100], v[101:102], v[97:98], v[99:100]
	v_add_f64 v[123:124], v[123:124], -v[99:100]
	ds_read2_b64 v[99:102], v125 offset0:54 offset1:55
	s_waitcnt lgkmcnt(0)
	v_mul_f64 v[103:104], v[101:102], v[105:106]
	v_fma_f64 v[103:104], v[99:100], v[97:98], -v[103:104]
	v_mul_f64 v[99:100], v[99:100], v[105:106]
	v_add_f64 v[117:118], v[117:118], -v[103:104]
	v_fma_f64 v[99:100], v[101:102], v[97:98], v[99:100]
	v_add_f64 v[119:120], v[119:120], -v[99:100]
	ds_read2_b64 v[99:102], v125 offset0:56 offset1:57
	;; [unrolled: 8-line block ×5, first 2 shown]
	buffer_load_dword v77, off, s[20:23], 0 offset:32 ; 4-byte Folded Reload
	buffer_load_dword v78, off, s[20:23], 0 offset:36 ; 4-byte Folded Reload
	;; [unrolled: 1-line block ×4, first 2 shown]
	s_waitcnt lgkmcnt(0)
	v_mul_f64 v[103:104], v[101:102], v[105:106]
	v_fma_f64 v[103:104], v[99:100], v[97:98], -v[103:104]
	v_mul_f64 v[99:100], v[99:100], v[105:106]
	v_fma_f64 v[99:100], v[101:102], v[97:98], v[99:100]
	s_waitcnt vmcnt(2)
	v_add_f64 v[77:78], v[77:78], -v[103:104]
	s_waitcnt vmcnt(0)
	v_add_f64 v[79:80], v[79:80], -v[99:100]
	buffer_store_dword v77, off, s[20:23], 0 offset:32 ; 4-byte Folded Spill
	s_nop 0
	buffer_store_dword v78, off, s[20:23], 0 offset:36 ; 4-byte Folded Spill
	buffer_store_dword v79, off, s[20:23], 0 offset:40 ; 4-byte Folded Spill
	;; [unrolled: 1-line block ×3, first 2 shown]
	ds_read2_b64 v[99:102], v125 offset0:64 offset1:65
	buffer_load_dword v73, off, s[20:23], 0 offset:16 ; 4-byte Folded Reload
	buffer_load_dword v74, off, s[20:23], 0 offset:20 ; 4-byte Folded Reload
	;; [unrolled: 1-line block ×4, first 2 shown]
	s_waitcnt lgkmcnt(0)
	v_mul_f64 v[103:104], v[101:102], v[105:106]
	v_fma_f64 v[103:104], v[99:100], v[97:98], -v[103:104]
	v_mul_f64 v[99:100], v[99:100], v[105:106]
	v_fma_f64 v[99:100], v[101:102], v[97:98], v[99:100]
	s_waitcnt vmcnt(2)
	v_add_f64 v[73:74], v[73:74], -v[103:104]
	s_waitcnt vmcnt(0)
	v_add_f64 v[75:76], v[75:76], -v[99:100]
	buffer_store_dword v73, off, s[20:23], 0 offset:16 ; 4-byte Folded Spill
	s_nop 0
	buffer_store_dword v74, off, s[20:23], 0 offset:20 ; 4-byte Folded Spill
	buffer_store_dword v75, off, s[20:23], 0 offset:24 ; 4-byte Folded Spill
	buffer_store_dword v76, off, s[20:23], 0 offset:28 ; 4-byte Folded Spill
	v_mov_b32_e32 v76, v72
	v_mov_b32_e32 v75, v71
	;; [unrolled: 1-line block ×4, first 2 shown]
	ds_read2_b64 v[99:102], v125 offset0:66 offset1:67
	buffer_load_dword v69, off, s[20:23], 0 ; 4-byte Folded Reload
	buffer_load_dword v70, off, s[20:23], 0 offset:4 ; 4-byte Folded Reload
	buffer_load_dword v71, off, s[20:23], 0 offset:8 ; 4-byte Folded Reload
	;; [unrolled: 1-line block ×3, first 2 shown]
	s_waitcnt lgkmcnt(0)
	v_mul_f64 v[103:104], v[101:102], v[105:106]
	v_fma_f64 v[103:104], v[99:100], v[97:98], -v[103:104]
	v_mul_f64 v[99:100], v[99:100], v[105:106]
	v_fma_f64 v[99:100], v[101:102], v[97:98], v[99:100]
	s_waitcnt vmcnt(2)
	v_add_f64 v[69:70], v[69:70], -v[103:104]
	s_waitcnt vmcnt(0)
	v_add_f64 v[71:72], v[71:72], -v[99:100]
	buffer_store_dword v69, off, s[20:23], 0 ; 4-byte Folded Spill
	s_nop 0
	buffer_store_dword v70, off, s[20:23], 0 offset:4 ; 4-byte Folded Spill
	buffer_store_dword v71, off, s[20:23], 0 offset:8 ; 4-byte Folded Spill
	;; [unrolled: 1-line block ×3, first 2 shown]
	ds_read2_b64 v[99:102], v125 offset0:68 offset1:69
	s_waitcnt lgkmcnt(0)
	v_mul_f64 v[103:104], v[101:102], v[105:106]
	v_fma_f64 v[103:104], v[99:100], v[97:98], -v[103:104]
	v_mul_f64 v[99:100], v[99:100], v[105:106]
	v_add_f64 v[65:66], v[65:66], -v[103:104]
	v_fma_f64 v[99:100], v[101:102], v[97:98], v[99:100]
	v_add_f64 v[67:68], v[67:68], -v[99:100]
	ds_read2_b64 v[99:102], v125 offset0:70 offset1:71
	s_waitcnt lgkmcnt(0)
	v_mul_f64 v[103:104], v[101:102], v[105:106]
	v_fma_f64 v[103:104], v[99:100], v[97:98], -v[103:104]
	v_mul_f64 v[99:100], v[99:100], v[105:106]
	v_add_f64 v[61:62], v[61:62], -v[103:104]
	v_fma_f64 v[99:100], v[101:102], v[97:98], v[99:100]
	v_add_f64 v[63:64], v[63:64], -v[99:100]
	;; [unrolled: 8-line block ×17, first 2 shown]
	ds_read2_b64 v[99:102], v125 offset0:102 offset1:103
	s_waitcnt lgkmcnt(0)
	v_mul_f64 v[103:104], v[101:102], v[105:106]
	v_fma_f64 v[103:104], v[99:100], v[97:98], -v[103:104]
	v_mul_f64 v[99:100], v[99:100], v[105:106]
	v_add_f64 v[73:74], v[73:74], -v[103:104]
	v_fma_f64 v[99:100], v[101:102], v[97:98], v[99:100]
	v_mov_b32_e32 v104, v98
	v_mov_b32_e32 v103, v97
	buffer_store_dword v103, off, s[20:23], 0 offset:112 ; 4-byte Folded Spill
	s_nop 0
	buffer_store_dword v104, off, s[20:23], 0 offset:116 ; 4-byte Folded Spill
	buffer_store_dword v105, off, s[20:23], 0 offset:120 ; 4-byte Folded Spill
	;; [unrolled: 1-line block ×3, first 2 shown]
	v_add_f64 v[75:76], v[75:76], -v[99:100]
.LBB103_199:
	s_or_b64 exec, exec, s[2:3]
	v_cmp_eq_u32_e32 vcc, 22, v0
	s_waitcnt vmcnt(0)
	s_barrier
	s_and_saveexec_b64 s[4:5], vcc
	s_cbranch_execz .LBB103_206
; %bb.200:
	buffer_load_dword v69, off, s[20:23], 0 offset:96 ; 4-byte Folded Reload
	buffer_load_dword v70, off, s[20:23], 0 offset:100 ; 4-byte Folded Reload
	;; [unrolled: 1-line block ×4, first 2 shown]
	s_waitcnt vmcnt(0)
	ds_write2_b64 v127, v[69:70], v[71:72] offset1:1
	buffer_load_dword v69, off, s[20:23], 0 offset:80 ; 4-byte Folded Reload
	buffer_load_dword v70, off, s[20:23], 0 offset:84 ; 4-byte Folded Reload
	buffer_load_dword v71, off, s[20:23], 0 offset:88 ; 4-byte Folded Reload
	buffer_load_dword v72, off, s[20:23], 0 offset:92 ; 4-byte Folded Reload
	s_waitcnt vmcnt(0)
	ds_write2_b64 v125, v[69:70], v[71:72] offset0:46 offset1:47
	buffer_load_dword v69, off, s[20:23], 0 offset:64 ; 4-byte Folded Reload
	buffer_load_dword v70, off, s[20:23], 0 offset:68 ; 4-byte Folded Reload
	buffer_load_dword v71, off, s[20:23], 0 offset:72 ; 4-byte Folded Reload
	buffer_load_dword v72, off, s[20:23], 0 offset:76 ; 4-byte Folded Reload
	s_waitcnt vmcnt(0)
	ds_write2_b64 v125, v[69:70], v[71:72] offset0:48 offset1:49
	;; [unrolled: 6-line block ×3, first 2 shown]
	ds_write2_b64 v125, v[121:122], v[123:124] offset0:52 offset1:53
	ds_write2_b64 v125, v[117:118], v[119:120] offset0:54 offset1:55
	;; [unrolled: 1-line block ×5, first 2 shown]
	buffer_load_dword v77, off, s[20:23], 0 offset:32 ; 4-byte Folded Reload
	buffer_load_dword v78, off, s[20:23], 0 offset:36 ; 4-byte Folded Reload
	;; [unrolled: 1-line block ×4, first 2 shown]
	v_mov_b32_e32 v69, v73
	v_mov_b32_e32 v70, v74
	;; [unrolled: 1-line block ×4, first 2 shown]
	s_waitcnt vmcnt(0)
	ds_write2_b64 v125, v[77:78], v[79:80] offset0:62 offset1:63
	buffer_load_dword v73, off, s[20:23], 0 offset:16 ; 4-byte Folded Reload
	buffer_load_dword v74, off, s[20:23], 0 offset:20 ; 4-byte Folded Reload
	;; [unrolled: 1-line block ×4, first 2 shown]
	s_waitcnt vmcnt(0)
	ds_write2_b64 v125, v[73:74], v[75:76] offset0:64 offset1:65
	v_mov_b32_e32 v76, v72
	v_mov_b32_e32 v75, v71
	;; [unrolled: 1-line block ×4, first 2 shown]
	buffer_load_dword v69, off, s[20:23], 0 ; 4-byte Folded Reload
	buffer_load_dword v70, off, s[20:23], 0 offset:4 ; 4-byte Folded Reload
	buffer_load_dword v71, off, s[20:23], 0 offset:8 ; 4-byte Folded Reload
	;; [unrolled: 1-line block ×3, first 2 shown]
	s_waitcnt vmcnt(0)
	ds_write2_b64 v125, v[69:70], v[71:72] offset0:66 offset1:67
	ds_write2_b64 v125, v[65:66], v[67:68] offset0:68 offset1:69
	;; [unrolled: 1-line block ×19, first 2 shown]
	ds_read2_b64 v[97:100], v127 offset1:1
	s_waitcnt lgkmcnt(0)
	v_cmp_neq_f64_e32 vcc, 0, v[97:98]
	v_cmp_neq_f64_e64 s[2:3], 0, v[99:100]
	s_or_b64 s[2:3], vcc, s[2:3]
	s_and_b64 exec, exec, s[2:3]
	s_cbranch_execz .LBB103_206
; %bb.201:
	v_cmp_ngt_f64_e64 s[2:3], |v[97:98]|, |v[99:100]|
                                        ; implicit-def: $vgpr101_vgpr102
	s_and_saveexec_b64 s[6:7], s[2:3]
	s_xor_b64 s[2:3], exec, s[6:7]
                                        ; implicit-def: $vgpr103_vgpr104
	s_cbranch_execz .LBB103_203
; %bb.202:
	v_div_scale_f64 v[101:102], s[6:7], v[99:100], v[99:100], v[97:98]
	v_rcp_f64_e32 v[103:104], v[101:102]
	v_fma_f64 v[105:106], -v[101:102], v[103:104], 1.0
	v_fma_f64 v[103:104], v[103:104], v[105:106], v[103:104]
	v_div_scale_f64 v[105:106], vcc, v[97:98], v[99:100], v[97:98]
	v_fma_f64 v[107:108], -v[101:102], v[103:104], 1.0
	v_fma_f64 v[103:104], v[103:104], v[107:108], v[103:104]
	v_mul_f64 v[107:108], v[105:106], v[103:104]
	v_fma_f64 v[101:102], -v[101:102], v[107:108], v[105:106]
	v_div_fmas_f64 v[101:102], v[101:102], v[103:104], v[107:108]
	v_div_fixup_f64 v[101:102], v[101:102], v[99:100], v[97:98]
	v_fma_f64 v[97:98], v[97:98], v[101:102], v[99:100]
	v_div_scale_f64 v[99:100], s[6:7], v[97:98], v[97:98], 1.0
	v_div_scale_f64 v[107:108], vcc, 1.0, v[97:98], 1.0
	v_rcp_f64_e32 v[103:104], v[99:100]
	v_fma_f64 v[105:106], -v[99:100], v[103:104], 1.0
	v_fma_f64 v[103:104], v[103:104], v[105:106], v[103:104]
	v_fma_f64 v[105:106], -v[99:100], v[103:104], 1.0
	v_fma_f64 v[103:104], v[103:104], v[105:106], v[103:104]
	v_mul_f64 v[105:106], v[107:108], v[103:104]
	v_fma_f64 v[99:100], -v[99:100], v[105:106], v[107:108]
	v_div_fmas_f64 v[99:100], v[99:100], v[103:104], v[105:106]
	v_div_fixup_f64 v[103:104], v[99:100], v[97:98], 1.0
                                        ; implicit-def: $vgpr97_vgpr98
	v_mul_f64 v[101:102], v[101:102], v[103:104]
	v_xor_b32_e32 v104, 0x80000000, v104
.LBB103_203:
	s_andn2_saveexec_b64 s[2:3], s[2:3]
	s_cbranch_execz .LBB103_205
; %bb.204:
	v_div_scale_f64 v[101:102], s[6:7], v[97:98], v[97:98], v[99:100]
	v_rcp_f64_e32 v[103:104], v[101:102]
	v_fma_f64 v[105:106], -v[101:102], v[103:104], 1.0
	v_fma_f64 v[103:104], v[103:104], v[105:106], v[103:104]
	v_div_scale_f64 v[105:106], vcc, v[99:100], v[97:98], v[99:100]
	v_fma_f64 v[107:108], -v[101:102], v[103:104], 1.0
	v_fma_f64 v[103:104], v[103:104], v[107:108], v[103:104]
	v_mul_f64 v[107:108], v[105:106], v[103:104]
	v_fma_f64 v[101:102], -v[101:102], v[107:108], v[105:106]
	v_div_fmas_f64 v[101:102], v[101:102], v[103:104], v[107:108]
	v_div_fixup_f64 v[103:104], v[101:102], v[97:98], v[99:100]
	v_fma_f64 v[97:98], v[99:100], v[103:104], v[97:98]
	v_div_scale_f64 v[99:100], s[6:7], v[97:98], v[97:98], 1.0
	v_div_scale_f64 v[107:108], vcc, 1.0, v[97:98], 1.0
	v_rcp_f64_e32 v[101:102], v[99:100]
	v_fma_f64 v[105:106], -v[99:100], v[101:102], 1.0
	v_fma_f64 v[101:102], v[101:102], v[105:106], v[101:102]
	v_fma_f64 v[105:106], -v[99:100], v[101:102], 1.0
	v_fma_f64 v[101:102], v[101:102], v[105:106], v[101:102]
	v_mul_f64 v[105:106], v[107:108], v[101:102]
	v_fma_f64 v[99:100], -v[99:100], v[105:106], v[107:108]
	v_div_fmas_f64 v[99:100], v[99:100], v[101:102], v[105:106]
	v_div_fixup_f64 v[101:102], v[99:100], v[97:98], 1.0
	v_mul_f64 v[103:104], v[103:104], -v[101:102]
.LBB103_205:
	s_or_b64 exec, exec, s[2:3]
	ds_write2_b64 v127, v[101:102], v[103:104] offset1:1
.LBB103_206:
	s_or_b64 exec, exec, s[4:5]
	s_waitcnt lgkmcnt(0)
	s_barrier
	ds_read2_b64 v[69:72], v127 offset1:1
	v_cmp_lt_u32_e32 vcc, 22, v0
	s_waitcnt lgkmcnt(0)
	buffer_store_dword v69, off, s[20:23], 0 offset:1224 ; 4-byte Folded Spill
	s_nop 0
	buffer_store_dword v70, off, s[20:23], 0 offset:1228 ; 4-byte Folded Spill
	buffer_store_dword v71, off, s[20:23], 0 offset:1232 ; 4-byte Folded Spill
	;; [unrolled: 1-line block ×3, first 2 shown]
	s_and_saveexec_b64 s[2:3], vcc
	s_cbranch_execz .LBB103_208
; %bb.207:
	buffer_load_dword v103, off, s[20:23], 0 offset:96 ; 4-byte Folded Reload
	buffer_load_dword v104, off, s[20:23], 0 offset:100 ; 4-byte Folded Reload
	;; [unrolled: 1-line block ×8, first 2 shown]
	s_waitcnt vmcnt(2)
	v_mul_f64 v[99:100], v[69:70], v[105:106]
	s_waitcnt vmcnt(0)
	v_mul_f64 v[97:98], v[71:72], v[105:106]
	v_fma_f64 v[105:106], v[71:72], v[103:104], v[99:100]
	ds_read2_b64 v[99:102], v125 offset0:46 offset1:47
	v_fma_f64 v[97:98], v[69:70], v[103:104], -v[97:98]
	buffer_load_dword v69, off, s[20:23], 0 offset:80 ; 4-byte Folded Reload
	buffer_load_dword v70, off, s[20:23], 0 offset:84 ; 4-byte Folded Reload
	buffer_load_dword v71, off, s[20:23], 0 offset:88 ; 4-byte Folded Reload
	buffer_load_dword v72, off, s[20:23], 0 offset:92 ; 4-byte Folded Reload
	s_waitcnt lgkmcnt(0)
	v_mul_f64 v[103:104], v[101:102], v[105:106]
	v_fma_f64 v[103:104], v[99:100], v[97:98], -v[103:104]
	v_mul_f64 v[99:100], v[99:100], v[105:106]
	v_fma_f64 v[99:100], v[101:102], v[97:98], v[99:100]
	s_waitcnt vmcnt(2)
	v_add_f64 v[69:70], v[69:70], -v[103:104]
	s_waitcnt vmcnt(0)
	v_add_f64 v[71:72], v[71:72], -v[99:100]
	buffer_store_dword v69, off, s[20:23], 0 offset:80 ; 4-byte Folded Spill
	s_nop 0
	buffer_store_dword v70, off, s[20:23], 0 offset:84 ; 4-byte Folded Spill
	buffer_store_dword v71, off, s[20:23], 0 offset:88 ; 4-byte Folded Spill
	buffer_store_dword v72, off, s[20:23], 0 offset:92 ; 4-byte Folded Spill
	ds_read2_b64 v[99:102], v125 offset0:48 offset1:49
	buffer_load_dword v69, off, s[20:23], 0 offset:64 ; 4-byte Folded Reload
	buffer_load_dword v70, off, s[20:23], 0 offset:68 ; 4-byte Folded Reload
	buffer_load_dword v71, off, s[20:23], 0 offset:72 ; 4-byte Folded Reload
	buffer_load_dword v72, off, s[20:23], 0 offset:76 ; 4-byte Folded Reload
	s_waitcnt lgkmcnt(0)
	v_mul_f64 v[103:104], v[101:102], v[105:106]
	v_fma_f64 v[103:104], v[99:100], v[97:98], -v[103:104]
	v_mul_f64 v[99:100], v[99:100], v[105:106]
	v_fma_f64 v[99:100], v[101:102], v[97:98], v[99:100]
	s_waitcnt vmcnt(2)
	v_add_f64 v[69:70], v[69:70], -v[103:104]
	s_waitcnt vmcnt(0)
	v_add_f64 v[71:72], v[71:72], -v[99:100]
	buffer_store_dword v69, off, s[20:23], 0 offset:64 ; 4-byte Folded Spill
	s_nop 0
	buffer_store_dword v70, off, s[20:23], 0 offset:68 ; 4-byte Folded Spill
	buffer_store_dword v71, off, s[20:23], 0 offset:72 ; 4-byte Folded Spill
	buffer_store_dword v72, off, s[20:23], 0 offset:76 ; 4-byte Folded Spill
	ds_read2_b64 v[99:102], v125 offset0:50 offset1:51
	;; [unrolled: 19-line block ×3, first 2 shown]
	v_mov_b32_e32 v69, v73
	v_mov_b32_e32 v70, v74
	;; [unrolled: 1-line block ×4, first 2 shown]
	s_waitcnt lgkmcnt(0)
	v_mul_f64 v[103:104], v[101:102], v[105:106]
	v_fma_f64 v[103:104], v[99:100], v[97:98], -v[103:104]
	v_mul_f64 v[99:100], v[99:100], v[105:106]
	v_add_f64 v[121:122], v[121:122], -v[103:104]
	v_fma_f64 v[99:100], v[101:102], v[97:98], v[99:100]
	v_add_f64 v[123:124], v[123:124], -v[99:100]
	ds_read2_b64 v[99:102], v125 offset0:54 offset1:55
	s_waitcnt lgkmcnt(0)
	v_mul_f64 v[103:104], v[101:102], v[105:106]
	v_fma_f64 v[103:104], v[99:100], v[97:98], -v[103:104]
	v_mul_f64 v[99:100], v[99:100], v[105:106]
	v_add_f64 v[117:118], v[117:118], -v[103:104]
	v_fma_f64 v[99:100], v[101:102], v[97:98], v[99:100]
	v_add_f64 v[119:120], v[119:120], -v[99:100]
	ds_read2_b64 v[99:102], v125 offset0:56 offset1:57
	;; [unrolled: 8-line block ×5, first 2 shown]
	buffer_load_dword v77, off, s[20:23], 0 offset:32 ; 4-byte Folded Reload
	buffer_load_dword v78, off, s[20:23], 0 offset:36 ; 4-byte Folded Reload
	;; [unrolled: 1-line block ×4, first 2 shown]
	s_waitcnt lgkmcnt(0)
	v_mul_f64 v[103:104], v[101:102], v[105:106]
	v_fma_f64 v[103:104], v[99:100], v[97:98], -v[103:104]
	v_mul_f64 v[99:100], v[99:100], v[105:106]
	v_fma_f64 v[99:100], v[101:102], v[97:98], v[99:100]
	s_waitcnt vmcnt(2)
	v_add_f64 v[77:78], v[77:78], -v[103:104]
	s_waitcnt vmcnt(0)
	v_add_f64 v[79:80], v[79:80], -v[99:100]
	buffer_store_dword v77, off, s[20:23], 0 offset:32 ; 4-byte Folded Spill
	s_nop 0
	buffer_store_dword v78, off, s[20:23], 0 offset:36 ; 4-byte Folded Spill
	buffer_store_dword v79, off, s[20:23], 0 offset:40 ; 4-byte Folded Spill
	;; [unrolled: 1-line block ×3, first 2 shown]
	ds_read2_b64 v[99:102], v125 offset0:64 offset1:65
	buffer_load_dword v73, off, s[20:23], 0 offset:16 ; 4-byte Folded Reload
	buffer_load_dword v74, off, s[20:23], 0 offset:20 ; 4-byte Folded Reload
	;; [unrolled: 1-line block ×4, first 2 shown]
	s_waitcnt lgkmcnt(0)
	v_mul_f64 v[103:104], v[101:102], v[105:106]
	v_fma_f64 v[103:104], v[99:100], v[97:98], -v[103:104]
	v_mul_f64 v[99:100], v[99:100], v[105:106]
	v_fma_f64 v[99:100], v[101:102], v[97:98], v[99:100]
	s_waitcnt vmcnt(2)
	v_add_f64 v[73:74], v[73:74], -v[103:104]
	s_waitcnt vmcnt(0)
	v_add_f64 v[75:76], v[75:76], -v[99:100]
	buffer_store_dword v73, off, s[20:23], 0 offset:16 ; 4-byte Folded Spill
	s_nop 0
	buffer_store_dword v74, off, s[20:23], 0 offset:20 ; 4-byte Folded Spill
	buffer_store_dword v75, off, s[20:23], 0 offset:24 ; 4-byte Folded Spill
	;; [unrolled: 1-line block ×3, first 2 shown]
	v_mov_b32_e32 v76, v72
	v_mov_b32_e32 v75, v71
	;; [unrolled: 1-line block ×4, first 2 shown]
	ds_read2_b64 v[99:102], v125 offset0:66 offset1:67
	buffer_load_dword v69, off, s[20:23], 0 ; 4-byte Folded Reload
	buffer_load_dword v70, off, s[20:23], 0 offset:4 ; 4-byte Folded Reload
	buffer_load_dword v71, off, s[20:23], 0 offset:8 ; 4-byte Folded Reload
	;; [unrolled: 1-line block ×3, first 2 shown]
	s_waitcnt lgkmcnt(0)
	v_mul_f64 v[103:104], v[101:102], v[105:106]
	v_fma_f64 v[103:104], v[99:100], v[97:98], -v[103:104]
	v_mul_f64 v[99:100], v[99:100], v[105:106]
	v_fma_f64 v[99:100], v[101:102], v[97:98], v[99:100]
	s_waitcnt vmcnt(2)
	v_add_f64 v[69:70], v[69:70], -v[103:104]
	s_waitcnt vmcnt(0)
	v_add_f64 v[71:72], v[71:72], -v[99:100]
	buffer_store_dword v69, off, s[20:23], 0 ; 4-byte Folded Spill
	s_nop 0
	buffer_store_dword v70, off, s[20:23], 0 offset:4 ; 4-byte Folded Spill
	buffer_store_dword v71, off, s[20:23], 0 offset:8 ; 4-byte Folded Spill
	;; [unrolled: 1-line block ×3, first 2 shown]
	ds_read2_b64 v[99:102], v125 offset0:68 offset1:69
	s_waitcnt lgkmcnt(0)
	v_mul_f64 v[103:104], v[101:102], v[105:106]
	v_fma_f64 v[103:104], v[99:100], v[97:98], -v[103:104]
	v_mul_f64 v[99:100], v[99:100], v[105:106]
	v_add_f64 v[65:66], v[65:66], -v[103:104]
	v_fma_f64 v[99:100], v[101:102], v[97:98], v[99:100]
	v_add_f64 v[67:68], v[67:68], -v[99:100]
	ds_read2_b64 v[99:102], v125 offset0:70 offset1:71
	s_waitcnt lgkmcnt(0)
	v_mul_f64 v[103:104], v[101:102], v[105:106]
	v_fma_f64 v[103:104], v[99:100], v[97:98], -v[103:104]
	v_mul_f64 v[99:100], v[99:100], v[105:106]
	v_add_f64 v[61:62], v[61:62], -v[103:104]
	v_fma_f64 v[99:100], v[101:102], v[97:98], v[99:100]
	v_add_f64 v[63:64], v[63:64], -v[99:100]
	;; [unrolled: 8-line block ×17, first 2 shown]
	ds_read2_b64 v[99:102], v125 offset0:102 offset1:103
	s_waitcnt lgkmcnt(0)
	v_mul_f64 v[103:104], v[101:102], v[105:106]
	v_fma_f64 v[103:104], v[99:100], v[97:98], -v[103:104]
	v_mul_f64 v[99:100], v[99:100], v[105:106]
	v_add_f64 v[73:74], v[73:74], -v[103:104]
	v_fma_f64 v[99:100], v[101:102], v[97:98], v[99:100]
	v_mov_b32_e32 v104, v98
	v_mov_b32_e32 v103, v97
	buffer_store_dword v103, off, s[20:23], 0 offset:96 ; 4-byte Folded Spill
	s_nop 0
	buffer_store_dword v104, off, s[20:23], 0 offset:100 ; 4-byte Folded Spill
	buffer_store_dword v105, off, s[20:23], 0 offset:104 ; 4-byte Folded Spill
	;; [unrolled: 1-line block ×3, first 2 shown]
	v_add_f64 v[75:76], v[75:76], -v[99:100]
.LBB103_208:
	s_or_b64 exec, exec, s[2:3]
	v_cmp_eq_u32_e32 vcc, 23, v0
	s_waitcnt vmcnt(0)
	s_barrier
	s_and_saveexec_b64 s[4:5], vcc
	s_cbranch_execz .LBB103_215
; %bb.209:
	buffer_load_dword v69, off, s[20:23], 0 offset:80 ; 4-byte Folded Reload
	buffer_load_dword v70, off, s[20:23], 0 offset:84 ; 4-byte Folded Reload
	;; [unrolled: 1-line block ×4, first 2 shown]
	s_waitcnt vmcnt(0)
	ds_write2_b64 v127, v[69:70], v[71:72] offset1:1
	buffer_load_dword v69, off, s[20:23], 0 offset:64 ; 4-byte Folded Reload
	buffer_load_dword v70, off, s[20:23], 0 offset:68 ; 4-byte Folded Reload
	;; [unrolled: 1-line block ×4, first 2 shown]
	s_waitcnt vmcnt(0)
	ds_write2_b64 v125, v[69:70], v[71:72] offset0:48 offset1:49
	buffer_load_dword v69, off, s[20:23], 0 offset:48 ; 4-byte Folded Reload
	buffer_load_dword v70, off, s[20:23], 0 offset:52 ; 4-byte Folded Reload
	;; [unrolled: 1-line block ×4, first 2 shown]
	s_waitcnt vmcnt(0)
	ds_write2_b64 v125, v[69:70], v[71:72] offset0:50 offset1:51
	ds_write2_b64 v125, v[121:122], v[123:124] offset0:52 offset1:53
	;; [unrolled: 1-line block ×6, first 2 shown]
	buffer_load_dword v77, off, s[20:23], 0 offset:32 ; 4-byte Folded Reload
	buffer_load_dword v78, off, s[20:23], 0 offset:36 ; 4-byte Folded Reload
	;; [unrolled: 1-line block ×4, first 2 shown]
	v_mov_b32_e32 v69, v73
	v_mov_b32_e32 v70, v74
	;; [unrolled: 1-line block ×4, first 2 shown]
	s_waitcnt vmcnt(0)
	ds_write2_b64 v125, v[77:78], v[79:80] offset0:62 offset1:63
	buffer_load_dword v73, off, s[20:23], 0 offset:16 ; 4-byte Folded Reload
	buffer_load_dword v74, off, s[20:23], 0 offset:20 ; 4-byte Folded Reload
	buffer_load_dword v75, off, s[20:23], 0 offset:24 ; 4-byte Folded Reload
	buffer_load_dword v76, off, s[20:23], 0 offset:28 ; 4-byte Folded Reload
	s_waitcnt vmcnt(0)
	ds_write2_b64 v125, v[73:74], v[75:76] offset0:64 offset1:65
	v_mov_b32_e32 v76, v72
	v_mov_b32_e32 v75, v71
	;; [unrolled: 1-line block ×4, first 2 shown]
	buffer_load_dword v69, off, s[20:23], 0 ; 4-byte Folded Reload
	buffer_load_dword v70, off, s[20:23], 0 offset:4 ; 4-byte Folded Reload
	buffer_load_dword v71, off, s[20:23], 0 offset:8 ; 4-byte Folded Reload
	;; [unrolled: 1-line block ×3, first 2 shown]
	s_waitcnt vmcnt(0)
	ds_write2_b64 v125, v[69:70], v[71:72] offset0:66 offset1:67
	ds_write2_b64 v125, v[65:66], v[67:68] offset0:68 offset1:69
	;; [unrolled: 1-line block ×19, first 2 shown]
	ds_read2_b64 v[97:100], v127 offset1:1
	s_waitcnt lgkmcnt(0)
	v_cmp_neq_f64_e32 vcc, 0, v[97:98]
	v_cmp_neq_f64_e64 s[2:3], 0, v[99:100]
	s_or_b64 s[2:3], vcc, s[2:3]
	s_and_b64 exec, exec, s[2:3]
	s_cbranch_execz .LBB103_215
; %bb.210:
	v_cmp_ngt_f64_e64 s[2:3], |v[97:98]|, |v[99:100]|
                                        ; implicit-def: $vgpr101_vgpr102
	s_and_saveexec_b64 s[6:7], s[2:3]
	s_xor_b64 s[2:3], exec, s[6:7]
                                        ; implicit-def: $vgpr103_vgpr104
	s_cbranch_execz .LBB103_212
; %bb.211:
	v_div_scale_f64 v[101:102], s[6:7], v[99:100], v[99:100], v[97:98]
	v_rcp_f64_e32 v[103:104], v[101:102]
	v_fma_f64 v[105:106], -v[101:102], v[103:104], 1.0
	v_fma_f64 v[103:104], v[103:104], v[105:106], v[103:104]
	v_div_scale_f64 v[105:106], vcc, v[97:98], v[99:100], v[97:98]
	v_fma_f64 v[107:108], -v[101:102], v[103:104], 1.0
	v_fma_f64 v[103:104], v[103:104], v[107:108], v[103:104]
	v_mul_f64 v[107:108], v[105:106], v[103:104]
	v_fma_f64 v[101:102], -v[101:102], v[107:108], v[105:106]
	v_div_fmas_f64 v[101:102], v[101:102], v[103:104], v[107:108]
	v_div_fixup_f64 v[101:102], v[101:102], v[99:100], v[97:98]
	v_fma_f64 v[97:98], v[97:98], v[101:102], v[99:100]
	v_div_scale_f64 v[99:100], s[6:7], v[97:98], v[97:98], 1.0
	v_div_scale_f64 v[107:108], vcc, 1.0, v[97:98], 1.0
	v_rcp_f64_e32 v[103:104], v[99:100]
	v_fma_f64 v[105:106], -v[99:100], v[103:104], 1.0
	v_fma_f64 v[103:104], v[103:104], v[105:106], v[103:104]
	v_fma_f64 v[105:106], -v[99:100], v[103:104], 1.0
	v_fma_f64 v[103:104], v[103:104], v[105:106], v[103:104]
	v_mul_f64 v[105:106], v[107:108], v[103:104]
	v_fma_f64 v[99:100], -v[99:100], v[105:106], v[107:108]
	v_div_fmas_f64 v[99:100], v[99:100], v[103:104], v[105:106]
	v_div_fixup_f64 v[103:104], v[99:100], v[97:98], 1.0
                                        ; implicit-def: $vgpr97_vgpr98
	v_mul_f64 v[101:102], v[101:102], v[103:104]
	v_xor_b32_e32 v104, 0x80000000, v104
.LBB103_212:
	s_andn2_saveexec_b64 s[2:3], s[2:3]
	s_cbranch_execz .LBB103_214
; %bb.213:
	v_div_scale_f64 v[101:102], s[6:7], v[97:98], v[97:98], v[99:100]
	v_rcp_f64_e32 v[103:104], v[101:102]
	v_fma_f64 v[105:106], -v[101:102], v[103:104], 1.0
	v_fma_f64 v[103:104], v[103:104], v[105:106], v[103:104]
	v_div_scale_f64 v[105:106], vcc, v[99:100], v[97:98], v[99:100]
	v_fma_f64 v[107:108], -v[101:102], v[103:104], 1.0
	v_fma_f64 v[103:104], v[103:104], v[107:108], v[103:104]
	v_mul_f64 v[107:108], v[105:106], v[103:104]
	v_fma_f64 v[101:102], -v[101:102], v[107:108], v[105:106]
	v_div_fmas_f64 v[101:102], v[101:102], v[103:104], v[107:108]
	v_div_fixup_f64 v[103:104], v[101:102], v[97:98], v[99:100]
	v_fma_f64 v[97:98], v[99:100], v[103:104], v[97:98]
	v_div_scale_f64 v[99:100], s[6:7], v[97:98], v[97:98], 1.0
	v_div_scale_f64 v[107:108], vcc, 1.0, v[97:98], 1.0
	v_rcp_f64_e32 v[101:102], v[99:100]
	v_fma_f64 v[105:106], -v[99:100], v[101:102], 1.0
	v_fma_f64 v[101:102], v[101:102], v[105:106], v[101:102]
	v_fma_f64 v[105:106], -v[99:100], v[101:102], 1.0
	v_fma_f64 v[101:102], v[101:102], v[105:106], v[101:102]
	v_mul_f64 v[105:106], v[107:108], v[101:102]
	v_fma_f64 v[99:100], -v[99:100], v[105:106], v[107:108]
	v_div_fmas_f64 v[99:100], v[99:100], v[101:102], v[105:106]
	v_div_fixup_f64 v[101:102], v[99:100], v[97:98], 1.0
	v_mul_f64 v[103:104], v[103:104], -v[101:102]
.LBB103_214:
	s_or_b64 exec, exec, s[2:3]
	ds_write2_b64 v127, v[101:102], v[103:104] offset1:1
.LBB103_215:
	s_or_b64 exec, exec, s[4:5]
	s_waitcnt lgkmcnt(0)
	s_barrier
	ds_read2_b64 v[69:72], v127 offset1:1
	v_cmp_lt_u32_e32 vcc, 23, v0
	s_waitcnt lgkmcnt(0)
	buffer_store_dword v69, off, s[20:23], 0 offset:1240 ; 4-byte Folded Spill
	s_nop 0
	buffer_store_dword v70, off, s[20:23], 0 offset:1244 ; 4-byte Folded Spill
	buffer_store_dword v71, off, s[20:23], 0 offset:1248 ; 4-byte Folded Spill
	;; [unrolled: 1-line block ×3, first 2 shown]
	s_and_saveexec_b64 s[2:3], vcc
	s_cbranch_execz .LBB103_217
; %bb.216:
	buffer_load_dword v103, off, s[20:23], 0 offset:80 ; 4-byte Folded Reload
	buffer_load_dword v104, off, s[20:23], 0 offset:84 ; 4-byte Folded Reload
	;; [unrolled: 1-line block ×8, first 2 shown]
	s_waitcnt vmcnt(2)
	v_mul_f64 v[99:100], v[69:70], v[105:106]
	s_waitcnt vmcnt(0)
	v_mul_f64 v[97:98], v[71:72], v[105:106]
	v_fma_f64 v[105:106], v[71:72], v[103:104], v[99:100]
	ds_read2_b64 v[99:102], v125 offset0:48 offset1:49
	v_fma_f64 v[97:98], v[69:70], v[103:104], -v[97:98]
	buffer_load_dword v69, off, s[20:23], 0 offset:64 ; 4-byte Folded Reload
	buffer_load_dword v70, off, s[20:23], 0 offset:68 ; 4-byte Folded Reload
	;; [unrolled: 1-line block ×4, first 2 shown]
	s_waitcnt lgkmcnt(0)
	v_mul_f64 v[103:104], v[101:102], v[105:106]
	v_fma_f64 v[103:104], v[99:100], v[97:98], -v[103:104]
	v_mul_f64 v[99:100], v[99:100], v[105:106]
	v_fma_f64 v[99:100], v[101:102], v[97:98], v[99:100]
	s_waitcnt vmcnt(2)
	v_add_f64 v[69:70], v[69:70], -v[103:104]
	s_waitcnt vmcnt(0)
	v_add_f64 v[71:72], v[71:72], -v[99:100]
	buffer_store_dword v69, off, s[20:23], 0 offset:64 ; 4-byte Folded Spill
	s_nop 0
	buffer_store_dword v70, off, s[20:23], 0 offset:68 ; 4-byte Folded Spill
	buffer_store_dword v71, off, s[20:23], 0 offset:72 ; 4-byte Folded Spill
	;; [unrolled: 1-line block ×3, first 2 shown]
	ds_read2_b64 v[99:102], v125 offset0:50 offset1:51
	buffer_load_dword v69, off, s[20:23], 0 offset:48 ; 4-byte Folded Reload
	buffer_load_dword v70, off, s[20:23], 0 offset:52 ; 4-byte Folded Reload
	;; [unrolled: 1-line block ×4, first 2 shown]
	s_waitcnt lgkmcnt(0)
	v_mul_f64 v[103:104], v[101:102], v[105:106]
	v_fma_f64 v[103:104], v[99:100], v[97:98], -v[103:104]
	v_mul_f64 v[99:100], v[99:100], v[105:106]
	v_fma_f64 v[99:100], v[101:102], v[97:98], v[99:100]
	s_waitcnt vmcnt(2)
	v_add_f64 v[69:70], v[69:70], -v[103:104]
	s_waitcnt vmcnt(0)
	v_add_f64 v[71:72], v[71:72], -v[99:100]
	buffer_store_dword v69, off, s[20:23], 0 offset:48 ; 4-byte Folded Spill
	s_nop 0
	buffer_store_dword v70, off, s[20:23], 0 offset:52 ; 4-byte Folded Spill
	buffer_store_dword v71, off, s[20:23], 0 offset:56 ; 4-byte Folded Spill
	;; [unrolled: 1-line block ×3, first 2 shown]
	ds_read2_b64 v[99:102], v125 offset0:52 offset1:53
	v_mov_b32_e32 v69, v73
	v_mov_b32_e32 v70, v74
	;; [unrolled: 1-line block ×4, first 2 shown]
	s_waitcnt lgkmcnt(0)
	v_mul_f64 v[103:104], v[101:102], v[105:106]
	v_fma_f64 v[103:104], v[99:100], v[97:98], -v[103:104]
	v_mul_f64 v[99:100], v[99:100], v[105:106]
	v_add_f64 v[121:122], v[121:122], -v[103:104]
	v_fma_f64 v[99:100], v[101:102], v[97:98], v[99:100]
	v_add_f64 v[123:124], v[123:124], -v[99:100]
	ds_read2_b64 v[99:102], v125 offset0:54 offset1:55
	s_waitcnt lgkmcnt(0)
	v_mul_f64 v[103:104], v[101:102], v[105:106]
	v_fma_f64 v[103:104], v[99:100], v[97:98], -v[103:104]
	v_mul_f64 v[99:100], v[99:100], v[105:106]
	v_add_f64 v[117:118], v[117:118], -v[103:104]
	v_fma_f64 v[99:100], v[101:102], v[97:98], v[99:100]
	v_add_f64 v[119:120], v[119:120], -v[99:100]
	ds_read2_b64 v[99:102], v125 offset0:56 offset1:57
	;; [unrolled: 8-line block ×5, first 2 shown]
	buffer_load_dword v77, off, s[20:23], 0 offset:32 ; 4-byte Folded Reload
	buffer_load_dword v78, off, s[20:23], 0 offset:36 ; 4-byte Folded Reload
	;; [unrolled: 1-line block ×4, first 2 shown]
	s_waitcnt lgkmcnt(0)
	v_mul_f64 v[103:104], v[101:102], v[105:106]
	v_fma_f64 v[103:104], v[99:100], v[97:98], -v[103:104]
	v_mul_f64 v[99:100], v[99:100], v[105:106]
	v_fma_f64 v[99:100], v[101:102], v[97:98], v[99:100]
	s_waitcnt vmcnt(2)
	v_add_f64 v[77:78], v[77:78], -v[103:104]
	s_waitcnt vmcnt(0)
	v_add_f64 v[79:80], v[79:80], -v[99:100]
	buffer_store_dword v77, off, s[20:23], 0 offset:32 ; 4-byte Folded Spill
	s_nop 0
	buffer_store_dword v78, off, s[20:23], 0 offset:36 ; 4-byte Folded Spill
	buffer_store_dword v79, off, s[20:23], 0 offset:40 ; 4-byte Folded Spill
	;; [unrolled: 1-line block ×3, first 2 shown]
	ds_read2_b64 v[99:102], v125 offset0:64 offset1:65
	buffer_load_dword v73, off, s[20:23], 0 offset:16 ; 4-byte Folded Reload
	buffer_load_dword v74, off, s[20:23], 0 offset:20 ; 4-byte Folded Reload
	;; [unrolled: 1-line block ×4, first 2 shown]
	s_waitcnt lgkmcnt(0)
	v_mul_f64 v[103:104], v[101:102], v[105:106]
	v_fma_f64 v[103:104], v[99:100], v[97:98], -v[103:104]
	v_mul_f64 v[99:100], v[99:100], v[105:106]
	v_fma_f64 v[99:100], v[101:102], v[97:98], v[99:100]
	s_waitcnt vmcnt(2)
	v_add_f64 v[73:74], v[73:74], -v[103:104]
	s_waitcnt vmcnt(0)
	v_add_f64 v[75:76], v[75:76], -v[99:100]
	buffer_store_dword v73, off, s[20:23], 0 offset:16 ; 4-byte Folded Spill
	s_nop 0
	buffer_store_dword v74, off, s[20:23], 0 offset:20 ; 4-byte Folded Spill
	buffer_store_dword v75, off, s[20:23], 0 offset:24 ; 4-byte Folded Spill
	;; [unrolled: 1-line block ×3, first 2 shown]
	v_mov_b32_e32 v76, v72
	v_mov_b32_e32 v75, v71
	;; [unrolled: 1-line block ×4, first 2 shown]
	ds_read2_b64 v[99:102], v125 offset0:66 offset1:67
	buffer_load_dword v69, off, s[20:23], 0 ; 4-byte Folded Reload
	buffer_load_dword v70, off, s[20:23], 0 offset:4 ; 4-byte Folded Reload
	buffer_load_dword v71, off, s[20:23], 0 offset:8 ; 4-byte Folded Reload
	;; [unrolled: 1-line block ×3, first 2 shown]
	s_waitcnt lgkmcnt(0)
	v_mul_f64 v[103:104], v[101:102], v[105:106]
	v_fma_f64 v[103:104], v[99:100], v[97:98], -v[103:104]
	v_mul_f64 v[99:100], v[99:100], v[105:106]
	v_fma_f64 v[99:100], v[101:102], v[97:98], v[99:100]
	s_waitcnt vmcnt(2)
	v_add_f64 v[69:70], v[69:70], -v[103:104]
	s_waitcnt vmcnt(0)
	v_add_f64 v[71:72], v[71:72], -v[99:100]
	buffer_store_dword v69, off, s[20:23], 0 ; 4-byte Folded Spill
	s_nop 0
	buffer_store_dword v70, off, s[20:23], 0 offset:4 ; 4-byte Folded Spill
	buffer_store_dword v71, off, s[20:23], 0 offset:8 ; 4-byte Folded Spill
	buffer_store_dword v72, off, s[20:23], 0 offset:12 ; 4-byte Folded Spill
	ds_read2_b64 v[99:102], v125 offset0:68 offset1:69
	s_waitcnt lgkmcnt(0)
	v_mul_f64 v[103:104], v[101:102], v[105:106]
	v_fma_f64 v[103:104], v[99:100], v[97:98], -v[103:104]
	v_mul_f64 v[99:100], v[99:100], v[105:106]
	v_add_f64 v[65:66], v[65:66], -v[103:104]
	v_fma_f64 v[99:100], v[101:102], v[97:98], v[99:100]
	v_add_f64 v[67:68], v[67:68], -v[99:100]
	ds_read2_b64 v[99:102], v125 offset0:70 offset1:71
	s_waitcnt lgkmcnt(0)
	v_mul_f64 v[103:104], v[101:102], v[105:106]
	v_fma_f64 v[103:104], v[99:100], v[97:98], -v[103:104]
	v_mul_f64 v[99:100], v[99:100], v[105:106]
	v_add_f64 v[61:62], v[61:62], -v[103:104]
	v_fma_f64 v[99:100], v[101:102], v[97:98], v[99:100]
	v_add_f64 v[63:64], v[63:64], -v[99:100]
	;; [unrolled: 8-line block ×17, first 2 shown]
	ds_read2_b64 v[99:102], v125 offset0:102 offset1:103
	s_waitcnt lgkmcnt(0)
	v_mul_f64 v[103:104], v[101:102], v[105:106]
	v_fma_f64 v[103:104], v[99:100], v[97:98], -v[103:104]
	v_mul_f64 v[99:100], v[99:100], v[105:106]
	v_add_f64 v[73:74], v[73:74], -v[103:104]
	v_fma_f64 v[99:100], v[101:102], v[97:98], v[99:100]
	v_mov_b32_e32 v104, v98
	v_mov_b32_e32 v103, v97
	buffer_store_dword v103, off, s[20:23], 0 offset:80 ; 4-byte Folded Spill
	s_nop 0
	buffer_store_dword v104, off, s[20:23], 0 offset:84 ; 4-byte Folded Spill
	buffer_store_dword v105, off, s[20:23], 0 offset:88 ; 4-byte Folded Spill
	;; [unrolled: 1-line block ×3, first 2 shown]
	v_add_f64 v[75:76], v[75:76], -v[99:100]
.LBB103_217:
	s_or_b64 exec, exec, s[2:3]
	v_cmp_eq_u32_e32 vcc, 24, v0
	s_waitcnt vmcnt(0)
	s_barrier
	s_and_saveexec_b64 s[4:5], vcc
	s_cbranch_execz .LBB103_224
; %bb.218:
	buffer_load_dword v69, off, s[20:23], 0 offset:64 ; 4-byte Folded Reload
	buffer_load_dword v70, off, s[20:23], 0 offset:68 ; 4-byte Folded Reload
	;; [unrolled: 1-line block ×4, first 2 shown]
	s_waitcnt vmcnt(0)
	ds_write2_b64 v127, v[69:70], v[71:72] offset1:1
	buffer_load_dword v69, off, s[20:23], 0 offset:48 ; 4-byte Folded Reload
	buffer_load_dword v70, off, s[20:23], 0 offset:52 ; 4-byte Folded Reload
	;; [unrolled: 1-line block ×4, first 2 shown]
	s_waitcnt vmcnt(0)
	ds_write2_b64 v125, v[69:70], v[71:72] offset0:50 offset1:51
	ds_write2_b64 v125, v[121:122], v[123:124] offset0:52 offset1:53
	;; [unrolled: 1-line block ×6, first 2 shown]
	buffer_load_dword v77, off, s[20:23], 0 offset:32 ; 4-byte Folded Reload
	buffer_load_dword v78, off, s[20:23], 0 offset:36 ; 4-byte Folded Reload
	;; [unrolled: 1-line block ×4, first 2 shown]
	v_mov_b32_e32 v69, v73
	v_mov_b32_e32 v70, v74
	;; [unrolled: 1-line block ×4, first 2 shown]
	s_waitcnt vmcnt(0)
	ds_write2_b64 v125, v[77:78], v[79:80] offset0:62 offset1:63
	buffer_load_dword v73, off, s[20:23], 0 offset:16 ; 4-byte Folded Reload
	buffer_load_dword v74, off, s[20:23], 0 offset:20 ; 4-byte Folded Reload
	;; [unrolled: 1-line block ×4, first 2 shown]
	s_waitcnt vmcnt(0)
	ds_write2_b64 v125, v[73:74], v[75:76] offset0:64 offset1:65
	v_mov_b32_e32 v76, v72
	v_mov_b32_e32 v75, v71
	;; [unrolled: 1-line block ×4, first 2 shown]
	buffer_load_dword v69, off, s[20:23], 0 ; 4-byte Folded Reload
	buffer_load_dword v70, off, s[20:23], 0 offset:4 ; 4-byte Folded Reload
	buffer_load_dword v71, off, s[20:23], 0 offset:8 ; 4-byte Folded Reload
	;; [unrolled: 1-line block ×3, first 2 shown]
	s_waitcnt vmcnt(0)
	ds_write2_b64 v125, v[69:70], v[71:72] offset0:66 offset1:67
	ds_write2_b64 v125, v[65:66], v[67:68] offset0:68 offset1:69
	;; [unrolled: 1-line block ×19, first 2 shown]
	ds_read2_b64 v[97:100], v127 offset1:1
	s_waitcnt lgkmcnt(0)
	v_cmp_neq_f64_e32 vcc, 0, v[97:98]
	v_cmp_neq_f64_e64 s[2:3], 0, v[99:100]
	s_or_b64 s[2:3], vcc, s[2:3]
	s_and_b64 exec, exec, s[2:3]
	s_cbranch_execz .LBB103_224
; %bb.219:
	v_cmp_ngt_f64_e64 s[2:3], |v[97:98]|, |v[99:100]|
                                        ; implicit-def: $vgpr101_vgpr102
	s_and_saveexec_b64 s[6:7], s[2:3]
	s_xor_b64 s[2:3], exec, s[6:7]
                                        ; implicit-def: $vgpr103_vgpr104
	s_cbranch_execz .LBB103_221
; %bb.220:
	v_div_scale_f64 v[101:102], s[6:7], v[99:100], v[99:100], v[97:98]
	v_rcp_f64_e32 v[103:104], v[101:102]
	v_fma_f64 v[105:106], -v[101:102], v[103:104], 1.0
	v_fma_f64 v[103:104], v[103:104], v[105:106], v[103:104]
	v_div_scale_f64 v[105:106], vcc, v[97:98], v[99:100], v[97:98]
	v_fma_f64 v[107:108], -v[101:102], v[103:104], 1.0
	v_fma_f64 v[103:104], v[103:104], v[107:108], v[103:104]
	v_mul_f64 v[107:108], v[105:106], v[103:104]
	v_fma_f64 v[101:102], -v[101:102], v[107:108], v[105:106]
	v_div_fmas_f64 v[101:102], v[101:102], v[103:104], v[107:108]
	v_div_fixup_f64 v[101:102], v[101:102], v[99:100], v[97:98]
	v_fma_f64 v[97:98], v[97:98], v[101:102], v[99:100]
	v_div_scale_f64 v[99:100], s[6:7], v[97:98], v[97:98], 1.0
	v_div_scale_f64 v[107:108], vcc, 1.0, v[97:98], 1.0
	v_rcp_f64_e32 v[103:104], v[99:100]
	v_fma_f64 v[105:106], -v[99:100], v[103:104], 1.0
	v_fma_f64 v[103:104], v[103:104], v[105:106], v[103:104]
	v_fma_f64 v[105:106], -v[99:100], v[103:104], 1.0
	v_fma_f64 v[103:104], v[103:104], v[105:106], v[103:104]
	v_mul_f64 v[105:106], v[107:108], v[103:104]
	v_fma_f64 v[99:100], -v[99:100], v[105:106], v[107:108]
	v_div_fmas_f64 v[99:100], v[99:100], v[103:104], v[105:106]
	v_div_fixup_f64 v[103:104], v[99:100], v[97:98], 1.0
                                        ; implicit-def: $vgpr97_vgpr98
	v_mul_f64 v[101:102], v[101:102], v[103:104]
	v_xor_b32_e32 v104, 0x80000000, v104
.LBB103_221:
	s_andn2_saveexec_b64 s[2:3], s[2:3]
	s_cbranch_execz .LBB103_223
; %bb.222:
	v_div_scale_f64 v[101:102], s[6:7], v[97:98], v[97:98], v[99:100]
	v_rcp_f64_e32 v[103:104], v[101:102]
	v_fma_f64 v[105:106], -v[101:102], v[103:104], 1.0
	v_fma_f64 v[103:104], v[103:104], v[105:106], v[103:104]
	v_div_scale_f64 v[105:106], vcc, v[99:100], v[97:98], v[99:100]
	v_fma_f64 v[107:108], -v[101:102], v[103:104], 1.0
	v_fma_f64 v[103:104], v[103:104], v[107:108], v[103:104]
	v_mul_f64 v[107:108], v[105:106], v[103:104]
	v_fma_f64 v[101:102], -v[101:102], v[107:108], v[105:106]
	v_div_fmas_f64 v[101:102], v[101:102], v[103:104], v[107:108]
	v_div_fixup_f64 v[103:104], v[101:102], v[97:98], v[99:100]
	v_fma_f64 v[97:98], v[99:100], v[103:104], v[97:98]
	v_div_scale_f64 v[99:100], s[6:7], v[97:98], v[97:98], 1.0
	v_div_scale_f64 v[107:108], vcc, 1.0, v[97:98], 1.0
	v_rcp_f64_e32 v[101:102], v[99:100]
	v_fma_f64 v[105:106], -v[99:100], v[101:102], 1.0
	v_fma_f64 v[101:102], v[101:102], v[105:106], v[101:102]
	v_fma_f64 v[105:106], -v[99:100], v[101:102], 1.0
	v_fma_f64 v[101:102], v[101:102], v[105:106], v[101:102]
	v_mul_f64 v[105:106], v[107:108], v[101:102]
	v_fma_f64 v[99:100], -v[99:100], v[105:106], v[107:108]
	v_div_fmas_f64 v[99:100], v[99:100], v[101:102], v[105:106]
	v_div_fixup_f64 v[101:102], v[99:100], v[97:98], 1.0
	v_mul_f64 v[103:104], v[103:104], -v[101:102]
.LBB103_223:
	s_or_b64 exec, exec, s[2:3]
	ds_write2_b64 v127, v[101:102], v[103:104] offset1:1
.LBB103_224:
	s_or_b64 exec, exec, s[4:5]
	s_waitcnt lgkmcnt(0)
	s_barrier
	ds_read2_b64 v[69:72], v127 offset1:1
	v_cmp_lt_u32_e32 vcc, 24, v0
	s_waitcnt lgkmcnt(0)
	buffer_store_dword v69, off, s[20:23], 0 offset:1256 ; 4-byte Folded Spill
	s_nop 0
	buffer_store_dword v70, off, s[20:23], 0 offset:1260 ; 4-byte Folded Spill
	buffer_store_dword v71, off, s[20:23], 0 offset:1264 ; 4-byte Folded Spill
	;; [unrolled: 1-line block ×3, first 2 shown]
	s_and_saveexec_b64 s[2:3], vcc
	s_cbranch_execz .LBB103_226
; %bb.225:
	buffer_load_dword v103, off, s[20:23], 0 offset:64 ; 4-byte Folded Reload
	buffer_load_dword v104, off, s[20:23], 0 offset:68 ; 4-byte Folded Reload
	;; [unrolled: 1-line block ×8, first 2 shown]
	s_waitcnt vmcnt(2)
	v_mul_f64 v[99:100], v[69:70], v[105:106]
	s_waitcnt vmcnt(0)
	v_mul_f64 v[97:98], v[71:72], v[105:106]
	v_fma_f64 v[105:106], v[71:72], v[103:104], v[99:100]
	ds_read2_b64 v[99:102], v125 offset0:50 offset1:51
	v_fma_f64 v[97:98], v[69:70], v[103:104], -v[97:98]
	buffer_load_dword v69, off, s[20:23], 0 offset:48 ; 4-byte Folded Reload
	buffer_load_dword v70, off, s[20:23], 0 offset:52 ; 4-byte Folded Reload
	;; [unrolled: 1-line block ×4, first 2 shown]
	s_waitcnt lgkmcnt(0)
	v_mul_f64 v[103:104], v[101:102], v[105:106]
	v_fma_f64 v[103:104], v[99:100], v[97:98], -v[103:104]
	v_mul_f64 v[99:100], v[99:100], v[105:106]
	v_fma_f64 v[99:100], v[101:102], v[97:98], v[99:100]
	s_waitcnt vmcnt(2)
	v_add_f64 v[69:70], v[69:70], -v[103:104]
	s_waitcnt vmcnt(0)
	v_add_f64 v[71:72], v[71:72], -v[99:100]
	buffer_store_dword v69, off, s[20:23], 0 offset:48 ; 4-byte Folded Spill
	s_nop 0
	buffer_store_dword v70, off, s[20:23], 0 offset:52 ; 4-byte Folded Spill
	buffer_store_dword v71, off, s[20:23], 0 offset:56 ; 4-byte Folded Spill
	;; [unrolled: 1-line block ×3, first 2 shown]
	ds_read2_b64 v[99:102], v125 offset0:52 offset1:53
	v_mov_b32_e32 v69, v73
	v_mov_b32_e32 v70, v74
	;; [unrolled: 1-line block ×4, first 2 shown]
	s_waitcnt lgkmcnt(0)
	v_mul_f64 v[103:104], v[101:102], v[105:106]
	v_fma_f64 v[103:104], v[99:100], v[97:98], -v[103:104]
	v_mul_f64 v[99:100], v[99:100], v[105:106]
	v_add_f64 v[121:122], v[121:122], -v[103:104]
	v_fma_f64 v[99:100], v[101:102], v[97:98], v[99:100]
	v_add_f64 v[123:124], v[123:124], -v[99:100]
	ds_read2_b64 v[99:102], v125 offset0:54 offset1:55
	s_waitcnt lgkmcnt(0)
	v_mul_f64 v[103:104], v[101:102], v[105:106]
	v_fma_f64 v[103:104], v[99:100], v[97:98], -v[103:104]
	v_mul_f64 v[99:100], v[99:100], v[105:106]
	v_add_f64 v[117:118], v[117:118], -v[103:104]
	v_fma_f64 v[99:100], v[101:102], v[97:98], v[99:100]
	v_add_f64 v[119:120], v[119:120], -v[99:100]
	ds_read2_b64 v[99:102], v125 offset0:56 offset1:57
	;; [unrolled: 8-line block ×5, first 2 shown]
	buffer_load_dword v77, off, s[20:23], 0 offset:32 ; 4-byte Folded Reload
	buffer_load_dword v78, off, s[20:23], 0 offset:36 ; 4-byte Folded Reload
	;; [unrolled: 1-line block ×4, first 2 shown]
	s_waitcnt lgkmcnt(0)
	v_mul_f64 v[103:104], v[101:102], v[105:106]
	v_fma_f64 v[103:104], v[99:100], v[97:98], -v[103:104]
	v_mul_f64 v[99:100], v[99:100], v[105:106]
	v_fma_f64 v[99:100], v[101:102], v[97:98], v[99:100]
	s_waitcnt vmcnt(2)
	v_add_f64 v[77:78], v[77:78], -v[103:104]
	s_waitcnt vmcnt(0)
	v_add_f64 v[79:80], v[79:80], -v[99:100]
	buffer_store_dword v77, off, s[20:23], 0 offset:32 ; 4-byte Folded Spill
	s_nop 0
	buffer_store_dword v78, off, s[20:23], 0 offset:36 ; 4-byte Folded Spill
	buffer_store_dword v79, off, s[20:23], 0 offset:40 ; 4-byte Folded Spill
	;; [unrolled: 1-line block ×3, first 2 shown]
	ds_read2_b64 v[99:102], v125 offset0:64 offset1:65
	buffer_load_dword v73, off, s[20:23], 0 offset:16 ; 4-byte Folded Reload
	buffer_load_dword v74, off, s[20:23], 0 offset:20 ; 4-byte Folded Reload
	;; [unrolled: 1-line block ×4, first 2 shown]
	s_waitcnt lgkmcnt(0)
	v_mul_f64 v[103:104], v[101:102], v[105:106]
	v_fma_f64 v[103:104], v[99:100], v[97:98], -v[103:104]
	v_mul_f64 v[99:100], v[99:100], v[105:106]
	v_fma_f64 v[99:100], v[101:102], v[97:98], v[99:100]
	s_waitcnt vmcnt(2)
	v_add_f64 v[73:74], v[73:74], -v[103:104]
	s_waitcnt vmcnt(0)
	v_add_f64 v[75:76], v[75:76], -v[99:100]
	buffer_store_dword v73, off, s[20:23], 0 offset:16 ; 4-byte Folded Spill
	s_nop 0
	buffer_store_dword v74, off, s[20:23], 0 offset:20 ; 4-byte Folded Spill
	buffer_store_dword v75, off, s[20:23], 0 offset:24 ; 4-byte Folded Spill
	;; [unrolled: 1-line block ×3, first 2 shown]
	v_mov_b32_e32 v76, v72
	v_mov_b32_e32 v75, v71
	;; [unrolled: 1-line block ×4, first 2 shown]
	ds_read2_b64 v[99:102], v125 offset0:66 offset1:67
	buffer_load_dword v69, off, s[20:23], 0 ; 4-byte Folded Reload
	buffer_load_dword v70, off, s[20:23], 0 offset:4 ; 4-byte Folded Reload
	buffer_load_dword v71, off, s[20:23], 0 offset:8 ; 4-byte Folded Reload
	;; [unrolled: 1-line block ×3, first 2 shown]
	s_waitcnt lgkmcnt(0)
	v_mul_f64 v[103:104], v[101:102], v[105:106]
	v_fma_f64 v[103:104], v[99:100], v[97:98], -v[103:104]
	v_mul_f64 v[99:100], v[99:100], v[105:106]
	v_fma_f64 v[99:100], v[101:102], v[97:98], v[99:100]
	s_waitcnt vmcnt(2)
	v_add_f64 v[69:70], v[69:70], -v[103:104]
	s_waitcnt vmcnt(0)
	v_add_f64 v[71:72], v[71:72], -v[99:100]
	buffer_store_dword v69, off, s[20:23], 0 ; 4-byte Folded Spill
	s_nop 0
	buffer_store_dword v70, off, s[20:23], 0 offset:4 ; 4-byte Folded Spill
	buffer_store_dword v71, off, s[20:23], 0 offset:8 ; 4-byte Folded Spill
	;; [unrolled: 1-line block ×3, first 2 shown]
	ds_read2_b64 v[99:102], v125 offset0:68 offset1:69
	s_waitcnt lgkmcnt(0)
	v_mul_f64 v[103:104], v[101:102], v[105:106]
	v_fma_f64 v[103:104], v[99:100], v[97:98], -v[103:104]
	v_mul_f64 v[99:100], v[99:100], v[105:106]
	v_add_f64 v[65:66], v[65:66], -v[103:104]
	v_fma_f64 v[99:100], v[101:102], v[97:98], v[99:100]
	v_add_f64 v[67:68], v[67:68], -v[99:100]
	ds_read2_b64 v[99:102], v125 offset0:70 offset1:71
	s_waitcnt lgkmcnt(0)
	v_mul_f64 v[103:104], v[101:102], v[105:106]
	v_fma_f64 v[103:104], v[99:100], v[97:98], -v[103:104]
	v_mul_f64 v[99:100], v[99:100], v[105:106]
	v_add_f64 v[61:62], v[61:62], -v[103:104]
	v_fma_f64 v[99:100], v[101:102], v[97:98], v[99:100]
	v_add_f64 v[63:64], v[63:64], -v[99:100]
	ds_read2_b64 v[99:102], v125 offset0:72 offset1:73
	s_waitcnt lgkmcnt(0)
	v_mul_f64 v[103:104], v[101:102], v[105:106]
	v_fma_f64 v[103:104], v[99:100], v[97:98], -v[103:104]
	v_mul_f64 v[99:100], v[99:100], v[105:106]
	v_add_f64 v[57:58], v[57:58], -v[103:104]
	v_fma_f64 v[99:100], v[101:102], v[97:98], v[99:100]
	v_add_f64 v[59:60], v[59:60], -v[99:100]
	ds_read2_b64 v[99:102], v125 offset0:74 offset1:75
	s_waitcnt lgkmcnt(0)
	v_mul_f64 v[103:104], v[101:102], v[105:106]
	v_fma_f64 v[103:104], v[99:100], v[97:98], -v[103:104]
	v_mul_f64 v[99:100], v[99:100], v[105:106]
	v_add_f64 v[53:54], v[53:54], -v[103:104]
	v_fma_f64 v[99:100], v[101:102], v[97:98], v[99:100]
	v_add_f64 v[55:56], v[55:56], -v[99:100]
	ds_read2_b64 v[99:102], v125 offset0:76 offset1:77
	s_waitcnt lgkmcnt(0)
	v_mul_f64 v[103:104], v[101:102], v[105:106]
	v_fma_f64 v[103:104], v[99:100], v[97:98], -v[103:104]
	v_mul_f64 v[99:100], v[99:100], v[105:106]
	v_add_f64 v[49:50], v[49:50], -v[103:104]
	v_fma_f64 v[99:100], v[101:102], v[97:98], v[99:100]
	v_add_f64 v[51:52], v[51:52], -v[99:100]
	ds_read2_b64 v[99:102], v125 offset0:78 offset1:79
	s_waitcnt lgkmcnt(0)
	v_mul_f64 v[103:104], v[101:102], v[105:106]
	v_fma_f64 v[103:104], v[99:100], v[97:98], -v[103:104]
	v_mul_f64 v[99:100], v[99:100], v[105:106]
	v_add_f64 v[45:46], v[45:46], -v[103:104]
	v_fma_f64 v[99:100], v[101:102], v[97:98], v[99:100]
	v_add_f64 v[47:48], v[47:48], -v[99:100]
	ds_read2_b64 v[99:102], v125 offset0:80 offset1:81
	s_waitcnt lgkmcnt(0)
	v_mul_f64 v[103:104], v[101:102], v[105:106]
	v_fma_f64 v[103:104], v[99:100], v[97:98], -v[103:104]
	v_mul_f64 v[99:100], v[99:100], v[105:106]
	v_add_f64 v[41:42], v[41:42], -v[103:104]
	v_fma_f64 v[99:100], v[101:102], v[97:98], v[99:100]
	v_add_f64 v[43:44], v[43:44], -v[99:100]
	ds_read2_b64 v[99:102], v125 offset0:82 offset1:83
	s_waitcnt lgkmcnt(0)
	v_mul_f64 v[103:104], v[101:102], v[105:106]
	v_fma_f64 v[103:104], v[99:100], v[97:98], -v[103:104]
	v_mul_f64 v[99:100], v[99:100], v[105:106]
	v_add_f64 v[37:38], v[37:38], -v[103:104]
	v_fma_f64 v[99:100], v[101:102], v[97:98], v[99:100]
	v_add_f64 v[39:40], v[39:40], -v[99:100]
	ds_read2_b64 v[99:102], v125 offset0:84 offset1:85
	s_waitcnt lgkmcnt(0)
	v_mul_f64 v[103:104], v[101:102], v[105:106]
	v_fma_f64 v[103:104], v[99:100], v[97:98], -v[103:104]
	v_mul_f64 v[99:100], v[99:100], v[105:106]
	v_add_f64 v[33:34], v[33:34], -v[103:104]
	v_fma_f64 v[99:100], v[101:102], v[97:98], v[99:100]
	v_add_f64 v[35:36], v[35:36], -v[99:100]
	ds_read2_b64 v[99:102], v125 offset0:86 offset1:87
	s_waitcnt lgkmcnt(0)
	v_mul_f64 v[103:104], v[101:102], v[105:106]
	v_fma_f64 v[103:104], v[99:100], v[97:98], -v[103:104]
	v_mul_f64 v[99:100], v[99:100], v[105:106]
	v_add_f64 v[29:30], v[29:30], -v[103:104]
	v_fma_f64 v[99:100], v[101:102], v[97:98], v[99:100]
	v_add_f64 v[31:32], v[31:32], -v[99:100]
	ds_read2_b64 v[99:102], v125 offset0:88 offset1:89
	s_waitcnt lgkmcnt(0)
	v_mul_f64 v[103:104], v[101:102], v[105:106]
	v_fma_f64 v[103:104], v[99:100], v[97:98], -v[103:104]
	v_mul_f64 v[99:100], v[99:100], v[105:106]
	v_add_f64 v[25:26], v[25:26], -v[103:104]
	v_fma_f64 v[99:100], v[101:102], v[97:98], v[99:100]
	v_add_f64 v[27:28], v[27:28], -v[99:100]
	ds_read2_b64 v[99:102], v125 offset0:90 offset1:91
	s_waitcnt lgkmcnt(0)
	v_mul_f64 v[103:104], v[101:102], v[105:106]
	v_fma_f64 v[103:104], v[99:100], v[97:98], -v[103:104]
	v_mul_f64 v[99:100], v[99:100], v[105:106]
	v_add_f64 v[21:22], v[21:22], -v[103:104]
	v_fma_f64 v[99:100], v[101:102], v[97:98], v[99:100]
	v_add_f64 v[23:24], v[23:24], -v[99:100]
	ds_read2_b64 v[99:102], v125 offset0:92 offset1:93
	s_waitcnt lgkmcnt(0)
	v_mul_f64 v[103:104], v[101:102], v[105:106]
	v_fma_f64 v[103:104], v[99:100], v[97:98], -v[103:104]
	v_mul_f64 v[99:100], v[99:100], v[105:106]
	v_add_f64 v[17:18], v[17:18], -v[103:104]
	v_fma_f64 v[99:100], v[101:102], v[97:98], v[99:100]
	v_add_f64 v[19:20], v[19:20], -v[99:100]
	ds_read2_b64 v[99:102], v125 offset0:94 offset1:95
	s_waitcnt lgkmcnt(0)
	v_mul_f64 v[103:104], v[101:102], v[105:106]
	v_fma_f64 v[103:104], v[99:100], v[97:98], -v[103:104]
	v_mul_f64 v[99:100], v[99:100], v[105:106]
	v_add_f64 v[13:14], v[13:14], -v[103:104]
	v_fma_f64 v[99:100], v[101:102], v[97:98], v[99:100]
	v_add_f64 v[15:16], v[15:16], -v[99:100]
	ds_read2_b64 v[99:102], v125 offset0:96 offset1:97
	s_waitcnt lgkmcnt(0)
	v_mul_f64 v[103:104], v[101:102], v[105:106]
	v_fma_f64 v[103:104], v[99:100], v[97:98], -v[103:104]
	v_mul_f64 v[99:100], v[99:100], v[105:106]
	v_add_f64 v[9:10], v[9:10], -v[103:104]
	v_fma_f64 v[99:100], v[101:102], v[97:98], v[99:100]
	v_add_f64 v[11:12], v[11:12], -v[99:100]
	ds_read2_b64 v[99:102], v125 offset0:98 offset1:99
	s_waitcnt lgkmcnt(0)
	v_mul_f64 v[103:104], v[101:102], v[105:106]
	v_fma_f64 v[103:104], v[99:100], v[97:98], -v[103:104]
	v_mul_f64 v[99:100], v[99:100], v[105:106]
	v_add_f64 v[5:6], v[5:6], -v[103:104]
	v_fma_f64 v[99:100], v[101:102], v[97:98], v[99:100]
	v_add_f64 v[7:8], v[7:8], -v[99:100]
	ds_read2_b64 v[99:102], v125 offset0:100 offset1:101
	s_waitcnt lgkmcnt(0)
	v_mul_f64 v[103:104], v[101:102], v[105:106]
	v_fma_f64 v[103:104], v[99:100], v[97:98], -v[103:104]
	v_mul_f64 v[99:100], v[99:100], v[105:106]
	v_add_f64 v[1:2], v[1:2], -v[103:104]
	v_fma_f64 v[99:100], v[101:102], v[97:98], v[99:100]
	v_add_f64 v[3:4], v[3:4], -v[99:100]
	ds_read2_b64 v[99:102], v125 offset0:102 offset1:103
	s_waitcnt lgkmcnt(0)
	v_mul_f64 v[103:104], v[101:102], v[105:106]
	v_fma_f64 v[103:104], v[99:100], v[97:98], -v[103:104]
	v_mul_f64 v[99:100], v[99:100], v[105:106]
	v_add_f64 v[73:74], v[73:74], -v[103:104]
	v_fma_f64 v[99:100], v[101:102], v[97:98], v[99:100]
	v_mov_b32_e32 v104, v98
	v_mov_b32_e32 v103, v97
	buffer_store_dword v103, off, s[20:23], 0 offset:64 ; 4-byte Folded Spill
	s_nop 0
	buffer_store_dword v104, off, s[20:23], 0 offset:68 ; 4-byte Folded Spill
	buffer_store_dword v105, off, s[20:23], 0 offset:72 ; 4-byte Folded Spill
	;; [unrolled: 1-line block ×3, first 2 shown]
	v_add_f64 v[75:76], v[75:76], -v[99:100]
.LBB103_226:
	s_or_b64 exec, exec, s[2:3]
	v_cmp_eq_u32_e32 vcc, 25, v0
	s_waitcnt vmcnt(0)
	s_barrier
	s_and_saveexec_b64 s[4:5], vcc
	s_cbranch_execz .LBB103_233
; %bb.227:
	buffer_load_dword v69, off, s[20:23], 0 offset:48 ; 4-byte Folded Reload
	buffer_load_dword v70, off, s[20:23], 0 offset:52 ; 4-byte Folded Reload
	;; [unrolled: 1-line block ×4, first 2 shown]
	s_waitcnt vmcnt(0)
	ds_write2_b64 v127, v[69:70], v[71:72] offset1:1
	ds_write2_b64 v125, v[121:122], v[123:124] offset0:52 offset1:53
	ds_write2_b64 v125, v[117:118], v[119:120] offset0:54 offset1:55
	ds_write2_b64 v125, v[109:110], v[111:112] offset0:56 offset1:57
	ds_write2_b64 v125, v[113:114], v[115:116] offset0:58 offset1:59
	ds_write2_b64 v125, v[93:94], v[95:96] offset0:60 offset1:61
	buffer_load_dword v77, off, s[20:23], 0 offset:32 ; 4-byte Folded Reload
	buffer_load_dword v78, off, s[20:23], 0 offset:36 ; 4-byte Folded Reload
	;; [unrolled: 1-line block ×4, first 2 shown]
	v_mov_b32_e32 v69, v73
	v_mov_b32_e32 v70, v74
	;; [unrolled: 1-line block ×4, first 2 shown]
	s_waitcnt vmcnt(0)
	ds_write2_b64 v125, v[77:78], v[79:80] offset0:62 offset1:63
	buffer_load_dword v73, off, s[20:23], 0 offset:16 ; 4-byte Folded Reload
	buffer_load_dword v74, off, s[20:23], 0 offset:20 ; 4-byte Folded Reload
	;; [unrolled: 1-line block ×4, first 2 shown]
	s_waitcnt vmcnt(0)
	ds_write2_b64 v125, v[73:74], v[75:76] offset0:64 offset1:65
	v_mov_b32_e32 v76, v72
	v_mov_b32_e32 v75, v71
	;; [unrolled: 1-line block ×4, first 2 shown]
	buffer_load_dword v69, off, s[20:23], 0 ; 4-byte Folded Reload
	buffer_load_dword v70, off, s[20:23], 0 offset:4 ; 4-byte Folded Reload
	buffer_load_dword v71, off, s[20:23], 0 offset:8 ; 4-byte Folded Reload
	;; [unrolled: 1-line block ×3, first 2 shown]
	s_waitcnt vmcnt(0)
	ds_write2_b64 v125, v[69:70], v[71:72] offset0:66 offset1:67
	ds_write2_b64 v125, v[65:66], v[67:68] offset0:68 offset1:69
	;; [unrolled: 1-line block ×19, first 2 shown]
	ds_read2_b64 v[97:100], v127 offset1:1
	s_waitcnt lgkmcnt(0)
	v_cmp_neq_f64_e32 vcc, 0, v[97:98]
	v_cmp_neq_f64_e64 s[2:3], 0, v[99:100]
	s_or_b64 s[2:3], vcc, s[2:3]
	s_and_b64 exec, exec, s[2:3]
	s_cbranch_execz .LBB103_233
; %bb.228:
	v_cmp_ngt_f64_e64 s[2:3], |v[97:98]|, |v[99:100]|
                                        ; implicit-def: $vgpr101_vgpr102
	s_and_saveexec_b64 s[6:7], s[2:3]
	s_xor_b64 s[2:3], exec, s[6:7]
                                        ; implicit-def: $vgpr103_vgpr104
	s_cbranch_execz .LBB103_230
; %bb.229:
	v_div_scale_f64 v[101:102], s[6:7], v[99:100], v[99:100], v[97:98]
	v_rcp_f64_e32 v[103:104], v[101:102]
	v_fma_f64 v[105:106], -v[101:102], v[103:104], 1.0
	v_fma_f64 v[103:104], v[103:104], v[105:106], v[103:104]
	v_div_scale_f64 v[105:106], vcc, v[97:98], v[99:100], v[97:98]
	v_fma_f64 v[107:108], -v[101:102], v[103:104], 1.0
	v_fma_f64 v[103:104], v[103:104], v[107:108], v[103:104]
	v_mul_f64 v[107:108], v[105:106], v[103:104]
	v_fma_f64 v[101:102], -v[101:102], v[107:108], v[105:106]
	v_div_fmas_f64 v[101:102], v[101:102], v[103:104], v[107:108]
	v_div_fixup_f64 v[101:102], v[101:102], v[99:100], v[97:98]
	v_fma_f64 v[97:98], v[97:98], v[101:102], v[99:100]
	v_div_scale_f64 v[99:100], s[6:7], v[97:98], v[97:98], 1.0
	v_div_scale_f64 v[107:108], vcc, 1.0, v[97:98], 1.0
	v_rcp_f64_e32 v[103:104], v[99:100]
	v_fma_f64 v[105:106], -v[99:100], v[103:104], 1.0
	v_fma_f64 v[103:104], v[103:104], v[105:106], v[103:104]
	v_fma_f64 v[105:106], -v[99:100], v[103:104], 1.0
	v_fma_f64 v[103:104], v[103:104], v[105:106], v[103:104]
	v_mul_f64 v[105:106], v[107:108], v[103:104]
	v_fma_f64 v[99:100], -v[99:100], v[105:106], v[107:108]
	v_div_fmas_f64 v[99:100], v[99:100], v[103:104], v[105:106]
	v_div_fixup_f64 v[103:104], v[99:100], v[97:98], 1.0
                                        ; implicit-def: $vgpr97_vgpr98
	v_mul_f64 v[101:102], v[101:102], v[103:104]
	v_xor_b32_e32 v104, 0x80000000, v104
.LBB103_230:
	s_andn2_saveexec_b64 s[2:3], s[2:3]
	s_cbranch_execz .LBB103_232
; %bb.231:
	v_div_scale_f64 v[101:102], s[6:7], v[97:98], v[97:98], v[99:100]
	v_rcp_f64_e32 v[103:104], v[101:102]
	v_fma_f64 v[105:106], -v[101:102], v[103:104], 1.0
	v_fma_f64 v[103:104], v[103:104], v[105:106], v[103:104]
	v_div_scale_f64 v[105:106], vcc, v[99:100], v[97:98], v[99:100]
	v_fma_f64 v[107:108], -v[101:102], v[103:104], 1.0
	v_fma_f64 v[103:104], v[103:104], v[107:108], v[103:104]
	v_mul_f64 v[107:108], v[105:106], v[103:104]
	v_fma_f64 v[101:102], -v[101:102], v[107:108], v[105:106]
	v_div_fmas_f64 v[101:102], v[101:102], v[103:104], v[107:108]
	v_div_fixup_f64 v[103:104], v[101:102], v[97:98], v[99:100]
	v_fma_f64 v[97:98], v[99:100], v[103:104], v[97:98]
	v_div_scale_f64 v[99:100], s[6:7], v[97:98], v[97:98], 1.0
	v_div_scale_f64 v[107:108], vcc, 1.0, v[97:98], 1.0
	v_rcp_f64_e32 v[101:102], v[99:100]
	v_fma_f64 v[105:106], -v[99:100], v[101:102], 1.0
	v_fma_f64 v[101:102], v[101:102], v[105:106], v[101:102]
	v_fma_f64 v[105:106], -v[99:100], v[101:102], 1.0
	v_fma_f64 v[101:102], v[101:102], v[105:106], v[101:102]
	v_mul_f64 v[105:106], v[107:108], v[101:102]
	v_fma_f64 v[99:100], -v[99:100], v[105:106], v[107:108]
	v_div_fmas_f64 v[99:100], v[99:100], v[101:102], v[105:106]
	v_div_fixup_f64 v[101:102], v[99:100], v[97:98], 1.0
	v_mul_f64 v[103:104], v[103:104], -v[101:102]
.LBB103_232:
	s_or_b64 exec, exec, s[2:3]
	ds_write2_b64 v127, v[101:102], v[103:104] offset1:1
.LBB103_233:
	s_or_b64 exec, exec, s[4:5]
	s_waitcnt lgkmcnt(0)
	s_barrier
	ds_read2_b64 v[69:72], v127 offset1:1
	v_cmp_lt_u32_e32 vcc, 25, v0
	s_waitcnt lgkmcnt(0)
	buffer_store_dword v69, off, s[20:23], 0 offset:1272 ; 4-byte Folded Spill
	s_nop 0
	buffer_store_dword v70, off, s[20:23], 0 offset:1276 ; 4-byte Folded Spill
	buffer_store_dword v71, off, s[20:23], 0 offset:1280 ; 4-byte Folded Spill
	buffer_store_dword v72, off, s[20:23], 0 offset:1284 ; 4-byte Folded Spill
	s_and_saveexec_b64 s[2:3], vcc
	s_cbranch_execz .LBB103_235
; %bb.234:
	buffer_load_dword v103, off, s[20:23], 0 offset:48 ; 4-byte Folded Reload
	buffer_load_dword v104, off, s[20:23], 0 offset:52 ; 4-byte Folded Reload
	;; [unrolled: 1-line block ×8, first 2 shown]
	s_waitcnt vmcnt(2)
	v_mul_f64 v[99:100], v[69:70], v[105:106]
	s_waitcnt vmcnt(0)
	v_mul_f64 v[97:98], v[71:72], v[105:106]
	v_fma_f64 v[105:106], v[71:72], v[103:104], v[99:100]
	ds_read2_b64 v[99:102], v125 offset0:52 offset1:53
	v_fma_f64 v[97:98], v[69:70], v[103:104], -v[97:98]
	v_mov_b32_e32 v69, v73
	v_mov_b32_e32 v70, v74
	;; [unrolled: 1-line block ×4, first 2 shown]
	s_waitcnt lgkmcnt(0)
	v_mul_f64 v[103:104], v[101:102], v[105:106]
	v_fma_f64 v[103:104], v[99:100], v[97:98], -v[103:104]
	v_mul_f64 v[99:100], v[99:100], v[105:106]
	v_add_f64 v[121:122], v[121:122], -v[103:104]
	v_fma_f64 v[99:100], v[101:102], v[97:98], v[99:100]
	v_add_f64 v[123:124], v[123:124], -v[99:100]
	ds_read2_b64 v[99:102], v125 offset0:54 offset1:55
	s_waitcnt lgkmcnt(0)
	v_mul_f64 v[103:104], v[101:102], v[105:106]
	v_fma_f64 v[103:104], v[99:100], v[97:98], -v[103:104]
	v_mul_f64 v[99:100], v[99:100], v[105:106]
	v_add_f64 v[117:118], v[117:118], -v[103:104]
	v_fma_f64 v[99:100], v[101:102], v[97:98], v[99:100]
	v_add_f64 v[119:120], v[119:120], -v[99:100]
	ds_read2_b64 v[99:102], v125 offset0:56 offset1:57
	;; [unrolled: 8-line block ×5, first 2 shown]
	buffer_load_dword v77, off, s[20:23], 0 offset:32 ; 4-byte Folded Reload
	buffer_load_dword v78, off, s[20:23], 0 offset:36 ; 4-byte Folded Reload
	;; [unrolled: 1-line block ×4, first 2 shown]
	s_waitcnt lgkmcnt(0)
	v_mul_f64 v[103:104], v[101:102], v[105:106]
	v_fma_f64 v[103:104], v[99:100], v[97:98], -v[103:104]
	v_mul_f64 v[99:100], v[99:100], v[105:106]
	v_fma_f64 v[99:100], v[101:102], v[97:98], v[99:100]
	s_waitcnt vmcnt(2)
	v_add_f64 v[77:78], v[77:78], -v[103:104]
	s_waitcnt vmcnt(0)
	v_add_f64 v[79:80], v[79:80], -v[99:100]
	buffer_store_dword v77, off, s[20:23], 0 offset:32 ; 4-byte Folded Spill
	s_nop 0
	buffer_store_dword v78, off, s[20:23], 0 offset:36 ; 4-byte Folded Spill
	buffer_store_dword v79, off, s[20:23], 0 offset:40 ; 4-byte Folded Spill
	;; [unrolled: 1-line block ×3, first 2 shown]
	ds_read2_b64 v[99:102], v125 offset0:64 offset1:65
	buffer_load_dword v73, off, s[20:23], 0 offset:16 ; 4-byte Folded Reload
	buffer_load_dword v74, off, s[20:23], 0 offset:20 ; 4-byte Folded Reload
	;; [unrolled: 1-line block ×4, first 2 shown]
	s_waitcnt lgkmcnt(0)
	v_mul_f64 v[103:104], v[101:102], v[105:106]
	v_fma_f64 v[103:104], v[99:100], v[97:98], -v[103:104]
	v_mul_f64 v[99:100], v[99:100], v[105:106]
	v_fma_f64 v[99:100], v[101:102], v[97:98], v[99:100]
	s_waitcnt vmcnt(2)
	v_add_f64 v[73:74], v[73:74], -v[103:104]
	s_waitcnt vmcnt(0)
	v_add_f64 v[75:76], v[75:76], -v[99:100]
	buffer_store_dword v73, off, s[20:23], 0 offset:16 ; 4-byte Folded Spill
	s_nop 0
	buffer_store_dword v74, off, s[20:23], 0 offset:20 ; 4-byte Folded Spill
	buffer_store_dword v75, off, s[20:23], 0 offset:24 ; 4-byte Folded Spill
	;; [unrolled: 1-line block ×3, first 2 shown]
	v_mov_b32_e32 v76, v72
	v_mov_b32_e32 v75, v71
	;; [unrolled: 1-line block ×4, first 2 shown]
	ds_read2_b64 v[99:102], v125 offset0:66 offset1:67
	buffer_load_dword v69, off, s[20:23], 0 ; 4-byte Folded Reload
	buffer_load_dword v70, off, s[20:23], 0 offset:4 ; 4-byte Folded Reload
	buffer_load_dword v71, off, s[20:23], 0 offset:8 ; 4-byte Folded Reload
	;; [unrolled: 1-line block ×3, first 2 shown]
	s_waitcnt lgkmcnt(0)
	v_mul_f64 v[103:104], v[101:102], v[105:106]
	v_fma_f64 v[103:104], v[99:100], v[97:98], -v[103:104]
	v_mul_f64 v[99:100], v[99:100], v[105:106]
	v_fma_f64 v[99:100], v[101:102], v[97:98], v[99:100]
	s_waitcnt vmcnt(2)
	v_add_f64 v[69:70], v[69:70], -v[103:104]
	s_waitcnt vmcnt(0)
	v_add_f64 v[71:72], v[71:72], -v[99:100]
	buffer_store_dword v69, off, s[20:23], 0 ; 4-byte Folded Spill
	s_nop 0
	buffer_store_dword v70, off, s[20:23], 0 offset:4 ; 4-byte Folded Spill
	buffer_store_dword v71, off, s[20:23], 0 offset:8 ; 4-byte Folded Spill
	;; [unrolled: 1-line block ×3, first 2 shown]
	ds_read2_b64 v[99:102], v125 offset0:68 offset1:69
	s_waitcnt lgkmcnt(0)
	v_mul_f64 v[103:104], v[101:102], v[105:106]
	v_fma_f64 v[103:104], v[99:100], v[97:98], -v[103:104]
	v_mul_f64 v[99:100], v[99:100], v[105:106]
	v_add_f64 v[65:66], v[65:66], -v[103:104]
	v_fma_f64 v[99:100], v[101:102], v[97:98], v[99:100]
	v_add_f64 v[67:68], v[67:68], -v[99:100]
	ds_read2_b64 v[99:102], v125 offset0:70 offset1:71
	s_waitcnt lgkmcnt(0)
	v_mul_f64 v[103:104], v[101:102], v[105:106]
	v_fma_f64 v[103:104], v[99:100], v[97:98], -v[103:104]
	v_mul_f64 v[99:100], v[99:100], v[105:106]
	v_add_f64 v[61:62], v[61:62], -v[103:104]
	v_fma_f64 v[99:100], v[101:102], v[97:98], v[99:100]
	v_add_f64 v[63:64], v[63:64], -v[99:100]
	;; [unrolled: 8-line block ×17, first 2 shown]
	ds_read2_b64 v[99:102], v125 offset0:102 offset1:103
	s_waitcnt lgkmcnt(0)
	v_mul_f64 v[103:104], v[101:102], v[105:106]
	v_fma_f64 v[103:104], v[99:100], v[97:98], -v[103:104]
	v_mul_f64 v[99:100], v[99:100], v[105:106]
	v_add_f64 v[73:74], v[73:74], -v[103:104]
	v_fma_f64 v[99:100], v[101:102], v[97:98], v[99:100]
	v_mov_b32_e32 v104, v98
	v_mov_b32_e32 v103, v97
	buffer_store_dword v103, off, s[20:23], 0 offset:48 ; 4-byte Folded Spill
	s_nop 0
	buffer_store_dword v104, off, s[20:23], 0 offset:52 ; 4-byte Folded Spill
	buffer_store_dword v105, off, s[20:23], 0 offset:56 ; 4-byte Folded Spill
	;; [unrolled: 1-line block ×3, first 2 shown]
	v_add_f64 v[75:76], v[75:76], -v[99:100]
.LBB103_235:
	s_or_b64 exec, exec, s[2:3]
	v_cmp_eq_u32_e32 vcc, 26, v0
	s_waitcnt vmcnt(0)
	s_barrier
	s_and_saveexec_b64 s[4:5], vcc
	s_cbranch_execz .LBB103_242
; %bb.236:
	ds_write2_b64 v127, v[121:122], v[123:124] offset1:1
	ds_write2_b64 v125, v[117:118], v[119:120] offset0:54 offset1:55
	ds_write2_b64 v125, v[109:110], v[111:112] offset0:56 offset1:57
	;; [unrolled: 1-line block ×4, first 2 shown]
	buffer_load_dword v77, off, s[20:23], 0 offset:32 ; 4-byte Folded Reload
	buffer_load_dword v78, off, s[20:23], 0 offset:36 ; 4-byte Folded Reload
	buffer_load_dword v79, off, s[20:23], 0 offset:40 ; 4-byte Folded Reload
	buffer_load_dword v80, off, s[20:23], 0 offset:44 ; 4-byte Folded Reload
	v_mov_b32_e32 v69, v73
	v_mov_b32_e32 v70, v74
	;; [unrolled: 1-line block ×4, first 2 shown]
	s_waitcnt vmcnt(0)
	ds_write2_b64 v125, v[77:78], v[79:80] offset0:62 offset1:63
	buffer_load_dword v73, off, s[20:23], 0 offset:16 ; 4-byte Folded Reload
	buffer_load_dword v74, off, s[20:23], 0 offset:20 ; 4-byte Folded Reload
	;; [unrolled: 1-line block ×4, first 2 shown]
	s_waitcnt vmcnt(0)
	ds_write2_b64 v125, v[73:74], v[75:76] offset0:64 offset1:65
	v_mov_b32_e32 v76, v72
	v_mov_b32_e32 v75, v71
	;; [unrolled: 1-line block ×4, first 2 shown]
	buffer_load_dword v69, off, s[20:23], 0 ; 4-byte Folded Reload
	buffer_load_dword v70, off, s[20:23], 0 offset:4 ; 4-byte Folded Reload
	buffer_load_dword v71, off, s[20:23], 0 offset:8 ; 4-byte Folded Reload
	;; [unrolled: 1-line block ×3, first 2 shown]
	s_waitcnt vmcnt(0)
	ds_write2_b64 v125, v[69:70], v[71:72] offset0:66 offset1:67
	ds_write2_b64 v125, v[65:66], v[67:68] offset0:68 offset1:69
	;; [unrolled: 1-line block ×19, first 2 shown]
	ds_read2_b64 v[97:100], v127 offset1:1
	s_waitcnt lgkmcnt(0)
	v_cmp_neq_f64_e32 vcc, 0, v[97:98]
	v_cmp_neq_f64_e64 s[2:3], 0, v[99:100]
	s_or_b64 s[2:3], vcc, s[2:3]
	s_and_b64 exec, exec, s[2:3]
	s_cbranch_execz .LBB103_242
; %bb.237:
	v_cmp_ngt_f64_e64 s[2:3], |v[97:98]|, |v[99:100]|
                                        ; implicit-def: $vgpr101_vgpr102
	s_and_saveexec_b64 s[6:7], s[2:3]
	s_xor_b64 s[2:3], exec, s[6:7]
                                        ; implicit-def: $vgpr103_vgpr104
	s_cbranch_execz .LBB103_239
; %bb.238:
	v_div_scale_f64 v[101:102], s[6:7], v[99:100], v[99:100], v[97:98]
	v_rcp_f64_e32 v[103:104], v[101:102]
	v_fma_f64 v[105:106], -v[101:102], v[103:104], 1.0
	v_fma_f64 v[103:104], v[103:104], v[105:106], v[103:104]
	v_div_scale_f64 v[105:106], vcc, v[97:98], v[99:100], v[97:98]
	v_fma_f64 v[107:108], -v[101:102], v[103:104], 1.0
	v_fma_f64 v[103:104], v[103:104], v[107:108], v[103:104]
	v_mul_f64 v[107:108], v[105:106], v[103:104]
	v_fma_f64 v[101:102], -v[101:102], v[107:108], v[105:106]
	v_div_fmas_f64 v[101:102], v[101:102], v[103:104], v[107:108]
	v_div_fixup_f64 v[101:102], v[101:102], v[99:100], v[97:98]
	v_fma_f64 v[97:98], v[97:98], v[101:102], v[99:100]
	v_div_scale_f64 v[99:100], s[6:7], v[97:98], v[97:98], 1.0
	v_div_scale_f64 v[107:108], vcc, 1.0, v[97:98], 1.0
	v_rcp_f64_e32 v[103:104], v[99:100]
	v_fma_f64 v[105:106], -v[99:100], v[103:104], 1.0
	v_fma_f64 v[103:104], v[103:104], v[105:106], v[103:104]
	v_fma_f64 v[105:106], -v[99:100], v[103:104], 1.0
	v_fma_f64 v[103:104], v[103:104], v[105:106], v[103:104]
	v_mul_f64 v[105:106], v[107:108], v[103:104]
	v_fma_f64 v[99:100], -v[99:100], v[105:106], v[107:108]
	v_div_fmas_f64 v[99:100], v[99:100], v[103:104], v[105:106]
	v_div_fixup_f64 v[103:104], v[99:100], v[97:98], 1.0
                                        ; implicit-def: $vgpr97_vgpr98
	v_mul_f64 v[101:102], v[101:102], v[103:104]
	v_xor_b32_e32 v104, 0x80000000, v104
.LBB103_239:
	s_andn2_saveexec_b64 s[2:3], s[2:3]
	s_cbranch_execz .LBB103_241
; %bb.240:
	v_div_scale_f64 v[101:102], s[6:7], v[97:98], v[97:98], v[99:100]
	v_rcp_f64_e32 v[103:104], v[101:102]
	v_fma_f64 v[105:106], -v[101:102], v[103:104], 1.0
	v_fma_f64 v[103:104], v[103:104], v[105:106], v[103:104]
	v_div_scale_f64 v[105:106], vcc, v[99:100], v[97:98], v[99:100]
	v_fma_f64 v[107:108], -v[101:102], v[103:104], 1.0
	v_fma_f64 v[103:104], v[103:104], v[107:108], v[103:104]
	v_mul_f64 v[107:108], v[105:106], v[103:104]
	v_fma_f64 v[101:102], -v[101:102], v[107:108], v[105:106]
	v_div_fmas_f64 v[101:102], v[101:102], v[103:104], v[107:108]
	v_div_fixup_f64 v[103:104], v[101:102], v[97:98], v[99:100]
	v_fma_f64 v[97:98], v[99:100], v[103:104], v[97:98]
	v_div_scale_f64 v[99:100], s[6:7], v[97:98], v[97:98], 1.0
	v_div_scale_f64 v[107:108], vcc, 1.0, v[97:98], 1.0
	v_rcp_f64_e32 v[101:102], v[99:100]
	v_fma_f64 v[105:106], -v[99:100], v[101:102], 1.0
	v_fma_f64 v[101:102], v[101:102], v[105:106], v[101:102]
	v_fma_f64 v[105:106], -v[99:100], v[101:102], 1.0
	v_fma_f64 v[101:102], v[101:102], v[105:106], v[101:102]
	v_mul_f64 v[105:106], v[107:108], v[101:102]
	v_fma_f64 v[99:100], -v[99:100], v[105:106], v[107:108]
	v_div_fmas_f64 v[99:100], v[99:100], v[101:102], v[105:106]
	v_div_fixup_f64 v[101:102], v[99:100], v[97:98], 1.0
	v_mul_f64 v[103:104], v[103:104], -v[101:102]
.LBB103_241:
	s_or_b64 exec, exec, s[2:3]
	ds_write2_b64 v127, v[101:102], v[103:104] offset1:1
.LBB103_242:
	s_or_b64 exec, exec, s[4:5]
	s_waitcnt lgkmcnt(0)
	s_barrier
	ds_read2_b64 v[69:72], v127 offset1:1
	v_cmp_lt_u32_e32 vcc, 26, v0
	s_waitcnt lgkmcnt(0)
	buffer_store_dword v69, off, s[20:23], 0 offset:1288 ; 4-byte Folded Spill
	s_nop 0
	buffer_store_dword v70, off, s[20:23], 0 offset:1292 ; 4-byte Folded Spill
	buffer_store_dword v71, off, s[20:23], 0 offset:1296 ; 4-byte Folded Spill
	;; [unrolled: 1-line block ×3, first 2 shown]
	s_and_saveexec_b64 s[2:3], vcc
	s_cbranch_execz .LBB103_244
; %bb.243:
	buffer_load_dword v69, off, s[20:23], 0 offset:1288 ; 4-byte Folded Reload
	buffer_load_dword v70, off, s[20:23], 0 offset:1292 ; 4-byte Folded Reload
	;; [unrolled: 1-line block ×4, first 2 shown]
	s_waitcnt vmcnt(2)
	v_mul_f64 v[99:100], v[69:70], v[123:124]
	s_waitcnt vmcnt(0)
	v_mul_f64 v[97:98], v[71:72], v[123:124]
	v_fma_f64 v[123:124], v[71:72], v[121:122], v[99:100]
	ds_read2_b64 v[99:102], v125 offset0:54 offset1:55
	v_fma_f64 v[97:98], v[69:70], v[121:122], -v[97:98]
	v_mov_b32_e32 v69, v73
	v_mov_b32_e32 v70, v74
	;; [unrolled: 1-line block ×4, first 2 shown]
	s_waitcnt lgkmcnt(0)
	v_mul_f64 v[103:104], v[101:102], v[123:124]
	v_mov_b32_e32 v122, v98
	v_mov_b32_e32 v121, v97
	v_fma_f64 v[103:104], v[99:100], v[97:98], -v[103:104]
	v_mul_f64 v[99:100], v[99:100], v[123:124]
	v_add_f64 v[117:118], v[117:118], -v[103:104]
	v_fma_f64 v[99:100], v[101:102], v[97:98], v[99:100]
	v_add_f64 v[119:120], v[119:120], -v[99:100]
	ds_read2_b64 v[99:102], v125 offset0:56 offset1:57
	s_waitcnt lgkmcnt(0)
	v_mul_f64 v[103:104], v[101:102], v[123:124]
	v_fma_f64 v[103:104], v[99:100], v[97:98], -v[103:104]
	v_mul_f64 v[99:100], v[99:100], v[123:124]
	v_add_f64 v[109:110], v[109:110], -v[103:104]
	v_fma_f64 v[99:100], v[101:102], v[97:98], v[99:100]
	v_add_f64 v[111:112], v[111:112], -v[99:100]
	ds_read2_b64 v[99:102], v125 offset0:58 offset1:59
	s_waitcnt lgkmcnt(0)
	v_mul_f64 v[103:104], v[101:102], v[123:124]
	v_fma_f64 v[103:104], v[99:100], v[97:98], -v[103:104]
	v_mul_f64 v[99:100], v[99:100], v[123:124]
	v_add_f64 v[113:114], v[113:114], -v[103:104]
	v_fma_f64 v[99:100], v[101:102], v[97:98], v[99:100]
	v_add_f64 v[115:116], v[115:116], -v[99:100]
	ds_read2_b64 v[99:102], v125 offset0:60 offset1:61
	s_waitcnt lgkmcnt(0)
	v_mul_f64 v[103:104], v[101:102], v[123:124]
	v_fma_f64 v[103:104], v[99:100], v[97:98], -v[103:104]
	v_mul_f64 v[99:100], v[99:100], v[123:124]
	v_add_f64 v[93:94], v[93:94], -v[103:104]
	v_fma_f64 v[99:100], v[101:102], v[97:98], v[99:100]
	v_add_f64 v[95:96], v[95:96], -v[99:100]
	ds_read2_b64 v[99:102], v125 offset0:62 offset1:63
	buffer_load_dword v77, off, s[20:23], 0 offset:32 ; 4-byte Folded Reload
	buffer_load_dword v78, off, s[20:23], 0 offset:36 ; 4-byte Folded Reload
	;; [unrolled: 1-line block ×4, first 2 shown]
	s_waitcnt lgkmcnt(0)
	v_mul_f64 v[103:104], v[101:102], v[123:124]
	v_fma_f64 v[103:104], v[99:100], v[97:98], -v[103:104]
	v_mul_f64 v[99:100], v[99:100], v[123:124]
	v_fma_f64 v[99:100], v[101:102], v[97:98], v[99:100]
	s_waitcnt vmcnt(2)
	v_add_f64 v[77:78], v[77:78], -v[103:104]
	s_waitcnt vmcnt(0)
	v_add_f64 v[79:80], v[79:80], -v[99:100]
	buffer_store_dword v77, off, s[20:23], 0 offset:32 ; 4-byte Folded Spill
	s_nop 0
	buffer_store_dword v78, off, s[20:23], 0 offset:36 ; 4-byte Folded Spill
	buffer_store_dword v79, off, s[20:23], 0 offset:40 ; 4-byte Folded Spill
	;; [unrolled: 1-line block ×3, first 2 shown]
	ds_read2_b64 v[99:102], v125 offset0:64 offset1:65
	buffer_load_dword v73, off, s[20:23], 0 offset:16 ; 4-byte Folded Reload
	buffer_load_dword v74, off, s[20:23], 0 offset:20 ; 4-byte Folded Reload
	;; [unrolled: 1-line block ×4, first 2 shown]
	s_waitcnt lgkmcnt(0)
	v_mul_f64 v[103:104], v[101:102], v[123:124]
	v_fma_f64 v[103:104], v[99:100], v[97:98], -v[103:104]
	v_mul_f64 v[99:100], v[99:100], v[123:124]
	v_fma_f64 v[99:100], v[101:102], v[97:98], v[99:100]
	s_waitcnt vmcnt(2)
	v_add_f64 v[73:74], v[73:74], -v[103:104]
	s_waitcnt vmcnt(0)
	v_add_f64 v[75:76], v[75:76], -v[99:100]
	buffer_store_dword v73, off, s[20:23], 0 offset:16 ; 4-byte Folded Spill
	s_nop 0
	buffer_store_dword v74, off, s[20:23], 0 offset:20 ; 4-byte Folded Spill
	buffer_store_dword v75, off, s[20:23], 0 offset:24 ; 4-byte Folded Spill
	;; [unrolled: 1-line block ×3, first 2 shown]
	v_mov_b32_e32 v76, v72
	v_mov_b32_e32 v75, v71
	;; [unrolled: 1-line block ×4, first 2 shown]
	ds_read2_b64 v[99:102], v125 offset0:66 offset1:67
	buffer_load_dword v69, off, s[20:23], 0 ; 4-byte Folded Reload
	buffer_load_dword v70, off, s[20:23], 0 offset:4 ; 4-byte Folded Reload
	buffer_load_dword v71, off, s[20:23], 0 offset:8 ; 4-byte Folded Reload
	;; [unrolled: 1-line block ×3, first 2 shown]
	s_waitcnt lgkmcnt(0)
	v_mul_f64 v[103:104], v[101:102], v[123:124]
	v_fma_f64 v[103:104], v[99:100], v[97:98], -v[103:104]
	v_mul_f64 v[99:100], v[99:100], v[123:124]
	v_fma_f64 v[99:100], v[101:102], v[97:98], v[99:100]
	s_waitcnt vmcnt(2)
	v_add_f64 v[69:70], v[69:70], -v[103:104]
	s_waitcnt vmcnt(0)
	v_add_f64 v[71:72], v[71:72], -v[99:100]
	buffer_store_dword v69, off, s[20:23], 0 ; 4-byte Folded Spill
	s_nop 0
	buffer_store_dword v70, off, s[20:23], 0 offset:4 ; 4-byte Folded Spill
	buffer_store_dword v71, off, s[20:23], 0 offset:8 ; 4-byte Folded Spill
	;; [unrolled: 1-line block ×3, first 2 shown]
	ds_read2_b64 v[99:102], v125 offset0:68 offset1:69
	s_waitcnt lgkmcnt(0)
	v_mul_f64 v[103:104], v[101:102], v[123:124]
	v_fma_f64 v[103:104], v[99:100], v[97:98], -v[103:104]
	v_mul_f64 v[99:100], v[99:100], v[123:124]
	v_add_f64 v[65:66], v[65:66], -v[103:104]
	v_fma_f64 v[99:100], v[101:102], v[97:98], v[99:100]
	v_add_f64 v[67:68], v[67:68], -v[99:100]
	ds_read2_b64 v[99:102], v125 offset0:70 offset1:71
	s_waitcnt lgkmcnt(0)
	v_mul_f64 v[103:104], v[101:102], v[123:124]
	v_fma_f64 v[103:104], v[99:100], v[97:98], -v[103:104]
	v_mul_f64 v[99:100], v[99:100], v[123:124]
	v_add_f64 v[61:62], v[61:62], -v[103:104]
	v_fma_f64 v[99:100], v[101:102], v[97:98], v[99:100]
	v_add_f64 v[63:64], v[63:64], -v[99:100]
	;; [unrolled: 8-line block ×18, first 2 shown]
.LBB103_244:
	s_or_b64 exec, exec, s[2:3]
	v_cmp_eq_u32_e32 vcc, 27, v0
	s_waitcnt vmcnt(0)
	s_barrier
	s_and_saveexec_b64 s[4:5], vcc
	s_cbranch_execz .LBB103_251
; %bb.245:
	ds_write2_b64 v127, v[117:118], v[119:120] offset1:1
	ds_write2_b64 v125, v[109:110], v[111:112] offset0:56 offset1:57
	ds_write2_b64 v125, v[113:114], v[115:116] offset0:58 offset1:59
	;; [unrolled: 1-line block ×3, first 2 shown]
	buffer_load_dword v77, off, s[20:23], 0 offset:32 ; 4-byte Folded Reload
	buffer_load_dword v78, off, s[20:23], 0 offset:36 ; 4-byte Folded Reload
	buffer_load_dword v79, off, s[20:23], 0 offset:40 ; 4-byte Folded Reload
	buffer_load_dword v80, off, s[20:23], 0 offset:44 ; 4-byte Folded Reload
	v_mov_b32_e32 v69, v73
	v_mov_b32_e32 v70, v74
	;; [unrolled: 1-line block ×4, first 2 shown]
	s_waitcnt vmcnt(0)
	ds_write2_b64 v125, v[77:78], v[79:80] offset0:62 offset1:63
	buffer_load_dword v73, off, s[20:23], 0 offset:16 ; 4-byte Folded Reload
	buffer_load_dword v74, off, s[20:23], 0 offset:20 ; 4-byte Folded Reload
	;; [unrolled: 1-line block ×4, first 2 shown]
	s_waitcnt vmcnt(0)
	ds_write2_b64 v125, v[73:74], v[75:76] offset0:64 offset1:65
	v_mov_b32_e32 v76, v72
	v_mov_b32_e32 v75, v71
	;; [unrolled: 1-line block ×4, first 2 shown]
	buffer_load_dword v69, off, s[20:23], 0 ; 4-byte Folded Reload
	buffer_load_dword v70, off, s[20:23], 0 offset:4 ; 4-byte Folded Reload
	buffer_load_dword v71, off, s[20:23], 0 offset:8 ; 4-byte Folded Reload
	buffer_load_dword v72, off, s[20:23], 0 offset:12 ; 4-byte Folded Reload
	s_waitcnt vmcnt(0)
	ds_write2_b64 v125, v[69:70], v[71:72] offset0:66 offset1:67
	ds_write2_b64 v125, v[65:66], v[67:68] offset0:68 offset1:69
	;; [unrolled: 1-line block ×19, first 2 shown]
	ds_read2_b64 v[97:100], v127 offset1:1
	s_waitcnt lgkmcnt(0)
	v_cmp_neq_f64_e32 vcc, 0, v[97:98]
	v_cmp_neq_f64_e64 s[2:3], 0, v[99:100]
	s_or_b64 s[2:3], vcc, s[2:3]
	s_and_b64 exec, exec, s[2:3]
	s_cbranch_execz .LBB103_251
; %bb.246:
	v_cmp_ngt_f64_e64 s[2:3], |v[97:98]|, |v[99:100]|
                                        ; implicit-def: $vgpr101_vgpr102
	s_and_saveexec_b64 s[6:7], s[2:3]
	s_xor_b64 s[2:3], exec, s[6:7]
                                        ; implicit-def: $vgpr103_vgpr104
	s_cbranch_execz .LBB103_248
; %bb.247:
	v_div_scale_f64 v[101:102], s[6:7], v[99:100], v[99:100], v[97:98]
	v_rcp_f64_e32 v[103:104], v[101:102]
	v_fma_f64 v[105:106], -v[101:102], v[103:104], 1.0
	v_fma_f64 v[103:104], v[103:104], v[105:106], v[103:104]
	v_div_scale_f64 v[105:106], vcc, v[97:98], v[99:100], v[97:98]
	v_fma_f64 v[107:108], -v[101:102], v[103:104], 1.0
	v_fma_f64 v[103:104], v[103:104], v[107:108], v[103:104]
	v_mul_f64 v[107:108], v[105:106], v[103:104]
	v_fma_f64 v[101:102], -v[101:102], v[107:108], v[105:106]
	v_div_fmas_f64 v[101:102], v[101:102], v[103:104], v[107:108]
	v_div_fixup_f64 v[101:102], v[101:102], v[99:100], v[97:98]
	v_fma_f64 v[97:98], v[97:98], v[101:102], v[99:100]
	v_div_scale_f64 v[99:100], s[6:7], v[97:98], v[97:98], 1.0
	v_div_scale_f64 v[107:108], vcc, 1.0, v[97:98], 1.0
	v_rcp_f64_e32 v[103:104], v[99:100]
	v_fma_f64 v[105:106], -v[99:100], v[103:104], 1.0
	v_fma_f64 v[103:104], v[103:104], v[105:106], v[103:104]
	v_fma_f64 v[105:106], -v[99:100], v[103:104], 1.0
	v_fma_f64 v[103:104], v[103:104], v[105:106], v[103:104]
	v_mul_f64 v[105:106], v[107:108], v[103:104]
	v_fma_f64 v[99:100], -v[99:100], v[105:106], v[107:108]
	v_div_fmas_f64 v[99:100], v[99:100], v[103:104], v[105:106]
	v_div_fixup_f64 v[103:104], v[99:100], v[97:98], 1.0
                                        ; implicit-def: $vgpr97_vgpr98
	v_mul_f64 v[101:102], v[101:102], v[103:104]
	v_xor_b32_e32 v104, 0x80000000, v104
.LBB103_248:
	s_andn2_saveexec_b64 s[2:3], s[2:3]
	s_cbranch_execz .LBB103_250
; %bb.249:
	v_div_scale_f64 v[101:102], s[6:7], v[97:98], v[97:98], v[99:100]
	v_rcp_f64_e32 v[103:104], v[101:102]
	v_fma_f64 v[105:106], -v[101:102], v[103:104], 1.0
	v_fma_f64 v[103:104], v[103:104], v[105:106], v[103:104]
	v_div_scale_f64 v[105:106], vcc, v[99:100], v[97:98], v[99:100]
	v_fma_f64 v[107:108], -v[101:102], v[103:104], 1.0
	v_fma_f64 v[103:104], v[103:104], v[107:108], v[103:104]
	v_mul_f64 v[107:108], v[105:106], v[103:104]
	v_fma_f64 v[101:102], -v[101:102], v[107:108], v[105:106]
	v_div_fmas_f64 v[101:102], v[101:102], v[103:104], v[107:108]
	v_div_fixup_f64 v[103:104], v[101:102], v[97:98], v[99:100]
	v_fma_f64 v[97:98], v[99:100], v[103:104], v[97:98]
	v_div_scale_f64 v[99:100], s[6:7], v[97:98], v[97:98], 1.0
	v_div_scale_f64 v[107:108], vcc, 1.0, v[97:98], 1.0
	v_rcp_f64_e32 v[101:102], v[99:100]
	v_fma_f64 v[105:106], -v[99:100], v[101:102], 1.0
	v_fma_f64 v[101:102], v[101:102], v[105:106], v[101:102]
	v_fma_f64 v[105:106], -v[99:100], v[101:102], 1.0
	v_fma_f64 v[101:102], v[101:102], v[105:106], v[101:102]
	v_mul_f64 v[105:106], v[107:108], v[101:102]
	v_fma_f64 v[99:100], -v[99:100], v[105:106], v[107:108]
	v_div_fmas_f64 v[99:100], v[99:100], v[101:102], v[105:106]
	v_div_fixup_f64 v[101:102], v[99:100], v[97:98], 1.0
	v_mul_f64 v[103:104], v[103:104], -v[101:102]
.LBB103_250:
	s_or_b64 exec, exec, s[2:3]
	ds_write2_b64 v127, v[101:102], v[103:104] offset1:1
.LBB103_251:
	s_or_b64 exec, exec, s[4:5]
	s_waitcnt lgkmcnt(0)
	s_barrier
	ds_read2_b64 v[69:72], v127 offset1:1
	v_cmp_lt_u32_e32 vcc, 27, v0
	s_waitcnt lgkmcnt(0)
	buffer_store_dword v69, off, s[20:23], 0 offset:1304 ; 4-byte Folded Spill
	s_nop 0
	buffer_store_dword v70, off, s[20:23], 0 offset:1308 ; 4-byte Folded Spill
	buffer_store_dword v71, off, s[20:23], 0 offset:1312 ; 4-byte Folded Spill
	;; [unrolled: 1-line block ×3, first 2 shown]
	s_and_saveexec_b64 s[2:3], vcc
	s_cbranch_execz .LBB103_253
; %bb.252:
	buffer_load_dword v69, off, s[20:23], 0 offset:1304 ; 4-byte Folded Reload
	buffer_load_dword v70, off, s[20:23], 0 offset:1308 ; 4-byte Folded Reload
	;; [unrolled: 1-line block ×4, first 2 shown]
	v_mov_b32_e32 v106, v96
	v_mov_b32_e32 v105, v95
	;; [unrolled: 1-line block ×4, first 2 shown]
	ds_read2_b64 v[99:102], v125 offset0:56 offset1:57
	s_waitcnt vmcnt(2)
	v_mul_f64 v[95:96], v[69:70], v[119:120]
	s_waitcnt vmcnt(0)
	v_mul_f64 v[97:98], v[71:72], v[119:120]
	v_fma_f64 v[119:120], v[71:72], v[117:118], v[95:96]
	v_fma_f64 v[97:98], v[69:70], v[117:118], -v[97:98]
	v_mov_b32_e32 v69, v73
	v_mov_b32_e32 v70, v74
	;; [unrolled: 1-line block ×4, first 2 shown]
	s_waitcnt lgkmcnt(0)
	v_mul_f64 v[93:94], v[101:102], v[119:120]
	v_mov_b32_e32 v118, v98
	v_mov_b32_e32 v117, v97
	v_fma_f64 v[93:94], v[99:100], v[97:98], -v[93:94]
	v_mul_f64 v[99:100], v[99:100], v[119:120]
	v_add_f64 v[109:110], v[109:110], -v[93:94]
	v_fma_f64 v[99:100], v[101:102], v[97:98], v[99:100]
	v_add_f64 v[111:112], v[111:112], -v[99:100]
	ds_read2_b64 v[99:102], v125 offset0:58 offset1:59
	s_waitcnt lgkmcnt(0)
	v_mul_f64 v[93:94], v[101:102], v[119:120]
	v_fma_f64 v[93:94], v[99:100], v[97:98], -v[93:94]
	v_mul_f64 v[99:100], v[99:100], v[119:120]
	v_add_f64 v[113:114], v[113:114], -v[93:94]
	v_fma_f64 v[99:100], v[101:102], v[97:98], v[99:100]
	v_add_f64 v[115:116], v[115:116], -v[99:100]
	ds_read2_b64 v[99:102], v125 offset0:60 offset1:61
	s_waitcnt lgkmcnt(0)
	v_mul_f64 v[93:94], v[101:102], v[119:120]
	v_fma_f64 v[93:94], v[99:100], v[97:98], -v[93:94]
	v_mul_f64 v[99:100], v[99:100], v[119:120]
	v_add_f64 v[103:104], v[103:104], -v[93:94]
	v_fma_f64 v[99:100], v[101:102], v[97:98], v[99:100]
	v_add_f64 v[105:106], v[105:106], -v[99:100]
	ds_read2_b64 v[99:102], v125 offset0:62 offset1:63
	buffer_load_dword v77, off, s[20:23], 0 offset:32 ; 4-byte Folded Reload
	buffer_load_dword v78, off, s[20:23], 0 offset:36 ; 4-byte Folded Reload
	;; [unrolled: 1-line block ×4, first 2 shown]
	s_waitcnt lgkmcnt(0)
	v_mul_f64 v[93:94], v[101:102], v[119:120]
	v_fma_f64 v[93:94], v[99:100], v[97:98], -v[93:94]
	v_mul_f64 v[99:100], v[99:100], v[119:120]
	v_fma_f64 v[99:100], v[101:102], v[97:98], v[99:100]
	s_waitcnt vmcnt(2)
	v_add_f64 v[77:78], v[77:78], -v[93:94]
	s_waitcnt vmcnt(0)
	v_add_f64 v[79:80], v[79:80], -v[99:100]
	buffer_store_dword v77, off, s[20:23], 0 offset:32 ; 4-byte Folded Spill
	s_nop 0
	buffer_store_dword v78, off, s[20:23], 0 offset:36 ; 4-byte Folded Spill
	buffer_store_dword v79, off, s[20:23], 0 offset:40 ; 4-byte Folded Spill
	;; [unrolled: 1-line block ×3, first 2 shown]
	ds_read2_b64 v[99:102], v125 offset0:64 offset1:65
	buffer_load_dword v73, off, s[20:23], 0 offset:16 ; 4-byte Folded Reload
	buffer_load_dword v74, off, s[20:23], 0 offset:20 ; 4-byte Folded Reload
	;; [unrolled: 1-line block ×4, first 2 shown]
	s_waitcnt lgkmcnt(0)
	v_mul_f64 v[93:94], v[101:102], v[119:120]
	v_fma_f64 v[93:94], v[99:100], v[97:98], -v[93:94]
	v_mul_f64 v[99:100], v[99:100], v[119:120]
	v_fma_f64 v[99:100], v[101:102], v[97:98], v[99:100]
	s_waitcnt vmcnt(2)
	v_add_f64 v[73:74], v[73:74], -v[93:94]
	s_waitcnt vmcnt(0)
	v_add_f64 v[75:76], v[75:76], -v[99:100]
	buffer_store_dword v73, off, s[20:23], 0 offset:16 ; 4-byte Folded Spill
	s_nop 0
	buffer_store_dword v74, off, s[20:23], 0 offset:20 ; 4-byte Folded Spill
	buffer_store_dword v75, off, s[20:23], 0 offset:24 ; 4-byte Folded Spill
	;; [unrolled: 1-line block ×3, first 2 shown]
	v_mov_b32_e32 v76, v72
	v_mov_b32_e32 v75, v71
	;; [unrolled: 1-line block ×4, first 2 shown]
	ds_read2_b64 v[99:102], v125 offset0:66 offset1:67
	buffer_load_dword v69, off, s[20:23], 0 ; 4-byte Folded Reload
	buffer_load_dword v70, off, s[20:23], 0 offset:4 ; 4-byte Folded Reload
	buffer_load_dword v71, off, s[20:23], 0 offset:8 ; 4-byte Folded Reload
	;; [unrolled: 1-line block ×3, first 2 shown]
	s_waitcnt lgkmcnt(0)
	v_mul_f64 v[93:94], v[101:102], v[119:120]
	v_fma_f64 v[93:94], v[99:100], v[97:98], -v[93:94]
	v_mul_f64 v[99:100], v[99:100], v[119:120]
	v_fma_f64 v[99:100], v[101:102], v[97:98], v[99:100]
	s_waitcnt vmcnt(2)
	v_add_f64 v[69:70], v[69:70], -v[93:94]
	s_waitcnt vmcnt(0)
	v_add_f64 v[71:72], v[71:72], -v[99:100]
	buffer_store_dword v69, off, s[20:23], 0 ; 4-byte Folded Spill
	s_nop 0
	buffer_store_dword v70, off, s[20:23], 0 offset:4 ; 4-byte Folded Spill
	buffer_store_dword v71, off, s[20:23], 0 offset:8 ; 4-byte Folded Spill
	;; [unrolled: 1-line block ×3, first 2 shown]
	ds_read2_b64 v[99:102], v125 offset0:68 offset1:69
	s_waitcnt lgkmcnt(0)
	v_mul_f64 v[93:94], v[101:102], v[119:120]
	v_fma_f64 v[93:94], v[99:100], v[97:98], -v[93:94]
	v_mul_f64 v[99:100], v[99:100], v[119:120]
	v_add_f64 v[65:66], v[65:66], -v[93:94]
	v_fma_f64 v[99:100], v[101:102], v[97:98], v[99:100]
	v_add_f64 v[67:68], v[67:68], -v[99:100]
	ds_read2_b64 v[99:102], v125 offset0:70 offset1:71
	s_waitcnt lgkmcnt(0)
	v_mul_f64 v[93:94], v[101:102], v[119:120]
	v_fma_f64 v[93:94], v[99:100], v[97:98], -v[93:94]
	v_mul_f64 v[99:100], v[99:100], v[119:120]
	v_add_f64 v[61:62], v[61:62], -v[93:94]
	v_fma_f64 v[99:100], v[101:102], v[97:98], v[99:100]
	v_add_f64 v[63:64], v[63:64], -v[99:100]
	;; [unrolled: 8-line block ×17, first 2 shown]
	ds_read2_b64 v[99:102], v125 offset0:102 offset1:103
	s_waitcnt lgkmcnt(0)
	v_mul_f64 v[93:94], v[101:102], v[119:120]
	v_fma_f64 v[93:94], v[99:100], v[97:98], -v[93:94]
	v_mul_f64 v[99:100], v[99:100], v[119:120]
	v_add_f64 v[73:74], v[73:74], -v[93:94]
	v_fma_f64 v[99:100], v[101:102], v[97:98], v[99:100]
	v_mov_b32_e32 v93, v103
	v_mov_b32_e32 v94, v104
	;; [unrolled: 1-line block ×4, first 2 shown]
	v_add_f64 v[75:76], v[75:76], -v[99:100]
.LBB103_253:
	s_or_b64 exec, exec, s[2:3]
	v_cmp_eq_u32_e32 vcc, 28, v0
	s_waitcnt vmcnt(0)
	s_barrier
	s_and_saveexec_b64 s[4:5], vcc
	s_cbranch_execz .LBB103_260
; %bb.254:
	ds_write2_b64 v127, v[109:110], v[111:112] offset1:1
	ds_write2_b64 v125, v[113:114], v[115:116] offset0:58 offset1:59
	ds_write2_b64 v125, v[93:94], v[95:96] offset0:60 offset1:61
	buffer_load_dword v77, off, s[20:23], 0 offset:32 ; 4-byte Folded Reload
	buffer_load_dword v78, off, s[20:23], 0 offset:36 ; 4-byte Folded Reload
	;; [unrolled: 1-line block ×4, first 2 shown]
	v_mov_b32_e32 v69, v73
	v_mov_b32_e32 v70, v74
	;; [unrolled: 1-line block ×4, first 2 shown]
	s_waitcnt vmcnt(0)
	ds_write2_b64 v125, v[77:78], v[79:80] offset0:62 offset1:63
	buffer_load_dword v73, off, s[20:23], 0 offset:16 ; 4-byte Folded Reload
	buffer_load_dword v74, off, s[20:23], 0 offset:20 ; 4-byte Folded Reload
	;; [unrolled: 1-line block ×4, first 2 shown]
	s_waitcnt vmcnt(0)
	ds_write2_b64 v125, v[73:74], v[75:76] offset0:64 offset1:65
	v_mov_b32_e32 v76, v72
	v_mov_b32_e32 v75, v71
	;; [unrolled: 1-line block ×4, first 2 shown]
	buffer_load_dword v69, off, s[20:23], 0 ; 4-byte Folded Reload
	buffer_load_dword v70, off, s[20:23], 0 offset:4 ; 4-byte Folded Reload
	buffer_load_dword v71, off, s[20:23], 0 offset:8 ; 4-byte Folded Reload
	buffer_load_dword v72, off, s[20:23], 0 offset:12 ; 4-byte Folded Reload
	s_waitcnt vmcnt(0)
	ds_write2_b64 v125, v[69:70], v[71:72] offset0:66 offset1:67
	ds_write2_b64 v125, v[65:66], v[67:68] offset0:68 offset1:69
	;; [unrolled: 1-line block ×19, first 2 shown]
	ds_read2_b64 v[97:100], v127 offset1:1
	s_waitcnt lgkmcnt(0)
	v_cmp_neq_f64_e32 vcc, 0, v[97:98]
	v_cmp_neq_f64_e64 s[2:3], 0, v[99:100]
	s_or_b64 s[2:3], vcc, s[2:3]
	s_and_b64 exec, exec, s[2:3]
	s_cbranch_execz .LBB103_260
; %bb.255:
	v_cmp_ngt_f64_e64 s[2:3], |v[97:98]|, |v[99:100]|
                                        ; implicit-def: $vgpr101_vgpr102
	s_and_saveexec_b64 s[6:7], s[2:3]
	s_xor_b64 s[2:3], exec, s[6:7]
                                        ; implicit-def: $vgpr103_vgpr104
	s_cbranch_execz .LBB103_257
; %bb.256:
	v_div_scale_f64 v[101:102], s[6:7], v[99:100], v[99:100], v[97:98]
	v_rcp_f64_e32 v[103:104], v[101:102]
	v_fma_f64 v[105:106], -v[101:102], v[103:104], 1.0
	v_fma_f64 v[103:104], v[103:104], v[105:106], v[103:104]
	v_div_scale_f64 v[105:106], vcc, v[97:98], v[99:100], v[97:98]
	v_fma_f64 v[107:108], -v[101:102], v[103:104], 1.0
	v_fma_f64 v[103:104], v[103:104], v[107:108], v[103:104]
	v_mul_f64 v[107:108], v[105:106], v[103:104]
	v_fma_f64 v[101:102], -v[101:102], v[107:108], v[105:106]
	v_div_fmas_f64 v[101:102], v[101:102], v[103:104], v[107:108]
	v_div_fixup_f64 v[101:102], v[101:102], v[99:100], v[97:98]
	v_fma_f64 v[97:98], v[97:98], v[101:102], v[99:100]
	v_div_scale_f64 v[99:100], s[6:7], v[97:98], v[97:98], 1.0
	v_div_scale_f64 v[107:108], vcc, 1.0, v[97:98], 1.0
	v_rcp_f64_e32 v[103:104], v[99:100]
	v_fma_f64 v[105:106], -v[99:100], v[103:104], 1.0
	v_fma_f64 v[103:104], v[103:104], v[105:106], v[103:104]
	v_fma_f64 v[105:106], -v[99:100], v[103:104], 1.0
	v_fma_f64 v[103:104], v[103:104], v[105:106], v[103:104]
	v_mul_f64 v[105:106], v[107:108], v[103:104]
	v_fma_f64 v[99:100], -v[99:100], v[105:106], v[107:108]
	v_div_fmas_f64 v[99:100], v[99:100], v[103:104], v[105:106]
	v_div_fixup_f64 v[103:104], v[99:100], v[97:98], 1.0
                                        ; implicit-def: $vgpr97_vgpr98
	v_mul_f64 v[101:102], v[101:102], v[103:104]
	v_xor_b32_e32 v104, 0x80000000, v104
.LBB103_257:
	s_andn2_saveexec_b64 s[2:3], s[2:3]
	s_cbranch_execz .LBB103_259
; %bb.258:
	v_div_scale_f64 v[101:102], s[6:7], v[97:98], v[97:98], v[99:100]
	v_rcp_f64_e32 v[103:104], v[101:102]
	v_fma_f64 v[105:106], -v[101:102], v[103:104], 1.0
	v_fma_f64 v[103:104], v[103:104], v[105:106], v[103:104]
	v_div_scale_f64 v[105:106], vcc, v[99:100], v[97:98], v[99:100]
	v_fma_f64 v[107:108], -v[101:102], v[103:104], 1.0
	v_fma_f64 v[103:104], v[103:104], v[107:108], v[103:104]
	v_mul_f64 v[107:108], v[105:106], v[103:104]
	v_fma_f64 v[101:102], -v[101:102], v[107:108], v[105:106]
	v_div_fmas_f64 v[101:102], v[101:102], v[103:104], v[107:108]
	v_div_fixup_f64 v[103:104], v[101:102], v[97:98], v[99:100]
	v_fma_f64 v[97:98], v[99:100], v[103:104], v[97:98]
	v_div_scale_f64 v[99:100], s[6:7], v[97:98], v[97:98], 1.0
	v_div_scale_f64 v[107:108], vcc, 1.0, v[97:98], 1.0
	v_rcp_f64_e32 v[101:102], v[99:100]
	v_fma_f64 v[105:106], -v[99:100], v[101:102], 1.0
	v_fma_f64 v[101:102], v[101:102], v[105:106], v[101:102]
	v_fma_f64 v[105:106], -v[99:100], v[101:102], 1.0
	v_fma_f64 v[101:102], v[101:102], v[105:106], v[101:102]
	v_mul_f64 v[105:106], v[107:108], v[101:102]
	v_fma_f64 v[99:100], -v[99:100], v[105:106], v[107:108]
	v_div_fmas_f64 v[99:100], v[99:100], v[101:102], v[105:106]
	v_div_fixup_f64 v[101:102], v[99:100], v[97:98], 1.0
	v_mul_f64 v[103:104], v[103:104], -v[101:102]
.LBB103_259:
	s_or_b64 exec, exec, s[2:3]
	ds_write2_b64 v127, v[101:102], v[103:104] offset1:1
.LBB103_260:
	s_or_b64 exec, exec, s[4:5]
	s_waitcnt lgkmcnt(0)
	s_barrier
	ds_read2_b64 v[69:72], v127 offset1:1
	v_cmp_lt_u32_e32 vcc, 28, v0
	s_waitcnt lgkmcnt(0)
	buffer_store_dword v69, off, s[20:23], 0 offset:1320 ; 4-byte Folded Spill
	s_nop 0
	buffer_store_dword v70, off, s[20:23], 0 offset:1324 ; 4-byte Folded Spill
	buffer_store_dword v71, off, s[20:23], 0 offset:1328 ; 4-byte Folded Spill
	;; [unrolled: 1-line block ×3, first 2 shown]
	s_and_saveexec_b64 s[2:3], vcc
	s_cbranch_execz .LBB103_262
; %bb.261:
	buffer_load_dword v69, off, s[20:23], 0 offset:1320 ; 4-byte Folded Reload
	buffer_load_dword v70, off, s[20:23], 0 offset:1324 ; 4-byte Folded Reload
	;; [unrolled: 1-line block ×4, first 2 shown]
	v_mov_b32_e32 v89, v91
	v_mov_b32_e32 v90, v92
	ds_read2_b64 v[99:102], v125 offset0:58 offset1:59
	s_waitcnt vmcnt(2)
	v_mul_f64 v[91:92], v[69:70], v[111:112]
	s_waitcnt vmcnt(0)
	v_mul_f64 v[97:98], v[71:72], v[111:112]
	v_fma_f64 v[111:112], v[71:72], v[109:110], v[91:92]
	v_mov_b32_e32 v92, v90
	v_fma_f64 v[97:98], v[69:70], v[109:110], -v[97:98]
	v_mov_b32_e32 v91, v89
	v_mov_b32_e32 v69, v73
	;; [unrolled: 1-line block ×5, first 2 shown]
	s_waitcnt lgkmcnt(0)
	v_mul_f64 v[89:90], v[101:102], v[111:112]
	v_mov_b32_e32 v110, v98
	v_mov_b32_e32 v109, v97
	v_fma_f64 v[89:90], v[99:100], v[97:98], -v[89:90]
	v_mul_f64 v[99:100], v[99:100], v[111:112]
	v_add_f64 v[113:114], v[113:114], -v[89:90]
	v_fma_f64 v[99:100], v[101:102], v[97:98], v[99:100]
	v_add_f64 v[115:116], v[115:116], -v[99:100]
	ds_read2_b64 v[99:102], v125 offset0:60 offset1:61
	s_waitcnt lgkmcnt(0)
	v_mul_f64 v[89:90], v[101:102], v[111:112]
	v_fma_f64 v[89:90], v[99:100], v[97:98], -v[89:90]
	v_mul_f64 v[99:100], v[99:100], v[111:112]
	v_add_f64 v[93:94], v[93:94], -v[89:90]
	v_fma_f64 v[99:100], v[101:102], v[97:98], v[99:100]
	v_add_f64 v[95:96], v[95:96], -v[99:100]
	ds_read2_b64 v[99:102], v125 offset0:62 offset1:63
	buffer_load_dword v77, off, s[20:23], 0 offset:32 ; 4-byte Folded Reload
	buffer_load_dword v78, off, s[20:23], 0 offset:36 ; 4-byte Folded Reload
	;; [unrolled: 1-line block ×4, first 2 shown]
	s_waitcnt lgkmcnt(0)
	v_mul_f64 v[89:90], v[101:102], v[111:112]
	v_fma_f64 v[89:90], v[99:100], v[97:98], -v[89:90]
	v_mul_f64 v[99:100], v[99:100], v[111:112]
	v_fma_f64 v[99:100], v[101:102], v[97:98], v[99:100]
	s_waitcnt vmcnt(2)
	v_add_f64 v[77:78], v[77:78], -v[89:90]
	s_waitcnt vmcnt(0)
	v_add_f64 v[79:80], v[79:80], -v[99:100]
	buffer_store_dword v77, off, s[20:23], 0 offset:32 ; 4-byte Folded Spill
	s_nop 0
	buffer_store_dword v78, off, s[20:23], 0 offset:36 ; 4-byte Folded Spill
	buffer_store_dword v79, off, s[20:23], 0 offset:40 ; 4-byte Folded Spill
	;; [unrolled: 1-line block ×3, first 2 shown]
	ds_read2_b64 v[99:102], v125 offset0:64 offset1:65
	buffer_load_dword v73, off, s[20:23], 0 offset:16 ; 4-byte Folded Reload
	buffer_load_dword v74, off, s[20:23], 0 offset:20 ; 4-byte Folded Reload
	;; [unrolled: 1-line block ×4, first 2 shown]
	s_waitcnt lgkmcnt(0)
	v_mul_f64 v[89:90], v[101:102], v[111:112]
	v_fma_f64 v[89:90], v[99:100], v[97:98], -v[89:90]
	v_mul_f64 v[99:100], v[99:100], v[111:112]
	v_fma_f64 v[99:100], v[101:102], v[97:98], v[99:100]
	s_waitcnt vmcnt(2)
	v_add_f64 v[73:74], v[73:74], -v[89:90]
	s_waitcnt vmcnt(0)
	v_add_f64 v[75:76], v[75:76], -v[99:100]
	buffer_store_dword v73, off, s[20:23], 0 offset:16 ; 4-byte Folded Spill
	s_nop 0
	buffer_store_dword v74, off, s[20:23], 0 offset:20 ; 4-byte Folded Spill
	buffer_store_dword v75, off, s[20:23], 0 offset:24 ; 4-byte Folded Spill
	;; [unrolled: 1-line block ×3, first 2 shown]
	v_mov_b32_e32 v76, v72
	v_mov_b32_e32 v75, v71
	;; [unrolled: 1-line block ×4, first 2 shown]
	ds_read2_b64 v[99:102], v125 offset0:66 offset1:67
	buffer_load_dword v69, off, s[20:23], 0 ; 4-byte Folded Reload
	buffer_load_dword v70, off, s[20:23], 0 offset:4 ; 4-byte Folded Reload
	buffer_load_dword v71, off, s[20:23], 0 offset:8 ; 4-byte Folded Reload
	;; [unrolled: 1-line block ×3, first 2 shown]
	s_waitcnt lgkmcnt(0)
	v_mul_f64 v[89:90], v[101:102], v[111:112]
	v_fma_f64 v[89:90], v[99:100], v[97:98], -v[89:90]
	v_mul_f64 v[99:100], v[99:100], v[111:112]
	v_fma_f64 v[99:100], v[101:102], v[97:98], v[99:100]
	s_waitcnt vmcnt(2)
	v_add_f64 v[69:70], v[69:70], -v[89:90]
	s_waitcnt vmcnt(0)
	v_add_f64 v[71:72], v[71:72], -v[99:100]
	buffer_store_dword v69, off, s[20:23], 0 ; 4-byte Folded Spill
	s_nop 0
	buffer_store_dword v70, off, s[20:23], 0 offset:4 ; 4-byte Folded Spill
	buffer_store_dword v71, off, s[20:23], 0 offset:8 ; 4-byte Folded Spill
	;; [unrolled: 1-line block ×3, first 2 shown]
	ds_read2_b64 v[99:102], v125 offset0:68 offset1:69
	s_waitcnt lgkmcnt(0)
	v_mul_f64 v[89:90], v[101:102], v[111:112]
	v_fma_f64 v[89:90], v[99:100], v[97:98], -v[89:90]
	v_mul_f64 v[99:100], v[99:100], v[111:112]
	v_add_f64 v[65:66], v[65:66], -v[89:90]
	v_fma_f64 v[99:100], v[101:102], v[97:98], v[99:100]
	v_add_f64 v[67:68], v[67:68], -v[99:100]
	ds_read2_b64 v[99:102], v125 offset0:70 offset1:71
	s_waitcnt lgkmcnt(0)
	v_mul_f64 v[89:90], v[101:102], v[111:112]
	v_fma_f64 v[89:90], v[99:100], v[97:98], -v[89:90]
	v_mul_f64 v[99:100], v[99:100], v[111:112]
	v_add_f64 v[61:62], v[61:62], -v[89:90]
	v_fma_f64 v[99:100], v[101:102], v[97:98], v[99:100]
	v_add_f64 v[63:64], v[63:64], -v[99:100]
	;; [unrolled: 8-line block ×18, first 2 shown]
.LBB103_262:
	s_or_b64 exec, exec, s[2:3]
	v_cmp_eq_u32_e32 vcc, 29, v0
	s_waitcnt vmcnt(0)
	s_barrier
	s_and_saveexec_b64 s[4:5], vcc
	s_cbranch_execz .LBB103_269
; %bb.263:
	ds_write2_b64 v127, v[113:114], v[115:116] offset1:1
	ds_write2_b64 v125, v[93:94], v[95:96] offset0:60 offset1:61
	buffer_load_dword v77, off, s[20:23], 0 offset:32 ; 4-byte Folded Reload
	buffer_load_dword v78, off, s[20:23], 0 offset:36 ; 4-byte Folded Reload
	;; [unrolled: 1-line block ×4, first 2 shown]
	v_mov_b32_e32 v69, v73
	v_mov_b32_e32 v70, v74
	;; [unrolled: 1-line block ×4, first 2 shown]
	s_waitcnt vmcnt(0)
	ds_write2_b64 v125, v[77:78], v[79:80] offset0:62 offset1:63
	buffer_load_dword v73, off, s[20:23], 0 offset:16 ; 4-byte Folded Reload
	buffer_load_dword v74, off, s[20:23], 0 offset:20 ; 4-byte Folded Reload
	;; [unrolled: 1-line block ×4, first 2 shown]
	s_waitcnt vmcnt(0)
	ds_write2_b64 v125, v[73:74], v[75:76] offset0:64 offset1:65
	v_mov_b32_e32 v76, v72
	v_mov_b32_e32 v75, v71
	;; [unrolled: 1-line block ×4, first 2 shown]
	buffer_load_dword v69, off, s[20:23], 0 ; 4-byte Folded Reload
	buffer_load_dword v70, off, s[20:23], 0 offset:4 ; 4-byte Folded Reload
	buffer_load_dword v71, off, s[20:23], 0 offset:8 ; 4-byte Folded Reload
	;; [unrolled: 1-line block ×3, first 2 shown]
	s_waitcnt vmcnt(0)
	ds_write2_b64 v125, v[69:70], v[71:72] offset0:66 offset1:67
	ds_write2_b64 v125, v[65:66], v[67:68] offset0:68 offset1:69
	;; [unrolled: 1-line block ×19, first 2 shown]
	ds_read2_b64 v[97:100], v127 offset1:1
	s_waitcnt lgkmcnt(0)
	v_cmp_neq_f64_e32 vcc, 0, v[97:98]
	v_cmp_neq_f64_e64 s[2:3], 0, v[99:100]
	s_or_b64 s[2:3], vcc, s[2:3]
	s_and_b64 exec, exec, s[2:3]
	s_cbranch_execz .LBB103_269
; %bb.264:
	v_cmp_ngt_f64_e64 s[2:3], |v[97:98]|, |v[99:100]|
                                        ; implicit-def: $vgpr101_vgpr102
	s_and_saveexec_b64 s[6:7], s[2:3]
	s_xor_b64 s[2:3], exec, s[6:7]
                                        ; implicit-def: $vgpr103_vgpr104
	s_cbranch_execz .LBB103_266
; %bb.265:
	v_div_scale_f64 v[101:102], s[6:7], v[99:100], v[99:100], v[97:98]
	v_rcp_f64_e32 v[103:104], v[101:102]
	v_fma_f64 v[105:106], -v[101:102], v[103:104], 1.0
	v_fma_f64 v[103:104], v[103:104], v[105:106], v[103:104]
	v_div_scale_f64 v[105:106], vcc, v[97:98], v[99:100], v[97:98]
	v_fma_f64 v[107:108], -v[101:102], v[103:104], 1.0
	v_fma_f64 v[103:104], v[103:104], v[107:108], v[103:104]
	v_mul_f64 v[107:108], v[105:106], v[103:104]
	v_fma_f64 v[101:102], -v[101:102], v[107:108], v[105:106]
	v_div_fmas_f64 v[101:102], v[101:102], v[103:104], v[107:108]
	v_div_fixup_f64 v[101:102], v[101:102], v[99:100], v[97:98]
	v_fma_f64 v[97:98], v[97:98], v[101:102], v[99:100]
	v_div_scale_f64 v[99:100], s[6:7], v[97:98], v[97:98], 1.0
	v_div_scale_f64 v[107:108], vcc, 1.0, v[97:98], 1.0
	v_rcp_f64_e32 v[103:104], v[99:100]
	v_fma_f64 v[105:106], -v[99:100], v[103:104], 1.0
	v_fma_f64 v[103:104], v[103:104], v[105:106], v[103:104]
	v_fma_f64 v[105:106], -v[99:100], v[103:104], 1.0
	v_fma_f64 v[103:104], v[103:104], v[105:106], v[103:104]
	v_mul_f64 v[105:106], v[107:108], v[103:104]
	v_fma_f64 v[99:100], -v[99:100], v[105:106], v[107:108]
	v_div_fmas_f64 v[99:100], v[99:100], v[103:104], v[105:106]
	v_div_fixup_f64 v[103:104], v[99:100], v[97:98], 1.0
                                        ; implicit-def: $vgpr97_vgpr98
	v_mul_f64 v[101:102], v[101:102], v[103:104]
	v_xor_b32_e32 v104, 0x80000000, v104
.LBB103_266:
	s_andn2_saveexec_b64 s[2:3], s[2:3]
	s_cbranch_execz .LBB103_268
; %bb.267:
	v_div_scale_f64 v[101:102], s[6:7], v[97:98], v[97:98], v[99:100]
	v_rcp_f64_e32 v[103:104], v[101:102]
	v_fma_f64 v[105:106], -v[101:102], v[103:104], 1.0
	v_fma_f64 v[103:104], v[103:104], v[105:106], v[103:104]
	v_div_scale_f64 v[105:106], vcc, v[99:100], v[97:98], v[99:100]
	v_fma_f64 v[107:108], -v[101:102], v[103:104], 1.0
	v_fma_f64 v[103:104], v[103:104], v[107:108], v[103:104]
	v_mul_f64 v[107:108], v[105:106], v[103:104]
	v_fma_f64 v[101:102], -v[101:102], v[107:108], v[105:106]
	v_div_fmas_f64 v[101:102], v[101:102], v[103:104], v[107:108]
	v_div_fixup_f64 v[103:104], v[101:102], v[97:98], v[99:100]
	v_fma_f64 v[97:98], v[99:100], v[103:104], v[97:98]
	v_div_scale_f64 v[99:100], s[6:7], v[97:98], v[97:98], 1.0
	v_div_scale_f64 v[107:108], vcc, 1.0, v[97:98], 1.0
	v_rcp_f64_e32 v[101:102], v[99:100]
	v_fma_f64 v[105:106], -v[99:100], v[101:102], 1.0
	v_fma_f64 v[101:102], v[101:102], v[105:106], v[101:102]
	v_fma_f64 v[105:106], -v[99:100], v[101:102], 1.0
	v_fma_f64 v[101:102], v[101:102], v[105:106], v[101:102]
	v_mul_f64 v[105:106], v[107:108], v[101:102]
	v_fma_f64 v[99:100], -v[99:100], v[105:106], v[107:108]
	v_div_fmas_f64 v[99:100], v[99:100], v[101:102], v[105:106]
	v_div_fixup_f64 v[101:102], v[99:100], v[97:98], 1.0
	v_mul_f64 v[103:104], v[103:104], -v[101:102]
.LBB103_268:
	s_or_b64 exec, exec, s[2:3]
	ds_write2_b64 v127, v[101:102], v[103:104] offset1:1
.LBB103_269:
	s_or_b64 exec, exec, s[4:5]
	s_waitcnt lgkmcnt(0)
	s_barrier
	ds_read2_b64 v[69:72], v127 offset1:1
	v_cmp_lt_u32_e32 vcc, 29, v0
	s_waitcnt lgkmcnt(0)
	buffer_store_dword v69, off, s[20:23], 0 offset:1336 ; 4-byte Folded Spill
	s_nop 0
	buffer_store_dword v70, off, s[20:23], 0 offset:1340 ; 4-byte Folded Spill
	buffer_store_dword v71, off, s[20:23], 0 offset:1344 ; 4-byte Folded Spill
	;; [unrolled: 1-line block ×3, first 2 shown]
	s_and_saveexec_b64 s[2:3], vcc
	s_cbranch_execz .LBB103_271
; %bb.270:
	buffer_load_dword v69, off, s[20:23], 0 offset:1336 ; 4-byte Folded Reload
	buffer_load_dword v70, off, s[20:23], 0 offset:1340 ; 4-byte Folded Reload
	;; [unrolled: 1-line block ×4, first 2 shown]
	v_mov_b32_e32 v90, v86
	v_mov_b32_e32 v89, v85
	;; [unrolled: 1-line block ×4, first 2 shown]
	ds_read2_b64 v[99:102], v125 offset0:60 offset1:61
	s_waitcnt vmcnt(2)
	v_mul_f64 v[87:88], v[69:70], v[115:116]
	s_waitcnt vmcnt(0)
	v_mul_f64 v[97:98], v[71:72], v[115:116]
	v_fma_f64 v[115:116], v[71:72], v[113:114], v[87:88]
	v_mov_b32_e32 v88, v86
	v_fma_f64 v[97:98], v[69:70], v[113:114], -v[97:98]
	v_mov_b32_e32 v87, v85
	v_mov_b32_e32 v69, v73
	;; [unrolled: 1-line block ×5, first 2 shown]
	s_waitcnt lgkmcnt(0)
	v_mul_f64 v[85:86], v[101:102], v[115:116]
	v_mov_b32_e32 v114, v98
	v_mov_b32_e32 v113, v97
	v_fma_f64 v[85:86], v[99:100], v[97:98], -v[85:86]
	v_mul_f64 v[99:100], v[99:100], v[115:116]
	v_add_f64 v[93:94], v[93:94], -v[85:86]
	v_fma_f64 v[99:100], v[101:102], v[97:98], v[99:100]
	v_add_f64 v[95:96], v[95:96], -v[99:100]
	ds_read2_b64 v[99:102], v125 offset0:62 offset1:63
	buffer_load_dword v77, off, s[20:23], 0 offset:32 ; 4-byte Folded Reload
	buffer_load_dword v78, off, s[20:23], 0 offset:36 ; 4-byte Folded Reload
	buffer_load_dword v79, off, s[20:23], 0 offset:40 ; 4-byte Folded Reload
	buffer_load_dword v80, off, s[20:23], 0 offset:44 ; 4-byte Folded Reload
	s_waitcnt lgkmcnt(0)
	v_mul_f64 v[85:86], v[101:102], v[115:116]
	v_fma_f64 v[85:86], v[99:100], v[97:98], -v[85:86]
	v_mul_f64 v[99:100], v[99:100], v[115:116]
	v_fma_f64 v[99:100], v[101:102], v[97:98], v[99:100]
	s_waitcnt vmcnt(2)
	v_add_f64 v[77:78], v[77:78], -v[85:86]
	s_waitcnt vmcnt(0)
	v_add_f64 v[79:80], v[79:80], -v[99:100]
	buffer_store_dword v77, off, s[20:23], 0 offset:32 ; 4-byte Folded Spill
	s_nop 0
	buffer_store_dword v78, off, s[20:23], 0 offset:36 ; 4-byte Folded Spill
	buffer_store_dword v79, off, s[20:23], 0 offset:40 ; 4-byte Folded Spill
	;; [unrolled: 1-line block ×3, first 2 shown]
	ds_read2_b64 v[99:102], v125 offset0:64 offset1:65
	buffer_load_dword v73, off, s[20:23], 0 offset:16 ; 4-byte Folded Reload
	buffer_load_dword v74, off, s[20:23], 0 offset:20 ; 4-byte Folded Reload
	;; [unrolled: 1-line block ×4, first 2 shown]
	s_waitcnt lgkmcnt(0)
	v_mul_f64 v[85:86], v[101:102], v[115:116]
	v_fma_f64 v[85:86], v[99:100], v[97:98], -v[85:86]
	v_mul_f64 v[99:100], v[99:100], v[115:116]
	v_fma_f64 v[99:100], v[101:102], v[97:98], v[99:100]
	s_waitcnt vmcnt(2)
	v_add_f64 v[73:74], v[73:74], -v[85:86]
	s_waitcnt vmcnt(0)
	v_add_f64 v[75:76], v[75:76], -v[99:100]
	buffer_store_dword v73, off, s[20:23], 0 offset:16 ; 4-byte Folded Spill
	s_nop 0
	buffer_store_dword v74, off, s[20:23], 0 offset:20 ; 4-byte Folded Spill
	buffer_store_dword v75, off, s[20:23], 0 offset:24 ; 4-byte Folded Spill
	;; [unrolled: 1-line block ×3, first 2 shown]
	v_mov_b32_e32 v76, v72
	v_mov_b32_e32 v75, v71
	v_mov_b32_e32 v74, v70
	v_mov_b32_e32 v73, v69
	ds_read2_b64 v[99:102], v125 offset0:66 offset1:67
	buffer_load_dword v69, off, s[20:23], 0 ; 4-byte Folded Reload
	buffer_load_dword v70, off, s[20:23], 0 offset:4 ; 4-byte Folded Reload
	buffer_load_dword v71, off, s[20:23], 0 offset:8 ; 4-byte Folded Reload
	;; [unrolled: 1-line block ×3, first 2 shown]
	s_waitcnt lgkmcnt(0)
	v_mul_f64 v[85:86], v[101:102], v[115:116]
	v_fma_f64 v[85:86], v[99:100], v[97:98], -v[85:86]
	v_mul_f64 v[99:100], v[99:100], v[115:116]
	v_fma_f64 v[99:100], v[101:102], v[97:98], v[99:100]
	s_waitcnt vmcnt(2)
	v_add_f64 v[69:70], v[69:70], -v[85:86]
	s_waitcnt vmcnt(0)
	v_add_f64 v[71:72], v[71:72], -v[99:100]
	buffer_store_dword v69, off, s[20:23], 0 ; 4-byte Folded Spill
	s_nop 0
	buffer_store_dword v70, off, s[20:23], 0 offset:4 ; 4-byte Folded Spill
	buffer_store_dword v71, off, s[20:23], 0 offset:8 ; 4-byte Folded Spill
	;; [unrolled: 1-line block ×3, first 2 shown]
	ds_read2_b64 v[99:102], v125 offset0:68 offset1:69
	s_waitcnt lgkmcnt(0)
	v_mul_f64 v[85:86], v[101:102], v[115:116]
	v_fma_f64 v[85:86], v[99:100], v[97:98], -v[85:86]
	v_mul_f64 v[99:100], v[99:100], v[115:116]
	v_add_f64 v[65:66], v[65:66], -v[85:86]
	v_fma_f64 v[99:100], v[101:102], v[97:98], v[99:100]
	v_add_f64 v[67:68], v[67:68], -v[99:100]
	ds_read2_b64 v[99:102], v125 offset0:70 offset1:71
	s_waitcnt lgkmcnt(0)
	v_mul_f64 v[85:86], v[101:102], v[115:116]
	v_fma_f64 v[85:86], v[99:100], v[97:98], -v[85:86]
	v_mul_f64 v[99:100], v[99:100], v[115:116]
	v_add_f64 v[61:62], v[61:62], -v[85:86]
	v_fma_f64 v[99:100], v[101:102], v[97:98], v[99:100]
	v_add_f64 v[63:64], v[63:64], -v[99:100]
	;; [unrolled: 8-line block ×17, first 2 shown]
	ds_read2_b64 v[99:102], v125 offset0:102 offset1:103
	s_waitcnt lgkmcnt(0)
	v_mul_f64 v[85:86], v[101:102], v[115:116]
	v_fma_f64 v[85:86], v[99:100], v[97:98], -v[85:86]
	v_mul_f64 v[99:100], v[99:100], v[115:116]
	v_add_f64 v[73:74], v[73:74], -v[85:86]
	v_fma_f64 v[99:100], v[101:102], v[97:98], v[99:100]
	v_mov_b32_e32 v85, v89
	v_mov_b32_e32 v86, v90
	v_add_f64 v[75:76], v[75:76], -v[99:100]
.LBB103_271:
	s_or_b64 exec, exec, s[2:3]
	v_cmp_eq_u32_e32 vcc, 30, v0
	s_waitcnt vmcnt(0)
	s_barrier
	s_and_saveexec_b64 s[4:5], vcc
	s_cbranch_execz .LBB103_278
; %bb.272:
	ds_write2_b64 v127, v[93:94], v[95:96] offset1:1
	buffer_load_dword v77, off, s[20:23], 0 offset:32 ; 4-byte Folded Reload
	buffer_load_dword v78, off, s[20:23], 0 offset:36 ; 4-byte Folded Reload
	;; [unrolled: 1-line block ×4, first 2 shown]
	v_mov_b32_e32 v69, v73
	v_mov_b32_e32 v70, v74
	;; [unrolled: 1-line block ×4, first 2 shown]
	s_waitcnt vmcnt(0)
	ds_write2_b64 v125, v[77:78], v[79:80] offset0:62 offset1:63
	buffer_load_dword v73, off, s[20:23], 0 offset:16 ; 4-byte Folded Reload
	buffer_load_dword v74, off, s[20:23], 0 offset:20 ; 4-byte Folded Reload
	;; [unrolled: 1-line block ×4, first 2 shown]
	s_waitcnt vmcnt(0)
	ds_write2_b64 v125, v[73:74], v[75:76] offset0:64 offset1:65
	v_mov_b32_e32 v76, v72
	v_mov_b32_e32 v75, v71
	v_mov_b32_e32 v74, v70
	v_mov_b32_e32 v73, v69
	buffer_load_dword v69, off, s[20:23], 0 ; 4-byte Folded Reload
	buffer_load_dword v70, off, s[20:23], 0 offset:4 ; 4-byte Folded Reload
	buffer_load_dword v71, off, s[20:23], 0 offset:8 ; 4-byte Folded Reload
	;; [unrolled: 1-line block ×3, first 2 shown]
	s_waitcnt vmcnt(0)
	ds_write2_b64 v125, v[69:70], v[71:72] offset0:66 offset1:67
	ds_write2_b64 v125, v[65:66], v[67:68] offset0:68 offset1:69
	;; [unrolled: 1-line block ×19, first 2 shown]
	ds_read2_b64 v[97:100], v127 offset1:1
	s_waitcnt lgkmcnt(0)
	v_cmp_neq_f64_e32 vcc, 0, v[97:98]
	v_cmp_neq_f64_e64 s[2:3], 0, v[99:100]
	s_or_b64 s[2:3], vcc, s[2:3]
	s_and_b64 exec, exec, s[2:3]
	s_cbranch_execz .LBB103_278
; %bb.273:
	v_cmp_ngt_f64_e64 s[2:3], |v[97:98]|, |v[99:100]|
                                        ; implicit-def: $vgpr101_vgpr102
	s_and_saveexec_b64 s[6:7], s[2:3]
	s_xor_b64 s[2:3], exec, s[6:7]
                                        ; implicit-def: $vgpr103_vgpr104
	s_cbranch_execz .LBB103_275
; %bb.274:
	v_div_scale_f64 v[101:102], s[6:7], v[99:100], v[99:100], v[97:98]
	v_rcp_f64_e32 v[103:104], v[101:102]
	v_fma_f64 v[105:106], -v[101:102], v[103:104], 1.0
	v_fma_f64 v[103:104], v[103:104], v[105:106], v[103:104]
	v_div_scale_f64 v[105:106], vcc, v[97:98], v[99:100], v[97:98]
	v_fma_f64 v[107:108], -v[101:102], v[103:104], 1.0
	v_fma_f64 v[103:104], v[103:104], v[107:108], v[103:104]
	v_mul_f64 v[107:108], v[105:106], v[103:104]
	v_fma_f64 v[101:102], -v[101:102], v[107:108], v[105:106]
	v_div_fmas_f64 v[101:102], v[101:102], v[103:104], v[107:108]
	v_div_fixup_f64 v[101:102], v[101:102], v[99:100], v[97:98]
	v_fma_f64 v[97:98], v[97:98], v[101:102], v[99:100]
	v_div_scale_f64 v[99:100], s[6:7], v[97:98], v[97:98], 1.0
	v_div_scale_f64 v[107:108], vcc, 1.0, v[97:98], 1.0
	v_rcp_f64_e32 v[103:104], v[99:100]
	v_fma_f64 v[105:106], -v[99:100], v[103:104], 1.0
	v_fma_f64 v[103:104], v[103:104], v[105:106], v[103:104]
	v_fma_f64 v[105:106], -v[99:100], v[103:104], 1.0
	v_fma_f64 v[103:104], v[103:104], v[105:106], v[103:104]
	v_mul_f64 v[105:106], v[107:108], v[103:104]
	v_fma_f64 v[99:100], -v[99:100], v[105:106], v[107:108]
	v_div_fmas_f64 v[99:100], v[99:100], v[103:104], v[105:106]
	v_div_fixup_f64 v[103:104], v[99:100], v[97:98], 1.0
                                        ; implicit-def: $vgpr97_vgpr98
	v_mul_f64 v[101:102], v[101:102], v[103:104]
	v_xor_b32_e32 v104, 0x80000000, v104
.LBB103_275:
	s_andn2_saveexec_b64 s[2:3], s[2:3]
	s_cbranch_execz .LBB103_277
; %bb.276:
	v_div_scale_f64 v[101:102], s[6:7], v[97:98], v[97:98], v[99:100]
	v_rcp_f64_e32 v[103:104], v[101:102]
	v_fma_f64 v[105:106], -v[101:102], v[103:104], 1.0
	v_fma_f64 v[103:104], v[103:104], v[105:106], v[103:104]
	v_div_scale_f64 v[105:106], vcc, v[99:100], v[97:98], v[99:100]
	v_fma_f64 v[107:108], -v[101:102], v[103:104], 1.0
	v_fma_f64 v[103:104], v[103:104], v[107:108], v[103:104]
	v_mul_f64 v[107:108], v[105:106], v[103:104]
	v_fma_f64 v[101:102], -v[101:102], v[107:108], v[105:106]
	v_div_fmas_f64 v[101:102], v[101:102], v[103:104], v[107:108]
	v_div_fixup_f64 v[103:104], v[101:102], v[97:98], v[99:100]
	v_fma_f64 v[97:98], v[99:100], v[103:104], v[97:98]
	v_div_scale_f64 v[99:100], s[6:7], v[97:98], v[97:98], 1.0
	v_div_scale_f64 v[107:108], vcc, 1.0, v[97:98], 1.0
	v_rcp_f64_e32 v[101:102], v[99:100]
	v_fma_f64 v[105:106], -v[99:100], v[101:102], 1.0
	v_fma_f64 v[101:102], v[101:102], v[105:106], v[101:102]
	v_fma_f64 v[105:106], -v[99:100], v[101:102], 1.0
	v_fma_f64 v[101:102], v[101:102], v[105:106], v[101:102]
	v_mul_f64 v[105:106], v[107:108], v[101:102]
	v_fma_f64 v[99:100], -v[99:100], v[105:106], v[107:108]
	v_div_fmas_f64 v[99:100], v[99:100], v[101:102], v[105:106]
	v_div_fixup_f64 v[101:102], v[99:100], v[97:98], 1.0
	v_mul_f64 v[103:104], v[103:104], -v[101:102]
.LBB103_277:
	s_or_b64 exec, exec, s[2:3]
	ds_write2_b64 v127, v[101:102], v[103:104] offset1:1
.LBB103_278:
	s_or_b64 exec, exec, s[4:5]
	s_waitcnt lgkmcnt(0)
	s_barrier
	ds_read2_b64 v[69:72], v127 offset1:1
	v_cmp_lt_u32_e32 vcc, 30, v0
	s_waitcnt lgkmcnt(0)
	buffer_store_dword v69, off, s[20:23], 0 offset:1352 ; 4-byte Folded Spill
	s_nop 0
	buffer_store_dword v70, off, s[20:23], 0 offset:1356 ; 4-byte Folded Spill
	buffer_store_dword v71, off, s[20:23], 0 offset:1360 ; 4-byte Folded Spill
	;; [unrolled: 1-line block ×3, first 2 shown]
	s_and_saveexec_b64 s[2:3], vcc
	s_cbranch_execz .LBB103_280
; %bb.279:
	buffer_load_dword v69, off, s[20:23], 0 offset:1352 ; 4-byte Folded Reload
	buffer_load_dword v70, off, s[20:23], 0 offset:1356 ; 4-byte Folded Reload
	buffer_load_dword v71, off, s[20:23], 0 offset:1360 ; 4-byte Folded Reload
	buffer_load_dword v72, off, s[20:23], 0 offset:1364 ; 4-byte Folded Reload
	ds_read2_b64 v[99:102], v125 offset0:62 offset1:63
	buffer_load_dword v77, off, s[20:23], 0 offset:32 ; 4-byte Folded Reload
	buffer_load_dword v78, off, s[20:23], 0 offset:36 ; 4-byte Folded Reload
	;; [unrolled: 1-line block ×4, first 2 shown]
	v_mov_b32_e32 v90, v82
	v_mov_b32_e32 v89, v81
	s_waitcnt vmcnt(6)
	v_mul_f64 v[83:84], v[69:70], v[95:96]
	s_waitcnt vmcnt(4)
	v_mul_f64 v[97:98], v[71:72], v[95:96]
	v_fma_f64 v[95:96], v[71:72], v[93:94], v[83:84]
	v_fma_f64 v[97:98], v[69:70], v[93:94], -v[97:98]
	v_mov_b32_e32 v69, v73
	v_mov_b32_e32 v70, v74
	v_mov_b32_e32 v71, v75
	v_mov_b32_e32 v72, v76
	s_waitcnt lgkmcnt(0)
	v_mul_f64 v[81:82], v[101:102], v[95:96]
	v_mov_b32_e32 v93, v97
	v_mov_b32_e32 v94, v98
	v_fma_f64 v[81:82], v[99:100], v[97:98], -v[81:82]
	v_mul_f64 v[99:100], v[99:100], v[95:96]
	s_waitcnt vmcnt(2)
	v_add_f64 v[77:78], v[77:78], -v[81:82]
	v_fma_f64 v[99:100], v[101:102], v[97:98], v[99:100]
	s_waitcnt vmcnt(0)
	v_add_f64 v[79:80], v[79:80], -v[99:100]
	buffer_store_dword v77, off, s[20:23], 0 offset:32 ; 4-byte Folded Spill
	s_nop 0
	buffer_store_dword v78, off, s[20:23], 0 offset:36 ; 4-byte Folded Spill
	buffer_store_dword v79, off, s[20:23], 0 offset:40 ; 4-byte Folded Spill
	;; [unrolled: 1-line block ×3, first 2 shown]
	ds_read2_b64 v[99:102], v125 offset0:64 offset1:65
	buffer_load_dword v73, off, s[20:23], 0 offset:16 ; 4-byte Folded Reload
	buffer_load_dword v74, off, s[20:23], 0 offset:20 ; 4-byte Folded Reload
	;; [unrolled: 1-line block ×4, first 2 shown]
	s_waitcnt lgkmcnt(0)
	v_mul_f64 v[81:82], v[101:102], v[95:96]
	v_fma_f64 v[81:82], v[99:100], v[97:98], -v[81:82]
	v_mul_f64 v[99:100], v[99:100], v[95:96]
	v_fma_f64 v[99:100], v[101:102], v[97:98], v[99:100]
	s_waitcnt vmcnt(2)
	v_add_f64 v[73:74], v[73:74], -v[81:82]
	s_waitcnt vmcnt(0)
	v_add_f64 v[75:76], v[75:76], -v[99:100]
	buffer_store_dword v73, off, s[20:23], 0 offset:16 ; 4-byte Folded Spill
	s_nop 0
	buffer_store_dword v74, off, s[20:23], 0 offset:20 ; 4-byte Folded Spill
	buffer_store_dword v75, off, s[20:23], 0 offset:24 ; 4-byte Folded Spill
	;; [unrolled: 1-line block ×3, first 2 shown]
	v_mov_b32_e32 v76, v72
	v_mov_b32_e32 v75, v71
	;; [unrolled: 1-line block ×4, first 2 shown]
	ds_read2_b64 v[99:102], v125 offset0:66 offset1:67
	buffer_load_dword v69, off, s[20:23], 0 ; 4-byte Folded Reload
	buffer_load_dword v70, off, s[20:23], 0 offset:4 ; 4-byte Folded Reload
	buffer_load_dword v71, off, s[20:23], 0 offset:8 ; 4-byte Folded Reload
	;; [unrolled: 1-line block ×3, first 2 shown]
	s_waitcnt lgkmcnt(0)
	v_mul_f64 v[81:82], v[101:102], v[95:96]
	v_fma_f64 v[81:82], v[99:100], v[97:98], -v[81:82]
	v_mul_f64 v[99:100], v[99:100], v[95:96]
	v_fma_f64 v[99:100], v[101:102], v[97:98], v[99:100]
	s_waitcnt vmcnt(2)
	v_add_f64 v[69:70], v[69:70], -v[81:82]
	s_waitcnt vmcnt(0)
	v_add_f64 v[71:72], v[71:72], -v[99:100]
	buffer_store_dword v69, off, s[20:23], 0 ; 4-byte Folded Spill
	s_nop 0
	buffer_store_dword v70, off, s[20:23], 0 offset:4 ; 4-byte Folded Spill
	buffer_store_dword v71, off, s[20:23], 0 offset:8 ; 4-byte Folded Spill
	;; [unrolled: 1-line block ×3, first 2 shown]
	ds_read2_b64 v[99:102], v125 offset0:68 offset1:69
	s_waitcnt lgkmcnt(0)
	v_mul_f64 v[81:82], v[101:102], v[95:96]
	v_fma_f64 v[81:82], v[99:100], v[97:98], -v[81:82]
	v_mul_f64 v[99:100], v[99:100], v[95:96]
	v_add_f64 v[65:66], v[65:66], -v[81:82]
	v_fma_f64 v[99:100], v[101:102], v[97:98], v[99:100]
	v_add_f64 v[67:68], v[67:68], -v[99:100]
	ds_read2_b64 v[99:102], v125 offset0:70 offset1:71
	s_waitcnt lgkmcnt(0)
	v_mul_f64 v[81:82], v[101:102], v[95:96]
	v_fma_f64 v[81:82], v[99:100], v[97:98], -v[81:82]
	v_mul_f64 v[99:100], v[99:100], v[95:96]
	v_add_f64 v[61:62], v[61:62], -v[81:82]
	v_fma_f64 v[99:100], v[101:102], v[97:98], v[99:100]
	v_add_f64 v[63:64], v[63:64], -v[99:100]
	;; [unrolled: 8-line block ×17, first 2 shown]
	ds_read2_b64 v[99:102], v125 offset0:102 offset1:103
	s_waitcnt lgkmcnt(0)
	v_mul_f64 v[81:82], v[101:102], v[95:96]
	v_fma_f64 v[81:82], v[99:100], v[97:98], -v[81:82]
	v_mul_f64 v[99:100], v[99:100], v[95:96]
	v_add_f64 v[73:74], v[73:74], -v[81:82]
	v_fma_f64 v[99:100], v[101:102], v[97:98], v[99:100]
	v_mov_b32_e32 v81, v89
	v_mov_b32_e32 v82, v90
	v_add_f64 v[75:76], v[75:76], -v[99:100]
.LBB103_280:
	s_or_b64 exec, exec, s[2:3]
	v_cmp_eq_u32_e32 vcc, 31, v0
	s_waitcnt vmcnt(0)
	s_barrier
	s_and_saveexec_b64 s[4:5], vcc
	s_cbranch_execz .LBB103_287
; %bb.281:
	buffer_load_dword v77, off, s[20:23], 0 offset:32 ; 4-byte Folded Reload
	buffer_load_dword v78, off, s[20:23], 0 offset:36 ; 4-byte Folded Reload
	;; [unrolled: 1-line block ×4, first 2 shown]
	v_mov_b32_e32 v69, v73
	v_mov_b32_e32 v70, v74
	;; [unrolled: 1-line block ×4, first 2 shown]
	s_waitcnt vmcnt(0)
	ds_write2_b64 v127, v[77:78], v[79:80] offset1:1
	buffer_load_dword v73, off, s[20:23], 0 offset:16 ; 4-byte Folded Reload
	buffer_load_dword v74, off, s[20:23], 0 offset:20 ; 4-byte Folded Reload
	buffer_load_dword v75, off, s[20:23], 0 offset:24 ; 4-byte Folded Reload
	buffer_load_dword v76, off, s[20:23], 0 offset:28 ; 4-byte Folded Reload
	s_waitcnt vmcnt(0)
	ds_write2_b64 v125, v[73:74], v[75:76] offset0:64 offset1:65
	v_mov_b32_e32 v76, v72
	v_mov_b32_e32 v75, v71
	;; [unrolled: 1-line block ×4, first 2 shown]
	buffer_load_dword v69, off, s[20:23], 0 ; 4-byte Folded Reload
	buffer_load_dword v70, off, s[20:23], 0 offset:4 ; 4-byte Folded Reload
	buffer_load_dword v71, off, s[20:23], 0 offset:8 ; 4-byte Folded Reload
	;; [unrolled: 1-line block ×3, first 2 shown]
	s_waitcnt vmcnt(0)
	ds_write2_b64 v125, v[69:70], v[71:72] offset0:66 offset1:67
	ds_write2_b64 v125, v[65:66], v[67:68] offset0:68 offset1:69
	;; [unrolled: 1-line block ×19, first 2 shown]
	ds_read2_b64 v[97:100], v127 offset1:1
	s_waitcnt lgkmcnt(0)
	v_cmp_neq_f64_e32 vcc, 0, v[97:98]
	v_cmp_neq_f64_e64 s[2:3], 0, v[99:100]
	s_or_b64 s[2:3], vcc, s[2:3]
	s_and_b64 exec, exec, s[2:3]
	s_cbranch_execz .LBB103_287
; %bb.282:
	v_cmp_ngt_f64_e64 s[2:3], |v[97:98]|, |v[99:100]|
                                        ; implicit-def: $vgpr101_vgpr102
	s_and_saveexec_b64 s[6:7], s[2:3]
	s_xor_b64 s[2:3], exec, s[6:7]
                                        ; implicit-def: $vgpr103_vgpr104
	s_cbranch_execz .LBB103_284
; %bb.283:
	v_div_scale_f64 v[101:102], s[6:7], v[99:100], v[99:100], v[97:98]
	v_rcp_f64_e32 v[103:104], v[101:102]
	v_fma_f64 v[105:106], -v[101:102], v[103:104], 1.0
	v_fma_f64 v[103:104], v[103:104], v[105:106], v[103:104]
	v_div_scale_f64 v[105:106], vcc, v[97:98], v[99:100], v[97:98]
	v_fma_f64 v[107:108], -v[101:102], v[103:104], 1.0
	v_fma_f64 v[103:104], v[103:104], v[107:108], v[103:104]
	v_mul_f64 v[107:108], v[105:106], v[103:104]
	v_fma_f64 v[101:102], -v[101:102], v[107:108], v[105:106]
	v_div_fmas_f64 v[101:102], v[101:102], v[103:104], v[107:108]
	v_div_fixup_f64 v[101:102], v[101:102], v[99:100], v[97:98]
	v_fma_f64 v[97:98], v[97:98], v[101:102], v[99:100]
	v_div_scale_f64 v[99:100], s[6:7], v[97:98], v[97:98], 1.0
	v_div_scale_f64 v[107:108], vcc, 1.0, v[97:98], 1.0
	v_rcp_f64_e32 v[103:104], v[99:100]
	v_fma_f64 v[105:106], -v[99:100], v[103:104], 1.0
	v_fma_f64 v[103:104], v[103:104], v[105:106], v[103:104]
	v_fma_f64 v[105:106], -v[99:100], v[103:104], 1.0
	v_fma_f64 v[103:104], v[103:104], v[105:106], v[103:104]
	v_mul_f64 v[105:106], v[107:108], v[103:104]
	v_fma_f64 v[99:100], -v[99:100], v[105:106], v[107:108]
	v_div_fmas_f64 v[99:100], v[99:100], v[103:104], v[105:106]
	v_div_fixup_f64 v[103:104], v[99:100], v[97:98], 1.0
                                        ; implicit-def: $vgpr97_vgpr98
	v_mul_f64 v[101:102], v[101:102], v[103:104]
	v_xor_b32_e32 v104, 0x80000000, v104
.LBB103_284:
	s_andn2_saveexec_b64 s[2:3], s[2:3]
	s_cbranch_execz .LBB103_286
; %bb.285:
	v_div_scale_f64 v[101:102], s[6:7], v[97:98], v[97:98], v[99:100]
	v_rcp_f64_e32 v[103:104], v[101:102]
	v_fma_f64 v[105:106], -v[101:102], v[103:104], 1.0
	v_fma_f64 v[103:104], v[103:104], v[105:106], v[103:104]
	v_div_scale_f64 v[105:106], vcc, v[99:100], v[97:98], v[99:100]
	v_fma_f64 v[107:108], -v[101:102], v[103:104], 1.0
	v_fma_f64 v[103:104], v[103:104], v[107:108], v[103:104]
	v_mul_f64 v[107:108], v[105:106], v[103:104]
	v_fma_f64 v[101:102], -v[101:102], v[107:108], v[105:106]
	v_div_fmas_f64 v[101:102], v[101:102], v[103:104], v[107:108]
	v_div_fixup_f64 v[103:104], v[101:102], v[97:98], v[99:100]
	v_fma_f64 v[97:98], v[99:100], v[103:104], v[97:98]
	v_div_scale_f64 v[99:100], s[6:7], v[97:98], v[97:98], 1.0
	v_div_scale_f64 v[107:108], vcc, 1.0, v[97:98], 1.0
	v_rcp_f64_e32 v[101:102], v[99:100]
	v_fma_f64 v[105:106], -v[99:100], v[101:102], 1.0
	v_fma_f64 v[101:102], v[101:102], v[105:106], v[101:102]
	v_fma_f64 v[105:106], -v[99:100], v[101:102], 1.0
	v_fma_f64 v[101:102], v[101:102], v[105:106], v[101:102]
	v_mul_f64 v[105:106], v[107:108], v[101:102]
	v_fma_f64 v[99:100], -v[99:100], v[105:106], v[107:108]
	v_div_fmas_f64 v[99:100], v[99:100], v[101:102], v[105:106]
	v_div_fixup_f64 v[101:102], v[99:100], v[97:98], 1.0
	v_mul_f64 v[103:104], v[103:104], -v[101:102]
.LBB103_286:
	s_or_b64 exec, exec, s[2:3]
	ds_write2_b64 v127, v[101:102], v[103:104] offset1:1
.LBB103_287:
	s_or_b64 exec, exec, s[4:5]
	s_waitcnt lgkmcnt(0)
	s_barrier
	ds_read2_b64 v[69:72], v127 offset1:1
	v_cmp_lt_u32_e32 vcc, 31, v0
	s_waitcnt lgkmcnt(0)
	buffer_store_dword v69, off, s[20:23], 0 offset:1368 ; 4-byte Folded Spill
	s_nop 0
	buffer_store_dword v70, off, s[20:23], 0 offset:1372 ; 4-byte Folded Spill
	buffer_store_dword v71, off, s[20:23], 0 offset:1376 ; 4-byte Folded Spill
	;; [unrolled: 1-line block ×3, first 2 shown]
	s_and_saveexec_b64 s[2:3], vcc
	s_cbranch_execz .LBB103_289
; %bb.288:
	buffer_load_dword v77, off, s[20:23], 0 offset:32 ; 4-byte Folded Reload
	buffer_load_dword v78, off, s[20:23], 0 offset:36 ; 4-byte Folded Reload
	;; [unrolled: 1-line block ×8, first 2 shown]
	ds_read2_b64 v[99:102], v125 offset0:64 offset1:65
	s_waitcnt vmcnt(0)
	v_mul_f64 v[97:98], v[71:72], v[79:80]
	v_mul_f64 v[79:80], v[69:70], v[79:80]
	v_fma_f64 v[97:98], v[69:70], v[77:78], -v[97:98]
	v_fma_f64 v[79:80], v[71:72], v[77:78], v[79:80]
	v_mov_b32_e32 v69, v73
	v_mov_b32_e32 v70, v74
	;; [unrolled: 1-line block ×4, first 2 shown]
	buffer_load_dword v73, off, s[20:23], 0 offset:16 ; 4-byte Folded Reload
	buffer_load_dword v74, off, s[20:23], 0 offset:20 ; 4-byte Folded Reload
	;; [unrolled: 1-line block ×4, first 2 shown]
	s_waitcnt lgkmcnt(0)
	v_mul_f64 v[77:78], v[101:102], v[79:80]
	v_fma_f64 v[77:78], v[99:100], v[97:98], -v[77:78]
	v_mul_f64 v[99:100], v[99:100], v[79:80]
	v_fma_f64 v[99:100], v[101:102], v[97:98], v[99:100]
	s_waitcnt vmcnt(2)
	v_add_f64 v[73:74], v[73:74], -v[77:78]
	s_waitcnt vmcnt(0)
	v_add_f64 v[75:76], v[75:76], -v[99:100]
	buffer_store_dword v73, off, s[20:23], 0 offset:16 ; 4-byte Folded Spill
	s_nop 0
	buffer_store_dword v74, off, s[20:23], 0 offset:20 ; 4-byte Folded Spill
	buffer_store_dword v75, off, s[20:23], 0 offset:24 ; 4-byte Folded Spill
	;; [unrolled: 1-line block ×3, first 2 shown]
	v_mov_b32_e32 v76, v72
	v_mov_b32_e32 v75, v71
	;; [unrolled: 1-line block ×4, first 2 shown]
	ds_read2_b64 v[99:102], v125 offset0:66 offset1:67
	buffer_load_dword v69, off, s[20:23], 0 ; 4-byte Folded Reload
	buffer_load_dword v70, off, s[20:23], 0 offset:4 ; 4-byte Folded Reload
	buffer_load_dword v71, off, s[20:23], 0 offset:8 ; 4-byte Folded Reload
	;; [unrolled: 1-line block ×3, first 2 shown]
	s_waitcnt lgkmcnt(0)
	v_mul_f64 v[77:78], v[101:102], v[79:80]
	v_fma_f64 v[77:78], v[99:100], v[97:98], -v[77:78]
	v_mul_f64 v[99:100], v[99:100], v[79:80]
	v_fma_f64 v[99:100], v[101:102], v[97:98], v[99:100]
	s_waitcnt vmcnt(2)
	v_add_f64 v[69:70], v[69:70], -v[77:78]
	s_waitcnt vmcnt(0)
	v_add_f64 v[71:72], v[71:72], -v[99:100]
	buffer_store_dword v69, off, s[20:23], 0 ; 4-byte Folded Spill
	s_nop 0
	buffer_store_dword v70, off, s[20:23], 0 offset:4 ; 4-byte Folded Spill
	buffer_store_dword v71, off, s[20:23], 0 offset:8 ; 4-byte Folded Spill
	;; [unrolled: 1-line block ×3, first 2 shown]
	ds_read2_b64 v[99:102], v125 offset0:68 offset1:69
	s_waitcnt lgkmcnt(0)
	v_mul_f64 v[77:78], v[101:102], v[79:80]
	v_fma_f64 v[77:78], v[99:100], v[97:98], -v[77:78]
	v_mul_f64 v[99:100], v[99:100], v[79:80]
	v_add_f64 v[65:66], v[65:66], -v[77:78]
	v_fma_f64 v[99:100], v[101:102], v[97:98], v[99:100]
	v_add_f64 v[67:68], v[67:68], -v[99:100]
	ds_read2_b64 v[99:102], v125 offset0:70 offset1:71
	s_waitcnt lgkmcnt(0)
	v_mul_f64 v[77:78], v[101:102], v[79:80]
	v_fma_f64 v[77:78], v[99:100], v[97:98], -v[77:78]
	v_mul_f64 v[99:100], v[99:100], v[79:80]
	v_add_f64 v[61:62], v[61:62], -v[77:78]
	v_fma_f64 v[99:100], v[101:102], v[97:98], v[99:100]
	v_add_f64 v[63:64], v[63:64], -v[99:100]
	;; [unrolled: 8-line block ×17, first 2 shown]
	ds_read2_b64 v[99:102], v125 offset0:102 offset1:103
	s_waitcnt lgkmcnt(0)
	v_mul_f64 v[77:78], v[101:102], v[79:80]
	v_fma_f64 v[77:78], v[99:100], v[97:98], -v[77:78]
	v_mul_f64 v[99:100], v[99:100], v[79:80]
	v_add_f64 v[73:74], v[73:74], -v[77:78]
	v_fma_f64 v[99:100], v[101:102], v[97:98], v[99:100]
	v_mov_b32_e32 v77, v97
	v_mov_b32_e32 v78, v98
	buffer_store_dword v77, off, s[20:23], 0 offset:32 ; 4-byte Folded Spill
	s_nop 0
	buffer_store_dword v78, off, s[20:23], 0 offset:36 ; 4-byte Folded Spill
	buffer_store_dword v79, off, s[20:23], 0 offset:40 ; 4-byte Folded Spill
	;; [unrolled: 1-line block ×3, first 2 shown]
	v_add_f64 v[75:76], v[75:76], -v[99:100]
.LBB103_289:
	s_or_b64 exec, exec, s[2:3]
	v_cmp_eq_u32_e32 vcc, 32, v0
	s_waitcnt vmcnt(0)
	s_barrier
	s_and_saveexec_b64 s[4:5], vcc
	s_cbranch_execz .LBB103_296
; %bb.290:
	v_mov_b32_e32 v69, v73
	v_mov_b32_e32 v70, v74
	;; [unrolled: 1-line block ×4, first 2 shown]
	buffer_load_dword v73, off, s[20:23], 0 offset:16 ; 4-byte Folded Reload
	buffer_load_dword v74, off, s[20:23], 0 offset:20 ; 4-byte Folded Reload
	;; [unrolled: 1-line block ×4, first 2 shown]
	s_waitcnt vmcnt(0)
	ds_write2_b64 v127, v[73:74], v[75:76] offset1:1
	v_mov_b32_e32 v76, v72
	v_mov_b32_e32 v75, v71
	;; [unrolled: 1-line block ×4, first 2 shown]
	buffer_load_dword v69, off, s[20:23], 0 ; 4-byte Folded Reload
	buffer_load_dword v70, off, s[20:23], 0 offset:4 ; 4-byte Folded Reload
	buffer_load_dword v71, off, s[20:23], 0 offset:8 ; 4-byte Folded Reload
	;; [unrolled: 1-line block ×3, first 2 shown]
	s_waitcnt vmcnt(0)
	ds_write2_b64 v125, v[69:70], v[71:72] offset0:66 offset1:67
	ds_write2_b64 v125, v[65:66], v[67:68] offset0:68 offset1:69
	;; [unrolled: 1-line block ×19, first 2 shown]
	ds_read2_b64 v[97:100], v127 offset1:1
	s_waitcnt lgkmcnt(0)
	v_cmp_neq_f64_e32 vcc, 0, v[97:98]
	v_cmp_neq_f64_e64 s[2:3], 0, v[99:100]
	s_or_b64 s[2:3], vcc, s[2:3]
	s_and_b64 exec, exec, s[2:3]
	s_cbranch_execz .LBB103_296
; %bb.291:
	v_cmp_ngt_f64_e64 s[2:3], |v[97:98]|, |v[99:100]|
                                        ; implicit-def: $vgpr101_vgpr102
	s_and_saveexec_b64 s[6:7], s[2:3]
	s_xor_b64 s[2:3], exec, s[6:7]
                                        ; implicit-def: $vgpr103_vgpr104
	s_cbranch_execz .LBB103_293
; %bb.292:
	v_div_scale_f64 v[101:102], s[6:7], v[99:100], v[99:100], v[97:98]
	v_rcp_f64_e32 v[103:104], v[101:102]
	v_fma_f64 v[105:106], -v[101:102], v[103:104], 1.0
	v_fma_f64 v[103:104], v[103:104], v[105:106], v[103:104]
	v_div_scale_f64 v[105:106], vcc, v[97:98], v[99:100], v[97:98]
	v_fma_f64 v[107:108], -v[101:102], v[103:104], 1.0
	v_fma_f64 v[103:104], v[103:104], v[107:108], v[103:104]
	v_mul_f64 v[107:108], v[105:106], v[103:104]
	v_fma_f64 v[101:102], -v[101:102], v[107:108], v[105:106]
	v_div_fmas_f64 v[101:102], v[101:102], v[103:104], v[107:108]
	v_div_fixup_f64 v[101:102], v[101:102], v[99:100], v[97:98]
	v_fma_f64 v[97:98], v[97:98], v[101:102], v[99:100]
	v_div_scale_f64 v[99:100], s[6:7], v[97:98], v[97:98], 1.0
	v_div_scale_f64 v[107:108], vcc, 1.0, v[97:98], 1.0
	v_rcp_f64_e32 v[103:104], v[99:100]
	v_fma_f64 v[105:106], -v[99:100], v[103:104], 1.0
	v_fma_f64 v[103:104], v[103:104], v[105:106], v[103:104]
	v_fma_f64 v[105:106], -v[99:100], v[103:104], 1.0
	v_fma_f64 v[103:104], v[103:104], v[105:106], v[103:104]
	v_mul_f64 v[105:106], v[107:108], v[103:104]
	v_fma_f64 v[99:100], -v[99:100], v[105:106], v[107:108]
	v_div_fmas_f64 v[99:100], v[99:100], v[103:104], v[105:106]
	v_div_fixup_f64 v[103:104], v[99:100], v[97:98], 1.0
                                        ; implicit-def: $vgpr97_vgpr98
	v_mul_f64 v[101:102], v[101:102], v[103:104]
	v_xor_b32_e32 v104, 0x80000000, v104
.LBB103_293:
	s_andn2_saveexec_b64 s[2:3], s[2:3]
	s_cbranch_execz .LBB103_295
; %bb.294:
	v_div_scale_f64 v[101:102], s[6:7], v[97:98], v[97:98], v[99:100]
	v_rcp_f64_e32 v[103:104], v[101:102]
	v_fma_f64 v[105:106], -v[101:102], v[103:104], 1.0
	v_fma_f64 v[103:104], v[103:104], v[105:106], v[103:104]
	v_div_scale_f64 v[105:106], vcc, v[99:100], v[97:98], v[99:100]
	v_fma_f64 v[107:108], -v[101:102], v[103:104], 1.0
	v_fma_f64 v[103:104], v[103:104], v[107:108], v[103:104]
	v_mul_f64 v[107:108], v[105:106], v[103:104]
	v_fma_f64 v[101:102], -v[101:102], v[107:108], v[105:106]
	v_div_fmas_f64 v[101:102], v[101:102], v[103:104], v[107:108]
	v_div_fixup_f64 v[103:104], v[101:102], v[97:98], v[99:100]
	v_fma_f64 v[97:98], v[99:100], v[103:104], v[97:98]
	v_div_scale_f64 v[99:100], s[6:7], v[97:98], v[97:98], 1.0
	v_div_scale_f64 v[107:108], vcc, 1.0, v[97:98], 1.0
	v_rcp_f64_e32 v[101:102], v[99:100]
	v_fma_f64 v[105:106], -v[99:100], v[101:102], 1.0
	v_fma_f64 v[101:102], v[101:102], v[105:106], v[101:102]
	v_fma_f64 v[105:106], -v[99:100], v[101:102], 1.0
	v_fma_f64 v[101:102], v[101:102], v[105:106], v[101:102]
	v_mul_f64 v[105:106], v[107:108], v[101:102]
	v_fma_f64 v[99:100], -v[99:100], v[105:106], v[107:108]
	v_div_fmas_f64 v[99:100], v[99:100], v[101:102], v[105:106]
	v_div_fixup_f64 v[101:102], v[99:100], v[97:98], 1.0
	v_mul_f64 v[103:104], v[103:104], -v[101:102]
.LBB103_295:
	s_or_b64 exec, exec, s[2:3]
	ds_write2_b64 v127, v[101:102], v[103:104] offset1:1
.LBB103_296:
	s_or_b64 exec, exec, s[4:5]
	s_waitcnt lgkmcnt(0)
	s_barrier
	ds_read2_b64 v[69:72], v127 offset1:1
	v_cmp_lt_u32_e32 vcc, 32, v0
	s_waitcnt lgkmcnt(0)
	buffer_store_dword v69, off, s[20:23], 0 offset:1384 ; 4-byte Folded Spill
	s_nop 0
	buffer_store_dword v70, off, s[20:23], 0 offset:1388 ; 4-byte Folded Spill
	buffer_store_dword v71, off, s[20:23], 0 offset:1392 ; 4-byte Folded Spill
	;; [unrolled: 1-line block ×3, first 2 shown]
	s_and_saveexec_b64 s[2:3], vcc
	s_cbranch_execz .LBB103_298
; %bb.297:
	v_mov_b32_e32 v80, v76
	v_mov_b32_e32 v79, v75
	;; [unrolled: 1-line block ×4, first 2 shown]
	buffer_load_dword v73, off, s[20:23], 0 offset:16 ; 4-byte Folded Reload
	buffer_load_dword v74, off, s[20:23], 0 offset:20 ; 4-byte Folded Reload
	;; [unrolled: 1-line block ×8, first 2 shown]
	ds_read2_b64 v[99:102], v125 offset0:66 offset1:67
	s_waitcnt vmcnt(0)
	v_mul_f64 v[97:98], v[71:72], v[75:76]
	v_mul_f64 v[75:76], v[69:70], v[75:76]
	v_fma_f64 v[97:98], v[69:70], v[73:74], -v[97:98]
	v_fma_f64 v[75:76], v[71:72], v[73:74], v[75:76]
	buffer_load_dword v69, off, s[20:23], 0 ; 4-byte Folded Reload
	buffer_load_dword v70, off, s[20:23], 0 offset:4 ; 4-byte Folded Reload
	buffer_load_dword v71, off, s[20:23], 0 offset:8 ; 4-byte Folded Reload
	;; [unrolled: 1-line block ×3, first 2 shown]
	s_waitcnt lgkmcnt(0)
	v_mul_f64 v[73:74], v[101:102], v[75:76]
	v_fma_f64 v[73:74], v[99:100], v[97:98], -v[73:74]
	v_mul_f64 v[99:100], v[99:100], v[75:76]
	v_fma_f64 v[99:100], v[101:102], v[97:98], v[99:100]
	s_waitcnt vmcnt(2)
	v_add_f64 v[69:70], v[69:70], -v[73:74]
	s_waitcnt vmcnt(0)
	v_add_f64 v[71:72], v[71:72], -v[99:100]
	buffer_store_dword v69, off, s[20:23], 0 ; 4-byte Folded Spill
	s_nop 0
	buffer_store_dword v70, off, s[20:23], 0 offset:4 ; 4-byte Folded Spill
	buffer_store_dword v71, off, s[20:23], 0 offset:8 ; 4-byte Folded Spill
	;; [unrolled: 1-line block ×3, first 2 shown]
	ds_read2_b64 v[99:102], v125 offset0:68 offset1:69
	s_waitcnt lgkmcnt(0)
	v_mul_f64 v[73:74], v[101:102], v[75:76]
	v_fma_f64 v[73:74], v[99:100], v[97:98], -v[73:74]
	v_mul_f64 v[99:100], v[99:100], v[75:76]
	v_add_f64 v[65:66], v[65:66], -v[73:74]
	v_fma_f64 v[99:100], v[101:102], v[97:98], v[99:100]
	v_add_f64 v[67:68], v[67:68], -v[99:100]
	ds_read2_b64 v[99:102], v125 offset0:70 offset1:71
	s_waitcnt lgkmcnt(0)
	v_mul_f64 v[73:74], v[101:102], v[75:76]
	v_fma_f64 v[73:74], v[99:100], v[97:98], -v[73:74]
	v_mul_f64 v[99:100], v[99:100], v[75:76]
	v_add_f64 v[61:62], v[61:62], -v[73:74]
	v_fma_f64 v[99:100], v[101:102], v[97:98], v[99:100]
	v_add_f64 v[63:64], v[63:64], -v[99:100]
	;; [unrolled: 8-line block ×17, first 2 shown]
	ds_read2_b64 v[99:102], v125 offset0:102 offset1:103
	s_waitcnt lgkmcnt(0)
	v_mul_f64 v[73:74], v[101:102], v[75:76]
	v_fma_f64 v[73:74], v[99:100], v[97:98], -v[73:74]
	v_mul_f64 v[99:100], v[99:100], v[75:76]
	v_add_f64 v[77:78], v[77:78], -v[73:74]
	v_fma_f64 v[99:100], v[101:102], v[97:98], v[99:100]
	v_mov_b32_e32 v73, v97
	v_mov_b32_e32 v74, v98
	buffer_store_dword v73, off, s[20:23], 0 offset:16 ; 4-byte Folded Spill
	s_nop 0
	buffer_store_dword v74, off, s[20:23], 0 offset:20 ; 4-byte Folded Spill
	buffer_store_dword v75, off, s[20:23], 0 offset:24 ; 4-byte Folded Spill
	;; [unrolled: 1-line block ×3, first 2 shown]
	v_add_f64 v[79:80], v[79:80], -v[99:100]
	v_mov_b32_e32 v73, v77
	v_mov_b32_e32 v74, v78
	;; [unrolled: 1-line block ×4, first 2 shown]
.LBB103_298:
	s_or_b64 exec, exec, s[2:3]
	v_cmp_eq_u32_e32 vcc, 33, v0
	s_waitcnt vmcnt(0)
	s_barrier
	s_and_saveexec_b64 s[4:5], vcc
	s_cbranch_execz .LBB103_305
; %bb.299:
	buffer_load_dword v69, off, s[20:23], 0 ; 4-byte Folded Reload
	buffer_load_dword v70, off, s[20:23], 0 offset:4 ; 4-byte Folded Reload
	buffer_load_dword v71, off, s[20:23], 0 offset:8 ; 4-byte Folded Reload
	;; [unrolled: 1-line block ×3, first 2 shown]
	s_waitcnt vmcnt(0)
	ds_write2_b64 v127, v[69:70], v[71:72] offset1:1
	ds_write2_b64 v125, v[65:66], v[67:68] offset0:68 offset1:69
	ds_write2_b64 v125, v[61:62], v[63:64] offset0:70 offset1:71
	;; [unrolled: 1-line block ×18, first 2 shown]
	ds_read2_b64 v[97:100], v127 offset1:1
	s_waitcnt lgkmcnt(0)
	v_cmp_neq_f64_e32 vcc, 0, v[97:98]
	v_cmp_neq_f64_e64 s[2:3], 0, v[99:100]
	s_or_b64 s[2:3], vcc, s[2:3]
	s_and_b64 exec, exec, s[2:3]
	s_cbranch_execz .LBB103_305
; %bb.300:
	v_cmp_ngt_f64_e64 s[2:3], |v[97:98]|, |v[99:100]|
                                        ; implicit-def: $vgpr101_vgpr102
	s_and_saveexec_b64 s[6:7], s[2:3]
	s_xor_b64 s[2:3], exec, s[6:7]
                                        ; implicit-def: $vgpr103_vgpr104
	s_cbranch_execz .LBB103_302
; %bb.301:
	v_div_scale_f64 v[101:102], s[6:7], v[99:100], v[99:100], v[97:98]
	v_rcp_f64_e32 v[103:104], v[101:102]
	v_fma_f64 v[105:106], -v[101:102], v[103:104], 1.0
	v_fma_f64 v[103:104], v[103:104], v[105:106], v[103:104]
	v_div_scale_f64 v[105:106], vcc, v[97:98], v[99:100], v[97:98]
	v_fma_f64 v[107:108], -v[101:102], v[103:104], 1.0
	v_fma_f64 v[103:104], v[103:104], v[107:108], v[103:104]
	v_mul_f64 v[107:108], v[105:106], v[103:104]
	v_fma_f64 v[101:102], -v[101:102], v[107:108], v[105:106]
	v_div_fmas_f64 v[101:102], v[101:102], v[103:104], v[107:108]
	v_div_fixup_f64 v[101:102], v[101:102], v[99:100], v[97:98]
	v_fma_f64 v[97:98], v[97:98], v[101:102], v[99:100]
	v_div_scale_f64 v[99:100], s[6:7], v[97:98], v[97:98], 1.0
	v_div_scale_f64 v[107:108], vcc, 1.0, v[97:98], 1.0
	v_rcp_f64_e32 v[103:104], v[99:100]
	v_fma_f64 v[105:106], -v[99:100], v[103:104], 1.0
	v_fma_f64 v[103:104], v[103:104], v[105:106], v[103:104]
	v_fma_f64 v[105:106], -v[99:100], v[103:104], 1.0
	v_fma_f64 v[103:104], v[103:104], v[105:106], v[103:104]
	v_mul_f64 v[105:106], v[107:108], v[103:104]
	v_fma_f64 v[99:100], -v[99:100], v[105:106], v[107:108]
	v_div_fmas_f64 v[99:100], v[99:100], v[103:104], v[105:106]
	v_div_fixup_f64 v[103:104], v[99:100], v[97:98], 1.0
                                        ; implicit-def: $vgpr97_vgpr98
	v_mul_f64 v[101:102], v[101:102], v[103:104]
	v_xor_b32_e32 v104, 0x80000000, v104
.LBB103_302:
	s_andn2_saveexec_b64 s[2:3], s[2:3]
	s_cbranch_execz .LBB103_304
; %bb.303:
	v_div_scale_f64 v[101:102], s[6:7], v[97:98], v[97:98], v[99:100]
	v_rcp_f64_e32 v[103:104], v[101:102]
	v_fma_f64 v[105:106], -v[101:102], v[103:104], 1.0
	v_fma_f64 v[103:104], v[103:104], v[105:106], v[103:104]
	v_div_scale_f64 v[105:106], vcc, v[99:100], v[97:98], v[99:100]
	v_fma_f64 v[107:108], -v[101:102], v[103:104], 1.0
	v_fma_f64 v[103:104], v[103:104], v[107:108], v[103:104]
	v_mul_f64 v[107:108], v[105:106], v[103:104]
	v_fma_f64 v[101:102], -v[101:102], v[107:108], v[105:106]
	v_div_fmas_f64 v[101:102], v[101:102], v[103:104], v[107:108]
	v_div_fixup_f64 v[103:104], v[101:102], v[97:98], v[99:100]
	v_fma_f64 v[97:98], v[99:100], v[103:104], v[97:98]
	v_div_scale_f64 v[99:100], s[6:7], v[97:98], v[97:98], 1.0
	v_div_scale_f64 v[107:108], vcc, 1.0, v[97:98], 1.0
	v_rcp_f64_e32 v[101:102], v[99:100]
	v_fma_f64 v[105:106], -v[99:100], v[101:102], 1.0
	v_fma_f64 v[101:102], v[101:102], v[105:106], v[101:102]
	v_fma_f64 v[105:106], -v[99:100], v[101:102], 1.0
	v_fma_f64 v[101:102], v[101:102], v[105:106], v[101:102]
	v_mul_f64 v[105:106], v[107:108], v[101:102]
	v_fma_f64 v[99:100], -v[99:100], v[105:106], v[107:108]
	v_div_fmas_f64 v[99:100], v[99:100], v[101:102], v[105:106]
	v_div_fixup_f64 v[101:102], v[99:100], v[97:98], 1.0
	v_mul_f64 v[103:104], v[103:104], -v[101:102]
.LBB103_304:
	s_or_b64 exec, exec, s[2:3]
	ds_write2_b64 v127, v[101:102], v[103:104] offset1:1
.LBB103_305:
	s_or_b64 exec, exec, s[4:5]
	s_waitcnt lgkmcnt(0)
	s_barrier
	ds_read2_b64 v[69:72], v127 offset1:1
	v_cmp_lt_u32_e32 vcc, 33, v0
	s_waitcnt lgkmcnt(0)
	buffer_store_dword v69, off, s[20:23], 0 offset:1400 ; 4-byte Folded Spill
	s_nop 0
	buffer_store_dword v70, off, s[20:23], 0 offset:1404 ; 4-byte Folded Spill
	buffer_store_dword v71, off, s[20:23], 0 offset:1408 ; 4-byte Folded Spill
	;; [unrolled: 1-line block ×3, first 2 shown]
	s_and_saveexec_b64 s[2:3], vcc
	s_cbranch_execz .LBB103_307
; %bb.306:
	buffer_load_dword v69, off, s[20:23], 0 ; 4-byte Folded Reload
	buffer_load_dword v70, off, s[20:23], 0 offset:4 ; 4-byte Folded Reload
	buffer_load_dword v71, off, s[20:23], 0 offset:8 ; 4-byte Folded Reload
	;; [unrolled: 1-line block ×7, first 2 shown]
	ds_read2_b64 v[99:102], v125 offset0:68 offset1:69
	s_waitcnt vmcnt(0)
	v_mul_f64 v[97:98], v[79:80], v[71:72]
	v_mul_f64 v[71:72], v[77:78], v[71:72]
	v_fma_f64 v[97:98], v[77:78], v[69:70], -v[97:98]
	v_fma_f64 v[71:72], v[79:80], v[69:70], v[71:72]
	s_waitcnt lgkmcnt(0)
	v_mul_f64 v[69:70], v[101:102], v[71:72]
	v_fma_f64 v[69:70], v[99:100], v[97:98], -v[69:70]
	v_mul_f64 v[99:100], v[99:100], v[71:72]
	v_add_f64 v[65:66], v[65:66], -v[69:70]
	v_fma_f64 v[99:100], v[101:102], v[97:98], v[99:100]
	v_add_f64 v[67:68], v[67:68], -v[99:100]
	ds_read2_b64 v[99:102], v125 offset0:70 offset1:71
	s_waitcnt lgkmcnt(0)
	v_mul_f64 v[69:70], v[101:102], v[71:72]
	v_fma_f64 v[69:70], v[99:100], v[97:98], -v[69:70]
	v_mul_f64 v[99:100], v[99:100], v[71:72]
	v_add_f64 v[61:62], v[61:62], -v[69:70]
	v_fma_f64 v[99:100], v[101:102], v[97:98], v[99:100]
	v_add_f64 v[63:64], v[63:64], -v[99:100]
	ds_read2_b64 v[99:102], v125 offset0:72 offset1:73
	;; [unrolled: 8-line block ×17, first 2 shown]
	s_waitcnt lgkmcnt(0)
	v_mul_f64 v[69:70], v[101:102], v[71:72]
	v_fma_f64 v[69:70], v[99:100], v[97:98], -v[69:70]
	v_mul_f64 v[99:100], v[99:100], v[71:72]
	v_add_f64 v[73:74], v[73:74], -v[69:70]
	v_fma_f64 v[99:100], v[101:102], v[97:98], v[99:100]
	v_mov_b32_e32 v69, v97
	v_mov_b32_e32 v70, v98
	buffer_store_dword v69, off, s[20:23], 0 ; 4-byte Folded Spill
	s_nop 0
	buffer_store_dword v70, off, s[20:23], 0 offset:4 ; 4-byte Folded Spill
	buffer_store_dword v71, off, s[20:23], 0 offset:8 ; 4-byte Folded Spill
	;; [unrolled: 1-line block ×3, first 2 shown]
	v_add_f64 v[75:76], v[75:76], -v[99:100]
.LBB103_307:
	s_or_b64 exec, exec, s[2:3]
	v_cmp_eq_u32_e32 vcc, 34, v0
	s_waitcnt vmcnt(0)
	s_barrier
	s_and_saveexec_b64 s[4:5], vcc
	s_cbranch_execz .LBB103_314
; %bb.308:
	ds_write2_b64 v127, v[65:66], v[67:68] offset1:1
	ds_write2_b64 v125, v[61:62], v[63:64] offset0:70 offset1:71
	ds_write2_b64 v125, v[57:58], v[59:60] offset0:72 offset1:73
	;; [unrolled: 1-line block ×17, first 2 shown]
	ds_read2_b64 v[97:100], v127 offset1:1
	s_waitcnt lgkmcnt(0)
	v_cmp_neq_f64_e32 vcc, 0, v[97:98]
	v_cmp_neq_f64_e64 s[2:3], 0, v[99:100]
	s_or_b64 s[2:3], vcc, s[2:3]
	s_and_b64 exec, exec, s[2:3]
	s_cbranch_execz .LBB103_314
; %bb.309:
	v_cmp_ngt_f64_e64 s[2:3], |v[97:98]|, |v[99:100]|
                                        ; implicit-def: $vgpr101_vgpr102
	s_and_saveexec_b64 s[6:7], s[2:3]
	s_xor_b64 s[2:3], exec, s[6:7]
                                        ; implicit-def: $vgpr103_vgpr104
	s_cbranch_execz .LBB103_311
; %bb.310:
	v_div_scale_f64 v[101:102], s[6:7], v[99:100], v[99:100], v[97:98]
	v_rcp_f64_e32 v[103:104], v[101:102]
	v_fma_f64 v[105:106], -v[101:102], v[103:104], 1.0
	v_fma_f64 v[103:104], v[103:104], v[105:106], v[103:104]
	v_div_scale_f64 v[105:106], vcc, v[97:98], v[99:100], v[97:98]
	v_fma_f64 v[107:108], -v[101:102], v[103:104], 1.0
	v_fma_f64 v[103:104], v[103:104], v[107:108], v[103:104]
	v_mul_f64 v[107:108], v[105:106], v[103:104]
	v_fma_f64 v[101:102], -v[101:102], v[107:108], v[105:106]
	v_div_fmas_f64 v[101:102], v[101:102], v[103:104], v[107:108]
	v_div_fixup_f64 v[101:102], v[101:102], v[99:100], v[97:98]
	v_fma_f64 v[97:98], v[97:98], v[101:102], v[99:100]
	v_div_scale_f64 v[99:100], s[6:7], v[97:98], v[97:98], 1.0
	v_div_scale_f64 v[107:108], vcc, 1.0, v[97:98], 1.0
	v_rcp_f64_e32 v[103:104], v[99:100]
	v_fma_f64 v[105:106], -v[99:100], v[103:104], 1.0
	v_fma_f64 v[103:104], v[103:104], v[105:106], v[103:104]
	v_fma_f64 v[105:106], -v[99:100], v[103:104], 1.0
	v_fma_f64 v[103:104], v[103:104], v[105:106], v[103:104]
	v_mul_f64 v[105:106], v[107:108], v[103:104]
	v_fma_f64 v[99:100], -v[99:100], v[105:106], v[107:108]
	v_div_fmas_f64 v[99:100], v[99:100], v[103:104], v[105:106]
	v_div_fixup_f64 v[103:104], v[99:100], v[97:98], 1.0
                                        ; implicit-def: $vgpr97_vgpr98
	v_mul_f64 v[101:102], v[101:102], v[103:104]
	v_xor_b32_e32 v104, 0x80000000, v104
.LBB103_311:
	s_andn2_saveexec_b64 s[2:3], s[2:3]
	s_cbranch_execz .LBB103_313
; %bb.312:
	v_div_scale_f64 v[101:102], s[6:7], v[97:98], v[97:98], v[99:100]
	v_rcp_f64_e32 v[103:104], v[101:102]
	v_fma_f64 v[105:106], -v[101:102], v[103:104], 1.0
	v_fma_f64 v[103:104], v[103:104], v[105:106], v[103:104]
	v_div_scale_f64 v[105:106], vcc, v[99:100], v[97:98], v[99:100]
	v_fma_f64 v[107:108], -v[101:102], v[103:104], 1.0
	v_fma_f64 v[103:104], v[103:104], v[107:108], v[103:104]
	v_mul_f64 v[107:108], v[105:106], v[103:104]
	v_fma_f64 v[101:102], -v[101:102], v[107:108], v[105:106]
	v_div_fmas_f64 v[101:102], v[101:102], v[103:104], v[107:108]
	v_div_fixup_f64 v[103:104], v[101:102], v[97:98], v[99:100]
	v_fma_f64 v[97:98], v[99:100], v[103:104], v[97:98]
	v_div_scale_f64 v[99:100], s[6:7], v[97:98], v[97:98], 1.0
	v_div_scale_f64 v[107:108], vcc, 1.0, v[97:98], 1.0
	v_rcp_f64_e32 v[101:102], v[99:100]
	v_fma_f64 v[105:106], -v[99:100], v[101:102], 1.0
	v_fma_f64 v[101:102], v[101:102], v[105:106], v[101:102]
	v_fma_f64 v[105:106], -v[99:100], v[101:102], 1.0
	v_fma_f64 v[101:102], v[101:102], v[105:106], v[101:102]
	v_mul_f64 v[105:106], v[107:108], v[101:102]
	v_fma_f64 v[99:100], -v[99:100], v[105:106], v[107:108]
	v_div_fmas_f64 v[99:100], v[99:100], v[101:102], v[105:106]
	v_div_fixup_f64 v[101:102], v[99:100], v[97:98], 1.0
	v_mul_f64 v[103:104], v[103:104], -v[101:102]
.LBB103_313:
	s_or_b64 exec, exec, s[2:3]
	ds_write2_b64 v127, v[101:102], v[103:104] offset1:1
.LBB103_314:
	s_or_b64 exec, exec, s[4:5]
	s_waitcnt lgkmcnt(0)
	s_barrier
	ds_read2_b64 v[69:72], v127 offset1:1
	v_cmp_lt_u32_e32 vcc, 34, v0
	s_waitcnt lgkmcnt(0)
	buffer_store_dword v69, off, s[20:23], 0 offset:1416 ; 4-byte Folded Spill
	s_nop 0
	buffer_store_dword v70, off, s[20:23], 0 offset:1420 ; 4-byte Folded Spill
	buffer_store_dword v71, off, s[20:23], 0 offset:1424 ; 4-byte Folded Spill
	;; [unrolled: 1-line block ×3, first 2 shown]
	s_and_saveexec_b64 s[2:3], vcc
	s_cbranch_execz .LBB103_316
; %bb.315:
	buffer_load_dword v69, off, s[20:23], 0 offset:1416 ; 4-byte Folded Reload
	buffer_load_dword v70, off, s[20:23], 0 offset:1420 ; 4-byte Folded Reload
	buffer_load_dword v71, off, s[20:23], 0 offset:1424 ; 4-byte Folded Reload
	buffer_load_dword v72, off, s[20:23], 0 offset:1428 ; 4-byte Folded Reload
	ds_read2_b64 v[99:102], v125 offset0:70 offset1:71
	s_waitcnt vmcnt(0)
	v_mul_f64 v[97:98], v[71:72], v[67:68]
	v_mul_f64 v[67:68], v[69:70], v[67:68]
	v_fma_f64 v[97:98], v[69:70], v[65:66], -v[97:98]
	v_fma_f64 v[67:68], v[71:72], v[65:66], v[67:68]
	s_waitcnt lgkmcnt(0)
	v_mul_f64 v[65:66], v[101:102], v[67:68]
	v_fma_f64 v[65:66], v[99:100], v[97:98], -v[65:66]
	v_mul_f64 v[99:100], v[99:100], v[67:68]
	v_add_f64 v[61:62], v[61:62], -v[65:66]
	v_fma_f64 v[99:100], v[101:102], v[97:98], v[99:100]
	v_add_f64 v[63:64], v[63:64], -v[99:100]
	ds_read2_b64 v[99:102], v125 offset0:72 offset1:73
	s_waitcnt lgkmcnt(0)
	v_mul_f64 v[65:66], v[101:102], v[67:68]
	v_fma_f64 v[65:66], v[99:100], v[97:98], -v[65:66]
	v_mul_f64 v[99:100], v[99:100], v[67:68]
	v_add_f64 v[57:58], v[57:58], -v[65:66]
	v_fma_f64 v[99:100], v[101:102], v[97:98], v[99:100]
	v_add_f64 v[59:60], v[59:60], -v[99:100]
	ds_read2_b64 v[99:102], v125 offset0:74 offset1:75
	;; [unrolled: 8-line block ×16, first 2 shown]
	s_waitcnt lgkmcnt(0)
	v_mul_f64 v[65:66], v[101:102], v[67:68]
	v_fma_f64 v[65:66], v[99:100], v[97:98], -v[65:66]
	v_mul_f64 v[99:100], v[99:100], v[67:68]
	v_add_f64 v[73:74], v[73:74], -v[65:66]
	v_fma_f64 v[99:100], v[101:102], v[97:98], v[99:100]
	v_mov_b32_e32 v65, v97
	v_mov_b32_e32 v66, v98
	v_add_f64 v[75:76], v[75:76], -v[99:100]
.LBB103_316:
	s_or_b64 exec, exec, s[2:3]
	v_cmp_eq_u32_e32 vcc, 35, v0
	s_waitcnt vmcnt(0)
	s_barrier
	s_and_saveexec_b64 s[4:5], vcc
	s_cbranch_execz .LBB103_323
; %bb.317:
	ds_write2_b64 v127, v[61:62], v[63:64] offset1:1
	ds_write2_b64 v125, v[57:58], v[59:60] offset0:72 offset1:73
	ds_write2_b64 v125, v[53:54], v[55:56] offset0:74 offset1:75
	;; [unrolled: 1-line block ×16, first 2 shown]
	ds_read2_b64 v[97:100], v127 offset1:1
	s_waitcnt lgkmcnt(0)
	v_cmp_neq_f64_e32 vcc, 0, v[97:98]
	v_cmp_neq_f64_e64 s[2:3], 0, v[99:100]
	s_or_b64 s[2:3], vcc, s[2:3]
	s_and_b64 exec, exec, s[2:3]
	s_cbranch_execz .LBB103_323
; %bb.318:
	v_cmp_ngt_f64_e64 s[2:3], |v[97:98]|, |v[99:100]|
                                        ; implicit-def: $vgpr101_vgpr102
	s_and_saveexec_b64 s[6:7], s[2:3]
	s_xor_b64 s[2:3], exec, s[6:7]
                                        ; implicit-def: $vgpr103_vgpr104
	s_cbranch_execz .LBB103_320
; %bb.319:
	v_div_scale_f64 v[101:102], s[6:7], v[99:100], v[99:100], v[97:98]
	v_rcp_f64_e32 v[103:104], v[101:102]
	v_fma_f64 v[105:106], -v[101:102], v[103:104], 1.0
	v_fma_f64 v[103:104], v[103:104], v[105:106], v[103:104]
	v_div_scale_f64 v[105:106], vcc, v[97:98], v[99:100], v[97:98]
	v_fma_f64 v[107:108], -v[101:102], v[103:104], 1.0
	v_fma_f64 v[103:104], v[103:104], v[107:108], v[103:104]
	v_mul_f64 v[107:108], v[105:106], v[103:104]
	v_fma_f64 v[101:102], -v[101:102], v[107:108], v[105:106]
	v_div_fmas_f64 v[101:102], v[101:102], v[103:104], v[107:108]
	v_div_fixup_f64 v[101:102], v[101:102], v[99:100], v[97:98]
	v_fma_f64 v[97:98], v[97:98], v[101:102], v[99:100]
	v_div_scale_f64 v[99:100], s[6:7], v[97:98], v[97:98], 1.0
	v_div_scale_f64 v[107:108], vcc, 1.0, v[97:98], 1.0
	v_rcp_f64_e32 v[103:104], v[99:100]
	v_fma_f64 v[105:106], -v[99:100], v[103:104], 1.0
	v_fma_f64 v[103:104], v[103:104], v[105:106], v[103:104]
	v_fma_f64 v[105:106], -v[99:100], v[103:104], 1.0
	v_fma_f64 v[103:104], v[103:104], v[105:106], v[103:104]
	v_mul_f64 v[105:106], v[107:108], v[103:104]
	v_fma_f64 v[99:100], -v[99:100], v[105:106], v[107:108]
	v_div_fmas_f64 v[99:100], v[99:100], v[103:104], v[105:106]
	v_div_fixup_f64 v[103:104], v[99:100], v[97:98], 1.0
                                        ; implicit-def: $vgpr97_vgpr98
	v_mul_f64 v[101:102], v[101:102], v[103:104]
	v_xor_b32_e32 v104, 0x80000000, v104
.LBB103_320:
	s_andn2_saveexec_b64 s[2:3], s[2:3]
	s_cbranch_execz .LBB103_322
; %bb.321:
	v_div_scale_f64 v[101:102], s[6:7], v[97:98], v[97:98], v[99:100]
	v_rcp_f64_e32 v[103:104], v[101:102]
	v_fma_f64 v[105:106], -v[101:102], v[103:104], 1.0
	v_fma_f64 v[103:104], v[103:104], v[105:106], v[103:104]
	v_div_scale_f64 v[105:106], vcc, v[99:100], v[97:98], v[99:100]
	v_fma_f64 v[107:108], -v[101:102], v[103:104], 1.0
	v_fma_f64 v[103:104], v[103:104], v[107:108], v[103:104]
	v_mul_f64 v[107:108], v[105:106], v[103:104]
	v_fma_f64 v[101:102], -v[101:102], v[107:108], v[105:106]
	v_div_fmas_f64 v[101:102], v[101:102], v[103:104], v[107:108]
	v_div_fixup_f64 v[103:104], v[101:102], v[97:98], v[99:100]
	v_fma_f64 v[97:98], v[99:100], v[103:104], v[97:98]
	v_div_scale_f64 v[99:100], s[6:7], v[97:98], v[97:98], 1.0
	v_div_scale_f64 v[107:108], vcc, 1.0, v[97:98], 1.0
	v_rcp_f64_e32 v[101:102], v[99:100]
	v_fma_f64 v[105:106], -v[99:100], v[101:102], 1.0
	v_fma_f64 v[101:102], v[101:102], v[105:106], v[101:102]
	v_fma_f64 v[105:106], -v[99:100], v[101:102], 1.0
	v_fma_f64 v[101:102], v[101:102], v[105:106], v[101:102]
	v_mul_f64 v[105:106], v[107:108], v[101:102]
	v_fma_f64 v[99:100], -v[99:100], v[105:106], v[107:108]
	v_div_fmas_f64 v[99:100], v[99:100], v[101:102], v[105:106]
	v_div_fixup_f64 v[101:102], v[99:100], v[97:98], 1.0
	v_mul_f64 v[103:104], v[103:104], -v[101:102]
.LBB103_322:
	s_or_b64 exec, exec, s[2:3]
	ds_write2_b64 v127, v[101:102], v[103:104] offset1:1
.LBB103_323:
	s_or_b64 exec, exec, s[4:5]
	s_waitcnt lgkmcnt(0)
	s_barrier
	ds_read2_b64 v[69:72], v127 offset1:1
	v_cmp_lt_u32_e32 vcc, 35, v0
	s_waitcnt lgkmcnt(0)
	buffer_store_dword v69, off, s[20:23], 0 offset:1432 ; 4-byte Folded Spill
	s_nop 0
	buffer_store_dword v70, off, s[20:23], 0 offset:1436 ; 4-byte Folded Spill
	buffer_store_dword v71, off, s[20:23], 0 offset:1440 ; 4-byte Folded Spill
	;; [unrolled: 1-line block ×3, first 2 shown]
	s_and_saveexec_b64 s[2:3], vcc
	s_cbranch_execz .LBB103_325
; %bb.324:
	buffer_load_dword v69, off, s[20:23], 0 offset:1432 ; 4-byte Folded Reload
	buffer_load_dword v70, off, s[20:23], 0 offset:1436 ; 4-byte Folded Reload
	buffer_load_dword v71, off, s[20:23], 0 offset:1440 ; 4-byte Folded Reload
	buffer_load_dword v72, off, s[20:23], 0 offset:1444 ; 4-byte Folded Reload
	ds_read2_b64 v[99:102], v125 offset0:72 offset1:73
	s_waitcnt vmcnt(2)
	v_mul_f64 v[97:98], v[69:70], v[63:64]
	s_waitcnt vmcnt(0)
	v_mul_f64 v[63:64], v[71:72], v[63:64]
	v_fma_f64 v[97:98], v[71:72], v[61:62], v[97:98]
	v_fma_f64 v[61:62], v[69:70], v[61:62], -v[63:64]
	s_waitcnt lgkmcnt(0)
	v_mul_f64 v[63:64], v[101:102], v[97:98]
	v_fma_f64 v[63:64], v[99:100], v[61:62], -v[63:64]
	v_mul_f64 v[99:100], v[99:100], v[97:98]
	v_add_f64 v[57:58], v[57:58], -v[63:64]
	v_fma_f64 v[99:100], v[101:102], v[61:62], v[99:100]
	v_add_f64 v[59:60], v[59:60], -v[99:100]
	ds_read2_b64 v[99:102], v125 offset0:74 offset1:75
	s_waitcnt lgkmcnt(0)
	v_mul_f64 v[63:64], v[101:102], v[97:98]
	v_fma_f64 v[63:64], v[99:100], v[61:62], -v[63:64]
	v_mul_f64 v[99:100], v[99:100], v[97:98]
	v_add_f64 v[53:54], v[53:54], -v[63:64]
	v_fma_f64 v[99:100], v[101:102], v[61:62], v[99:100]
	v_add_f64 v[55:56], v[55:56], -v[99:100]
	ds_read2_b64 v[99:102], v125 offset0:76 offset1:77
	;; [unrolled: 8-line block ×15, first 2 shown]
	s_waitcnt lgkmcnt(0)
	v_mul_f64 v[63:64], v[101:102], v[97:98]
	v_fma_f64 v[63:64], v[99:100], v[61:62], -v[63:64]
	v_mul_f64 v[99:100], v[99:100], v[97:98]
	v_add_f64 v[73:74], v[73:74], -v[63:64]
	v_fma_f64 v[99:100], v[101:102], v[61:62], v[99:100]
	v_mov_b32_e32 v63, v97
	v_mov_b32_e32 v64, v98
	v_add_f64 v[75:76], v[75:76], -v[99:100]
.LBB103_325:
	s_or_b64 exec, exec, s[2:3]
	v_cmp_eq_u32_e32 vcc, 36, v0
	s_waitcnt vmcnt(0)
	s_barrier
	s_and_saveexec_b64 s[4:5], vcc
	s_cbranch_execz .LBB103_332
; %bb.326:
	ds_write2_b64 v127, v[57:58], v[59:60] offset1:1
	ds_write2_b64 v125, v[53:54], v[55:56] offset0:74 offset1:75
	ds_write2_b64 v125, v[49:50], v[51:52] offset0:76 offset1:77
	;; [unrolled: 1-line block ×15, first 2 shown]
	ds_read2_b64 v[97:100], v127 offset1:1
	s_waitcnt lgkmcnt(0)
	v_cmp_neq_f64_e32 vcc, 0, v[97:98]
	v_cmp_neq_f64_e64 s[2:3], 0, v[99:100]
	s_or_b64 s[2:3], vcc, s[2:3]
	s_and_b64 exec, exec, s[2:3]
	s_cbranch_execz .LBB103_332
; %bb.327:
	v_cmp_ngt_f64_e64 s[2:3], |v[97:98]|, |v[99:100]|
                                        ; implicit-def: $vgpr101_vgpr102
	s_and_saveexec_b64 s[6:7], s[2:3]
	s_xor_b64 s[2:3], exec, s[6:7]
                                        ; implicit-def: $vgpr103_vgpr104
	s_cbranch_execz .LBB103_329
; %bb.328:
	v_div_scale_f64 v[101:102], s[6:7], v[99:100], v[99:100], v[97:98]
	v_rcp_f64_e32 v[103:104], v[101:102]
	v_fma_f64 v[105:106], -v[101:102], v[103:104], 1.0
	v_fma_f64 v[103:104], v[103:104], v[105:106], v[103:104]
	v_div_scale_f64 v[105:106], vcc, v[97:98], v[99:100], v[97:98]
	v_fma_f64 v[107:108], -v[101:102], v[103:104], 1.0
	v_fma_f64 v[103:104], v[103:104], v[107:108], v[103:104]
	v_mul_f64 v[107:108], v[105:106], v[103:104]
	v_fma_f64 v[101:102], -v[101:102], v[107:108], v[105:106]
	v_div_fmas_f64 v[101:102], v[101:102], v[103:104], v[107:108]
	v_div_fixup_f64 v[101:102], v[101:102], v[99:100], v[97:98]
	v_fma_f64 v[97:98], v[97:98], v[101:102], v[99:100]
	v_div_scale_f64 v[99:100], s[6:7], v[97:98], v[97:98], 1.0
	v_div_scale_f64 v[107:108], vcc, 1.0, v[97:98], 1.0
	v_rcp_f64_e32 v[103:104], v[99:100]
	v_fma_f64 v[105:106], -v[99:100], v[103:104], 1.0
	v_fma_f64 v[103:104], v[103:104], v[105:106], v[103:104]
	v_fma_f64 v[105:106], -v[99:100], v[103:104], 1.0
	v_fma_f64 v[103:104], v[103:104], v[105:106], v[103:104]
	v_mul_f64 v[105:106], v[107:108], v[103:104]
	v_fma_f64 v[99:100], -v[99:100], v[105:106], v[107:108]
	v_div_fmas_f64 v[99:100], v[99:100], v[103:104], v[105:106]
	v_div_fixup_f64 v[103:104], v[99:100], v[97:98], 1.0
                                        ; implicit-def: $vgpr97_vgpr98
	v_mul_f64 v[101:102], v[101:102], v[103:104]
	v_xor_b32_e32 v104, 0x80000000, v104
.LBB103_329:
	s_andn2_saveexec_b64 s[2:3], s[2:3]
	s_cbranch_execz .LBB103_331
; %bb.330:
	v_div_scale_f64 v[101:102], s[6:7], v[97:98], v[97:98], v[99:100]
	v_rcp_f64_e32 v[103:104], v[101:102]
	v_fma_f64 v[105:106], -v[101:102], v[103:104], 1.0
	v_fma_f64 v[103:104], v[103:104], v[105:106], v[103:104]
	v_div_scale_f64 v[105:106], vcc, v[99:100], v[97:98], v[99:100]
	v_fma_f64 v[107:108], -v[101:102], v[103:104], 1.0
	v_fma_f64 v[103:104], v[103:104], v[107:108], v[103:104]
	v_mul_f64 v[107:108], v[105:106], v[103:104]
	v_fma_f64 v[101:102], -v[101:102], v[107:108], v[105:106]
	v_div_fmas_f64 v[101:102], v[101:102], v[103:104], v[107:108]
	v_div_fixup_f64 v[103:104], v[101:102], v[97:98], v[99:100]
	v_fma_f64 v[97:98], v[99:100], v[103:104], v[97:98]
	v_div_scale_f64 v[99:100], s[6:7], v[97:98], v[97:98], 1.0
	v_div_scale_f64 v[107:108], vcc, 1.0, v[97:98], 1.0
	v_rcp_f64_e32 v[101:102], v[99:100]
	v_fma_f64 v[105:106], -v[99:100], v[101:102], 1.0
	v_fma_f64 v[101:102], v[101:102], v[105:106], v[101:102]
	v_fma_f64 v[105:106], -v[99:100], v[101:102], 1.0
	v_fma_f64 v[101:102], v[101:102], v[105:106], v[101:102]
	v_mul_f64 v[105:106], v[107:108], v[101:102]
	v_fma_f64 v[99:100], -v[99:100], v[105:106], v[107:108]
	v_div_fmas_f64 v[99:100], v[99:100], v[101:102], v[105:106]
	v_div_fixup_f64 v[101:102], v[99:100], v[97:98], 1.0
	v_mul_f64 v[103:104], v[103:104], -v[101:102]
.LBB103_331:
	s_or_b64 exec, exec, s[2:3]
	ds_write2_b64 v127, v[101:102], v[103:104] offset1:1
.LBB103_332:
	s_or_b64 exec, exec, s[4:5]
	s_waitcnt lgkmcnt(0)
	s_barrier
	ds_read2_b64 v[69:72], v127 offset1:1
	v_cmp_lt_u32_e32 vcc, 36, v0
	s_waitcnt lgkmcnt(0)
	buffer_store_dword v69, off, s[20:23], 0 offset:1448 ; 4-byte Folded Spill
	s_nop 0
	buffer_store_dword v70, off, s[20:23], 0 offset:1452 ; 4-byte Folded Spill
	buffer_store_dword v71, off, s[20:23], 0 offset:1456 ; 4-byte Folded Spill
	;; [unrolled: 1-line block ×3, first 2 shown]
	s_and_saveexec_b64 s[2:3], vcc
	s_cbranch_execz .LBB103_334
; %bb.333:
	buffer_load_dword v69, off, s[20:23], 0 offset:1448 ; 4-byte Folded Reload
	buffer_load_dword v70, off, s[20:23], 0 offset:1452 ; 4-byte Folded Reload
	buffer_load_dword v71, off, s[20:23], 0 offset:1456 ; 4-byte Folded Reload
	buffer_load_dword v72, off, s[20:23], 0 offset:1460 ; 4-byte Folded Reload
	ds_read2_b64 v[99:102], v125 offset0:74 offset1:75
	s_waitcnt vmcnt(2)
	v_mul_f64 v[97:98], v[69:70], v[59:60]
	s_waitcnt vmcnt(0)
	v_mul_f64 v[59:60], v[71:72], v[59:60]
	v_fma_f64 v[97:98], v[71:72], v[57:58], v[97:98]
	v_fma_f64 v[57:58], v[69:70], v[57:58], -v[59:60]
	s_waitcnt lgkmcnt(0)
	v_mul_f64 v[59:60], v[101:102], v[97:98]
	v_fma_f64 v[59:60], v[99:100], v[57:58], -v[59:60]
	v_mul_f64 v[99:100], v[99:100], v[97:98]
	v_add_f64 v[53:54], v[53:54], -v[59:60]
	v_fma_f64 v[99:100], v[101:102], v[57:58], v[99:100]
	v_add_f64 v[55:56], v[55:56], -v[99:100]
	ds_read2_b64 v[99:102], v125 offset0:76 offset1:77
	s_waitcnt lgkmcnt(0)
	v_mul_f64 v[59:60], v[101:102], v[97:98]
	v_fma_f64 v[59:60], v[99:100], v[57:58], -v[59:60]
	v_mul_f64 v[99:100], v[99:100], v[97:98]
	v_add_f64 v[49:50], v[49:50], -v[59:60]
	v_fma_f64 v[99:100], v[101:102], v[57:58], v[99:100]
	v_add_f64 v[51:52], v[51:52], -v[99:100]
	ds_read2_b64 v[99:102], v125 offset0:78 offset1:79
	;; [unrolled: 8-line block ×14, first 2 shown]
	s_waitcnt lgkmcnt(0)
	v_mul_f64 v[59:60], v[101:102], v[97:98]
	v_fma_f64 v[59:60], v[99:100], v[57:58], -v[59:60]
	v_mul_f64 v[99:100], v[99:100], v[97:98]
	v_add_f64 v[73:74], v[73:74], -v[59:60]
	v_fma_f64 v[99:100], v[101:102], v[57:58], v[99:100]
	v_mov_b32_e32 v59, v97
	v_mov_b32_e32 v60, v98
	v_add_f64 v[75:76], v[75:76], -v[99:100]
.LBB103_334:
	s_or_b64 exec, exec, s[2:3]
	v_cmp_eq_u32_e32 vcc, 37, v0
	s_waitcnt vmcnt(0)
	s_barrier
	s_and_saveexec_b64 s[4:5], vcc
	s_cbranch_execz .LBB103_341
; %bb.335:
	ds_write2_b64 v127, v[53:54], v[55:56] offset1:1
	ds_write2_b64 v125, v[49:50], v[51:52] offset0:76 offset1:77
	ds_write2_b64 v125, v[45:46], v[47:48] offset0:78 offset1:79
	;; [unrolled: 1-line block ×14, first 2 shown]
	ds_read2_b64 v[97:100], v127 offset1:1
	s_waitcnt lgkmcnt(0)
	v_cmp_neq_f64_e32 vcc, 0, v[97:98]
	v_cmp_neq_f64_e64 s[2:3], 0, v[99:100]
	s_or_b64 s[2:3], vcc, s[2:3]
	s_and_b64 exec, exec, s[2:3]
	s_cbranch_execz .LBB103_341
; %bb.336:
	v_cmp_ngt_f64_e64 s[2:3], |v[97:98]|, |v[99:100]|
                                        ; implicit-def: $vgpr101_vgpr102
	s_and_saveexec_b64 s[6:7], s[2:3]
	s_xor_b64 s[2:3], exec, s[6:7]
                                        ; implicit-def: $vgpr103_vgpr104
	s_cbranch_execz .LBB103_338
; %bb.337:
	v_div_scale_f64 v[101:102], s[6:7], v[99:100], v[99:100], v[97:98]
	v_rcp_f64_e32 v[103:104], v[101:102]
	v_fma_f64 v[105:106], -v[101:102], v[103:104], 1.0
	v_fma_f64 v[103:104], v[103:104], v[105:106], v[103:104]
	v_div_scale_f64 v[105:106], vcc, v[97:98], v[99:100], v[97:98]
	v_fma_f64 v[107:108], -v[101:102], v[103:104], 1.0
	v_fma_f64 v[103:104], v[103:104], v[107:108], v[103:104]
	v_mul_f64 v[107:108], v[105:106], v[103:104]
	v_fma_f64 v[101:102], -v[101:102], v[107:108], v[105:106]
	v_div_fmas_f64 v[101:102], v[101:102], v[103:104], v[107:108]
	v_div_fixup_f64 v[101:102], v[101:102], v[99:100], v[97:98]
	v_fma_f64 v[97:98], v[97:98], v[101:102], v[99:100]
	v_div_scale_f64 v[99:100], s[6:7], v[97:98], v[97:98], 1.0
	v_div_scale_f64 v[107:108], vcc, 1.0, v[97:98], 1.0
	v_rcp_f64_e32 v[103:104], v[99:100]
	v_fma_f64 v[105:106], -v[99:100], v[103:104], 1.0
	v_fma_f64 v[103:104], v[103:104], v[105:106], v[103:104]
	v_fma_f64 v[105:106], -v[99:100], v[103:104], 1.0
	v_fma_f64 v[103:104], v[103:104], v[105:106], v[103:104]
	v_mul_f64 v[105:106], v[107:108], v[103:104]
	v_fma_f64 v[99:100], -v[99:100], v[105:106], v[107:108]
	v_div_fmas_f64 v[99:100], v[99:100], v[103:104], v[105:106]
	v_div_fixup_f64 v[103:104], v[99:100], v[97:98], 1.0
                                        ; implicit-def: $vgpr97_vgpr98
	v_mul_f64 v[101:102], v[101:102], v[103:104]
	v_xor_b32_e32 v104, 0x80000000, v104
.LBB103_338:
	s_andn2_saveexec_b64 s[2:3], s[2:3]
	s_cbranch_execz .LBB103_340
; %bb.339:
	v_div_scale_f64 v[101:102], s[6:7], v[97:98], v[97:98], v[99:100]
	v_rcp_f64_e32 v[103:104], v[101:102]
	v_fma_f64 v[105:106], -v[101:102], v[103:104], 1.0
	v_fma_f64 v[103:104], v[103:104], v[105:106], v[103:104]
	v_div_scale_f64 v[105:106], vcc, v[99:100], v[97:98], v[99:100]
	v_fma_f64 v[107:108], -v[101:102], v[103:104], 1.0
	v_fma_f64 v[103:104], v[103:104], v[107:108], v[103:104]
	v_mul_f64 v[107:108], v[105:106], v[103:104]
	v_fma_f64 v[101:102], -v[101:102], v[107:108], v[105:106]
	v_div_fmas_f64 v[101:102], v[101:102], v[103:104], v[107:108]
	v_div_fixup_f64 v[103:104], v[101:102], v[97:98], v[99:100]
	v_fma_f64 v[97:98], v[99:100], v[103:104], v[97:98]
	v_div_scale_f64 v[99:100], s[6:7], v[97:98], v[97:98], 1.0
	v_div_scale_f64 v[107:108], vcc, 1.0, v[97:98], 1.0
	v_rcp_f64_e32 v[101:102], v[99:100]
	v_fma_f64 v[105:106], -v[99:100], v[101:102], 1.0
	v_fma_f64 v[101:102], v[101:102], v[105:106], v[101:102]
	v_fma_f64 v[105:106], -v[99:100], v[101:102], 1.0
	v_fma_f64 v[101:102], v[101:102], v[105:106], v[101:102]
	v_mul_f64 v[105:106], v[107:108], v[101:102]
	v_fma_f64 v[99:100], -v[99:100], v[105:106], v[107:108]
	v_div_fmas_f64 v[99:100], v[99:100], v[101:102], v[105:106]
	v_div_fixup_f64 v[101:102], v[99:100], v[97:98], 1.0
	v_mul_f64 v[103:104], v[103:104], -v[101:102]
.LBB103_340:
	s_or_b64 exec, exec, s[2:3]
	ds_write2_b64 v127, v[101:102], v[103:104] offset1:1
.LBB103_341:
	s_or_b64 exec, exec, s[4:5]
	s_waitcnt lgkmcnt(0)
	s_barrier
	ds_read2_b64 v[69:72], v127 offset1:1
	v_cmp_lt_u32_e32 vcc, 37, v0
	s_waitcnt lgkmcnt(0)
	buffer_store_dword v69, off, s[20:23], 0 offset:1464 ; 4-byte Folded Spill
	s_nop 0
	buffer_store_dword v70, off, s[20:23], 0 offset:1468 ; 4-byte Folded Spill
	buffer_store_dword v71, off, s[20:23], 0 offset:1472 ; 4-byte Folded Spill
	;; [unrolled: 1-line block ×3, first 2 shown]
	s_and_saveexec_b64 s[2:3], vcc
	s_cbranch_execz .LBB103_343
; %bb.342:
	buffer_load_dword v69, off, s[20:23], 0 offset:1464 ; 4-byte Folded Reload
	buffer_load_dword v70, off, s[20:23], 0 offset:1468 ; 4-byte Folded Reload
	;; [unrolled: 1-line block ×4, first 2 shown]
	ds_read2_b64 v[99:102], v125 offset0:76 offset1:77
	s_waitcnt vmcnt(2)
	v_mul_f64 v[97:98], v[69:70], v[55:56]
	s_waitcnt vmcnt(0)
	v_mul_f64 v[55:56], v[71:72], v[55:56]
	v_fma_f64 v[97:98], v[71:72], v[53:54], v[97:98]
	v_fma_f64 v[53:54], v[69:70], v[53:54], -v[55:56]
	s_waitcnt lgkmcnt(0)
	v_mul_f64 v[55:56], v[101:102], v[97:98]
	v_fma_f64 v[55:56], v[99:100], v[53:54], -v[55:56]
	v_mul_f64 v[99:100], v[99:100], v[97:98]
	v_add_f64 v[49:50], v[49:50], -v[55:56]
	v_fma_f64 v[99:100], v[101:102], v[53:54], v[99:100]
	v_add_f64 v[51:52], v[51:52], -v[99:100]
	ds_read2_b64 v[99:102], v125 offset0:78 offset1:79
	s_waitcnt lgkmcnt(0)
	v_mul_f64 v[55:56], v[101:102], v[97:98]
	v_fma_f64 v[55:56], v[99:100], v[53:54], -v[55:56]
	v_mul_f64 v[99:100], v[99:100], v[97:98]
	v_add_f64 v[45:46], v[45:46], -v[55:56]
	v_fma_f64 v[99:100], v[101:102], v[53:54], v[99:100]
	v_add_f64 v[47:48], v[47:48], -v[99:100]
	ds_read2_b64 v[99:102], v125 offset0:80 offset1:81
	;; [unrolled: 8-line block ×13, first 2 shown]
	s_waitcnt lgkmcnt(0)
	v_mul_f64 v[55:56], v[101:102], v[97:98]
	v_fma_f64 v[55:56], v[99:100], v[53:54], -v[55:56]
	v_mul_f64 v[99:100], v[99:100], v[97:98]
	v_add_f64 v[73:74], v[73:74], -v[55:56]
	v_fma_f64 v[99:100], v[101:102], v[53:54], v[99:100]
	v_mov_b32_e32 v55, v97
	v_mov_b32_e32 v56, v98
	v_add_f64 v[75:76], v[75:76], -v[99:100]
.LBB103_343:
	s_or_b64 exec, exec, s[2:3]
	v_cmp_eq_u32_e32 vcc, 38, v0
	s_waitcnt vmcnt(0)
	s_barrier
	s_and_saveexec_b64 s[4:5], vcc
	s_cbranch_execz .LBB103_350
; %bb.344:
	ds_write2_b64 v127, v[49:50], v[51:52] offset1:1
	ds_write2_b64 v125, v[45:46], v[47:48] offset0:78 offset1:79
	ds_write2_b64 v125, v[41:42], v[43:44] offset0:80 offset1:81
	;; [unrolled: 1-line block ×13, first 2 shown]
	ds_read2_b64 v[97:100], v127 offset1:1
	s_waitcnt lgkmcnt(0)
	v_cmp_neq_f64_e32 vcc, 0, v[97:98]
	v_cmp_neq_f64_e64 s[2:3], 0, v[99:100]
	s_or_b64 s[2:3], vcc, s[2:3]
	s_and_b64 exec, exec, s[2:3]
	s_cbranch_execz .LBB103_350
; %bb.345:
	v_cmp_ngt_f64_e64 s[2:3], |v[97:98]|, |v[99:100]|
                                        ; implicit-def: $vgpr101_vgpr102
	s_and_saveexec_b64 s[6:7], s[2:3]
	s_xor_b64 s[2:3], exec, s[6:7]
                                        ; implicit-def: $vgpr103_vgpr104
	s_cbranch_execz .LBB103_347
; %bb.346:
	v_div_scale_f64 v[101:102], s[6:7], v[99:100], v[99:100], v[97:98]
	v_rcp_f64_e32 v[103:104], v[101:102]
	v_fma_f64 v[105:106], -v[101:102], v[103:104], 1.0
	v_fma_f64 v[103:104], v[103:104], v[105:106], v[103:104]
	v_div_scale_f64 v[105:106], vcc, v[97:98], v[99:100], v[97:98]
	v_fma_f64 v[107:108], -v[101:102], v[103:104], 1.0
	v_fma_f64 v[103:104], v[103:104], v[107:108], v[103:104]
	v_mul_f64 v[107:108], v[105:106], v[103:104]
	v_fma_f64 v[101:102], -v[101:102], v[107:108], v[105:106]
	v_div_fmas_f64 v[101:102], v[101:102], v[103:104], v[107:108]
	v_div_fixup_f64 v[101:102], v[101:102], v[99:100], v[97:98]
	v_fma_f64 v[97:98], v[97:98], v[101:102], v[99:100]
	v_div_scale_f64 v[99:100], s[6:7], v[97:98], v[97:98], 1.0
	v_div_scale_f64 v[107:108], vcc, 1.0, v[97:98], 1.0
	v_rcp_f64_e32 v[103:104], v[99:100]
	v_fma_f64 v[105:106], -v[99:100], v[103:104], 1.0
	v_fma_f64 v[103:104], v[103:104], v[105:106], v[103:104]
	v_fma_f64 v[105:106], -v[99:100], v[103:104], 1.0
	v_fma_f64 v[103:104], v[103:104], v[105:106], v[103:104]
	v_mul_f64 v[105:106], v[107:108], v[103:104]
	v_fma_f64 v[99:100], -v[99:100], v[105:106], v[107:108]
	v_div_fmas_f64 v[99:100], v[99:100], v[103:104], v[105:106]
	v_div_fixup_f64 v[103:104], v[99:100], v[97:98], 1.0
                                        ; implicit-def: $vgpr97_vgpr98
	v_mul_f64 v[101:102], v[101:102], v[103:104]
	v_xor_b32_e32 v104, 0x80000000, v104
.LBB103_347:
	s_andn2_saveexec_b64 s[2:3], s[2:3]
	s_cbranch_execz .LBB103_349
; %bb.348:
	v_div_scale_f64 v[101:102], s[6:7], v[97:98], v[97:98], v[99:100]
	v_rcp_f64_e32 v[103:104], v[101:102]
	v_fma_f64 v[105:106], -v[101:102], v[103:104], 1.0
	v_fma_f64 v[103:104], v[103:104], v[105:106], v[103:104]
	v_div_scale_f64 v[105:106], vcc, v[99:100], v[97:98], v[99:100]
	v_fma_f64 v[107:108], -v[101:102], v[103:104], 1.0
	v_fma_f64 v[103:104], v[103:104], v[107:108], v[103:104]
	v_mul_f64 v[107:108], v[105:106], v[103:104]
	v_fma_f64 v[101:102], -v[101:102], v[107:108], v[105:106]
	v_div_fmas_f64 v[101:102], v[101:102], v[103:104], v[107:108]
	v_div_fixup_f64 v[103:104], v[101:102], v[97:98], v[99:100]
	v_fma_f64 v[97:98], v[99:100], v[103:104], v[97:98]
	v_div_scale_f64 v[99:100], s[6:7], v[97:98], v[97:98], 1.0
	v_div_scale_f64 v[107:108], vcc, 1.0, v[97:98], 1.0
	v_rcp_f64_e32 v[101:102], v[99:100]
	v_fma_f64 v[105:106], -v[99:100], v[101:102], 1.0
	v_fma_f64 v[101:102], v[101:102], v[105:106], v[101:102]
	v_fma_f64 v[105:106], -v[99:100], v[101:102], 1.0
	v_fma_f64 v[101:102], v[101:102], v[105:106], v[101:102]
	v_mul_f64 v[105:106], v[107:108], v[101:102]
	v_fma_f64 v[99:100], -v[99:100], v[105:106], v[107:108]
	v_div_fmas_f64 v[99:100], v[99:100], v[101:102], v[105:106]
	v_div_fixup_f64 v[101:102], v[99:100], v[97:98], 1.0
	v_mul_f64 v[103:104], v[103:104], -v[101:102]
.LBB103_349:
	s_or_b64 exec, exec, s[2:3]
	ds_write2_b64 v127, v[101:102], v[103:104] offset1:1
.LBB103_350:
	s_or_b64 exec, exec, s[4:5]
	s_waitcnt lgkmcnt(0)
	s_barrier
	ds_read2_b64 v[69:72], v127 offset1:1
	v_cmp_lt_u32_e32 vcc, 38, v0
	s_waitcnt lgkmcnt(0)
	buffer_store_dword v69, off, s[20:23], 0 offset:1480 ; 4-byte Folded Spill
	s_nop 0
	buffer_store_dword v70, off, s[20:23], 0 offset:1484 ; 4-byte Folded Spill
	buffer_store_dword v71, off, s[20:23], 0 offset:1488 ; 4-byte Folded Spill
	;; [unrolled: 1-line block ×3, first 2 shown]
	s_and_saveexec_b64 s[2:3], vcc
	s_cbranch_execz .LBB103_352
; %bb.351:
	buffer_load_dword v69, off, s[20:23], 0 offset:1480 ; 4-byte Folded Reload
	buffer_load_dword v70, off, s[20:23], 0 offset:1484 ; 4-byte Folded Reload
	;; [unrolled: 1-line block ×4, first 2 shown]
	ds_read2_b64 v[99:102], v125 offset0:78 offset1:79
	s_waitcnt vmcnt(2)
	v_mul_f64 v[97:98], v[69:70], v[51:52]
	s_waitcnt vmcnt(0)
	v_mul_f64 v[51:52], v[71:72], v[51:52]
	v_fma_f64 v[97:98], v[71:72], v[49:50], v[97:98]
	v_fma_f64 v[49:50], v[69:70], v[49:50], -v[51:52]
	s_waitcnt lgkmcnt(0)
	v_mul_f64 v[51:52], v[101:102], v[97:98]
	v_fma_f64 v[51:52], v[99:100], v[49:50], -v[51:52]
	v_mul_f64 v[99:100], v[99:100], v[97:98]
	v_add_f64 v[45:46], v[45:46], -v[51:52]
	v_fma_f64 v[99:100], v[101:102], v[49:50], v[99:100]
	v_add_f64 v[47:48], v[47:48], -v[99:100]
	ds_read2_b64 v[99:102], v125 offset0:80 offset1:81
	s_waitcnt lgkmcnt(0)
	v_mul_f64 v[51:52], v[101:102], v[97:98]
	v_fma_f64 v[51:52], v[99:100], v[49:50], -v[51:52]
	v_mul_f64 v[99:100], v[99:100], v[97:98]
	v_add_f64 v[41:42], v[41:42], -v[51:52]
	v_fma_f64 v[99:100], v[101:102], v[49:50], v[99:100]
	v_add_f64 v[43:44], v[43:44], -v[99:100]
	ds_read2_b64 v[99:102], v125 offset0:82 offset1:83
	;; [unrolled: 8-line block ×12, first 2 shown]
	s_waitcnt lgkmcnt(0)
	v_mul_f64 v[51:52], v[101:102], v[97:98]
	v_fma_f64 v[51:52], v[99:100], v[49:50], -v[51:52]
	v_mul_f64 v[99:100], v[99:100], v[97:98]
	v_add_f64 v[73:74], v[73:74], -v[51:52]
	v_fma_f64 v[99:100], v[101:102], v[49:50], v[99:100]
	v_mov_b32_e32 v51, v97
	v_mov_b32_e32 v52, v98
	v_add_f64 v[75:76], v[75:76], -v[99:100]
.LBB103_352:
	s_or_b64 exec, exec, s[2:3]
	v_cmp_eq_u32_e32 vcc, 39, v0
	s_waitcnt vmcnt(0)
	s_barrier
	s_and_saveexec_b64 s[4:5], vcc
	s_cbranch_execz .LBB103_359
; %bb.353:
	ds_write2_b64 v127, v[45:46], v[47:48] offset1:1
	ds_write2_b64 v125, v[41:42], v[43:44] offset0:80 offset1:81
	ds_write2_b64 v125, v[37:38], v[39:40] offset0:82 offset1:83
	;; [unrolled: 1-line block ×12, first 2 shown]
	ds_read2_b64 v[97:100], v127 offset1:1
	s_waitcnt lgkmcnt(0)
	v_cmp_neq_f64_e32 vcc, 0, v[97:98]
	v_cmp_neq_f64_e64 s[2:3], 0, v[99:100]
	s_or_b64 s[2:3], vcc, s[2:3]
	s_and_b64 exec, exec, s[2:3]
	s_cbranch_execz .LBB103_359
; %bb.354:
	v_cmp_ngt_f64_e64 s[2:3], |v[97:98]|, |v[99:100]|
                                        ; implicit-def: $vgpr101_vgpr102
	s_and_saveexec_b64 s[6:7], s[2:3]
	s_xor_b64 s[2:3], exec, s[6:7]
                                        ; implicit-def: $vgpr103_vgpr104
	s_cbranch_execz .LBB103_356
; %bb.355:
	v_div_scale_f64 v[101:102], s[6:7], v[99:100], v[99:100], v[97:98]
	v_rcp_f64_e32 v[103:104], v[101:102]
	v_fma_f64 v[105:106], -v[101:102], v[103:104], 1.0
	v_fma_f64 v[103:104], v[103:104], v[105:106], v[103:104]
	v_div_scale_f64 v[105:106], vcc, v[97:98], v[99:100], v[97:98]
	v_fma_f64 v[107:108], -v[101:102], v[103:104], 1.0
	v_fma_f64 v[103:104], v[103:104], v[107:108], v[103:104]
	v_mul_f64 v[107:108], v[105:106], v[103:104]
	v_fma_f64 v[101:102], -v[101:102], v[107:108], v[105:106]
	v_div_fmas_f64 v[101:102], v[101:102], v[103:104], v[107:108]
	v_div_fixup_f64 v[101:102], v[101:102], v[99:100], v[97:98]
	v_fma_f64 v[97:98], v[97:98], v[101:102], v[99:100]
	v_div_scale_f64 v[99:100], s[6:7], v[97:98], v[97:98], 1.0
	v_div_scale_f64 v[107:108], vcc, 1.0, v[97:98], 1.0
	v_rcp_f64_e32 v[103:104], v[99:100]
	v_fma_f64 v[105:106], -v[99:100], v[103:104], 1.0
	v_fma_f64 v[103:104], v[103:104], v[105:106], v[103:104]
	v_fma_f64 v[105:106], -v[99:100], v[103:104], 1.0
	v_fma_f64 v[103:104], v[103:104], v[105:106], v[103:104]
	v_mul_f64 v[105:106], v[107:108], v[103:104]
	v_fma_f64 v[99:100], -v[99:100], v[105:106], v[107:108]
	v_div_fmas_f64 v[99:100], v[99:100], v[103:104], v[105:106]
	v_div_fixup_f64 v[103:104], v[99:100], v[97:98], 1.0
                                        ; implicit-def: $vgpr97_vgpr98
	v_mul_f64 v[101:102], v[101:102], v[103:104]
	v_xor_b32_e32 v104, 0x80000000, v104
.LBB103_356:
	s_andn2_saveexec_b64 s[2:3], s[2:3]
	s_cbranch_execz .LBB103_358
; %bb.357:
	v_div_scale_f64 v[101:102], s[6:7], v[97:98], v[97:98], v[99:100]
	v_rcp_f64_e32 v[103:104], v[101:102]
	v_fma_f64 v[105:106], -v[101:102], v[103:104], 1.0
	v_fma_f64 v[103:104], v[103:104], v[105:106], v[103:104]
	v_div_scale_f64 v[105:106], vcc, v[99:100], v[97:98], v[99:100]
	v_fma_f64 v[107:108], -v[101:102], v[103:104], 1.0
	v_fma_f64 v[103:104], v[103:104], v[107:108], v[103:104]
	v_mul_f64 v[107:108], v[105:106], v[103:104]
	v_fma_f64 v[101:102], -v[101:102], v[107:108], v[105:106]
	v_div_fmas_f64 v[101:102], v[101:102], v[103:104], v[107:108]
	v_div_fixup_f64 v[103:104], v[101:102], v[97:98], v[99:100]
	v_fma_f64 v[97:98], v[99:100], v[103:104], v[97:98]
	v_div_scale_f64 v[99:100], s[6:7], v[97:98], v[97:98], 1.0
	v_div_scale_f64 v[107:108], vcc, 1.0, v[97:98], 1.0
	v_rcp_f64_e32 v[101:102], v[99:100]
	v_fma_f64 v[105:106], -v[99:100], v[101:102], 1.0
	v_fma_f64 v[101:102], v[101:102], v[105:106], v[101:102]
	v_fma_f64 v[105:106], -v[99:100], v[101:102], 1.0
	v_fma_f64 v[101:102], v[101:102], v[105:106], v[101:102]
	v_mul_f64 v[105:106], v[107:108], v[101:102]
	v_fma_f64 v[99:100], -v[99:100], v[105:106], v[107:108]
	v_div_fmas_f64 v[99:100], v[99:100], v[101:102], v[105:106]
	v_div_fixup_f64 v[101:102], v[99:100], v[97:98], 1.0
	v_mul_f64 v[103:104], v[103:104], -v[101:102]
.LBB103_358:
	s_or_b64 exec, exec, s[2:3]
	ds_write2_b64 v127, v[101:102], v[103:104] offset1:1
.LBB103_359:
	s_or_b64 exec, exec, s[4:5]
	s_waitcnt lgkmcnt(0)
	s_barrier
	ds_read2_b64 v[69:72], v127 offset1:1
	v_cmp_lt_u32_e32 vcc, 39, v0
	s_waitcnt lgkmcnt(0)
	buffer_store_dword v69, off, s[20:23], 0 offset:1496 ; 4-byte Folded Spill
	s_nop 0
	buffer_store_dword v70, off, s[20:23], 0 offset:1500 ; 4-byte Folded Spill
	buffer_store_dword v71, off, s[20:23], 0 offset:1504 ; 4-byte Folded Spill
	;; [unrolled: 1-line block ×3, first 2 shown]
	s_and_saveexec_b64 s[2:3], vcc
	s_cbranch_execz .LBB103_361
; %bb.360:
	buffer_load_dword v69, off, s[20:23], 0 offset:1496 ; 4-byte Folded Reload
	buffer_load_dword v70, off, s[20:23], 0 offset:1500 ; 4-byte Folded Reload
	;; [unrolled: 1-line block ×4, first 2 shown]
	ds_read2_b64 v[99:102], v125 offset0:80 offset1:81
	s_waitcnt vmcnt(2)
	v_mul_f64 v[97:98], v[69:70], v[47:48]
	s_waitcnt vmcnt(0)
	v_mul_f64 v[47:48], v[71:72], v[47:48]
	v_fma_f64 v[97:98], v[71:72], v[45:46], v[97:98]
	v_fma_f64 v[45:46], v[69:70], v[45:46], -v[47:48]
	s_waitcnt lgkmcnt(0)
	v_mul_f64 v[47:48], v[101:102], v[97:98]
	v_fma_f64 v[47:48], v[99:100], v[45:46], -v[47:48]
	v_mul_f64 v[99:100], v[99:100], v[97:98]
	v_add_f64 v[41:42], v[41:42], -v[47:48]
	v_fma_f64 v[99:100], v[101:102], v[45:46], v[99:100]
	v_add_f64 v[43:44], v[43:44], -v[99:100]
	ds_read2_b64 v[99:102], v125 offset0:82 offset1:83
	s_waitcnt lgkmcnt(0)
	v_mul_f64 v[47:48], v[101:102], v[97:98]
	v_fma_f64 v[47:48], v[99:100], v[45:46], -v[47:48]
	v_mul_f64 v[99:100], v[99:100], v[97:98]
	v_add_f64 v[37:38], v[37:38], -v[47:48]
	v_fma_f64 v[99:100], v[101:102], v[45:46], v[99:100]
	v_add_f64 v[39:40], v[39:40], -v[99:100]
	ds_read2_b64 v[99:102], v125 offset0:84 offset1:85
	;; [unrolled: 8-line block ×11, first 2 shown]
	s_waitcnt lgkmcnt(0)
	v_mul_f64 v[47:48], v[101:102], v[97:98]
	v_fma_f64 v[47:48], v[99:100], v[45:46], -v[47:48]
	v_mul_f64 v[99:100], v[99:100], v[97:98]
	v_add_f64 v[73:74], v[73:74], -v[47:48]
	v_fma_f64 v[99:100], v[101:102], v[45:46], v[99:100]
	v_mov_b32_e32 v47, v97
	v_mov_b32_e32 v48, v98
	v_add_f64 v[75:76], v[75:76], -v[99:100]
.LBB103_361:
	s_or_b64 exec, exec, s[2:3]
	v_cmp_eq_u32_e32 vcc, 40, v0
	s_waitcnt vmcnt(0)
	s_barrier
	s_and_saveexec_b64 s[4:5], vcc
	s_cbranch_execz .LBB103_368
; %bb.362:
	ds_write2_b64 v127, v[41:42], v[43:44] offset1:1
	ds_write2_b64 v125, v[37:38], v[39:40] offset0:82 offset1:83
	ds_write2_b64 v125, v[33:34], v[35:36] offset0:84 offset1:85
	ds_write2_b64 v125, v[29:30], v[31:32] offset0:86 offset1:87
	ds_write2_b64 v125, v[25:26], v[27:28] offset0:88 offset1:89
	ds_write2_b64 v125, v[21:22], v[23:24] offset0:90 offset1:91
	ds_write2_b64 v125, v[17:18], v[19:20] offset0:92 offset1:93
	ds_write2_b64 v125, v[13:14], v[15:16] offset0:94 offset1:95
	ds_write2_b64 v125, v[9:10], v[11:12] offset0:96 offset1:97
	ds_write2_b64 v125, v[5:6], v[7:8] offset0:98 offset1:99
	ds_write2_b64 v125, v[1:2], v[3:4] offset0:100 offset1:101
	ds_write2_b64 v125, v[73:74], v[75:76] offset0:102 offset1:103
	ds_read2_b64 v[97:100], v127 offset1:1
	s_waitcnt lgkmcnt(0)
	v_cmp_neq_f64_e32 vcc, 0, v[97:98]
	v_cmp_neq_f64_e64 s[2:3], 0, v[99:100]
	s_or_b64 s[2:3], vcc, s[2:3]
	s_and_b64 exec, exec, s[2:3]
	s_cbranch_execz .LBB103_368
; %bb.363:
	v_cmp_ngt_f64_e64 s[2:3], |v[97:98]|, |v[99:100]|
                                        ; implicit-def: $vgpr101_vgpr102
	s_and_saveexec_b64 s[6:7], s[2:3]
	s_xor_b64 s[2:3], exec, s[6:7]
                                        ; implicit-def: $vgpr103_vgpr104
	s_cbranch_execz .LBB103_365
; %bb.364:
	v_div_scale_f64 v[101:102], s[6:7], v[99:100], v[99:100], v[97:98]
	v_rcp_f64_e32 v[103:104], v[101:102]
	v_fma_f64 v[105:106], -v[101:102], v[103:104], 1.0
	v_fma_f64 v[103:104], v[103:104], v[105:106], v[103:104]
	v_div_scale_f64 v[105:106], vcc, v[97:98], v[99:100], v[97:98]
	v_fma_f64 v[107:108], -v[101:102], v[103:104], 1.0
	v_fma_f64 v[103:104], v[103:104], v[107:108], v[103:104]
	v_mul_f64 v[107:108], v[105:106], v[103:104]
	v_fma_f64 v[101:102], -v[101:102], v[107:108], v[105:106]
	v_div_fmas_f64 v[101:102], v[101:102], v[103:104], v[107:108]
	v_div_fixup_f64 v[101:102], v[101:102], v[99:100], v[97:98]
	v_fma_f64 v[97:98], v[97:98], v[101:102], v[99:100]
	v_div_scale_f64 v[99:100], s[6:7], v[97:98], v[97:98], 1.0
	v_div_scale_f64 v[107:108], vcc, 1.0, v[97:98], 1.0
	v_rcp_f64_e32 v[103:104], v[99:100]
	v_fma_f64 v[105:106], -v[99:100], v[103:104], 1.0
	v_fma_f64 v[103:104], v[103:104], v[105:106], v[103:104]
	v_fma_f64 v[105:106], -v[99:100], v[103:104], 1.0
	v_fma_f64 v[103:104], v[103:104], v[105:106], v[103:104]
	v_mul_f64 v[105:106], v[107:108], v[103:104]
	v_fma_f64 v[99:100], -v[99:100], v[105:106], v[107:108]
	v_div_fmas_f64 v[99:100], v[99:100], v[103:104], v[105:106]
	v_div_fixup_f64 v[103:104], v[99:100], v[97:98], 1.0
                                        ; implicit-def: $vgpr97_vgpr98
	v_mul_f64 v[101:102], v[101:102], v[103:104]
	v_xor_b32_e32 v104, 0x80000000, v104
.LBB103_365:
	s_andn2_saveexec_b64 s[2:3], s[2:3]
	s_cbranch_execz .LBB103_367
; %bb.366:
	v_div_scale_f64 v[101:102], s[6:7], v[97:98], v[97:98], v[99:100]
	v_rcp_f64_e32 v[103:104], v[101:102]
	v_fma_f64 v[105:106], -v[101:102], v[103:104], 1.0
	v_fma_f64 v[103:104], v[103:104], v[105:106], v[103:104]
	v_div_scale_f64 v[105:106], vcc, v[99:100], v[97:98], v[99:100]
	v_fma_f64 v[107:108], -v[101:102], v[103:104], 1.0
	v_fma_f64 v[103:104], v[103:104], v[107:108], v[103:104]
	v_mul_f64 v[107:108], v[105:106], v[103:104]
	v_fma_f64 v[101:102], -v[101:102], v[107:108], v[105:106]
	v_div_fmas_f64 v[101:102], v[101:102], v[103:104], v[107:108]
	v_div_fixup_f64 v[103:104], v[101:102], v[97:98], v[99:100]
	v_fma_f64 v[97:98], v[99:100], v[103:104], v[97:98]
	v_div_scale_f64 v[99:100], s[6:7], v[97:98], v[97:98], 1.0
	v_div_scale_f64 v[107:108], vcc, 1.0, v[97:98], 1.0
	v_rcp_f64_e32 v[101:102], v[99:100]
	v_fma_f64 v[105:106], -v[99:100], v[101:102], 1.0
	v_fma_f64 v[101:102], v[101:102], v[105:106], v[101:102]
	v_fma_f64 v[105:106], -v[99:100], v[101:102], 1.0
	v_fma_f64 v[101:102], v[101:102], v[105:106], v[101:102]
	v_mul_f64 v[105:106], v[107:108], v[101:102]
	v_fma_f64 v[99:100], -v[99:100], v[105:106], v[107:108]
	v_div_fmas_f64 v[99:100], v[99:100], v[101:102], v[105:106]
	v_div_fixup_f64 v[101:102], v[99:100], v[97:98], 1.0
	v_mul_f64 v[103:104], v[103:104], -v[101:102]
.LBB103_367:
	s_or_b64 exec, exec, s[2:3]
	ds_write2_b64 v127, v[101:102], v[103:104] offset1:1
.LBB103_368:
	s_or_b64 exec, exec, s[4:5]
	s_waitcnt lgkmcnt(0)
	s_barrier
	ds_read2_b64 v[69:72], v127 offset1:1
	v_cmp_lt_u32_e32 vcc, 40, v0
	s_waitcnt lgkmcnt(0)
	buffer_store_dword v69, off, s[20:23], 0 offset:1512 ; 4-byte Folded Spill
	s_nop 0
	buffer_store_dword v70, off, s[20:23], 0 offset:1516 ; 4-byte Folded Spill
	buffer_store_dword v71, off, s[20:23], 0 offset:1520 ; 4-byte Folded Spill
	buffer_store_dword v72, off, s[20:23], 0 offset:1524 ; 4-byte Folded Spill
	s_and_saveexec_b64 s[2:3], vcc
	s_cbranch_execz .LBB103_370
; %bb.369:
	buffer_load_dword v69, off, s[20:23], 0 offset:1512 ; 4-byte Folded Reload
	buffer_load_dword v70, off, s[20:23], 0 offset:1516 ; 4-byte Folded Reload
	;; [unrolled: 1-line block ×4, first 2 shown]
	ds_read2_b64 v[99:102], v125 offset0:82 offset1:83
	s_waitcnt vmcnt(2)
	v_mul_f64 v[97:98], v[69:70], v[43:44]
	s_waitcnt vmcnt(0)
	v_mul_f64 v[43:44], v[71:72], v[43:44]
	v_fma_f64 v[97:98], v[71:72], v[41:42], v[97:98]
	v_fma_f64 v[41:42], v[69:70], v[41:42], -v[43:44]
	s_waitcnt lgkmcnt(0)
	v_mul_f64 v[43:44], v[101:102], v[97:98]
	v_fma_f64 v[43:44], v[99:100], v[41:42], -v[43:44]
	v_mul_f64 v[99:100], v[99:100], v[97:98]
	v_add_f64 v[37:38], v[37:38], -v[43:44]
	v_fma_f64 v[99:100], v[101:102], v[41:42], v[99:100]
	v_add_f64 v[39:40], v[39:40], -v[99:100]
	ds_read2_b64 v[99:102], v125 offset0:84 offset1:85
	s_waitcnt lgkmcnt(0)
	v_mul_f64 v[43:44], v[101:102], v[97:98]
	v_fma_f64 v[43:44], v[99:100], v[41:42], -v[43:44]
	v_mul_f64 v[99:100], v[99:100], v[97:98]
	v_add_f64 v[33:34], v[33:34], -v[43:44]
	v_fma_f64 v[99:100], v[101:102], v[41:42], v[99:100]
	v_add_f64 v[35:36], v[35:36], -v[99:100]
	ds_read2_b64 v[99:102], v125 offset0:86 offset1:87
	;; [unrolled: 8-line block ×10, first 2 shown]
	s_waitcnt lgkmcnt(0)
	v_mul_f64 v[43:44], v[101:102], v[97:98]
	v_fma_f64 v[43:44], v[99:100], v[41:42], -v[43:44]
	v_mul_f64 v[99:100], v[99:100], v[97:98]
	v_add_f64 v[73:74], v[73:74], -v[43:44]
	v_fma_f64 v[99:100], v[101:102], v[41:42], v[99:100]
	v_mov_b32_e32 v43, v97
	v_mov_b32_e32 v44, v98
	v_add_f64 v[75:76], v[75:76], -v[99:100]
.LBB103_370:
	s_or_b64 exec, exec, s[2:3]
	v_cmp_eq_u32_e32 vcc, 41, v0
	s_waitcnt vmcnt(0)
	s_barrier
	s_and_saveexec_b64 s[4:5], vcc
	s_cbranch_execz .LBB103_377
; %bb.371:
	ds_write2_b64 v127, v[37:38], v[39:40] offset1:1
	ds_write2_b64 v125, v[33:34], v[35:36] offset0:84 offset1:85
	ds_write2_b64 v125, v[29:30], v[31:32] offset0:86 offset1:87
	;; [unrolled: 1-line block ×10, first 2 shown]
	ds_read2_b64 v[97:100], v127 offset1:1
	s_waitcnt lgkmcnt(0)
	v_cmp_neq_f64_e32 vcc, 0, v[97:98]
	v_cmp_neq_f64_e64 s[2:3], 0, v[99:100]
	s_or_b64 s[2:3], vcc, s[2:3]
	s_and_b64 exec, exec, s[2:3]
	s_cbranch_execz .LBB103_377
; %bb.372:
	v_cmp_ngt_f64_e64 s[2:3], |v[97:98]|, |v[99:100]|
                                        ; implicit-def: $vgpr101_vgpr102
	s_and_saveexec_b64 s[6:7], s[2:3]
	s_xor_b64 s[2:3], exec, s[6:7]
                                        ; implicit-def: $vgpr103_vgpr104
	s_cbranch_execz .LBB103_374
; %bb.373:
	v_div_scale_f64 v[101:102], s[6:7], v[99:100], v[99:100], v[97:98]
	v_rcp_f64_e32 v[103:104], v[101:102]
	v_fma_f64 v[105:106], -v[101:102], v[103:104], 1.0
	v_fma_f64 v[103:104], v[103:104], v[105:106], v[103:104]
	v_div_scale_f64 v[105:106], vcc, v[97:98], v[99:100], v[97:98]
	v_fma_f64 v[107:108], -v[101:102], v[103:104], 1.0
	v_fma_f64 v[103:104], v[103:104], v[107:108], v[103:104]
	v_mul_f64 v[107:108], v[105:106], v[103:104]
	v_fma_f64 v[101:102], -v[101:102], v[107:108], v[105:106]
	v_div_fmas_f64 v[101:102], v[101:102], v[103:104], v[107:108]
	v_div_fixup_f64 v[101:102], v[101:102], v[99:100], v[97:98]
	v_fma_f64 v[97:98], v[97:98], v[101:102], v[99:100]
	v_div_scale_f64 v[99:100], s[6:7], v[97:98], v[97:98], 1.0
	v_div_scale_f64 v[107:108], vcc, 1.0, v[97:98], 1.0
	v_rcp_f64_e32 v[103:104], v[99:100]
	v_fma_f64 v[105:106], -v[99:100], v[103:104], 1.0
	v_fma_f64 v[103:104], v[103:104], v[105:106], v[103:104]
	v_fma_f64 v[105:106], -v[99:100], v[103:104], 1.0
	v_fma_f64 v[103:104], v[103:104], v[105:106], v[103:104]
	v_mul_f64 v[105:106], v[107:108], v[103:104]
	v_fma_f64 v[99:100], -v[99:100], v[105:106], v[107:108]
	v_div_fmas_f64 v[99:100], v[99:100], v[103:104], v[105:106]
	v_div_fixup_f64 v[103:104], v[99:100], v[97:98], 1.0
                                        ; implicit-def: $vgpr97_vgpr98
	v_mul_f64 v[101:102], v[101:102], v[103:104]
	v_xor_b32_e32 v104, 0x80000000, v104
.LBB103_374:
	s_andn2_saveexec_b64 s[2:3], s[2:3]
	s_cbranch_execz .LBB103_376
; %bb.375:
	v_div_scale_f64 v[101:102], s[6:7], v[97:98], v[97:98], v[99:100]
	v_rcp_f64_e32 v[103:104], v[101:102]
	v_fma_f64 v[105:106], -v[101:102], v[103:104], 1.0
	v_fma_f64 v[103:104], v[103:104], v[105:106], v[103:104]
	v_div_scale_f64 v[105:106], vcc, v[99:100], v[97:98], v[99:100]
	v_fma_f64 v[107:108], -v[101:102], v[103:104], 1.0
	v_fma_f64 v[103:104], v[103:104], v[107:108], v[103:104]
	v_mul_f64 v[107:108], v[105:106], v[103:104]
	v_fma_f64 v[101:102], -v[101:102], v[107:108], v[105:106]
	v_div_fmas_f64 v[101:102], v[101:102], v[103:104], v[107:108]
	v_div_fixup_f64 v[103:104], v[101:102], v[97:98], v[99:100]
	v_fma_f64 v[97:98], v[99:100], v[103:104], v[97:98]
	v_div_scale_f64 v[99:100], s[6:7], v[97:98], v[97:98], 1.0
	v_div_scale_f64 v[107:108], vcc, 1.0, v[97:98], 1.0
	v_rcp_f64_e32 v[101:102], v[99:100]
	v_fma_f64 v[105:106], -v[99:100], v[101:102], 1.0
	v_fma_f64 v[101:102], v[101:102], v[105:106], v[101:102]
	v_fma_f64 v[105:106], -v[99:100], v[101:102], 1.0
	v_fma_f64 v[101:102], v[101:102], v[105:106], v[101:102]
	v_mul_f64 v[105:106], v[107:108], v[101:102]
	v_fma_f64 v[99:100], -v[99:100], v[105:106], v[107:108]
	v_div_fmas_f64 v[99:100], v[99:100], v[101:102], v[105:106]
	v_div_fixup_f64 v[101:102], v[99:100], v[97:98], 1.0
	v_mul_f64 v[103:104], v[103:104], -v[101:102]
.LBB103_376:
	s_or_b64 exec, exec, s[2:3]
	ds_write2_b64 v127, v[101:102], v[103:104] offset1:1
.LBB103_377:
	s_or_b64 exec, exec, s[4:5]
	s_waitcnt lgkmcnt(0)
	s_barrier
	ds_read2_b64 v[69:72], v127 offset1:1
	v_cmp_lt_u32_e32 vcc, 41, v0
	s_waitcnt lgkmcnt(0)
	buffer_store_dword v69, off, s[20:23], 0 offset:1528 ; 4-byte Folded Spill
	s_nop 0
	buffer_store_dword v70, off, s[20:23], 0 offset:1532 ; 4-byte Folded Spill
	buffer_store_dword v71, off, s[20:23], 0 offset:1536 ; 4-byte Folded Spill
	;; [unrolled: 1-line block ×3, first 2 shown]
	s_and_saveexec_b64 s[2:3], vcc
	s_cbranch_execz .LBB103_379
; %bb.378:
	buffer_load_dword v69, off, s[20:23], 0 offset:1528 ; 4-byte Folded Reload
	buffer_load_dword v70, off, s[20:23], 0 offset:1532 ; 4-byte Folded Reload
	buffer_load_dword v71, off, s[20:23], 0 offset:1536 ; 4-byte Folded Reload
	buffer_load_dword v72, off, s[20:23], 0 offset:1540 ; 4-byte Folded Reload
	ds_read2_b64 v[99:102], v125 offset0:84 offset1:85
	s_waitcnt vmcnt(2)
	v_mul_f64 v[97:98], v[69:70], v[39:40]
	s_waitcnt vmcnt(0)
	v_mul_f64 v[39:40], v[71:72], v[39:40]
	v_fma_f64 v[97:98], v[71:72], v[37:38], v[97:98]
	v_fma_f64 v[37:38], v[69:70], v[37:38], -v[39:40]
	s_waitcnt lgkmcnt(0)
	v_mul_f64 v[39:40], v[101:102], v[97:98]
	v_fma_f64 v[39:40], v[99:100], v[37:38], -v[39:40]
	v_mul_f64 v[99:100], v[99:100], v[97:98]
	v_add_f64 v[33:34], v[33:34], -v[39:40]
	v_fma_f64 v[99:100], v[101:102], v[37:38], v[99:100]
	v_add_f64 v[35:36], v[35:36], -v[99:100]
	ds_read2_b64 v[99:102], v125 offset0:86 offset1:87
	s_waitcnt lgkmcnt(0)
	v_mul_f64 v[39:40], v[101:102], v[97:98]
	v_fma_f64 v[39:40], v[99:100], v[37:38], -v[39:40]
	v_mul_f64 v[99:100], v[99:100], v[97:98]
	v_add_f64 v[29:30], v[29:30], -v[39:40]
	v_fma_f64 v[99:100], v[101:102], v[37:38], v[99:100]
	v_add_f64 v[31:32], v[31:32], -v[99:100]
	ds_read2_b64 v[99:102], v125 offset0:88 offset1:89
	;; [unrolled: 8-line block ×9, first 2 shown]
	s_waitcnt lgkmcnt(0)
	v_mul_f64 v[39:40], v[101:102], v[97:98]
	v_fma_f64 v[39:40], v[99:100], v[37:38], -v[39:40]
	v_mul_f64 v[99:100], v[99:100], v[97:98]
	v_add_f64 v[73:74], v[73:74], -v[39:40]
	v_fma_f64 v[99:100], v[101:102], v[37:38], v[99:100]
	v_mov_b32_e32 v39, v97
	v_mov_b32_e32 v40, v98
	v_add_f64 v[75:76], v[75:76], -v[99:100]
.LBB103_379:
	s_or_b64 exec, exec, s[2:3]
	v_cmp_eq_u32_e32 vcc, 42, v0
	s_waitcnt vmcnt(0)
	s_barrier
	s_and_saveexec_b64 s[4:5], vcc
	s_cbranch_execz .LBB103_386
; %bb.380:
	ds_write2_b64 v127, v[33:34], v[35:36] offset1:1
	ds_write2_b64 v125, v[29:30], v[31:32] offset0:86 offset1:87
	ds_write2_b64 v125, v[25:26], v[27:28] offset0:88 offset1:89
	;; [unrolled: 1-line block ×9, first 2 shown]
	ds_read2_b64 v[97:100], v127 offset1:1
	s_waitcnt lgkmcnt(0)
	v_cmp_neq_f64_e32 vcc, 0, v[97:98]
	v_cmp_neq_f64_e64 s[2:3], 0, v[99:100]
	s_or_b64 s[2:3], vcc, s[2:3]
	s_and_b64 exec, exec, s[2:3]
	s_cbranch_execz .LBB103_386
; %bb.381:
	v_cmp_ngt_f64_e64 s[2:3], |v[97:98]|, |v[99:100]|
                                        ; implicit-def: $vgpr101_vgpr102
	s_and_saveexec_b64 s[6:7], s[2:3]
	s_xor_b64 s[2:3], exec, s[6:7]
                                        ; implicit-def: $vgpr103_vgpr104
	s_cbranch_execz .LBB103_383
; %bb.382:
	v_div_scale_f64 v[101:102], s[6:7], v[99:100], v[99:100], v[97:98]
	v_rcp_f64_e32 v[103:104], v[101:102]
	v_fma_f64 v[105:106], -v[101:102], v[103:104], 1.0
	v_fma_f64 v[103:104], v[103:104], v[105:106], v[103:104]
	v_div_scale_f64 v[105:106], vcc, v[97:98], v[99:100], v[97:98]
	v_fma_f64 v[107:108], -v[101:102], v[103:104], 1.0
	v_fma_f64 v[103:104], v[103:104], v[107:108], v[103:104]
	v_mul_f64 v[107:108], v[105:106], v[103:104]
	v_fma_f64 v[101:102], -v[101:102], v[107:108], v[105:106]
	v_div_fmas_f64 v[101:102], v[101:102], v[103:104], v[107:108]
	v_div_fixup_f64 v[101:102], v[101:102], v[99:100], v[97:98]
	v_fma_f64 v[97:98], v[97:98], v[101:102], v[99:100]
	v_div_scale_f64 v[99:100], s[6:7], v[97:98], v[97:98], 1.0
	v_div_scale_f64 v[107:108], vcc, 1.0, v[97:98], 1.0
	v_rcp_f64_e32 v[103:104], v[99:100]
	v_fma_f64 v[105:106], -v[99:100], v[103:104], 1.0
	v_fma_f64 v[103:104], v[103:104], v[105:106], v[103:104]
	v_fma_f64 v[105:106], -v[99:100], v[103:104], 1.0
	v_fma_f64 v[103:104], v[103:104], v[105:106], v[103:104]
	v_mul_f64 v[105:106], v[107:108], v[103:104]
	v_fma_f64 v[99:100], -v[99:100], v[105:106], v[107:108]
	v_div_fmas_f64 v[99:100], v[99:100], v[103:104], v[105:106]
	v_div_fixup_f64 v[103:104], v[99:100], v[97:98], 1.0
                                        ; implicit-def: $vgpr97_vgpr98
	v_mul_f64 v[101:102], v[101:102], v[103:104]
	v_xor_b32_e32 v104, 0x80000000, v104
.LBB103_383:
	s_andn2_saveexec_b64 s[2:3], s[2:3]
	s_cbranch_execz .LBB103_385
; %bb.384:
	v_div_scale_f64 v[101:102], s[6:7], v[97:98], v[97:98], v[99:100]
	v_rcp_f64_e32 v[103:104], v[101:102]
	v_fma_f64 v[105:106], -v[101:102], v[103:104], 1.0
	v_fma_f64 v[103:104], v[103:104], v[105:106], v[103:104]
	v_div_scale_f64 v[105:106], vcc, v[99:100], v[97:98], v[99:100]
	v_fma_f64 v[107:108], -v[101:102], v[103:104], 1.0
	v_fma_f64 v[103:104], v[103:104], v[107:108], v[103:104]
	v_mul_f64 v[107:108], v[105:106], v[103:104]
	v_fma_f64 v[101:102], -v[101:102], v[107:108], v[105:106]
	v_div_fmas_f64 v[101:102], v[101:102], v[103:104], v[107:108]
	v_div_fixup_f64 v[103:104], v[101:102], v[97:98], v[99:100]
	v_fma_f64 v[97:98], v[99:100], v[103:104], v[97:98]
	v_div_scale_f64 v[99:100], s[6:7], v[97:98], v[97:98], 1.0
	v_div_scale_f64 v[107:108], vcc, 1.0, v[97:98], 1.0
	v_rcp_f64_e32 v[101:102], v[99:100]
	v_fma_f64 v[105:106], -v[99:100], v[101:102], 1.0
	v_fma_f64 v[101:102], v[101:102], v[105:106], v[101:102]
	v_fma_f64 v[105:106], -v[99:100], v[101:102], 1.0
	v_fma_f64 v[101:102], v[101:102], v[105:106], v[101:102]
	v_mul_f64 v[105:106], v[107:108], v[101:102]
	v_fma_f64 v[99:100], -v[99:100], v[105:106], v[107:108]
	v_div_fmas_f64 v[99:100], v[99:100], v[101:102], v[105:106]
	v_div_fixup_f64 v[101:102], v[99:100], v[97:98], 1.0
	v_mul_f64 v[103:104], v[103:104], -v[101:102]
.LBB103_385:
	s_or_b64 exec, exec, s[2:3]
	ds_write2_b64 v127, v[101:102], v[103:104] offset1:1
.LBB103_386:
	s_or_b64 exec, exec, s[4:5]
	s_waitcnt lgkmcnt(0)
	s_barrier
	ds_read2_b64 v[69:72], v127 offset1:1
	v_cmp_lt_u32_e32 vcc, 42, v0
	s_waitcnt lgkmcnt(0)
	buffer_store_dword v69, off, s[20:23], 0 offset:1544 ; 4-byte Folded Spill
	s_nop 0
	buffer_store_dword v70, off, s[20:23], 0 offset:1548 ; 4-byte Folded Spill
	buffer_store_dword v71, off, s[20:23], 0 offset:1552 ; 4-byte Folded Spill
	;; [unrolled: 1-line block ×3, first 2 shown]
	s_and_saveexec_b64 s[2:3], vcc
	s_cbranch_execz .LBB103_388
; %bb.387:
	buffer_load_dword v69, off, s[20:23], 0 offset:1544 ; 4-byte Folded Reload
	buffer_load_dword v70, off, s[20:23], 0 offset:1548 ; 4-byte Folded Reload
	;; [unrolled: 1-line block ×4, first 2 shown]
	ds_read2_b64 v[99:102], v125 offset0:86 offset1:87
	s_waitcnt vmcnt(2)
	v_mul_f64 v[97:98], v[69:70], v[35:36]
	s_waitcnt vmcnt(0)
	v_mul_f64 v[35:36], v[71:72], v[35:36]
	v_fma_f64 v[97:98], v[71:72], v[33:34], v[97:98]
	v_fma_f64 v[33:34], v[69:70], v[33:34], -v[35:36]
	s_waitcnt lgkmcnt(0)
	v_mul_f64 v[35:36], v[101:102], v[97:98]
	v_fma_f64 v[35:36], v[99:100], v[33:34], -v[35:36]
	v_mul_f64 v[99:100], v[99:100], v[97:98]
	v_add_f64 v[29:30], v[29:30], -v[35:36]
	v_fma_f64 v[99:100], v[101:102], v[33:34], v[99:100]
	v_add_f64 v[31:32], v[31:32], -v[99:100]
	ds_read2_b64 v[99:102], v125 offset0:88 offset1:89
	s_waitcnt lgkmcnt(0)
	v_mul_f64 v[35:36], v[101:102], v[97:98]
	v_fma_f64 v[35:36], v[99:100], v[33:34], -v[35:36]
	v_mul_f64 v[99:100], v[99:100], v[97:98]
	v_add_f64 v[25:26], v[25:26], -v[35:36]
	v_fma_f64 v[99:100], v[101:102], v[33:34], v[99:100]
	v_add_f64 v[27:28], v[27:28], -v[99:100]
	ds_read2_b64 v[99:102], v125 offset0:90 offset1:91
	;; [unrolled: 8-line block ×8, first 2 shown]
	s_waitcnt lgkmcnt(0)
	v_mul_f64 v[35:36], v[101:102], v[97:98]
	v_fma_f64 v[35:36], v[99:100], v[33:34], -v[35:36]
	v_mul_f64 v[99:100], v[99:100], v[97:98]
	v_add_f64 v[73:74], v[73:74], -v[35:36]
	v_fma_f64 v[99:100], v[101:102], v[33:34], v[99:100]
	v_mov_b32_e32 v35, v97
	v_mov_b32_e32 v36, v98
	v_add_f64 v[75:76], v[75:76], -v[99:100]
.LBB103_388:
	s_or_b64 exec, exec, s[2:3]
	v_cmp_eq_u32_e32 vcc, 43, v0
	s_waitcnt vmcnt(0)
	s_barrier
	s_and_saveexec_b64 s[4:5], vcc
	s_cbranch_execz .LBB103_395
; %bb.389:
	ds_write2_b64 v127, v[29:30], v[31:32] offset1:1
	ds_write2_b64 v125, v[25:26], v[27:28] offset0:88 offset1:89
	ds_write2_b64 v125, v[21:22], v[23:24] offset0:90 offset1:91
	;; [unrolled: 1-line block ×8, first 2 shown]
	ds_read2_b64 v[97:100], v127 offset1:1
	s_waitcnt lgkmcnt(0)
	v_cmp_neq_f64_e32 vcc, 0, v[97:98]
	v_cmp_neq_f64_e64 s[2:3], 0, v[99:100]
	s_or_b64 s[2:3], vcc, s[2:3]
	s_and_b64 exec, exec, s[2:3]
	s_cbranch_execz .LBB103_395
; %bb.390:
	v_cmp_ngt_f64_e64 s[2:3], |v[97:98]|, |v[99:100]|
                                        ; implicit-def: $vgpr101_vgpr102
	s_and_saveexec_b64 s[6:7], s[2:3]
	s_xor_b64 s[2:3], exec, s[6:7]
                                        ; implicit-def: $vgpr103_vgpr104
	s_cbranch_execz .LBB103_392
; %bb.391:
	v_div_scale_f64 v[101:102], s[6:7], v[99:100], v[99:100], v[97:98]
	v_rcp_f64_e32 v[103:104], v[101:102]
	v_fma_f64 v[105:106], -v[101:102], v[103:104], 1.0
	v_fma_f64 v[103:104], v[103:104], v[105:106], v[103:104]
	v_div_scale_f64 v[105:106], vcc, v[97:98], v[99:100], v[97:98]
	v_fma_f64 v[107:108], -v[101:102], v[103:104], 1.0
	v_fma_f64 v[103:104], v[103:104], v[107:108], v[103:104]
	v_mul_f64 v[107:108], v[105:106], v[103:104]
	v_fma_f64 v[101:102], -v[101:102], v[107:108], v[105:106]
	v_div_fmas_f64 v[101:102], v[101:102], v[103:104], v[107:108]
	v_div_fixup_f64 v[101:102], v[101:102], v[99:100], v[97:98]
	v_fma_f64 v[97:98], v[97:98], v[101:102], v[99:100]
	v_div_scale_f64 v[99:100], s[6:7], v[97:98], v[97:98], 1.0
	v_div_scale_f64 v[107:108], vcc, 1.0, v[97:98], 1.0
	v_rcp_f64_e32 v[103:104], v[99:100]
	v_fma_f64 v[105:106], -v[99:100], v[103:104], 1.0
	v_fma_f64 v[103:104], v[103:104], v[105:106], v[103:104]
	v_fma_f64 v[105:106], -v[99:100], v[103:104], 1.0
	v_fma_f64 v[103:104], v[103:104], v[105:106], v[103:104]
	v_mul_f64 v[105:106], v[107:108], v[103:104]
	v_fma_f64 v[99:100], -v[99:100], v[105:106], v[107:108]
	v_div_fmas_f64 v[99:100], v[99:100], v[103:104], v[105:106]
	v_div_fixup_f64 v[103:104], v[99:100], v[97:98], 1.0
                                        ; implicit-def: $vgpr97_vgpr98
	v_mul_f64 v[101:102], v[101:102], v[103:104]
	v_xor_b32_e32 v104, 0x80000000, v104
.LBB103_392:
	s_andn2_saveexec_b64 s[2:3], s[2:3]
	s_cbranch_execz .LBB103_394
; %bb.393:
	v_div_scale_f64 v[101:102], s[6:7], v[97:98], v[97:98], v[99:100]
	v_rcp_f64_e32 v[103:104], v[101:102]
	v_fma_f64 v[105:106], -v[101:102], v[103:104], 1.0
	v_fma_f64 v[103:104], v[103:104], v[105:106], v[103:104]
	v_div_scale_f64 v[105:106], vcc, v[99:100], v[97:98], v[99:100]
	v_fma_f64 v[107:108], -v[101:102], v[103:104], 1.0
	v_fma_f64 v[103:104], v[103:104], v[107:108], v[103:104]
	v_mul_f64 v[107:108], v[105:106], v[103:104]
	v_fma_f64 v[101:102], -v[101:102], v[107:108], v[105:106]
	v_div_fmas_f64 v[101:102], v[101:102], v[103:104], v[107:108]
	v_div_fixup_f64 v[103:104], v[101:102], v[97:98], v[99:100]
	v_fma_f64 v[97:98], v[99:100], v[103:104], v[97:98]
	v_div_scale_f64 v[99:100], s[6:7], v[97:98], v[97:98], 1.0
	v_div_scale_f64 v[107:108], vcc, 1.0, v[97:98], 1.0
	v_rcp_f64_e32 v[101:102], v[99:100]
	v_fma_f64 v[105:106], -v[99:100], v[101:102], 1.0
	v_fma_f64 v[101:102], v[101:102], v[105:106], v[101:102]
	v_fma_f64 v[105:106], -v[99:100], v[101:102], 1.0
	v_fma_f64 v[101:102], v[101:102], v[105:106], v[101:102]
	v_mul_f64 v[105:106], v[107:108], v[101:102]
	v_fma_f64 v[99:100], -v[99:100], v[105:106], v[107:108]
	v_div_fmas_f64 v[99:100], v[99:100], v[101:102], v[105:106]
	v_div_fixup_f64 v[101:102], v[99:100], v[97:98], 1.0
	v_mul_f64 v[103:104], v[103:104], -v[101:102]
.LBB103_394:
	s_or_b64 exec, exec, s[2:3]
	ds_write2_b64 v127, v[101:102], v[103:104] offset1:1
.LBB103_395:
	s_or_b64 exec, exec, s[4:5]
	s_waitcnt lgkmcnt(0)
	s_barrier
	ds_read2_b64 v[69:72], v127 offset1:1
	v_cmp_lt_u32_e32 vcc, 43, v0
	s_waitcnt lgkmcnt(0)
	buffer_store_dword v69, off, s[20:23], 0 offset:1560 ; 4-byte Folded Spill
	s_nop 0
	buffer_store_dword v70, off, s[20:23], 0 offset:1564 ; 4-byte Folded Spill
	buffer_store_dword v71, off, s[20:23], 0 offset:1568 ; 4-byte Folded Spill
	;; [unrolled: 1-line block ×3, first 2 shown]
	s_and_saveexec_b64 s[2:3], vcc
	s_cbranch_execz .LBB103_397
; %bb.396:
	buffer_load_dword v69, off, s[20:23], 0 offset:1560 ; 4-byte Folded Reload
	buffer_load_dword v70, off, s[20:23], 0 offset:1564 ; 4-byte Folded Reload
	buffer_load_dword v71, off, s[20:23], 0 offset:1568 ; 4-byte Folded Reload
	buffer_load_dword v72, off, s[20:23], 0 offset:1572 ; 4-byte Folded Reload
	ds_read2_b64 v[99:102], v125 offset0:88 offset1:89
	s_waitcnt vmcnt(2)
	v_mul_f64 v[97:98], v[69:70], v[31:32]
	s_waitcnt vmcnt(0)
	v_mul_f64 v[31:32], v[71:72], v[31:32]
	v_fma_f64 v[97:98], v[71:72], v[29:30], v[97:98]
	v_fma_f64 v[29:30], v[69:70], v[29:30], -v[31:32]
	s_waitcnt lgkmcnt(0)
	v_mul_f64 v[31:32], v[101:102], v[97:98]
	v_fma_f64 v[31:32], v[99:100], v[29:30], -v[31:32]
	v_mul_f64 v[99:100], v[99:100], v[97:98]
	v_add_f64 v[25:26], v[25:26], -v[31:32]
	v_fma_f64 v[99:100], v[101:102], v[29:30], v[99:100]
	v_add_f64 v[27:28], v[27:28], -v[99:100]
	ds_read2_b64 v[99:102], v125 offset0:90 offset1:91
	s_waitcnt lgkmcnt(0)
	v_mul_f64 v[31:32], v[101:102], v[97:98]
	v_fma_f64 v[31:32], v[99:100], v[29:30], -v[31:32]
	v_mul_f64 v[99:100], v[99:100], v[97:98]
	v_add_f64 v[21:22], v[21:22], -v[31:32]
	v_fma_f64 v[99:100], v[101:102], v[29:30], v[99:100]
	v_add_f64 v[23:24], v[23:24], -v[99:100]
	ds_read2_b64 v[99:102], v125 offset0:92 offset1:93
	;; [unrolled: 8-line block ×7, first 2 shown]
	s_waitcnt lgkmcnt(0)
	v_mul_f64 v[31:32], v[101:102], v[97:98]
	v_fma_f64 v[31:32], v[99:100], v[29:30], -v[31:32]
	v_mul_f64 v[99:100], v[99:100], v[97:98]
	v_add_f64 v[73:74], v[73:74], -v[31:32]
	v_fma_f64 v[99:100], v[101:102], v[29:30], v[99:100]
	v_mov_b32_e32 v31, v97
	v_mov_b32_e32 v32, v98
	v_add_f64 v[75:76], v[75:76], -v[99:100]
.LBB103_397:
	s_or_b64 exec, exec, s[2:3]
	v_cmp_eq_u32_e32 vcc, 44, v0
	s_waitcnt vmcnt(0)
	s_barrier
	s_and_saveexec_b64 s[4:5], vcc
	s_cbranch_execz .LBB103_404
; %bb.398:
	ds_write2_b64 v127, v[25:26], v[27:28] offset1:1
	ds_write2_b64 v125, v[21:22], v[23:24] offset0:90 offset1:91
	ds_write2_b64 v125, v[17:18], v[19:20] offset0:92 offset1:93
	;; [unrolled: 1-line block ×7, first 2 shown]
	ds_read2_b64 v[97:100], v127 offset1:1
	s_waitcnt lgkmcnt(0)
	v_cmp_neq_f64_e32 vcc, 0, v[97:98]
	v_cmp_neq_f64_e64 s[2:3], 0, v[99:100]
	s_or_b64 s[2:3], vcc, s[2:3]
	s_and_b64 exec, exec, s[2:3]
	s_cbranch_execz .LBB103_404
; %bb.399:
	v_cmp_ngt_f64_e64 s[2:3], |v[97:98]|, |v[99:100]|
                                        ; implicit-def: $vgpr101_vgpr102
	s_and_saveexec_b64 s[6:7], s[2:3]
	s_xor_b64 s[2:3], exec, s[6:7]
                                        ; implicit-def: $vgpr103_vgpr104
	s_cbranch_execz .LBB103_401
; %bb.400:
	v_div_scale_f64 v[101:102], s[6:7], v[99:100], v[99:100], v[97:98]
	v_rcp_f64_e32 v[103:104], v[101:102]
	v_fma_f64 v[105:106], -v[101:102], v[103:104], 1.0
	v_fma_f64 v[103:104], v[103:104], v[105:106], v[103:104]
	v_div_scale_f64 v[105:106], vcc, v[97:98], v[99:100], v[97:98]
	v_fma_f64 v[107:108], -v[101:102], v[103:104], 1.0
	v_fma_f64 v[103:104], v[103:104], v[107:108], v[103:104]
	v_mul_f64 v[107:108], v[105:106], v[103:104]
	v_fma_f64 v[101:102], -v[101:102], v[107:108], v[105:106]
	v_div_fmas_f64 v[101:102], v[101:102], v[103:104], v[107:108]
	v_div_fixup_f64 v[101:102], v[101:102], v[99:100], v[97:98]
	v_fma_f64 v[97:98], v[97:98], v[101:102], v[99:100]
	v_div_scale_f64 v[99:100], s[6:7], v[97:98], v[97:98], 1.0
	v_div_scale_f64 v[107:108], vcc, 1.0, v[97:98], 1.0
	v_rcp_f64_e32 v[103:104], v[99:100]
	v_fma_f64 v[105:106], -v[99:100], v[103:104], 1.0
	v_fma_f64 v[103:104], v[103:104], v[105:106], v[103:104]
	v_fma_f64 v[105:106], -v[99:100], v[103:104], 1.0
	v_fma_f64 v[103:104], v[103:104], v[105:106], v[103:104]
	v_mul_f64 v[105:106], v[107:108], v[103:104]
	v_fma_f64 v[99:100], -v[99:100], v[105:106], v[107:108]
	v_div_fmas_f64 v[99:100], v[99:100], v[103:104], v[105:106]
	v_div_fixup_f64 v[103:104], v[99:100], v[97:98], 1.0
                                        ; implicit-def: $vgpr97_vgpr98
	v_mul_f64 v[101:102], v[101:102], v[103:104]
	v_xor_b32_e32 v104, 0x80000000, v104
.LBB103_401:
	s_andn2_saveexec_b64 s[2:3], s[2:3]
	s_cbranch_execz .LBB103_403
; %bb.402:
	v_div_scale_f64 v[101:102], s[6:7], v[97:98], v[97:98], v[99:100]
	v_rcp_f64_e32 v[103:104], v[101:102]
	v_fma_f64 v[105:106], -v[101:102], v[103:104], 1.0
	v_fma_f64 v[103:104], v[103:104], v[105:106], v[103:104]
	v_div_scale_f64 v[105:106], vcc, v[99:100], v[97:98], v[99:100]
	v_fma_f64 v[107:108], -v[101:102], v[103:104], 1.0
	v_fma_f64 v[103:104], v[103:104], v[107:108], v[103:104]
	v_mul_f64 v[107:108], v[105:106], v[103:104]
	v_fma_f64 v[101:102], -v[101:102], v[107:108], v[105:106]
	v_div_fmas_f64 v[101:102], v[101:102], v[103:104], v[107:108]
	v_div_fixup_f64 v[103:104], v[101:102], v[97:98], v[99:100]
	v_fma_f64 v[97:98], v[99:100], v[103:104], v[97:98]
	v_div_scale_f64 v[99:100], s[6:7], v[97:98], v[97:98], 1.0
	v_div_scale_f64 v[107:108], vcc, 1.0, v[97:98], 1.0
	v_rcp_f64_e32 v[101:102], v[99:100]
	v_fma_f64 v[105:106], -v[99:100], v[101:102], 1.0
	v_fma_f64 v[101:102], v[101:102], v[105:106], v[101:102]
	v_fma_f64 v[105:106], -v[99:100], v[101:102], 1.0
	v_fma_f64 v[101:102], v[101:102], v[105:106], v[101:102]
	v_mul_f64 v[105:106], v[107:108], v[101:102]
	v_fma_f64 v[99:100], -v[99:100], v[105:106], v[107:108]
	v_div_fmas_f64 v[99:100], v[99:100], v[101:102], v[105:106]
	v_div_fixup_f64 v[101:102], v[99:100], v[97:98], 1.0
	v_mul_f64 v[103:104], v[103:104], -v[101:102]
.LBB103_403:
	s_or_b64 exec, exec, s[2:3]
	ds_write2_b64 v127, v[101:102], v[103:104] offset1:1
.LBB103_404:
	s_or_b64 exec, exec, s[4:5]
	s_waitcnt lgkmcnt(0)
	s_barrier
	ds_read2_b64 v[69:72], v127 offset1:1
	v_cmp_lt_u32_e32 vcc, 44, v0
	s_waitcnt lgkmcnt(0)
	buffer_store_dword v69, off, s[20:23], 0 offset:1576 ; 4-byte Folded Spill
	s_nop 0
	buffer_store_dword v70, off, s[20:23], 0 offset:1580 ; 4-byte Folded Spill
	buffer_store_dword v71, off, s[20:23], 0 offset:1584 ; 4-byte Folded Spill
	;; [unrolled: 1-line block ×3, first 2 shown]
	s_and_saveexec_b64 s[2:3], vcc
	s_cbranch_execz .LBB103_406
; %bb.405:
	buffer_load_dword v69, off, s[20:23], 0 offset:1576 ; 4-byte Folded Reload
	buffer_load_dword v70, off, s[20:23], 0 offset:1580 ; 4-byte Folded Reload
	;; [unrolled: 1-line block ×4, first 2 shown]
	ds_read2_b64 v[99:102], v125 offset0:90 offset1:91
	s_waitcnt vmcnt(2)
	v_mul_f64 v[97:98], v[69:70], v[27:28]
	s_waitcnt vmcnt(0)
	v_mul_f64 v[27:28], v[71:72], v[27:28]
	v_fma_f64 v[97:98], v[71:72], v[25:26], v[97:98]
	v_fma_f64 v[25:26], v[69:70], v[25:26], -v[27:28]
	s_waitcnt lgkmcnt(0)
	v_mul_f64 v[27:28], v[101:102], v[97:98]
	v_fma_f64 v[27:28], v[99:100], v[25:26], -v[27:28]
	v_mul_f64 v[99:100], v[99:100], v[97:98]
	v_add_f64 v[21:22], v[21:22], -v[27:28]
	v_fma_f64 v[99:100], v[101:102], v[25:26], v[99:100]
	v_add_f64 v[23:24], v[23:24], -v[99:100]
	ds_read2_b64 v[99:102], v125 offset0:92 offset1:93
	s_waitcnt lgkmcnt(0)
	v_mul_f64 v[27:28], v[101:102], v[97:98]
	v_fma_f64 v[27:28], v[99:100], v[25:26], -v[27:28]
	v_mul_f64 v[99:100], v[99:100], v[97:98]
	v_add_f64 v[17:18], v[17:18], -v[27:28]
	v_fma_f64 v[99:100], v[101:102], v[25:26], v[99:100]
	v_add_f64 v[19:20], v[19:20], -v[99:100]
	ds_read2_b64 v[99:102], v125 offset0:94 offset1:95
	;; [unrolled: 8-line block ×6, first 2 shown]
	s_waitcnt lgkmcnt(0)
	v_mul_f64 v[27:28], v[101:102], v[97:98]
	v_fma_f64 v[27:28], v[99:100], v[25:26], -v[27:28]
	v_mul_f64 v[99:100], v[99:100], v[97:98]
	v_add_f64 v[73:74], v[73:74], -v[27:28]
	v_fma_f64 v[99:100], v[101:102], v[25:26], v[99:100]
	v_mov_b32_e32 v27, v97
	v_mov_b32_e32 v28, v98
	v_add_f64 v[75:76], v[75:76], -v[99:100]
.LBB103_406:
	s_or_b64 exec, exec, s[2:3]
	v_cmp_eq_u32_e32 vcc, 45, v0
	s_waitcnt vmcnt(0)
	s_barrier
	s_and_saveexec_b64 s[4:5], vcc
	s_cbranch_execz .LBB103_413
; %bb.407:
	ds_write2_b64 v127, v[21:22], v[23:24] offset1:1
	ds_write2_b64 v125, v[17:18], v[19:20] offset0:92 offset1:93
	ds_write2_b64 v125, v[13:14], v[15:16] offset0:94 offset1:95
	;; [unrolled: 1-line block ×6, first 2 shown]
	ds_read2_b64 v[97:100], v127 offset1:1
	s_waitcnt lgkmcnt(0)
	v_cmp_neq_f64_e32 vcc, 0, v[97:98]
	v_cmp_neq_f64_e64 s[2:3], 0, v[99:100]
	s_or_b64 s[2:3], vcc, s[2:3]
	s_and_b64 exec, exec, s[2:3]
	s_cbranch_execz .LBB103_413
; %bb.408:
	v_cmp_ngt_f64_e64 s[2:3], |v[97:98]|, |v[99:100]|
                                        ; implicit-def: $vgpr101_vgpr102
	s_and_saveexec_b64 s[6:7], s[2:3]
	s_xor_b64 s[2:3], exec, s[6:7]
                                        ; implicit-def: $vgpr103_vgpr104
	s_cbranch_execz .LBB103_410
; %bb.409:
	v_div_scale_f64 v[101:102], s[6:7], v[99:100], v[99:100], v[97:98]
	v_rcp_f64_e32 v[103:104], v[101:102]
	v_fma_f64 v[105:106], -v[101:102], v[103:104], 1.0
	v_fma_f64 v[103:104], v[103:104], v[105:106], v[103:104]
	v_div_scale_f64 v[105:106], vcc, v[97:98], v[99:100], v[97:98]
	v_fma_f64 v[107:108], -v[101:102], v[103:104], 1.0
	v_fma_f64 v[103:104], v[103:104], v[107:108], v[103:104]
	v_mul_f64 v[107:108], v[105:106], v[103:104]
	v_fma_f64 v[101:102], -v[101:102], v[107:108], v[105:106]
	v_div_fmas_f64 v[101:102], v[101:102], v[103:104], v[107:108]
	v_div_fixup_f64 v[101:102], v[101:102], v[99:100], v[97:98]
	v_fma_f64 v[97:98], v[97:98], v[101:102], v[99:100]
	v_div_scale_f64 v[99:100], s[6:7], v[97:98], v[97:98], 1.0
	v_div_scale_f64 v[107:108], vcc, 1.0, v[97:98], 1.0
	v_rcp_f64_e32 v[103:104], v[99:100]
	v_fma_f64 v[105:106], -v[99:100], v[103:104], 1.0
	v_fma_f64 v[103:104], v[103:104], v[105:106], v[103:104]
	v_fma_f64 v[105:106], -v[99:100], v[103:104], 1.0
	v_fma_f64 v[103:104], v[103:104], v[105:106], v[103:104]
	v_mul_f64 v[105:106], v[107:108], v[103:104]
	v_fma_f64 v[99:100], -v[99:100], v[105:106], v[107:108]
	v_div_fmas_f64 v[99:100], v[99:100], v[103:104], v[105:106]
	v_div_fixup_f64 v[103:104], v[99:100], v[97:98], 1.0
                                        ; implicit-def: $vgpr97_vgpr98
	v_mul_f64 v[101:102], v[101:102], v[103:104]
	v_xor_b32_e32 v104, 0x80000000, v104
.LBB103_410:
	s_andn2_saveexec_b64 s[2:3], s[2:3]
	s_cbranch_execz .LBB103_412
; %bb.411:
	v_div_scale_f64 v[101:102], s[6:7], v[97:98], v[97:98], v[99:100]
	v_rcp_f64_e32 v[103:104], v[101:102]
	v_fma_f64 v[105:106], -v[101:102], v[103:104], 1.0
	v_fma_f64 v[103:104], v[103:104], v[105:106], v[103:104]
	v_div_scale_f64 v[105:106], vcc, v[99:100], v[97:98], v[99:100]
	v_fma_f64 v[107:108], -v[101:102], v[103:104], 1.0
	v_fma_f64 v[103:104], v[103:104], v[107:108], v[103:104]
	v_mul_f64 v[107:108], v[105:106], v[103:104]
	v_fma_f64 v[101:102], -v[101:102], v[107:108], v[105:106]
	v_div_fmas_f64 v[101:102], v[101:102], v[103:104], v[107:108]
	v_div_fixup_f64 v[103:104], v[101:102], v[97:98], v[99:100]
	v_fma_f64 v[97:98], v[99:100], v[103:104], v[97:98]
	v_div_scale_f64 v[99:100], s[6:7], v[97:98], v[97:98], 1.0
	v_div_scale_f64 v[107:108], vcc, 1.0, v[97:98], 1.0
	v_rcp_f64_e32 v[101:102], v[99:100]
	v_fma_f64 v[105:106], -v[99:100], v[101:102], 1.0
	v_fma_f64 v[101:102], v[101:102], v[105:106], v[101:102]
	v_fma_f64 v[105:106], -v[99:100], v[101:102], 1.0
	v_fma_f64 v[101:102], v[101:102], v[105:106], v[101:102]
	v_mul_f64 v[105:106], v[107:108], v[101:102]
	v_fma_f64 v[99:100], -v[99:100], v[105:106], v[107:108]
	v_div_fmas_f64 v[99:100], v[99:100], v[101:102], v[105:106]
	v_div_fixup_f64 v[101:102], v[99:100], v[97:98], 1.0
	v_mul_f64 v[103:104], v[103:104], -v[101:102]
.LBB103_412:
	s_or_b64 exec, exec, s[2:3]
	ds_write2_b64 v127, v[101:102], v[103:104] offset1:1
.LBB103_413:
	s_or_b64 exec, exec, s[4:5]
	s_waitcnt lgkmcnt(0)
	s_barrier
	ds_read2_b64 v[69:72], v127 offset1:1
	v_cmp_lt_u32_e32 vcc, 45, v0
	s_waitcnt lgkmcnt(0)
	buffer_store_dword v69, off, s[20:23], 0 offset:1592 ; 4-byte Folded Spill
	s_nop 0
	buffer_store_dword v70, off, s[20:23], 0 offset:1596 ; 4-byte Folded Spill
	buffer_store_dword v71, off, s[20:23], 0 offset:1600 ; 4-byte Folded Spill
	;; [unrolled: 1-line block ×3, first 2 shown]
	s_and_saveexec_b64 s[2:3], vcc
	s_cbranch_execz .LBB103_415
; %bb.414:
	buffer_load_dword v69, off, s[20:23], 0 offset:1592 ; 4-byte Folded Reload
	buffer_load_dword v70, off, s[20:23], 0 offset:1596 ; 4-byte Folded Reload
	;; [unrolled: 1-line block ×4, first 2 shown]
	ds_read2_b64 v[99:102], v125 offset0:92 offset1:93
	s_waitcnt vmcnt(2)
	v_mul_f64 v[97:98], v[69:70], v[23:24]
	s_waitcnt vmcnt(0)
	v_mul_f64 v[23:24], v[71:72], v[23:24]
	v_fma_f64 v[97:98], v[71:72], v[21:22], v[97:98]
	v_fma_f64 v[21:22], v[69:70], v[21:22], -v[23:24]
	s_waitcnt lgkmcnt(0)
	v_mul_f64 v[23:24], v[101:102], v[97:98]
	v_fma_f64 v[23:24], v[99:100], v[21:22], -v[23:24]
	v_mul_f64 v[99:100], v[99:100], v[97:98]
	v_add_f64 v[17:18], v[17:18], -v[23:24]
	v_fma_f64 v[99:100], v[101:102], v[21:22], v[99:100]
	v_add_f64 v[19:20], v[19:20], -v[99:100]
	ds_read2_b64 v[99:102], v125 offset0:94 offset1:95
	s_waitcnt lgkmcnt(0)
	v_mul_f64 v[23:24], v[101:102], v[97:98]
	v_fma_f64 v[23:24], v[99:100], v[21:22], -v[23:24]
	v_mul_f64 v[99:100], v[99:100], v[97:98]
	v_add_f64 v[13:14], v[13:14], -v[23:24]
	v_fma_f64 v[99:100], v[101:102], v[21:22], v[99:100]
	v_add_f64 v[15:16], v[15:16], -v[99:100]
	ds_read2_b64 v[99:102], v125 offset0:96 offset1:97
	;; [unrolled: 8-line block ×5, first 2 shown]
	s_waitcnt lgkmcnt(0)
	v_mul_f64 v[23:24], v[101:102], v[97:98]
	v_fma_f64 v[23:24], v[99:100], v[21:22], -v[23:24]
	v_mul_f64 v[99:100], v[99:100], v[97:98]
	v_add_f64 v[73:74], v[73:74], -v[23:24]
	v_fma_f64 v[99:100], v[101:102], v[21:22], v[99:100]
	v_mov_b32_e32 v23, v97
	v_mov_b32_e32 v24, v98
	v_add_f64 v[75:76], v[75:76], -v[99:100]
.LBB103_415:
	s_or_b64 exec, exec, s[2:3]
	v_cmp_eq_u32_e32 vcc, 46, v0
	s_waitcnt vmcnt(0)
	s_barrier
	s_and_saveexec_b64 s[4:5], vcc
	s_cbranch_execz .LBB103_422
; %bb.416:
	ds_write2_b64 v127, v[17:18], v[19:20] offset1:1
	ds_write2_b64 v125, v[13:14], v[15:16] offset0:94 offset1:95
	ds_write2_b64 v125, v[9:10], v[11:12] offset0:96 offset1:97
	;; [unrolled: 1-line block ×5, first 2 shown]
	ds_read2_b64 v[97:100], v127 offset1:1
	s_waitcnt lgkmcnt(0)
	v_cmp_neq_f64_e32 vcc, 0, v[97:98]
	v_cmp_neq_f64_e64 s[2:3], 0, v[99:100]
	s_or_b64 s[2:3], vcc, s[2:3]
	s_and_b64 exec, exec, s[2:3]
	s_cbranch_execz .LBB103_422
; %bb.417:
	v_cmp_ngt_f64_e64 s[2:3], |v[97:98]|, |v[99:100]|
                                        ; implicit-def: $vgpr101_vgpr102
	s_and_saveexec_b64 s[6:7], s[2:3]
	s_xor_b64 s[2:3], exec, s[6:7]
                                        ; implicit-def: $vgpr103_vgpr104
	s_cbranch_execz .LBB103_419
; %bb.418:
	v_div_scale_f64 v[101:102], s[6:7], v[99:100], v[99:100], v[97:98]
	v_rcp_f64_e32 v[103:104], v[101:102]
	v_fma_f64 v[105:106], -v[101:102], v[103:104], 1.0
	v_fma_f64 v[103:104], v[103:104], v[105:106], v[103:104]
	v_div_scale_f64 v[105:106], vcc, v[97:98], v[99:100], v[97:98]
	v_fma_f64 v[107:108], -v[101:102], v[103:104], 1.0
	v_fma_f64 v[103:104], v[103:104], v[107:108], v[103:104]
	v_mul_f64 v[107:108], v[105:106], v[103:104]
	v_fma_f64 v[101:102], -v[101:102], v[107:108], v[105:106]
	v_div_fmas_f64 v[101:102], v[101:102], v[103:104], v[107:108]
	v_div_fixup_f64 v[101:102], v[101:102], v[99:100], v[97:98]
	v_fma_f64 v[97:98], v[97:98], v[101:102], v[99:100]
	v_div_scale_f64 v[99:100], s[6:7], v[97:98], v[97:98], 1.0
	v_div_scale_f64 v[107:108], vcc, 1.0, v[97:98], 1.0
	v_rcp_f64_e32 v[103:104], v[99:100]
	v_fma_f64 v[105:106], -v[99:100], v[103:104], 1.0
	v_fma_f64 v[103:104], v[103:104], v[105:106], v[103:104]
	v_fma_f64 v[105:106], -v[99:100], v[103:104], 1.0
	v_fma_f64 v[103:104], v[103:104], v[105:106], v[103:104]
	v_mul_f64 v[105:106], v[107:108], v[103:104]
	v_fma_f64 v[99:100], -v[99:100], v[105:106], v[107:108]
	v_div_fmas_f64 v[99:100], v[99:100], v[103:104], v[105:106]
	v_div_fixup_f64 v[103:104], v[99:100], v[97:98], 1.0
                                        ; implicit-def: $vgpr97_vgpr98
	v_mul_f64 v[101:102], v[101:102], v[103:104]
	v_xor_b32_e32 v104, 0x80000000, v104
.LBB103_419:
	s_andn2_saveexec_b64 s[2:3], s[2:3]
	s_cbranch_execz .LBB103_421
; %bb.420:
	v_div_scale_f64 v[101:102], s[6:7], v[97:98], v[97:98], v[99:100]
	v_rcp_f64_e32 v[103:104], v[101:102]
	v_fma_f64 v[105:106], -v[101:102], v[103:104], 1.0
	v_fma_f64 v[103:104], v[103:104], v[105:106], v[103:104]
	v_div_scale_f64 v[105:106], vcc, v[99:100], v[97:98], v[99:100]
	v_fma_f64 v[107:108], -v[101:102], v[103:104], 1.0
	v_fma_f64 v[103:104], v[103:104], v[107:108], v[103:104]
	v_mul_f64 v[107:108], v[105:106], v[103:104]
	v_fma_f64 v[101:102], -v[101:102], v[107:108], v[105:106]
	v_div_fmas_f64 v[101:102], v[101:102], v[103:104], v[107:108]
	v_div_fixup_f64 v[103:104], v[101:102], v[97:98], v[99:100]
	v_fma_f64 v[97:98], v[99:100], v[103:104], v[97:98]
	v_div_scale_f64 v[99:100], s[6:7], v[97:98], v[97:98], 1.0
	v_div_scale_f64 v[107:108], vcc, 1.0, v[97:98], 1.0
	v_rcp_f64_e32 v[101:102], v[99:100]
	v_fma_f64 v[105:106], -v[99:100], v[101:102], 1.0
	v_fma_f64 v[101:102], v[101:102], v[105:106], v[101:102]
	v_fma_f64 v[105:106], -v[99:100], v[101:102], 1.0
	v_fma_f64 v[101:102], v[101:102], v[105:106], v[101:102]
	v_mul_f64 v[105:106], v[107:108], v[101:102]
	v_fma_f64 v[99:100], -v[99:100], v[105:106], v[107:108]
	v_div_fmas_f64 v[99:100], v[99:100], v[101:102], v[105:106]
	v_div_fixup_f64 v[101:102], v[99:100], v[97:98], 1.0
	v_mul_f64 v[103:104], v[103:104], -v[101:102]
.LBB103_421:
	s_or_b64 exec, exec, s[2:3]
	ds_write2_b64 v127, v[101:102], v[103:104] offset1:1
.LBB103_422:
	s_or_b64 exec, exec, s[4:5]
	s_waitcnt lgkmcnt(0)
	s_barrier
	ds_read2_b64 v[69:72], v127 offset1:1
	v_cmp_lt_u32_e32 vcc, 46, v0
	s_waitcnt lgkmcnt(0)
	buffer_store_dword v69, off, s[20:23], 0 offset:1608 ; 4-byte Folded Spill
	s_nop 0
	buffer_store_dword v70, off, s[20:23], 0 offset:1612 ; 4-byte Folded Spill
	buffer_store_dword v71, off, s[20:23], 0 offset:1616 ; 4-byte Folded Spill
	;; [unrolled: 1-line block ×3, first 2 shown]
	s_and_saveexec_b64 s[2:3], vcc
	s_cbranch_execz .LBB103_424
; %bb.423:
	buffer_load_dword v69, off, s[20:23], 0 offset:1608 ; 4-byte Folded Reload
	buffer_load_dword v70, off, s[20:23], 0 offset:1612 ; 4-byte Folded Reload
	;; [unrolled: 1-line block ×4, first 2 shown]
	s_waitcnt vmcnt(2)
	v_mul_f64 v[97:98], v[69:70], v[19:20]
	s_waitcnt vmcnt(0)
	v_mul_f64 v[19:20], v[71:72], v[19:20]
	v_fma_f64 v[101:102], v[71:72], v[17:18], v[97:98]
	ds_read2_b64 v[97:100], v125 offset0:94 offset1:95
	v_fma_f64 v[17:18], v[69:70], v[17:18], -v[19:20]
	s_waitcnt lgkmcnt(0)
	v_mul_f64 v[19:20], v[99:100], v[101:102]
	v_fma_f64 v[19:20], v[97:98], v[17:18], -v[19:20]
	v_mul_f64 v[97:98], v[97:98], v[101:102]
	v_add_f64 v[13:14], v[13:14], -v[19:20]
	v_fma_f64 v[97:98], v[99:100], v[17:18], v[97:98]
	v_add_f64 v[15:16], v[15:16], -v[97:98]
	ds_read2_b64 v[97:100], v125 offset0:96 offset1:97
	s_waitcnt lgkmcnt(0)
	v_mul_f64 v[19:20], v[99:100], v[101:102]
	v_fma_f64 v[19:20], v[97:98], v[17:18], -v[19:20]
	v_mul_f64 v[97:98], v[97:98], v[101:102]
	v_add_f64 v[9:10], v[9:10], -v[19:20]
	v_fma_f64 v[97:98], v[99:100], v[17:18], v[97:98]
	v_add_f64 v[11:12], v[11:12], -v[97:98]
	ds_read2_b64 v[97:100], v125 offset0:98 offset1:99
	;; [unrolled: 8-line block ×4, first 2 shown]
	s_waitcnt lgkmcnt(0)
	v_mul_f64 v[19:20], v[99:100], v[101:102]
	v_fma_f64 v[19:20], v[97:98], v[17:18], -v[19:20]
	v_mul_f64 v[97:98], v[97:98], v[101:102]
	v_add_f64 v[73:74], v[73:74], -v[19:20]
	v_fma_f64 v[97:98], v[99:100], v[17:18], v[97:98]
	v_mov_b32_e32 v19, v101
	v_mov_b32_e32 v20, v102
	v_add_f64 v[75:76], v[75:76], -v[97:98]
.LBB103_424:
	s_or_b64 exec, exec, s[2:3]
	v_cmp_eq_u32_e32 vcc, 47, v0
	s_waitcnt vmcnt(0)
	s_barrier
	s_and_saveexec_b64 s[4:5], vcc
	s_cbranch_execz .LBB103_431
; %bb.425:
	ds_write2_b64 v127, v[13:14], v[15:16] offset1:1
	ds_write2_b64 v125, v[9:10], v[11:12] offset0:96 offset1:97
	ds_write2_b64 v125, v[5:6], v[7:8] offset0:98 offset1:99
	;; [unrolled: 1-line block ×4, first 2 shown]
	ds_read2_b64 v[97:100], v127 offset1:1
	s_waitcnt lgkmcnt(0)
	v_cmp_neq_f64_e32 vcc, 0, v[97:98]
	v_cmp_neq_f64_e64 s[2:3], 0, v[99:100]
	s_or_b64 s[2:3], vcc, s[2:3]
	s_and_b64 exec, exec, s[2:3]
	s_cbranch_execz .LBB103_431
; %bb.426:
	v_cmp_ngt_f64_e64 s[2:3], |v[97:98]|, |v[99:100]|
                                        ; implicit-def: $vgpr101_vgpr102
	s_and_saveexec_b64 s[6:7], s[2:3]
	s_xor_b64 s[2:3], exec, s[6:7]
                                        ; implicit-def: $vgpr103_vgpr104
	s_cbranch_execz .LBB103_428
; %bb.427:
	v_div_scale_f64 v[101:102], s[6:7], v[99:100], v[99:100], v[97:98]
	v_rcp_f64_e32 v[103:104], v[101:102]
	v_fma_f64 v[105:106], -v[101:102], v[103:104], 1.0
	v_fma_f64 v[103:104], v[103:104], v[105:106], v[103:104]
	v_div_scale_f64 v[105:106], vcc, v[97:98], v[99:100], v[97:98]
	v_fma_f64 v[107:108], -v[101:102], v[103:104], 1.0
	v_fma_f64 v[103:104], v[103:104], v[107:108], v[103:104]
	v_mul_f64 v[107:108], v[105:106], v[103:104]
	v_fma_f64 v[101:102], -v[101:102], v[107:108], v[105:106]
	v_div_fmas_f64 v[101:102], v[101:102], v[103:104], v[107:108]
	v_div_fixup_f64 v[101:102], v[101:102], v[99:100], v[97:98]
	v_fma_f64 v[97:98], v[97:98], v[101:102], v[99:100]
	v_div_scale_f64 v[99:100], s[6:7], v[97:98], v[97:98], 1.0
	v_div_scale_f64 v[107:108], vcc, 1.0, v[97:98], 1.0
	v_rcp_f64_e32 v[103:104], v[99:100]
	v_fma_f64 v[105:106], -v[99:100], v[103:104], 1.0
	v_fma_f64 v[103:104], v[103:104], v[105:106], v[103:104]
	v_fma_f64 v[105:106], -v[99:100], v[103:104], 1.0
	v_fma_f64 v[103:104], v[103:104], v[105:106], v[103:104]
	v_mul_f64 v[105:106], v[107:108], v[103:104]
	v_fma_f64 v[99:100], -v[99:100], v[105:106], v[107:108]
	v_div_fmas_f64 v[99:100], v[99:100], v[103:104], v[105:106]
	v_div_fixup_f64 v[103:104], v[99:100], v[97:98], 1.0
                                        ; implicit-def: $vgpr97_vgpr98
	v_mul_f64 v[101:102], v[101:102], v[103:104]
	v_xor_b32_e32 v104, 0x80000000, v104
.LBB103_428:
	s_andn2_saveexec_b64 s[2:3], s[2:3]
	s_cbranch_execz .LBB103_430
; %bb.429:
	v_div_scale_f64 v[101:102], s[6:7], v[97:98], v[97:98], v[99:100]
	v_rcp_f64_e32 v[103:104], v[101:102]
	v_fma_f64 v[105:106], -v[101:102], v[103:104], 1.0
	v_fma_f64 v[103:104], v[103:104], v[105:106], v[103:104]
	v_div_scale_f64 v[105:106], vcc, v[99:100], v[97:98], v[99:100]
	v_fma_f64 v[107:108], -v[101:102], v[103:104], 1.0
	v_fma_f64 v[103:104], v[103:104], v[107:108], v[103:104]
	v_mul_f64 v[107:108], v[105:106], v[103:104]
	v_fma_f64 v[101:102], -v[101:102], v[107:108], v[105:106]
	v_div_fmas_f64 v[101:102], v[101:102], v[103:104], v[107:108]
	v_div_fixup_f64 v[103:104], v[101:102], v[97:98], v[99:100]
	v_fma_f64 v[97:98], v[99:100], v[103:104], v[97:98]
	v_div_scale_f64 v[99:100], s[6:7], v[97:98], v[97:98], 1.0
	v_div_scale_f64 v[107:108], vcc, 1.0, v[97:98], 1.0
	v_rcp_f64_e32 v[101:102], v[99:100]
	v_fma_f64 v[105:106], -v[99:100], v[101:102], 1.0
	v_fma_f64 v[101:102], v[101:102], v[105:106], v[101:102]
	v_fma_f64 v[105:106], -v[99:100], v[101:102], 1.0
	v_fma_f64 v[101:102], v[101:102], v[105:106], v[101:102]
	v_mul_f64 v[105:106], v[107:108], v[101:102]
	v_fma_f64 v[99:100], -v[99:100], v[105:106], v[107:108]
	v_div_fmas_f64 v[99:100], v[99:100], v[101:102], v[105:106]
	v_div_fixup_f64 v[101:102], v[99:100], v[97:98], 1.0
	v_mul_f64 v[103:104], v[103:104], -v[101:102]
.LBB103_430:
	s_or_b64 exec, exec, s[2:3]
	ds_write2_b64 v127, v[101:102], v[103:104] offset1:1
.LBB103_431:
	s_or_b64 exec, exec, s[4:5]
	s_waitcnt lgkmcnt(0)
	s_barrier
	ds_read2_b64 v[69:72], v127 offset1:1
	v_cmp_lt_u32_e32 vcc, 47, v0
	s_waitcnt lgkmcnt(0)
	buffer_store_dword v69, off, s[20:23], 0 offset:1624 ; 4-byte Folded Spill
	s_nop 0
	buffer_store_dword v70, off, s[20:23], 0 offset:1628 ; 4-byte Folded Spill
	buffer_store_dword v71, off, s[20:23], 0 offset:1632 ; 4-byte Folded Spill
	;; [unrolled: 1-line block ×3, first 2 shown]
	s_and_saveexec_b64 s[2:3], vcc
	s_cbranch_execz .LBB103_433
; %bb.432:
	buffer_load_dword v69, off, s[20:23], 0 offset:1624 ; 4-byte Folded Reload
	buffer_load_dword v70, off, s[20:23], 0 offset:1628 ; 4-byte Folded Reload
	;; [unrolled: 1-line block ×4, first 2 shown]
	s_waitcnt vmcnt(2)
	v_mul_f64 v[97:98], v[69:70], v[15:16]
	s_waitcnt vmcnt(0)
	v_mul_f64 v[15:16], v[71:72], v[15:16]
	v_fma_f64 v[101:102], v[71:72], v[13:14], v[97:98]
	ds_read2_b64 v[97:100], v125 offset0:96 offset1:97
	v_fma_f64 v[13:14], v[69:70], v[13:14], -v[15:16]
	s_waitcnt lgkmcnt(0)
	v_mul_f64 v[15:16], v[99:100], v[101:102]
	v_fma_f64 v[15:16], v[97:98], v[13:14], -v[15:16]
	v_mul_f64 v[97:98], v[97:98], v[101:102]
	v_add_f64 v[9:10], v[9:10], -v[15:16]
	v_fma_f64 v[97:98], v[99:100], v[13:14], v[97:98]
	v_add_f64 v[11:12], v[11:12], -v[97:98]
	ds_read2_b64 v[97:100], v125 offset0:98 offset1:99
	s_waitcnt lgkmcnt(0)
	v_mul_f64 v[15:16], v[99:100], v[101:102]
	v_fma_f64 v[15:16], v[97:98], v[13:14], -v[15:16]
	v_mul_f64 v[97:98], v[97:98], v[101:102]
	v_add_f64 v[5:6], v[5:6], -v[15:16]
	v_fma_f64 v[97:98], v[99:100], v[13:14], v[97:98]
	v_add_f64 v[7:8], v[7:8], -v[97:98]
	ds_read2_b64 v[97:100], v125 offset0:100 offset1:101
	;; [unrolled: 8-line block ×3, first 2 shown]
	s_waitcnt lgkmcnt(0)
	v_mul_f64 v[15:16], v[99:100], v[101:102]
	v_fma_f64 v[15:16], v[97:98], v[13:14], -v[15:16]
	v_mul_f64 v[97:98], v[97:98], v[101:102]
	v_add_f64 v[73:74], v[73:74], -v[15:16]
	v_fma_f64 v[97:98], v[99:100], v[13:14], v[97:98]
	v_mov_b32_e32 v15, v101
	v_mov_b32_e32 v16, v102
	v_add_f64 v[75:76], v[75:76], -v[97:98]
.LBB103_433:
	s_or_b64 exec, exec, s[2:3]
	v_cmp_eq_u32_e32 vcc, 48, v0
	s_waitcnt vmcnt(0)
	s_barrier
	s_and_saveexec_b64 s[4:5], vcc
	s_cbranch_execz .LBB103_440
; %bb.434:
	ds_write2_b64 v127, v[9:10], v[11:12] offset1:1
	ds_write2_b64 v125, v[5:6], v[7:8] offset0:98 offset1:99
	ds_write2_b64 v125, v[1:2], v[3:4] offset0:100 offset1:101
	;; [unrolled: 1-line block ×3, first 2 shown]
	ds_read2_b64 v[97:100], v127 offset1:1
	s_waitcnt lgkmcnt(0)
	v_cmp_neq_f64_e32 vcc, 0, v[97:98]
	v_cmp_neq_f64_e64 s[2:3], 0, v[99:100]
	s_or_b64 s[2:3], vcc, s[2:3]
	s_and_b64 exec, exec, s[2:3]
	s_cbranch_execz .LBB103_440
; %bb.435:
	v_cmp_ngt_f64_e64 s[2:3], |v[97:98]|, |v[99:100]|
                                        ; implicit-def: $vgpr101_vgpr102
	s_and_saveexec_b64 s[6:7], s[2:3]
	s_xor_b64 s[2:3], exec, s[6:7]
                                        ; implicit-def: $vgpr103_vgpr104
	s_cbranch_execz .LBB103_437
; %bb.436:
	v_div_scale_f64 v[101:102], s[6:7], v[99:100], v[99:100], v[97:98]
	v_rcp_f64_e32 v[103:104], v[101:102]
	v_fma_f64 v[105:106], -v[101:102], v[103:104], 1.0
	v_fma_f64 v[103:104], v[103:104], v[105:106], v[103:104]
	v_div_scale_f64 v[105:106], vcc, v[97:98], v[99:100], v[97:98]
	v_fma_f64 v[107:108], -v[101:102], v[103:104], 1.0
	v_fma_f64 v[103:104], v[103:104], v[107:108], v[103:104]
	v_mul_f64 v[107:108], v[105:106], v[103:104]
	v_fma_f64 v[101:102], -v[101:102], v[107:108], v[105:106]
	v_div_fmas_f64 v[101:102], v[101:102], v[103:104], v[107:108]
	v_div_fixup_f64 v[101:102], v[101:102], v[99:100], v[97:98]
	v_fma_f64 v[97:98], v[97:98], v[101:102], v[99:100]
	v_div_scale_f64 v[99:100], s[6:7], v[97:98], v[97:98], 1.0
	v_div_scale_f64 v[107:108], vcc, 1.0, v[97:98], 1.0
	v_rcp_f64_e32 v[103:104], v[99:100]
	v_fma_f64 v[105:106], -v[99:100], v[103:104], 1.0
	v_fma_f64 v[103:104], v[103:104], v[105:106], v[103:104]
	v_fma_f64 v[105:106], -v[99:100], v[103:104], 1.0
	v_fma_f64 v[103:104], v[103:104], v[105:106], v[103:104]
	v_mul_f64 v[105:106], v[107:108], v[103:104]
	v_fma_f64 v[99:100], -v[99:100], v[105:106], v[107:108]
	v_div_fmas_f64 v[99:100], v[99:100], v[103:104], v[105:106]
	v_div_fixup_f64 v[103:104], v[99:100], v[97:98], 1.0
                                        ; implicit-def: $vgpr97_vgpr98
	v_mul_f64 v[101:102], v[101:102], v[103:104]
	v_xor_b32_e32 v104, 0x80000000, v104
.LBB103_437:
	s_andn2_saveexec_b64 s[2:3], s[2:3]
	s_cbranch_execz .LBB103_439
; %bb.438:
	v_div_scale_f64 v[101:102], s[6:7], v[97:98], v[97:98], v[99:100]
	v_rcp_f64_e32 v[103:104], v[101:102]
	v_fma_f64 v[105:106], -v[101:102], v[103:104], 1.0
	v_fma_f64 v[103:104], v[103:104], v[105:106], v[103:104]
	v_div_scale_f64 v[105:106], vcc, v[99:100], v[97:98], v[99:100]
	v_fma_f64 v[107:108], -v[101:102], v[103:104], 1.0
	v_fma_f64 v[103:104], v[103:104], v[107:108], v[103:104]
	v_mul_f64 v[107:108], v[105:106], v[103:104]
	v_fma_f64 v[101:102], -v[101:102], v[107:108], v[105:106]
	v_div_fmas_f64 v[101:102], v[101:102], v[103:104], v[107:108]
	v_div_fixup_f64 v[103:104], v[101:102], v[97:98], v[99:100]
	v_fma_f64 v[97:98], v[99:100], v[103:104], v[97:98]
	v_div_scale_f64 v[99:100], s[6:7], v[97:98], v[97:98], 1.0
	v_div_scale_f64 v[107:108], vcc, 1.0, v[97:98], 1.0
	v_rcp_f64_e32 v[101:102], v[99:100]
	v_fma_f64 v[105:106], -v[99:100], v[101:102], 1.0
	v_fma_f64 v[101:102], v[101:102], v[105:106], v[101:102]
	v_fma_f64 v[105:106], -v[99:100], v[101:102], 1.0
	v_fma_f64 v[101:102], v[101:102], v[105:106], v[101:102]
	v_mul_f64 v[105:106], v[107:108], v[101:102]
	v_fma_f64 v[99:100], -v[99:100], v[105:106], v[107:108]
	v_div_fmas_f64 v[99:100], v[99:100], v[101:102], v[105:106]
	v_div_fixup_f64 v[101:102], v[99:100], v[97:98], 1.0
	v_mul_f64 v[103:104], v[103:104], -v[101:102]
.LBB103_439:
	s_or_b64 exec, exec, s[2:3]
	ds_write2_b64 v127, v[101:102], v[103:104] offset1:1
.LBB103_440:
	s_or_b64 exec, exec, s[4:5]
	s_waitcnt lgkmcnt(0)
	s_barrier
	ds_read2_b64 v[69:72], v127 offset1:1
	v_cmp_lt_u32_e32 vcc, 48, v0
	s_waitcnt lgkmcnt(0)
	buffer_store_dword v69, off, s[20:23], 0 offset:1640 ; 4-byte Folded Spill
	s_nop 0
	buffer_store_dword v70, off, s[20:23], 0 offset:1644 ; 4-byte Folded Spill
	buffer_store_dword v71, off, s[20:23], 0 offset:1648 ; 4-byte Folded Spill
	;; [unrolled: 1-line block ×3, first 2 shown]
	s_and_saveexec_b64 s[2:3], vcc
	s_cbranch_execz .LBB103_442
; %bb.441:
	buffer_load_dword v69, off, s[20:23], 0 offset:1640 ; 4-byte Folded Reload
	buffer_load_dword v70, off, s[20:23], 0 offset:1644 ; 4-byte Folded Reload
	;; [unrolled: 1-line block ×4, first 2 shown]
	s_waitcnt vmcnt(2)
	v_mul_f64 v[97:98], v[69:70], v[11:12]
	s_waitcnt vmcnt(0)
	v_mul_f64 v[11:12], v[71:72], v[11:12]
	v_fma_f64 v[101:102], v[71:72], v[9:10], v[97:98]
	ds_read2_b64 v[97:100], v125 offset0:98 offset1:99
	v_fma_f64 v[9:10], v[69:70], v[9:10], -v[11:12]
	s_waitcnt lgkmcnt(0)
	v_mul_f64 v[11:12], v[99:100], v[101:102]
	v_fma_f64 v[11:12], v[97:98], v[9:10], -v[11:12]
	v_mul_f64 v[97:98], v[97:98], v[101:102]
	v_add_f64 v[5:6], v[5:6], -v[11:12]
	v_fma_f64 v[97:98], v[99:100], v[9:10], v[97:98]
	v_add_f64 v[7:8], v[7:8], -v[97:98]
	ds_read2_b64 v[97:100], v125 offset0:100 offset1:101
	s_waitcnt lgkmcnt(0)
	v_mul_f64 v[11:12], v[99:100], v[101:102]
	v_fma_f64 v[11:12], v[97:98], v[9:10], -v[11:12]
	v_mul_f64 v[97:98], v[97:98], v[101:102]
	v_add_f64 v[1:2], v[1:2], -v[11:12]
	v_fma_f64 v[97:98], v[99:100], v[9:10], v[97:98]
	v_add_f64 v[3:4], v[3:4], -v[97:98]
	ds_read2_b64 v[97:100], v125 offset0:102 offset1:103
	s_waitcnt lgkmcnt(0)
	v_mul_f64 v[11:12], v[99:100], v[101:102]
	v_fma_f64 v[11:12], v[97:98], v[9:10], -v[11:12]
	v_mul_f64 v[97:98], v[97:98], v[101:102]
	v_add_f64 v[73:74], v[73:74], -v[11:12]
	v_fma_f64 v[97:98], v[99:100], v[9:10], v[97:98]
	v_mov_b32_e32 v11, v101
	v_mov_b32_e32 v12, v102
	v_add_f64 v[75:76], v[75:76], -v[97:98]
.LBB103_442:
	s_or_b64 exec, exec, s[2:3]
	v_cmp_eq_u32_e32 vcc, 49, v0
	s_waitcnt vmcnt(0)
	s_barrier
	s_and_saveexec_b64 s[4:5], vcc
	s_cbranch_execz .LBB103_449
; %bb.443:
	ds_write2_b64 v127, v[5:6], v[7:8] offset1:1
	ds_write2_b64 v125, v[1:2], v[3:4] offset0:100 offset1:101
	ds_write2_b64 v125, v[73:74], v[75:76] offset0:102 offset1:103
	ds_read2_b64 v[97:100], v127 offset1:1
	s_waitcnt lgkmcnt(0)
	v_cmp_neq_f64_e32 vcc, 0, v[97:98]
	v_cmp_neq_f64_e64 s[2:3], 0, v[99:100]
	s_or_b64 s[2:3], vcc, s[2:3]
	s_and_b64 exec, exec, s[2:3]
	s_cbranch_execz .LBB103_449
; %bb.444:
	v_cmp_ngt_f64_e64 s[2:3], |v[97:98]|, |v[99:100]|
                                        ; implicit-def: $vgpr101_vgpr102
	s_and_saveexec_b64 s[6:7], s[2:3]
	s_xor_b64 s[2:3], exec, s[6:7]
                                        ; implicit-def: $vgpr103_vgpr104
	s_cbranch_execz .LBB103_446
; %bb.445:
	v_div_scale_f64 v[101:102], s[6:7], v[99:100], v[99:100], v[97:98]
	v_rcp_f64_e32 v[103:104], v[101:102]
	v_fma_f64 v[105:106], -v[101:102], v[103:104], 1.0
	v_fma_f64 v[103:104], v[103:104], v[105:106], v[103:104]
	v_div_scale_f64 v[105:106], vcc, v[97:98], v[99:100], v[97:98]
	v_fma_f64 v[107:108], -v[101:102], v[103:104], 1.0
	v_fma_f64 v[103:104], v[103:104], v[107:108], v[103:104]
	v_mul_f64 v[107:108], v[105:106], v[103:104]
	v_fma_f64 v[101:102], -v[101:102], v[107:108], v[105:106]
	v_div_fmas_f64 v[101:102], v[101:102], v[103:104], v[107:108]
	v_div_fixup_f64 v[101:102], v[101:102], v[99:100], v[97:98]
	v_fma_f64 v[97:98], v[97:98], v[101:102], v[99:100]
	v_div_scale_f64 v[99:100], s[6:7], v[97:98], v[97:98], 1.0
	v_div_scale_f64 v[107:108], vcc, 1.0, v[97:98], 1.0
	v_rcp_f64_e32 v[103:104], v[99:100]
	v_fma_f64 v[105:106], -v[99:100], v[103:104], 1.0
	v_fma_f64 v[103:104], v[103:104], v[105:106], v[103:104]
	v_fma_f64 v[105:106], -v[99:100], v[103:104], 1.0
	v_fma_f64 v[103:104], v[103:104], v[105:106], v[103:104]
	v_mul_f64 v[105:106], v[107:108], v[103:104]
	v_fma_f64 v[99:100], -v[99:100], v[105:106], v[107:108]
	v_div_fmas_f64 v[99:100], v[99:100], v[103:104], v[105:106]
	v_div_fixup_f64 v[103:104], v[99:100], v[97:98], 1.0
                                        ; implicit-def: $vgpr97_vgpr98
	v_mul_f64 v[101:102], v[101:102], v[103:104]
	v_xor_b32_e32 v104, 0x80000000, v104
.LBB103_446:
	s_andn2_saveexec_b64 s[2:3], s[2:3]
	s_cbranch_execz .LBB103_448
; %bb.447:
	v_div_scale_f64 v[101:102], s[6:7], v[97:98], v[97:98], v[99:100]
	v_rcp_f64_e32 v[103:104], v[101:102]
	v_fma_f64 v[105:106], -v[101:102], v[103:104], 1.0
	v_fma_f64 v[103:104], v[103:104], v[105:106], v[103:104]
	v_div_scale_f64 v[105:106], vcc, v[99:100], v[97:98], v[99:100]
	v_fma_f64 v[107:108], -v[101:102], v[103:104], 1.0
	v_fma_f64 v[103:104], v[103:104], v[107:108], v[103:104]
	v_mul_f64 v[107:108], v[105:106], v[103:104]
	v_fma_f64 v[101:102], -v[101:102], v[107:108], v[105:106]
	v_div_fmas_f64 v[101:102], v[101:102], v[103:104], v[107:108]
	v_div_fixup_f64 v[103:104], v[101:102], v[97:98], v[99:100]
	v_fma_f64 v[97:98], v[99:100], v[103:104], v[97:98]
	v_div_scale_f64 v[99:100], s[6:7], v[97:98], v[97:98], 1.0
	v_div_scale_f64 v[107:108], vcc, 1.0, v[97:98], 1.0
	v_rcp_f64_e32 v[101:102], v[99:100]
	v_fma_f64 v[105:106], -v[99:100], v[101:102], 1.0
	v_fma_f64 v[101:102], v[101:102], v[105:106], v[101:102]
	v_fma_f64 v[105:106], -v[99:100], v[101:102], 1.0
	v_fma_f64 v[101:102], v[101:102], v[105:106], v[101:102]
	v_mul_f64 v[105:106], v[107:108], v[101:102]
	v_fma_f64 v[99:100], -v[99:100], v[105:106], v[107:108]
	v_div_fmas_f64 v[99:100], v[99:100], v[101:102], v[105:106]
	v_div_fixup_f64 v[101:102], v[99:100], v[97:98], 1.0
	v_mul_f64 v[103:104], v[103:104], -v[101:102]
.LBB103_448:
	s_or_b64 exec, exec, s[2:3]
	ds_write2_b64 v127, v[101:102], v[103:104] offset1:1
.LBB103_449:
	s_or_b64 exec, exec, s[4:5]
	s_waitcnt lgkmcnt(0)
	s_barrier
	ds_read2_b64 v[69:72], v127 offset1:1
	v_cmp_lt_u32_e32 vcc, 49, v0
	s_and_saveexec_b64 s[2:3], vcc
	s_cbranch_execz .LBB103_451
; %bb.450:
	s_waitcnt lgkmcnt(0)
	v_mul_f64 v[97:98], v[69:70], v[7:8]
	v_mul_f64 v[7:8], v[71:72], v[7:8]
	v_fma_f64 v[105:106], v[71:72], v[5:6], v[97:98]
	ds_read2_b64 v[97:100], v125 offset0:100 offset1:101
	v_fma_f64 v[5:6], v[69:70], v[5:6], -v[7:8]
	s_waitcnt lgkmcnt(0)
	v_mul_f64 v[7:8], v[99:100], v[105:106]
	v_fma_f64 v[7:8], v[97:98], v[5:6], -v[7:8]
	v_mul_f64 v[97:98], v[97:98], v[105:106]
	v_add_f64 v[1:2], v[1:2], -v[7:8]
	v_fma_f64 v[97:98], v[99:100], v[5:6], v[97:98]
	v_add_f64 v[3:4], v[3:4], -v[97:98]
	ds_read2_b64 v[97:100], v125 offset0:102 offset1:103
	s_waitcnt lgkmcnt(0)
	v_mul_f64 v[7:8], v[99:100], v[105:106]
	v_fma_f64 v[7:8], v[97:98], v[5:6], -v[7:8]
	v_mul_f64 v[97:98], v[97:98], v[105:106]
	v_add_f64 v[73:74], v[73:74], -v[7:8]
	v_fma_f64 v[97:98], v[99:100], v[5:6], v[97:98]
	v_mov_b32_e32 v7, v105
	v_mov_b32_e32 v8, v106
	v_add_f64 v[75:76], v[75:76], -v[97:98]
.LBB103_451:
	s_or_b64 exec, exec, s[2:3]
	v_cmp_eq_u32_e32 vcc, 50, v0
	s_waitcnt lgkmcnt(0)
	s_barrier
	s_and_saveexec_b64 s[4:5], vcc
	s_cbranch_execz .LBB103_458
; %bb.452:
	ds_write2_b64 v127, v[1:2], v[3:4] offset1:1
	ds_write2_b64 v125, v[73:74], v[75:76] offset0:102 offset1:103
	ds_read2_b64 v[97:100], v127 offset1:1
	s_waitcnt lgkmcnt(0)
	v_cmp_neq_f64_e32 vcc, 0, v[97:98]
	v_cmp_neq_f64_e64 s[2:3], 0, v[99:100]
	s_or_b64 s[2:3], vcc, s[2:3]
	s_and_b64 exec, exec, s[2:3]
	s_cbranch_execz .LBB103_458
; %bb.453:
	v_cmp_ngt_f64_e64 s[2:3], |v[97:98]|, |v[99:100]|
                                        ; implicit-def: $vgpr105_vgpr106
	s_and_saveexec_b64 s[6:7], s[2:3]
	s_xor_b64 s[2:3], exec, s[6:7]
                                        ; implicit-def: $vgpr107_vgpr108
	s_cbranch_execz .LBB103_455
; %bb.454:
	v_div_scale_f64 v[105:106], s[6:7], v[99:100], v[99:100], v[97:98]
	v_mov_b32_e32 v77, v93
	v_mov_b32_e32 v78, v94
	;; [unrolled: 1-line block ×4, first 2 shown]
	v_div_scale_f64 v[95:96], vcc, v[97:98], v[99:100], v[97:98]
	v_rcp_f64_e32 v[107:108], v[105:106]
	v_fma_f64 v[93:94], -v[105:106], v[107:108], 1.0
	v_fma_f64 v[93:94], v[107:108], v[93:94], v[107:108]
	v_fma_f64 v[107:108], -v[105:106], v[93:94], 1.0
	v_fma_f64 v[93:94], v[93:94], v[107:108], v[93:94]
	v_mul_f64 v[107:108], v[95:96], v[93:94]
	v_fma_f64 v[95:96], -v[105:106], v[107:108], v[95:96]
	v_div_fmas_f64 v[93:94], v[95:96], v[93:94], v[107:108]
	v_div_fixup_f64 v[93:94], v[93:94], v[99:100], v[97:98]
	v_fma_f64 v[95:96], v[97:98], v[93:94], v[99:100]
	v_div_scale_f64 v[97:98], s[6:7], v[95:96], v[95:96], 1.0
	v_div_scale_f64 v[107:108], vcc, 1.0, v[95:96], 1.0
	v_rcp_f64_e32 v[99:100], v[97:98]
	v_fma_f64 v[105:106], -v[97:98], v[99:100], 1.0
	v_fma_f64 v[99:100], v[99:100], v[105:106], v[99:100]
	v_fma_f64 v[105:106], -v[97:98], v[99:100], 1.0
	v_fma_f64 v[99:100], v[99:100], v[105:106], v[99:100]
	v_mul_f64 v[105:106], v[107:108], v[99:100]
	v_fma_f64 v[97:98], -v[97:98], v[105:106], v[107:108]
	v_div_fmas_f64 v[97:98], v[97:98], v[99:100], v[105:106]
	v_div_fixup_f64 v[107:108], v[97:98], v[95:96], 1.0
                                        ; implicit-def: $vgpr97_vgpr98
	v_mul_f64 v[105:106], v[93:94], v[107:108]
	v_mov_b32_e32 v96, v80
	v_mov_b32_e32 v95, v79
	;; [unrolled: 1-line block ×4, first 2 shown]
	v_xor_b32_e32 v108, 0x80000000, v108
.LBB103_455:
	s_andn2_saveexec_b64 s[2:3], s[2:3]
	s_cbranch_execz .LBB103_457
; %bb.456:
	v_mov_b32_e32 v77, v117
	v_mov_b32_e32 v78, v118
	;; [unrolled: 1-line block ×8, first 2 shown]
	v_div_scale_f64 v[93:94], s[6:7], v[97:98], v[97:98], v[99:100]
	v_rcp_f64_e32 v[95:96], v[93:94]
	v_fma_f64 v[105:106], -v[93:94], v[95:96], 1.0
	v_fma_f64 v[95:96], v[95:96], v[105:106], v[95:96]
	v_div_scale_f64 v[105:106], vcc, v[99:100], v[97:98], v[99:100]
	v_fma_f64 v[107:108], -v[93:94], v[95:96], 1.0
	v_fma_f64 v[95:96], v[95:96], v[107:108], v[95:96]
	v_mul_f64 v[107:108], v[105:106], v[95:96]
	v_fma_f64 v[93:94], -v[93:94], v[107:108], v[105:106]
	v_div_fmas_f64 v[93:94], v[93:94], v[95:96], v[107:108]
	v_div_fixup_f64 v[93:94], v[93:94], v[97:98], v[99:100]
	v_fma_f64 v[95:96], v[99:100], v[93:94], v[97:98]
	v_div_scale_f64 v[97:98], s[6:7], v[95:96], v[95:96], 1.0
	v_div_scale_f64 v[107:108], vcc, 1.0, v[95:96], 1.0
	v_rcp_f64_e32 v[99:100], v[97:98]
	v_fma_f64 v[105:106], -v[97:98], v[99:100], 1.0
	v_fma_f64 v[99:100], v[99:100], v[105:106], v[99:100]
	v_fma_f64 v[105:106], -v[97:98], v[99:100], 1.0
	v_fma_f64 v[99:100], v[99:100], v[105:106], v[99:100]
	v_mul_f64 v[105:106], v[107:108], v[99:100]
	v_fma_f64 v[97:98], -v[97:98], v[105:106], v[107:108]
	v_div_fmas_f64 v[97:98], v[97:98], v[99:100], v[105:106]
	v_div_fixup_f64 v[105:106], v[97:98], v[95:96], 1.0
	v_mul_f64 v[107:108], v[93:94], -v[105:106]
	v_mov_b32_e32 v93, v117
	v_mov_b32_e32 v94, v118
	;; [unrolled: 1-line block ×8, first 2 shown]
.LBB103_457:
	s_or_b64 exec, exec, s[2:3]
	ds_write2_b64 v127, v[105:106], v[107:108] offset1:1
.LBB103_458:
	s_or_b64 exec, exec, s[4:5]
	s_waitcnt lgkmcnt(0)
	s_barrier
	ds_read2_b64 v[97:100], v127 offset1:1
	v_cmp_lt_u32_e32 vcc, 50, v0
	s_and_saveexec_b64 s[2:3], vcc
	s_cbranch_execz .LBB103_460
; %bb.459:
	v_mov_b32_e32 v77, v117
	v_mov_b32_e32 v78, v118
	;; [unrolled: 1-line block ×8, first 2 shown]
	s_waitcnt lgkmcnt(0)
	v_mul_f64 v[93:94], v[97:98], v[3:4]
	v_mul_f64 v[3:4], v[99:100], v[3:4]
	ds_read2_b64 v[105:108], v125 offset0:102 offset1:103
	v_fma_f64 v[93:94], v[99:100], v[1:2], v[93:94]
	v_fma_f64 v[1:2], v[97:98], v[1:2], -v[3:4]
	s_waitcnt lgkmcnt(0)
	v_mul_f64 v[3:4], v[107:108], v[93:94]
	v_mul_f64 v[95:96], v[105:106], v[93:94]
	v_fma_f64 v[3:4], v[105:106], v[1:2], -v[3:4]
	v_fma_f64 v[95:96], v[107:108], v[1:2], v[95:96]
	v_add_f64 v[73:74], v[73:74], -v[3:4]
	v_add_f64 v[75:76], v[75:76], -v[95:96]
	v_mov_b32_e32 v3, v93
	v_mov_b32_e32 v4, v94
	;; [unrolled: 1-line block ×10, first 2 shown]
.LBB103_460:
	s_or_b64 exec, exec, s[2:3]
	s_waitcnt lgkmcnt(0)
	s_barrier
	v_cmp_eq_u32_e32 vcc, 51, v0
	s_mov_b64 s[4:5], exec
	s_and_b64 s[2:3], s[4:5], vcc
	buffer_store_dword v73, off, s[20:23], 0 offset:464 ; 4-byte Folded Spill
	s_nop 0
	buffer_store_dword v74, off, s[20:23], 0 offset:468 ; 4-byte Folded Spill
	buffer_store_dword v75, off, s[20:23], 0 offset:472 ; 4-byte Folded Spill
	;; [unrolled: 1-line block ×3, first 2 shown]
	s_mov_b64 exec, s[2:3]
	s_cbranch_execz .LBB103_467
; %bb.461:
	v_cmp_neq_f64_e32 vcc, 0, v[73:74]
	v_cmp_neq_f64_e64 s[2:3], 0, v[75:76]
	ds_write2_b64 v127, v[73:74], v[75:76] offset1:1
	s_or_b64 s[2:3], vcc, s[2:3]
	s_and_b64 exec, exec, s[2:3]
	s_cbranch_execz .LBB103_467
; %bb.462:
	v_cmp_ngt_f64_e64 s[2:3], |v[73:74]|, |v[75:76]|
                                        ; implicit-def: $vgpr105_vgpr106
	s_and_saveexec_b64 s[6:7], s[2:3]
	s_xor_b64 s[2:3], exec, s[6:7]
                                        ; implicit-def: $vgpr107_vgpr108
	s_cbranch_execz .LBB103_464
; %bb.463:
	v_mov_b32_e32 v77, v93
	v_mov_b32_e32 v78, v94
	;; [unrolled: 1-line block ×4, first 2 shown]
	v_div_scale_f64 v[93:94], s[6:7], v[75:76], v[75:76], v[73:74]
	v_mov_b32_e32 v101, v117
	v_mov_b32_e32 v102, v118
	;; [unrolled: 1-line block ×10, first 2 shown]
	v_rcp_f64_e32 v[95:96], v[93:94]
	v_fma_f64 v[105:106], -v[93:94], v[95:96], 1.0
	v_fma_f64 v[95:96], v[95:96], v[105:106], v[95:96]
	v_div_scale_f64 v[105:106], vcc, v[73:74], v[75:76], v[73:74]
	v_fma_f64 v[107:108], -v[93:94], v[95:96], 1.0
	v_fma_f64 v[95:96], v[95:96], v[107:108], v[95:96]
	v_mul_f64 v[107:108], v[105:106], v[95:96]
	v_fma_f64 v[93:94], -v[93:94], v[107:108], v[105:106]
	v_div_fmas_f64 v[93:94], v[93:94], v[95:96], v[107:108]
	v_div_fixup_f64 v[93:94], v[93:94], v[75:76], v[73:74]
	v_fma_f64 v[95:96], v[73:74], v[93:94], v[75:76]
	v_mov_b32_e32 v73, v121
	v_mov_b32_e32 v74, v122
	;; [unrolled: 1-line block ×25, first 2 shown]
	v_div_scale_f64 v[105:106], s[6:7], v[95:96], v[95:96], 1.0
	v_mov_b32_e32 v14, v18
	v_mov_b32_e32 v15, v19
	;; [unrolled: 1-line block ×60, first 2 shown]
	v_rcp_f64_e32 v[107:108], v[105:106]
	v_mov_b32_e32 v47, v43
	v_mov_b32_e32 v46, v42
	;; [unrolled: 1-line block ×59, first 2 shown]
	buffer_load_dword v73, off, s[20:23], 0 offset:464 ; 4-byte Folded Reload
	buffer_load_dword v74, off, s[20:23], 0 offset:468 ; 4-byte Folded Reload
	buffer_load_dword v75, off, s[20:23], 0 offset:472 ; 4-byte Folded Reload
	buffer_load_dword v76, off, s[20:23], 0 offset:476 ; 4-byte Folded Reload
	v_fma_f64 v[125:126], -v[105:106], v[107:108], 1.0
	v_div_scale_f64 v[89:90], vcc, 1.0, v[95:96], 1.0
	v_fma_f64 v[107:108], v[107:108], v[125:126], v[107:108]
	v_fma_f64 v[125:126], -v[105:106], v[107:108], 1.0
	v_fma_f64 v[91:92], v[107:108], v[125:126], v[107:108]
	v_mul_f64 v[107:108], v[89:90], v[91:92]
	v_fma_f64 v[89:90], -v[105:106], v[107:108], v[89:90]
	v_div_fmas_f64 v[89:90], v[89:90], v[91:92], v[107:108]
	v_mov_b32_e32 v91, v117
	v_mov_b32_e32 v92, v118
	;; [unrolled: 1-line block ×6, first 2 shown]
	v_div_fixup_f64 v[107:108], v[89:90], v[95:96], 1.0
	v_mul_f64 v[105:106], v[93:94], v[107:108]
	v_mov_b32_e32 v96, v80
	v_mov_b32_e32 v95, v79
	;; [unrolled: 1-line block ×4, first 2 shown]
	v_xor_b32_e32 v108, 0x80000000, v108
.LBB103_464:
	s_andn2_saveexec_b64 s[2:3], s[2:3]
	s_cbranch_execz .LBB103_466
; %bb.465:
	s_waitcnt vmcnt(0)
	v_div_scale_f64 v[89:90], s[6:7], v[73:74], v[73:74], v[75:76]
	v_mov_b32_e32 v126, v92
	v_mov_b32_e32 v125, v91
	;; [unrolled: 1-line block ×6, first 2 shown]
	v_rcp_f64_e32 v[91:92], v[89:90]
	v_fma_f64 v[93:94], -v[89:90], v[91:92], 1.0
	v_fma_f64 v[91:92], v[91:92], v[93:94], v[91:92]
	v_div_scale_f64 v[93:94], vcc, v[75:76], v[73:74], v[75:76]
	v_fma_f64 v[95:96], -v[89:90], v[91:92], 1.0
	v_fma_f64 v[91:92], v[91:92], v[95:96], v[91:92]
	v_mul_f64 v[95:96], v[93:94], v[91:92]
	v_fma_f64 v[89:90], -v[89:90], v[95:96], v[93:94]
	v_div_fmas_f64 v[89:90], v[89:90], v[91:92], v[95:96]
	v_div_fixup_f64 v[89:90], v[89:90], v[73:74], v[75:76]
	v_fma_f64 v[91:92], v[75:76], v[89:90], v[73:74]
	v_div_scale_f64 v[93:94], s[6:7], v[91:92], v[91:92], 1.0
	v_div_scale_f64 v[107:108], vcc, 1.0, v[91:92], 1.0
	v_rcp_f64_e32 v[95:96], v[93:94]
	v_fma_f64 v[105:106], -v[93:94], v[95:96], 1.0
	v_fma_f64 v[95:96], v[95:96], v[105:106], v[95:96]
	v_fma_f64 v[105:106], -v[93:94], v[95:96], 1.0
	v_fma_f64 v[95:96], v[95:96], v[105:106], v[95:96]
	v_mul_f64 v[105:106], v[107:108], v[95:96]
	v_fma_f64 v[93:94], -v[93:94], v[105:106], v[107:108]
	v_div_fmas_f64 v[93:94], v[93:94], v[95:96], v[105:106]
	v_div_fixup_f64 v[105:106], v[93:94], v[91:92], 1.0
	v_mov_b32_e32 v96, v80
	v_mov_b32_e32 v91, v125
	;; [unrolled: 1-line block ×6, first 2 shown]
	v_mul_f64 v[107:108], v[89:90], -v[105:106]
.LBB103_466:
	s_or_b64 exec, exec, s[2:3]
	ds_write2_b64 v127, v[105:106], v[107:108] offset1:1
.LBB103_467:
	s_or_b64 exec, exec, s[4:5]
	s_waitcnt vmcnt(0) lgkmcnt(0)
	s_barrier
	ds_read2_b64 v[105:108], v127 offset1:1
	s_waitcnt lgkmcnt(0)
	s_barrier
	s_and_saveexec_b64 s[2:3], s[0:1]
	s_cbranch_execz .LBB103_470
; %bb.468:
	buffer_load_dword v73, off, s[20:23], 0 offset:872 ; 4-byte Folded Reload
	buffer_load_dword v74, off, s[20:23], 0 offset:876 ; 4-byte Folded Reload
	;; [unrolled: 1-line block ×4, first 2 shown]
	s_waitcnt vmcnt(2)
	v_cmp_eq_f64_e32 vcc, 0, v[73:74]
	s_waitcnt vmcnt(0)
	v_cmp_eq_f64_e64 s[0:1], 0, v[75:76]
	buffer_load_dword v73, off, s[20:23], 0 offset:888 ; 4-byte Folded Reload
	buffer_load_dword v74, off, s[20:23], 0 offset:892 ; 4-byte Folded Reload
	;; [unrolled: 1-line block ×4, first 2 shown]
	s_and_b64 s[4:5], vcc, s[0:1]
	v_cndmask_b32_e64 v89, 0, 1, s[4:5]
	s_waitcnt vmcnt(2)
	v_cmp_neq_f64_e32 vcc, 0, v[73:74]
	s_waitcnt vmcnt(0)
	v_cmp_neq_f64_e64 s[0:1], 0, v[75:76]
	buffer_load_dword v73, off, s[20:23], 0 offset:904 ; 4-byte Folded Reload
	buffer_load_dword v74, off, s[20:23], 0 offset:908 ; 4-byte Folded Reload
	;; [unrolled: 1-line block ×4, first 2 shown]
	s_or_b64 s[0:1], vcc, s[0:1]
	s_or_b64 vcc, s[0:1], s[4:5]
	v_cndmask_b32_e32 v89, 2, v89, vcc
	s_waitcnt vmcnt(2)
	v_cmp_eq_f64_e32 vcc, 0, v[73:74]
	s_waitcnt vmcnt(0)
	v_cmp_eq_f64_e64 s[0:1], 0, v[75:76]
	buffer_load_dword v73, off, s[20:23], 0 offset:920 ; 4-byte Folded Reload
	buffer_load_dword v74, off, s[20:23], 0 offset:924 ; 4-byte Folded Reload
	buffer_load_dword v75, off, s[20:23], 0 offset:928 ; 4-byte Folded Reload
	buffer_load_dword v76, off, s[20:23], 0 offset:932 ; 4-byte Folded Reload
	s_and_b64 s[0:1], vcc, s[0:1]
	v_cmp_eq_u32_e32 vcc, 0, v89
	s_and_b64 s[0:1], s[0:1], vcc
	v_cndmask_b32_e64 v89, v89, 3, s[0:1]
	s_waitcnt vmcnt(2)
	v_cmp_eq_f64_e32 vcc, 0, v[73:74]
	s_waitcnt vmcnt(0)
	v_cmp_eq_f64_e64 s[0:1], 0, v[75:76]
	buffer_load_dword v73, off, s[20:23], 0 offset:936 ; 4-byte Folded Reload
	buffer_load_dword v74, off, s[20:23], 0 offset:940 ; 4-byte Folded Reload
	buffer_load_dword v75, off, s[20:23], 0 offset:944 ; 4-byte Folded Reload
	buffer_load_dword v76, off, s[20:23], 0 offset:948 ; 4-byte Folded Reload
	s_and_b64 s[0:1], vcc, s[0:1]
	v_cmp_eq_u32_e32 vcc, 0, v89
	s_and_b64 s[0:1], s[0:1], vcc
	v_cndmask_b32_e64 v89, v89, 4, s[0:1]
	s_waitcnt vmcnt(2)
	v_cmp_eq_f64_e32 vcc, 0, v[73:74]
	s_waitcnt vmcnt(0)
	v_cmp_eq_f64_e64 s[0:1], 0, v[75:76]
	buffer_load_dword v73, off, s[20:23], 0 offset:952 ; 4-byte Folded Reload
	buffer_load_dword v74, off, s[20:23], 0 offset:956 ; 4-byte Folded Reload
	buffer_load_dword v75, off, s[20:23], 0 offset:960 ; 4-byte Folded Reload
	buffer_load_dword v76, off, s[20:23], 0 offset:964 ; 4-byte Folded Reload
	s_and_b64 s[0:1], vcc, s[0:1]
	v_cmp_eq_u32_e32 vcc, 0, v89
	s_and_b64 s[0:1], s[0:1], vcc
	v_cndmask_b32_e64 v89, v89, 5, s[0:1]
	s_waitcnt vmcnt(2)
	v_cmp_eq_f64_e32 vcc, 0, v[73:74]
	s_waitcnt vmcnt(0)
	v_cmp_eq_f64_e64 s[0:1], 0, v[75:76]
	buffer_load_dword v73, off, s[20:23], 0 offset:968 ; 4-byte Folded Reload
	buffer_load_dword v74, off, s[20:23], 0 offset:972 ; 4-byte Folded Reload
	buffer_load_dword v75, off, s[20:23], 0 offset:976 ; 4-byte Folded Reload
	buffer_load_dword v76, off, s[20:23], 0 offset:980 ; 4-byte Folded Reload
	s_and_b64 s[0:1], vcc, s[0:1]
	v_cmp_eq_u32_e32 vcc, 0, v89
	s_and_b64 s[0:1], s[0:1], vcc
	v_cndmask_b32_e64 v89, v89, 6, s[0:1]
	s_waitcnt vmcnt(2)
	v_cmp_eq_f64_e32 vcc, 0, v[73:74]
	s_waitcnt vmcnt(0)
	v_cmp_eq_f64_e64 s[0:1], 0, v[75:76]
	buffer_load_dword v73, off, s[20:23], 0 offset:984 ; 4-byte Folded Reload
	buffer_load_dword v74, off, s[20:23], 0 offset:988 ; 4-byte Folded Reload
	buffer_load_dword v75, off, s[20:23], 0 offset:992 ; 4-byte Folded Reload
	buffer_load_dword v76, off, s[20:23], 0 offset:996 ; 4-byte Folded Reload
	s_and_b64 s[0:1], vcc, s[0:1]
	v_cmp_eq_u32_e32 vcc, 0, v89
	s_and_b64 s[0:1], s[0:1], vcc
	v_cndmask_b32_e64 v89, v89, 7, s[0:1]
	s_waitcnt vmcnt(2)
	v_cmp_eq_f64_e32 vcc, 0, v[73:74]
	s_waitcnt vmcnt(0)
	v_cmp_eq_f64_e64 s[0:1], 0, v[75:76]
	buffer_load_dword v73, off, s[20:23], 0 offset:1000 ; 4-byte Folded Reload
	buffer_load_dword v74, off, s[20:23], 0 offset:1004 ; 4-byte Folded Reload
	buffer_load_dword v75, off, s[20:23], 0 offset:1008 ; 4-byte Folded Reload
	buffer_load_dword v76, off, s[20:23], 0 offset:1012 ; 4-byte Folded Reload
	s_and_b64 s[0:1], vcc, s[0:1]
	v_cmp_eq_u32_e32 vcc, 0, v89
	s_and_b64 s[0:1], s[0:1], vcc
	v_cndmask_b32_e64 v89, v89, 8, s[0:1]
	s_waitcnt vmcnt(2)
	v_cmp_eq_f64_e32 vcc, 0, v[73:74]
	s_waitcnt vmcnt(0)
	v_cmp_eq_f64_e64 s[0:1], 0, v[75:76]
	buffer_load_dword v73, off, s[20:23], 0 offset:1016 ; 4-byte Folded Reload
	buffer_load_dword v74, off, s[20:23], 0 offset:1020 ; 4-byte Folded Reload
	buffer_load_dword v75, off, s[20:23], 0 offset:1024 ; 4-byte Folded Reload
	buffer_load_dword v76, off, s[20:23], 0 offset:1028 ; 4-byte Folded Reload
	s_and_b64 s[0:1], vcc, s[0:1]
	v_cmp_eq_u32_e32 vcc, 0, v89
	s_and_b64 s[0:1], s[0:1], vcc
	v_cndmask_b32_e64 v89, v89, 9, s[0:1]
	s_waitcnt vmcnt(2)
	v_cmp_eq_f64_e32 vcc, 0, v[73:74]
	s_waitcnt vmcnt(0)
	v_cmp_eq_f64_e64 s[0:1], 0, v[75:76]
	buffer_load_dword v73, off, s[20:23], 0 offset:1032 ; 4-byte Folded Reload
	buffer_load_dword v74, off, s[20:23], 0 offset:1036 ; 4-byte Folded Reload
	buffer_load_dword v75, off, s[20:23], 0 offset:1040 ; 4-byte Folded Reload
	buffer_load_dword v76, off, s[20:23], 0 offset:1044 ; 4-byte Folded Reload
	s_and_b64 s[0:1], vcc, s[0:1]
	v_cmp_eq_u32_e32 vcc, 0, v89
	s_and_b64 s[0:1], s[0:1], vcc
	v_cndmask_b32_e64 v89, v89, 10, s[0:1]
	s_waitcnt vmcnt(2)
	v_cmp_eq_f64_e32 vcc, 0, v[73:74]
	s_waitcnt vmcnt(0)
	v_cmp_eq_f64_e64 s[0:1], 0, v[75:76]
	buffer_load_dword v73, off, s[20:23], 0 offset:1048 ; 4-byte Folded Reload
	buffer_load_dword v74, off, s[20:23], 0 offset:1052 ; 4-byte Folded Reload
	buffer_load_dword v75, off, s[20:23], 0 offset:1056 ; 4-byte Folded Reload
	buffer_load_dword v76, off, s[20:23], 0 offset:1060 ; 4-byte Folded Reload
	s_and_b64 s[0:1], vcc, s[0:1]
	v_cmp_eq_u32_e32 vcc, 0, v89
	s_and_b64 s[0:1], s[0:1], vcc
	v_cndmask_b32_e64 v89, v89, 11, s[0:1]
	s_waitcnt vmcnt(2)
	v_cmp_eq_f64_e32 vcc, 0, v[73:74]
	s_waitcnt vmcnt(0)
	v_cmp_eq_f64_e64 s[0:1], 0, v[75:76]
	buffer_load_dword v73, off, s[20:23], 0 offset:1064 ; 4-byte Folded Reload
	buffer_load_dword v74, off, s[20:23], 0 offset:1068 ; 4-byte Folded Reload
	buffer_load_dword v75, off, s[20:23], 0 offset:1072 ; 4-byte Folded Reload
	buffer_load_dword v76, off, s[20:23], 0 offset:1076 ; 4-byte Folded Reload
	s_and_b64 s[0:1], vcc, s[0:1]
	v_cmp_eq_u32_e32 vcc, 0, v89
	s_and_b64 s[0:1], s[0:1], vcc
	v_cndmask_b32_e64 v89, v89, 12, s[0:1]
	s_waitcnt vmcnt(2)
	v_cmp_eq_f64_e32 vcc, 0, v[73:74]
	s_waitcnt vmcnt(0)
	v_cmp_eq_f64_e64 s[0:1], 0, v[75:76]
	buffer_load_dword v73, off, s[20:23], 0 offset:1080 ; 4-byte Folded Reload
	buffer_load_dword v74, off, s[20:23], 0 offset:1084 ; 4-byte Folded Reload
	buffer_load_dword v75, off, s[20:23], 0 offset:1088 ; 4-byte Folded Reload
	buffer_load_dword v76, off, s[20:23], 0 offset:1092 ; 4-byte Folded Reload
	s_and_b64 s[0:1], vcc, s[0:1]
	v_cmp_eq_u32_e32 vcc, 0, v89
	s_and_b64 s[0:1], s[0:1], vcc
	v_cndmask_b32_e64 v89, v89, 13, s[0:1]
	s_waitcnt vmcnt(2)
	v_cmp_eq_f64_e32 vcc, 0, v[73:74]
	s_waitcnt vmcnt(0)
	v_cmp_eq_f64_e64 s[0:1], 0, v[75:76]
	buffer_load_dword v73, off, s[20:23], 0 offset:1096 ; 4-byte Folded Reload
	buffer_load_dword v74, off, s[20:23], 0 offset:1100 ; 4-byte Folded Reload
	buffer_load_dword v75, off, s[20:23], 0 offset:1104 ; 4-byte Folded Reload
	buffer_load_dword v76, off, s[20:23], 0 offset:1108 ; 4-byte Folded Reload
	s_and_b64 s[0:1], vcc, s[0:1]
	v_cmp_eq_u32_e32 vcc, 0, v89
	s_and_b64 s[0:1], s[0:1], vcc
	v_cndmask_b32_e64 v89, v89, 14, s[0:1]
	s_waitcnt vmcnt(2)
	v_cmp_eq_f64_e32 vcc, 0, v[73:74]
	s_waitcnt vmcnt(0)
	v_cmp_eq_f64_e64 s[0:1], 0, v[75:76]
	buffer_load_dword v73, off, s[20:23], 0 offset:1112 ; 4-byte Folded Reload
	buffer_load_dword v74, off, s[20:23], 0 offset:1116 ; 4-byte Folded Reload
	buffer_load_dword v75, off, s[20:23], 0 offset:1120 ; 4-byte Folded Reload
	buffer_load_dword v76, off, s[20:23], 0 offset:1124 ; 4-byte Folded Reload
	s_and_b64 s[0:1], vcc, s[0:1]
	v_cmp_eq_u32_e32 vcc, 0, v89
	s_and_b64 s[0:1], s[0:1], vcc
	v_cndmask_b32_e64 v89, v89, 15, s[0:1]
	s_waitcnt vmcnt(2)
	v_cmp_eq_f64_e32 vcc, 0, v[73:74]
	s_waitcnt vmcnt(0)
	v_cmp_eq_f64_e64 s[0:1], 0, v[75:76]
	buffer_load_dword v73, off, s[20:23], 0 offset:1128 ; 4-byte Folded Reload
	buffer_load_dword v74, off, s[20:23], 0 offset:1132 ; 4-byte Folded Reload
	buffer_load_dword v75, off, s[20:23], 0 offset:1136 ; 4-byte Folded Reload
	buffer_load_dword v76, off, s[20:23], 0 offset:1140 ; 4-byte Folded Reload
	s_and_b64 s[0:1], vcc, s[0:1]
	v_cmp_eq_u32_e32 vcc, 0, v89
	s_and_b64 s[0:1], s[0:1], vcc
	v_cndmask_b32_e64 v89, v89, 16, s[0:1]
	s_waitcnt vmcnt(2)
	v_cmp_eq_f64_e32 vcc, 0, v[73:74]
	s_waitcnt vmcnt(0)
	v_cmp_eq_f64_e64 s[0:1], 0, v[75:76]
	buffer_load_dword v73, off, s[20:23], 0 offset:1144 ; 4-byte Folded Reload
	buffer_load_dword v74, off, s[20:23], 0 offset:1148 ; 4-byte Folded Reload
	buffer_load_dword v75, off, s[20:23], 0 offset:1152 ; 4-byte Folded Reload
	buffer_load_dword v76, off, s[20:23], 0 offset:1156 ; 4-byte Folded Reload
	s_and_b64 s[0:1], vcc, s[0:1]
	v_cmp_eq_u32_e32 vcc, 0, v89
	s_and_b64 s[0:1], s[0:1], vcc
	v_cndmask_b32_e64 v89, v89, 17, s[0:1]
	s_waitcnt vmcnt(2)
	v_cmp_eq_f64_e32 vcc, 0, v[73:74]
	s_waitcnt vmcnt(0)
	v_cmp_eq_f64_e64 s[0:1], 0, v[75:76]
	buffer_load_dword v73, off, s[20:23], 0 offset:1160 ; 4-byte Folded Reload
	buffer_load_dword v74, off, s[20:23], 0 offset:1164 ; 4-byte Folded Reload
	buffer_load_dword v75, off, s[20:23], 0 offset:1168 ; 4-byte Folded Reload
	buffer_load_dword v76, off, s[20:23], 0 offset:1172 ; 4-byte Folded Reload
	s_and_b64 s[0:1], vcc, s[0:1]
	v_cmp_eq_u32_e32 vcc, 0, v89
	s_and_b64 s[0:1], s[0:1], vcc
	v_cndmask_b32_e64 v89, v89, 18, s[0:1]
	s_waitcnt vmcnt(2)
	v_cmp_eq_f64_e32 vcc, 0, v[73:74]
	s_waitcnt vmcnt(0)
	v_cmp_eq_f64_e64 s[0:1], 0, v[75:76]
	buffer_load_dword v73, off, s[20:23], 0 offset:1176 ; 4-byte Folded Reload
	buffer_load_dword v74, off, s[20:23], 0 offset:1180 ; 4-byte Folded Reload
	buffer_load_dword v75, off, s[20:23], 0 offset:1184 ; 4-byte Folded Reload
	buffer_load_dword v76, off, s[20:23], 0 offset:1188 ; 4-byte Folded Reload
	s_and_b64 s[0:1], vcc, s[0:1]
	v_cmp_eq_u32_e32 vcc, 0, v89
	s_and_b64 s[0:1], s[0:1], vcc
	v_cndmask_b32_e64 v89, v89, 19, s[0:1]
	s_waitcnt vmcnt(2)
	v_cmp_eq_f64_e32 vcc, 0, v[73:74]
	s_waitcnt vmcnt(0)
	v_cmp_eq_f64_e64 s[0:1], 0, v[75:76]
	buffer_load_dword v73, off, s[20:23], 0 offset:1192 ; 4-byte Folded Reload
	buffer_load_dword v74, off, s[20:23], 0 offset:1196 ; 4-byte Folded Reload
	buffer_load_dword v75, off, s[20:23], 0 offset:1200 ; 4-byte Folded Reload
	buffer_load_dword v76, off, s[20:23], 0 offset:1204 ; 4-byte Folded Reload
	s_and_b64 s[0:1], vcc, s[0:1]
	v_cmp_eq_u32_e32 vcc, 0, v89
	s_and_b64 s[0:1], s[0:1], vcc
	v_cndmask_b32_e64 v89, v89, 20, s[0:1]
	s_waitcnt vmcnt(2)
	v_cmp_eq_f64_e32 vcc, 0, v[73:74]
	s_waitcnt vmcnt(0)
	v_cmp_eq_f64_e64 s[0:1], 0, v[75:76]
	buffer_load_dword v73, off, s[20:23], 0 offset:1208 ; 4-byte Folded Reload
	buffer_load_dword v74, off, s[20:23], 0 offset:1212 ; 4-byte Folded Reload
	buffer_load_dword v75, off, s[20:23], 0 offset:1216 ; 4-byte Folded Reload
	buffer_load_dword v76, off, s[20:23], 0 offset:1220 ; 4-byte Folded Reload
	s_and_b64 s[0:1], vcc, s[0:1]
	v_cmp_eq_u32_e32 vcc, 0, v89
	s_and_b64 s[0:1], s[0:1], vcc
	v_cndmask_b32_e64 v89, v89, 21, s[0:1]
	s_waitcnt vmcnt(2)
	v_cmp_eq_f64_e32 vcc, 0, v[73:74]
	s_waitcnt vmcnt(0)
	v_cmp_eq_f64_e64 s[0:1], 0, v[75:76]
	buffer_load_dword v73, off, s[20:23], 0 offset:1224 ; 4-byte Folded Reload
	buffer_load_dword v74, off, s[20:23], 0 offset:1228 ; 4-byte Folded Reload
	buffer_load_dword v75, off, s[20:23], 0 offset:1232 ; 4-byte Folded Reload
	buffer_load_dword v76, off, s[20:23], 0 offset:1236 ; 4-byte Folded Reload
	s_and_b64 s[0:1], vcc, s[0:1]
	v_cmp_eq_u32_e32 vcc, 0, v89
	s_and_b64 s[0:1], s[0:1], vcc
	v_cndmask_b32_e64 v89, v89, 22, s[0:1]
	s_waitcnt vmcnt(2)
	v_cmp_eq_f64_e32 vcc, 0, v[73:74]
	s_waitcnt vmcnt(0)
	v_cmp_eq_f64_e64 s[0:1], 0, v[75:76]
	buffer_load_dword v73, off, s[20:23], 0 offset:1240 ; 4-byte Folded Reload
	buffer_load_dword v74, off, s[20:23], 0 offset:1244 ; 4-byte Folded Reload
	buffer_load_dword v75, off, s[20:23], 0 offset:1248 ; 4-byte Folded Reload
	buffer_load_dword v76, off, s[20:23], 0 offset:1252 ; 4-byte Folded Reload
	s_and_b64 s[0:1], vcc, s[0:1]
	v_cmp_eq_u32_e32 vcc, 0, v89
	s_and_b64 s[0:1], s[0:1], vcc
	v_cndmask_b32_e64 v89, v89, 23, s[0:1]
	s_waitcnt vmcnt(2)
	v_cmp_eq_f64_e32 vcc, 0, v[73:74]
	s_waitcnt vmcnt(0)
	v_cmp_eq_f64_e64 s[0:1], 0, v[75:76]
	buffer_load_dword v73, off, s[20:23], 0 offset:1256 ; 4-byte Folded Reload
	buffer_load_dword v74, off, s[20:23], 0 offset:1260 ; 4-byte Folded Reload
	buffer_load_dword v75, off, s[20:23], 0 offset:1264 ; 4-byte Folded Reload
	buffer_load_dword v76, off, s[20:23], 0 offset:1268 ; 4-byte Folded Reload
	s_and_b64 s[0:1], vcc, s[0:1]
	v_cmp_eq_u32_e32 vcc, 0, v89
	s_and_b64 s[0:1], s[0:1], vcc
	v_cndmask_b32_e64 v89, v89, 24, s[0:1]
	s_waitcnt vmcnt(2)
	v_cmp_eq_f64_e32 vcc, 0, v[73:74]
	s_waitcnt vmcnt(0)
	v_cmp_eq_f64_e64 s[0:1], 0, v[75:76]
	buffer_load_dword v73, off, s[20:23], 0 offset:1272 ; 4-byte Folded Reload
	buffer_load_dword v74, off, s[20:23], 0 offset:1276 ; 4-byte Folded Reload
	buffer_load_dword v75, off, s[20:23], 0 offset:1280 ; 4-byte Folded Reload
	buffer_load_dword v76, off, s[20:23], 0 offset:1284 ; 4-byte Folded Reload
	s_and_b64 s[0:1], vcc, s[0:1]
	v_cmp_eq_u32_e32 vcc, 0, v89
	s_and_b64 s[0:1], s[0:1], vcc
	v_cndmask_b32_e64 v89, v89, 25, s[0:1]
	s_waitcnt vmcnt(2)
	v_cmp_eq_f64_e32 vcc, 0, v[73:74]
	s_waitcnt vmcnt(0)
	v_cmp_eq_f64_e64 s[0:1], 0, v[75:76]
	buffer_load_dword v73, off, s[20:23], 0 offset:1288 ; 4-byte Folded Reload
	buffer_load_dword v74, off, s[20:23], 0 offset:1292 ; 4-byte Folded Reload
	buffer_load_dword v75, off, s[20:23], 0 offset:1296 ; 4-byte Folded Reload
	buffer_load_dword v76, off, s[20:23], 0 offset:1300 ; 4-byte Folded Reload
	s_and_b64 s[0:1], vcc, s[0:1]
	v_cmp_eq_u32_e32 vcc, 0, v89
	s_and_b64 s[0:1], s[0:1], vcc
	v_cndmask_b32_e64 v89, v89, 26, s[0:1]
	s_waitcnt vmcnt(2)
	v_cmp_eq_f64_e32 vcc, 0, v[73:74]
	s_waitcnt vmcnt(0)
	v_cmp_eq_f64_e64 s[0:1], 0, v[75:76]
	buffer_load_dword v73, off, s[20:23], 0 offset:1304 ; 4-byte Folded Reload
	buffer_load_dword v74, off, s[20:23], 0 offset:1308 ; 4-byte Folded Reload
	buffer_load_dword v75, off, s[20:23], 0 offset:1312 ; 4-byte Folded Reload
	buffer_load_dword v76, off, s[20:23], 0 offset:1316 ; 4-byte Folded Reload
	s_and_b64 s[0:1], vcc, s[0:1]
	v_cmp_eq_u32_e32 vcc, 0, v89
	s_and_b64 s[0:1], s[0:1], vcc
	v_cndmask_b32_e64 v89, v89, 27, s[0:1]
	s_waitcnt vmcnt(2)
	v_cmp_eq_f64_e32 vcc, 0, v[73:74]
	s_waitcnt vmcnt(0)
	v_cmp_eq_f64_e64 s[0:1], 0, v[75:76]
	buffer_load_dword v73, off, s[20:23], 0 offset:1320 ; 4-byte Folded Reload
	buffer_load_dword v74, off, s[20:23], 0 offset:1324 ; 4-byte Folded Reload
	buffer_load_dword v75, off, s[20:23], 0 offset:1328 ; 4-byte Folded Reload
	buffer_load_dword v76, off, s[20:23], 0 offset:1332 ; 4-byte Folded Reload
	s_and_b64 s[0:1], vcc, s[0:1]
	v_cmp_eq_u32_e32 vcc, 0, v89
	s_and_b64 s[0:1], s[0:1], vcc
	v_cndmask_b32_e64 v89, v89, 28, s[0:1]
	s_waitcnt vmcnt(2)
	v_cmp_eq_f64_e32 vcc, 0, v[73:74]
	s_waitcnt vmcnt(0)
	v_cmp_eq_f64_e64 s[0:1], 0, v[75:76]
	buffer_load_dword v73, off, s[20:23], 0 offset:1336 ; 4-byte Folded Reload
	buffer_load_dword v74, off, s[20:23], 0 offset:1340 ; 4-byte Folded Reload
	buffer_load_dword v75, off, s[20:23], 0 offset:1344 ; 4-byte Folded Reload
	buffer_load_dword v76, off, s[20:23], 0 offset:1348 ; 4-byte Folded Reload
	s_and_b64 s[0:1], vcc, s[0:1]
	v_cmp_eq_u32_e32 vcc, 0, v89
	s_and_b64 s[0:1], s[0:1], vcc
	v_cndmask_b32_e64 v89, v89, 29, s[0:1]
	s_waitcnt vmcnt(2)
	v_cmp_eq_f64_e32 vcc, 0, v[73:74]
	s_waitcnt vmcnt(0)
	v_cmp_eq_f64_e64 s[0:1], 0, v[75:76]
	buffer_load_dword v73, off, s[20:23], 0 offset:1352 ; 4-byte Folded Reload
	buffer_load_dword v74, off, s[20:23], 0 offset:1356 ; 4-byte Folded Reload
	buffer_load_dword v75, off, s[20:23], 0 offset:1360 ; 4-byte Folded Reload
	buffer_load_dword v76, off, s[20:23], 0 offset:1364 ; 4-byte Folded Reload
	s_and_b64 s[0:1], vcc, s[0:1]
	v_cmp_eq_u32_e32 vcc, 0, v89
	s_and_b64 s[0:1], s[0:1], vcc
	v_cndmask_b32_e64 v89, v89, 30, s[0:1]
	s_waitcnt vmcnt(2)
	v_cmp_eq_f64_e32 vcc, 0, v[73:74]
	s_waitcnt vmcnt(0)
	v_cmp_eq_f64_e64 s[0:1], 0, v[75:76]
	buffer_load_dword v73, off, s[20:23], 0 offset:1368 ; 4-byte Folded Reload
	buffer_load_dword v74, off, s[20:23], 0 offset:1372 ; 4-byte Folded Reload
	buffer_load_dword v75, off, s[20:23], 0 offset:1376 ; 4-byte Folded Reload
	buffer_load_dword v76, off, s[20:23], 0 offset:1380 ; 4-byte Folded Reload
	s_and_b64 s[0:1], vcc, s[0:1]
	v_cmp_eq_u32_e32 vcc, 0, v89
	s_and_b64 s[0:1], s[0:1], vcc
	v_cndmask_b32_e64 v89, v89, 31, s[0:1]
	s_waitcnt vmcnt(2)
	v_cmp_eq_f64_e32 vcc, 0, v[73:74]
	s_waitcnt vmcnt(0)
	v_cmp_eq_f64_e64 s[0:1], 0, v[75:76]
	buffer_load_dword v73, off, s[20:23], 0 offset:1384 ; 4-byte Folded Reload
	buffer_load_dword v74, off, s[20:23], 0 offset:1388 ; 4-byte Folded Reload
	buffer_load_dword v75, off, s[20:23], 0 offset:1392 ; 4-byte Folded Reload
	buffer_load_dword v76, off, s[20:23], 0 offset:1396 ; 4-byte Folded Reload
	s_and_b64 s[0:1], vcc, s[0:1]
	v_cmp_eq_u32_e32 vcc, 0, v89
	s_and_b64 s[0:1], s[0:1], vcc
	v_cndmask_b32_e64 v89, v89, 32, s[0:1]
	s_waitcnt vmcnt(2)
	v_cmp_eq_f64_e32 vcc, 0, v[73:74]
	s_waitcnt vmcnt(0)
	v_cmp_eq_f64_e64 s[0:1], 0, v[75:76]
	buffer_load_dword v73, off, s[20:23], 0 offset:1400 ; 4-byte Folded Reload
	buffer_load_dword v74, off, s[20:23], 0 offset:1404 ; 4-byte Folded Reload
	buffer_load_dword v75, off, s[20:23], 0 offset:1408 ; 4-byte Folded Reload
	buffer_load_dword v76, off, s[20:23], 0 offset:1412 ; 4-byte Folded Reload
	s_and_b64 s[0:1], vcc, s[0:1]
	v_cmp_eq_u32_e32 vcc, 0, v89
	s_and_b64 s[0:1], s[0:1], vcc
	v_cndmask_b32_e64 v89, v89, 33, s[0:1]
	s_waitcnt vmcnt(2)
	v_cmp_eq_f64_e32 vcc, 0, v[73:74]
	s_waitcnt vmcnt(0)
	v_cmp_eq_f64_e64 s[0:1], 0, v[75:76]
	buffer_load_dword v73, off, s[20:23], 0 offset:1416 ; 4-byte Folded Reload
	buffer_load_dword v74, off, s[20:23], 0 offset:1420 ; 4-byte Folded Reload
	buffer_load_dword v75, off, s[20:23], 0 offset:1424 ; 4-byte Folded Reload
	buffer_load_dword v76, off, s[20:23], 0 offset:1428 ; 4-byte Folded Reload
	s_and_b64 s[0:1], vcc, s[0:1]
	v_cmp_eq_u32_e32 vcc, 0, v89
	s_and_b64 s[0:1], s[0:1], vcc
	v_cndmask_b32_e64 v89, v89, 34, s[0:1]
	s_waitcnt vmcnt(2)
	v_cmp_eq_f64_e32 vcc, 0, v[73:74]
	s_waitcnt vmcnt(0)
	v_cmp_eq_f64_e64 s[0:1], 0, v[75:76]
	buffer_load_dword v73, off, s[20:23], 0 offset:1432 ; 4-byte Folded Reload
	buffer_load_dword v74, off, s[20:23], 0 offset:1436 ; 4-byte Folded Reload
	buffer_load_dword v75, off, s[20:23], 0 offset:1440 ; 4-byte Folded Reload
	buffer_load_dword v76, off, s[20:23], 0 offset:1444 ; 4-byte Folded Reload
	s_and_b64 s[0:1], vcc, s[0:1]
	v_cmp_eq_u32_e32 vcc, 0, v89
	s_and_b64 s[0:1], s[0:1], vcc
	v_cndmask_b32_e64 v89, v89, 35, s[0:1]
	s_waitcnt vmcnt(2)
	v_cmp_eq_f64_e32 vcc, 0, v[73:74]
	s_waitcnt vmcnt(0)
	v_cmp_eq_f64_e64 s[0:1], 0, v[75:76]
	buffer_load_dword v73, off, s[20:23], 0 offset:1448 ; 4-byte Folded Reload
	buffer_load_dword v74, off, s[20:23], 0 offset:1452 ; 4-byte Folded Reload
	buffer_load_dword v75, off, s[20:23], 0 offset:1456 ; 4-byte Folded Reload
	buffer_load_dword v76, off, s[20:23], 0 offset:1460 ; 4-byte Folded Reload
	s_and_b64 s[0:1], vcc, s[0:1]
	v_cmp_eq_u32_e32 vcc, 0, v89
	s_and_b64 s[0:1], s[0:1], vcc
	v_cndmask_b32_e64 v89, v89, 36, s[0:1]
	s_waitcnt vmcnt(2)
	v_cmp_eq_f64_e32 vcc, 0, v[73:74]
	s_waitcnt vmcnt(0)
	v_cmp_eq_f64_e64 s[0:1], 0, v[75:76]
	buffer_load_dword v73, off, s[20:23], 0 offset:1464 ; 4-byte Folded Reload
	buffer_load_dword v74, off, s[20:23], 0 offset:1468 ; 4-byte Folded Reload
	buffer_load_dword v75, off, s[20:23], 0 offset:1472 ; 4-byte Folded Reload
	buffer_load_dword v76, off, s[20:23], 0 offset:1476 ; 4-byte Folded Reload
	s_and_b64 s[0:1], vcc, s[0:1]
	v_cmp_eq_u32_e32 vcc, 0, v89
	s_and_b64 s[0:1], s[0:1], vcc
	v_cndmask_b32_e64 v89, v89, 37, s[0:1]
	s_waitcnt vmcnt(2)
	v_cmp_eq_f64_e32 vcc, 0, v[73:74]
	s_waitcnt vmcnt(0)
	v_cmp_eq_f64_e64 s[0:1], 0, v[75:76]
	buffer_load_dword v73, off, s[20:23], 0 offset:1480 ; 4-byte Folded Reload
	buffer_load_dword v74, off, s[20:23], 0 offset:1484 ; 4-byte Folded Reload
	buffer_load_dword v75, off, s[20:23], 0 offset:1488 ; 4-byte Folded Reload
	buffer_load_dword v76, off, s[20:23], 0 offset:1492 ; 4-byte Folded Reload
	s_and_b64 s[0:1], vcc, s[0:1]
	v_cmp_eq_u32_e32 vcc, 0, v89
	s_and_b64 s[0:1], s[0:1], vcc
	v_cndmask_b32_e64 v89, v89, 38, s[0:1]
	s_waitcnt vmcnt(2)
	v_cmp_eq_f64_e32 vcc, 0, v[73:74]
	s_waitcnt vmcnt(0)
	v_cmp_eq_f64_e64 s[0:1], 0, v[75:76]
	buffer_load_dword v73, off, s[20:23], 0 offset:1496 ; 4-byte Folded Reload
	buffer_load_dword v74, off, s[20:23], 0 offset:1500 ; 4-byte Folded Reload
	buffer_load_dword v75, off, s[20:23], 0 offset:1504 ; 4-byte Folded Reload
	buffer_load_dword v76, off, s[20:23], 0 offset:1508 ; 4-byte Folded Reload
	s_and_b64 s[0:1], vcc, s[0:1]
	v_cmp_eq_u32_e32 vcc, 0, v89
	s_and_b64 s[0:1], s[0:1], vcc
	v_cndmask_b32_e64 v89, v89, 39, s[0:1]
	s_waitcnt vmcnt(2)
	v_cmp_eq_f64_e32 vcc, 0, v[73:74]
	s_waitcnt vmcnt(0)
	v_cmp_eq_f64_e64 s[0:1], 0, v[75:76]
	buffer_load_dword v73, off, s[20:23], 0 offset:1512 ; 4-byte Folded Reload
	buffer_load_dword v74, off, s[20:23], 0 offset:1516 ; 4-byte Folded Reload
	buffer_load_dword v75, off, s[20:23], 0 offset:1520 ; 4-byte Folded Reload
	buffer_load_dword v76, off, s[20:23], 0 offset:1524 ; 4-byte Folded Reload
	s_and_b64 s[0:1], vcc, s[0:1]
	v_cmp_eq_u32_e32 vcc, 0, v89
	s_and_b64 s[0:1], s[0:1], vcc
	v_cndmask_b32_e64 v89, v89, 40, s[0:1]
	s_waitcnt vmcnt(2)
	v_cmp_eq_f64_e32 vcc, 0, v[73:74]
	s_waitcnt vmcnt(0)
	v_cmp_eq_f64_e64 s[0:1], 0, v[75:76]
	buffer_load_dword v73, off, s[20:23], 0 offset:1528 ; 4-byte Folded Reload
	buffer_load_dword v74, off, s[20:23], 0 offset:1532 ; 4-byte Folded Reload
	buffer_load_dword v75, off, s[20:23], 0 offset:1536 ; 4-byte Folded Reload
	buffer_load_dword v76, off, s[20:23], 0 offset:1540 ; 4-byte Folded Reload
	s_and_b64 s[0:1], vcc, s[0:1]
	v_cmp_eq_u32_e32 vcc, 0, v89
	s_and_b64 s[0:1], s[0:1], vcc
	v_cndmask_b32_e64 v89, v89, 41, s[0:1]
	s_waitcnt vmcnt(2)
	v_cmp_eq_f64_e32 vcc, 0, v[73:74]
	s_waitcnt vmcnt(0)
	v_cmp_eq_f64_e64 s[0:1], 0, v[75:76]
	buffer_load_dword v73, off, s[20:23], 0 offset:1544 ; 4-byte Folded Reload
	buffer_load_dword v74, off, s[20:23], 0 offset:1548 ; 4-byte Folded Reload
	buffer_load_dword v75, off, s[20:23], 0 offset:1552 ; 4-byte Folded Reload
	buffer_load_dword v76, off, s[20:23], 0 offset:1556 ; 4-byte Folded Reload
	s_and_b64 s[0:1], vcc, s[0:1]
	v_cmp_eq_u32_e32 vcc, 0, v89
	s_and_b64 s[0:1], s[0:1], vcc
	v_cndmask_b32_e64 v89, v89, 42, s[0:1]
	s_waitcnt vmcnt(2)
	v_cmp_eq_f64_e32 vcc, 0, v[73:74]
	s_waitcnt vmcnt(0)
	v_cmp_eq_f64_e64 s[0:1], 0, v[75:76]
	buffer_load_dword v73, off, s[20:23], 0 offset:1560 ; 4-byte Folded Reload
	buffer_load_dword v74, off, s[20:23], 0 offset:1564 ; 4-byte Folded Reload
	buffer_load_dword v75, off, s[20:23], 0 offset:1568 ; 4-byte Folded Reload
	buffer_load_dword v76, off, s[20:23], 0 offset:1572 ; 4-byte Folded Reload
	s_and_b64 s[0:1], vcc, s[0:1]
	v_cmp_eq_u32_e32 vcc, 0, v89
	s_and_b64 s[0:1], s[0:1], vcc
	v_cndmask_b32_e64 v89, v89, 43, s[0:1]
	s_waitcnt vmcnt(2)
	v_cmp_eq_f64_e32 vcc, 0, v[73:74]
	s_waitcnt vmcnt(0)
	v_cmp_eq_f64_e64 s[0:1], 0, v[75:76]
	buffer_load_dword v73, off, s[20:23], 0 offset:1576 ; 4-byte Folded Reload
	buffer_load_dword v74, off, s[20:23], 0 offset:1580 ; 4-byte Folded Reload
	buffer_load_dword v75, off, s[20:23], 0 offset:1584 ; 4-byte Folded Reload
	buffer_load_dword v76, off, s[20:23], 0 offset:1588 ; 4-byte Folded Reload
	s_and_b64 s[0:1], vcc, s[0:1]
	v_cmp_eq_u32_e32 vcc, 0, v89
	s_and_b64 s[0:1], s[0:1], vcc
	v_cndmask_b32_e64 v89, v89, 44, s[0:1]
	s_waitcnt vmcnt(2)
	v_cmp_eq_f64_e32 vcc, 0, v[73:74]
	s_waitcnt vmcnt(0)
	v_cmp_eq_f64_e64 s[0:1], 0, v[75:76]
	buffer_load_dword v73, off, s[20:23], 0 offset:1592 ; 4-byte Folded Reload
	buffer_load_dword v74, off, s[20:23], 0 offset:1596 ; 4-byte Folded Reload
	buffer_load_dword v75, off, s[20:23], 0 offset:1600 ; 4-byte Folded Reload
	buffer_load_dword v76, off, s[20:23], 0 offset:1604 ; 4-byte Folded Reload
	s_and_b64 s[0:1], vcc, s[0:1]
	v_cmp_eq_u32_e32 vcc, 0, v89
	s_and_b64 s[0:1], s[0:1], vcc
	v_cndmask_b32_e64 v89, v89, 45, s[0:1]
	s_waitcnt vmcnt(2)
	v_cmp_eq_f64_e32 vcc, 0, v[73:74]
	s_waitcnt vmcnt(0)
	v_cmp_eq_f64_e64 s[0:1], 0, v[75:76]
	buffer_load_dword v73, off, s[20:23], 0 offset:1608 ; 4-byte Folded Reload
	buffer_load_dword v74, off, s[20:23], 0 offset:1612 ; 4-byte Folded Reload
	buffer_load_dword v75, off, s[20:23], 0 offset:1616 ; 4-byte Folded Reload
	buffer_load_dword v76, off, s[20:23], 0 offset:1620 ; 4-byte Folded Reload
	s_and_b64 s[0:1], vcc, s[0:1]
	v_cmp_eq_u32_e32 vcc, 0, v89
	s_and_b64 s[0:1], s[0:1], vcc
	v_cndmask_b32_e64 v89, v89, 46, s[0:1]
	s_waitcnt vmcnt(2)
	v_cmp_eq_f64_e32 vcc, 0, v[73:74]
	s_waitcnt vmcnt(0)
	v_cmp_eq_f64_e64 s[0:1], 0, v[75:76]
	buffer_load_dword v73, off, s[20:23], 0 offset:1624 ; 4-byte Folded Reload
	buffer_load_dword v74, off, s[20:23], 0 offset:1628 ; 4-byte Folded Reload
	buffer_load_dword v75, off, s[20:23], 0 offset:1632 ; 4-byte Folded Reload
	buffer_load_dword v76, off, s[20:23], 0 offset:1636 ; 4-byte Folded Reload
	s_and_b64 s[0:1], vcc, s[0:1]
	v_cmp_eq_u32_e32 vcc, 0, v89
	s_and_b64 s[0:1], s[0:1], vcc
	v_cndmask_b32_e64 v89, v89, 47, s[0:1]
	s_waitcnt vmcnt(2)
	v_cmp_eq_f64_e32 vcc, 0, v[73:74]
	s_waitcnt vmcnt(0)
	v_cmp_eq_f64_e64 s[0:1], 0, v[75:76]
	buffer_load_dword v73, off, s[20:23], 0 offset:1640 ; 4-byte Folded Reload
	buffer_load_dword v74, off, s[20:23], 0 offset:1644 ; 4-byte Folded Reload
	buffer_load_dword v75, off, s[20:23], 0 offset:1648 ; 4-byte Folded Reload
	buffer_load_dword v76, off, s[20:23], 0 offset:1652 ; 4-byte Folded Reload
	s_and_b64 s[0:1], vcc, s[0:1]
	v_cmp_eq_u32_e32 vcc, 0, v89
	s_and_b64 s[0:1], s[0:1], vcc
	v_cndmask_b32_e64 v89, v89, 48, s[0:1]
	s_waitcnt vmcnt(2)
	v_cmp_eq_f64_e32 vcc, 0, v[73:74]
	s_waitcnt vmcnt(0)
	v_cmp_eq_f64_e64 s[0:1], 0, v[75:76]
	s_and_b64 s[0:1], vcc, s[0:1]
	v_cmp_eq_u32_e32 vcc, 0, v89
	s_and_b64 s[0:1], s[0:1], vcc
	v_cndmask_b32_e64 v89, v89, 49, s[0:1]
	v_cmp_eq_f64_e32 vcc, 0, v[69:70]
	v_cmp_eq_f64_e64 s[0:1], 0, v[71:72]
	s_and_b64 s[0:1], vcc, s[0:1]
	v_cmp_eq_u32_e32 vcc, 0, v89
	s_and_b64 s[0:1], s[0:1], vcc
	v_cndmask_b32_e64 v89, v89, 50, s[0:1]
	v_cmp_eq_f64_e32 vcc, 0, v[97:98]
	;; [unrolled: 6-line block ×3, first 2 shown]
	v_cmp_eq_f64_e64 s[0:1], 0, v[107:108]
	s_and_b64 s[0:1], vcc, s[0:1]
	v_cmp_eq_u32_e32 vcc, 0, v89
	s_and_b64 s[0:1], s[0:1], vcc
	v_cndmask_b32_e64 v99, v89, 52, s[0:1]
	v_lshlrev_b64 v[89:90], 2, v[87:88]
	v_cmp_ne_u32_e64 s[0:1], 0, v99
	v_add_co_u32_e32 v97, vcc, s10, v89
	v_mov_b32_e32 v89, s11
	v_addc_co_u32_e32 v98, vcc, v89, v90, vcc
	global_load_dword v89, v[97:98], off
	s_waitcnt vmcnt(0)
	v_cmp_eq_u32_e32 vcc, 0, v89
	s_and_b64 s[0:1], vcc, s[0:1]
	s_and_b64 exec, exec, s[0:1]
	s_cbranch_execz .LBB103_470
; %bb.469:
	v_add_u32_e32 v89, s13, v99
	global_store_dword v[97:98], v89, off
.LBB103_470:
	s_or_b64 exec, exec, s[2:3]
	buffer_load_dword v69, off, s[20:23], 0 offset:856 ; 4-byte Folded Reload
	buffer_load_dword v70, off, s[20:23], 0 offset:860 ; 4-byte Folded Reload
	;; [unrolled: 1-line block ×6, first 2 shown]
	v_cmp_lt_u32_e32 vcc, 51, v0
	s_waitcnt vmcnt(0)
	global_store_dwordx4 v[69:70], v[71:74], off
	buffer_load_dword v69, off, s[20:23], 0 offset:864 ; 4-byte Folded Reload
	s_nop 0
	buffer_load_dword v70, off, s[20:23], 0 offset:868 ; 4-byte Folded Reload
	buffer_load_dword v71, off, s[20:23], 0 offset:432 ; 4-byte Folded Reload
	;; [unrolled: 1-line block ×5, first 2 shown]
	s_waitcnt vmcnt(0)
	global_store_dwordx4 v[69:70], v[71:74], off
	buffer_load_dword v69, off, s[20:23], 0 offset:416 ; 4-byte Folded Reload
	s_nop 0
	buffer_load_dword v70, off, s[20:23], 0 offset:420 ; 4-byte Folded Reload
	buffer_load_dword v71, off, s[20:23], 0 offset:424 ; 4-byte Folded Reload
	;; [unrolled: 1-line block ×3, first 2 shown]
	s_waitcnt vmcnt(0)
	global_store_dwordx4 v[91:92], v[69:72], off
	buffer_load_dword v77, off, s[20:23], 0 offset:848 ; 4-byte Folded Reload
	buffer_load_dword v78, off, s[20:23], 0 offset:852 ; 4-byte Folded Reload
	s_nop 0
	buffer_load_dword v69, off, s[20:23], 0 offset:400 ; 4-byte Folded Reload
	buffer_load_dword v70, off, s[20:23], 0 offset:404 ; 4-byte Folded Reload
	;; [unrolled: 1-line block ×4, first 2 shown]
	s_waitcnt vmcnt(0)
	global_store_dwordx4 v[77:78], v[69:72], off
	buffer_load_dword v77, off, s[20:23], 0 offset:840 ; 4-byte Folded Reload
	s_nop 0
	buffer_load_dword v78, off, s[20:23], 0 offset:844 ; 4-byte Folded Reload
	buffer_load_dword v69, off, s[20:23], 0 offset:384 ; 4-byte Folded Reload
	;; [unrolled: 1-line block ×5, first 2 shown]
	s_waitcnt vmcnt(0)
	global_store_dwordx4 v[77:78], v[69:72], off
	buffer_load_dword v87, off, s[20:23], 0 offset:480 ; 4-byte Folded Reload
	buffer_load_dword v88, off, s[20:23], 0 offset:484 ; 4-byte Folded Reload
	s_nop 0
	buffer_load_dword v69, off, s[20:23], 0 offset:368 ; 4-byte Folded Reload
	buffer_load_dword v70, off, s[20:23], 0 offset:372 ; 4-byte Folded Reload
	;; [unrolled: 1-line block ×4, first 2 shown]
	s_waitcnt vmcnt(0)
	global_store_dwordx4 v[87:88], v[69:72], off
	buffer_load_dword v69, off, s[20:23], 0 offset:352 ; 4-byte Folded Reload
	s_nop 0
	buffer_load_dword v70, off, s[20:23], 0 offset:356 ; 4-byte Folded Reload
	buffer_load_dword v71, off, s[20:23], 0 offset:360 ; 4-byte Folded Reload
	;; [unrolled: 1-line block ×3, first 2 shown]
	s_waitcnt vmcnt(0)
	global_store_dwordx4 v[85:86], v[69:72], off
	buffer_load_dword v85, off, s[20:23], 0 offset:488 ; 4-byte Folded Reload
	s_nop 0
	buffer_load_dword v86, off, s[20:23], 0 offset:492 ; 4-byte Folded Reload
	buffer_load_dword v69, off, s[20:23], 0 offset:336 ; 4-byte Folded Reload
	;; [unrolled: 1-line block ×5, first 2 shown]
	s_waitcnt vmcnt(0)
	global_store_dwordx4 v[85:86], v[69:72], off
	buffer_load_dword v69, off, s[20:23], 0 offset:464 ; 4-byte Folded Reload
	s_nop 0
	buffer_load_dword v70, off, s[20:23], 0 offset:468 ; 4-byte Folded Reload
	buffer_load_dword v71, off, s[20:23], 0 offset:472 ; 4-byte Folded Reload
	buffer_load_dword v72, off, s[20:23], 0 offset:476 ; 4-byte Folded Reload
	s_waitcnt vmcnt(0)
	v_mul_f64 v[89:90], v[105:106], v[71:72]
	v_mul_f64 v[91:92], v[107:108], v[71:72]
	v_fma_f64 v[89:90], v[107:108], v[69:70], v[89:90]
	v_fma_f64 v[91:92], v[105:106], v[69:70], -v[91:92]
	v_cndmask_b32_e32 v100, v72, v90, vcc
	v_cndmask_b32_e32 v99, v71, v89, vcc
	;; [unrolled: 1-line block ×4, first 2 shown]
	buffer_load_dword v85, off, s[20:23], 0 offset:496 ; 4-byte Folded Reload
	buffer_load_dword v86, off, s[20:23], 0 offset:500 ; 4-byte Folded Reload
	;; [unrolled: 1-line block ×6, first 2 shown]
	s_waitcnt vmcnt(0)
	global_store_dwordx4 v[85:86], v[69:72], off
	buffer_load_dword v85, off, s[20:23], 0 offset:504 ; 4-byte Folded Reload
	s_nop 0
	buffer_load_dword v86, off, s[20:23], 0 offset:508 ; 4-byte Folded Reload
	buffer_load_dword v69, off, s[20:23], 0 offset:304 ; 4-byte Folded Reload
	buffer_load_dword v70, off, s[20:23], 0 offset:308 ; 4-byte Folded Reload
	buffer_load_dword v71, off, s[20:23], 0 offset:312 ; 4-byte Folded Reload
	buffer_load_dword v72, off, s[20:23], 0 offset:316 ; 4-byte Folded Reload
	s_waitcnt vmcnt(0)
	global_store_dwordx4 v[85:86], v[69:72], off
	buffer_load_dword v85, off, s[20:23], 0 offset:512 ; 4-byte Folded Reload
	s_nop 0
	buffer_load_dword v86, off, s[20:23], 0 offset:516 ; 4-byte Folded Reload
	buffer_load_dword v69, off, s[20:23], 0 offset:288 ; 4-byte Folded Reload
	buffer_load_dword v70, off, s[20:23], 0 offset:292 ; 4-byte Folded Reload
	buffer_load_dword v71, off, s[20:23], 0 offset:296 ; 4-byte Folded Reload
	buffer_load_dword v72, off, s[20:23], 0 offset:300 ; 4-byte Folded Reload
	;; [unrolled: 9-line block ×14, first 2 shown]
	s_waitcnt vmcnt(0)
	global_store_dwordx4 v[85:86], v[69:72], off
	buffer_load_dword v83, off, s[20:23], 0 offset:616 ; 4-byte Folded Reload
	buffer_load_dword v84, off, s[20:23], 0 offset:620 ; 4-byte Folded Reload
	s_nop 0
	buffer_load_dword v69, off, s[20:23], 0 offset:80 ; 4-byte Folded Reload
	buffer_load_dword v70, off, s[20:23], 0 offset:84 ; 4-byte Folded Reload
	;; [unrolled: 1-line block ×4, first 2 shown]
	s_waitcnt vmcnt(0)
	global_store_dwordx4 v[83:84], v[69:72], off
	buffer_load_dword v69, off, s[20:23], 0 offset:64 ; 4-byte Folded Reload
	s_nop 0
	buffer_load_dword v70, off, s[20:23], 0 offset:68 ; 4-byte Folded Reload
	buffer_load_dword v71, off, s[20:23], 0 offset:72 ; 4-byte Folded Reload
	;; [unrolled: 1-line block ×3, first 2 shown]
	s_waitcnt vmcnt(0)
	global_store_dwordx4 v[81:82], v[69:72], off
	buffer_load_dword v81, off, s[20:23], 0 offset:624 ; 4-byte Folded Reload
	s_nop 0
	buffer_load_dword v82, off, s[20:23], 0 offset:628 ; 4-byte Folded Reload
	buffer_load_dword v69, off, s[20:23], 0 offset:48 ; 4-byte Folded Reload
	;; [unrolled: 1-line block ×5, first 2 shown]
	s_waitcnt vmcnt(0)
	global_store_dwordx4 v[81:82], v[69:72], off
	buffer_load_dword v81, off, s[20:23], 0 offset:632 ; 4-byte Folded Reload
	s_nop 0
	buffer_load_dword v82, off, s[20:23], 0 offset:636 ; 4-byte Folded Reload
	s_waitcnt vmcnt(0)
	global_store_dwordx4 v[81:82], v[121:124], off
	buffer_load_dword v81, off, s[20:23], 0 offset:640 ; 4-byte Folded Reload
	s_nop 0
	buffer_load_dword v82, off, s[20:23], 0 offset:644 ; 4-byte Folded Reload
	;; [unrolled: 5-line block ×6, first 2 shown]
	buffer_load_dword v77, off, s[20:23], 0 offset:32 ; 4-byte Folded Reload
	buffer_load_dword v78, off, s[20:23], 0 offset:36 ; 4-byte Folded Reload
	buffer_load_dword v79, off, s[20:23], 0 offset:40 ; 4-byte Folded Reload
	buffer_load_dword v80, off, s[20:23], 0 offset:44 ; 4-byte Folded Reload
	s_waitcnt vmcnt(0)
	global_store_dwordx4 v[81:82], v[77:80], off
	buffer_load_dword v77, off, s[20:23], 0 offset:680 ; 4-byte Folded Reload
	s_nop 0
	buffer_load_dword v78, off, s[20:23], 0 offset:684 ; 4-byte Folded Reload
	buffer_load_dword v73, off, s[20:23], 0 offset:16 ; 4-byte Folded Reload
	;; [unrolled: 1-line block ×5, first 2 shown]
	s_waitcnt vmcnt(0)
	global_store_dwordx4 v[77:78], v[73:76], off
	buffer_load_dword v73, off, s[20:23], 0 offset:688 ; 4-byte Folded Reload
	s_nop 0
	buffer_load_dword v74, off, s[20:23], 0 offset:692 ; 4-byte Folded Reload
	buffer_load_dword v69, off, s[20:23], 0 ; 4-byte Folded Reload
	buffer_load_dword v70, off, s[20:23], 0 offset:4 ; 4-byte Folded Reload
	buffer_load_dword v71, off, s[20:23], 0 offset:8 ; 4-byte Folded Reload
	;; [unrolled: 1-line block ×3, first 2 shown]
	s_waitcnt vmcnt(0)
	global_store_dwordx4 v[73:74], v[69:72], off
	buffer_load_dword v69, off, s[20:23], 0 offset:696 ; 4-byte Folded Reload
	s_nop 0
	buffer_load_dword v70, off, s[20:23], 0 offset:700 ; 4-byte Folded Reload
	s_waitcnt vmcnt(0)
	global_store_dwordx4 v[69:70], v[65:68], off
	buffer_load_dword v65, off, s[20:23], 0 offset:704 ; 4-byte Folded Reload
	s_nop 0
	buffer_load_dword v66, off, s[20:23], 0 offset:708 ; 4-byte Folded Reload
	;; [unrolled: 5-line block ×18, first 2 shown]
	s_waitcnt vmcnt(0)
	global_store_dwordx4 v[0:1], v[97:100], off
.LBB103_471:
	s_endpgm
	.section	.rodata,"a",@progbits
	.p2align	6, 0x0
	.amdhsa_kernel _ZN9rocsolver6v33100L23getf2_npvt_small_kernelILi52E19rocblas_complex_numIdEiiPS3_EEvT1_T3_lS5_lPT2_S5_S5_
		.amdhsa_group_segment_fixed_size 0
		.amdhsa_private_segment_fixed_size 1660
		.amdhsa_kernarg_size 312
		.amdhsa_user_sgpr_count 6
		.amdhsa_user_sgpr_private_segment_buffer 1
		.amdhsa_user_sgpr_dispatch_ptr 0
		.amdhsa_user_sgpr_queue_ptr 0
		.amdhsa_user_sgpr_kernarg_segment_ptr 1
		.amdhsa_user_sgpr_dispatch_id 0
		.amdhsa_user_sgpr_flat_scratch_init 0
		.amdhsa_user_sgpr_private_segment_size 0
		.amdhsa_uses_dynamic_stack 0
		.amdhsa_system_sgpr_private_segment_wavefront_offset 1
		.amdhsa_system_sgpr_workgroup_id_x 1
		.amdhsa_system_sgpr_workgroup_id_y 1
		.amdhsa_system_sgpr_workgroup_id_z 0
		.amdhsa_system_sgpr_workgroup_info 0
		.amdhsa_system_vgpr_workitem_id 1
		.amdhsa_next_free_vgpr 128
		.amdhsa_next_free_sgpr 24
		.amdhsa_reserve_vcc 1
		.amdhsa_reserve_flat_scratch 0
		.amdhsa_float_round_mode_32 0
		.amdhsa_float_round_mode_16_64 0
		.amdhsa_float_denorm_mode_32 3
		.amdhsa_float_denorm_mode_16_64 3
		.amdhsa_dx10_clamp 1
		.amdhsa_ieee_mode 1
		.amdhsa_fp16_overflow 0
		.amdhsa_exception_fp_ieee_invalid_op 0
		.amdhsa_exception_fp_denorm_src 0
		.amdhsa_exception_fp_ieee_div_zero 0
		.amdhsa_exception_fp_ieee_overflow 0
		.amdhsa_exception_fp_ieee_underflow 0
		.amdhsa_exception_fp_ieee_inexact 0
		.amdhsa_exception_int_div_zero 0
	.end_amdhsa_kernel
	.section	.text._ZN9rocsolver6v33100L23getf2_npvt_small_kernelILi52E19rocblas_complex_numIdEiiPS3_EEvT1_T3_lS5_lPT2_S5_S5_,"axG",@progbits,_ZN9rocsolver6v33100L23getf2_npvt_small_kernelILi52E19rocblas_complex_numIdEiiPS3_EEvT1_T3_lS5_lPT2_S5_S5_,comdat
.Lfunc_end103:
	.size	_ZN9rocsolver6v33100L23getf2_npvt_small_kernelILi52E19rocblas_complex_numIdEiiPS3_EEvT1_T3_lS5_lPT2_S5_S5_, .Lfunc_end103-_ZN9rocsolver6v33100L23getf2_npvt_small_kernelILi52E19rocblas_complex_numIdEiiPS3_EEvT1_T3_lS5_lPT2_S5_S5_
                                        ; -- End function
	.set _ZN9rocsolver6v33100L23getf2_npvt_small_kernelILi52E19rocblas_complex_numIdEiiPS3_EEvT1_T3_lS5_lPT2_S5_S5_.num_vgpr, 128
	.set _ZN9rocsolver6v33100L23getf2_npvt_small_kernelILi52E19rocblas_complex_numIdEiiPS3_EEvT1_T3_lS5_lPT2_S5_S5_.num_agpr, 0
	.set _ZN9rocsolver6v33100L23getf2_npvt_small_kernelILi52E19rocblas_complex_numIdEiiPS3_EEvT1_T3_lS5_lPT2_S5_S5_.numbered_sgpr, 24
	.set _ZN9rocsolver6v33100L23getf2_npvt_small_kernelILi52E19rocblas_complex_numIdEiiPS3_EEvT1_T3_lS5_lPT2_S5_S5_.num_named_barrier, 0
	.set _ZN9rocsolver6v33100L23getf2_npvt_small_kernelILi52E19rocblas_complex_numIdEiiPS3_EEvT1_T3_lS5_lPT2_S5_S5_.private_seg_size, 1660
	.set _ZN9rocsolver6v33100L23getf2_npvt_small_kernelILi52E19rocblas_complex_numIdEiiPS3_EEvT1_T3_lS5_lPT2_S5_S5_.uses_vcc, 1
	.set _ZN9rocsolver6v33100L23getf2_npvt_small_kernelILi52E19rocblas_complex_numIdEiiPS3_EEvT1_T3_lS5_lPT2_S5_S5_.uses_flat_scratch, 0
	.set _ZN9rocsolver6v33100L23getf2_npvt_small_kernelILi52E19rocblas_complex_numIdEiiPS3_EEvT1_T3_lS5_lPT2_S5_S5_.has_dyn_sized_stack, 0
	.set _ZN9rocsolver6v33100L23getf2_npvt_small_kernelILi52E19rocblas_complex_numIdEiiPS3_EEvT1_T3_lS5_lPT2_S5_S5_.has_recursion, 0
	.set _ZN9rocsolver6v33100L23getf2_npvt_small_kernelILi52E19rocblas_complex_numIdEiiPS3_EEvT1_T3_lS5_lPT2_S5_S5_.has_indirect_call, 0
	.section	.AMDGPU.csdata,"",@progbits
; Kernel info:
; codeLenInByte = 186768
; TotalNumSgprs: 28
; NumVgprs: 128
; ScratchSize: 1660
; MemoryBound: 1
; FloatMode: 240
; IeeeMode: 1
; LDSByteSize: 0 bytes/workgroup (compile time only)
; SGPRBlocks: 3
; VGPRBlocks: 31
; NumSGPRsForWavesPerEU: 28
; NumVGPRsForWavesPerEU: 128
; Occupancy: 2
; WaveLimiterHint : 0
; COMPUTE_PGM_RSRC2:SCRATCH_EN: 1
; COMPUTE_PGM_RSRC2:USER_SGPR: 6
; COMPUTE_PGM_RSRC2:TRAP_HANDLER: 0
; COMPUTE_PGM_RSRC2:TGID_X_EN: 1
; COMPUTE_PGM_RSRC2:TGID_Y_EN: 1
; COMPUTE_PGM_RSRC2:TGID_Z_EN: 0
; COMPUTE_PGM_RSRC2:TIDIG_COMP_CNT: 1
	.section	.text._ZN9rocsolver6v33100L18getf2_small_kernelILi53E19rocblas_complex_numIdEiiPS3_EEvT1_T3_lS5_lPS5_llPT2_S5_S5_S7_l,"axG",@progbits,_ZN9rocsolver6v33100L18getf2_small_kernelILi53E19rocblas_complex_numIdEiiPS3_EEvT1_T3_lS5_lPS5_llPT2_S5_S5_S7_l,comdat
	.globl	_ZN9rocsolver6v33100L18getf2_small_kernelILi53E19rocblas_complex_numIdEiiPS3_EEvT1_T3_lS5_lPS5_llPT2_S5_S5_S7_l ; -- Begin function _ZN9rocsolver6v33100L18getf2_small_kernelILi53E19rocblas_complex_numIdEiiPS3_EEvT1_T3_lS5_lPS5_llPT2_S5_S5_S7_l
	.p2align	8
	.type	_ZN9rocsolver6v33100L18getf2_small_kernelILi53E19rocblas_complex_numIdEiiPS3_EEvT1_T3_lS5_lPS5_llPT2_S5_S5_S7_l,@function
_ZN9rocsolver6v33100L18getf2_small_kernelILi53E19rocblas_complex_numIdEiiPS3_EEvT1_T3_lS5_lPS5_llPT2_S5_S5_S7_l: ; @_ZN9rocsolver6v33100L18getf2_small_kernelILi53E19rocblas_complex_numIdEiiPS3_EEvT1_T3_lS5_lPS5_llPT2_S5_S5_S7_l
; %bb.0:
	s_mov_b64 s[26:27], s[2:3]
	s_mov_b64 s[24:25], s[0:1]
	s_load_dword s0, s[4:5], 0x6c
	s_load_dwordx2 s[16:17], s[4:5], 0x48
	s_add_u32 s24, s24, s8
	s_addc_u32 s25, s25, 0
	s_waitcnt lgkmcnt(0)
	s_lshr_b32 s0, s0, 16
	s_mul_i32 s7, s7, s0
	v_add_u32_e32 v5, s7, v1
	v_cmp_gt_i32_e32 vcc, s16, v5
	s_and_saveexec_b64 s[0:1], vcc
	s_cbranch_execnz .LBB104_1
; %bb.1115:
	s_getpc_b64 s[28:29]
.Lpost_getpc18:
	s_add_u32 s28, s28, (.LBB104_1114-.Lpost_getpc18)&4294967295
	s_addc_u32 s29, s29, (.LBB104_1114-.Lpost_getpc18)>>32
	s_setpc_b64 s[28:29]
.LBB104_1:
	s_load_dwordx4 s[0:3], s[4:5], 0x50
	v_mov_b32_e32 v2, 0
	v_ashrrev_i32_e32 v6, 31, v5
	v_mov_b32_e32 v3, 0
	buffer_store_dword v2, off, s[24:27], 0 offset:420 ; 4-byte Folded Spill
	s_nop 0
	buffer_store_dword v3, off, s[24:27], 0 offset:424 ; 4-byte Folded Spill
	s_waitcnt lgkmcnt(0)
	s_cmp_eq_u64 s[0:1], 0
	s_cselect_b64 s[6:7], -1, 0
	s_and_b64 vcc, exec, s[6:7]
	s_cbranch_vccnz .LBB104_3
; %bb.2:
	v_mul_lo_u32 v7, s3, v5
	v_mul_lo_u32 v4, s2, v6
	v_mad_u64_u32 v[2:3], s[2:3], s2, v5, 0
	v_add3_u32 v3, v3, v4, v7
	v_lshlrev_b64 v[2:3], 2, v[2:3]
	v_mov_b32_e32 v4, s1
	v_add_co_u32_e32 v2, vcc, s0, v2
	v_addc_co_u32_e32 v3, vcc, v4, v3, vcc
	buffer_store_dword v2, off, s[24:27], 0 offset:420 ; 4-byte Folded Spill
	s_nop 0
	buffer_store_dword v3, off, s[24:27], 0 offset:424 ; 4-byte Folded Spill
.LBB104_3:
	s_load_dwordx8 s[8:15], s[4:5], 0x20
	s_load_dwordx4 s[20:23], s[4:5], 0x8
	s_load_dword s2, s[4:5], 0x18
	v_lshlrev_b32_e32 v72, 4, v0
	v_mov_b32_e32 v127, v0
	s_waitcnt lgkmcnt(0)
	v_mul_lo_u32 v7, s9, v5
	v_mul_lo_u32 v4, s8, v6
	buffer_store_dword v5, off, s[24:27], 0 offset:480 ; 4-byte Folded Spill
	s_nop 0
	buffer_store_dword v6, off, s[24:27], 0 offset:484 ; 4-byte Folded Spill
	s_add_i32 s16, s2, s2
	s_ashr_i32 s3, s2, 31
	v_mad_u64_u32 v[2:3], s[0:1], s8, v5, 0
	v_mov_b32_e32 v5, s21
	s_lshl_b64 s[0:1], s[22:23], 4
	v_add3_u32 v3, v3, v4, v7
	v_lshlrev_b64 v[2:3], 4, v[2:3]
	s_lshl_b64 s[8:9], s[2:3], 4
	v_add_co_u32_e32 v4, vcc, s20, v2
	v_addc_co_u32_e32 v2, vcc, v5, v3, vcc
	v_add_co_u32_e32 v77, vcc, s0, v4
	v_add_u32_e32 v4, s16, v0
	v_mov_b32_e32 v3, s1
	v_ashrrev_i32_e32 v5, 31, v4
	v_addc_co_u32_e32 v71, vcc, v2, v3, vcc
	v_lshlrev_b64 v[2:3], 4, v[4:5]
	v_add_u32_e32 v6, s2, v4
	v_ashrrev_i32_e32 v7, 31, v6
	v_add_co_u32_e32 v73, vcc, v77, v2
	v_lshlrev_b64 v[4:5], 4, v[6:7]
	v_add_u32_e32 v8, s2, v6
	v_addc_co_u32_e32 v74, vcc, v71, v3, vcc
	v_ashrrev_i32_e32 v9, 31, v8
	v_add_co_u32_e32 v75, vcc, v77, v4
	v_lshlrev_b64 v[6:7], 4, v[8:9]
	v_add_u32_e32 v10, s2, v8
	v_addc_co_u32_e32 v76, vcc, v71, v5, vcc
	;; [unrolled: 5-line block ×32, first 2 shown]
	v_ashrrev_i32_e32 v69, 31, v68
	v_add_co_u32_e32 v66, vcc, v77, v66
	v_lshlrev_b64 v[69:70], 4, v[68:69]
	v_addc_co_u32_e32 v67, vcc, v71, v67, vcc
	v_add_u32_e32 v68, s2, v68
	v_add_co_u32_e32 v117, vcc, v77, v69
	v_ashrrev_i32_e32 v69, 31, v68
	v_addc_co_u32_e32 v118, vcc, v71, v70, vcc
	v_lshlrev_b64 v[69:70], 4, v[68:69]
	v_add_u32_e32 v68, s2, v68
	v_add_co_u32_e32 v119, vcc, v77, v69
	v_ashrrev_i32_e32 v69, 31, v68
	v_addc_co_u32_e32 v120, vcc, v71, v70, vcc
	v_lshlrev_b64 v[69:70], 4, v[68:69]
	;; [unrolled: 5-line block ×16, first 2 shown]
	v_add_u32_e32 v68, s2, v68
	v_add_co_u32_e32 v95, vcc, v77, v69
	v_ashrrev_i32_e32 v69, 31, v68
	v_lshlrev_b64 v[68:69], 4, v[68:69]
	v_addc_co_u32_e32 v96, vcc, v71, v70, vcc
	v_add_co_u32_e32 v89, vcc, v77, v68
	v_addc_co_u32_e32 v90, vcc, v71, v69, vcc
	v_add_co_u32_e32 v70, vcc, v77, v72
	buffer_store_dword v71, off, s[24:27], 0 offset:476 ; 4-byte Folded Spill
	v_addc_co_u32_e32 v71, vcc, 0, v71, vcc
	v_mov_b32_e32 v0, s9
	v_add_co_u32_e32 v68, vcc, s8, v70
	buffer_store_dword v77, off, s[24:27], 0 offset:488 ; 4-byte Folded Spill
	v_addc_co_u32_e32 v69, vcc, v71, v0, vcc
	global_load_dwordx4 v[77:80], v[70:71], off
	s_nop 0
	global_load_dwordx4 v[68:71], v[68:69], off
	s_waitcnt vmcnt(0)
	buffer_store_dword v68, off, s[24:27], 0 offset:444 ; 4-byte Folded Spill
	s_nop 0
	buffer_store_dword v69, off, s[24:27], 0 offset:448 ; 4-byte Folded Spill
	buffer_store_dword v70, off, s[24:27], 0 offset:452 ; 4-byte Folded Spill
	;; [unrolled: 1-line block ×4, first 2 shown]
	s_nop 0
	buffer_store_dword v78, off, s[24:27], 0 offset:464 ; 4-byte Folded Spill
	buffer_store_dword v79, off, s[24:27], 0 offset:468 ; 4-byte Folded Spill
	;; [unrolled: 1-line block ×3, first 2 shown]
	global_load_dwordx4 v[68:71], v[73:74], off
	s_load_dword s3, s[4:5], 0x0
	s_waitcnt lgkmcnt(0)
	s_max_i32 s0, s3, 53
	v_mul_lo_u32 v91, s0, v1
	s_load_dwordx2 s[4:5], s[4:5], 0x40
	s_cmp_lt_i32 s3, 2
	v_lshl_add_u32 v0, v91, 4, 0
	v_add_u32_e32 v1, v0, v72
	ds_write2_b64 v1, v[77:78], v[79:80] offset1:1
	s_waitcnt vmcnt(0)
	buffer_store_dword v68, off, s[24:27], 0 offset:428 ; 4-byte Folded Spill
	s_nop 0
	buffer_store_dword v69, off, s[24:27], 0 offset:432 ; 4-byte Folded Spill
	buffer_store_dword v70, off, s[24:27], 0 offset:436 ; 4-byte Folded Spill
	buffer_store_dword v71, off, s[24:27], 0 offset:440 ; 4-byte Folded Spill
	global_load_dwordx4 v[68:71], v[75:76], off
	s_waitcnt vmcnt(0)
	buffer_store_dword v68, off, s[24:27], 0 offset:404 ; 4-byte Folded Spill
	s_nop 0
	buffer_store_dword v69, off, s[24:27], 0 offset:408 ; 4-byte Folded Spill
	buffer_store_dword v70, off, s[24:27], 0 offset:412 ; 4-byte Folded Spill
	buffer_store_dword v71, off, s[24:27], 0 offset:416 ; 4-byte Folded Spill
	global_load_dwordx4 v[68:71], v[6:7], off
	;; [unrolled: 7-line block ×26, first 2 shown]
	global_load_dwordx4 v[85:88], v[56:57], off
	global_load_dwordx4 v[109:112], v[58:59], off
	;; [unrolled: 1-line block ×6, first 2 shown]
	s_waitcnt vmcnt(0)
	buffer_store_dword v6, off, s[24:27], 0 ; 4-byte Folded Spill
	s_nop 0
	buffer_store_dword v7, off, s[24:27], 0 offset:4 ; 4-byte Folded Spill
	buffer_store_dword v8, off, s[24:27], 0 offset:8 ; 4-byte Folded Spill
	;; [unrolled: 1-line block ×3, first 2 shown]
	global_load_dwordx4 v[65:68], v[117:118], off
	global_load_dwordx4 v[61:64], v[119:120], off
	;; [unrolled: 1-line block ×18, first 2 shown]
	s_waitcnt vmcnt(0) lgkmcnt(0)
	s_barrier
	ds_read2_b64 v[117:120], v0 offset1:1
	v_lshlrev_b32_e32 v95, 4, v91
	v_mov_b32_e32 v89, 0
	s_cbranch_scc1 .LBB104_6
; %bb.4:
	v_add3_u32 v90, v95, 0, 16
	s_mov_b32 s0, 1
	v_mov_b32_e32 v89, 0
.LBB104_5:                              ; =>This Inner Loop Header: Depth=1
	s_waitcnt lgkmcnt(0)
	v_cmp_gt_f64_e32 vcc, 0, v[117:118]
	v_xor_b32_e32 v96, 0x80000000, v118
	ds_read2_b64 v[91:94], v90 offset1:1
	v_xor_b32_e32 v98, 0x80000000, v120
	v_add_u32_e32 v90, 16, v90
	s_waitcnt lgkmcnt(0)
	v_xor_b32_e32 v100, 0x80000000, v94
	v_cndmask_b32_e32 v97, v118, v96, vcc
	v_cmp_gt_f64_e32 vcc, 0, v[119:120]
	v_mov_b32_e32 v96, v117
	v_cndmask_b32_e32 v99, v120, v98, vcc
	v_cmp_gt_f64_e32 vcc, 0, v[91:92]
	v_mov_b32_e32 v98, v119
	v_add_f64 v[96:97], v[96:97], v[98:99]
	v_xor_b32_e32 v98, 0x80000000, v92
	v_cndmask_b32_e32 v99, v92, v98, vcc
	v_cmp_gt_f64_e32 vcc, 0, v[93:94]
	v_mov_b32_e32 v98, v91
	v_cndmask_b32_e32 v101, v94, v100, vcc
	v_mov_b32_e32 v100, v93
	v_add_f64 v[98:99], v[98:99], v[100:101]
	v_cmp_lt_f64_e32 vcc, v[96:97], v[98:99]
	v_cndmask_b32_e32 v117, v117, v91, vcc
	v_mov_b32_e32 v91, s0
	s_add_i32 s0, s0, 1
	v_cndmask_b32_e32 v118, v118, v92, vcc
	v_cndmask_b32_e32 v120, v120, v94, vcc
	;; [unrolled: 1-line block ×4, first 2 shown]
	s_cmp_eq_u32 s3, s0
	s_cbranch_scc0 .LBB104_5
.LBB104_6:
	s_waitcnt lgkmcnt(0)
	v_cmp_neq_f64_e32 vcc, 0, v[117:118]
	v_cmp_neq_f64_e64 s[0:1], 0, v[119:120]
	v_mov_b32_e32 v84, v72
	v_mov_b32_e32 v83, v71
	;; [unrolled: 1-line block ×7, first 2 shown]
	s_or_b64 s[18:19], vcc, s[0:1]
	s_and_saveexec_b64 s[0:1], s[18:19]
	s_cbranch_execz .LBB104_12
; %bb.7:
	v_cmp_ngt_f64_e64 s[18:19], |v[117:118]|, |v[119:120]|
	s_and_saveexec_b64 s[20:21], s[18:19]
	s_xor_b64 s[18:19], exec, s[20:21]
	s_cbranch_execz .LBB104_9
; %bb.8:
	v_div_scale_f64 v[90:91], s[20:21], v[119:120], v[119:120], v[117:118]
	v_rcp_f64_e32 v[92:93], v[90:91]
	v_fma_f64 v[96:97], -v[90:91], v[92:93], 1.0
	v_fma_f64 v[92:93], v[92:93], v[96:97], v[92:93]
	v_div_scale_f64 v[96:97], vcc, v[117:118], v[119:120], v[117:118]
	v_fma_f64 v[98:99], -v[90:91], v[92:93], 1.0
	v_fma_f64 v[92:93], v[92:93], v[98:99], v[92:93]
	v_mul_f64 v[98:99], v[96:97], v[92:93]
	v_fma_f64 v[90:91], -v[90:91], v[98:99], v[96:97]
	v_div_fmas_f64 v[90:91], v[90:91], v[92:93], v[98:99]
	v_div_fixup_f64 v[90:91], v[90:91], v[119:120], v[117:118]
	v_fma_f64 v[92:93], v[117:118], v[90:91], v[119:120]
	v_div_scale_f64 v[96:97], s[20:21], v[92:93], v[92:93], 1.0
	v_div_scale_f64 v[102:103], vcc, 1.0, v[92:93], 1.0
	v_rcp_f64_e32 v[98:99], v[96:97]
	v_fma_f64 v[100:101], -v[96:97], v[98:99], 1.0
	v_fma_f64 v[98:99], v[98:99], v[100:101], v[98:99]
	v_fma_f64 v[100:101], -v[96:97], v[98:99], 1.0
	v_fma_f64 v[98:99], v[98:99], v[100:101], v[98:99]
	v_mul_f64 v[100:101], v[102:103], v[98:99]
	v_fma_f64 v[96:97], -v[96:97], v[100:101], v[102:103]
	v_div_fmas_f64 v[96:97], v[96:97], v[98:99], v[100:101]
	v_div_fixup_f64 v[119:120], v[96:97], v[92:93], 1.0
	v_mov_b32_e32 v93, v127
	v_mul_f64 v[117:118], v[90:91], v[119:120]
	v_xor_b32_e32 v120, 0x80000000, v120
.LBB104_9:
	s_andn2_saveexec_b64 s[18:19], s[18:19]
	s_cbranch_execz .LBB104_11
; %bb.10:
	v_div_scale_f64 v[90:91], s[20:21], v[117:118], v[117:118], v[119:120]
	v_rcp_f64_e32 v[92:93], v[90:91]
	v_fma_f64 v[96:97], -v[90:91], v[92:93], 1.0
	v_fma_f64 v[92:93], v[92:93], v[96:97], v[92:93]
	v_div_scale_f64 v[96:97], vcc, v[119:120], v[117:118], v[119:120]
	v_fma_f64 v[98:99], -v[90:91], v[92:93], 1.0
	v_fma_f64 v[92:93], v[92:93], v[98:99], v[92:93]
	v_mul_f64 v[98:99], v[96:97], v[92:93]
	v_fma_f64 v[90:91], -v[90:91], v[98:99], v[96:97]
	v_div_fmas_f64 v[90:91], v[90:91], v[92:93], v[98:99]
	v_div_fixup_f64 v[90:91], v[90:91], v[117:118], v[119:120]
	v_fma_f64 v[92:93], v[119:120], v[90:91], v[117:118]
	v_div_scale_f64 v[96:97], s[20:21], v[92:93], v[92:93], 1.0
	v_div_scale_f64 v[102:103], vcc, 1.0, v[92:93], 1.0
	v_rcp_f64_e32 v[98:99], v[96:97]
	v_fma_f64 v[100:101], -v[96:97], v[98:99], 1.0
	v_fma_f64 v[98:99], v[98:99], v[100:101], v[98:99]
	v_fma_f64 v[100:101], -v[96:97], v[98:99], 1.0
	v_fma_f64 v[98:99], v[98:99], v[100:101], v[98:99]
	v_mul_f64 v[100:101], v[102:103], v[98:99]
	v_fma_f64 v[96:97], -v[96:97], v[100:101], v[102:103]
	v_div_fmas_f64 v[96:97], v[96:97], v[98:99], v[100:101]
	v_div_fixup_f64 v[117:118], v[96:97], v[92:93], 1.0
	v_mov_b32_e32 v93, v127
	v_mul_f64 v[119:120], v[90:91], -v[117:118]
.LBB104_11:
	s_or_b64 exec, exec, s[18:19]
	v_mov_b32_e32 v96, 0
	v_mov_b32_e32 v94, 2
.LBB104_12:
	s_or_b64 exec, exec, s[0:1]
	v_cmp_ne_u32_e32 vcc, v93, v89
	s_and_saveexec_b64 s[0:1], vcc
	s_xor_b64 s[0:1], exec, s[0:1]
	s_cbranch_execz .LBB104_18
; %bb.13:
	v_cmp_eq_u32_e32 vcc, 0, v93
	s_and_saveexec_b64 s[18:19], vcc
	s_cbranch_execz .LBB104_17
; %bb.14:
	v_cmp_ne_u32_e32 vcc, 0, v89
	s_xor_b64 s[20:21], s[6:7], -1
	s_and_b64 s[22:23], s[20:21], vcc
	s_and_saveexec_b64 s[20:21], s[22:23]
	s_cbranch_execz .LBB104_16
; %bb.15:
	buffer_load_dword v81, off, s[24:27], 0 offset:420 ; 4-byte Folded Reload
	buffer_load_dword v82, off, s[24:27], 0 offset:424 ; 4-byte Folded Reload
	v_ashrrev_i32_e32 v90, 31, v89
	v_lshlrev_b64 v[90:91], 2, v[89:90]
	s_waitcnt vmcnt(1)
	v_add_co_u32_e32 v90, vcc, v81, v90
	s_waitcnt vmcnt(0)
	v_addc_co_u32_e32 v91, vcc, v82, v91, vcc
	global_load_dword v92, v[90:91], off
	global_load_dword v93, v[81:82], off
	s_waitcnt vmcnt(1)
	global_store_dword v[81:82], v92, off
	v_mov_b32_e32 v84, v72
	v_mov_b32_e32 v83, v71
	;; [unrolled: 1-line block ×4, first 2 shown]
	s_waitcnt vmcnt(1)
	global_store_dword v[90:91], v93, off
.LBB104_16:
	s_or_b64 exec, exec, s[20:21]
	v_mov_b32_e32 v93, v89
.LBB104_17:
	s_or_b64 exec, exec, s[18:19]
.LBB104_18:
	s_or_saveexec_b64 s[0:1], s[0:1]
	buffer_store_dword v93, off, s[24:27], 0 offset:352 ; 4-byte Folded Spill
	s_xor_b64 exec, exec, s[0:1]
	s_cbranch_execz .LBB104_20
; %bb.19:
	buffer_load_dword v69, off, s[24:27], 0 offset:444 ; 4-byte Folded Reload
	buffer_load_dword v70, off, s[24:27], 0 offset:448 ; 4-byte Folded Reload
	;; [unrolled: 1-line block ×4, first 2 shown]
	v_mov_b32_e32 v93, 0
	s_waitcnt vmcnt(0)
	ds_write2_b64 v0, v[69:70], v[71:72] offset0:2 offset1:3
	buffer_load_dword v69, off, s[24:27], 0 offset:428 ; 4-byte Folded Reload
	buffer_load_dword v70, off, s[24:27], 0 offset:432 ; 4-byte Folded Reload
	buffer_load_dword v71, off, s[24:27], 0 offset:436 ; 4-byte Folded Reload
	buffer_load_dword v72, off, s[24:27], 0 offset:440 ; 4-byte Folded Reload
	s_waitcnt vmcnt(0)
	ds_write2_b64 v0, v[69:70], v[71:72] offset0:4 offset1:5
	buffer_load_dword v69, off, s[24:27], 0 offset:404 ; 4-byte Folded Reload
	buffer_load_dword v70, off, s[24:27], 0 offset:408 ; 4-byte Folded Reload
	buffer_load_dword v71, off, s[24:27], 0 offset:412 ; 4-byte Folded Reload
	buffer_load_dword v72, off, s[24:27], 0 offset:416 ; 4-byte Folded Reload
	;; [unrolled: 6-line block ×26, first 2 shown]
	s_waitcnt vmcnt(0)
	ds_write2_b64 v0, v[69:70], v[71:72] offset0:54 offset1:55
	ds_write2_b64 v0, v[81:82], v[83:84] offset0:56 offset1:57
	;; [unrolled: 1-line block ×7, first 2 shown]
	buffer_load_dword v69, off, s[24:27], 0 ; 4-byte Folded Reload
	buffer_load_dword v70, off, s[24:27], 0 offset:4 ; 4-byte Folded Reload
	buffer_load_dword v71, off, s[24:27], 0 offset:8 ; 4-byte Folded Reload
	;; [unrolled: 1-line block ×3, first 2 shown]
	s_waitcnt vmcnt(0)
	ds_write2_b64 v0, v[69:70], v[71:72] offset0:68 offset1:69
	ds_write2_b64 v0, v[65:66], v[67:68] offset0:70 offset1:71
	;; [unrolled: 1-line block ×19, first 2 shown]
.LBB104_20:
	s_or_b64 exec, exec, s[0:1]
	v_cmp_lt_i32_e32 vcc, 0, v93
	s_waitcnt vmcnt(0) lgkmcnt(0)
	s_barrier
	s_and_saveexec_b64 s[0:1], vcc
	s_cbranch_execz .LBB104_22
; %bb.21:
	buffer_load_dword v99, off, s[24:27], 0 offset:460 ; 4-byte Folded Reload
	buffer_load_dword v100, off, s[24:27], 0 offset:464 ; 4-byte Folded Reload
	;; [unrolled: 1-line block ×4, first 2 shown]
	s_waitcnt vmcnt(0)
	v_mul_f64 v[89:90], v[119:120], v[101:102]
	v_fma_f64 v[125:126], v[117:118], v[99:100], -v[89:90]
	v_mul_f64 v[89:90], v[117:118], v[101:102]
	v_fma_f64 v[101:102], v[119:120], v[99:100], v[89:90]
	ds_read2_b64 v[89:92], v0 offset0:2 offset1:3
	buffer_load_dword v69, off, s[24:27], 0 offset:444 ; 4-byte Folded Reload
	buffer_load_dword v70, off, s[24:27], 0 offset:448 ; 4-byte Folded Reload
	buffer_load_dword v71, off, s[24:27], 0 offset:452 ; 4-byte Folded Reload
	buffer_load_dword v72, off, s[24:27], 0 offset:456 ; 4-byte Folded Reload
	s_waitcnt lgkmcnt(0)
	v_mul_f64 v[97:98], v[91:92], v[101:102]
	v_fma_f64 v[97:98], v[89:90], v[125:126], -v[97:98]
	v_mul_f64 v[89:90], v[89:90], v[101:102]
	v_fma_f64 v[89:90], v[91:92], v[125:126], v[89:90]
	s_waitcnt vmcnt(2)
	v_add_f64 v[69:70], v[69:70], -v[97:98]
	s_waitcnt vmcnt(0)
	v_add_f64 v[71:72], v[71:72], -v[89:90]
	buffer_store_dword v69, off, s[24:27], 0 offset:444 ; 4-byte Folded Spill
	s_nop 0
	buffer_store_dword v70, off, s[24:27], 0 offset:448 ; 4-byte Folded Spill
	buffer_store_dword v71, off, s[24:27], 0 offset:452 ; 4-byte Folded Spill
	buffer_store_dword v72, off, s[24:27], 0 offset:456 ; 4-byte Folded Spill
	ds_read2_b64 v[89:92], v0 offset0:4 offset1:5
	buffer_load_dword v69, off, s[24:27], 0 offset:428 ; 4-byte Folded Reload
	buffer_load_dword v70, off, s[24:27], 0 offset:432 ; 4-byte Folded Reload
	buffer_load_dword v71, off, s[24:27], 0 offset:436 ; 4-byte Folded Reload
	buffer_load_dword v72, off, s[24:27], 0 offset:440 ; 4-byte Folded Reload
	s_waitcnt lgkmcnt(0)
	v_mul_f64 v[97:98], v[91:92], v[101:102]
	v_fma_f64 v[97:98], v[89:90], v[125:126], -v[97:98]
	v_mul_f64 v[89:90], v[89:90], v[101:102]
	v_fma_f64 v[89:90], v[91:92], v[125:126], v[89:90]
	s_waitcnt vmcnt(2)
	v_add_f64 v[69:70], v[69:70], -v[97:98]
	s_waitcnt vmcnt(0)
	v_add_f64 v[71:72], v[71:72], -v[89:90]
	buffer_store_dword v69, off, s[24:27], 0 offset:428 ; 4-byte Folded Spill
	s_nop 0
	buffer_store_dword v70, off, s[24:27], 0 offset:432 ; 4-byte Folded Spill
	buffer_store_dword v71, off, s[24:27], 0 offset:436 ; 4-byte Folded Spill
	buffer_store_dword v72, off, s[24:27], 0 offset:440 ; 4-byte Folded Spill
	;; [unrolled: 19-line block ×27, first 2 shown]
	ds_read2_b64 v[89:92], v0 offset0:56 offset1:57
	s_waitcnt lgkmcnt(0)
	v_mul_f64 v[97:98], v[91:92], v[101:102]
	v_fma_f64 v[97:98], v[89:90], v[125:126], -v[97:98]
	v_mul_f64 v[89:90], v[89:90], v[101:102]
	v_add_f64 v[81:82], v[81:82], -v[97:98]
	v_fma_f64 v[89:90], v[91:92], v[125:126], v[89:90]
	v_add_f64 v[83:84], v[83:84], -v[89:90]
	ds_read2_b64 v[89:92], v0 offset0:58 offset1:59
	s_waitcnt lgkmcnt(0)
	v_mul_f64 v[97:98], v[91:92], v[101:102]
	v_fma_f64 v[97:98], v[89:90], v[125:126], -v[97:98]
	v_mul_f64 v[89:90], v[89:90], v[101:102]
	v_add_f64 v[85:86], v[85:86], -v[97:98]
	v_fma_f64 v[89:90], v[91:92], v[125:126], v[89:90]
	v_add_f64 v[87:88], v[87:88], -v[89:90]
	;; [unrolled: 8-line block ×6, first 2 shown]
	ds_read2_b64 v[89:92], v0 offset0:68 offset1:69
	buffer_load_dword v69, off, s[24:27], 0 ; 4-byte Folded Reload
	buffer_load_dword v70, off, s[24:27], 0 offset:4 ; 4-byte Folded Reload
	buffer_load_dword v71, off, s[24:27], 0 offset:8 ; 4-byte Folded Reload
	;; [unrolled: 1-line block ×3, first 2 shown]
	s_waitcnt lgkmcnt(0)
	v_mul_f64 v[97:98], v[91:92], v[101:102]
	v_fma_f64 v[97:98], v[89:90], v[125:126], -v[97:98]
	v_mul_f64 v[89:90], v[89:90], v[101:102]
	v_fma_f64 v[89:90], v[91:92], v[125:126], v[89:90]
	s_waitcnt vmcnt(2)
	v_add_f64 v[69:70], v[69:70], -v[97:98]
	s_waitcnt vmcnt(0)
	v_add_f64 v[71:72], v[71:72], -v[89:90]
	buffer_store_dword v69, off, s[24:27], 0 ; 4-byte Folded Spill
	s_nop 0
	buffer_store_dword v70, off, s[24:27], 0 offset:4 ; 4-byte Folded Spill
	buffer_store_dword v71, off, s[24:27], 0 offset:8 ; 4-byte Folded Spill
	;; [unrolled: 1-line block ×3, first 2 shown]
	ds_read2_b64 v[89:92], v0 offset0:70 offset1:71
	s_waitcnt lgkmcnt(0)
	v_mul_f64 v[97:98], v[91:92], v[101:102]
	v_fma_f64 v[97:98], v[89:90], v[125:126], -v[97:98]
	v_mul_f64 v[89:90], v[89:90], v[101:102]
	v_add_f64 v[65:66], v[65:66], -v[97:98]
	v_fma_f64 v[89:90], v[91:92], v[125:126], v[89:90]
	v_add_f64 v[67:68], v[67:68], -v[89:90]
	ds_read2_b64 v[89:92], v0 offset0:72 offset1:73
	s_waitcnt lgkmcnt(0)
	v_mul_f64 v[97:98], v[91:92], v[101:102]
	v_fma_f64 v[97:98], v[89:90], v[125:126], -v[97:98]
	v_mul_f64 v[89:90], v[89:90], v[101:102]
	v_add_f64 v[61:62], v[61:62], -v[97:98]
	v_fma_f64 v[89:90], v[91:92], v[125:126], v[89:90]
	v_add_f64 v[63:64], v[63:64], -v[89:90]
	;; [unrolled: 8-line block ×16, first 2 shown]
	ds_read2_b64 v[89:92], v0 offset0:102 offset1:103
	s_waitcnt lgkmcnt(0)
	v_mul_f64 v[97:98], v[91:92], v[101:102]
	v_fma_f64 v[97:98], v[89:90], v[125:126], -v[97:98]
	v_mul_f64 v[89:90], v[89:90], v[101:102]
	v_add_f64 v[1:2], v[1:2], -v[97:98]
	v_fma_f64 v[89:90], v[91:92], v[125:126], v[89:90]
	ds_read2_b64 v[97:100], v0 offset0:104 offset1:105
	s_waitcnt lgkmcnt(0)
	v_mul_f64 v[91:92], v[97:98], v[101:102]
	v_add_f64 v[3:4], v[3:4], -v[89:90]
	v_mul_f64 v[89:90], v[99:100], v[101:102]
	v_fma_f64 v[91:92], v[99:100], v[125:126], v[91:92]
	v_mov_b32_e32 v99, v125
	v_mov_b32_e32 v100, v126
	v_fma_f64 v[89:90], v[97:98], v[125:126], -v[89:90]
	buffer_store_dword v99, off, s[24:27], 0 offset:460 ; 4-byte Folded Spill
	s_nop 0
	buffer_store_dword v100, off, s[24:27], 0 offset:464 ; 4-byte Folded Spill
	buffer_store_dword v101, off, s[24:27], 0 offset:468 ; 4-byte Folded Spill
	buffer_store_dword v102, off, s[24:27], 0 offset:472 ; 4-byte Folded Spill
	v_add_f64 v[123:124], v[123:124], -v[91:92]
	v_add_f64 v[121:122], v[121:122], -v[89:90]
.LBB104_22:
	s_or_b64 exec, exec, s[0:1]
	s_waitcnt vmcnt(0)
	s_barrier
	buffer_load_dword v69, off, s[24:27], 0 offset:444 ; 4-byte Folded Reload
	buffer_load_dword v70, off, s[24:27], 0 offset:448 ; 4-byte Folded Reload
	;; [unrolled: 1-line block ×4, first 2 shown]
	v_lshl_add_u32 v89, v93, 4, v0
	s_cmp_lt_i32 s3, 3
	s_waitcnt vmcnt(0)
	ds_write2_b64 v89, v[69:70], v[71:72] offset1:1
	s_waitcnt lgkmcnt(0)
	s_barrier
	ds_read2_b64 v[117:120], v0 offset0:2 offset1:3
	v_mov_b32_e32 v89, 1
	s_cbranch_scc1 .LBB104_25
; %bb.23:
	v_add3_u32 v90, v95, 0, 32
	s_mov_b32 s0, 2
	v_mov_b32_e32 v89, 1
.LBB104_24:                             ; =>This Inner Loop Header: Depth=1
	s_waitcnt lgkmcnt(0)
	v_cmp_gt_f64_e32 vcc, 0, v[117:118]
	v_xor_b32_e32 v91, 0x80000000, v118
	ds_read2_b64 v[97:100], v90 offset1:1
	v_xor_b32_e32 v101, 0x80000000, v120
	v_add_u32_e32 v90, 16, v90
	s_waitcnt lgkmcnt(0)
	v_xor_b32_e32 v103, 0x80000000, v100
	v_cndmask_b32_e32 v92, v118, v91, vcc
	v_cmp_gt_f64_e32 vcc, 0, v[119:120]
	v_mov_b32_e32 v91, v117
	v_cndmask_b32_e32 v102, v120, v101, vcc
	v_cmp_gt_f64_e32 vcc, 0, v[97:98]
	v_mov_b32_e32 v101, v119
	v_add_f64 v[91:92], v[91:92], v[101:102]
	v_xor_b32_e32 v101, 0x80000000, v98
	v_cndmask_b32_e32 v102, v98, v101, vcc
	v_cmp_gt_f64_e32 vcc, 0, v[99:100]
	v_mov_b32_e32 v101, v97
	v_cndmask_b32_e32 v104, v100, v103, vcc
	v_mov_b32_e32 v103, v99
	v_add_f64 v[101:102], v[101:102], v[103:104]
	v_cmp_lt_f64_e32 vcc, v[91:92], v[101:102]
	v_mov_b32_e32 v91, s0
	s_add_i32 s0, s0, 1
	s_cmp_lg_u32 s3, s0
	v_cndmask_b32_e32 v118, v118, v98, vcc
	v_cndmask_b32_e32 v117, v117, v97, vcc
	;; [unrolled: 1-line block ×5, first 2 shown]
	s_cbranch_scc1 .LBB104_24
.LBB104_25:
	s_waitcnt lgkmcnt(0)
	v_cmp_neq_f64_e32 vcc, 0, v[117:118]
	v_cmp_neq_f64_e64 s[0:1], 0, v[119:120]
	s_or_b64 s[18:19], vcc, s[0:1]
	s_and_saveexec_b64 s[0:1], s[18:19]
	s_cbranch_execz .LBB104_31
; %bb.26:
	v_cmp_ngt_f64_e64 s[18:19], |v[117:118]|, |v[119:120]|
	s_and_saveexec_b64 s[20:21], s[18:19]
	s_xor_b64 s[18:19], exec, s[20:21]
	s_cbranch_execz .LBB104_28
; %bb.27:
	v_div_scale_f64 v[90:91], s[20:21], v[119:120], v[119:120], v[117:118]
	v_rcp_f64_e32 v[97:98], v[90:91]
	v_fma_f64 v[99:100], -v[90:91], v[97:98], 1.0
	v_fma_f64 v[97:98], v[97:98], v[99:100], v[97:98]
	v_div_scale_f64 v[99:100], vcc, v[117:118], v[119:120], v[117:118]
	v_fma_f64 v[101:102], -v[90:91], v[97:98], 1.0
	v_fma_f64 v[97:98], v[97:98], v[101:102], v[97:98]
	v_mul_f64 v[101:102], v[99:100], v[97:98]
	v_fma_f64 v[90:91], -v[90:91], v[101:102], v[99:100]
	v_div_fmas_f64 v[90:91], v[90:91], v[97:98], v[101:102]
	v_div_fixup_f64 v[90:91], v[90:91], v[119:120], v[117:118]
	v_fma_f64 v[97:98], v[117:118], v[90:91], v[119:120]
	v_div_scale_f64 v[99:100], s[20:21], v[97:98], v[97:98], 1.0
	v_div_scale_f64 v[105:106], vcc, 1.0, v[97:98], 1.0
	v_rcp_f64_e32 v[101:102], v[99:100]
	v_fma_f64 v[103:104], -v[99:100], v[101:102], 1.0
	v_fma_f64 v[101:102], v[101:102], v[103:104], v[101:102]
	v_fma_f64 v[103:104], -v[99:100], v[101:102], 1.0
	v_fma_f64 v[101:102], v[101:102], v[103:104], v[101:102]
	v_mul_f64 v[103:104], v[105:106], v[101:102]
	v_fma_f64 v[99:100], -v[99:100], v[103:104], v[105:106]
	v_div_fmas_f64 v[99:100], v[99:100], v[101:102], v[103:104]
	v_div_fixup_f64 v[119:120], v[99:100], v[97:98], 1.0
	v_mul_f64 v[117:118], v[90:91], v[119:120]
	v_xor_b32_e32 v120, 0x80000000, v120
.LBB104_28:
	s_andn2_saveexec_b64 s[18:19], s[18:19]
	s_cbranch_execz .LBB104_30
; %bb.29:
	v_div_scale_f64 v[90:91], s[20:21], v[117:118], v[117:118], v[119:120]
	v_rcp_f64_e32 v[97:98], v[90:91]
	v_fma_f64 v[99:100], -v[90:91], v[97:98], 1.0
	v_fma_f64 v[97:98], v[97:98], v[99:100], v[97:98]
	v_div_scale_f64 v[99:100], vcc, v[119:120], v[117:118], v[119:120]
	v_fma_f64 v[101:102], -v[90:91], v[97:98], 1.0
	v_fma_f64 v[97:98], v[97:98], v[101:102], v[97:98]
	v_mul_f64 v[101:102], v[99:100], v[97:98]
	v_fma_f64 v[90:91], -v[90:91], v[101:102], v[99:100]
	v_div_fmas_f64 v[90:91], v[90:91], v[97:98], v[101:102]
	v_div_fixup_f64 v[90:91], v[90:91], v[117:118], v[119:120]
	v_fma_f64 v[97:98], v[119:120], v[90:91], v[117:118]
	v_div_scale_f64 v[99:100], s[20:21], v[97:98], v[97:98], 1.0
	v_div_scale_f64 v[105:106], vcc, 1.0, v[97:98], 1.0
	v_rcp_f64_e32 v[101:102], v[99:100]
	v_fma_f64 v[103:104], -v[99:100], v[101:102], 1.0
	v_fma_f64 v[101:102], v[101:102], v[103:104], v[101:102]
	v_fma_f64 v[103:104], -v[99:100], v[101:102], 1.0
	v_fma_f64 v[101:102], v[101:102], v[103:104], v[101:102]
	v_mul_f64 v[103:104], v[105:106], v[101:102]
	v_fma_f64 v[99:100], -v[99:100], v[103:104], v[105:106]
	v_div_fmas_f64 v[99:100], v[99:100], v[101:102], v[103:104]
	v_div_fixup_f64 v[117:118], v[99:100], v[97:98], 1.0
	v_mul_f64 v[119:120], v[90:91], -v[117:118]
.LBB104_30:
	s_or_b64 exec, exec, s[18:19]
	v_mov_b32_e32 v94, v96
.LBB104_31:
	s_or_b64 exec, exec, s[0:1]
	v_cmp_ne_u32_e32 vcc, v93, v89
	s_and_saveexec_b64 s[0:1], vcc
	s_xor_b64 s[0:1], exec, s[0:1]
	s_cbranch_execz .LBB104_37
; %bb.32:
	v_cmp_eq_u32_e32 vcc, 1, v93
	s_and_saveexec_b64 s[18:19], vcc
	s_cbranch_execz .LBB104_36
; %bb.33:
	v_cmp_ne_u32_e32 vcc, 1, v89
	s_xor_b64 s[20:21], s[6:7], -1
	s_and_b64 s[22:23], s[20:21], vcc
	s_and_saveexec_b64 s[20:21], s[22:23]
	s_cbranch_execz .LBB104_35
; %bb.34:
	v_mov_b32_e32 v69, v81
	v_mov_b32_e32 v70, v82
	;; [unrolled: 1-line block ×4, first 2 shown]
	buffer_load_dword v81, off, s[24:27], 0 offset:420 ; 4-byte Folded Reload
	buffer_load_dword v82, off, s[24:27], 0 offset:424 ; 4-byte Folded Reload
	v_ashrrev_i32_e32 v90, 31, v89
	v_lshlrev_b64 v[90:91], 2, v[89:90]
	s_waitcnt vmcnt(1)
	v_add_co_u32_e32 v90, vcc, v81, v90
	s_waitcnt vmcnt(0)
	v_addc_co_u32_e32 v91, vcc, v82, v91, vcc
	global_load_dword v92, v[90:91], off
	global_load_dword v93, v[81:82], off offset:4
	s_waitcnt vmcnt(1)
	global_store_dword v[81:82], v92, off offset:4
	v_mov_b32_e32 v84, v72
	v_mov_b32_e32 v83, v71
	v_mov_b32_e32 v82, v70
	v_mov_b32_e32 v81, v69
	s_waitcnt vmcnt(1)
	global_store_dword v[90:91], v93, off
.LBB104_35:
	s_or_b64 exec, exec, s[20:21]
	v_mov_b32_e32 v93, v89
	v_mov_b32_e32 v69, v89
	buffer_store_dword v69, off, s[24:27], 0 offset:352 ; 4-byte Folded Spill
.LBB104_36:
	s_or_b64 exec, exec, s[18:19]
.LBB104_37:
	s_andn2_saveexec_b64 s[0:1], s[0:1]
	s_cbranch_execz .LBB104_39
; %bb.38:
	buffer_load_dword v69, off, s[24:27], 0 offset:428 ; 4-byte Folded Reload
	buffer_load_dword v70, off, s[24:27], 0 offset:432 ; 4-byte Folded Reload
	;; [unrolled: 1-line block ×4, first 2 shown]
	v_mov_b32_e32 v93, 1
	s_waitcnt vmcnt(0)
	ds_write2_b64 v0, v[69:70], v[71:72] offset0:4 offset1:5
	buffer_load_dword v69, off, s[24:27], 0 offset:404 ; 4-byte Folded Reload
	buffer_load_dword v70, off, s[24:27], 0 offset:408 ; 4-byte Folded Reload
	buffer_load_dword v71, off, s[24:27], 0 offset:412 ; 4-byte Folded Reload
	buffer_load_dword v72, off, s[24:27], 0 offset:416 ; 4-byte Folded Reload
	s_waitcnt vmcnt(0)
	ds_write2_b64 v0, v[69:70], v[71:72] offset0:6 offset1:7
	buffer_load_dword v69, off, s[24:27], 0 offset:388 ; 4-byte Folded Reload
	buffer_load_dword v70, off, s[24:27], 0 offset:392 ; 4-byte Folded Reload
	buffer_load_dword v71, off, s[24:27], 0 offset:396 ; 4-byte Folded Reload
	buffer_load_dword v72, off, s[24:27], 0 offset:400 ; 4-byte Folded Reload
	;; [unrolled: 6-line block ×25, first 2 shown]
	s_waitcnt vmcnt(0)
	ds_write2_b64 v0, v[69:70], v[71:72] offset0:54 offset1:55
	ds_write2_b64 v0, v[81:82], v[83:84] offset0:56 offset1:57
	;; [unrolled: 1-line block ×7, first 2 shown]
	buffer_load_dword v69, off, s[24:27], 0 ; 4-byte Folded Reload
	buffer_load_dword v70, off, s[24:27], 0 offset:4 ; 4-byte Folded Reload
	buffer_load_dword v71, off, s[24:27], 0 offset:8 ; 4-byte Folded Reload
	;; [unrolled: 1-line block ×3, first 2 shown]
	s_waitcnt vmcnt(0)
	ds_write2_b64 v0, v[69:70], v[71:72] offset0:68 offset1:69
	ds_write2_b64 v0, v[65:66], v[67:68] offset0:70 offset1:71
	;; [unrolled: 1-line block ×19, first 2 shown]
.LBB104_39:
	s_or_b64 exec, exec, s[0:1]
	v_cmp_lt_i32_e32 vcc, 1, v93
	s_waitcnt vmcnt(0) lgkmcnt(0)
	s_barrier
	s_and_saveexec_b64 s[0:1], vcc
	s_cbranch_execz .LBB104_41
; %bb.40:
	buffer_load_dword v98, off, s[24:27], 0 offset:444 ; 4-byte Folded Reload
	buffer_load_dword v99, off, s[24:27], 0 offset:448 ; 4-byte Folded Reload
	;; [unrolled: 1-line block ×4, first 2 shown]
	s_waitcnt vmcnt(0)
	v_mul_f64 v[89:90], v[119:120], v[100:101]
	v_fma_f64 v[125:126], v[117:118], v[98:99], -v[89:90]
	v_mul_f64 v[89:90], v[117:118], v[100:101]
	v_fma_f64 v[100:101], v[119:120], v[98:99], v[89:90]
	ds_read2_b64 v[89:92], v0 offset0:4 offset1:5
	buffer_load_dword v69, off, s[24:27], 0 offset:428 ; 4-byte Folded Reload
	buffer_load_dword v70, off, s[24:27], 0 offset:432 ; 4-byte Folded Reload
	buffer_load_dword v71, off, s[24:27], 0 offset:436 ; 4-byte Folded Reload
	buffer_load_dword v72, off, s[24:27], 0 offset:440 ; 4-byte Folded Reload
	s_waitcnt lgkmcnt(0)
	v_mul_f64 v[96:97], v[91:92], v[100:101]
	v_fma_f64 v[96:97], v[89:90], v[125:126], -v[96:97]
	v_mul_f64 v[89:90], v[89:90], v[100:101]
	v_fma_f64 v[89:90], v[91:92], v[125:126], v[89:90]
	s_waitcnt vmcnt(2)
	v_add_f64 v[69:70], v[69:70], -v[96:97]
	s_waitcnt vmcnt(0)
	v_add_f64 v[71:72], v[71:72], -v[89:90]
	buffer_store_dword v69, off, s[24:27], 0 offset:428 ; 4-byte Folded Spill
	s_nop 0
	buffer_store_dword v70, off, s[24:27], 0 offset:432 ; 4-byte Folded Spill
	buffer_store_dword v71, off, s[24:27], 0 offset:436 ; 4-byte Folded Spill
	buffer_store_dword v72, off, s[24:27], 0 offset:440 ; 4-byte Folded Spill
	ds_read2_b64 v[89:92], v0 offset0:6 offset1:7
	buffer_load_dword v69, off, s[24:27], 0 offset:404 ; 4-byte Folded Reload
	buffer_load_dword v70, off, s[24:27], 0 offset:408 ; 4-byte Folded Reload
	buffer_load_dword v71, off, s[24:27], 0 offset:412 ; 4-byte Folded Reload
	buffer_load_dword v72, off, s[24:27], 0 offset:416 ; 4-byte Folded Reload
	s_waitcnt lgkmcnt(0)
	v_mul_f64 v[96:97], v[91:92], v[100:101]
	v_fma_f64 v[96:97], v[89:90], v[125:126], -v[96:97]
	v_mul_f64 v[89:90], v[89:90], v[100:101]
	v_fma_f64 v[89:90], v[91:92], v[125:126], v[89:90]
	s_waitcnt vmcnt(2)
	v_add_f64 v[69:70], v[69:70], -v[96:97]
	s_waitcnt vmcnt(0)
	v_add_f64 v[71:72], v[71:72], -v[89:90]
	buffer_store_dword v69, off, s[24:27], 0 offset:404 ; 4-byte Folded Spill
	s_nop 0
	buffer_store_dword v70, off, s[24:27], 0 offset:408 ; 4-byte Folded Spill
	buffer_store_dword v71, off, s[24:27], 0 offset:412 ; 4-byte Folded Spill
	buffer_store_dword v72, off, s[24:27], 0 offset:416 ; 4-byte Folded Spill
	;; [unrolled: 19-line block ×26, first 2 shown]
	ds_read2_b64 v[89:92], v0 offset0:56 offset1:57
	s_waitcnt lgkmcnt(0)
	v_mul_f64 v[96:97], v[91:92], v[100:101]
	v_fma_f64 v[96:97], v[89:90], v[125:126], -v[96:97]
	v_mul_f64 v[89:90], v[89:90], v[100:101]
	v_add_f64 v[81:82], v[81:82], -v[96:97]
	v_fma_f64 v[89:90], v[91:92], v[125:126], v[89:90]
	v_add_f64 v[83:84], v[83:84], -v[89:90]
	ds_read2_b64 v[89:92], v0 offset0:58 offset1:59
	s_waitcnt lgkmcnt(0)
	v_mul_f64 v[96:97], v[91:92], v[100:101]
	v_fma_f64 v[96:97], v[89:90], v[125:126], -v[96:97]
	v_mul_f64 v[89:90], v[89:90], v[100:101]
	v_add_f64 v[85:86], v[85:86], -v[96:97]
	v_fma_f64 v[89:90], v[91:92], v[125:126], v[89:90]
	v_add_f64 v[87:88], v[87:88], -v[89:90]
	;; [unrolled: 8-line block ×6, first 2 shown]
	ds_read2_b64 v[89:92], v0 offset0:68 offset1:69
	buffer_load_dword v69, off, s[24:27], 0 ; 4-byte Folded Reload
	buffer_load_dword v70, off, s[24:27], 0 offset:4 ; 4-byte Folded Reload
	buffer_load_dword v71, off, s[24:27], 0 offset:8 ; 4-byte Folded Reload
	;; [unrolled: 1-line block ×3, first 2 shown]
	s_waitcnt lgkmcnt(0)
	v_mul_f64 v[96:97], v[91:92], v[100:101]
	v_fma_f64 v[96:97], v[89:90], v[125:126], -v[96:97]
	v_mul_f64 v[89:90], v[89:90], v[100:101]
	v_fma_f64 v[89:90], v[91:92], v[125:126], v[89:90]
	s_waitcnt vmcnt(2)
	v_add_f64 v[69:70], v[69:70], -v[96:97]
	s_waitcnt vmcnt(0)
	v_add_f64 v[71:72], v[71:72], -v[89:90]
	buffer_store_dword v69, off, s[24:27], 0 ; 4-byte Folded Spill
	s_nop 0
	buffer_store_dword v70, off, s[24:27], 0 offset:4 ; 4-byte Folded Spill
	buffer_store_dword v71, off, s[24:27], 0 offset:8 ; 4-byte Folded Spill
	;; [unrolled: 1-line block ×3, first 2 shown]
	ds_read2_b64 v[89:92], v0 offset0:70 offset1:71
	s_waitcnt lgkmcnt(0)
	v_mul_f64 v[96:97], v[91:92], v[100:101]
	v_fma_f64 v[96:97], v[89:90], v[125:126], -v[96:97]
	v_mul_f64 v[89:90], v[89:90], v[100:101]
	v_add_f64 v[65:66], v[65:66], -v[96:97]
	v_fma_f64 v[89:90], v[91:92], v[125:126], v[89:90]
	v_add_f64 v[67:68], v[67:68], -v[89:90]
	ds_read2_b64 v[89:92], v0 offset0:72 offset1:73
	s_waitcnt lgkmcnt(0)
	v_mul_f64 v[96:97], v[91:92], v[100:101]
	v_fma_f64 v[96:97], v[89:90], v[125:126], -v[96:97]
	v_mul_f64 v[89:90], v[89:90], v[100:101]
	v_add_f64 v[61:62], v[61:62], -v[96:97]
	v_fma_f64 v[89:90], v[91:92], v[125:126], v[89:90]
	v_add_f64 v[63:64], v[63:64], -v[89:90]
	;; [unrolled: 8-line block ×16, first 2 shown]
	ds_read2_b64 v[89:92], v0 offset0:102 offset1:103
	s_waitcnt lgkmcnt(0)
	v_mul_f64 v[96:97], v[91:92], v[100:101]
	v_fma_f64 v[96:97], v[89:90], v[125:126], -v[96:97]
	v_mul_f64 v[89:90], v[89:90], v[100:101]
	v_add_f64 v[1:2], v[1:2], -v[96:97]
	v_fma_f64 v[89:90], v[91:92], v[125:126], v[89:90]
	ds_read2_b64 v[96:99], v0 offset0:104 offset1:105
	s_waitcnt lgkmcnt(0)
	v_mul_f64 v[91:92], v[96:97], v[100:101]
	v_add_f64 v[3:4], v[3:4], -v[89:90]
	v_mul_f64 v[89:90], v[98:99], v[100:101]
	v_fma_f64 v[91:92], v[98:99], v[125:126], v[91:92]
	v_mov_b32_e32 v98, v125
	v_mov_b32_e32 v99, v126
	v_fma_f64 v[89:90], v[96:97], v[125:126], -v[89:90]
	buffer_store_dword v98, off, s[24:27], 0 offset:444 ; 4-byte Folded Spill
	s_nop 0
	buffer_store_dword v99, off, s[24:27], 0 offset:448 ; 4-byte Folded Spill
	buffer_store_dword v100, off, s[24:27], 0 offset:452 ; 4-byte Folded Spill
	;; [unrolled: 1-line block ×3, first 2 shown]
	v_add_f64 v[123:124], v[123:124], -v[91:92]
	v_add_f64 v[121:122], v[121:122], -v[89:90]
.LBB104_41:
	s_or_b64 exec, exec, s[0:1]
	s_waitcnt vmcnt(0)
	s_barrier
	buffer_load_dword v69, off, s[24:27], 0 offset:428 ; 4-byte Folded Reload
	buffer_load_dword v70, off, s[24:27], 0 offset:432 ; 4-byte Folded Reload
	;; [unrolled: 1-line block ×4, first 2 shown]
	v_lshl_add_u32 v89, v93, 4, v0
	s_cmp_lt_i32 s3, 4
	s_waitcnt vmcnt(0)
	ds_write2_b64 v89, v[69:70], v[71:72] offset1:1
	s_waitcnt lgkmcnt(0)
	s_barrier
	ds_read2_b64 v[117:120], v0 offset0:4 offset1:5
	v_mov_b32_e32 v89, 2
	s_cbranch_scc1 .LBB104_44
; %bb.42:
	v_add3_u32 v90, v95, 0, 48
	s_mov_b32 s0, 3
	v_mov_b32_e32 v89, 2
.LBB104_43:                             ; =>This Inner Loop Header: Depth=1
	s_waitcnt lgkmcnt(0)
	v_cmp_gt_f64_e32 vcc, 0, v[117:118]
	v_xor_b32_e32 v91, 0x80000000, v118
	ds_read2_b64 v[96:99], v90 offset1:1
	v_xor_b32_e32 v100, 0x80000000, v120
	v_add_u32_e32 v90, 16, v90
	s_waitcnt lgkmcnt(0)
	v_xor_b32_e32 v102, 0x80000000, v99
	v_cndmask_b32_e32 v92, v118, v91, vcc
	v_cmp_gt_f64_e32 vcc, 0, v[119:120]
	v_mov_b32_e32 v91, v117
	v_cndmask_b32_e32 v101, v120, v100, vcc
	v_cmp_gt_f64_e32 vcc, 0, v[96:97]
	v_mov_b32_e32 v100, v119
	v_add_f64 v[91:92], v[91:92], v[100:101]
	v_xor_b32_e32 v100, 0x80000000, v97
	v_cndmask_b32_e32 v101, v97, v100, vcc
	v_cmp_gt_f64_e32 vcc, 0, v[98:99]
	v_mov_b32_e32 v100, v96
	v_cndmask_b32_e32 v103, v99, v102, vcc
	v_mov_b32_e32 v102, v98
	v_add_f64 v[100:101], v[100:101], v[102:103]
	v_cmp_lt_f64_e32 vcc, v[91:92], v[100:101]
	v_mov_b32_e32 v91, s0
	s_add_i32 s0, s0, 1
	s_cmp_lg_u32 s3, s0
	v_cndmask_b32_e32 v118, v118, v97, vcc
	v_cndmask_b32_e32 v117, v117, v96, vcc
	;; [unrolled: 1-line block ×5, first 2 shown]
	s_cbranch_scc1 .LBB104_43
.LBB104_44:
	s_waitcnt lgkmcnt(0)
	v_cmp_eq_f64_e32 vcc, 0, v[117:118]
	v_cmp_eq_f64_e64 s[0:1], 0, v[119:120]
	s_and_b64 s[0:1], vcc, s[0:1]
	s_and_saveexec_b64 s[18:19], s[0:1]
	s_xor_b64 s[0:1], exec, s[18:19]
; %bb.45:
	v_cmp_ne_u32_e32 vcc, 0, v94
	v_cndmask_b32_e32 v94, 3, v94, vcc
; %bb.46:
	s_andn2_saveexec_b64 s[0:1], s[0:1]
	s_cbranch_execz .LBB104_52
; %bb.47:
	v_cmp_ngt_f64_e64 s[18:19], |v[117:118]|, |v[119:120]|
	s_and_saveexec_b64 s[20:21], s[18:19]
	s_xor_b64 s[18:19], exec, s[20:21]
	s_cbranch_execz .LBB104_49
; %bb.48:
	v_div_scale_f64 v[90:91], s[20:21], v[119:120], v[119:120], v[117:118]
	v_rcp_f64_e32 v[96:97], v[90:91]
	v_fma_f64 v[98:99], -v[90:91], v[96:97], 1.0
	v_fma_f64 v[96:97], v[96:97], v[98:99], v[96:97]
	v_div_scale_f64 v[98:99], vcc, v[117:118], v[119:120], v[117:118]
	v_fma_f64 v[100:101], -v[90:91], v[96:97], 1.0
	v_fma_f64 v[96:97], v[96:97], v[100:101], v[96:97]
	v_mul_f64 v[100:101], v[98:99], v[96:97]
	v_fma_f64 v[90:91], -v[90:91], v[100:101], v[98:99]
	v_div_fmas_f64 v[90:91], v[90:91], v[96:97], v[100:101]
	v_div_fixup_f64 v[90:91], v[90:91], v[119:120], v[117:118]
	v_fma_f64 v[96:97], v[117:118], v[90:91], v[119:120]
	v_div_scale_f64 v[98:99], s[20:21], v[96:97], v[96:97], 1.0
	v_div_scale_f64 v[104:105], vcc, 1.0, v[96:97], 1.0
	v_rcp_f64_e32 v[100:101], v[98:99]
	v_fma_f64 v[102:103], -v[98:99], v[100:101], 1.0
	v_fma_f64 v[100:101], v[100:101], v[102:103], v[100:101]
	v_fma_f64 v[102:103], -v[98:99], v[100:101], 1.0
	v_fma_f64 v[100:101], v[100:101], v[102:103], v[100:101]
	v_mul_f64 v[102:103], v[104:105], v[100:101]
	v_fma_f64 v[98:99], -v[98:99], v[102:103], v[104:105]
	v_div_fmas_f64 v[98:99], v[98:99], v[100:101], v[102:103]
	v_div_fixup_f64 v[119:120], v[98:99], v[96:97], 1.0
	v_mul_f64 v[117:118], v[90:91], v[119:120]
	v_xor_b32_e32 v120, 0x80000000, v120
.LBB104_49:
	s_andn2_saveexec_b64 s[18:19], s[18:19]
	s_cbranch_execz .LBB104_51
; %bb.50:
	v_div_scale_f64 v[90:91], s[20:21], v[117:118], v[117:118], v[119:120]
	v_rcp_f64_e32 v[96:97], v[90:91]
	v_fma_f64 v[98:99], -v[90:91], v[96:97], 1.0
	v_fma_f64 v[96:97], v[96:97], v[98:99], v[96:97]
	v_div_scale_f64 v[98:99], vcc, v[119:120], v[117:118], v[119:120]
	v_fma_f64 v[100:101], -v[90:91], v[96:97], 1.0
	v_fma_f64 v[96:97], v[96:97], v[100:101], v[96:97]
	v_mul_f64 v[100:101], v[98:99], v[96:97]
	v_fma_f64 v[90:91], -v[90:91], v[100:101], v[98:99]
	v_div_fmas_f64 v[90:91], v[90:91], v[96:97], v[100:101]
	v_div_fixup_f64 v[90:91], v[90:91], v[117:118], v[119:120]
	v_fma_f64 v[96:97], v[119:120], v[90:91], v[117:118]
	v_div_scale_f64 v[98:99], s[20:21], v[96:97], v[96:97], 1.0
	v_div_scale_f64 v[104:105], vcc, 1.0, v[96:97], 1.0
	v_rcp_f64_e32 v[100:101], v[98:99]
	v_fma_f64 v[102:103], -v[98:99], v[100:101], 1.0
	v_fma_f64 v[100:101], v[100:101], v[102:103], v[100:101]
	v_fma_f64 v[102:103], -v[98:99], v[100:101], 1.0
	v_fma_f64 v[100:101], v[100:101], v[102:103], v[100:101]
	v_mul_f64 v[102:103], v[104:105], v[100:101]
	v_fma_f64 v[98:99], -v[98:99], v[102:103], v[104:105]
	v_div_fmas_f64 v[98:99], v[98:99], v[100:101], v[102:103]
	v_div_fixup_f64 v[117:118], v[98:99], v[96:97], 1.0
	v_mul_f64 v[119:120], v[90:91], -v[117:118]
.LBB104_51:
	s_or_b64 exec, exec, s[18:19]
.LBB104_52:
	s_or_b64 exec, exec, s[0:1]
	v_cmp_ne_u32_e32 vcc, v93, v89
	s_and_saveexec_b64 s[0:1], vcc
	s_xor_b64 s[0:1], exec, s[0:1]
	s_cbranch_execz .LBB104_58
; %bb.53:
	v_cmp_eq_u32_e32 vcc, 2, v93
	s_and_saveexec_b64 s[18:19], vcc
	s_cbranch_execz .LBB104_57
; %bb.54:
	v_cmp_ne_u32_e32 vcc, 2, v89
	s_xor_b64 s[20:21], s[6:7], -1
	s_and_b64 s[22:23], s[20:21], vcc
	s_and_saveexec_b64 s[20:21], s[22:23]
	s_cbranch_execz .LBB104_56
; %bb.55:
	v_mov_b32_e32 v69, v81
	v_mov_b32_e32 v70, v82
	;; [unrolled: 1-line block ×4, first 2 shown]
	buffer_load_dword v81, off, s[24:27], 0 offset:420 ; 4-byte Folded Reload
	buffer_load_dword v82, off, s[24:27], 0 offset:424 ; 4-byte Folded Reload
	v_ashrrev_i32_e32 v90, 31, v89
	v_lshlrev_b64 v[90:91], 2, v[89:90]
	s_waitcnt vmcnt(1)
	v_add_co_u32_e32 v90, vcc, v81, v90
	s_waitcnt vmcnt(0)
	v_addc_co_u32_e32 v91, vcc, v82, v91, vcc
	global_load_dword v92, v[90:91], off
	global_load_dword v93, v[81:82], off offset:8
	s_waitcnt vmcnt(1)
	global_store_dword v[81:82], v92, off offset:8
	v_mov_b32_e32 v84, v72
	v_mov_b32_e32 v83, v71
	;; [unrolled: 1-line block ×4, first 2 shown]
	s_waitcnt vmcnt(1)
	global_store_dword v[90:91], v93, off
.LBB104_56:
	s_or_b64 exec, exec, s[20:21]
	v_mov_b32_e32 v93, v89
	v_mov_b32_e32 v69, v89
	buffer_store_dword v69, off, s[24:27], 0 offset:352 ; 4-byte Folded Spill
.LBB104_57:
	s_or_b64 exec, exec, s[18:19]
.LBB104_58:
	s_andn2_saveexec_b64 s[0:1], s[0:1]
	s_cbranch_execz .LBB104_60
; %bb.59:
	buffer_load_dword v69, off, s[24:27], 0 offset:404 ; 4-byte Folded Reload
	buffer_load_dword v70, off, s[24:27], 0 offset:408 ; 4-byte Folded Reload
	;; [unrolled: 1-line block ×4, first 2 shown]
	v_mov_b32_e32 v93, 2
	s_waitcnt vmcnt(0)
	ds_write2_b64 v0, v[69:70], v[71:72] offset0:6 offset1:7
	buffer_load_dword v69, off, s[24:27], 0 offset:388 ; 4-byte Folded Reload
	buffer_load_dword v70, off, s[24:27], 0 offset:392 ; 4-byte Folded Reload
	buffer_load_dword v71, off, s[24:27], 0 offset:396 ; 4-byte Folded Reload
	buffer_load_dword v72, off, s[24:27], 0 offset:400 ; 4-byte Folded Reload
	s_waitcnt vmcnt(0)
	ds_write2_b64 v0, v[69:70], v[71:72] offset0:8 offset1:9
	buffer_load_dword v69, off, s[24:27], 0 offset:372 ; 4-byte Folded Reload
	buffer_load_dword v70, off, s[24:27], 0 offset:376 ; 4-byte Folded Reload
	buffer_load_dword v71, off, s[24:27], 0 offset:380 ; 4-byte Folded Reload
	buffer_load_dword v72, off, s[24:27], 0 offset:384 ; 4-byte Folded Reload
	s_waitcnt vmcnt(0)
	ds_write2_b64 v0, v[69:70], v[71:72] offset0:10 offset1:11
	buffer_load_dword v69, off, s[24:27], 0 offset:356 ; 4-byte Folded Reload
	buffer_load_dword v70, off, s[24:27], 0 offset:360 ; 4-byte Folded Reload
	buffer_load_dword v71, off, s[24:27], 0 offset:364 ; 4-byte Folded Reload
	buffer_load_dword v72, off, s[24:27], 0 offset:368 ; 4-byte Folded Reload
	s_waitcnt vmcnt(0)
	ds_write2_b64 v0, v[69:70], v[71:72] offset0:12 offset1:13
	buffer_load_dword v69, off, s[24:27], 0 offset:336 ; 4-byte Folded Reload
	buffer_load_dword v70, off, s[24:27], 0 offset:340 ; 4-byte Folded Reload
	buffer_load_dword v71, off, s[24:27], 0 offset:344 ; 4-byte Folded Reload
	buffer_load_dword v72, off, s[24:27], 0 offset:348 ; 4-byte Folded Reload
	s_waitcnt vmcnt(0)
	ds_write2_b64 v0, v[69:70], v[71:72] offset0:14 offset1:15
	buffer_load_dword v69, off, s[24:27], 0 offset:320 ; 4-byte Folded Reload
	buffer_load_dword v70, off, s[24:27], 0 offset:324 ; 4-byte Folded Reload
	buffer_load_dword v71, off, s[24:27], 0 offset:328 ; 4-byte Folded Reload
	buffer_load_dword v72, off, s[24:27], 0 offset:332 ; 4-byte Folded Reload
	s_waitcnt vmcnt(0)
	ds_write2_b64 v0, v[69:70], v[71:72] offset0:16 offset1:17
	buffer_load_dword v69, off, s[24:27], 0 offset:304 ; 4-byte Folded Reload
	buffer_load_dword v70, off, s[24:27], 0 offset:308 ; 4-byte Folded Reload
	buffer_load_dword v71, off, s[24:27], 0 offset:312 ; 4-byte Folded Reload
	buffer_load_dword v72, off, s[24:27], 0 offset:316 ; 4-byte Folded Reload
	s_waitcnt vmcnt(0)
	ds_write2_b64 v0, v[69:70], v[71:72] offset0:18 offset1:19
	buffer_load_dword v69, off, s[24:27], 0 offset:288 ; 4-byte Folded Reload
	buffer_load_dword v70, off, s[24:27], 0 offset:292 ; 4-byte Folded Reload
	buffer_load_dword v71, off, s[24:27], 0 offset:296 ; 4-byte Folded Reload
	buffer_load_dword v72, off, s[24:27], 0 offset:300 ; 4-byte Folded Reload
	s_waitcnt vmcnt(0)
	ds_write2_b64 v0, v[69:70], v[71:72] offset0:20 offset1:21
	buffer_load_dword v69, off, s[24:27], 0 offset:272 ; 4-byte Folded Reload
	buffer_load_dword v70, off, s[24:27], 0 offset:276 ; 4-byte Folded Reload
	buffer_load_dword v71, off, s[24:27], 0 offset:280 ; 4-byte Folded Reload
	buffer_load_dword v72, off, s[24:27], 0 offset:284 ; 4-byte Folded Reload
	s_waitcnt vmcnt(0)
	ds_write2_b64 v0, v[69:70], v[71:72] offset0:22 offset1:23
	buffer_load_dword v69, off, s[24:27], 0 offset:256 ; 4-byte Folded Reload
	buffer_load_dword v70, off, s[24:27], 0 offset:260 ; 4-byte Folded Reload
	buffer_load_dword v71, off, s[24:27], 0 offset:264 ; 4-byte Folded Reload
	buffer_load_dword v72, off, s[24:27], 0 offset:268 ; 4-byte Folded Reload
	s_waitcnt vmcnt(0)
	ds_write2_b64 v0, v[69:70], v[71:72] offset0:24 offset1:25
	buffer_load_dword v69, off, s[24:27], 0 offset:240 ; 4-byte Folded Reload
	buffer_load_dword v70, off, s[24:27], 0 offset:244 ; 4-byte Folded Reload
	buffer_load_dword v71, off, s[24:27], 0 offset:248 ; 4-byte Folded Reload
	buffer_load_dword v72, off, s[24:27], 0 offset:252 ; 4-byte Folded Reload
	s_waitcnt vmcnt(0)
	ds_write2_b64 v0, v[69:70], v[71:72] offset0:26 offset1:27
	buffer_load_dword v69, off, s[24:27], 0 offset:224 ; 4-byte Folded Reload
	buffer_load_dword v70, off, s[24:27], 0 offset:228 ; 4-byte Folded Reload
	buffer_load_dword v71, off, s[24:27], 0 offset:232 ; 4-byte Folded Reload
	buffer_load_dword v72, off, s[24:27], 0 offset:236 ; 4-byte Folded Reload
	s_waitcnt vmcnt(0)
	ds_write2_b64 v0, v[69:70], v[71:72] offset0:28 offset1:29
	buffer_load_dword v69, off, s[24:27], 0 offset:208 ; 4-byte Folded Reload
	buffer_load_dword v70, off, s[24:27], 0 offset:212 ; 4-byte Folded Reload
	buffer_load_dword v71, off, s[24:27], 0 offset:216 ; 4-byte Folded Reload
	buffer_load_dword v72, off, s[24:27], 0 offset:220 ; 4-byte Folded Reload
	s_waitcnt vmcnt(0)
	ds_write2_b64 v0, v[69:70], v[71:72] offset0:30 offset1:31
	buffer_load_dword v69, off, s[24:27], 0 offset:192 ; 4-byte Folded Reload
	buffer_load_dword v70, off, s[24:27], 0 offset:196 ; 4-byte Folded Reload
	buffer_load_dword v71, off, s[24:27], 0 offset:200 ; 4-byte Folded Reload
	buffer_load_dword v72, off, s[24:27], 0 offset:204 ; 4-byte Folded Reload
	s_waitcnt vmcnt(0)
	ds_write2_b64 v0, v[69:70], v[71:72] offset0:32 offset1:33
	buffer_load_dword v69, off, s[24:27], 0 offset:176 ; 4-byte Folded Reload
	buffer_load_dword v70, off, s[24:27], 0 offset:180 ; 4-byte Folded Reload
	buffer_load_dword v71, off, s[24:27], 0 offset:184 ; 4-byte Folded Reload
	buffer_load_dword v72, off, s[24:27], 0 offset:188 ; 4-byte Folded Reload
	s_waitcnt vmcnt(0)
	ds_write2_b64 v0, v[69:70], v[71:72] offset0:34 offset1:35
	buffer_load_dword v69, off, s[24:27], 0 offset:160 ; 4-byte Folded Reload
	buffer_load_dword v70, off, s[24:27], 0 offset:164 ; 4-byte Folded Reload
	buffer_load_dword v71, off, s[24:27], 0 offset:168 ; 4-byte Folded Reload
	buffer_load_dword v72, off, s[24:27], 0 offset:172 ; 4-byte Folded Reload
	s_waitcnt vmcnt(0)
	ds_write2_b64 v0, v[69:70], v[71:72] offset0:36 offset1:37
	buffer_load_dword v69, off, s[24:27], 0 offset:144 ; 4-byte Folded Reload
	buffer_load_dword v70, off, s[24:27], 0 offset:148 ; 4-byte Folded Reload
	buffer_load_dword v71, off, s[24:27], 0 offset:152 ; 4-byte Folded Reload
	buffer_load_dword v72, off, s[24:27], 0 offset:156 ; 4-byte Folded Reload
	s_waitcnt vmcnt(0)
	ds_write2_b64 v0, v[69:70], v[71:72] offset0:38 offset1:39
	buffer_load_dword v69, off, s[24:27], 0 offset:128 ; 4-byte Folded Reload
	buffer_load_dword v70, off, s[24:27], 0 offset:132 ; 4-byte Folded Reload
	buffer_load_dword v71, off, s[24:27], 0 offset:136 ; 4-byte Folded Reload
	buffer_load_dword v72, off, s[24:27], 0 offset:140 ; 4-byte Folded Reload
	s_waitcnt vmcnt(0)
	ds_write2_b64 v0, v[69:70], v[71:72] offset0:40 offset1:41
	buffer_load_dword v69, off, s[24:27], 0 offset:112 ; 4-byte Folded Reload
	buffer_load_dword v70, off, s[24:27], 0 offset:116 ; 4-byte Folded Reload
	buffer_load_dword v71, off, s[24:27], 0 offset:120 ; 4-byte Folded Reload
	buffer_load_dword v72, off, s[24:27], 0 offset:124 ; 4-byte Folded Reload
	s_waitcnt vmcnt(0)
	ds_write2_b64 v0, v[69:70], v[71:72] offset0:42 offset1:43
	buffer_load_dword v69, off, s[24:27], 0 offset:96 ; 4-byte Folded Reload
	buffer_load_dword v70, off, s[24:27], 0 offset:100 ; 4-byte Folded Reload
	buffer_load_dword v71, off, s[24:27], 0 offset:104 ; 4-byte Folded Reload
	buffer_load_dword v72, off, s[24:27], 0 offset:108 ; 4-byte Folded Reload
	s_waitcnt vmcnt(0)
	ds_write2_b64 v0, v[69:70], v[71:72] offset0:44 offset1:45
	buffer_load_dword v69, off, s[24:27], 0 offset:80 ; 4-byte Folded Reload
	buffer_load_dword v70, off, s[24:27], 0 offset:84 ; 4-byte Folded Reload
	buffer_load_dword v71, off, s[24:27], 0 offset:88 ; 4-byte Folded Reload
	buffer_load_dword v72, off, s[24:27], 0 offset:92 ; 4-byte Folded Reload
	s_waitcnt vmcnt(0)
	ds_write2_b64 v0, v[69:70], v[71:72] offset0:46 offset1:47
	buffer_load_dword v69, off, s[24:27], 0 offset:64 ; 4-byte Folded Reload
	buffer_load_dword v70, off, s[24:27], 0 offset:68 ; 4-byte Folded Reload
	buffer_load_dword v71, off, s[24:27], 0 offset:72 ; 4-byte Folded Reload
	buffer_load_dword v72, off, s[24:27], 0 offset:76 ; 4-byte Folded Reload
	s_waitcnt vmcnt(0)
	ds_write2_b64 v0, v[69:70], v[71:72] offset0:48 offset1:49
	buffer_load_dword v69, off, s[24:27], 0 offset:48 ; 4-byte Folded Reload
	buffer_load_dword v70, off, s[24:27], 0 offset:52 ; 4-byte Folded Reload
	buffer_load_dword v71, off, s[24:27], 0 offset:56 ; 4-byte Folded Reload
	buffer_load_dword v72, off, s[24:27], 0 offset:60 ; 4-byte Folded Reload
	s_waitcnt vmcnt(0)
	ds_write2_b64 v0, v[69:70], v[71:72] offset0:50 offset1:51
	buffer_load_dword v69, off, s[24:27], 0 offset:32 ; 4-byte Folded Reload
	buffer_load_dword v70, off, s[24:27], 0 offset:36 ; 4-byte Folded Reload
	buffer_load_dword v71, off, s[24:27], 0 offset:40 ; 4-byte Folded Reload
	buffer_load_dword v72, off, s[24:27], 0 offset:44 ; 4-byte Folded Reload
	s_waitcnt vmcnt(0)
	ds_write2_b64 v0, v[69:70], v[71:72] offset0:52 offset1:53
	buffer_load_dword v69, off, s[24:27], 0 offset:16 ; 4-byte Folded Reload
	buffer_load_dword v70, off, s[24:27], 0 offset:20 ; 4-byte Folded Reload
	buffer_load_dword v71, off, s[24:27], 0 offset:24 ; 4-byte Folded Reload
	buffer_load_dword v72, off, s[24:27], 0 offset:28 ; 4-byte Folded Reload
	s_waitcnt vmcnt(0)
	ds_write2_b64 v0, v[69:70], v[71:72] offset0:54 offset1:55
	ds_write2_b64 v0, v[81:82], v[83:84] offset0:56 offset1:57
	;; [unrolled: 1-line block ×7, first 2 shown]
	buffer_load_dword v69, off, s[24:27], 0 ; 4-byte Folded Reload
	buffer_load_dword v70, off, s[24:27], 0 offset:4 ; 4-byte Folded Reload
	buffer_load_dword v71, off, s[24:27], 0 offset:8 ; 4-byte Folded Reload
	;; [unrolled: 1-line block ×3, first 2 shown]
	s_waitcnt vmcnt(0)
	ds_write2_b64 v0, v[69:70], v[71:72] offset0:68 offset1:69
	ds_write2_b64 v0, v[65:66], v[67:68] offset0:70 offset1:71
	;; [unrolled: 1-line block ×19, first 2 shown]
.LBB104_60:
	s_or_b64 exec, exec, s[0:1]
	v_cmp_lt_i32_e32 vcc, 2, v93
	s_waitcnt vmcnt(0) lgkmcnt(0)
	s_barrier
	s_and_saveexec_b64 s[0:1], vcc
	s_cbranch_execz .LBB104_62
; %bb.61:
	buffer_load_dword v98, off, s[24:27], 0 offset:428 ; 4-byte Folded Reload
	buffer_load_dword v99, off, s[24:27], 0 offset:432 ; 4-byte Folded Reload
	;; [unrolled: 1-line block ×4, first 2 shown]
	s_waitcnt vmcnt(0)
	v_mul_f64 v[89:90], v[119:120], v[100:101]
	v_fma_f64 v[125:126], v[117:118], v[98:99], -v[89:90]
	v_mul_f64 v[89:90], v[117:118], v[100:101]
	v_fma_f64 v[100:101], v[119:120], v[98:99], v[89:90]
	ds_read2_b64 v[89:92], v0 offset0:6 offset1:7
	buffer_load_dword v69, off, s[24:27], 0 offset:404 ; 4-byte Folded Reload
	buffer_load_dword v70, off, s[24:27], 0 offset:408 ; 4-byte Folded Reload
	buffer_load_dword v71, off, s[24:27], 0 offset:412 ; 4-byte Folded Reload
	buffer_load_dword v72, off, s[24:27], 0 offset:416 ; 4-byte Folded Reload
	s_waitcnt lgkmcnt(0)
	v_mul_f64 v[96:97], v[91:92], v[100:101]
	v_fma_f64 v[96:97], v[89:90], v[125:126], -v[96:97]
	v_mul_f64 v[89:90], v[89:90], v[100:101]
	v_fma_f64 v[89:90], v[91:92], v[125:126], v[89:90]
	s_waitcnt vmcnt(2)
	v_add_f64 v[69:70], v[69:70], -v[96:97]
	s_waitcnt vmcnt(0)
	v_add_f64 v[71:72], v[71:72], -v[89:90]
	buffer_store_dword v69, off, s[24:27], 0 offset:404 ; 4-byte Folded Spill
	s_nop 0
	buffer_store_dword v70, off, s[24:27], 0 offset:408 ; 4-byte Folded Spill
	buffer_store_dword v71, off, s[24:27], 0 offset:412 ; 4-byte Folded Spill
	buffer_store_dword v72, off, s[24:27], 0 offset:416 ; 4-byte Folded Spill
	ds_read2_b64 v[89:92], v0 offset0:8 offset1:9
	buffer_load_dword v69, off, s[24:27], 0 offset:388 ; 4-byte Folded Reload
	buffer_load_dword v70, off, s[24:27], 0 offset:392 ; 4-byte Folded Reload
	buffer_load_dword v71, off, s[24:27], 0 offset:396 ; 4-byte Folded Reload
	buffer_load_dword v72, off, s[24:27], 0 offset:400 ; 4-byte Folded Reload
	s_waitcnt lgkmcnt(0)
	v_mul_f64 v[96:97], v[91:92], v[100:101]
	v_fma_f64 v[96:97], v[89:90], v[125:126], -v[96:97]
	v_mul_f64 v[89:90], v[89:90], v[100:101]
	v_fma_f64 v[89:90], v[91:92], v[125:126], v[89:90]
	s_waitcnt vmcnt(2)
	v_add_f64 v[69:70], v[69:70], -v[96:97]
	s_waitcnt vmcnt(0)
	v_add_f64 v[71:72], v[71:72], -v[89:90]
	buffer_store_dword v69, off, s[24:27], 0 offset:388 ; 4-byte Folded Spill
	s_nop 0
	buffer_store_dword v70, off, s[24:27], 0 offset:392 ; 4-byte Folded Spill
	buffer_store_dword v71, off, s[24:27], 0 offset:396 ; 4-byte Folded Spill
	buffer_store_dword v72, off, s[24:27], 0 offset:400 ; 4-byte Folded Spill
	;; [unrolled: 19-line block ×25, first 2 shown]
	ds_read2_b64 v[89:92], v0 offset0:56 offset1:57
	s_waitcnt lgkmcnt(0)
	v_mul_f64 v[96:97], v[91:92], v[100:101]
	v_fma_f64 v[96:97], v[89:90], v[125:126], -v[96:97]
	v_mul_f64 v[89:90], v[89:90], v[100:101]
	v_add_f64 v[81:82], v[81:82], -v[96:97]
	v_fma_f64 v[89:90], v[91:92], v[125:126], v[89:90]
	v_add_f64 v[83:84], v[83:84], -v[89:90]
	ds_read2_b64 v[89:92], v0 offset0:58 offset1:59
	s_waitcnt lgkmcnt(0)
	v_mul_f64 v[96:97], v[91:92], v[100:101]
	v_fma_f64 v[96:97], v[89:90], v[125:126], -v[96:97]
	v_mul_f64 v[89:90], v[89:90], v[100:101]
	v_add_f64 v[85:86], v[85:86], -v[96:97]
	v_fma_f64 v[89:90], v[91:92], v[125:126], v[89:90]
	v_add_f64 v[87:88], v[87:88], -v[89:90]
	ds_read2_b64 v[89:92], v0 offset0:60 offset1:61
	s_waitcnt lgkmcnt(0)
	v_mul_f64 v[96:97], v[91:92], v[100:101]
	v_fma_f64 v[96:97], v[89:90], v[125:126], -v[96:97]
	v_mul_f64 v[89:90], v[89:90], v[100:101]
	v_add_f64 v[109:110], v[109:110], -v[96:97]
	v_fma_f64 v[89:90], v[91:92], v[125:126], v[89:90]
	v_add_f64 v[111:112], v[111:112], -v[89:90]
	ds_read2_b64 v[89:92], v0 offset0:62 offset1:63
	s_waitcnt lgkmcnt(0)
	v_mul_f64 v[96:97], v[91:92], v[100:101]
	v_fma_f64 v[96:97], v[89:90], v[125:126], -v[96:97]
	v_mul_f64 v[89:90], v[89:90], v[100:101]
	v_add_f64 v[113:114], v[113:114], -v[96:97]
	v_fma_f64 v[89:90], v[91:92], v[125:126], v[89:90]
	v_add_f64 v[115:116], v[115:116], -v[89:90]
	ds_read2_b64 v[89:92], v0 offset0:64 offset1:65
	s_waitcnt lgkmcnt(0)
	v_mul_f64 v[96:97], v[91:92], v[100:101]
	v_fma_f64 v[96:97], v[89:90], v[125:126], -v[96:97]
	v_mul_f64 v[89:90], v[89:90], v[100:101]
	v_add_f64 v[77:78], v[77:78], -v[96:97]
	v_fma_f64 v[89:90], v[91:92], v[125:126], v[89:90]
	v_add_f64 v[79:80], v[79:80], -v[89:90]
	ds_read2_b64 v[89:92], v0 offset0:66 offset1:67
	s_waitcnt lgkmcnt(0)
	v_mul_f64 v[96:97], v[91:92], v[100:101]
	v_fma_f64 v[96:97], v[89:90], v[125:126], -v[96:97]
	v_mul_f64 v[89:90], v[89:90], v[100:101]
	v_add_f64 v[73:74], v[73:74], -v[96:97]
	v_fma_f64 v[89:90], v[91:92], v[125:126], v[89:90]
	v_add_f64 v[75:76], v[75:76], -v[89:90]
	ds_read2_b64 v[89:92], v0 offset0:68 offset1:69
	buffer_load_dword v69, off, s[24:27], 0 ; 4-byte Folded Reload
	buffer_load_dword v70, off, s[24:27], 0 offset:4 ; 4-byte Folded Reload
	buffer_load_dword v71, off, s[24:27], 0 offset:8 ; 4-byte Folded Reload
	;; [unrolled: 1-line block ×3, first 2 shown]
	s_waitcnt lgkmcnt(0)
	v_mul_f64 v[96:97], v[91:92], v[100:101]
	v_fma_f64 v[96:97], v[89:90], v[125:126], -v[96:97]
	v_mul_f64 v[89:90], v[89:90], v[100:101]
	v_fma_f64 v[89:90], v[91:92], v[125:126], v[89:90]
	s_waitcnt vmcnt(2)
	v_add_f64 v[69:70], v[69:70], -v[96:97]
	s_waitcnt vmcnt(0)
	v_add_f64 v[71:72], v[71:72], -v[89:90]
	buffer_store_dword v69, off, s[24:27], 0 ; 4-byte Folded Spill
	s_nop 0
	buffer_store_dword v70, off, s[24:27], 0 offset:4 ; 4-byte Folded Spill
	buffer_store_dword v71, off, s[24:27], 0 offset:8 ; 4-byte Folded Spill
	;; [unrolled: 1-line block ×3, first 2 shown]
	ds_read2_b64 v[89:92], v0 offset0:70 offset1:71
	s_waitcnt lgkmcnt(0)
	v_mul_f64 v[96:97], v[91:92], v[100:101]
	v_fma_f64 v[96:97], v[89:90], v[125:126], -v[96:97]
	v_mul_f64 v[89:90], v[89:90], v[100:101]
	v_add_f64 v[65:66], v[65:66], -v[96:97]
	v_fma_f64 v[89:90], v[91:92], v[125:126], v[89:90]
	v_add_f64 v[67:68], v[67:68], -v[89:90]
	ds_read2_b64 v[89:92], v0 offset0:72 offset1:73
	s_waitcnt lgkmcnt(0)
	v_mul_f64 v[96:97], v[91:92], v[100:101]
	v_fma_f64 v[96:97], v[89:90], v[125:126], -v[96:97]
	v_mul_f64 v[89:90], v[89:90], v[100:101]
	v_add_f64 v[61:62], v[61:62], -v[96:97]
	v_fma_f64 v[89:90], v[91:92], v[125:126], v[89:90]
	v_add_f64 v[63:64], v[63:64], -v[89:90]
	;; [unrolled: 8-line block ×16, first 2 shown]
	ds_read2_b64 v[89:92], v0 offset0:102 offset1:103
	s_waitcnt lgkmcnt(0)
	v_mul_f64 v[96:97], v[91:92], v[100:101]
	v_fma_f64 v[96:97], v[89:90], v[125:126], -v[96:97]
	v_mul_f64 v[89:90], v[89:90], v[100:101]
	v_add_f64 v[1:2], v[1:2], -v[96:97]
	v_fma_f64 v[89:90], v[91:92], v[125:126], v[89:90]
	ds_read2_b64 v[96:99], v0 offset0:104 offset1:105
	s_waitcnt lgkmcnt(0)
	v_mul_f64 v[91:92], v[96:97], v[100:101]
	v_add_f64 v[3:4], v[3:4], -v[89:90]
	v_mul_f64 v[89:90], v[98:99], v[100:101]
	v_fma_f64 v[91:92], v[98:99], v[125:126], v[91:92]
	v_mov_b32_e32 v98, v125
	v_mov_b32_e32 v99, v126
	v_fma_f64 v[89:90], v[96:97], v[125:126], -v[89:90]
	buffer_store_dword v98, off, s[24:27], 0 offset:428 ; 4-byte Folded Spill
	s_nop 0
	buffer_store_dword v99, off, s[24:27], 0 offset:432 ; 4-byte Folded Spill
	buffer_store_dword v100, off, s[24:27], 0 offset:436 ; 4-byte Folded Spill
	;; [unrolled: 1-line block ×3, first 2 shown]
	v_add_f64 v[123:124], v[123:124], -v[91:92]
	v_add_f64 v[121:122], v[121:122], -v[89:90]
.LBB104_62:
	s_or_b64 exec, exec, s[0:1]
	s_waitcnt vmcnt(0)
	s_barrier
	buffer_load_dword v69, off, s[24:27], 0 offset:404 ; 4-byte Folded Reload
	buffer_load_dword v70, off, s[24:27], 0 offset:408 ; 4-byte Folded Reload
	;; [unrolled: 1-line block ×4, first 2 shown]
	v_lshl_add_u32 v89, v93, 4, v0
	s_mov_b32 s0, 4
	s_cmp_lt_i32 s3, 5
	s_waitcnt vmcnt(0)
	ds_write2_b64 v89, v[69:70], v[71:72] offset1:1
	s_waitcnt lgkmcnt(0)
	s_barrier
	ds_read2_b64 v[117:120], v0 offset0:6 offset1:7
	v_mov_b32_e32 v89, 3
	s_cbranch_scc1 .LBB104_65
; %bb.63:
	v_add3_u32 v90, v95, 0, 64
	v_mov_b32_e32 v89, 3
.LBB104_64:                             ; =>This Inner Loop Header: Depth=1
	s_waitcnt lgkmcnt(0)
	v_cmp_gt_f64_e32 vcc, 0, v[117:118]
	v_xor_b32_e32 v91, 0x80000000, v118
	ds_read2_b64 v[95:98], v90 offset1:1
	v_xor_b32_e32 v99, 0x80000000, v120
	v_add_u32_e32 v90, 16, v90
	s_waitcnt lgkmcnt(0)
	v_xor_b32_e32 v101, 0x80000000, v98
	v_cndmask_b32_e32 v92, v118, v91, vcc
	v_cmp_gt_f64_e32 vcc, 0, v[119:120]
	v_mov_b32_e32 v91, v117
	v_cndmask_b32_e32 v100, v120, v99, vcc
	v_cmp_gt_f64_e32 vcc, 0, v[95:96]
	v_mov_b32_e32 v99, v119
	v_add_f64 v[91:92], v[91:92], v[99:100]
	v_xor_b32_e32 v99, 0x80000000, v96
	v_cndmask_b32_e32 v100, v96, v99, vcc
	v_cmp_gt_f64_e32 vcc, 0, v[97:98]
	v_mov_b32_e32 v99, v95
	v_cndmask_b32_e32 v102, v98, v101, vcc
	v_mov_b32_e32 v101, v97
	v_add_f64 v[99:100], v[99:100], v[101:102]
	v_cmp_lt_f64_e32 vcc, v[91:92], v[99:100]
	v_mov_b32_e32 v91, s0
	s_add_i32 s0, s0, 1
	s_cmp_lg_u32 s3, s0
	v_cndmask_b32_e32 v118, v118, v96, vcc
	v_cndmask_b32_e32 v117, v117, v95, vcc
	;; [unrolled: 1-line block ×5, first 2 shown]
	s_cbranch_scc1 .LBB104_64
.LBB104_65:
	s_waitcnt lgkmcnt(0)
	v_cmp_eq_f64_e32 vcc, 0, v[117:118]
	v_cmp_eq_f64_e64 s[0:1], 0, v[119:120]
	s_and_b64 s[0:1], vcc, s[0:1]
	s_and_saveexec_b64 s[18:19], s[0:1]
	s_xor_b64 s[0:1], exec, s[18:19]
; %bb.66:
	v_cmp_ne_u32_e32 vcc, 0, v94
	v_cndmask_b32_e32 v94, 4, v94, vcc
; %bb.67:
	s_andn2_saveexec_b64 s[0:1], s[0:1]
	s_cbranch_execz .LBB104_73
; %bb.68:
	v_cmp_ngt_f64_e64 s[18:19], |v[117:118]|, |v[119:120]|
	s_and_saveexec_b64 s[20:21], s[18:19]
	s_xor_b64 s[18:19], exec, s[20:21]
	s_cbranch_execz .LBB104_70
; %bb.69:
	v_div_scale_f64 v[90:91], s[20:21], v[119:120], v[119:120], v[117:118]
	v_rcp_f64_e32 v[95:96], v[90:91]
	v_fma_f64 v[97:98], -v[90:91], v[95:96], 1.0
	v_fma_f64 v[95:96], v[95:96], v[97:98], v[95:96]
	v_div_scale_f64 v[97:98], vcc, v[117:118], v[119:120], v[117:118]
	v_fma_f64 v[99:100], -v[90:91], v[95:96], 1.0
	v_fma_f64 v[95:96], v[95:96], v[99:100], v[95:96]
	v_mul_f64 v[99:100], v[97:98], v[95:96]
	v_fma_f64 v[90:91], -v[90:91], v[99:100], v[97:98]
	v_div_fmas_f64 v[90:91], v[90:91], v[95:96], v[99:100]
	v_div_fixup_f64 v[90:91], v[90:91], v[119:120], v[117:118]
	v_fma_f64 v[95:96], v[117:118], v[90:91], v[119:120]
	v_div_scale_f64 v[97:98], s[20:21], v[95:96], v[95:96], 1.0
	v_div_scale_f64 v[103:104], vcc, 1.0, v[95:96], 1.0
	v_rcp_f64_e32 v[99:100], v[97:98]
	v_fma_f64 v[101:102], -v[97:98], v[99:100], 1.0
	v_fma_f64 v[99:100], v[99:100], v[101:102], v[99:100]
	v_fma_f64 v[101:102], -v[97:98], v[99:100], 1.0
	v_fma_f64 v[99:100], v[99:100], v[101:102], v[99:100]
	v_mul_f64 v[101:102], v[103:104], v[99:100]
	v_fma_f64 v[97:98], -v[97:98], v[101:102], v[103:104]
	v_div_fmas_f64 v[97:98], v[97:98], v[99:100], v[101:102]
	v_div_fixup_f64 v[119:120], v[97:98], v[95:96], 1.0
	v_mul_f64 v[117:118], v[90:91], v[119:120]
	v_xor_b32_e32 v120, 0x80000000, v120
.LBB104_70:
	s_andn2_saveexec_b64 s[18:19], s[18:19]
	s_cbranch_execz .LBB104_72
; %bb.71:
	v_div_scale_f64 v[90:91], s[20:21], v[117:118], v[117:118], v[119:120]
	v_rcp_f64_e32 v[95:96], v[90:91]
	v_fma_f64 v[97:98], -v[90:91], v[95:96], 1.0
	v_fma_f64 v[95:96], v[95:96], v[97:98], v[95:96]
	v_div_scale_f64 v[97:98], vcc, v[119:120], v[117:118], v[119:120]
	v_fma_f64 v[99:100], -v[90:91], v[95:96], 1.0
	v_fma_f64 v[95:96], v[95:96], v[99:100], v[95:96]
	v_mul_f64 v[99:100], v[97:98], v[95:96]
	v_fma_f64 v[90:91], -v[90:91], v[99:100], v[97:98]
	v_div_fmas_f64 v[90:91], v[90:91], v[95:96], v[99:100]
	v_div_fixup_f64 v[90:91], v[90:91], v[117:118], v[119:120]
	v_fma_f64 v[95:96], v[119:120], v[90:91], v[117:118]
	v_div_scale_f64 v[97:98], s[20:21], v[95:96], v[95:96], 1.0
	v_div_scale_f64 v[103:104], vcc, 1.0, v[95:96], 1.0
	v_rcp_f64_e32 v[99:100], v[97:98]
	v_fma_f64 v[101:102], -v[97:98], v[99:100], 1.0
	v_fma_f64 v[99:100], v[99:100], v[101:102], v[99:100]
	v_fma_f64 v[101:102], -v[97:98], v[99:100], 1.0
	v_fma_f64 v[99:100], v[99:100], v[101:102], v[99:100]
	v_mul_f64 v[101:102], v[103:104], v[99:100]
	v_fma_f64 v[97:98], -v[97:98], v[101:102], v[103:104]
	v_div_fmas_f64 v[97:98], v[97:98], v[99:100], v[101:102]
	v_div_fixup_f64 v[117:118], v[97:98], v[95:96], 1.0
	v_mul_f64 v[119:120], v[90:91], -v[117:118]
.LBB104_72:
	s_or_b64 exec, exec, s[18:19]
.LBB104_73:
	s_or_b64 exec, exec, s[0:1]
	v_cmp_ne_u32_e32 vcc, v93, v89
	s_and_saveexec_b64 s[0:1], vcc
	s_xor_b64 s[0:1], exec, s[0:1]
	s_cbranch_execz .LBB104_79
; %bb.74:
	v_cmp_eq_u32_e32 vcc, 3, v93
	s_and_saveexec_b64 s[18:19], vcc
	s_cbranch_execz .LBB104_78
; %bb.75:
	v_cmp_ne_u32_e32 vcc, 3, v89
	s_xor_b64 s[20:21], s[6:7], -1
	s_and_b64 s[22:23], s[20:21], vcc
	s_and_saveexec_b64 s[20:21], s[22:23]
	s_cbranch_execz .LBB104_77
; %bb.76:
	v_mov_b32_e32 v69, v81
	v_mov_b32_e32 v70, v82
	;; [unrolled: 1-line block ×4, first 2 shown]
	buffer_load_dword v81, off, s[24:27], 0 offset:420 ; 4-byte Folded Reload
	buffer_load_dword v82, off, s[24:27], 0 offset:424 ; 4-byte Folded Reload
	v_ashrrev_i32_e32 v90, 31, v89
	v_lshlrev_b64 v[90:91], 2, v[89:90]
	s_waitcnt vmcnt(1)
	v_add_co_u32_e32 v90, vcc, v81, v90
	s_waitcnt vmcnt(0)
	v_addc_co_u32_e32 v91, vcc, v82, v91, vcc
	global_load_dword v92, v[90:91], off
	global_load_dword v93, v[81:82], off offset:12
	s_waitcnt vmcnt(1)
	global_store_dword v[81:82], v92, off offset:12
	v_mov_b32_e32 v84, v72
	v_mov_b32_e32 v83, v71
	;; [unrolled: 1-line block ×4, first 2 shown]
	s_waitcnt vmcnt(1)
	global_store_dword v[90:91], v93, off
.LBB104_77:
	s_or_b64 exec, exec, s[20:21]
	v_mov_b32_e32 v93, v89
	v_mov_b32_e32 v69, v89
	buffer_store_dword v69, off, s[24:27], 0 offset:352 ; 4-byte Folded Spill
.LBB104_78:
	s_or_b64 exec, exec, s[18:19]
.LBB104_79:
	s_andn2_saveexec_b64 s[0:1], s[0:1]
	s_cbranch_execz .LBB104_81
; %bb.80:
	buffer_load_dword v69, off, s[24:27], 0 offset:388 ; 4-byte Folded Reload
	buffer_load_dword v70, off, s[24:27], 0 offset:392 ; 4-byte Folded Reload
	buffer_load_dword v71, off, s[24:27], 0 offset:396 ; 4-byte Folded Reload
	buffer_load_dword v72, off, s[24:27], 0 offset:400 ; 4-byte Folded Reload
	v_mov_b32_e32 v93, 3
	s_waitcnt vmcnt(0)
	ds_write2_b64 v0, v[69:70], v[71:72] offset0:8 offset1:9
	buffer_load_dword v69, off, s[24:27], 0 offset:372 ; 4-byte Folded Reload
	buffer_load_dword v70, off, s[24:27], 0 offset:376 ; 4-byte Folded Reload
	buffer_load_dword v71, off, s[24:27], 0 offset:380 ; 4-byte Folded Reload
	buffer_load_dword v72, off, s[24:27], 0 offset:384 ; 4-byte Folded Reload
	s_waitcnt vmcnt(0)
	ds_write2_b64 v0, v[69:70], v[71:72] offset0:10 offset1:11
	buffer_load_dword v69, off, s[24:27], 0 offset:356 ; 4-byte Folded Reload
	buffer_load_dword v70, off, s[24:27], 0 offset:360 ; 4-byte Folded Reload
	buffer_load_dword v71, off, s[24:27], 0 offset:364 ; 4-byte Folded Reload
	buffer_load_dword v72, off, s[24:27], 0 offset:368 ; 4-byte Folded Reload
	;; [unrolled: 6-line block ×23, first 2 shown]
	s_waitcnt vmcnt(0)
	ds_write2_b64 v0, v[69:70], v[71:72] offset0:54 offset1:55
	ds_write2_b64 v0, v[81:82], v[83:84] offset0:56 offset1:57
	ds_write2_b64 v0, v[85:86], v[87:88] offset0:58 offset1:59
	ds_write2_b64 v0, v[109:110], v[111:112] offset0:60 offset1:61
	ds_write2_b64 v0, v[113:114], v[115:116] offset0:62 offset1:63
	ds_write2_b64 v0, v[77:78], v[79:80] offset0:64 offset1:65
	ds_write2_b64 v0, v[73:74], v[75:76] offset0:66 offset1:67
	buffer_load_dword v69, off, s[24:27], 0 ; 4-byte Folded Reload
	buffer_load_dword v70, off, s[24:27], 0 offset:4 ; 4-byte Folded Reload
	buffer_load_dword v71, off, s[24:27], 0 offset:8 ; 4-byte Folded Reload
	;; [unrolled: 1-line block ×3, first 2 shown]
	s_waitcnt vmcnt(0)
	ds_write2_b64 v0, v[69:70], v[71:72] offset0:68 offset1:69
	ds_write2_b64 v0, v[65:66], v[67:68] offset0:70 offset1:71
	;; [unrolled: 1-line block ×19, first 2 shown]
.LBB104_81:
	s_or_b64 exec, exec, s[0:1]
	v_cmp_lt_i32_e32 vcc, 3, v93
	s_waitcnt vmcnt(0) lgkmcnt(0)
	s_barrier
	s_and_saveexec_b64 s[0:1], vcc
	s_cbranch_execz .LBB104_83
; %bb.82:
	buffer_load_dword v97, off, s[24:27], 0 offset:404 ; 4-byte Folded Reload
	buffer_load_dword v98, off, s[24:27], 0 offset:408 ; 4-byte Folded Reload
	;; [unrolled: 1-line block ×4, first 2 shown]
	s_waitcnt vmcnt(0)
	v_mul_f64 v[89:90], v[119:120], v[99:100]
	v_fma_f64 v[125:126], v[117:118], v[97:98], -v[89:90]
	v_mul_f64 v[89:90], v[117:118], v[99:100]
	v_fma_f64 v[99:100], v[119:120], v[97:98], v[89:90]
	ds_read2_b64 v[89:92], v0 offset0:8 offset1:9
	buffer_load_dword v69, off, s[24:27], 0 offset:388 ; 4-byte Folded Reload
	buffer_load_dword v70, off, s[24:27], 0 offset:392 ; 4-byte Folded Reload
	buffer_load_dword v71, off, s[24:27], 0 offset:396 ; 4-byte Folded Reload
	buffer_load_dword v72, off, s[24:27], 0 offset:400 ; 4-byte Folded Reload
	s_waitcnt lgkmcnt(0)
	v_mul_f64 v[95:96], v[91:92], v[99:100]
	v_fma_f64 v[95:96], v[89:90], v[125:126], -v[95:96]
	v_mul_f64 v[89:90], v[89:90], v[99:100]
	v_fma_f64 v[89:90], v[91:92], v[125:126], v[89:90]
	s_waitcnt vmcnt(2)
	v_add_f64 v[69:70], v[69:70], -v[95:96]
	s_waitcnt vmcnt(0)
	v_add_f64 v[71:72], v[71:72], -v[89:90]
	buffer_store_dword v69, off, s[24:27], 0 offset:388 ; 4-byte Folded Spill
	s_nop 0
	buffer_store_dword v70, off, s[24:27], 0 offset:392 ; 4-byte Folded Spill
	buffer_store_dword v71, off, s[24:27], 0 offset:396 ; 4-byte Folded Spill
	buffer_store_dword v72, off, s[24:27], 0 offset:400 ; 4-byte Folded Spill
	ds_read2_b64 v[89:92], v0 offset0:10 offset1:11
	buffer_load_dword v69, off, s[24:27], 0 offset:372 ; 4-byte Folded Reload
	buffer_load_dword v70, off, s[24:27], 0 offset:376 ; 4-byte Folded Reload
	buffer_load_dword v71, off, s[24:27], 0 offset:380 ; 4-byte Folded Reload
	buffer_load_dword v72, off, s[24:27], 0 offset:384 ; 4-byte Folded Reload
	s_waitcnt lgkmcnt(0)
	v_mul_f64 v[95:96], v[91:92], v[99:100]
	v_fma_f64 v[95:96], v[89:90], v[125:126], -v[95:96]
	v_mul_f64 v[89:90], v[89:90], v[99:100]
	v_fma_f64 v[89:90], v[91:92], v[125:126], v[89:90]
	s_waitcnt vmcnt(2)
	v_add_f64 v[69:70], v[69:70], -v[95:96]
	s_waitcnt vmcnt(0)
	v_add_f64 v[71:72], v[71:72], -v[89:90]
	buffer_store_dword v69, off, s[24:27], 0 offset:372 ; 4-byte Folded Spill
	s_nop 0
	buffer_store_dword v70, off, s[24:27], 0 offset:376 ; 4-byte Folded Spill
	buffer_store_dword v71, off, s[24:27], 0 offset:380 ; 4-byte Folded Spill
	buffer_store_dword v72, off, s[24:27], 0 offset:384 ; 4-byte Folded Spill
	;; [unrolled: 19-line block ×24, first 2 shown]
	ds_read2_b64 v[89:92], v0 offset0:56 offset1:57
	s_waitcnt lgkmcnt(0)
	v_mul_f64 v[95:96], v[91:92], v[99:100]
	v_fma_f64 v[95:96], v[89:90], v[125:126], -v[95:96]
	v_mul_f64 v[89:90], v[89:90], v[99:100]
	v_add_f64 v[81:82], v[81:82], -v[95:96]
	v_fma_f64 v[89:90], v[91:92], v[125:126], v[89:90]
	v_add_f64 v[83:84], v[83:84], -v[89:90]
	ds_read2_b64 v[89:92], v0 offset0:58 offset1:59
	s_waitcnt lgkmcnt(0)
	v_mul_f64 v[95:96], v[91:92], v[99:100]
	v_fma_f64 v[95:96], v[89:90], v[125:126], -v[95:96]
	v_mul_f64 v[89:90], v[89:90], v[99:100]
	v_add_f64 v[85:86], v[85:86], -v[95:96]
	v_fma_f64 v[89:90], v[91:92], v[125:126], v[89:90]
	v_add_f64 v[87:88], v[87:88], -v[89:90]
	;; [unrolled: 8-line block ×6, first 2 shown]
	ds_read2_b64 v[89:92], v0 offset0:68 offset1:69
	buffer_load_dword v69, off, s[24:27], 0 ; 4-byte Folded Reload
	buffer_load_dword v70, off, s[24:27], 0 offset:4 ; 4-byte Folded Reload
	buffer_load_dword v71, off, s[24:27], 0 offset:8 ; 4-byte Folded Reload
	;; [unrolled: 1-line block ×3, first 2 shown]
	s_waitcnt lgkmcnt(0)
	v_mul_f64 v[95:96], v[91:92], v[99:100]
	v_fma_f64 v[95:96], v[89:90], v[125:126], -v[95:96]
	v_mul_f64 v[89:90], v[89:90], v[99:100]
	v_fma_f64 v[89:90], v[91:92], v[125:126], v[89:90]
	s_waitcnt vmcnt(2)
	v_add_f64 v[69:70], v[69:70], -v[95:96]
	s_waitcnt vmcnt(0)
	v_add_f64 v[71:72], v[71:72], -v[89:90]
	buffer_store_dword v69, off, s[24:27], 0 ; 4-byte Folded Spill
	s_nop 0
	buffer_store_dword v70, off, s[24:27], 0 offset:4 ; 4-byte Folded Spill
	buffer_store_dword v71, off, s[24:27], 0 offset:8 ; 4-byte Folded Spill
	;; [unrolled: 1-line block ×3, first 2 shown]
	ds_read2_b64 v[89:92], v0 offset0:70 offset1:71
	s_waitcnt lgkmcnt(0)
	v_mul_f64 v[95:96], v[91:92], v[99:100]
	v_fma_f64 v[95:96], v[89:90], v[125:126], -v[95:96]
	v_mul_f64 v[89:90], v[89:90], v[99:100]
	v_add_f64 v[65:66], v[65:66], -v[95:96]
	v_fma_f64 v[89:90], v[91:92], v[125:126], v[89:90]
	v_add_f64 v[67:68], v[67:68], -v[89:90]
	ds_read2_b64 v[89:92], v0 offset0:72 offset1:73
	s_waitcnt lgkmcnt(0)
	v_mul_f64 v[95:96], v[91:92], v[99:100]
	v_fma_f64 v[95:96], v[89:90], v[125:126], -v[95:96]
	v_mul_f64 v[89:90], v[89:90], v[99:100]
	v_add_f64 v[61:62], v[61:62], -v[95:96]
	v_fma_f64 v[89:90], v[91:92], v[125:126], v[89:90]
	v_add_f64 v[63:64], v[63:64], -v[89:90]
	;; [unrolled: 8-line block ×16, first 2 shown]
	ds_read2_b64 v[89:92], v0 offset0:102 offset1:103
	s_waitcnt lgkmcnt(0)
	v_mul_f64 v[95:96], v[91:92], v[99:100]
	v_fma_f64 v[95:96], v[89:90], v[125:126], -v[95:96]
	v_mul_f64 v[89:90], v[89:90], v[99:100]
	v_add_f64 v[1:2], v[1:2], -v[95:96]
	v_fma_f64 v[89:90], v[91:92], v[125:126], v[89:90]
	ds_read2_b64 v[95:98], v0 offset0:104 offset1:105
	s_waitcnt lgkmcnt(0)
	v_mul_f64 v[91:92], v[95:96], v[99:100]
	v_add_f64 v[3:4], v[3:4], -v[89:90]
	v_mul_f64 v[89:90], v[97:98], v[99:100]
	v_fma_f64 v[91:92], v[97:98], v[125:126], v[91:92]
	v_mov_b32_e32 v97, v125
	v_mov_b32_e32 v98, v126
	v_fma_f64 v[89:90], v[95:96], v[125:126], -v[89:90]
	buffer_store_dword v97, off, s[24:27], 0 offset:404 ; 4-byte Folded Spill
	s_nop 0
	buffer_store_dword v98, off, s[24:27], 0 offset:408 ; 4-byte Folded Spill
	buffer_store_dword v99, off, s[24:27], 0 offset:412 ; 4-byte Folded Spill
	;; [unrolled: 1-line block ×3, first 2 shown]
	v_add_f64 v[123:124], v[123:124], -v[91:92]
	v_add_f64 v[121:122], v[121:122], -v[89:90]
.LBB104_83:
	s_or_b64 exec, exec, s[0:1]
	s_waitcnt vmcnt(0)
	s_barrier
	buffer_load_dword v69, off, s[24:27], 0 offset:388 ; 4-byte Folded Reload
	buffer_load_dword v70, off, s[24:27], 0 offset:392 ; 4-byte Folded Reload
	;; [unrolled: 1-line block ×4, first 2 shown]
	v_lshl_add_u32 v89, v93, 4, v0
	s_cmp_lt_i32 s3, 6
	s_waitcnt vmcnt(0)
	ds_write2_b64 v89, v[69:70], v[71:72] offset1:1
	s_waitcnt lgkmcnt(0)
	s_barrier
	ds_read2_b64 v[117:120], v0 offset0:8 offset1:9
	v_mov_b32_e32 v89, 4
	s_cbranch_scc1 .LBB104_86
; %bb.84:
	v_mov_b32_e32 v89, 4
	v_add_u32_e32 v90, 0x50, v0
	s_mov_b32 s0, 5
.LBB104_85:                             ; =>This Inner Loop Header: Depth=1
	s_waitcnt lgkmcnt(0)
	v_cmp_gt_f64_e32 vcc, 0, v[117:118]
	v_xor_b32_e32 v91, 0x80000000, v118
	ds_read2_b64 v[95:98], v90 offset1:1
	v_xor_b32_e32 v99, 0x80000000, v120
	v_add_u32_e32 v90, 16, v90
	s_waitcnt lgkmcnt(0)
	v_xor_b32_e32 v101, 0x80000000, v98
	v_cndmask_b32_e32 v92, v118, v91, vcc
	v_cmp_gt_f64_e32 vcc, 0, v[119:120]
	v_mov_b32_e32 v91, v117
	v_cndmask_b32_e32 v100, v120, v99, vcc
	v_cmp_gt_f64_e32 vcc, 0, v[95:96]
	v_mov_b32_e32 v99, v119
	v_add_f64 v[91:92], v[91:92], v[99:100]
	v_xor_b32_e32 v99, 0x80000000, v96
	v_cndmask_b32_e32 v100, v96, v99, vcc
	v_cmp_gt_f64_e32 vcc, 0, v[97:98]
	v_mov_b32_e32 v99, v95
	v_cndmask_b32_e32 v102, v98, v101, vcc
	v_mov_b32_e32 v101, v97
	v_add_f64 v[99:100], v[99:100], v[101:102]
	v_cmp_lt_f64_e32 vcc, v[91:92], v[99:100]
	v_mov_b32_e32 v91, s0
	s_add_i32 s0, s0, 1
	s_cmp_lg_u32 s3, s0
	v_cndmask_b32_e32 v118, v118, v96, vcc
	v_cndmask_b32_e32 v117, v117, v95, vcc
	;; [unrolled: 1-line block ×5, first 2 shown]
	s_cbranch_scc1 .LBB104_85
.LBB104_86:
	s_waitcnt lgkmcnt(0)
	v_cmp_eq_f64_e32 vcc, 0, v[117:118]
	v_cmp_eq_f64_e64 s[0:1], 0, v[119:120]
	s_and_b64 s[0:1], vcc, s[0:1]
	s_and_saveexec_b64 s[18:19], s[0:1]
	s_xor_b64 s[0:1], exec, s[18:19]
; %bb.87:
	v_cmp_ne_u32_e32 vcc, 0, v94
	v_cndmask_b32_e32 v94, 5, v94, vcc
; %bb.88:
	s_andn2_saveexec_b64 s[0:1], s[0:1]
	s_cbranch_execz .LBB104_94
; %bb.89:
	v_cmp_ngt_f64_e64 s[18:19], |v[117:118]|, |v[119:120]|
	s_and_saveexec_b64 s[20:21], s[18:19]
	s_xor_b64 s[18:19], exec, s[20:21]
	s_cbranch_execz .LBB104_91
; %bb.90:
	v_div_scale_f64 v[90:91], s[20:21], v[119:120], v[119:120], v[117:118]
	v_rcp_f64_e32 v[95:96], v[90:91]
	v_fma_f64 v[97:98], -v[90:91], v[95:96], 1.0
	v_fma_f64 v[95:96], v[95:96], v[97:98], v[95:96]
	v_div_scale_f64 v[97:98], vcc, v[117:118], v[119:120], v[117:118]
	v_fma_f64 v[99:100], -v[90:91], v[95:96], 1.0
	v_fma_f64 v[95:96], v[95:96], v[99:100], v[95:96]
	v_mul_f64 v[99:100], v[97:98], v[95:96]
	v_fma_f64 v[90:91], -v[90:91], v[99:100], v[97:98]
	v_div_fmas_f64 v[90:91], v[90:91], v[95:96], v[99:100]
	v_div_fixup_f64 v[90:91], v[90:91], v[119:120], v[117:118]
	v_fma_f64 v[95:96], v[117:118], v[90:91], v[119:120]
	v_div_scale_f64 v[97:98], s[20:21], v[95:96], v[95:96], 1.0
	v_div_scale_f64 v[103:104], vcc, 1.0, v[95:96], 1.0
	v_rcp_f64_e32 v[99:100], v[97:98]
	v_fma_f64 v[101:102], -v[97:98], v[99:100], 1.0
	v_fma_f64 v[99:100], v[99:100], v[101:102], v[99:100]
	v_fma_f64 v[101:102], -v[97:98], v[99:100], 1.0
	v_fma_f64 v[99:100], v[99:100], v[101:102], v[99:100]
	v_mul_f64 v[101:102], v[103:104], v[99:100]
	v_fma_f64 v[97:98], -v[97:98], v[101:102], v[103:104]
	v_div_fmas_f64 v[97:98], v[97:98], v[99:100], v[101:102]
	v_div_fixup_f64 v[119:120], v[97:98], v[95:96], 1.0
	v_mul_f64 v[117:118], v[90:91], v[119:120]
	v_xor_b32_e32 v120, 0x80000000, v120
.LBB104_91:
	s_andn2_saveexec_b64 s[18:19], s[18:19]
	s_cbranch_execz .LBB104_93
; %bb.92:
	v_div_scale_f64 v[90:91], s[20:21], v[117:118], v[117:118], v[119:120]
	v_rcp_f64_e32 v[95:96], v[90:91]
	v_fma_f64 v[97:98], -v[90:91], v[95:96], 1.0
	v_fma_f64 v[95:96], v[95:96], v[97:98], v[95:96]
	v_div_scale_f64 v[97:98], vcc, v[119:120], v[117:118], v[119:120]
	v_fma_f64 v[99:100], -v[90:91], v[95:96], 1.0
	v_fma_f64 v[95:96], v[95:96], v[99:100], v[95:96]
	v_mul_f64 v[99:100], v[97:98], v[95:96]
	v_fma_f64 v[90:91], -v[90:91], v[99:100], v[97:98]
	v_div_fmas_f64 v[90:91], v[90:91], v[95:96], v[99:100]
	v_div_fixup_f64 v[90:91], v[90:91], v[117:118], v[119:120]
	v_fma_f64 v[95:96], v[119:120], v[90:91], v[117:118]
	v_div_scale_f64 v[97:98], s[20:21], v[95:96], v[95:96], 1.0
	v_div_scale_f64 v[103:104], vcc, 1.0, v[95:96], 1.0
	v_rcp_f64_e32 v[99:100], v[97:98]
	v_fma_f64 v[101:102], -v[97:98], v[99:100], 1.0
	v_fma_f64 v[99:100], v[99:100], v[101:102], v[99:100]
	v_fma_f64 v[101:102], -v[97:98], v[99:100], 1.0
	v_fma_f64 v[99:100], v[99:100], v[101:102], v[99:100]
	v_mul_f64 v[101:102], v[103:104], v[99:100]
	v_fma_f64 v[97:98], -v[97:98], v[101:102], v[103:104]
	v_div_fmas_f64 v[97:98], v[97:98], v[99:100], v[101:102]
	v_div_fixup_f64 v[117:118], v[97:98], v[95:96], 1.0
	v_mul_f64 v[119:120], v[90:91], -v[117:118]
.LBB104_93:
	s_or_b64 exec, exec, s[18:19]
.LBB104_94:
	s_or_b64 exec, exec, s[0:1]
	v_cmp_ne_u32_e32 vcc, v93, v89
	s_and_saveexec_b64 s[0:1], vcc
	s_xor_b64 s[0:1], exec, s[0:1]
	s_cbranch_execz .LBB104_100
; %bb.95:
	v_cmp_eq_u32_e32 vcc, 4, v93
	s_and_saveexec_b64 s[18:19], vcc
	s_cbranch_execz .LBB104_99
; %bb.96:
	v_cmp_ne_u32_e32 vcc, 4, v89
	s_xor_b64 s[20:21], s[6:7], -1
	s_and_b64 s[22:23], s[20:21], vcc
	s_and_saveexec_b64 s[20:21], s[22:23]
	s_cbranch_execz .LBB104_98
; %bb.97:
	v_mov_b32_e32 v69, v81
	v_mov_b32_e32 v70, v82
	;; [unrolled: 1-line block ×4, first 2 shown]
	buffer_load_dword v81, off, s[24:27], 0 offset:420 ; 4-byte Folded Reload
	buffer_load_dword v82, off, s[24:27], 0 offset:424 ; 4-byte Folded Reload
	v_ashrrev_i32_e32 v90, 31, v89
	v_lshlrev_b64 v[90:91], 2, v[89:90]
	s_waitcnt vmcnt(1)
	v_add_co_u32_e32 v90, vcc, v81, v90
	s_waitcnt vmcnt(0)
	v_addc_co_u32_e32 v91, vcc, v82, v91, vcc
	global_load_dword v92, v[90:91], off
	global_load_dword v93, v[81:82], off offset:16
	s_waitcnt vmcnt(1)
	global_store_dword v[81:82], v92, off offset:16
	v_mov_b32_e32 v84, v72
	v_mov_b32_e32 v83, v71
	;; [unrolled: 1-line block ×4, first 2 shown]
	s_waitcnt vmcnt(1)
	global_store_dword v[90:91], v93, off
.LBB104_98:
	s_or_b64 exec, exec, s[20:21]
	v_mov_b32_e32 v93, v89
	v_mov_b32_e32 v69, v89
	buffer_store_dword v69, off, s[24:27], 0 offset:352 ; 4-byte Folded Spill
.LBB104_99:
	s_or_b64 exec, exec, s[18:19]
.LBB104_100:
	s_andn2_saveexec_b64 s[0:1], s[0:1]
	s_cbranch_execz .LBB104_102
; %bb.101:
	buffer_load_dword v69, off, s[24:27], 0 offset:372 ; 4-byte Folded Reload
	buffer_load_dword v70, off, s[24:27], 0 offset:376 ; 4-byte Folded Reload
	;; [unrolled: 1-line block ×4, first 2 shown]
	v_mov_b32_e32 v93, 4
	s_waitcnt vmcnt(0)
	ds_write2_b64 v0, v[69:70], v[71:72] offset0:10 offset1:11
	buffer_load_dword v69, off, s[24:27], 0 offset:356 ; 4-byte Folded Reload
	buffer_load_dword v70, off, s[24:27], 0 offset:360 ; 4-byte Folded Reload
	buffer_load_dword v71, off, s[24:27], 0 offset:364 ; 4-byte Folded Reload
	buffer_load_dword v72, off, s[24:27], 0 offset:368 ; 4-byte Folded Reload
	s_waitcnt vmcnt(0)
	ds_write2_b64 v0, v[69:70], v[71:72] offset0:12 offset1:13
	buffer_load_dword v69, off, s[24:27], 0 offset:336 ; 4-byte Folded Reload
	buffer_load_dword v70, off, s[24:27], 0 offset:340 ; 4-byte Folded Reload
	buffer_load_dword v71, off, s[24:27], 0 offset:344 ; 4-byte Folded Reload
	buffer_load_dword v72, off, s[24:27], 0 offset:348 ; 4-byte Folded Reload
	;; [unrolled: 6-line block ×22, first 2 shown]
	s_waitcnt vmcnt(0)
	ds_write2_b64 v0, v[69:70], v[71:72] offset0:54 offset1:55
	ds_write2_b64 v0, v[81:82], v[83:84] offset0:56 offset1:57
	;; [unrolled: 1-line block ×7, first 2 shown]
	buffer_load_dword v69, off, s[24:27], 0 ; 4-byte Folded Reload
	buffer_load_dword v70, off, s[24:27], 0 offset:4 ; 4-byte Folded Reload
	buffer_load_dword v71, off, s[24:27], 0 offset:8 ; 4-byte Folded Reload
	;; [unrolled: 1-line block ×3, first 2 shown]
	s_waitcnt vmcnt(0)
	ds_write2_b64 v0, v[69:70], v[71:72] offset0:68 offset1:69
	ds_write2_b64 v0, v[65:66], v[67:68] offset0:70 offset1:71
	;; [unrolled: 1-line block ×19, first 2 shown]
.LBB104_102:
	s_or_b64 exec, exec, s[0:1]
	v_cmp_lt_i32_e32 vcc, 4, v93
	s_waitcnt vmcnt(0) lgkmcnt(0)
	s_barrier
	s_and_saveexec_b64 s[0:1], vcc
	s_cbranch_execz .LBB104_104
; %bb.103:
	buffer_load_dword v97, off, s[24:27], 0 offset:388 ; 4-byte Folded Reload
	buffer_load_dword v98, off, s[24:27], 0 offset:392 ; 4-byte Folded Reload
	;; [unrolled: 1-line block ×4, first 2 shown]
	s_waitcnt vmcnt(0)
	v_mul_f64 v[89:90], v[119:120], v[99:100]
	v_fma_f64 v[125:126], v[117:118], v[97:98], -v[89:90]
	v_mul_f64 v[89:90], v[117:118], v[99:100]
	v_fma_f64 v[99:100], v[119:120], v[97:98], v[89:90]
	ds_read2_b64 v[89:92], v0 offset0:10 offset1:11
	buffer_load_dword v69, off, s[24:27], 0 offset:372 ; 4-byte Folded Reload
	buffer_load_dword v70, off, s[24:27], 0 offset:376 ; 4-byte Folded Reload
	buffer_load_dword v71, off, s[24:27], 0 offset:380 ; 4-byte Folded Reload
	buffer_load_dword v72, off, s[24:27], 0 offset:384 ; 4-byte Folded Reload
	s_waitcnt lgkmcnt(0)
	v_mul_f64 v[95:96], v[91:92], v[99:100]
	v_fma_f64 v[95:96], v[89:90], v[125:126], -v[95:96]
	v_mul_f64 v[89:90], v[89:90], v[99:100]
	v_fma_f64 v[89:90], v[91:92], v[125:126], v[89:90]
	s_waitcnt vmcnt(2)
	v_add_f64 v[69:70], v[69:70], -v[95:96]
	s_waitcnt vmcnt(0)
	v_add_f64 v[71:72], v[71:72], -v[89:90]
	buffer_store_dword v69, off, s[24:27], 0 offset:372 ; 4-byte Folded Spill
	s_nop 0
	buffer_store_dword v70, off, s[24:27], 0 offset:376 ; 4-byte Folded Spill
	buffer_store_dword v71, off, s[24:27], 0 offset:380 ; 4-byte Folded Spill
	buffer_store_dword v72, off, s[24:27], 0 offset:384 ; 4-byte Folded Spill
	ds_read2_b64 v[89:92], v0 offset0:12 offset1:13
	buffer_load_dword v69, off, s[24:27], 0 offset:356 ; 4-byte Folded Reload
	buffer_load_dword v70, off, s[24:27], 0 offset:360 ; 4-byte Folded Reload
	buffer_load_dword v71, off, s[24:27], 0 offset:364 ; 4-byte Folded Reload
	buffer_load_dword v72, off, s[24:27], 0 offset:368 ; 4-byte Folded Reload
	s_waitcnt lgkmcnt(0)
	v_mul_f64 v[95:96], v[91:92], v[99:100]
	v_fma_f64 v[95:96], v[89:90], v[125:126], -v[95:96]
	v_mul_f64 v[89:90], v[89:90], v[99:100]
	v_fma_f64 v[89:90], v[91:92], v[125:126], v[89:90]
	s_waitcnt vmcnt(2)
	v_add_f64 v[69:70], v[69:70], -v[95:96]
	s_waitcnt vmcnt(0)
	v_add_f64 v[71:72], v[71:72], -v[89:90]
	buffer_store_dword v69, off, s[24:27], 0 offset:356 ; 4-byte Folded Spill
	s_nop 0
	buffer_store_dword v70, off, s[24:27], 0 offset:360 ; 4-byte Folded Spill
	buffer_store_dword v71, off, s[24:27], 0 offset:364 ; 4-byte Folded Spill
	buffer_store_dword v72, off, s[24:27], 0 offset:368 ; 4-byte Folded Spill
	;; [unrolled: 19-line block ×23, first 2 shown]
	ds_read2_b64 v[89:92], v0 offset0:56 offset1:57
	s_waitcnt lgkmcnt(0)
	v_mul_f64 v[95:96], v[91:92], v[99:100]
	v_fma_f64 v[95:96], v[89:90], v[125:126], -v[95:96]
	v_mul_f64 v[89:90], v[89:90], v[99:100]
	v_add_f64 v[81:82], v[81:82], -v[95:96]
	v_fma_f64 v[89:90], v[91:92], v[125:126], v[89:90]
	v_add_f64 v[83:84], v[83:84], -v[89:90]
	ds_read2_b64 v[89:92], v0 offset0:58 offset1:59
	s_waitcnt lgkmcnt(0)
	v_mul_f64 v[95:96], v[91:92], v[99:100]
	v_fma_f64 v[95:96], v[89:90], v[125:126], -v[95:96]
	v_mul_f64 v[89:90], v[89:90], v[99:100]
	v_add_f64 v[85:86], v[85:86], -v[95:96]
	v_fma_f64 v[89:90], v[91:92], v[125:126], v[89:90]
	v_add_f64 v[87:88], v[87:88], -v[89:90]
	;; [unrolled: 8-line block ×6, first 2 shown]
	ds_read2_b64 v[89:92], v0 offset0:68 offset1:69
	buffer_load_dword v69, off, s[24:27], 0 ; 4-byte Folded Reload
	buffer_load_dword v70, off, s[24:27], 0 offset:4 ; 4-byte Folded Reload
	buffer_load_dword v71, off, s[24:27], 0 offset:8 ; 4-byte Folded Reload
	;; [unrolled: 1-line block ×3, first 2 shown]
	s_waitcnt lgkmcnt(0)
	v_mul_f64 v[95:96], v[91:92], v[99:100]
	v_fma_f64 v[95:96], v[89:90], v[125:126], -v[95:96]
	v_mul_f64 v[89:90], v[89:90], v[99:100]
	v_fma_f64 v[89:90], v[91:92], v[125:126], v[89:90]
	s_waitcnt vmcnt(2)
	v_add_f64 v[69:70], v[69:70], -v[95:96]
	s_waitcnt vmcnt(0)
	v_add_f64 v[71:72], v[71:72], -v[89:90]
	buffer_store_dword v69, off, s[24:27], 0 ; 4-byte Folded Spill
	s_nop 0
	buffer_store_dword v70, off, s[24:27], 0 offset:4 ; 4-byte Folded Spill
	buffer_store_dword v71, off, s[24:27], 0 offset:8 ; 4-byte Folded Spill
	;; [unrolled: 1-line block ×3, first 2 shown]
	ds_read2_b64 v[89:92], v0 offset0:70 offset1:71
	s_waitcnt lgkmcnt(0)
	v_mul_f64 v[95:96], v[91:92], v[99:100]
	v_fma_f64 v[95:96], v[89:90], v[125:126], -v[95:96]
	v_mul_f64 v[89:90], v[89:90], v[99:100]
	v_add_f64 v[65:66], v[65:66], -v[95:96]
	v_fma_f64 v[89:90], v[91:92], v[125:126], v[89:90]
	v_add_f64 v[67:68], v[67:68], -v[89:90]
	ds_read2_b64 v[89:92], v0 offset0:72 offset1:73
	s_waitcnt lgkmcnt(0)
	v_mul_f64 v[95:96], v[91:92], v[99:100]
	v_fma_f64 v[95:96], v[89:90], v[125:126], -v[95:96]
	v_mul_f64 v[89:90], v[89:90], v[99:100]
	v_add_f64 v[61:62], v[61:62], -v[95:96]
	v_fma_f64 v[89:90], v[91:92], v[125:126], v[89:90]
	v_add_f64 v[63:64], v[63:64], -v[89:90]
	;; [unrolled: 8-line block ×16, first 2 shown]
	ds_read2_b64 v[89:92], v0 offset0:102 offset1:103
	s_waitcnt lgkmcnt(0)
	v_mul_f64 v[95:96], v[91:92], v[99:100]
	v_fma_f64 v[95:96], v[89:90], v[125:126], -v[95:96]
	v_mul_f64 v[89:90], v[89:90], v[99:100]
	v_add_f64 v[1:2], v[1:2], -v[95:96]
	v_fma_f64 v[89:90], v[91:92], v[125:126], v[89:90]
	ds_read2_b64 v[95:98], v0 offset0:104 offset1:105
	s_waitcnt lgkmcnt(0)
	v_mul_f64 v[91:92], v[95:96], v[99:100]
	v_add_f64 v[3:4], v[3:4], -v[89:90]
	v_mul_f64 v[89:90], v[97:98], v[99:100]
	v_fma_f64 v[91:92], v[97:98], v[125:126], v[91:92]
	v_mov_b32_e32 v97, v125
	v_mov_b32_e32 v98, v126
	v_fma_f64 v[89:90], v[95:96], v[125:126], -v[89:90]
	buffer_store_dword v97, off, s[24:27], 0 offset:388 ; 4-byte Folded Spill
	s_nop 0
	buffer_store_dword v98, off, s[24:27], 0 offset:392 ; 4-byte Folded Spill
	buffer_store_dword v99, off, s[24:27], 0 offset:396 ; 4-byte Folded Spill
	;; [unrolled: 1-line block ×3, first 2 shown]
	v_add_f64 v[123:124], v[123:124], -v[91:92]
	v_add_f64 v[121:122], v[121:122], -v[89:90]
.LBB104_104:
	s_or_b64 exec, exec, s[0:1]
	s_waitcnt vmcnt(0)
	s_barrier
	buffer_load_dword v69, off, s[24:27], 0 offset:372 ; 4-byte Folded Reload
	buffer_load_dword v70, off, s[24:27], 0 offset:376 ; 4-byte Folded Reload
	;; [unrolled: 1-line block ×4, first 2 shown]
	v_lshl_add_u32 v89, v93, 4, v0
	s_cmp_lt_i32 s3, 7
	s_waitcnt vmcnt(0)
	ds_write2_b64 v89, v[69:70], v[71:72] offset1:1
	s_waitcnt lgkmcnt(0)
	s_barrier
	ds_read2_b64 v[117:120], v0 offset0:10 offset1:11
	v_mov_b32_e32 v89, 5
	s_cbranch_scc1 .LBB104_107
; %bb.105:
	v_add_u32_e32 v90, 0x60, v0
	s_mov_b32 s0, 6
	v_mov_b32_e32 v89, 5
.LBB104_106:                            ; =>This Inner Loop Header: Depth=1
	s_waitcnt lgkmcnt(0)
	v_cmp_gt_f64_e32 vcc, 0, v[117:118]
	v_xor_b32_e32 v91, 0x80000000, v118
	ds_read2_b64 v[95:98], v90 offset1:1
	v_xor_b32_e32 v99, 0x80000000, v120
	v_add_u32_e32 v90, 16, v90
	s_waitcnt lgkmcnt(0)
	v_xor_b32_e32 v101, 0x80000000, v98
	v_cndmask_b32_e32 v92, v118, v91, vcc
	v_cmp_gt_f64_e32 vcc, 0, v[119:120]
	v_mov_b32_e32 v91, v117
	v_cndmask_b32_e32 v100, v120, v99, vcc
	v_cmp_gt_f64_e32 vcc, 0, v[95:96]
	v_mov_b32_e32 v99, v119
	v_add_f64 v[91:92], v[91:92], v[99:100]
	v_xor_b32_e32 v99, 0x80000000, v96
	v_cndmask_b32_e32 v100, v96, v99, vcc
	v_cmp_gt_f64_e32 vcc, 0, v[97:98]
	v_mov_b32_e32 v99, v95
	v_cndmask_b32_e32 v102, v98, v101, vcc
	v_mov_b32_e32 v101, v97
	v_add_f64 v[99:100], v[99:100], v[101:102]
	v_cmp_lt_f64_e32 vcc, v[91:92], v[99:100]
	v_mov_b32_e32 v91, s0
	s_add_i32 s0, s0, 1
	s_cmp_lg_u32 s3, s0
	v_cndmask_b32_e32 v118, v118, v96, vcc
	v_cndmask_b32_e32 v117, v117, v95, vcc
	;; [unrolled: 1-line block ×5, first 2 shown]
	s_cbranch_scc1 .LBB104_106
.LBB104_107:
	s_waitcnt lgkmcnt(0)
	v_cmp_eq_f64_e32 vcc, 0, v[117:118]
	v_cmp_eq_f64_e64 s[0:1], 0, v[119:120]
	s_and_b64 s[0:1], vcc, s[0:1]
	s_and_saveexec_b64 s[18:19], s[0:1]
	s_xor_b64 s[0:1], exec, s[18:19]
; %bb.108:
	v_cmp_ne_u32_e32 vcc, 0, v94
	v_cndmask_b32_e32 v94, 6, v94, vcc
; %bb.109:
	s_andn2_saveexec_b64 s[0:1], s[0:1]
	s_cbranch_execz .LBB104_115
; %bb.110:
	v_cmp_ngt_f64_e64 s[18:19], |v[117:118]|, |v[119:120]|
	s_and_saveexec_b64 s[20:21], s[18:19]
	s_xor_b64 s[18:19], exec, s[20:21]
	s_cbranch_execz .LBB104_112
; %bb.111:
	v_div_scale_f64 v[90:91], s[20:21], v[119:120], v[119:120], v[117:118]
	v_rcp_f64_e32 v[95:96], v[90:91]
	v_fma_f64 v[97:98], -v[90:91], v[95:96], 1.0
	v_fma_f64 v[95:96], v[95:96], v[97:98], v[95:96]
	v_div_scale_f64 v[97:98], vcc, v[117:118], v[119:120], v[117:118]
	v_fma_f64 v[99:100], -v[90:91], v[95:96], 1.0
	v_fma_f64 v[95:96], v[95:96], v[99:100], v[95:96]
	v_mul_f64 v[99:100], v[97:98], v[95:96]
	v_fma_f64 v[90:91], -v[90:91], v[99:100], v[97:98]
	v_div_fmas_f64 v[90:91], v[90:91], v[95:96], v[99:100]
	v_div_fixup_f64 v[90:91], v[90:91], v[119:120], v[117:118]
	v_fma_f64 v[95:96], v[117:118], v[90:91], v[119:120]
	v_div_scale_f64 v[97:98], s[20:21], v[95:96], v[95:96], 1.0
	v_div_scale_f64 v[103:104], vcc, 1.0, v[95:96], 1.0
	v_rcp_f64_e32 v[99:100], v[97:98]
	v_fma_f64 v[101:102], -v[97:98], v[99:100], 1.0
	v_fma_f64 v[99:100], v[99:100], v[101:102], v[99:100]
	v_fma_f64 v[101:102], -v[97:98], v[99:100], 1.0
	v_fma_f64 v[99:100], v[99:100], v[101:102], v[99:100]
	v_mul_f64 v[101:102], v[103:104], v[99:100]
	v_fma_f64 v[97:98], -v[97:98], v[101:102], v[103:104]
	v_div_fmas_f64 v[97:98], v[97:98], v[99:100], v[101:102]
	v_div_fixup_f64 v[119:120], v[97:98], v[95:96], 1.0
	v_mul_f64 v[117:118], v[90:91], v[119:120]
	v_xor_b32_e32 v120, 0x80000000, v120
.LBB104_112:
	s_andn2_saveexec_b64 s[18:19], s[18:19]
	s_cbranch_execz .LBB104_114
; %bb.113:
	v_div_scale_f64 v[90:91], s[20:21], v[117:118], v[117:118], v[119:120]
	v_rcp_f64_e32 v[95:96], v[90:91]
	v_fma_f64 v[97:98], -v[90:91], v[95:96], 1.0
	v_fma_f64 v[95:96], v[95:96], v[97:98], v[95:96]
	v_div_scale_f64 v[97:98], vcc, v[119:120], v[117:118], v[119:120]
	v_fma_f64 v[99:100], -v[90:91], v[95:96], 1.0
	v_fma_f64 v[95:96], v[95:96], v[99:100], v[95:96]
	v_mul_f64 v[99:100], v[97:98], v[95:96]
	v_fma_f64 v[90:91], -v[90:91], v[99:100], v[97:98]
	v_div_fmas_f64 v[90:91], v[90:91], v[95:96], v[99:100]
	v_div_fixup_f64 v[90:91], v[90:91], v[117:118], v[119:120]
	v_fma_f64 v[95:96], v[119:120], v[90:91], v[117:118]
	v_div_scale_f64 v[97:98], s[20:21], v[95:96], v[95:96], 1.0
	v_div_scale_f64 v[103:104], vcc, 1.0, v[95:96], 1.0
	v_rcp_f64_e32 v[99:100], v[97:98]
	v_fma_f64 v[101:102], -v[97:98], v[99:100], 1.0
	v_fma_f64 v[99:100], v[99:100], v[101:102], v[99:100]
	v_fma_f64 v[101:102], -v[97:98], v[99:100], 1.0
	v_fma_f64 v[99:100], v[99:100], v[101:102], v[99:100]
	v_mul_f64 v[101:102], v[103:104], v[99:100]
	v_fma_f64 v[97:98], -v[97:98], v[101:102], v[103:104]
	v_div_fmas_f64 v[97:98], v[97:98], v[99:100], v[101:102]
	v_div_fixup_f64 v[117:118], v[97:98], v[95:96], 1.0
	v_mul_f64 v[119:120], v[90:91], -v[117:118]
.LBB104_114:
	s_or_b64 exec, exec, s[18:19]
.LBB104_115:
	s_or_b64 exec, exec, s[0:1]
	v_cmp_ne_u32_e32 vcc, v93, v89
	s_and_saveexec_b64 s[0:1], vcc
	s_xor_b64 s[0:1], exec, s[0:1]
	s_cbranch_execz .LBB104_121
; %bb.116:
	v_cmp_eq_u32_e32 vcc, 5, v93
	s_and_saveexec_b64 s[18:19], vcc
	s_cbranch_execz .LBB104_120
; %bb.117:
	v_cmp_ne_u32_e32 vcc, 5, v89
	s_xor_b64 s[20:21], s[6:7], -1
	s_and_b64 s[22:23], s[20:21], vcc
	s_and_saveexec_b64 s[20:21], s[22:23]
	s_cbranch_execz .LBB104_119
; %bb.118:
	v_mov_b32_e32 v69, v81
	v_mov_b32_e32 v70, v82
	;; [unrolled: 1-line block ×4, first 2 shown]
	buffer_load_dword v81, off, s[24:27], 0 offset:420 ; 4-byte Folded Reload
	buffer_load_dword v82, off, s[24:27], 0 offset:424 ; 4-byte Folded Reload
	v_ashrrev_i32_e32 v90, 31, v89
	v_lshlrev_b64 v[90:91], 2, v[89:90]
	s_waitcnt vmcnt(1)
	v_add_co_u32_e32 v90, vcc, v81, v90
	s_waitcnt vmcnt(0)
	v_addc_co_u32_e32 v91, vcc, v82, v91, vcc
	global_load_dword v92, v[90:91], off
	global_load_dword v93, v[81:82], off offset:20
	s_waitcnt vmcnt(1)
	global_store_dword v[81:82], v92, off offset:20
	v_mov_b32_e32 v84, v72
	v_mov_b32_e32 v83, v71
	;; [unrolled: 1-line block ×4, first 2 shown]
	s_waitcnt vmcnt(1)
	global_store_dword v[90:91], v93, off
.LBB104_119:
	s_or_b64 exec, exec, s[20:21]
	v_mov_b32_e32 v93, v89
	v_mov_b32_e32 v69, v89
	buffer_store_dword v69, off, s[24:27], 0 offset:352 ; 4-byte Folded Spill
.LBB104_120:
	s_or_b64 exec, exec, s[18:19]
.LBB104_121:
	s_andn2_saveexec_b64 s[0:1], s[0:1]
	s_cbranch_execz .LBB104_123
; %bb.122:
	buffer_load_dword v69, off, s[24:27], 0 offset:356 ; 4-byte Folded Reload
	buffer_load_dword v70, off, s[24:27], 0 offset:360 ; 4-byte Folded Reload
	;; [unrolled: 1-line block ×4, first 2 shown]
	v_mov_b32_e32 v93, 5
	s_waitcnt vmcnt(0)
	ds_write2_b64 v0, v[69:70], v[71:72] offset0:12 offset1:13
	buffer_load_dword v69, off, s[24:27], 0 offset:336 ; 4-byte Folded Reload
	buffer_load_dword v70, off, s[24:27], 0 offset:340 ; 4-byte Folded Reload
	buffer_load_dword v71, off, s[24:27], 0 offset:344 ; 4-byte Folded Reload
	buffer_load_dword v72, off, s[24:27], 0 offset:348 ; 4-byte Folded Reload
	s_waitcnt vmcnt(0)
	ds_write2_b64 v0, v[69:70], v[71:72] offset0:14 offset1:15
	buffer_load_dword v69, off, s[24:27], 0 offset:320 ; 4-byte Folded Reload
	buffer_load_dword v70, off, s[24:27], 0 offset:324 ; 4-byte Folded Reload
	buffer_load_dword v71, off, s[24:27], 0 offset:328 ; 4-byte Folded Reload
	buffer_load_dword v72, off, s[24:27], 0 offset:332 ; 4-byte Folded Reload
	;; [unrolled: 6-line block ×21, first 2 shown]
	s_waitcnt vmcnt(0)
	ds_write2_b64 v0, v[69:70], v[71:72] offset0:54 offset1:55
	ds_write2_b64 v0, v[81:82], v[83:84] offset0:56 offset1:57
	;; [unrolled: 1-line block ×7, first 2 shown]
	buffer_load_dword v69, off, s[24:27], 0 ; 4-byte Folded Reload
	buffer_load_dword v70, off, s[24:27], 0 offset:4 ; 4-byte Folded Reload
	buffer_load_dword v71, off, s[24:27], 0 offset:8 ; 4-byte Folded Reload
	;; [unrolled: 1-line block ×3, first 2 shown]
	s_waitcnt vmcnt(0)
	ds_write2_b64 v0, v[69:70], v[71:72] offset0:68 offset1:69
	ds_write2_b64 v0, v[65:66], v[67:68] offset0:70 offset1:71
	;; [unrolled: 1-line block ×19, first 2 shown]
.LBB104_123:
	s_or_b64 exec, exec, s[0:1]
	v_cmp_lt_i32_e32 vcc, 5, v93
	s_waitcnt vmcnt(0) lgkmcnt(0)
	s_barrier
	s_and_saveexec_b64 s[0:1], vcc
	s_cbranch_execz .LBB104_125
; %bb.124:
	buffer_load_dword v97, off, s[24:27], 0 offset:372 ; 4-byte Folded Reload
	buffer_load_dword v98, off, s[24:27], 0 offset:376 ; 4-byte Folded Reload
	;; [unrolled: 1-line block ×4, first 2 shown]
	s_waitcnt vmcnt(0)
	v_mul_f64 v[89:90], v[119:120], v[99:100]
	v_fma_f64 v[125:126], v[117:118], v[97:98], -v[89:90]
	v_mul_f64 v[89:90], v[117:118], v[99:100]
	v_fma_f64 v[99:100], v[119:120], v[97:98], v[89:90]
	ds_read2_b64 v[89:92], v0 offset0:12 offset1:13
	buffer_load_dword v69, off, s[24:27], 0 offset:356 ; 4-byte Folded Reload
	buffer_load_dword v70, off, s[24:27], 0 offset:360 ; 4-byte Folded Reload
	buffer_load_dword v71, off, s[24:27], 0 offset:364 ; 4-byte Folded Reload
	buffer_load_dword v72, off, s[24:27], 0 offset:368 ; 4-byte Folded Reload
	s_waitcnt lgkmcnt(0)
	v_mul_f64 v[95:96], v[91:92], v[99:100]
	v_fma_f64 v[95:96], v[89:90], v[125:126], -v[95:96]
	v_mul_f64 v[89:90], v[89:90], v[99:100]
	v_fma_f64 v[89:90], v[91:92], v[125:126], v[89:90]
	s_waitcnt vmcnt(2)
	v_add_f64 v[69:70], v[69:70], -v[95:96]
	s_waitcnt vmcnt(0)
	v_add_f64 v[71:72], v[71:72], -v[89:90]
	buffer_store_dword v69, off, s[24:27], 0 offset:356 ; 4-byte Folded Spill
	s_nop 0
	buffer_store_dword v70, off, s[24:27], 0 offset:360 ; 4-byte Folded Spill
	buffer_store_dword v71, off, s[24:27], 0 offset:364 ; 4-byte Folded Spill
	buffer_store_dword v72, off, s[24:27], 0 offset:368 ; 4-byte Folded Spill
	ds_read2_b64 v[89:92], v0 offset0:14 offset1:15
	buffer_load_dword v69, off, s[24:27], 0 offset:336 ; 4-byte Folded Reload
	buffer_load_dword v70, off, s[24:27], 0 offset:340 ; 4-byte Folded Reload
	buffer_load_dword v71, off, s[24:27], 0 offset:344 ; 4-byte Folded Reload
	buffer_load_dword v72, off, s[24:27], 0 offset:348 ; 4-byte Folded Reload
	s_waitcnt lgkmcnt(0)
	v_mul_f64 v[95:96], v[91:92], v[99:100]
	v_fma_f64 v[95:96], v[89:90], v[125:126], -v[95:96]
	v_mul_f64 v[89:90], v[89:90], v[99:100]
	v_fma_f64 v[89:90], v[91:92], v[125:126], v[89:90]
	s_waitcnt vmcnt(2)
	v_add_f64 v[69:70], v[69:70], -v[95:96]
	s_waitcnt vmcnt(0)
	v_add_f64 v[71:72], v[71:72], -v[89:90]
	buffer_store_dword v69, off, s[24:27], 0 offset:336 ; 4-byte Folded Spill
	s_nop 0
	buffer_store_dword v70, off, s[24:27], 0 offset:340 ; 4-byte Folded Spill
	buffer_store_dword v71, off, s[24:27], 0 offset:344 ; 4-byte Folded Spill
	buffer_store_dword v72, off, s[24:27], 0 offset:348 ; 4-byte Folded Spill
	;; [unrolled: 19-line block ×22, first 2 shown]
	ds_read2_b64 v[89:92], v0 offset0:56 offset1:57
	s_waitcnt lgkmcnt(0)
	v_mul_f64 v[95:96], v[91:92], v[99:100]
	v_fma_f64 v[95:96], v[89:90], v[125:126], -v[95:96]
	v_mul_f64 v[89:90], v[89:90], v[99:100]
	v_add_f64 v[81:82], v[81:82], -v[95:96]
	v_fma_f64 v[89:90], v[91:92], v[125:126], v[89:90]
	v_add_f64 v[83:84], v[83:84], -v[89:90]
	ds_read2_b64 v[89:92], v0 offset0:58 offset1:59
	s_waitcnt lgkmcnt(0)
	v_mul_f64 v[95:96], v[91:92], v[99:100]
	v_fma_f64 v[95:96], v[89:90], v[125:126], -v[95:96]
	v_mul_f64 v[89:90], v[89:90], v[99:100]
	v_add_f64 v[85:86], v[85:86], -v[95:96]
	v_fma_f64 v[89:90], v[91:92], v[125:126], v[89:90]
	v_add_f64 v[87:88], v[87:88], -v[89:90]
	;; [unrolled: 8-line block ×6, first 2 shown]
	ds_read2_b64 v[89:92], v0 offset0:68 offset1:69
	buffer_load_dword v69, off, s[24:27], 0 ; 4-byte Folded Reload
	buffer_load_dword v70, off, s[24:27], 0 offset:4 ; 4-byte Folded Reload
	buffer_load_dword v71, off, s[24:27], 0 offset:8 ; 4-byte Folded Reload
	;; [unrolled: 1-line block ×3, first 2 shown]
	s_waitcnt lgkmcnt(0)
	v_mul_f64 v[95:96], v[91:92], v[99:100]
	v_fma_f64 v[95:96], v[89:90], v[125:126], -v[95:96]
	v_mul_f64 v[89:90], v[89:90], v[99:100]
	v_fma_f64 v[89:90], v[91:92], v[125:126], v[89:90]
	s_waitcnt vmcnt(2)
	v_add_f64 v[69:70], v[69:70], -v[95:96]
	s_waitcnt vmcnt(0)
	v_add_f64 v[71:72], v[71:72], -v[89:90]
	buffer_store_dword v69, off, s[24:27], 0 ; 4-byte Folded Spill
	s_nop 0
	buffer_store_dword v70, off, s[24:27], 0 offset:4 ; 4-byte Folded Spill
	buffer_store_dword v71, off, s[24:27], 0 offset:8 ; 4-byte Folded Spill
	;; [unrolled: 1-line block ×3, first 2 shown]
	ds_read2_b64 v[89:92], v0 offset0:70 offset1:71
	s_waitcnt lgkmcnt(0)
	v_mul_f64 v[95:96], v[91:92], v[99:100]
	v_fma_f64 v[95:96], v[89:90], v[125:126], -v[95:96]
	v_mul_f64 v[89:90], v[89:90], v[99:100]
	v_add_f64 v[65:66], v[65:66], -v[95:96]
	v_fma_f64 v[89:90], v[91:92], v[125:126], v[89:90]
	v_add_f64 v[67:68], v[67:68], -v[89:90]
	ds_read2_b64 v[89:92], v0 offset0:72 offset1:73
	s_waitcnt lgkmcnt(0)
	v_mul_f64 v[95:96], v[91:92], v[99:100]
	v_fma_f64 v[95:96], v[89:90], v[125:126], -v[95:96]
	v_mul_f64 v[89:90], v[89:90], v[99:100]
	v_add_f64 v[61:62], v[61:62], -v[95:96]
	v_fma_f64 v[89:90], v[91:92], v[125:126], v[89:90]
	v_add_f64 v[63:64], v[63:64], -v[89:90]
	;; [unrolled: 8-line block ×16, first 2 shown]
	ds_read2_b64 v[89:92], v0 offset0:102 offset1:103
	s_waitcnt lgkmcnt(0)
	v_mul_f64 v[95:96], v[91:92], v[99:100]
	v_fma_f64 v[95:96], v[89:90], v[125:126], -v[95:96]
	v_mul_f64 v[89:90], v[89:90], v[99:100]
	v_add_f64 v[1:2], v[1:2], -v[95:96]
	v_fma_f64 v[89:90], v[91:92], v[125:126], v[89:90]
	ds_read2_b64 v[95:98], v0 offset0:104 offset1:105
	s_waitcnt lgkmcnt(0)
	v_mul_f64 v[91:92], v[95:96], v[99:100]
	v_add_f64 v[3:4], v[3:4], -v[89:90]
	v_mul_f64 v[89:90], v[97:98], v[99:100]
	v_fma_f64 v[91:92], v[97:98], v[125:126], v[91:92]
	v_mov_b32_e32 v97, v125
	v_mov_b32_e32 v98, v126
	v_fma_f64 v[89:90], v[95:96], v[125:126], -v[89:90]
	buffer_store_dword v97, off, s[24:27], 0 offset:372 ; 4-byte Folded Spill
	s_nop 0
	buffer_store_dword v98, off, s[24:27], 0 offset:376 ; 4-byte Folded Spill
	buffer_store_dword v99, off, s[24:27], 0 offset:380 ; 4-byte Folded Spill
	;; [unrolled: 1-line block ×3, first 2 shown]
	v_add_f64 v[123:124], v[123:124], -v[91:92]
	v_add_f64 v[121:122], v[121:122], -v[89:90]
.LBB104_125:
	s_or_b64 exec, exec, s[0:1]
	s_waitcnt vmcnt(0)
	s_barrier
	buffer_load_dword v69, off, s[24:27], 0 offset:356 ; 4-byte Folded Reload
	buffer_load_dword v70, off, s[24:27], 0 offset:360 ; 4-byte Folded Reload
	;; [unrolled: 1-line block ×4, first 2 shown]
	v_lshl_add_u32 v89, v93, 4, v0
	s_cmp_lt_i32 s3, 8
	s_waitcnt vmcnt(0)
	ds_write2_b64 v89, v[69:70], v[71:72] offset1:1
	s_waitcnt lgkmcnt(0)
	s_barrier
	ds_read2_b64 v[117:120], v0 offset0:12 offset1:13
	v_mov_b32_e32 v89, 6
	s_cbranch_scc1 .LBB104_128
; %bb.126:
	v_add_u32_e32 v90, 0x70, v0
	s_mov_b32 s0, 7
	v_mov_b32_e32 v89, 6
.LBB104_127:                            ; =>This Inner Loop Header: Depth=1
	s_waitcnt lgkmcnt(0)
	v_cmp_gt_f64_e32 vcc, 0, v[117:118]
	v_xor_b32_e32 v91, 0x80000000, v118
	ds_read2_b64 v[95:98], v90 offset1:1
	v_xor_b32_e32 v99, 0x80000000, v120
	v_add_u32_e32 v90, 16, v90
	s_waitcnt lgkmcnt(0)
	v_xor_b32_e32 v101, 0x80000000, v98
	v_cndmask_b32_e32 v92, v118, v91, vcc
	v_cmp_gt_f64_e32 vcc, 0, v[119:120]
	v_mov_b32_e32 v91, v117
	v_cndmask_b32_e32 v100, v120, v99, vcc
	v_cmp_gt_f64_e32 vcc, 0, v[95:96]
	v_mov_b32_e32 v99, v119
	v_add_f64 v[91:92], v[91:92], v[99:100]
	v_xor_b32_e32 v99, 0x80000000, v96
	v_cndmask_b32_e32 v100, v96, v99, vcc
	v_cmp_gt_f64_e32 vcc, 0, v[97:98]
	v_mov_b32_e32 v99, v95
	v_cndmask_b32_e32 v102, v98, v101, vcc
	v_mov_b32_e32 v101, v97
	v_add_f64 v[99:100], v[99:100], v[101:102]
	v_cmp_lt_f64_e32 vcc, v[91:92], v[99:100]
	v_mov_b32_e32 v91, s0
	s_add_i32 s0, s0, 1
	s_cmp_lg_u32 s3, s0
	v_cndmask_b32_e32 v118, v118, v96, vcc
	v_cndmask_b32_e32 v117, v117, v95, vcc
	;; [unrolled: 1-line block ×5, first 2 shown]
	s_cbranch_scc1 .LBB104_127
.LBB104_128:
	s_waitcnt lgkmcnt(0)
	v_cmp_eq_f64_e32 vcc, 0, v[117:118]
	v_cmp_eq_f64_e64 s[0:1], 0, v[119:120]
	s_and_b64 s[0:1], vcc, s[0:1]
	s_and_saveexec_b64 s[18:19], s[0:1]
	s_xor_b64 s[0:1], exec, s[18:19]
; %bb.129:
	v_cmp_ne_u32_e32 vcc, 0, v94
	v_cndmask_b32_e32 v94, 7, v94, vcc
; %bb.130:
	s_andn2_saveexec_b64 s[0:1], s[0:1]
	s_cbranch_execz .LBB104_136
; %bb.131:
	v_cmp_ngt_f64_e64 s[18:19], |v[117:118]|, |v[119:120]|
	s_and_saveexec_b64 s[20:21], s[18:19]
	s_xor_b64 s[18:19], exec, s[20:21]
	s_cbranch_execz .LBB104_133
; %bb.132:
	v_div_scale_f64 v[90:91], s[20:21], v[119:120], v[119:120], v[117:118]
	v_rcp_f64_e32 v[95:96], v[90:91]
	v_fma_f64 v[97:98], -v[90:91], v[95:96], 1.0
	v_fma_f64 v[95:96], v[95:96], v[97:98], v[95:96]
	v_div_scale_f64 v[97:98], vcc, v[117:118], v[119:120], v[117:118]
	v_fma_f64 v[99:100], -v[90:91], v[95:96], 1.0
	v_fma_f64 v[95:96], v[95:96], v[99:100], v[95:96]
	v_mul_f64 v[99:100], v[97:98], v[95:96]
	v_fma_f64 v[90:91], -v[90:91], v[99:100], v[97:98]
	v_div_fmas_f64 v[90:91], v[90:91], v[95:96], v[99:100]
	v_div_fixup_f64 v[90:91], v[90:91], v[119:120], v[117:118]
	v_fma_f64 v[95:96], v[117:118], v[90:91], v[119:120]
	v_div_scale_f64 v[97:98], s[20:21], v[95:96], v[95:96], 1.0
	v_div_scale_f64 v[103:104], vcc, 1.0, v[95:96], 1.0
	v_rcp_f64_e32 v[99:100], v[97:98]
	v_fma_f64 v[101:102], -v[97:98], v[99:100], 1.0
	v_fma_f64 v[99:100], v[99:100], v[101:102], v[99:100]
	v_fma_f64 v[101:102], -v[97:98], v[99:100], 1.0
	v_fma_f64 v[99:100], v[99:100], v[101:102], v[99:100]
	v_mul_f64 v[101:102], v[103:104], v[99:100]
	v_fma_f64 v[97:98], -v[97:98], v[101:102], v[103:104]
	v_div_fmas_f64 v[97:98], v[97:98], v[99:100], v[101:102]
	v_div_fixup_f64 v[119:120], v[97:98], v[95:96], 1.0
	v_mul_f64 v[117:118], v[90:91], v[119:120]
	v_xor_b32_e32 v120, 0x80000000, v120
.LBB104_133:
	s_andn2_saveexec_b64 s[18:19], s[18:19]
	s_cbranch_execz .LBB104_135
; %bb.134:
	v_div_scale_f64 v[90:91], s[20:21], v[117:118], v[117:118], v[119:120]
	v_rcp_f64_e32 v[95:96], v[90:91]
	v_fma_f64 v[97:98], -v[90:91], v[95:96], 1.0
	v_fma_f64 v[95:96], v[95:96], v[97:98], v[95:96]
	v_div_scale_f64 v[97:98], vcc, v[119:120], v[117:118], v[119:120]
	v_fma_f64 v[99:100], -v[90:91], v[95:96], 1.0
	v_fma_f64 v[95:96], v[95:96], v[99:100], v[95:96]
	v_mul_f64 v[99:100], v[97:98], v[95:96]
	v_fma_f64 v[90:91], -v[90:91], v[99:100], v[97:98]
	v_div_fmas_f64 v[90:91], v[90:91], v[95:96], v[99:100]
	v_div_fixup_f64 v[90:91], v[90:91], v[117:118], v[119:120]
	v_fma_f64 v[95:96], v[119:120], v[90:91], v[117:118]
	v_div_scale_f64 v[97:98], s[20:21], v[95:96], v[95:96], 1.0
	v_div_scale_f64 v[103:104], vcc, 1.0, v[95:96], 1.0
	v_rcp_f64_e32 v[99:100], v[97:98]
	v_fma_f64 v[101:102], -v[97:98], v[99:100], 1.0
	v_fma_f64 v[99:100], v[99:100], v[101:102], v[99:100]
	v_fma_f64 v[101:102], -v[97:98], v[99:100], 1.0
	v_fma_f64 v[99:100], v[99:100], v[101:102], v[99:100]
	v_mul_f64 v[101:102], v[103:104], v[99:100]
	v_fma_f64 v[97:98], -v[97:98], v[101:102], v[103:104]
	v_div_fmas_f64 v[97:98], v[97:98], v[99:100], v[101:102]
	v_div_fixup_f64 v[117:118], v[97:98], v[95:96], 1.0
	v_mul_f64 v[119:120], v[90:91], -v[117:118]
.LBB104_135:
	s_or_b64 exec, exec, s[18:19]
.LBB104_136:
	s_or_b64 exec, exec, s[0:1]
	v_cmp_ne_u32_e32 vcc, v93, v89
	s_and_saveexec_b64 s[0:1], vcc
	s_xor_b64 s[0:1], exec, s[0:1]
	s_cbranch_execz .LBB104_142
; %bb.137:
	v_cmp_eq_u32_e32 vcc, 6, v93
	s_and_saveexec_b64 s[18:19], vcc
	s_cbranch_execz .LBB104_141
; %bb.138:
	v_cmp_ne_u32_e32 vcc, 6, v89
	s_xor_b64 s[20:21], s[6:7], -1
	s_and_b64 s[22:23], s[20:21], vcc
	s_and_saveexec_b64 s[20:21], s[22:23]
	s_cbranch_execz .LBB104_140
; %bb.139:
	v_mov_b32_e32 v69, v81
	v_mov_b32_e32 v70, v82
	;; [unrolled: 1-line block ×4, first 2 shown]
	buffer_load_dword v81, off, s[24:27], 0 offset:420 ; 4-byte Folded Reload
	buffer_load_dword v82, off, s[24:27], 0 offset:424 ; 4-byte Folded Reload
	v_ashrrev_i32_e32 v90, 31, v89
	v_lshlrev_b64 v[90:91], 2, v[89:90]
	s_waitcnt vmcnt(1)
	v_add_co_u32_e32 v90, vcc, v81, v90
	s_waitcnt vmcnt(0)
	v_addc_co_u32_e32 v91, vcc, v82, v91, vcc
	global_load_dword v92, v[90:91], off
	global_load_dword v93, v[81:82], off offset:24
	s_waitcnt vmcnt(1)
	global_store_dword v[81:82], v92, off offset:24
	v_mov_b32_e32 v84, v72
	v_mov_b32_e32 v83, v71
	;; [unrolled: 1-line block ×4, first 2 shown]
	s_waitcnt vmcnt(1)
	global_store_dword v[90:91], v93, off
.LBB104_140:
	s_or_b64 exec, exec, s[20:21]
	v_mov_b32_e32 v93, v89
	v_mov_b32_e32 v69, v89
	buffer_store_dword v69, off, s[24:27], 0 offset:352 ; 4-byte Folded Spill
.LBB104_141:
	s_or_b64 exec, exec, s[18:19]
.LBB104_142:
	s_andn2_saveexec_b64 s[0:1], s[0:1]
	s_cbranch_execz .LBB104_144
; %bb.143:
	buffer_load_dword v69, off, s[24:27], 0 offset:336 ; 4-byte Folded Reload
	buffer_load_dword v70, off, s[24:27], 0 offset:340 ; 4-byte Folded Reload
	;; [unrolled: 1-line block ×4, first 2 shown]
	v_mov_b32_e32 v93, 6
	s_waitcnt vmcnt(0)
	ds_write2_b64 v0, v[69:70], v[71:72] offset0:14 offset1:15
	buffer_load_dword v69, off, s[24:27], 0 offset:320 ; 4-byte Folded Reload
	buffer_load_dword v70, off, s[24:27], 0 offset:324 ; 4-byte Folded Reload
	buffer_load_dword v71, off, s[24:27], 0 offset:328 ; 4-byte Folded Reload
	buffer_load_dword v72, off, s[24:27], 0 offset:332 ; 4-byte Folded Reload
	s_waitcnt vmcnt(0)
	ds_write2_b64 v0, v[69:70], v[71:72] offset0:16 offset1:17
	buffer_load_dword v69, off, s[24:27], 0 offset:304 ; 4-byte Folded Reload
	buffer_load_dword v70, off, s[24:27], 0 offset:308 ; 4-byte Folded Reload
	buffer_load_dword v71, off, s[24:27], 0 offset:312 ; 4-byte Folded Reload
	buffer_load_dword v72, off, s[24:27], 0 offset:316 ; 4-byte Folded Reload
	;; [unrolled: 6-line block ×20, first 2 shown]
	s_waitcnt vmcnt(0)
	ds_write2_b64 v0, v[69:70], v[71:72] offset0:54 offset1:55
	ds_write2_b64 v0, v[81:82], v[83:84] offset0:56 offset1:57
	;; [unrolled: 1-line block ×7, first 2 shown]
	buffer_load_dword v69, off, s[24:27], 0 ; 4-byte Folded Reload
	buffer_load_dword v70, off, s[24:27], 0 offset:4 ; 4-byte Folded Reload
	buffer_load_dword v71, off, s[24:27], 0 offset:8 ; 4-byte Folded Reload
	;; [unrolled: 1-line block ×3, first 2 shown]
	s_waitcnt vmcnt(0)
	ds_write2_b64 v0, v[69:70], v[71:72] offset0:68 offset1:69
	ds_write2_b64 v0, v[65:66], v[67:68] offset0:70 offset1:71
	;; [unrolled: 1-line block ×19, first 2 shown]
.LBB104_144:
	s_or_b64 exec, exec, s[0:1]
	v_cmp_lt_i32_e32 vcc, 6, v93
	s_waitcnt vmcnt(0) lgkmcnt(0)
	s_barrier
	s_and_saveexec_b64 s[0:1], vcc
	s_cbranch_execz .LBB104_146
; %bb.145:
	buffer_load_dword v97, off, s[24:27], 0 offset:356 ; 4-byte Folded Reload
	buffer_load_dword v98, off, s[24:27], 0 offset:360 ; 4-byte Folded Reload
	;; [unrolled: 1-line block ×4, first 2 shown]
	s_waitcnt vmcnt(0)
	v_mul_f64 v[89:90], v[119:120], v[99:100]
	v_fma_f64 v[125:126], v[117:118], v[97:98], -v[89:90]
	v_mul_f64 v[89:90], v[117:118], v[99:100]
	v_fma_f64 v[99:100], v[119:120], v[97:98], v[89:90]
	ds_read2_b64 v[89:92], v0 offset0:14 offset1:15
	buffer_load_dword v69, off, s[24:27], 0 offset:336 ; 4-byte Folded Reload
	buffer_load_dword v70, off, s[24:27], 0 offset:340 ; 4-byte Folded Reload
	buffer_load_dword v71, off, s[24:27], 0 offset:344 ; 4-byte Folded Reload
	buffer_load_dword v72, off, s[24:27], 0 offset:348 ; 4-byte Folded Reload
	s_waitcnt lgkmcnt(0)
	v_mul_f64 v[95:96], v[91:92], v[99:100]
	v_fma_f64 v[95:96], v[89:90], v[125:126], -v[95:96]
	v_mul_f64 v[89:90], v[89:90], v[99:100]
	v_fma_f64 v[89:90], v[91:92], v[125:126], v[89:90]
	s_waitcnt vmcnt(2)
	v_add_f64 v[69:70], v[69:70], -v[95:96]
	s_waitcnt vmcnt(0)
	v_add_f64 v[71:72], v[71:72], -v[89:90]
	buffer_store_dword v69, off, s[24:27], 0 offset:336 ; 4-byte Folded Spill
	s_nop 0
	buffer_store_dword v70, off, s[24:27], 0 offset:340 ; 4-byte Folded Spill
	buffer_store_dword v71, off, s[24:27], 0 offset:344 ; 4-byte Folded Spill
	buffer_store_dword v72, off, s[24:27], 0 offset:348 ; 4-byte Folded Spill
	ds_read2_b64 v[89:92], v0 offset0:16 offset1:17
	buffer_load_dword v69, off, s[24:27], 0 offset:320 ; 4-byte Folded Reload
	buffer_load_dword v70, off, s[24:27], 0 offset:324 ; 4-byte Folded Reload
	buffer_load_dword v71, off, s[24:27], 0 offset:328 ; 4-byte Folded Reload
	buffer_load_dword v72, off, s[24:27], 0 offset:332 ; 4-byte Folded Reload
	s_waitcnt lgkmcnt(0)
	v_mul_f64 v[95:96], v[91:92], v[99:100]
	v_fma_f64 v[95:96], v[89:90], v[125:126], -v[95:96]
	v_mul_f64 v[89:90], v[89:90], v[99:100]
	v_fma_f64 v[89:90], v[91:92], v[125:126], v[89:90]
	s_waitcnt vmcnt(2)
	v_add_f64 v[69:70], v[69:70], -v[95:96]
	s_waitcnt vmcnt(0)
	v_add_f64 v[71:72], v[71:72], -v[89:90]
	buffer_store_dword v69, off, s[24:27], 0 offset:320 ; 4-byte Folded Spill
	s_nop 0
	buffer_store_dword v70, off, s[24:27], 0 offset:324 ; 4-byte Folded Spill
	buffer_store_dword v71, off, s[24:27], 0 offset:328 ; 4-byte Folded Spill
	buffer_store_dword v72, off, s[24:27], 0 offset:332 ; 4-byte Folded Spill
	ds_read2_b64 v[89:92], v0 offset0:18 offset1:19
	buffer_load_dword v69, off, s[24:27], 0 offset:304 ; 4-byte Folded Reload
	buffer_load_dword v70, off, s[24:27], 0 offset:308 ; 4-byte Folded Reload
	buffer_load_dword v71, off, s[24:27], 0 offset:312 ; 4-byte Folded Reload
	buffer_load_dword v72, off, s[24:27], 0 offset:316 ; 4-byte Folded Reload
	s_waitcnt lgkmcnt(0)
	v_mul_f64 v[95:96], v[91:92], v[99:100]
	v_fma_f64 v[95:96], v[89:90], v[125:126], -v[95:96]
	v_mul_f64 v[89:90], v[89:90], v[99:100]
	v_fma_f64 v[89:90], v[91:92], v[125:126], v[89:90]
	s_waitcnt vmcnt(2)
	v_add_f64 v[69:70], v[69:70], -v[95:96]
	s_waitcnt vmcnt(0)
	v_add_f64 v[71:72], v[71:72], -v[89:90]
	buffer_store_dword v69, off, s[24:27], 0 offset:304 ; 4-byte Folded Spill
	s_nop 0
	buffer_store_dword v70, off, s[24:27], 0 offset:308 ; 4-byte Folded Spill
	buffer_store_dword v71, off, s[24:27], 0 offset:312 ; 4-byte Folded Spill
	buffer_store_dword v72, off, s[24:27], 0 offset:316 ; 4-byte Folded Spill
	ds_read2_b64 v[89:92], v0 offset0:20 offset1:21
	buffer_load_dword v69, off, s[24:27], 0 offset:288 ; 4-byte Folded Reload
	buffer_load_dword v70, off, s[24:27], 0 offset:292 ; 4-byte Folded Reload
	buffer_load_dword v71, off, s[24:27], 0 offset:296 ; 4-byte Folded Reload
	buffer_load_dword v72, off, s[24:27], 0 offset:300 ; 4-byte Folded Reload
	s_waitcnt lgkmcnt(0)
	v_mul_f64 v[95:96], v[91:92], v[99:100]
	v_fma_f64 v[95:96], v[89:90], v[125:126], -v[95:96]
	v_mul_f64 v[89:90], v[89:90], v[99:100]
	v_fma_f64 v[89:90], v[91:92], v[125:126], v[89:90]
	s_waitcnt vmcnt(2)
	v_add_f64 v[69:70], v[69:70], -v[95:96]
	s_waitcnt vmcnt(0)
	v_add_f64 v[71:72], v[71:72], -v[89:90]
	buffer_store_dword v69, off, s[24:27], 0 offset:288 ; 4-byte Folded Spill
	s_nop 0
	buffer_store_dword v70, off, s[24:27], 0 offset:292 ; 4-byte Folded Spill
	buffer_store_dword v71, off, s[24:27], 0 offset:296 ; 4-byte Folded Spill
	buffer_store_dword v72, off, s[24:27], 0 offset:300 ; 4-byte Folded Spill
	ds_read2_b64 v[89:92], v0 offset0:22 offset1:23
	buffer_load_dword v69, off, s[24:27], 0 offset:272 ; 4-byte Folded Reload
	buffer_load_dword v70, off, s[24:27], 0 offset:276 ; 4-byte Folded Reload
	buffer_load_dword v71, off, s[24:27], 0 offset:280 ; 4-byte Folded Reload
	buffer_load_dword v72, off, s[24:27], 0 offset:284 ; 4-byte Folded Reload
	s_waitcnt lgkmcnt(0)
	v_mul_f64 v[95:96], v[91:92], v[99:100]
	v_fma_f64 v[95:96], v[89:90], v[125:126], -v[95:96]
	v_mul_f64 v[89:90], v[89:90], v[99:100]
	v_fma_f64 v[89:90], v[91:92], v[125:126], v[89:90]
	s_waitcnt vmcnt(2)
	v_add_f64 v[69:70], v[69:70], -v[95:96]
	s_waitcnt vmcnt(0)
	v_add_f64 v[71:72], v[71:72], -v[89:90]
	buffer_store_dword v69, off, s[24:27], 0 offset:272 ; 4-byte Folded Spill
	s_nop 0
	buffer_store_dword v70, off, s[24:27], 0 offset:276 ; 4-byte Folded Spill
	buffer_store_dword v71, off, s[24:27], 0 offset:280 ; 4-byte Folded Spill
	buffer_store_dword v72, off, s[24:27], 0 offset:284 ; 4-byte Folded Spill
	ds_read2_b64 v[89:92], v0 offset0:24 offset1:25
	buffer_load_dword v69, off, s[24:27], 0 offset:256 ; 4-byte Folded Reload
	buffer_load_dword v70, off, s[24:27], 0 offset:260 ; 4-byte Folded Reload
	buffer_load_dword v71, off, s[24:27], 0 offset:264 ; 4-byte Folded Reload
	buffer_load_dword v72, off, s[24:27], 0 offset:268 ; 4-byte Folded Reload
	s_waitcnt lgkmcnt(0)
	v_mul_f64 v[95:96], v[91:92], v[99:100]
	v_fma_f64 v[95:96], v[89:90], v[125:126], -v[95:96]
	v_mul_f64 v[89:90], v[89:90], v[99:100]
	v_fma_f64 v[89:90], v[91:92], v[125:126], v[89:90]
	s_waitcnt vmcnt(2)
	v_add_f64 v[69:70], v[69:70], -v[95:96]
	s_waitcnt vmcnt(0)
	v_add_f64 v[71:72], v[71:72], -v[89:90]
	buffer_store_dword v69, off, s[24:27], 0 offset:256 ; 4-byte Folded Spill
	s_nop 0
	buffer_store_dword v70, off, s[24:27], 0 offset:260 ; 4-byte Folded Spill
	buffer_store_dword v71, off, s[24:27], 0 offset:264 ; 4-byte Folded Spill
	buffer_store_dword v72, off, s[24:27], 0 offset:268 ; 4-byte Folded Spill
	ds_read2_b64 v[89:92], v0 offset0:26 offset1:27
	buffer_load_dword v69, off, s[24:27], 0 offset:240 ; 4-byte Folded Reload
	buffer_load_dword v70, off, s[24:27], 0 offset:244 ; 4-byte Folded Reload
	buffer_load_dword v71, off, s[24:27], 0 offset:248 ; 4-byte Folded Reload
	buffer_load_dword v72, off, s[24:27], 0 offset:252 ; 4-byte Folded Reload
	s_waitcnt lgkmcnt(0)
	v_mul_f64 v[95:96], v[91:92], v[99:100]
	v_fma_f64 v[95:96], v[89:90], v[125:126], -v[95:96]
	v_mul_f64 v[89:90], v[89:90], v[99:100]
	v_fma_f64 v[89:90], v[91:92], v[125:126], v[89:90]
	s_waitcnt vmcnt(2)
	v_add_f64 v[69:70], v[69:70], -v[95:96]
	s_waitcnt vmcnt(0)
	v_add_f64 v[71:72], v[71:72], -v[89:90]
	buffer_store_dword v69, off, s[24:27], 0 offset:240 ; 4-byte Folded Spill
	s_nop 0
	buffer_store_dword v70, off, s[24:27], 0 offset:244 ; 4-byte Folded Spill
	buffer_store_dword v71, off, s[24:27], 0 offset:248 ; 4-byte Folded Spill
	buffer_store_dword v72, off, s[24:27], 0 offset:252 ; 4-byte Folded Spill
	ds_read2_b64 v[89:92], v0 offset0:28 offset1:29
	buffer_load_dword v69, off, s[24:27], 0 offset:224 ; 4-byte Folded Reload
	buffer_load_dword v70, off, s[24:27], 0 offset:228 ; 4-byte Folded Reload
	buffer_load_dword v71, off, s[24:27], 0 offset:232 ; 4-byte Folded Reload
	buffer_load_dword v72, off, s[24:27], 0 offset:236 ; 4-byte Folded Reload
	s_waitcnt lgkmcnt(0)
	v_mul_f64 v[95:96], v[91:92], v[99:100]
	v_fma_f64 v[95:96], v[89:90], v[125:126], -v[95:96]
	v_mul_f64 v[89:90], v[89:90], v[99:100]
	v_fma_f64 v[89:90], v[91:92], v[125:126], v[89:90]
	s_waitcnt vmcnt(2)
	v_add_f64 v[69:70], v[69:70], -v[95:96]
	s_waitcnt vmcnt(0)
	v_add_f64 v[71:72], v[71:72], -v[89:90]
	buffer_store_dword v69, off, s[24:27], 0 offset:224 ; 4-byte Folded Spill
	s_nop 0
	buffer_store_dword v70, off, s[24:27], 0 offset:228 ; 4-byte Folded Spill
	buffer_store_dword v71, off, s[24:27], 0 offset:232 ; 4-byte Folded Spill
	buffer_store_dword v72, off, s[24:27], 0 offset:236 ; 4-byte Folded Spill
	ds_read2_b64 v[89:92], v0 offset0:30 offset1:31
	buffer_load_dword v69, off, s[24:27], 0 offset:208 ; 4-byte Folded Reload
	buffer_load_dword v70, off, s[24:27], 0 offset:212 ; 4-byte Folded Reload
	buffer_load_dword v71, off, s[24:27], 0 offset:216 ; 4-byte Folded Reload
	buffer_load_dword v72, off, s[24:27], 0 offset:220 ; 4-byte Folded Reload
	s_waitcnt lgkmcnt(0)
	v_mul_f64 v[95:96], v[91:92], v[99:100]
	v_fma_f64 v[95:96], v[89:90], v[125:126], -v[95:96]
	v_mul_f64 v[89:90], v[89:90], v[99:100]
	v_fma_f64 v[89:90], v[91:92], v[125:126], v[89:90]
	s_waitcnt vmcnt(2)
	v_add_f64 v[69:70], v[69:70], -v[95:96]
	s_waitcnt vmcnt(0)
	v_add_f64 v[71:72], v[71:72], -v[89:90]
	buffer_store_dword v69, off, s[24:27], 0 offset:208 ; 4-byte Folded Spill
	s_nop 0
	buffer_store_dword v70, off, s[24:27], 0 offset:212 ; 4-byte Folded Spill
	buffer_store_dword v71, off, s[24:27], 0 offset:216 ; 4-byte Folded Spill
	buffer_store_dword v72, off, s[24:27], 0 offset:220 ; 4-byte Folded Spill
	ds_read2_b64 v[89:92], v0 offset0:32 offset1:33
	buffer_load_dword v69, off, s[24:27], 0 offset:192 ; 4-byte Folded Reload
	buffer_load_dword v70, off, s[24:27], 0 offset:196 ; 4-byte Folded Reload
	buffer_load_dword v71, off, s[24:27], 0 offset:200 ; 4-byte Folded Reload
	buffer_load_dword v72, off, s[24:27], 0 offset:204 ; 4-byte Folded Reload
	s_waitcnt lgkmcnt(0)
	v_mul_f64 v[95:96], v[91:92], v[99:100]
	v_fma_f64 v[95:96], v[89:90], v[125:126], -v[95:96]
	v_mul_f64 v[89:90], v[89:90], v[99:100]
	v_fma_f64 v[89:90], v[91:92], v[125:126], v[89:90]
	s_waitcnt vmcnt(2)
	v_add_f64 v[69:70], v[69:70], -v[95:96]
	s_waitcnt vmcnt(0)
	v_add_f64 v[71:72], v[71:72], -v[89:90]
	buffer_store_dword v69, off, s[24:27], 0 offset:192 ; 4-byte Folded Spill
	s_nop 0
	buffer_store_dword v70, off, s[24:27], 0 offset:196 ; 4-byte Folded Spill
	buffer_store_dword v71, off, s[24:27], 0 offset:200 ; 4-byte Folded Spill
	buffer_store_dword v72, off, s[24:27], 0 offset:204 ; 4-byte Folded Spill
	ds_read2_b64 v[89:92], v0 offset0:34 offset1:35
	buffer_load_dword v69, off, s[24:27], 0 offset:176 ; 4-byte Folded Reload
	buffer_load_dword v70, off, s[24:27], 0 offset:180 ; 4-byte Folded Reload
	buffer_load_dword v71, off, s[24:27], 0 offset:184 ; 4-byte Folded Reload
	buffer_load_dword v72, off, s[24:27], 0 offset:188 ; 4-byte Folded Reload
	s_waitcnt lgkmcnt(0)
	v_mul_f64 v[95:96], v[91:92], v[99:100]
	v_fma_f64 v[95:96], v[89:90], v[125:126], -v[95:96]
	v_mul_f64 v[89:90], v[89:90], v[99:100]
	v_fma_f64 v[89:90], v[91:92], v[125:126], v[89:90]
	s_waitcnt vmcnt(2)
	v_add_f64 v[69:70], v[69:70], -v[95:96]
	s_waitcnt vmcnt(0)
	v_add_f64 v[71:72], v[71:72], -v[89:90]
	buffer_store_dword v69, off, s[24:27], 0 offset:176 ; 4-byte Folded Spill
	s_nop 0
	buffer_store_dword v70, off, s[24:27], 0 offset:180 ; 4-byte Folded Spill
	buffer_store_dword v71, off, s[24:27], 0 offset:184 ; 4-byte Folded Spill
	buffer_store_dword v72, off, s[24:27], 0 offset:188 ; 4-byte Folded Spill
	ds_read2_b64 v[89:92], v0 offset0:36 offset1:37
	buffer_load_dword v69, off, s[24:27], 0 offset:160 ; 4-byte Folded Reload
	buffer_load_dword v70, off, s[24:27], 0 offset:164 ; 4-byte Folded Reload
	buffer_load_dword v71, off, s[24:27], 0 offset:168 ; 4-byte Folded Reload
	buffer_load_dword v72, off, s[24:27], 0 offset:172 ; 4-byte Folded Reload
	s_waitcnt lgkmcnt(0)
	v_mul_f64 v[95:96], v[91:92], v[99:100]
	v_fma_f64 v[95:96], v[89:90], v[125:126], -v[95:96]
	v_mul_f64 v[89:90], v[89:90], v[99:100]
	v_fma_f64 v[89:90], v[91:92], v[125:126], v[89:90]
	s_waitcnt vmcnt(2)
	v_add_f64 v[69:70], v[69:70], -v[95:96]
	s_waitcnt vmcnt(0)
	v_add_f64 v[71:72], v[71:72], -v[89:90]
	buffer_store_dword v69, off, s[24:27], 0 offset:160 ; 4-byte Folded Spill
	s_nop 0
	buffer_store_dword v70, off, s[24:27], 0 offset:164 ; 4-byte Folded Spill
	buffer_store_dword v71, off, s[24:27], 0 offset:168 ; 4-byte Folded Spill
	buffer_store_dword v72, off, s[24:27], 0 offset:172 ; 4-byte Folded Spill
	ds_read2_b64 v[89:92], v0 offset0:38 offset1:39
	buffer_load_dword v69, off, s[24:27], 0 offset:144 ; 4-byte Folded Reload
	buffer_load_dword v70, off, s[24:27], 0 offset:148 ; 4-byte Folded Reload
	buffer_load_dword v71, off, s[24:27], 0 offset:152 ; 4-byte Folded Reload
	buffer_load_dword v72, off, s[24:27], 0 offset:156 ; 4-byte Folded Reload
	s_waitcnt lgkmcnt(0)
	v_mul_f64 v[95:96], v[91:92], v[99:100]
	v_fma_f64 v[95:96], v[89:90], v[125:126], -v[95:96]
	v_mul_f64 v[89:90], v[89:90], v[99:100]
	v_fma_f64 v[89:90], v[91:92], v[125:126], v[89:90]
	s_waitcnt vmcnt(2)
	v_add_f64 v[69:70], v[69:70], -v[95:96]
	s_waitcnt vmcnt(0)
	v_add_f64 v[71:72], v[71:72], -v[89:90]
	buffer_store_dword v69, off, s[24:27], 0 offset:144 ; 4-byte Folded Spill
	s_nop 0
	buffer_store_dword v70, off, s[24:27], 0 offset:148 ; 4-byte Folded Spill
	buffer_store_dword v71, off, s[24:27], 0 offset:152 ; 4-byte Folded Spill
	buffer_store_dword v72, off, s[24:27], 0 offset:156 ; 4-byte Folded Spill
	ds_read2_b64 v[89:92], v0 offset0:40 offset1:41
	buffer_load_dword v69, off, s[24:27], 0 offset:128 ; 4-byte Folded Reload
	buffer_load_dword v70, off, s[24:27], 0 offset:132 ; 4-byte Folded Reload
	buffer_load_dword v71, off, s[24:27], 0 offset:136 ; 4-byte Folded Reload
	buffer_load_dword v72, off, s[24:27], 0 offset:140 ; 4-byte Folded Reload
	s_waitcnt lgkmcnt(0)
	v_mul_f64 v[95:96], v[91:92], v[99:100]
	v_fma_f64 v[95:96], v[89:90], v[125:126], -v[95:96]
	v_mul_f64 v[89:90], v[89:90], v[99:100]
	v_fma_f64 v[89:90], v[91:92], v[125:126], v[89:90]
	s_waitcnt vmcnt(2)
	v_add_f64 v[69:70], v[69:70], -v[95:96]
	s_waitcnt vmcnt(0)
	v_add_f64 v[71:72], v[71:72], -v[89:90]
	buffer_store_dword v69, off, s[24:27], 0 offset:128 ; 4-byte Folded Spill
	s_nop 0
	buffer_store_dword v70, off, s[24:27], 0 offset:132 ; 4-byte Folded Spill
	buffer_store_dword v71, off, s[24:27], 0 offset:136 ; 4-byte Folded Spill
	buffer_store_dword v72, off, s[24:27], 0 offset:140 ; 4-byte Folded Spill
	ds_read2_b64 v[89:92], v0 offset0:42 offset1:43
	buffer_load_dword v69, off, s[24:27], 0 offset:112 ; 4-byte Folded Reload
	buffer_load_dword v70, off, s[24:27], 0 offset:116 ; 4-byte Folded Reload
	buffer_load_dword v71, off, s[24:27], 0 offset:120 ; 4-byte Folded Reload
	buffer_load_dword v72, off, s[24:27], 0 offset:124 ; 4-byte Folded Reload
	s_waitcnt lgkmcnt(0)
	v_mul_f64 v[95:96], v[91:92], v[99:100]
	v_fma_f64 v[95:96], v[89:90], v[125:126], -v[95:96]
	v_mul_f64 v[89:90], v[89:90], v[99:100]
	v_fma_f64 v[89:90], v[91:92], v[125:126], v[89:90]
	s_waitcnt vmcnt(2)
	v_add_f64 v[69:70], v[69:70], -v[95:96]
	s_waitcnt vmcnt(0)
	v_add_f64 v[71:72], v[71:72], -v[89:90]
	buffer_store_dword v69, off, s[24:27], 0 offset:112 ; 4-byte Folded Spill
	s_nop 0
	buffer_store_dword v70, off, s[24:27], 0 offset:116 ; 4-byte Folded Spill
	buffer_store_dword v71, off, s[24:27], 0 offset:120 ; 4-byte Folded Spill
	buffer_store_dword v72, off, s[24:27], 0 offset:124 ; 4-byte Folded Spill
	ds_read2_b64 v[89:92], v0 offset0:44 offset1:45
	buffer_load_dword v69, off, s[24:27], 0 offset:96 ; 4-byte Folded Reload
	buffer_load_dword v70, off, s[24:27], 0 offset:100 ; 4-byte Folded Reload
	buffer_load_dword v71, off, s[24:27], 0 offset:104 ; 4-byte Folded Reload
	buffer_load_dword v72, off, s[24:27], 0 offset:108 ; 4-byte Folded Reload
	s_waitcnt lgkmcnt(0)
	v_mul_f64 v[95:96], v[91:92], v[99:100]
	v_fma_f64 v[95:96], v[89:90], v[125:126], -v[95:96]
	v_mul_f64 v[89:90], v[89:90], v[99:100]
	v_fma_f64 v[89:90], v[91:92], v[125:126], v[89:90]
	s_waitcnt vmcnt(2)
	v_add_f64 v[69:70], v[69:70], -v[95:96]
	s_waitcnt vmcnt(0)
	v_add_f64 v[71:72], v[71:72], -v[89:90]
	buffer_store_dword v69, off, s[24:27], 0 offset:96 ; 4-byte Folded Spill
	s_nop 0
	buffer_store_dword v70, off, s[24:27], 0 offset:100 ; 4-byte Folded Spill
	buffer_store_dword v71, off, s[24:27], 0 offset:104 ; 4-byte Folded Spill
	buffer_store_dword v72, off, s[24:27], 0 offset:108 ; 4-byte Folded Spill
	ds_read2_b64 v[89:92], v0 offset0:46 offset1:47
	buffer_load_dword v69, off, s[24:27], 0 offset:80 ; 4-byte Folded Reload
	buffer_load_dword v70, off, s[24:27], 0 offset:84 ; 4-byte Folded Reload
	buffer_load_dword v71, off, s[24:27], 0 offset:88 ; 4-byte Folded Reload
	buffer_load_dword v72, off, s[24:27], 0 offset:92 ; 4-byte Folded Reload
	s_waitcnt lgkmcnt(0)
	v_mul_f64 v[95:96], v[91:92], v[99:100]
	v_fma_f64 v[95:96], v[89:90], v[125:126], -v[95:96]
	v_mul_f64 v[89:90], v[89:90], v[99:100]
	v_fma_f64 v[89:90], v[91:92], v[125:126], v[89:90]
	s_waitcnt vmcnt(2)
	v_add_f64 v[69:70], v[69:70], -v[95:96]
	s_waitcnt vmcnt(0)
	v_add_f64 v[71:72], v[71:72], -v[89:90]
	buffer_store_dword v69, off, s[24:27], 0 offset:80 ; 4-byte Folded Spill
	s_nop 0
	buffer_store_dword v70, off, s[24:27], 0 offset:84 ; 4-byte Folded Spill
	buffer_store_dword v71, off, s[24:27], 0 offset:88 ; 4-byte Folded Spill
	buffer_store_dword v72, off, s[24:27], 0 offset:92 ; 4-byte Folded Spill
	ds_read2_b64 v[89:92], v0 offset0:48 offset1:49
	buffer_load_dword v69, off, s[24:27], 0 offset:64 ; 4-byte Folded Reload
	buffer_load_dword v70, off, s[24:27], 0 offset:68 ; 4-byte Folded Reload
	buffer_load_dword v71, off, s[24:27], 0 offset:72 ; 4-byte Folded Reload
	buffer_load_dword v72, off, s[24:27], 0 offset:76 ; 4-byte Folded Reload
	s_waitcnt lgkmcnt(0)
	v_mul_f64 v[95:96], v[91:92], v[99:100]
	v_fma_f64 v[95:96], v[89:90], v[125:126], -v[95:96]
	v_mul_f64 v[89:90], v[89:90], v[99:100]
	v_fma_f64 v[89:90], v[91:92], v[125:126], v[89:90]
	s_waitcnt vmcnt(2)
	v_add_f64 v[69:70], v[69:70], -v[95:96]
	s_waitcnt vmcnt(0)
	v_add_f64 v[71:72], v[71:72], -v[89:90]
	buffer_store_dword v69, off, s[24:27], 0 offset:64 ; 4-byte Folded Spill
	s_nop 0
	buffer_store_dword v70, off, s[24:27], 0 offset:68 ; 4-byte Folded Spill
	buffer_store_dword v71, off, s[24:27], 0 offset:72 ; 4-byte Folded Spill
	buffer_store_dword v72, off, s[24:27], 0 offset:76 ; 4-byte Folded Spill
	ds_read2_b64 v[89:92], v0 offset0:50 offset1:51
	buffer_load_dword v69, off, s[24:27], 0 offset:48 ; 4-byte Folded Reload
	buffer_load_dword v70, off, s[24:27], 0 offset:52 ; 4-byte Folded Reload
	buffer_load_dword v71, off, s[24:27], 0 offset:56 ; 4-byte Folded Reload
	buffer_load_dword v72, off, s[24:27], 0 offset:60 ; 4-byte Folded Reload
	s_waitcnt lgkmcnt(0)
	v_mul_f64 v[95:96], v[91:92], v[99:100]
	v_fma_f64 v[95:96], v[89:90], v[125:126], -v[95:96]
	v_mul_f64 v[89:90], v[89:90], v[99:100]
	v_fma_f64 v[89:90], v[91:92], v[125:126], v[89:90]
	s_waitcnt vmcnt(2)
	v_add_f64 v[69:70], v[69:70], -v[95:96]
	s_waitcnt vmcnt(0)
	v_add_f64 v[71:72], v[71:72], -v[89:90]
	buffer_store_dword v69, off, s[24:27], 0 offset:48 ; 4-byte Folded Spill
	s_nop 0
	buffer_store_dword v70, off, s[24:27], 0 offset:52 ; 4-byte Folded Spill
	buffer_store_dword v71, off, s[24:27], 0 offset:56 ; 4-byte Folded Spill
	buffer_store_dword v72, off, s[24:27], 0 offset:60 ; 4-byte Folded Spill
	ds_read2_b64 v[89:92], v0 offset0:52 offset1:53
	buffer_load_dword v69, off, s[24:27], 0 offset:32 ; 4-byte Folded Reload
	buffer_load_dword v70, off, s[24:27], 0 offset:36 ; 4-byte Folded Reload
	buffer_load_dword v71, off, s[24:27], 0 offset:40 ; 4-byte Folded Reload
	buffer_load_dword v72, off, s[24:27], 0 offset:44 ; 4-byte Folded Reload
	s_waitcnt lgkmcnt(0)
	v_mul_f64 v[95:96], v[91:92], v[99:100]
	v_fma_f64 v[95:96], v[89:90], v[125:126], -v[95:96]
	v_mul_f64 v[89:90], v[89:90], v[99:100]
	v_fma_f64 v[89:90], v[91:92], v[125:126], v[89:90]
	s_waitcnt vmcnt(2)
	v_add_f64 v[69:70], v[69:70], -v[95:96]
	s_waitcnt vmcnt(0)
	v_add_f64 v[71:72], v[71:72], -v[89:90]
	buffer_store_dword v69, off, s[24:27], 0 offset:32 ; 4-byte Folded Spill
	s_nop 0
	buffer_store_dword v70, off, s[24:27], 0 offset:36 ; 4-byte Folded Spill
	buffer_store_dword v71, off, s[24:27], 0 offset:40 ; 4-byte Folded Spill
	buffer_store_dword v72, off, s[24:27], 0 offset:44 ; 4-byte Folded Spill
	ds_read2_b64 v[89:92], v0 offset0:54 offset1:55
	buffer_load_dword v69, off, s[24:27], 0 offset:16 ; 4-byte Folded Reload
	buffer_load_dword v70, off, s[24:27], 0 offset:20 ; 4-byte Folded Reload
	buffer_load_dword v71, off, s[24:27], 0 offset:24 ; 4-byte Folded Reload
	buffer_load_dword v72, off, s[24:27], 0 offset:28 ; 4-byte Folded Reload
	s_waitcnt lgkmcnt(0)
	v_mul_f64 v[95:96], v[91:92], v[99:100]
	v_fma_f64 v[95:96], v[89:90], v[125:126], -v[95:96]
	v_mul_f64 v[89:90], v[89:90], v[99:100]
	v_fma_f64 v[89:90], v[91:92], v[125:126], v[89:90]
	s_waitcnt vmcnt(2)
	v_add_f64 v[69:70], v[69:70], -v[95:96]
	s_waitcnt vmcnt(0)
	v_add_f64 v[71:72], v[71:72], -v[89:90]
	buffer_store_dword v69, off, s[24:27], 0 offset:16 ; 4-byte Folded Spill
	s_nop 0
	buffer_store_dword v70, off, s[24:27], 0 offset:20 ; 4-byte Folded Spill
	buffer_store_dword v71, off, s[24:27], 0 offset:24 ; 4-byte Folded Spill
	buffer_store_dword v72, off, s[24:27], 0 offset:28 ; 4-byte Folded Spill
	ds_read2_b64 v[89:92], v0 offset0:56 offset1:57
	s_waitcnt lgkmcnt(0)
	v_mul_f64 v[95:96], v[91:92], v[99:100]
	v_fma_f64 v[95:96], v[89:90], v[125:126], -v[95:96]
	v_mul_f64 v[89:90], v[89:90], v[99:100]
	v_add_f64 v[81:82], v[81:82], -v[95:96]
	v_fma_f64 v[89:90], v[91:92], v[125:126], v[89:90]
	v_add_f64 v[83:84], v[83:84], -v[89:90]
	ds_read2_b64 v[89:92], v0 offset0:58 offset1:59
	s_waitcnt lgkmcnt(0)
	v_mul_f64 v[95:96], v[91:92], v[99:100]
	v_fma_f64 v[95:96], v[89:90], v[125:126], -v[95:96]
	v_mul_f64 v[89:90], v[89:90], v[99:100]
	v_add_f64 v[85:86], v[85:86], -v[95:96]
	v_fma_f64 v[89:90], v[91:92], v[125:126], v[89:90]
	v_add_f64 v[87:88], v[87:88], -v[89:90]
	;; [unrolled: 8-line block ×6, first 2 shown]
	ds_read2_b64 v[89:92], v0 offset0:68 offset1:69
	buffer_load_dword v69, off, s[24:27], 0 ; 4-byte Folded Reload
	buffer_load_dword v70, off, s[24:27], 0 offset:4 ; 4-byte Folded Reload
	buffer_load_dword v71, off, s[24:27], 0 offset:8 ; 4-byte Folded Reload
	;; [unrolled: 1-line block ×3, first 2 shown]
	s_waitcnt lgkmcnt(0)
	v_mul_f64 v[95:96], v[91:92], v[99:100]
	v_fma_f64 v[95:96], v[89:90], v[125:126], -v[95:96]
	v_mul_f64 v[89:90], v[89:90], v[99:100]
	v_fma_f64 v[89:90], v[91:92], v[125:126], v[89:90]
	s_waitcnt vmcnt(2)
	v_add_f64 v[69:70], v[69:70], -v[95:96]
	s_waitcnt vmcnt(0)
	v_add_f64 v[71:72], v[71:72], -v[89:90]
	buffer_store_dword v69, off, s[24:27], 0 ; 4-byte Folded Spill
	s_nop 0
	buffer_store_dword v70, off, s[24:27], 0 offset:4 ; 4-byte Folded Spill
	buffer_store_dword v71, off, s[24:27], 0 offset:8 ; 4-byte Folded Spill
	;; [unrolled: 1-line block ×3, first 2 shown]
	ds_read2_b64 v[89:92], v0 offset0:70 offset1:71
	s_waitcnt lgkmcnt(0)
	v_mul_f64 v[95:96], v[91:92], v[99:100]
	v_fma_f64 v[95:96], v[89:90], v[125:126], -v[95:96]
	v_mul_f64 v[89:90], v[89:90], v[99:100]
	v_add_f64 v[65:66], v[65:66], -v[95:96]
	v_fma_f64 v[89:90], v[91:92], v[125:126], v[89:90]
	v_add_f64 v[67:68], v[67:68], -v[89:90]
	ds_read2_b64 v[89:92], v0 offset0:72 offset1:73
	s_waitcnt lgkmcnt(0)
	v_mul_f64 v[95:96], v[91:92], v[99:100]
	v_fma_f64 v[95:96], v[89:90], v[125:126], -v[95:96]
	v_mul_f64 v[89:90], v[89:90], v[99:100]
	v_add_f64 v[61:62], v[61:62], -v[95:96]
	v_fma_f64 v[89:90], v[91:92], v[125:126], v[89:90]
	v_add_f64 v[63:64], v[63:64], -v[89:90]
	;; [unrolled: 8-line block ×16, first 2 shown]
	ds_read2_b64 v[89:92], v0 offset0:102 offset1:103
	s_waitcnt lgkmcnt(0)
	v_mul_f64 v[95:96], v[91:92], v[99:100]
	v_fma_f64 v[95:96], v[89:90], v[125:126], -v[95:96]
	v_mul_f64 v[89:90], v[89:90], v[99:100]
	v_add_f64 v[1:2], v[1:2], -v[95:96]
	v_fma_f64 v[89:90], v[91:92], v[125:126], v[89:90]
	ds_read2_b64 v[95:98], v0 offset0:104 offset1:105
	s_waitcnt lgkmcnt(0)
	v_mul_f64 v[91:92], v[95:96], v[99:100]
	v_add_f64 v[3:4], v[3:4], -v[89:90]
	v_mul_f64 v[89:90], v[97:98], v[99:100]
	v_fma_f64 v[91:92], v[97:98], v[125:126], v[91:92]
	v_mov_b32_e32 v97, v125
	v_mov_b32_e32 v98, v126
	v_fma_f64 v[89:90], v[95:96], v[125:126], -v[89:90]
	buffer_store_dword v97, off, s[24:27], 0 offset:356 ; 4-byte Folded Spill
	s_nop 0
	buffer_store_dword v98, off, s[24:27], 0 offset:360 ; 4-byte Folded Spill
	buffer_store_dword v99, off, s[24:27], 0 offset:364 ; 4-byte Folded Spill
	;; [unrolled: 1-line block ×3, first 2 shown]
	v_add_f64 v[123:124], v[123:124], -v[91:92]
	v_add_f64 v[121:122], v[121:122], -v[89:90]
.LBB104_146:
	s_or_b64 exec, exec, s[0:1]
	s_waitcnt vmcnt(0)
	s_barrier
	buffer_load_dword v69, off, s[24:27], 0 offset:336 ; 4-byte Folded Reload
	buffer_load_dword v70, off, s[24:27], 0 offset:340 ; 4-byte Folded Reload
	buffer_load_dword v71, off, s[24:27], 0 offset:344 ; 4-byte Folded Reload
	buffer_load_dword v72, off, s[24:27], 0 offset:348 ; 4-byte Folded Reload
	v_lshl_add_u32 v89, v93, 4, v0
	s_cmp_lt_i32 s3, 9
	s_waitcnt vmcnt(0)
	ds_write2_b64 v89, v[69:70], v[71:72] offset1:1
	s_waitcnt lgkmcnt(0)
	s_barrier
	ds_read2_b64 v[117:120], v0 offset0:14 offset1:15
	v_mov_b32_e32 v89, 7
	s_cbranch_scc1 .LBB104_149
; %bb.147:
	v_add_u32_e32 v90, 0x80, v0
	s_mov_b32 s0, 8
	v_mov_b32_e32 v89, 7
.LBB104_148:                            ; =>This Inner Loop Header: Depth=1
	s_waitcnt lgkmcnt(0)
	v_cmp_gt_f64_e32 vcc, 0, v[117:118]
	v_xor_b32_e32 v91, 0x80000000, v118
	ds_read2_b64 v[95:98], v90 offset1:1
	v_xor_b32_e32 v99, 0x80000000, v120
	v_add_u32_e32 v90, 16, v90
	s_waitcnt lgkmcnt(0)
	v_xor_b32_e32 v101, 0x80000000, v98
	v_cndmask_b32_e32 v92, v118, v91, vcc
	v_cmp_gt_f64_e32 vcc, 0, v[119:120]
	v_mov_b32_e32 v91, v117
	v_cndmask_b32_e32 v100, v120, v99, vcc
	v_cmp_gt_f64_e32 vcc, 0, v[95:96]
	v_mov_b32_e32 v99, v119
	v_add_f64 v[91:92], v[91:92], v[99:100]
	v_xor_b32_e32 v99, 0x80000000, v96
	v_cndmask_b32_e32 v100, v96, v99, vcc
	v_cmp_gt_f64_e32 vcc, 0, v[97:98]
	v_mov_b32_e32 v99, v95
	v_cndmask_b32_e32 v102, v98, v101, vcc
	v_mov_b32_e32 v101, v97
	v_add_f64 v[99:100], v[99:100], v[101:102]
	v_cmp_lt_f64_e32 vcc, v[91:92], v[99:100]
	v_mov_b32_e32 v91, s0
	s_add_i32 s0, s0, 1
	s_cmp_lg_u32 s3, s0
	v_cndmask_b32_e32 v118, v118, v96, vcc
	v_cndmask_b32_e32 v117, v117, v95, vcc
	;; [unrolled: 1-line block ×5, first 2 shown]
	s_cbranch_scc1 .LBB104_148
.LBB104_149:
	s_waitcnt lgkmcnt(0)
	v_cmp_eq_f64_e32 vcc, 0, v[117:118]
	v_cmp_eq_f64_e64 s[0:1], 0, v[119:120]
	s_and_b64 s[0:1], vcc, s[0:1]
	s_and_saveexec_b64 s[18:19], s[0:1]
	s_xor_b64 s[0:1], exec, s[18:19]
; %bb.150:
	v_cmp_ne_u32_e32 vcc, 0, v94
	v_cndmask_b32_e32 v94, 8, v94, vcc
; %bb.151:
	s_andn2_saveexec_b64 s[0:1], s[0:1]
	s_cbranch_execz .LBB104_157
; %bb.152:
	v_cmp_ngt_f64_e64 s[18:19], |v[117:118]|, |v[119:120]|
	s_and_saveexec_b64 s[20:21], s[18:19]
	s_xor_b64 s[18:19], exec, s[20:21]
	s_cbranch_execz .LBB104_154
; %bb.153:
	v_div_scale_f64 v[90:91], s[20:21], v[119:120], v[119:120], v[117:118]
	v_rcp_f64_e32 v[95:96], v[90:91]
	v_fma_f64 v[97:98], -v[90:91], v[95:96], 1.0
	v_fma_f64 v[95:96], v[95:96], v[97:98], v[95:96]
	v_div_scale_f64 v[97:98], vcc, v[117:118], v[119:120], v[117:118]
	v_fma_f64 v[99:100], -v[90:91], v[95:96], 1.0
	v_fma_f64 v[95:96], v[95:96], v[99:100], v[95:96]
	v_mul_f64 v[99:100], v[97:98], v[95:96]
	v_fma_f64 v[90:91], -v[90:91], v[99:100], v[97:98]
	v_div_fmas_f64 v[90:91], v[90:91], v[95:96], v[99:100]
	v_div_fixup_f64 v[90:91], v[90:91], v[119:120], v[117:118]
	v_fma_f64 v[95:96], v[117:118], v[90:91], v[119:120]
	v_div_scale_f64 v[97:98], s[20:21], v[95:96], v[95:96], 1.0
	v_div_scale_f64 v[103:104], vcc, 1.0, v[95:96], 1.0
	v_rcp_f64_e32 v[99:100], v[97:98]
	v_fma_f64 v[101:102], -v[97:98], v[99:100], 1.0
	v_fma_f64 v[99:100], v[99:100], v[101:102], v[99:100]
	v_fma_f64 v[101:102], -v[97:98], v[99:100], 1.0
	v_fma_f64 v[99:100], v[99:100], v[101:102], v[99:100]
	v_mul_f64 v[101:102], v[103:104], v[99:100]
	v_fma_f64 v[97:98], -v[97:98], v[101:102], v[103:104]
	v_div_fmas_f64 v[97:98], v[97:98], v[99:100], v[101:102]
	v_div_fixup_f64 v[119:120], v[97:98], v[95:96], 1.0
	v_mul_f64 v[117:118], v[90:91], v[119:120]
	v_xor_b32_e32 v120, 0x80000000, v120
.LBB104_154:
	s_andn2_saveexec_b64 s[18:19], s[18:19]
	s_cbranch_execz .LBB104_156
; %bb.155:
	v_div_scale_f64 v[90:91], s[20:21], v[117:118], v[117:118], v[119:120]
	v_rcp_f64_e32 v[95:96], v[90:91]
	v_fma_f64 v[97:98], -v[90:91], v[95:96], 1.0
	v_fma_f64 v[95:96], v[95:96], v[97:98], v[95:96]
	v_div_scale_f64 v[97:98], vcc, v[119:120], v[117:118], v[119:120]
	v_fma_f64 v[99:100], -v[90:91], v[95:96], 1.0
	v_fma_f64 v[95:96], v[95:96], v[99:100], v[95:96]
	v_mul_f64 v[99:100], v[97:98], v[95:96]
	v_fma_f64 v[90:91], -v[90:91], v[99:100], v[97:98]
	v_div_fmas_f64 v[90:91], v[90:91], v[95:96], v[99:100]
	v_div_fixup_f64 v[90:91], v[90:91], v[117:118], v[119:120]
	v_fma_f64 v[95:96], v[119:120], v[90:91], v[117:118]
	v_div_scale_f64 v[97:98], s[20:21], v[95:96], v[95:96], 1.0
	v_div_scale_f64 v[103:104], vcc, 1.0, v[95:96], 1.0
	v_rcp_f64_e32 v[99:100], v[97:98]
	v_fma_f64 v[101:102], -v[97:98], v[99:100], 1.0
	v_fma_f64 v[99:100], v[99:100], v[101:102], v[99:100]
	v_fma_f64 v[101:102], -v[97:98], v[99:100], 1.0
	v_fma_f64 v[99:100], v[99:100], v[101:102], v[99:100]
	v_mul_f64 v[101:102], v[103:104], v[99:100]
	v_fma_f64 v[97:98], -v[97:98], v[101:102], v[103:104]
	v_div_fmas_f64 v[97:98], v[97:98], v[99:100], v[101:102]
	v_div_fixup_f64 v[117:118], v[97:98], v[95:96], 1.0
	v_mul_f64 v[119:120], v[90:91], -v[117:118]
.LBB104_156:
	s_or_b64 exec, exec, s[18:19]
.LBB104_157:
	s_or_b64 exec, exec, s[0:1]
	v_cmp_ne_u32_e32 vcc, v93, v89
	s_and_saveexec_b64 s[0:1], vcc
	s_xor_b64 s[0:1], exec, s[0:1]
	s_cbranch_execz .LBB104_163
; %bb.158:
	v_cmp_eq_u32_e32 vcc, 7, v93
	s_and_saveexec_b64 s[18:19], vcc
	s_cbranch_execz .LBB104_162
; %bb.159:
	v_cmp_ne_u32_e32 vcc, 7, v89
	s_xor_b64 s[20:21], s[6:7], -1
	s_and_b64 s[22:23], s[20:21], vcc
	s_and_saveexec_b64 s[20:21], s[22:23]
	s_cbranch_execz .LBB104_161
; %bb.160:
	v_mov_b32_e32 v69, v81
	v_mov_b32_e32 v70, v82
	;; [unrolled: 1-line block ×4, first 2 shown]
	buffer_load_dword v81, off, s[24:27], 0 offset:420 ; 4-byte Folded Reload
	buffer_load_dword v82, off, s[24:27], 0 offset:424 ; 4-byte Folded Reload
	v_ashrrev_i32_e32 v90, 31, v89
	v_lshlrev_b64 v[90:91], 2, v[89:90]
	s_waitcnt vmcnt(1)
	v_add_co_u32_e32 v90, vcc, v81, v90
	s_waitcnt vmcnt(0)
	v_addc_co_u32_e32 v91, vcc, v82, v91, vcc
	global_load_dword v92, v[90:91], off
	global_load_dword v93, v[81:82], off offset:28
	s_waitcnt vmcnt(1)
	global_store_dword v[81:82], v92, off offset:28
	v_mov_b32_e32 v84, v72
	v_mov_b32_e32 v83, v71
	;; [unrolled: 1-line block ×4, first 2 shown]
	s_waitcnt vmcnt(1)
	global_store_dword v[90:91], v93, off
.LBB104_161:
	s_or_b64 exec, exec, s[20:21]
	v_mov_b32_e32 v93, v89
	v_mov_b32_e32 v69, v89
	buffer_store_dword v69, off, s[24:27], 0 offset:352 ; 4-byte Folded Spill
.LBB104_162:
	s_or_b64 exec, exec, s[18:19]
.LBB104_163:
	s_andn2_saveexec_b64 s[0:1], s[0:1]
	s_cbranch_execz .LBB104_165
; %bb.164:
	buffer_load_dword v69, off, s[24:27], 0 offset:320 ; 4-byte Folded Reload
	buffer_load_dword v70, off, s[24:27], 0 offset:324 ; 4-byte Folded Reload
	;; [unrolled: 1-line block ×4, first 2 shown]
	v_mov_b32_e32 v93, 7
	s_waitcnt vmcnt(0)
	ds_write2_b64 v0, v[69:70], v[71:72] offset0:16 offset1:17
	buffer_load_dword v69, off, s[24:27], 0 offset:304 ; 4-byte Folded Reload
	buffer_load_dword v70, off, s[24:27], 0 offset:308 ; 4-byte Folded Reload
	buffer_load_dword v71, off, s[24:27], 0 offset:312 ; 4-byte Folded Reload
	buffer_load_dword v72, off, s[24:27], 0 offset:316 ; 4-byte Folded Reload
	s_waitcnt vmcnt(0)
	ds_write2_b64 v0, v[69:70], v[71:72] offset0:18 offset1:19
	buffer_load_dword v69, off, s[24:27], 0 offset:288 ; 4-byte Folded Reload
	buffer_load_dword v70, off, s[24:27], 0 offset:292 ; 4-byte Folded Reload
	buffer_load_dword v71, off, s[24:27], 0 offset:296 ; 4-byte Folded Reload
	buffer_load_dword v72, off, s[24:27], 0 offset:300 ; 4-byte Folded Reload
	;; [unrolled: 6-line block ×19, first 2 shown]
	s_waitcnt vmcnt(0)
	ds_write2_b64 v0, v[69:70], v[71:72] offset0:54 offset1:55
	ds_write2_b64 v0, v[81:82], v[83:84] offset0:56 offset1:57
	;; [unrolled: 1-line block ×7, first 2 shown]
	buffer_load_dword v69, off, s[24:27], 0 ; 4-byte Folded Reload
	buffer_load_dword v70, off, s[24:27], 0 offset:4 ; 4-byte Folded Reload
	buffer_load_dword v71, off, s[24:27], 0 offset:8 ; 4-byte Folded Reload
	;; [unrolled: 1-line block ×3, first 2 shown]
	s_waitcnt vmcnt(0)
	ds_write2_b64 v0, v[69:70], v[71:72] offset0:68 offset1:69
	ds_write2_b64 v0, v[65:66], v[67:68] offset0:70 offset1:71
	;; [unrolled: 1-line block ×19, first 2 shown]
.LBB104_165:
	s_or_b64 exec, exec, s[0:1]
	v_cmp_lt_i32_e32 vcc, 7, v93
	s_waitcnt vmcnt(0) lgkmcnt(0)
	s_barrier
	s_and_saveexec_b64 s[0:1], vcc
	s_cbranch_execz .LBB104_167
; %bb.166:
	buffer_load_dword v97, off, s[24:27], 0 offset:336 ; 4-byte Folded Reload
	buffer_load_dword v98, off, s[24:27], 0 offset:340 ; 4-byte Folded Reload
	;; [unrolled: 1-line block ×4, first 2 shown]
	s_waitcnt vmcnt(0)
	v_mul_f64 v[89:90], v[119:120], v[99:100]
	v_fma_f64 v[125:126], v[117:118], v[97:98], -v[89:90]
	v_mul_f64 v[89:90], v[117:118], v[99:100]
	v_fma_f64 v[99:100], v[119:120], v[97:98], v[89:90]
	ds_read2_b64 v[89:92], v0 offset0:16 offset1:17
	buffer_load_dword v69, off, s[24:27], 0 offset:320 ; 4-byte Folded Reload
	buffer_load_dword v70, off, s[24:27], 0 offset:324 ; 4-byte Folded Reload
	buffer_load_dword v71, off, s[24:27], 0 offset:328 ; 4-byte Folded Reload
	buffer_load_dword v72, off, s[24:27], 0 offset:332 ; 4-byte Folded Reload
	s_waitcnt lgkmcnt(0)
	v_mul_f64 v[95:96], v[91:92], v[99:100]
	v_fma_f64 v[95:96], v[89:90], v[125:126], -v[95:96]
	v_mul_f64 v[89:90], v[89:90], v[99:100]
	v_fma_f64 v[89:90], v[91:92], v[125:126], v[89:90]
	s_waitcnt vmcnt(2)
	v_add_f64 v[69:70], v[69:70], -v[95:96]
	s_waitcnt vmcnt(0)
	v_add_f64 v[71:72], v[71:72], -v[89:90]
	buffer_store_dword v69, off, s[24:27], 0 offset:320 ; 4-byte Folded Spill
	s_nop 0
	buffer_store_dword v70, off, s[24:27], 0 offset:324 ; 4-byte Folded Spill
	buffer_store_dword v71, off, s[24:27], 0 offset:328 ; 4-byte Folded Spill
	buffer_store_dword v72, off, s[24:27], 0 offset:332 ; 4-byte Folded Spill
	ds_read2_b64 v[89:92], v0 offset0:18 offset1:19
	buffer_load_dword v69, off, s[24:27], 0 offset:304 ; 4-byte Folded Reload
	buffer_load_dword v70, off, s[24:27], 0 offset:308 ; 4-byte Folded Reload
	buffer_load_dword v71, off, s[24:27], 0 offset:312 ; 4-byte Folded Reload
	buffer_load_dword v72, off, s[24:27], 0 offset:316 ; 4-byte Folded Reload
	s_waitcnt lgkmcnt(0)
	v_mul_f64 v[95:96], v[91:92], v[99:100]
	v_fma_f64 v[95:96], v[89:90], v[125:126], -v[95:96]
	v_mul_f64 v[89:90], v[89:90], v[99:100]
	v_fma_f64 v[89:90], v[91:92], v[125:126], v[89:90]
	s_waitcnt vmcnt(2)
	v_add_f64 v[69:70], v[69:70], -v[95:96]
	s_waitcnt vmcnt(0)
	v_add_f64 v[71:72], v[71:72], -v[89:90]
	buffer_store_dword v69, off, s[24:27], 0 offset:304 ; 4-byte Folded Spill
	s_nop 0
	buffer_store_dword v70, off, s[24:27], 0 offset:308 ; 4-byte Folded Spill
	buffer_store_dword v71, off, s[24:27], 0 offset:312 ; 4-byte Folded Spill
	buffer_store_dword v72, off, s[24:27], 0 offset:316 ; 4-byte Folded Spill
	ds_read2_b64 v[89:92], v0 offset0:20 offset1:21
	buffer_load_dword v69, off, s[24:27], 0 offset:288 ; 4-byte Folded Reload
	buffer_load_dword v70, off, s[24:27], 0 offset:292 ; 4-byte Folded Reload
	buffer_load_dword v71, off, s[24:27], 0 offset:296 ; 4-byte Folded Reload
	buffer_load_dword v72, off, s[24:27], 0 offset:300 ; 4-byte Folded Reload
	s_waitcnt lgkmcnt(0)
	v_mul_f64 v[95:96], v[91:92], v[99:100]
	v_fma_f64 v[95:96], v[89:90], v[125:126], -v[95:96]
	v_mul_f64 v[89:90], v[89:90], v[99:100]
	v_fma_f64 v[89:90], v[91:92], v[125:126], v[89:90]
	s_waitcnt vmcnt(2)
	v_add_f64 v[69:70], v[69:70], -v[95:96]
	s_waitcnt vmcnt(0)
	v_add_f64 v[71:72], v[71:72], -v[89:90]
	buffer_store_dword v69, off, s[24:27], 0 offset:288 ; 4-byte Folded Spill
	s_nop 0
	buffer_store_dword v70, off, s[24:27], 0 offset:292 ; 4-byte Folded Spill
	buffer_store_dword v71, off, s[24:27], 0 offset:296 ; 4-byte Folded Spill
	buffer_store_dword v72, off, s[24:27], 0 offset:300 ; 4-byte Folded Spill
	ds_read2_b64 v[89:92], v0 offset0:22 offset1:23
	buffer_load_dword v69, off, s[24:27], 0 offset:272 ; 4-byte Folded Reload
	buffer_load_dword v70, off, s[24:27], 0 offset:276 ; 4-byte Folded Reload
	buffer_load_dword v71, off, s[24:27], 0 offset:280 ; 4-byte Folded Reload
	buffer_load_dword v72, off, s[24:27], 0 offset:284 ; 4-byte Folded Reload
	s_waitcnt lgkmcnt(0)
	v_mul_f64 v[95:96], v[91:92], v[99:100]
	v_fma_f64 v[95:96], v[89:90], v[125:126], -v[95:96]
	v_mul_f64 v[89:90], v[89:90], v[99:100]
	v_fma_f64 v[89:90], v[91:92], v[125:126], v[89:90]
	s_waitcnt vmcnt(2)
	v_add_f64 v[69:70], v[69:70], -v[95:96]
	s_waitcnt vmcnt(0)
	v_add_f64 v[71:72], v[71:72], -v[89:90]
	buffer_store_dword v69, off, s[24:27], 0 offset:272 ; 4-byte Folded Spill
	s_nop 0
	buffer_store_dword v70, off, s[24:27], 0 offset:276 ; 4-byte Folded Spill
	buffer_store_dword v71, off, s[24:27], 0 offset:280 ; 4-byte Folded Spill
	buffer_store_dword v72, off, s[24:27], 0 offset:284 ; 4-byte Folded Spill
	ds_read2_b64 v[89:92], v0 offset0:24 offset1:25
	buffer_load_dword v69, off, s[24:27], 0 offset:256 ; 4-byte Folded Reload
	buffer_load_dword v70, off, s[24:27], 0 offset:260 ; 4-byte Folded Reload
	buffer_load_dword v71, off, s[24:27], 0 offset:264 ; 4-byte Folded Reload
	buffer_load_dword v72, off, s[24:27], 0 offset:268 ; 4-byte Folded Reload
	s_waitcnt lgkmcnt(0)
	v_mul_f64 v[95:96], v[91:92], v[99:100]
	v_fma_f64 v[95:96], v[89:90], v[125:126], -v[95:96]
	v_mul_f64 v[89:90], v[89:90], v[99:100]
	v_fma_f64 v[89:90], v[91:92], v[125:126], v[89:90]
	s_waitcnt vmcnt(2)
	v_add_f64 v[69:70], v[69:70], -v[95:96]
	s_waitcnt vmcnt(0)
	v_add_f64 v[71:72], v[71:72], -v[89:90]
	buffer_store_dword v69, off, s[24:27], 0 offset:256 ; 4-byte Folded Spill
	s_nop 0
	buffer_store_dword v70, off, s[24:27], 0 offset:260 ; 4-byte Folded Spill
	buffer_store_dword v71, off, s[24:27], 0 offset:264 ; 4-byte Folded Spill
	buffer_store_dword v72, off, s[24:27], 0 offset:268 ; 4-byte Folded Spill
	ds_read2_b64 v[89:92], v0 offset0:26 offset1:27
	buffer_load_dword v69, off, s[24:27], 0 offset:240 ; 4-byte Folded Reload
	buffer_load_dword v70, off, s[24:27], 0 offset:244 ; 4-byte Folded Reload
	buffer_load_dword v71, off, s[24:27], 0 offset:248 ; 4-byte Folded Reload
	buffer_load_dword v72, off, s[24:27], 0 offset:252 ; 4-byte Folded Reload
	s_waitcnt lgkmcnt(0)
	v_mul_f64 v[95:96], v[91:92], v[99:100]
	v_fma_f64 v[95:96], v[89:90], v[125:126], -v[95:96]
	v_mul_f64 v[89:90], v[89:90], v[99:100]
	v_fma_f64 v[89:90], v[91:92], v[125:126], v[89:90]
	s_waitcnt vmcnt(2)
	v_add_f64 v[69:70], v[69:70], -v[95:96]
	s_waitcnt vmcnt(0)
	v_add_f64 v[71:72], v[71:72], -v[89:90]
	buffer_store_dword v69, off, s[24:27], 0 offset:240 ; 4-byte Folded Spill
	s_nop 0
	buffer_store_dword v70, off, s[24:27], 0 offset:244 ; 4-byte Folded Spill
	buffer_store_dword v71, off, s[24:27], 0 offset:248 ; 4-byte Folded Spill
	buffer_store_dword v72, off, s[24:27], 0 offset:252 ; 4-byte Folded Spill
	ds_read2_b64 v[89:92], v0 offset0:28 offset1:29
	buffer_load_dword v69, off, s[24:27], 0 offset:224 ; 4-byte Folded Reload
	buffer_load_dword v70, off, s[24:27], 0 offset:228 ; 4-byte Folded Reload
	buffer_load_dword v71, off, s[24:27], 0 offset:232 ; 4-byte Folded Reload
	buffer_load_dword v72, off, s[24:27], 0 offset:236 ; 4-byte Folded Reload
	s_waitcnt lgkmcnt(0)
	v_mul_f64 v[95:96], v[91:92], v[99:100]
	v_fma_f64 v[95:96], v[89:90], v[125:126], -v[95:96]
	v_mul_f64 v[89:90], v[89:90], v[99:100]
	v_fma_f64 v[89:90], v[91:92], v[125:126], v[89:90]
	s_waitcnt vmcnt(2)
	v_add_f64 v[69:70], v[69:70], -v[95:96]
	s_waitcnt vmcnt(0)
	v_add_f64 v[71:72], v[71:72], -v[89:90]
	buffer_store_dword v69, off, s[24:27], 0 offset:224 ; 4-byte Folded Spill
	s_nop 0
	buffer_store_dword v70, off, s[24:27], 0 offset:228 ; 4-byte Folded Spill
	buffer_store_dword v71, off, s[24:27], 0 offset:232 ; 4-byte Folded Spill
	buffer_store_dword v72, off, s[24:27], 0 offset:236 ; 4-byte Folded Spill
	ds_read2_b64 v[89:92], v0 offset0:30 offset1:31
	buffer_load_dword v69, off, s[24:27], 0 offset:208 ; 4-byte Folded Reload
	buffer_load_dword v70, off, s[24:27], 0 offset:212 ; 4-byte Folded Reload
	buffer_load_dword v71, off, s[24:27], 0 offset:216 ; 4-byte Folded Reload
	buffer_load_dword v72, off, s[24:27], 0 offset:220 ; 4-byte Folded Reload
	s_waitcnt lgkmcnt(0)
	v_mul_f64 v[95:96], v[91:92], v[99:100]
	v_fma_f64 v[95:96], v[89:90], v[125:126], -v[95:96]
	v_mul_f64 v[89:90], v[89:90], v[99:100]
	v_fma_f64 v[89:90], v[91:92], v[125:126], v[89:90]
	s_waitcnt vmcnt(2)
	v_add_f64 v[69:70], v[69:70], -v[95:96]
	s_waitcnt vmcnt(0)
	v_add_f64 v[71:72], v[71:72], -v[89:90]
	buffer_store_dword v69, off, s[24:27], 0 offset:208 ; 4-byte Folded Spill
	s_nop 0
	buffer_store_dword v70, off, s[24:27], 0 offset:212 ; 4-byte Folded Spill
	buffer_store_dword v71, off, s[24:27], 0 offset:216 ; 4-byte Folded Spill
	buffer_store_dword v72, off, s[24:27], 0 offset:220 ; 4-byte Folded Spill
	ds_read2_b64 v[89:92], v0 offset0:32 offset1:33
	buffer_load_dword v69, off, s[24:27], 0 offset:192 ; 4-byte Folded Reload
	buffer_load_dword v70, off, s[24:27], 0 offset:196 ; 4-byte Folded Reload
	buffer_load_dword v71, off, s[24:27], 0 offset:200 ; 4-byte Folded Reload
	buffer_load_dword v72, off, s[24:27], 0 offset:204 ; 4-byte Folded Reload
	s_waitcnt lgkmcnt(0)
	v_mul_f64 v[95:96], v[91:92], v[99:100]
	v_fma_f64 v[95:96], v[89:90], v[125:126], -v[95:96]
	v_mul_f64 v[89:90], v[89:90], v[99:100]
	v_fma_f64 v[89:90], v[91:92], v[125:126], v[89:90]
	s_waitcnt vmcnt(2)
	v_add_f64 v[69:70], v[69:70], -v[95:96]
	s_waitcnt vmcnt(0)
	v_add_f64 v[71:72], v[71:72], -v[89:90]
	buffer_store_dword v69, off, s[24:27], 0 offset:192 ; 4-byte Folded Spill
	s_nop 0
	buffer_store_dword v70, off, s[24:27], 0 offset:196 ; 4-byte Folded Spill
	buffer_store_dword v71, off, s[24:27], 0 offset:200 ; 4-byte Folded Spill
	buffer_store_dword v72, off, s[24:27], 0 offset:204 ; 4-byte Folded Spill
	ds_read2_b64 v[89:92], v0 offset0:34 offset1:35
	buffer_load_dword v69, off, s[24:27], 0 offset:176 ; 4-byte Folded Reload
	buffer_load_dword v70, off, s[24:27], 0 offset:180 ; 4-byte Folded Reload
	buffer_load_dword v71, off, s[24:27], 0 offset:184 ; 4-byte Folded Reload
	buffer_load_dword v72, off, s[24:27], 0 offset:188 ; 4-byte Folded Reload
	s_waitcnt lgkmcnt(0)
	v_mul_f64 v[95:96], v[91:92], v[99:100]
	v_fma_f64 v[95:96], v[89:90], v[125:126], -v[95:96]
	v_mul_f64 v[89:90], v[89:90], v[99:100]
	v_fma_f64 v[89:90], v[91:92], v[125:126], v[89:90]
	s_waitcnt vmcnt(2)
	v_add_f64 v[69:70], v[69:70], -v[95:96]
	s_waitcnt vmcnt(0)
	v_add_f64 v[71:72], v[71:72], -v[89:90]
	buffer_store_dword v69, off, s[24:27], 0 offset:176 ; 4-byte Folded Spill
	s_nop 0
	buffer_store_dword v70, off, s[24:27], 0 offset:180 ; 4-byte Folded Spill
	buffer_store_dword v71, off, s[24:27], 0 offset:184 ; 4-byte Folded Spill
	buffer_store_dword v72, off, s[24:27], 0 offset:188 ; 4-byte Folded Spill
	ds_read2_b64 v[89:92], v0 offset0:36 offset1:37
	buffer_load_dword v69, off, s[24:27], 0 offset:160 ; 4-byte Folded Reload
	buffer_load_dword v70, off, s[24:27], 0 offset:164 ; 4-byte Folded Reload
	buffer_load_dword v71, off, s[24:27], 0 offset:168 ; 4-byte Folded Reload
	buffer_load_dword v72, off, s[24:27], 0 offset:172 ; 4-byte Folded Reload
	s_waitcnt lgkmcnt(0)
	v_mul_f64 v[95:96], v[91:92], v[99:100]
	v_fma_f64 v[95:96], v[89:90], v[125:126], -v[95:96]
	v_mul_f64 v[89:90], v[89:90], v[99:100]
	v_fma_f64 v[89:90], v[91:92], v[125:126], v[89:90]
	s_waitcnt vmcnt(2)
	v_add_f64 v[69:70], v[69:70], -v[95:96]
	s_waitcnt vmcnt(0)
	v_add_f64 v[71:72], v[71:72], -v[89:90]
	buffer_store_dword v69, off, s[24:27], 0 offset:160 ; 4-byte Folded Spill
	s_nop 0
	buffer_store_dword v70, off, s[24:27], 0 offset:164 ; 4-byte Folded Spill
	buffer_store_dword v71, off, s[24:27], 0 offset:168 ; 4-byte Folded Spill
	buffer_store_dword v72, off, s[24:27], 0 offset:172 ; 4-byte Folded Spill
	ds_read2_b64 v[89:92], v0 offset0:38 offset1:39
	buffer_load_dword v69, off, s[24:27], 0 offset:144 ; 4-byte Folded Reload
	buffer_load_dword v70, off, s[24:27], 0 offset:148 ; 4-byte Folded Reload
	buffer_load_dword v71, off, s[24:27], 0 offset:152 ; 4-byte Folded Reload
	buffer_load_dword v72, off, s[24:27], 0 offset:156 ; 4-byte Folded Reload
	s_waitcnt lgkmcnt(0)
	v_mul_f64 v[95:96], v[91:92], v[99:100]
	v_fma_f64 v[95:96], v[89:90], v[125:126], -v[95:96]
	v_mul_f64 v[89:90], v[89:90], v[99:100]
	v_fma_f64 v[89:90], v[91:92], v[125:126], v[89:90]
	s_waitcnt vmcnt(2)
	v_add_f64 v[69:70], v[69:70], -v[95:96]
	s_waitcnt vmcnt(0)
	v_add_f64 v[71:72], v[71:72], -v[89:90]
	buffer_store_dword v69, off, s[24:27], 0 offset:144 ; 4-byte Folded Spill
	s_nop 0
	buffer_store_dword v70, off, s[24:27], 0 offset:148 ; 4-byte Folded Spill
	buffer_store_dword v71, off, s[24:27], 0 offset:152 ; 4-byte Folded Spill
	buffer_store_dword v72, off, s[24:27], 0 offset:156 ; 4-byte Folded Spill
	ds_read2_b64 v[89:92], v0 offset0:40 offset1:41
	buffer_load_dword v69, off, s[24:27], 0 offset:128 ; 4-byte Folded Reload
	buffer_load_dword v70, off, s[24:27], 0 offset:132 ; 4-byte Folded Reload
	buffer_load_dword v71, off, s[24:27], 0 offset:136 ; 4-byte Folded Reload
	buffer_load_dword v72, off, s[24:27], 0 offset:140 ; 4-byte Folded Reload
	s_waitcnt lgkmcnt(0)
	v_mul_f64 v[95:96], v[91:92], v[99:100]
	v_fma_f64 v[95:96], v[89:90], v[125:126], -v[95:96]
	v_mul_f64 v[89:90], v[89:90], v[99:100]
	v_fma_f64 v[89:90], v[91:92], v[125:126], v[89:90]
	s_waitcnt vmcnt(2)
	v_add_f64 v[69:70], v[69:70], -v[95:96]
	s_waitcnt vmcnt(0)
	v_add_f64 v[71:72], v[71:72], -v[89:90]
	buffer_store_dword v69, off, s[24:27], 0 offset:128 ; 4-byte Folded Spill
	s_nop 0
	buffer_store_dword v70, off, s[24:27], 0 offset:132 ; 4-byte Folded Spill
	buffer_store_dword v71, off, s[24:27], 0 offset:136 ; 4-byte Folded Spill
	buffer_store_dword v72, off, s[24:27], 0 offset:140 ; 4-byte Folded Spill
	ds_read2_b64 v[89:92], v0 offset0:42 offset1:43
	buffer_load_dword v69, off, s[24:27], 0 offset:112 ; 4-byte Folded Reload
	buffer_load_dword v70, off, s[24:27], 0 offset:116 ; 4-byte Folded Reload
	buffer_load_dword v71, off, s[24:27], 0 offset:120 ; 4-byte Folded Reload
	buffer_load_dword v72, off, s[24:27], 0 offset:124 ; 4-byte Folded Reload
	s_waitcnt lgkmcnt(0)
	v_mul_f64 v[95:96], v[91:92], v[99:100]
	v_fma_f64 v[95:96], v[89:90], v[125:126], -v[95:96]
	v_mul_f64 v[89:90], v[89:90], v[99:100]
	v_fma_f64 v[89:90], v[91:92], v[125:126], v[89:90]
	s_waitcnt vmcnt(2)
	v_add_f64 v[69:70], v[69:70], -v[95:96]
	s_waitcnt vmcnt(0)
	v_add_f64 v[71:72], v[71:72], -v[89:90]
	buffer_store_dword v69, off, s[24:27], 0 offset:112 ; 4-byte Folded Spill
	s_nop 0
	buffer_store_dword v70, off, s[24:27], 0 offset:116 ; 4-byte Folded Spill
	buffer_store_dword v71, off, s[24:27], 0 offset:120 ; 4-byte Folded Spill
	buffer_store_dword v72, off, s[24:27], 0 offset:124 ; 4-byte Folded Spill
	ds_read2_b64 v[89:92], v0 offset0:44 offset1:45
	buffer_load_dword v69, off, s[24:27], 0 offset:96 ; 4-byte Folded Reload
	buffer_load_dword v70, off, s[24:27], 0 offset:100 ; 4-byte Folded Reload
	buffer_load_dword v71, off, s[24:27], 0 offset:104 ; 4-byte Folded Reload
	buffer_load_dword v72, off, s[24:27], 0 offset:108 ; 4-byte Folded Reload
	s_waitcnt lgkmcnt(0)
	v_mul_f64 v[95:96], v[91:92], v[99:100]
	v_fma_f64 v[95:96], v[89:90], v[125:126], -v[95:96]
	v_mul_f64 v[89:90], v[89:90], v[99:100]
	v_fma_f64 v[89:90], v[91:92], v[125:126], v[89:90]
	s_waitcnt vmcnt(2)
	v_add_f64 v[69:70], v[69:70], -v[95:96]
	s_waitcnt vmcnt(0)
	v_add_f64 v[71:72], v[71:72], -v[89:90]
	buffer_store_dword v69, off, s[24:27], 0 offset:96 ; 4-byte Folded Spill
	s_nop 0
	buffer_store_dword v70, off, s[24:27], 0 offset:100 ; 4-byte Folded Spill
	buffer_store_dword v71, off, s[24:27], 0 offset:104 ; 4-byte Folded Spill
	buffer_store_dword v72, off, s[24:27], 0 offset:108 ; 4-byte Folded Spill
	ds_read2_b64 v[89:92], v0 offset0:46 offset1:47
	buffer_load_dword v69, off, s[24:27], 0 offset:80 ; 4-byte Folded Reload
	buffer_load_dword v70, off, s[24:27], 0 offset:84 ; 4-byte Folded Reload
	buffer_load_dword v71, off, s[24:27], 0 offset:88 ; 4-byte Folded Reload
	buffer_load_dword v72, off, s[24:27], 0 offset:92 ; 4-byte Folded Reload
	s_waitcnt lgkmcnt(0)
	v_mul_f64 v[95:96], v[91:92], v[99:100]
	v_fma_f64 v[95:96], v[89:90], v[125:126], -v[95:96]
	v_mul_f64 v[89:90], v[89:90], v[99:100]
	v_fma_f64 v[89:90], v[91:92], v[125:126], v[89:90]
	s_waitcnt vmcnt(2)
	v_add_f64 v[69:70], v[69:70], -v[95:96]
	s_waitcnt vmcnt(0)
	v_add_f64 v[71:72], v[71:72], -v[89:90]
	buffer_store_dword v69, off, s[24:27], 0 offset:80 ; 4-byte Folded Spill
	s_nop 0
	buffer_store_dword v70, off, s[24:27], 0 offset:84 ; 4-byte Folded Spill
	buffer_store_dword v71, off, s[24:27], 0 offset:88 ; 4-byte Folded Spill
	buffer_store_dword v72, off, s[24:27], 0 offset:92 ; 4-byte Folded Spill
	ds_read2_b64 v[89:92], v0 offset0:48 offset1:49
	buffer_load_dword v69, off, s[24:27], 0 offset:64 ; 4-byte Folded Reload
	buffer_load_dword v70, off, s[24:27], 0 offset:68 ; 4-byte Folded Reload
	buffer_load_dword v71, off, s[24:27], 0 offset:72 ; 4-byte Folded Reload
	buffer_load_dword v72, off, s[24:27], 0 offset:76 ; 4-byte Folded Reload
	s_waitcnt lgkmcnt(0)
	v_mul_f64 v[95:96], v[91:92], v[99:100]
	v_fma_f64 v[95:96], v[89:90], v[125:126], -v[95:96]
	v_mul_f64 v[89:90], v[89:90], v[99:100]
	v_fma_f64 v[89:90], v[91:92], v[125:126], v[89:90]
	s_waitcnt vmcnt(2)
	v_add_f64 v[69:70], v[69:70], -v[95:96]
	s_waitcnt vmcnt(0)
	v_add_f64 v[71:72], v[71:72], -v[89:90]
	buffer_store_dword v69, off, s[24:27], 0 offset:64 ; 4-byte Folded Spill
	s_nop 0
	buffer_store_dword v70, off, s[24:27], 0 offset:68 ; 4-byte Folded Spill
	buffer_store_dword v71, off, s[24:27], 0 offset:72 ; 4-byte Folded Spill
	buffer_store_dword v72, off, s[24:27], 0 offset:76 ; 4-byte Folded Spill
	ds_read2_b64 v[89:92], v0 offset0:50 offset1:51
	buffer_load_dword v69, off, s[24:27], 0 offset:48 ; 4-byte Folded Reload
	buffer_load_dword v70, off, s[24:27], 0 offset:52 ; 4-byte Folded Reload
	buffer_load_dword v71, off, s[24:27], 0 offset:56 ; 4-byte Folded Reload
	buffer_load_dword v72, off, s[24:27], 0 offset:60 ; 4-byte Folded Reload
	s_waitcnt lgkmcnt(0)
	v_mul_f64 v[95:96], v[91:92], v[99:100]
	v_fma_f64 v[95:96], v[89:90], v[125:126], -v[95:96]
	v_mul_f64 v[89:90], v[89:90], v[99:100]
	v_fma_f64 v[89:90], v[91:92], v[125:126], v[89:90]
	s_waitcnt vmcnt(2)
	v_add_f64 v[69:70], v[69:70], -v[95:96]
	s_waitcnt vmcnt(0)
	v_add_f64 v[71:72], v[71:72], -v[89:90]
	buffer_store_dword v69, off, s[24:27], 0 offset:48 ; 4-byte Folded Spill
	s_nop 0
	buffer_store_dword v70, off, s[24:27], 0 offset:52 ; 4-byte Folded Spill
	buffer_store_dword v71, off, s[24:27], 0 offset:56 ; 4-byte Folded Spill
	buffer_store_dword v72, off, s[24:27], 0 offset:60 ; 4-byte Folded Spill
	ds_read2_b64 v[89:92], v0 offset0:52 offset1:53
	buffer_load_dword v69, off, s[24:27], 0 offset:32 ; 4-byte Folded Reload
	buffer_load_dword v70, off, s[24:27], 0 offset:36 ; 4-byte Folded Reload
	buffer_load_dword v71, off, s[24:27], 0 offset:40 ; 4-byte Folded Reload
	buffer_load_dword v72, off, s[24:27], 0 offset:44 ; 4-byte Folded Reload
	s_waitcnt lgkmcnt(0)
	v_mul_f64 v[95:96], v[91:92], v[99:100]
	v_fma_f64 v[95:96], v[89:90], v[125:126], -v[95:96]
	v_mul_f64 v[89:90], v[89:90], v[99:100]
	v_fma_f64 v[89:90], v[91:92], v[125:126], v[89:90]
	s_waitcnt vmcnt(2)
	v_add_f64 v[69:70], v[69:70], -v[95:96]
	s_waitcnt vmcnt(0)
	v_add_f64 v[71:72], v[71:72], -v[89:90]
	buffer_store_dword v69, off, s[24:27], 0 offset:32 ; 4-byte Folded Spill
	s_nop 0
	buffer_store_dword v70, off, s[24:27], 0 offset:36 ; 4-byte Folded Spill
	buffer_store_dword v71, off, s[24:27], 0 offset:40 ; 4-byte Folded Spill
	buffer_store_dword v72, off, s[24:27], 0 offset:44 ; 4-byte Folded Spill
	ds_read2_b64 v[89:92], v0 offset0:54 offset1:55
	buffer_load_dword v69, off, s[24:27], 0 offset:16 ; 4-byte Folded Reload
	buffer_load_dword v70, off, s[24:27], 0 offset:20 ; 4-byte Folded Reload
	buffer_load_dword v71, off, s[24:27], 0 offset:24 ; 4-byte Folded Reload
	buffer_load_dword v72, off, s[24:27], 0 offset:28 ; 4-byte Folded Reload
	s_waitcnt lgkmcnt(0)
	v_mul_f64 v[95:96], v[91:92], v[99:100]
	v_fma_f64 v[95:96], v[89:90], v[125:126], -v[95:96]
	v_mul_f64 v[89:90], v[89:90], v[99:100]
	v_fma_f64 v[89:90], v[91:92], v[125:126], v[89:90]
	s_waitcnt vmcnt(2)
	v_add_f64 v[69:70], v[69:70], -v[95:96]
	s_waitcnt vmcnt(0)
	v_add_f64 v[71:72], v[71:72], -v[89:90]
	buffer_store_dword v69, off, s[24:27], 0 offset:16 ; 4-byte Folded Spill
	s_nop 0
	buffer_store_dword v70, off, s[24:27], 0 offset:20 ; 4-byte Folded Spill
	buffer_store_dword v71, off, s[24:27], 0 offset:24 ; 4-byte Folded Spill
	buffer_store_dword v72, off, s[24:27], 0 offset:28 ; 4-byte Folded Spill
	ds_read2_b64 v[89:92], v0 offset0:56 offset1:57
	s_waitcnt lgkmcnt(0)
	v_mul_f64 v[95:96], v[91:92], v[99:100]
	v_fma_f64 v[95:96], v[89:90], v[125:126], -v[95:96]
	v_mul_f64 v[89:90], v[89:90], v[99:100]
	v_add_f64 v[81:82], v[81:82], -v[95:96]
	v_fma_f64 v[89:90], v[91:92], v[125:126], v[89:90]
	v_add_f64 v[83:84], v[83:84], -v[89:90]
	ds_read2_b64 v[89:92], v0 offset0:58 offset1:59
	s_waitcnt lgkmcnt(0)
	v_mul_f64 v[95:96], v[91:92], v[99:100]
	v_fma_f64 v[95:96], v[89:90], v[125:126], -v[95:96]
	v_mul_f64 v[89:90], v[89:90], v[99:100]
	v_add_f64 v[85:86], v[85:86], -v[95:96]
	v_fma_f64 v[89:90], v[91:92], v[125:126], v[89:90]
	v_add_f64 v[87:88], v[87:88], -v[89:90]
	;; [unrolled: 8-line block ×6, first 2 shown]
	ds_read2_b64 v[89:92], v0 offset0:68 offset1:69
	buffer_load_dword v69, off, s[24:27], 0 ; 4-byte Folded Reload
	buffer_load_dword v70, off, s[24:27], 0 offset:4 ; 4-byte Folded Reload
	buffer_load_dword v71, off, s[24:27], 0 offset:8 ; 4-byte Folded Reload
	;; [unrolled: 1-line block ×3, first 2 shown]
	s_waitcnt lgkmcnt(0)
	v_mul_f64 v[95:96], v[91:92], v[99:100]
	v_fma_f64 v[95:96], v[89:90], v[125:126], -v[95:96]
	v_mul_f64 v[89:90], v[89:90], v[99:100]
	v_fma_f64 v[89:90], v[91:92], v[125:126], v[89:90]
	s_waitcnt vmcnt(2)
	v_add_f64 v[69:70], v[69:70], -v[95:96]
	s_waitcnt vmcnt(0)
	v_add_f64 v[71:72], v[71:72], -v[89:90]
	buffer_store_dword v69, off, s[24:27], 0 ; 4-byte Folded Spill
	s_nop 0
	buffer_store_dword v70, off, s[24:27], 0 offset:4 ; 4-byte Folded Spill
	buffer_store_dword v71, off, s[24:27], 0 offset:8 ; 4-byte Folded Spill
	;; [unrolled: 1-line block ×3, first 2 shown]
	ds_read2_b64 v[89:92], v0 offset0:70 offset1:71
	s_waitcnt lgkmcnt(0)
	v_mul_f64 v[95:96], v[91:92], v[99:100]
	v_fma_f64 v[95:96], v[89:90], v[125:126], -v[95:96]
	v_mul_f64 v[89:90], v[89:90], v[99:100]
	v_add_f64 v[65:66], v[65:66], -v[95:96]
	v_fma_f64 v[89:90], v[91:92], v[125:126], v[89:90]
	v_add_f64 v[67:68], v[67:68], -v[89:90]
	ds_read2_b64 v[89:92], v0 offset0:72 offset1:73
	s_waitcnt lgkmcnt(0)
	v_mul_f64 v[95:96], v[91:92], v[99:100]
	v_fma_f64 v[95:96], v[89:90], v[125:126], -v[95:96]
	v_mul_f64 v[89:90], v[89:90], v[99:100]
	v_add_f64 v[61:62], v[61:62], -v[95:96]
	v_fma_f64 v[89:90], v[91:92], v[125:126], v[89:90]
	v_add_f64 v[63:64], v[63:64], -v[89:90]
	;; [unrolled: 8-line block ×16, first 2 shown]
	ds_read2_b64 v[89:92], v0 offset0:102 offset1:103
	s_waitcnt lgkmcnt(0)
	v_mul_f64 v[95:96], v[91:92], v[99:100]
	v_fma_f64 v[95:96], v[89:90], v[125:126], -v[95:96]
	v_mul_f64 v[89:90], v[89:90], v[99:100]
	v_add_f64 v[1:2], v[1:2], -v[95:96]
	v_fma_f64 v[89:90], v[91:92], v[125:126], v[89:90]
	ds_read2_b64 v[95:98], v0 offset0:104 offset1:105
	s_waitcnt lgkmcnt(0)
	v_mul_f64 v[91:92], v[95:96], v[99:100]
	v_add_f64 v[3:4], v[3:4], -v[89:90]
	v_mul_f64 v[89:90], v[97:98], v[99:100]
	v_fma_f64 v[91:92], v[97:98], v[125:126], v[91:92]
	v_mov_b32_e32 v97, v125
	v_mov_b32_e32 v98, v126
	v_fma_f64 v[89:90], v[95:96], v[125:126], -v[89:90]
	buffer_store_dword v97, off, s[24:27], 0 offset:336 ; 4-byte Folded Spill
	s_nop 0
	buffer_store_dword v98, off, s[24:27], 0 offset:340 ; 4-byte Folded Spill
	buffer_store_dword v99, off, s[24:27], 0 offset:344 ; 4-byte Folded Spill
	;; [unrolled: 1-line block ×3, first 2 shown]
	v_add_f64 v[123:124], v[123:124], -v[91:92]
	v_add_f64 v[121:122], v[121:122], -v[89:90]
.LBB104_167:
	s_or_b64 exec, exec, s[0:1]
	s_waitcnt vmcnt(0)
	s_barrier
	buffer_load_dword v69, off, s[24:27], 0 offset:320 ; 4-byte Folded Reload
	buffer_load_dword v70, off, s[24:27], 0 offset:324 ; 4-byte Folded Reload
	;; [unrolled: 1-line block ×4, first 2 shown]
	v_lshl_add_u32 v89, v93, 4, v0
	s_cmp_lt_i32 s3, 10
	s_waitcnt vmcnt(0)
	ds_write2_b64 v89, v[69:70], v[71:72] offset1:1
	s_waitcnt lgkmcnt(0)
	s_barrier
	ds_read2_b64 v[117:120], v0 offset0:16 offset1:17
	v_mov_b32_e32 v89, 8
	s_cbranch_scc1 .LBB104_170
; %bb.168:
	v_add_u32_e32 v90, 0x90, v0
	s_mov_b32 s0, 9
	v_mov_b32_e32 v89, 8
.LBB104_169:                            ; =>This Inner Loop Header: Depth=1
	s_waitcnt lgkmcnt(0)
	v_cmp_gt_f64_e32 vcc, 0, v[117:118]
	v_xor_b32_e32 v91, 0x80000000, v118
	ds_read2_b64 v[95:98], v90 offset1:1
	v_xor_b32_e32 v99, 0x80000000, v120
	v_add_u32_e32 v90, 16, v90
	s_waitcnt lgkmcnt(0)
	v_xor_b32_e32 v101, 0x80000000, v98
	v_cndmask_b32_e32 v92, v118, v91, vcc
	v_cmp_gt_f64_e32 vcc, 0, v[119:120]
	v_mov_b32_e32 v91, v117
	v_cndmask_b32_e32 v100, v120, v99, vcc
	v_cmp_gt_f64_e32 vcc, 0, v[95:96]
	v_mov_b32_e32 v99, v119
	v_add_f64 v[91:92], v[91:92], v[99:100]
	v_xor_b32_e32 v99, 0x80000000, v96
	v_cndmask_b32_e32 v100, v96, v99, vcc
	v_cmp_gt_f64_e32 vcc, 0, v[97:98]
	v_mov_b32_e32 v99, v95
	v_cndmask_b32_e32 v102, v98, v101, vcc
	v_mov_b32_e32 v101, v97
	v_add_f64 v[99:100], v[99:100], v[101:102]
	v_cmp_lt_f64_e32 vcc, v[91:92], v[99:100]
	v_mov_b32_e32 v91, s0
	s_add_i32 s0, s0, 1
	s_cmp_lg_u32 s3, s0
	v_cndmask_b32_e32 v118, v118, v96, vcc
	v_cndmask_b32_e32 v117, v117, v95, vcc
	v_cndmask_b32_e32 v120, v120, v98, vcc
	v_cndmask_b32_e32 v119, v119, v97, vcc
	v_cndmask_b32_e32 v89, v89, v91, vcc
	s_cbranch_scc1 .LBB104_169
.LBB104_170:
	s_waitcnt lgkmcnt(0)
	v_cmp_eq_f64_e32 vcc, 0, v[117:118]
	v_cmp_eq_f64_e64 s[0:1], 0, v[119:120]
	s_and_b64 s[0:1], vcc, s[0:1]
	s_and_saveexec_b64 s[18:19], s[0:1]
	s_xor_b64 s[0:1], exec, s[18:19]
; %bb.171:
	v_cmp_ne_u32_e32 vcc, 0, v94
	v_cndmask_b32_e32 v94, 9, v94, vcc
; %bb.172:
	s_andn2_saveexec_b64 s[0:1], s[0:1]
	s_cbranch_execz .LBB104_178
; %bb.173:
	v_cmp_ngt_f64_e64 s[18:19], |v[117:118]|, |v[119:120]|
	s_and_saveexec_b64 s[20:21], s[18:19]
	s_xor_b64 s[18:19], exec, s[20:21]
	s_cbranch_execz .LBB104_175
; %bb.174:
	v_div_scale_f64 v[90:91], s[20:21], v[119:120], v[119:120], v[117:118]
	v_rcp_f64_e32 v[95:96], v[90:91]
	v_fma_f64 v[97:98], -v[90:91], v[95:96], 1.0
	v_fma_f64 v[95:96], v[95:96], v[97:98], v[95:96]
	v_div_scale_f64 v[97:98], vcc, v[117:118], v[119:120], v[117:118]
	v_fma_f64 v[99:100], -v[90:91], v[95:96], 1.0
	v_fma_f64 v[95:96], v[95:96], v[99:100], v[95:96]
	v_mul_f64 v[99:100], v[97:98], v[95:96]
	v_fma_f64 v[90:91], -v[90:91], v[99:100], v[97:98]
	v_div_fmas_f64 v[90:91], v[90:91], v[95:96], v[99:100]
	v_div_fixup_f64 v[90:91], v[90:91], v[119:120], v[117:118]
	v_fma_f64 v[95:96], v[117:118], v[90:91], v[119:120]
	v_div_scale_f64 v[97:98], s[20:21], v[95:96], v[95:96], 1.0
	v_div_scale_f64 v[103:104], vcc, 1.0, v[95:96], 1.0
	v_rcp_f64_e32 v[99:100], v[97:98]
	v_fma_f64 v[101:102], -v[97:98], v[99:100], 1.0
	v_fma_f64 v[99:100], v[99:100], v[101:102], v[99:100]
	v_fma_f64 v[101:102], -v[97:98], v[99:100], 1.0
	v_fma_f64 v[99:100], v[99:100], v[101:102], v[99:100]
	v_mul_f64 v[101:102], v[103:104], v[99:100]
	v_fma_f64 v[97:98], -v[97:98], v[101:102], v[103:104]
	v_div_fmas_f64 v[97:98], v[97:98], v[99:100], v[101:102]
	v_div_fixup_f64 v[119:120], v[97:98], v[95:96], 1.0
	v_mul_f64 v[117:118], v[90:91], v[119:120]
	v_xor_b32_e32 v120, 0x80000000, v120
.LBB104_175:
	s_andn2_saveexec_b64 s[18:19], s[18:19]
	s_cbranch_execz .LBB104_177
; %bb.176:
	v_div_scale_f64 v[90:91], s[20:21], v[117:118], v[117:118], v[119:120]
	v_rcp_f64_e32 v[95:96], v[90:91]
	v_fma_f64 v[97:98], -v[90:91], v[95:96], 1.0
	v_fma_f64 v[95:96], v[95:96], v[97:98], v[95:96]
	v_div_scale_f64 v[97:98], vcc, v[119:120], v[117:118], v[119:120]
	v_fma_f64 v[99:100], -v[90:91], v[95:96], 1.0
	v_fma_f64 v[95:96], v[95:96], v[99:100], v[95:96]
	v_mul_f64 v[99:100], v[97:98], v[95:96]
	v_fma_f64 v[90:91], -v[90:91], v[99:100], v[97:98]
	v_div_fmas_f64 v[90:91], v[90:91], v[95:96], v[99:100]
	v_div_fixup_f64 v[90:91], v[90:91], v[117:118], v[119:120]
	v_fma_f64 v[95:96], v[119:120], v[90:91], v[117:118]
	v_div_scale_f64 v[97:98], s[20:21], v[95:96], v[95:96], 1.0
	v_div_scale_f64 v[103:104], vcc, 1.0, v[95:96], 1.0
	v_rcp_f64_e32 v[99:100], v[97:98]
	v_fma_f64 v[101:102], -v[97:98], v[99:100], 1.0
	v_fma_f64 v[99:100], v[99:100], v[101:102], v[99:100]
	v_fma_f64 v[101:102], -v[97:98], v[99:100], 1.0
	v_fma_f64 v[99:100], v[99:100], v[101:102], v[99:100]
	v_mul_f64 v[101:102], v[103:104], v[99:100]
	v_fma_f64 v[97:98], -v[97:98], v[101:102], v[103:104]
	v_div_fmas_f64 v[97:98], v[97:98], v[99:100], v[101:102]
	v_div_fixup_f64 v[117:118], v[97:98], v[95:96], 1.0
	v_mul_f64 v[119:120], v[90:91], -v[117:118]
.LBB104_177:
	s_or_b64 exec, exec, s[18:19]
.LBB104_178:
	s_or_b64 exec, exec, s[0:1]
	v_cmp_ne_u32_e32 vcc, v93, v89
	s_and_saveexec_b64 s[0:1], vcc
	s_xor_b64 s[0:1], exec, s[0:1]
	s_cbranch_execz .LBB104_184
; %bb.179:
	v_cmp_eq_u32_e32 vcc, 8, v93
	s_and_saveexec_b64 s[18:19], vcc
	s_cbranch_execz .LBB104_183
; %bb.180:
	v_cmp_ne_u32_e32 vcc, 8, v89
	s_xor_b64 s[20:21], s[6:7], -1
	s_and_b64 s[22:23], s[20:21], vcc
	s_and_saveexec_b64 s[20:21], s[22:23]
	s_cbranch_execz .LBB104_182
; %bb.181:
	v_mov_b32_e32 v69, v81
	v_mov_b32_e32 v70, v82
	;; [unrolled: 1-line block ×4, first 2 shown]
	buffer_load_dword v81, off, s[24:27], 0 offset:420 ; 4-byte Folded Reload
	buffer_load_dword v82, off, s[24:27], 0 offset:424 ; 4-byte Folded Reload
	v_ashrrev_i32_e32 v90, 31, v89
	v_lshlrev_b64 v[90:91], 2, v[89:90]
	s_waitcnt vmcnt(1)
	v_add_co_u32_e32 v90, vcc, v81, v90
	s_waitcnt vmcnt(0)
	v_addc_co_u32_e32 v91, vcc, v82, v91, vcc
	global_load_dword v92, v[90:91], off
	global_load_dword v93, v[81:82], off offset:32
	s_waitcnt vmcnt(1)
	global_store_dword v[81:82], v92, off offset:32
	v_mov_b32_e32 v84, v72
	v_mov_b32_e32 v83, v71
	;; [unrolled: 1-line block ×4, first 2 shown]
	s_waitcnt vmcnt(1)
	global_store_dword v[90:91], v93, off
.LBB104_182:
	s_or_b64 exec, exec, s[20:21]
	v_mov_b32_e32 v93, v89
	v_mov_b32_e32 v69, v89
	buffer_store_dword v69, off, s[24:27], 0 offset:352 ; 4-byte Folded Spill
.LBB104_183:
	s_or_b64 exec, exec, s[18:19]
.LBB104_184:
	s_andn2_saveexec_b64 s[0:1], s[0:1]
	s_cbranch_execz .LBB104_186
; %bb.185:
	buffer_load_dword v69, off, s[24:27], 0 offset:304 ; 4-byte Folded Reload
	buffer_load_dword v70, off, s[24:27], 0 offset:308 ; 4-byte Folded Reload
	;; [unrolled: 1-line block ×4, first 2 shown]
	v_mov_b32_e32 v93, 8
	s_waitcnt vmcnt(0)
	ds_write2_b64 v0, v[69:70], v[71:72] offset0:18 offset1:19
	buffer_load_dword v69, off, s[24:27], 0 offset:288 ; 4-byte Folded Reload
	buffer_load_dword v70, off, s[24:27], 0 offset:292 ; 4-byte Folded Reload
	buffer_load_dword v71, off, s[24:27], 0 offset:296 ; 4-byte Folded Reload
	buffer_load_dword v72, off, s[24:27], 0 offset:300 ; 4-byte Folded Reload
	s_waitcnt vmcnt(0)
	ds_write2_b64 v0, v[69:70], v[71:72] offset0:20 offset1:21
	buffer_load_dword v69, off, s[24:27], 0 offset:272 ; 4-byte Folded Reload
	buffer_load_dword v70, off, s[24:27], 0 offset:276 ; 4-byte Folded Reload
	buffer_load_dword v71, off, s[24:27], 0 offset:280 ; 4-byte Folded Reload
	buffer_load_dword v72, off, s[24:27], 0 offset:284 ; 4-byte Folded Reload
	;; [unrolled: 6-line block ×18, first 2 shown]
	s_waitcnt vmcnt(0)
	ds_write2_b64 v0, v[69:70], v[71:72] offset0:54 offset1:55
	ds_write2_b64 v0, v[81:82], v[83:84] offset0:56 offset1:57
	;; [unrolled: 1-line block ×7, first 2 shown]
	buffer_load_dword v69, off, s[24:27], 0 ; 4-byte Folded Reload
	buffer_load_dword v70, off, s[24:27], 0 offset:4 ; 4-byte Folded Reload
	buffer_load_dword v71, off, s[24:27], 0 offset:8 ; 4-byte Folded Reload
	;; [unrolled: 1-line block ×3, first 2 shown]
	s_waitcnt vmcnt(0)
	ds_write2_b64 v0, v[69:70], v[71:72] offset0:68 offset1:69
	ds_write2_b64 v0, v[65:66], v[67:68] offset0:70 offset1:71
	ds_write2_b64 v0, v[61:62], v[63:64] offset0:72 offset1:73
	ds_write2_b64 v0, v[57:58], v[59:60] offset0:74 offset1:75
	ds_write2_b64 v0, v[53:54], v[55:56] offset0:76 offset1:77
	ds_write2_b64 v0, v[49:50], v[51:52] offset0:78 offset1:79
	ds_write2_b64 v0, v[45:46], v[47:48] offset0:80 offset1:81
	ds_write2_b64 v0, v[41:42], v[43:44] offset0:82 offset1:83
	ds_write2_b64 v0, v[37:38], v[39:40] offset0:84 offset1:85
	ds_write2_b64 v0, v[33:34], v[35:36] offset0:86 offset1:87
	ds_write2_b64 v0, v[29:30], v[31:32] offset0:88 offset1:89
	ds_write2_b64 v0, v[25:26], v[27:28] offset0:90 offset1:91
	ds_write2_b64 v0, v[21:22], v[23:24] offset0:92 offset1:93
	ds_write2_b64 v0, v[17:18], v[19:20] offset0:94 offset1:95
	ds_write2_b64 v0, v[13:14], v[15:16] offset0:96 offset1:97
	ds_write2_b64 v0, v[9:10], v[11:12] offset0:98 offset1:99
	ds_write2_b64 v0, v[5:6], v[7:8] offset0:100 offset1:101
	ds_write2_b64 v0, v[1:2], v[3:4] offset0:102 offset1:103
	ds_write2_b64 v0, v[121:122], v[123:124] offset0:104 offset1:105
.LBB104_186:
	s_or_b64 exec, exec, s[0:1]
	v_cmp_lt_i32_e32 vcc, 8, v93
	s_waitcnt vmcnt(0) lgkmcnt(0)
	s_barrier
	s_and_saveexec_b64 s[0:1], vcc
	s_cbranch_execz .LBB104_188
; %bb.187:
	buffer_load_dword v97, off, s[24:27], 0 offset:320 ; 4-byte Folded Reload
	buffer_load_dword v98, off, s[24:27], 0 offset:324 ; 4-byte Folded Reload
	;; [unrolled: 1-line block ×4, first 2 shown]
	s_waitcnt vmcnt(0)
	v_mul_f64 v[89:90], v[119:120], v[99:100]
	v_fma_f64 v[125:126], v[117:118], v[97:98], -v[89:90]
	v_mul_f64 v[89:90], v[117:118], v[99:100]
	v_fma_f64 v[99:100], v[119:120], v[97:98], v[89:90]
	ds_read2_b64 v[89:92], v0 offset0:18 offset1:19
	buffer_load_dword v69, off, s[24:27], 0 offset:304 ; 4-byte Folded Reload
	buffer_load_dword v70, off, s[24:27], 0 offset:308 ; 4-byte Folded Reload
	buffer_load_dword v71, off, s[24:27], 0 offset:312 ; 4-byte Folded Reload
	buffer_load_dword v72, off, s[24:27], 0 offset:316 ; 4-byte Folded Reload
	s_waitcnt lgkmcnt(0)
	v_mul_f64 v[95:96], v[91:92], v[99:100]
	v_fma_f64 v[95:96], v[89:90], v[125:126], -v[95:96]
	v_mul_f64 v[89:90], v[89:90], v[99:100]
	v_fma_f64 v[89:90], v[91:92], v[125:126], v[89:90]
	s_waitcnt vmcnt(2)
	v_add_f64 v[69:70], v[69:70], -v[95:96]
	s_waitcnt vmcnt(0)
	v_add_f64 v[71:72], v[71:72], -v[89:90]
	buffer_store_dword v69, off, s[24:27], 0 offset:304 ; 4-byte Folded Spill
	s_nop 0
	buffer_store_dword v70, off, s[24:27], 0 offset:308 ; 4-byte Folded Spill
	buffer_store_dword v71, off, s[24:27], 0 offset:312 ; 4-byte Folded Spill
	buffer_store_dword v72, off, s[24:27], 0 offset:316 ; 4-byte Folded Spill
	ds_read2_b64 v[89:92], v0 offset0:20 offset1:21
	buffer_load_dword v69, off, s[24:27], 0 offset:288 ; 4-byte Folded Reload
	buffer_load_dword v70, off, s[24:27], 0 offset:292 ; 4-byte Folded Reload
	buffer_load_dword v71, off, s[24:27], 0 offset:296 ; 4-byte Folded Reload
	buffer_load_dword v72, off, s[24:27], 0 offset:300 ; 4-byte Folded Reload
	s_waitcnt lgkmcnt(0)
	v_mul_f64 v[95:96], v[91:92], v[99:100]
	v_fma_f64 v[95:96], v[89:90], v[125:126], -v[95:96]
	v_mul_f64 v[89:90], v[89:90], v[99:100]
	v_fma_f64 v[89:90], v[91:92], v[125:126], v[89:90]
	s_waitcnt vmcnt(2)
	v_add_f64 v[69:70], v[69:70], -v[95:96]
	s_waitcnt vmcnt(0)
	v_add_f64 v[71:72], v[71:72], -v[89:90]
	buffer_store_dword v69, off, s[24:27], 0 offset:288 ; 4-byte Folded Spill
	s_nop 0
	buffer_store_dword v70, off, s[24:27], 0 offset:292 ; 4-byte Folded Spill
	buffer_store_dword v71, off, s[24:27], 0 offset:296 ; 4-byte Folded Spill
	buffer_store_dword v72, off, s[24:27], 0 offset:300 ; 4-byte Folded Spill
	;; [unrolled: 19-line block ×19, first 2 shown]
	ds_read2_b64 v[89:92], v0 offset0:56 offset1:57
	s_waitcnt lgkmcnt(0)
	v_mul_f64 v[95:96], v[91:92], v[99:100]
	v_fma_f64 v[95:96], v[89:90], v[125:126], -v[95:96]
	v_mul_f64 v[89:90], v[89:90], v[99:100]
	v_add_f64 v[81:82], v[81:82], -v[95:96]
	v_fma_f64 v[89:90], v[91:92], v[125:126], v[89:90]
	v_add_f64 v[83:84], v[83:84], -v[89:90]
	ds_read2_b64 v[89:92], v0 offset0:58 offset1:59
	s_waitcnt lgkmcnt(0)
	v_mul_f64 v[95:96], v[91:92], v[99:100]
	v_fma_f64 v[95:96], v[89:90], v[125:126], -v[95:96]
	v_mul_f64 v[89:90], v[89:90], v[99:100]
	v_add_f64 v[85:86], v[85:86], -v[95:96]
	v_fma_f64 v[89:90], v[91:92], v[125:126], v[89:90]
	v_add_f64 v[87:88], v[87:88], -v[89:90]
	;; [unrolled: 8-line block ×6, first 2 shown]
	ds_read2_b64 v[89:92], v0 offset0:68 offset1:69
	buffer_load_dword v69, off, s[24:27], 0 ; 4-byte Folded Reload
	buffer_load_dword v70, off, s[24:27], 0 offset:4 ; 4-byte Folded Reload
	buffer_load_dword v71, off, s[24:27], 0 offset:8 ; 4-byte Folded Reload
	;; [unrolled: 1-line block ×3, first 2 shown]
	s_waitcnt lgkmcnt(0)
	v_mul_f64 v[95:96], v[91:92], v[99:100]
	v_fma_f64 v[95:96], v[89:90], v[125:126], -v[95:96]
	v_mul_f64 v[89:90], v[89:90], v[99:100]
	v_fma_f64 v[89:90], v[91:92], v[125:126], v[89:90]
	s_waitcnt vmcnt(2)
	v_add_f64 v[69:70], v[69:70], -v[95:96]
	s_waitcnt vmcnt(0)
	v_add_f64 v[71:72], v[71:72], -v[89:90]
	buffer_store_dword v69, off, s[24:27], 0 ; 4-byte Folded Spill
	s_nop 0
	buffer_store_dword v70, off, s[24:27], 0 offset:4 ; 4-byte Folded Spill
	buffer_store_dword v71, off, s[24:27], 0 offset:8 ; 4-byte Folded Spill
	;; [unrolled: 1-line block ×3, first 2 shown]
	ds_read2_b64 v[89:92], v0 offset0:70 offset1:71
	s_waitcnt lgkmcnt(0)
	v_mul_f64 v[95:96], v[91:92], v[99:100]
	v_fma_f64 v[95:96], v[89:90], v[125:126], -v[95:96]
	v_mul_f64 v[89:90], v[89:90], v[99:100]
	v_add_f64 v[65:66], v[65:66], -v[95:96]
	v_fma_f64 v[89:90], v[91:92], v[125:126], v[89:90]
	v_add_f64 v[67:68], v[67:68], -v[89:90]
	ds_read2_b64 v[89:92], v0 offset0:72 offset1:73
	s_waitcnt lgkmcnt(0)
	v_mul_f64 v[95:96], v[91:92], v[99:100]
	v_fma_f64 v[95:96], v[89:90], v[125:126], -v[95:96]
	v_mul_f64 v[89:90], v[89:90], v[99:100]
	v_add_f64 v[61:62], v[61:62], -v[95:96]
	v_fma_f64 v[89:90], v[91:92], v[125:126], v[89:90]
	v_add_f64 v[63:64], v[63:64], -v[89:90]
	;; [unrolled: 8-line block ×16, first 2 shown]
	ds_read2_b64 v[89:92], v0 offset0:102 offset1:103
	s_waitcnt lgkmcnt(0)
	v_mul_f64 v[95:96], v[91:92], v[99:100]
	v_fma_f64 v[95:96], v[89:90], v[125:126], -v[95:96]
	v_mul_f64 v[89:90], v[89:90], v[99:100]
	v_add_f64 v[1:2], v[1:2], -v[95:96]
	v_fma_f64 v[89:90], v[91:92], v[125:126], v[89:90]
	ds_read2_b64 v[95:98], v0 offset0:104 offset1:105
	s_waitcnt lgkmcnt(0)
	v_mul_f64 v[91:92], v[95:96], v[99:100]
	v_add_f64 v[3:4], v[3:4], -v[89:90]
	v_mul_f64 v[89:90], v[97:98], v[99:100]
	v_fma_f64 v[91:92], v[97:98], v[125:126], v[91:92]
	v_mov_b32_e32 v97, v125
	v_mov_b32_e32 v98, v126
	v_fma_f64 v[89:90], v[95:96], v[125:126], -v[89:90]
	buffer_store_dword v97, off, s[24:27], 0 offset:320 ; 4-byte Folded Spill
	s_nop 0
	buffer_store_dword v98, off, s[24:27], 0 offset:324 ; 4-byte Folded Spill
	buffer_store_dword v99, off, s[24:27], 0 offset:328 ; 4-byte Folded Spill
	;; [unrolled: 1-line block ×3, first 2 shown]
	v_add_f64 v[123:124], v[123:124], -v[91:92]
	v_add_f64 v[121:122], v[121:122], -v[89:90]
.LBB104_188:
	s_or_b64 exec, exec, s[0:1]
	s_waitcnt vmcnt(0)
	s_barrier
	buffer_load_dword v69, off, s[24:27], 0 offset:304 ; 4-byte Folded Reload
	buffer_load_dword v70, off, s[24:27], 0 offset:308 ; 4-byte Folded Reload
	;; [unrolled: 1-line block ×4, first 2 shown]
	v_lshl_add_u32 v89, v93, 4, v0
	s_cmp_lt_i32 s3, 11
	s_waitcnt vmcnt(0)
	ds_write2_b64 v89, v[69:70], v[71:72] offset1:1
	s_waitcnt lgkmcnt(0)
	s_barrier
	ds_read2_b64 v[117:120], v0 offset0:18 offset1:19
	v_mov_b32_e32 v89, 9
	s_cbranch_scc1 .LBB104_191
; %bb.189:
	v_add_u32_e32 v90, 0xa0, v0
	s_mov_b32 s0, 10
	v_mov_b32_e32 v89, 9
.LBB104_190:                            ; =>This Inner Loop Header: Depth=1
	s_waitcnt lgkmcnt(0)
	v_cmp_gt_f64_e32 vcc, 0, v[117:118]
	v_xor_b32_e32 v91, 0x80000000, v118
	ds_read2_b64 v[95:98], v90 offset1:1
	v_xor_b32_e32 v99, 0x80000000, v120
	v_add_u32_e32 v90, 16, v90
	s_waitcnt lgkmcnt(0)
	v_xor_b32_e32 v101, 0x80000000, v98
	v_cndmask_b32_e32 v92, v118, v91, vcc
	v_cmp_gt_f64_e32 vcc, 0, v[119:120]
	v_mov_b32_e32 v91, v117
	v_cndmask_b32_e32 v100, v120, v99, vcc
	v_cmp_gt_f64_e32 vcc, 0, v[95:96]
	v_mov_b32_e32 v99, v119
	v_add_f64 v[91:92], v[91:92], v[99:100]
	v_xor_b32_e32 v99, 0x80000000, v96
	v_cndmask_b32_e32 v100, v96, v99, vcc
	v_cmp_gt_f64_e32 vcc, 0, v[97:98]
	v_mov_b32_e32 v99, v95
	v_cndmask_b32_e32 v102, v98, v101, vcc
	v_mov_b32_e32 v101, v97
	v_add_f64 v[99:100], v[99:100], v[101:102]
	v_cmp_lt_f64_e32 vcc, v[91:92], v[99:100]
	v_mov_b32_e32 v91, s0
	s_add_i32 s0, s0, 1
	s_cmp_lg_u32 s3, s0
	v_cndmask_b32_e32 v118, v118, v96, vcc
	v_cndmask_b32_e32 v117, v117, v95, vcc
	;; [unrolled: 1-line block ×5, first 2 shown]
	s_cbranch_scc1 .LBB104_190
.LBB104_191:
	s_waitcnt lgkmcnt(0)
	v_cmp_eq_f64_e32 vcc, 0, v[117:118]
	v_cmp_eq_f64_e64 s[0:1], 0, v[119:120]
	s_and_b64 s[0:1], vcc, s[0:1]
	s_and_saveexec_b64 s[18:19], s[0:1]
	s_xor_b64 s[0:1], exec, s[18:19]
; %bb.192:
	v_cmp_ne_u32_e32 vcc, 0, v94
	v_cndmask_b32_e32 v94, 10, v94, vcc
; %bb.193:
	s_andn2_saveexec_b64 s[0:1], s[0:1]
	s_cbranch_execz .LBB104_199
; %bb.194:
	v_cmp_ngt_f64_e64 s[18:19], |v[117:118]|, |v[119:120]|
	s_and_saveexec_b64 s[20:21], s[18:19]
	s_xor_b64 s[18:19], exec, s[20:21]
	s_cbranch_execz .LBB104_196
; %bb.195:
	v_div_scale_f64 v[90:91], s[20:21], v[119:120], v[119:120], v[117:118]
	v_rcp_f64_e32 v[95:96], v[90:91]
	v_fma_f64 v[97:98], -v[90:91], v[95:96], 1.0
	v_fma_f64 v[95:96], v[95:96], v[97:98], v[95:96]
	v_div_scale_f64 v[97:98], vcc, v[117:118], v[119:120], v[117:118]
	v_fma_f64 v[99:100], -v[90:91], v[95:96], 1.0
	v_fma_f64 v[95:96], v[95:96], v[99:100], v[95:96]
	v_mul_f64 v[99:100], v[97:98], v[95:96]
	v_fma_f64 v[90:91], -v[90:91], v[99:100], v[97:98]
	v_div_fmas_f64 v[90:91], v[90:91], v[95:96], v[99:100]
	v_div_fixup_f64 v[90:91], v[90:91], v[119:120], v[117:118]
	v_fma_f64 v[95:96], v[117:118], v[90:91], v[119:120]
	v_div_scale_f64 v[97:98], s[20:21], v[95:96], v[95:96], 1.0
	v_div_scale_f64 v[103:104], vcc, 1.0, v[95:96], 1.0
	v_rcp_f64_e32 v[99:100], v[97:98]
	v_fma_f64 v[101:102], -v[97:98], v[99:100], 1.0
	v_fma_f64 v[99:100], v[99:100], v[101:102], v[99:100]
	v_fma_f64 v[101:102], -v[97:98], v[99:100], 1.0
	v_fma_f64 v[99:100], v[99:100], v[101:102], v[99:100]
	v_mul_f64 v[101:102], v[103:104], v[99:100]
	v_fma_f64 v[97:98], -v[97:98], v[101:102], v[103:104]
	v_div_fmas_f64 v[97:98], v[97:98], v[99:100], v[101:102]
	v_div_fixup_f64 v[119:120], v[97:98], v[95:96], 1.0
	v_mul_f64 v[117:118], v[90:91], v[119:120]
	v_xor_b32_e32 v120, 0x80000000, v120
.LBB104_196:
	s_andn2_saveexec_b64 s[18:19], s[18:19]
	s_cbranch_execz .LBB104_198
; %bb.197:
	v_div_scale_f64 v[90:91], s[20:21], v[117:118], v[117:118], v[119:120]
	v_rcp_f64_e32 v[95:96], v[90:91]
	v_fma_f64 v[97:98], -v[90:91], v[95:96], 1.0
	v_fma_f64 v[95:96], v[95:96], v[97:98], v[95:96]
	v_div_scale_f64 v[97:98], vcc, v[119:120], v[117:118], v[119:120]
	v_fma_f64 v[99:100], -v[90:91], v[95:96], 1.0
	v_fma_f64 v[95:96], v[95:96], v[99:100], v[95:96]
	v_mul_f64 v[99:100], v[97:98], v[95:96]
	v_fma_f64 v[90:91], -v[90:91], v[99:100], v[97:98]
	v_div_fmas_f64 v[90:91], v[90:91], v[95:96], v[99:100]
	v_div_fixup_f64 v[90:91], v[90:91], v[117:118], v[119:120]
	v_fma_f64 v[95:96], v[119:120], v[90:91], v[117:118]
	v_div_scale_f64 v[97:98], s[20:21], v[95:96], v[95:96], 1.0
	v_div_scale_f64 v[103:104], vcc, 1.0, v[95:96], 1.0
	v_rcp_f64_e32 v[99:100], v[97:98]
	v_fma_f64 v[101:102], -v[97:98], v[99:100], 1.0
	v_fma_f64 v[99:100], v[99:100], v[101:102], v[99:100]
	v_fma_f64 v[101:102], -v[97:98], v[99:100], 1.0
	v_fma_f64 v[99:100], v[99:100], v[101:102], v[99:100]
	v_mul_f64 v[101:102], v[103:104], v[99:100]
	v_fma_f64 v[97:98], -v[97:98], v[101:102], v[103:104]
	v_div_fmas_f64 v[97:98], v[97:98], v[99:100], v[101:102]
	v_div_fixup_f64 v[117:118], v[97:98], v[95:96], 1.0
	v_mul_f64 v[119:120], v[90:91], -v[117:118]
.LBB104_198:
	s_or_b64 exec, exec, s[18:19]
.LBB104_199:
	s_or_b64 exec, exec, s[0:1]
	v_cmp_ne_u32_e32 vcc, v93, v89
	s_and_saveexec_b64 s[0:1], vcc
	s_xor_b64 s[0:1], exec, s[0:1]
	s_cbranch_execz .LBB104_205
; %bb.200:
	v_cmp_eq_u32_e32 vcc, 9, v93
	s_and_saveexec_b64 s[18:19], vcc
	s_cbranch_execz .LBB104_204
; %bb.201:
	v_cmp_ne_u32_e32 vcc, 9, v89
	s_xor_b64 s[20:21], s[6:7], -1
	s_and_b64 s[22:23], s[20:21], vcc
	s_and_saveexec_b64 s[20:21], s[22:23]
	s_cbranch_execz .LBB104_203
; %bb.202:
	v_mov_b32_e32 v69, v81
	v_mov_b32_e32 v70, v82
	v_mov_b32_e32 v71, v83
	v_mov_b32_e32 v72, v84
	buffer_load_dword v81, off, s[24:27], 0 offset:420 ; 4-byte Folded Reload
	buffer_load_dword v82, off, s[24:27], 0 offset:424 ; 4-byte Folded Reload
	v_ashrrev_i32_e32 v90, 31, v89
	v_lshlrev_b64 v[90:91], 2, v[89:90]
	s_waitcnt vmcnt(1)
	v_add_co_u32_e32 v90, vcc, v81, v90
	s_waitcnt vmcnt(0)
	v_addc_co_u32_e32 v91, vcc, v82, v91, vcc
	global_load_dword v92, v[90:91], off
	global_load_dword v93, v[81:82], off offset:36
	s_waitcnt vmcnt(1)
	global_store_dword v[81:82], v92, off offset:36
	v_mov_b32_e32 v84, v72
	v_mov_b32_e32 v83, v71
	;; [unrolled: 1-line block ×4, first 2 shown]
	s_waitcnt vmcnt(1)
	global_store_dword v[90:91], v93, off
.LBB104_203:
	s_or_b64 exec, exec, s[20:21]
	v_mov_b32_e32 v93, v89
	v_mov_b32_e32 v69, v89
	buffer_store_dword v69, off, s[24:27], 0 offset:352 ; 4-byte Folded Spill
.LBB104_204:
	s_or_b64 exec, exec, s[18:19]
.LBB104_205:
	s_andn2_saveexec_b64 s[0:1], s[0:1]
	s_cbranch_execz .LBB104_207
; %bb.206:
	buffer_load_dword v69, off, s[24:27], 0 offset:288 ; 4-byte Folded Reload
	buffer_load_dword v70, off, s[24:27], 0 offset:292 ; 4-byte Folded Reload
	;; [unrolled: 1-line block ×4, first 2 shown]
	v_mov_b32_e32 v93, 9
	s_waitcnt vmcnt(0)
	ds_write2_b64 v0, v[69:70], v[71:72] offset0:20 offset1:21
	buffer_load_dword v69, off, s[24:27], 0 offset:272 ; 4-byte Folded Reload
	buffer_load_dword v70, off, s[24:27], 0 offset:276 ; 4-byte Folded Reload
	buffer_load_dword v71, off, s[24:27], 0 offset:280 ; 4-byte Folded Reload
	buffer_load_dword v72, off, s[24:27], 0 offset:284 ; 4-byte Folded Reload
	s_waitcnt vmcnt(0)
	ds_write2_b64 v0, v[69:70], v[71:72] offset0:22 offset1:23
	buffer_load_dword v69, off, s[24:27], 0 offset:256 ; 4-byte Folded Reload
	buffer_load_dword v70, off, s[24:27], 0 offset:260 ; 4-byte Folded Reload
	buffer_load_dword v71, off, s[24:27], 0 offset:264 ; 4-byte Folded Reload
	buffer_load_dword v72, off, s[24:27], 0 offset:268 ; 4-byte Folded Reload
	;; [unrolled: 6-line block ×17, first 2 shown]
	s_waitcnt vmcnt(0)
	ds_write2_b64 v0, v[69:70], v[71:72] offset0:54 offset1:55
	ds_write2_b64 v0, v[81:82], v[83:84] offset0:56 offset1:57
	;; [unrolled: 1-line block ×7, first 2 shown]
	buffer_load_dword v69, off, s[24:27], 0 ; 4-byte Folded Reload
	buffer_load_dword v70, off, s[24:27], 0 offset:4 ; 4-byte Folded Reload
	buffer_load_dword v71, off, s[24:27], 0 offset:8 ; 4-byte Folded Reload
	buffer_load_dword v72, off, s[24:27], 0 offset:12 ; 4-byte Folded Reload
	s_waitcnt vmcnt(0)
	ds_write2_b64 v0, v[69:70], v[71:72] offset0:68 offset1:69
	ds_write2_b64 v0, v[65:66], v[67:68] offset0:70 offset1:71
	;; [unrolled: 1-line block ×19, first 2 shown]
.LBB104_207:
	s_or_b64 exec, exec, s[0:1]
	v_cmp_lt_i32_e32 vcc, 9, v93
	s_waitcnt vmcnt(0) lgkmcnt(0)
	s_barrier
	s_and_saveexec_b64 s[0:1], vcc
	s_cbranch_execz .LBB104_209
; %bb.208:
	buffer_load_dword v97, off, s[24:27], 0 offset:304 ; 4-byte Folded Reload
	buffer_load_dword v98, off, s[24:27], 0 offset:308 ; 4-byte Folded Reload
	buffer_load_dword v99, off, s[24:27], 0 offset:312 ; 4-byte Folded Reload
	buffer_load_dword v100, off, s[24:27], 0 offset:316 ; 4-byte Folded Reload
	s_waitcnt vmcnt(0)
	v_mul_f64 v[89:90], v[119:120], v[99:100]
	v_fma_f64 v[125:126], v[117:118], v[97:98], -v[89:90]
	v_mul_f64 v[89:90], v[117:118], v[99:100]
	v_fma_f64 v[99:100], v[119:120], v[97:98], v[89:90]
	ds_read2_b64 v[89:92], v0 offset0:20 offset1:21
	buffer_load_dword v69, off, s[24:27], 0 offset:288 ; 4-byte Folded Reload
	buffer_load_dword v70, off, s[24:27], 0 offset:292 ; 4-byte Folded Reload
	buffer_load_dword v71, off, s[24:27], 0 offset:296 ; 4-byte Folded Reload
	buffer_load_dword v72, off, s[24:27], 0 offset:300 ; 4-byte Folded Reload
	s_waitcnt lgkmcnt(0)
	v_mul_f64 v[95:96], v[91:92], v[99:100]
	v_fma_f64 v[95:96], v[89:90], v[125:126], -v[95:96]
	v_mul_f64 v[89:90], v[89:90], v[99:100]
	v_fma_f64 v[89:90], v[91:92], v[125:126], v[89:90]
	s_waitcnt vmcnt(2)
	v_add_f64 v[69:70], v[69:70], -v[95:96]
	s_waitcnt vmcnt(0)
	v_add_f64 v[71:72], v[71:72], -v[89:90]
	buffer_store_dword v69, off, s[24:27], 0 offset:288 ; 4-byte Folded Spill
	s_nop 0
	buffer_store_dword v70, off, s[24:27], 0 offset:292 ; 4-byte Folded Spill
	buffer_store_dword v71, off, s[24:27], 0 offset:296 ; 4-byte Folded Spill
	buffer_store_dword v72, off, s[24:27], 0 offset:300 ; 4-byte Folded Spill
	ds_read2_b64 v[89:92], v0 offset0:22 offset1:23
	buffer_load_dword v69, off, s[24:27], 0 offset:272 ; 4-byte Folded Reload
	buffer_load_dword v70, off, s[24:27], 0 offset:276 ; 4-byte Folded Reload
	buffer_load_dword v71, off, s[24:27], 0 offset:280 ; 4-byte Folded Reload
	buffer_load_dword v72, off, s[24:27], 0 offset:284 ; 4-byte Folded Reload
	s_waitcnt lgkmcnt(0)
	v_mul_f64 v[95:96], v[91:92], v[99:100]
	v_fma_f64 v[95:96], v[89:90], v[125:126], -v[95:96]
	v_mul_f64 v[89:90], v[89:90], v[99:100]
	v_fma_f64 v[89:90], v[91:92], v[125:126], v[89:90]
	s_waitcnt vmcnt(2)
	v_add_f64 v[69:70], v[69:70], -v[95:96]
	s_waitcnt vmcnt(0)
	v_add_f64 v[71:72], v[71:72], -v[89:90]
	buffer_store_dword v69, off, s[24:27], 0 offset:272 ; 4-byte Folded Spill
	s_nop 0
	buffer_store_dword v70, off, s[24:27], 0 offset:276 ; 4-byte Folded Spill
	buffer_store_dword v71, off, s[24:27], 0 offset:280 ; 4-byte Folded Spill
	buffer_store_dword v72, off, s[24:27], 0 offset:284 ; 4-byte Folded Spill
	;; [unrolled: 19-line block ×18, first 2 shown]
	ds_read2_b64 v[89:92], v0 offset0:56 offset1:57
	s_waitcnt lgkmcnt(0)
	v_mul_f64 v[95:96], v[91:92], v[99:100]
	v_fma_f64 v[95:96], v[89:90], v[125:126], -v[95:96]
	v_mul_f64 v[89:90], v[89:90], v[99:100]
	v_add_f64 v[81:82], v[81:82], -v[95:96]
	v_fma_f64 v[89:90], v[91:92], v[125:126], v[89:90]
	v_add_f64 v[83:84], v[83:84], -v[89:90]
	ds_read2_b64 v[89:92], v0 offset0:58 offset1:59
	s_waitcnt lgkmcnt(0)
	v_mul_f64 v[95:96], v[91:92], v[99:100]
	v_fma_f64 v[95:96], v[89:90], v[125:126], -v[95:96]
	v_mul_f64 v[89:90], v[89:90], v[99:100]
	v_add_f64 v[85:86], v[85:86], -v[95:96]
	v_fma_f64 v[89:90], v[91:92], v[125:126], v[89:90]
	v_add_f64 v[87:88], v[87:88], -v[89:90]
	;; [unrolled: 8-line block ×6, first 2 shown]
	ds_read2_b64 v[89:92], v0 offset0:68 offset1:69
	buffer_load_dword v69, off, s[24:27], 0 ; 4-byte Folded Reload
	buffer_load_dword v70, off, s[24:27], 0 offset:4 ; 4-byte Folded Reload
	buffer_load_dword v71, off, s[24:27], 0 offset:8 ; 4-byte Folded Reload
	;; [unrolled: 1-line block ×3, first 2 shown]
	s_waitcnt lgkmcnt(0)
	v_mul_f64 v[95:96], v[91:92], v[99:100]
	v_fma_f64 v[95:96], v[89:90], v[125:126], -v[95:96]
	v_mul_f64 v[89:90], v[89:90], v[99:100]
	v_fma_f64 v[89:90], v[91:92], v[125:126], v[89:90]
	s_waitcnt vmcnt(2)
	v_add_f64 v[69:70], v[69:70], -v[95:96]
	s_waitcnt vmcnt(0)
	v_add_f64 v[71:72], v[71:72], -v[89:90]
	buffer_store_dword v69, off, s[24:27], 0 ; 4-byte Folded Spill
	s_nop 0
	buffer_store_dword v70, off, s[24:27], 0 offset:4 ; 4-byte Folded Spill
	buffer_store_dword v71, off, s[24:27], 0 offset:8 ; 4-byte Folded Spill
	;; [unrolled: 1-line block ×3, first 2 shown]
	ds_read2_b64 v[89:92], v0 offset0:70 offset1:71
	s_waitcnt lgkmcnt(0)
	v_mul_f64 v[95:96], v[91:92], v[99:100]
	v_fma_f64 v[95:96], v[89:90], v[125:126], -v[95:96]
	v_mul_f64 v[89:90], v[89:90], v[99:100]
	v_add_f64 v[65:66], v[65:66], -v[95:96]
	v_fma_f64 v[89:90], v[91:92], v[125:126], v[89:90]
	v_add_f64 v[67:68], v[67:68], -v[89:90]
	ds_read2_b64 v[89:92], v0 offset0:72 offset1:73
	s_waitcnt lgkmcnt(0)
	v_mul_f64 v[95:96], v[91:92], v[99:100]
	v_fma_f64 v[95:96], v[89:90], v[125:126], -v[95:96]
	v_mul_f64 v[89:90], v[89:90], v[99:100]
	v_add_f64 v[61:62], v[61:62], -v[95:96]
	v_fma_f64 v[89:90], v[91:92], v[125:126], v[89:90]
	v_add_f64 v[63:64], v[63:64], -v[89:90]
	;; [unrolled: 8-line block ×16, first 2 shown]
	ds_read2_b64 v[89:92], v0 offset0:102 offset1:103
	s_waitcnt lgkmcnt(0)
	v_mul_f64 v[95:96], v[91:92], v[99:100]
	v_fma_f64 v[95:96], v[89:90], v[125:126], -v[95:96]
	v_mul_f64 v[89:90], v[89:90], v[99:100]
	v_add_f64 v[1:2], v[1:2], -v[95:96]
	v_fma_f64 v[89:90], v[91:92], v[125:126], v[89:90]
	ds_read2_b64 v[95:98], v0 offset0:104 offset1:105
	s_waitcnt lgkmcnt(0)
	v_mul_f64 v[91:92], v[95:96], v[99:100]
	v_add_f64 v[3:4], v[3:4], -v[89:90]
	v_mul_f64 v[89:90], v[97:98], v[99:100]
	v_fma_f64 v[91:92], v[97:98], v[125:126], v[91:92]
	v_mov_b32_e32 v97, v125
	v_mov_b32_e32 v98, v126
	v_fma_f64 v[89:90], v[95:96], v[125:126], -v[89:90]
	buffer_store_dword v97, off, s[24:27], 0 offset:304 ; 4-byte Folded Spill
	s_nop 0
	buffer_store_dword v98, off, s[24:27], 0 offset:308 ; 4-byte Folded Spill
	buffer_store_dword v99, off, s[24:27], 0 offset:312 ; 4-byte Folded Spill
	;; [unrolled: 1-line block ×3, first 2 shown]
	v_add_f64 v[123:124], v[123:124], -v[91:92]
	v_add_f64 v[121:122], v[121:122], -v[89:90]
.LBB104_209:
	s_or_b64 exec, exec, s[0:1]
	s_waitcnt vmcnt(0)
	s_barrier
	buffer_load_dword v69, off, s[24:27], 0 offset:288 ; 4-byte Folded Reload
	buffer_load_dword v70, off, s[24:27], 0 offset:292 ; 4-byte Folded Reload
	;; [unrolled: 1-line block ×4, first 2 shown]
	v_lshl_add_u32 v89, v93, 4, v0
	s_cmp_lt_i32 s3, 12
	s_waitcnt vmcnt(0)
	ds_write2_b64 v89, v[69:70], v[71:72] offset1:1
	s_waitcnt lgkmcnt(0)
	s_barrier
	ds_read2_b64 v[117:120], v0 offset0:20 offset1:21
	v_mov_b32_e32 v89, 10
	s_cbranch_scc1 .LBB104_212
; %bb.210:
	v_add_u32_e32 v90, 0xb0, v0
	s_mov_b32 s0, 11
	v_mov_b32_e32 v89, 10
.LBB104_211:                            ; =>This Inner Loop Header: Depth=1
	s_waitcnt lgkmcnt(0)
	v_cmp_gt_f64_e32 vcc, 0, v[117:118]
	v_xor_b32_e32 v91, 0x80000000, v118
	ds_read2_b64 v[95:98], v90 offset1:1
	v_xor_b32_e32 v99, 0x80000000, v120
	v_add_u32_e32 v90, 16, v90
	s_waitcnt lgkmcnt(0)
	v_xor_b32_e32 v101, 0x80000000, v98
	v_cndmask_b32_e32 v92, v118, v91, vcc
	v_cmp_gt_f64_e32 vcc, 0, v[119:120]
	v_mov_b32_e32 v91, v117
	v_cndmask_b32_e32 v100, v120, v99, vcc
	v_cmp_gt_f64_e32 vcc, 0, v[95:96]
	v_mov_b32_e32 v99, v119
	v_add_f64 v[91:92], v[91:92], v[99:100]
	v_xor_b32_e32 v99, 0x80000000, v96
	v_cndmask_b32_e32 v100, v96, v99, vcc
	v_cmp_gt_f64_e32 vcc, 0, v[97:98]
	v_mov_b32_e32 v99, v95
	v_cndmask_b32_e32 v102, v98, v101, vcc
	v_mov_b32_e32 v101, v97
	v_add_f64 v[99:100], v[99:100], v[101:102]
	v_cmp_lt_f64_e32 vcc, v[91:92], v[99:100]
	v_mov_b32_e32 v91, s0
	s_add_i32 s0, s0, 1
	s_cmp_lg_u32 s3, s0
	v_cndmask_b32_e32 v118, v118, v96, vcc
	v_cndmask_b32_e32 v117, v117, v95, vcc
	;; [unrolled: 1-line block ×5, first 2 shown]
	s_cbranch_scc1 .LBB104_211
.LBB104_212:
	s_waitcnt lgkmcnt(0)
	v_cmp_eq_f64_e32 vcc, 0, v[117:118]
	v_cmp_eq_f64_e64 s[0:1], 0, v[119:120]
	s_and_b64 s[0:1], vcc, s[0:1]
	s_and_saveexec_b64 s[18:19], s[0:1]
	s_xor_b64 s[0:1], exec, s[18:19]
; %bb.213:
	v_cmp_ne_u32_e32 vcc, 0, v94
	v_cndmask_b32_e32 v94, 11, v94, vcc
; %bb.214:
	s_andn2_saveexec_b64 s[0:1], s[0:1]
	s_cbranch_execz .LBB104_220
; %bb.215:
	v_cmp_ngt_f64_e64 s[18:19], |v[117:118]|, |v[119:120]|
	s_and_saveexec_b64 s[20:21], s[18:19]
	s_xor_b64 s[18:19], exec, s[20:21]
	s_cbranch_execz .LBB104_217
; %bb.216:
	v_div_scale_f64 v[90:91], s[20:21], v[119:120], v[119:120], v[117:118]
	v_rcp_f64_e32 v[95:96], v[90:91]
	v_fma_f64 v[97:98], -v[90:91], v[95:96], 1.0
	v_fma_f64 v[95:96], v[95:96], v[97:98], v[95:96]
	v_div_scale_f64 v[97:98], vcc, v[117:118], v[119:120], v[117:118]
	v_fma_f64 v[99:100], -v[90:91], v[95:96], 1.0
	v_fma_f64 v[95:96], v[95:96], v[99:100], v[95:96]
	v_mul_f64 v[99:100], v[97:98], v[95:96]
	v_fma_f64 v[90:91], -v[90:91], v[99:100], v[97:98]
	v_div_fmas_f64 v[90:91], v[90:91], v[95:96], v[99:100]
	v_div_fixup_f64 v[90:91], v[90:91], v[119:120], v[117:118]
	v_fma_f64 v[95:96], v[117:118], v[90:91], v[119:120]
	v_div_scale_f64 v[97:98], s[20:21], v[95:96], v[95:96], 1.0
	v_div_scale_f64 v[103:104], vcc, 1.0, v[95:96], 1.0
	v_rcp_f64_e32 v[99:100], v[97:98]
	v_fma_f64 v[101:102], -v[97:98], v[99:100], 1.0
	v_fma_f64 v[99:100], v[99:100], v[101:102], v[99:100]
	v_fma_f64 v[101:102], -v[97:98], v[99:100], 1.0
	v_fma_f64 v[99:100], v[99:100], v[101:102], v[99:100]
	v_mul_f64 v[101:102], v[103:104], v[99:100]
	v_fma_f64 v[97:98], -v[97:98], v[101:102], v[103:104]
	v_div_fmas_f64 v[97:98], v[97:98], v[99:100], v[101:102]
	v_div_fixup_f64 v[119:120], v[97:98], v[95:96], 1.0
	v_mul_f64 v[117:118], v[90:91], v[119:120]
	v_xor_b32_e32 v120, 0x80000000, v120
.LBB104_217:
	s_andn2_saveexec_b64 s[18:19], s[18:19]
	s_cbranch_execz .LBB104_219
; %bb.218:
	v_div_scale_f64 v[90:91], s[20:21], v[117:118], v[117:118], v[119:120]
	v_rcp_f64_e32 v[95:96], v[90:91]
	v_fma_f64 v[97:98], -v[90:91], v[95:96], 1.0
	v_fma_f64 v[95:96], v[95:96], v[97:98], v[95:96]
	v_div_scale_f64 v[97:98], vcc, v[119:120], v[117:118], v[119:120]
	v_fma_f64 v[99:100], -v[90:91], v[95:96], 1.0
	v_fma_f64 v[95:96], v[95:96], v[99:100], v[95:96]
	v_mul_f64 v[99:100], v[97:98], v[95:96]
	v_fma_f64 v[90:91], -v[90:91], v[99:100], v[97:98]
	v_div_fmas_f64 v[90:91], v[90:91], v[95:96], v[99:100]
	v_div_fixup_f64 v[90:91], v[90:91], v[117:118], v[119:120]
	v_fma_f64 v[95:96], v[119:120], v[90:91], v[117:118]
	v_div_scale_f64 v[97:98], s[20:21], v[95:96], v[95:96], 1.0
	v_div_scale_f64 v[103:104], vcc, 1.0, v[95:96], 1.0
	v_rcp_f64_e32 v[99:100], v[97:98]
	v_fma_f64 v[101:102], -v[97:98], v[99:100], 1.0
	v_fma_f64 v[99:100], v[99:100], v[101:102], v[99:100]
	v_fma_f64 v[101:102], -v[97:98], v[99:100], 1.0
	v_fma_f64 v[99:100], v[99:100], v[101:102], v[99:100]
	v_mul_f64 v[101:102], v[103:104], v[99:100]
	v_fma_f64 v[97:98], -v[97:98], v[101:102], v[103:104]
	v_div_fmas_f64 v[97:98], v[97:98], v[99:100], v[101:102]
	v_div_fixup_f64 v[117:118], v[97:98], v[95:96], 1.0
	v_mul_f64 v[119:120], v[90:91], -v[117:118]
.LBB104_219:
	s_or_b64 exec, exec, s[18:19]
.LBB104_220:
	s_or_b64 exec, exec, s[0:1]
	v_cmp_ne_u32_e32 vcc, v93, v89
	s_and_saveexec_b64 s[0:1], vcc
	s_xor_b64 s[0:1], exec, s[0:1]
	s_cbranch_execz .LBB104_226
; %bb.221:
	v_cmp_eq_u32_e32 vcc, 10, v93
	s_and_saveexec_b64 s[18:19], vcc
	s_cbranch_execz .LBB104_225
; %bb.222:
	v_cmp_ne_u32_e32 vcc, 10, v89
	s_xor_b64 s[20:21], s[6:7], -1
	s_and_b64 s[22:23], s[20:21], vcc
	s_and_saveexec_b64 s[20:21], s[22:23]
	s_cbranch_execz .LBB104_224
; %bb.223:
	v_mov_b32_e32 v69, v81
	v_mov_b32_e32 v70, v82
	;; [unrolled: 1-line block ×4, first 2 shown]
	buffer_load_dword v81, off, s[24:27], 0 offset:420 ; 4-byte Folded Reload
	buffer_load_dword v82, off, s[24:27], 0 offset:424 ; 4-byte Folded Reload
	v_ashrrev_i32_e32 v90, 31, v89
	v_lshlrev_b64 v[90:91], 2, v[89:90]
	s_waitcnt vmcnt(1)
	v_add_co_u32_e32 v90, vcc, v81, v90
	s_waitcnt vmcnt(0)
	v_addc_co_u32_e32 v91, vcc, v82, v91, vcc
	global_load_dword v92, v[90:91], off
	global_load_dword v93, v[81:82], off offset:40
	s_waitcnt vmcnt(1)
	global_store_dword v[81:82], v92, off offset:40
	v_mov_b32_e32 v84, v72
	v_mov_b32_e32 v83, v71
	;; [unrolled: 1-line block ×4, first 2 shown]
	s_waitcnt vmcnt(1)
	global_store_dword v[90:91], v93, off
.LBB104_224:
	s_or_b64 exec, exec, s[20:21]
	v_mov_b32_e32 v93, v89
	v_mov_b32_e32 v69, v89
	buffer_store_dword v69, off, s[24:27], 0 offset:352 ; 4-byte Folded Spill
.LBB104_225:
	s_or_b64 exec, exec, s[18:19]
.LBB104_226:
	s_andn2_saveexec_b64 s[0:1], s[0:1]
	s_cbranch_execz .LBB104_228
; %bb.227:
	buffer_load_dword v69, off, s[24:27], 0 offset:272 ; 4-byte Folded Reload
	buffer_load_dword v70, off, s[24:27], 0 offset:276 ; 4-byte Folded Reload
	;; [unrolled: 1-line block ×4, first 2 shown]
	v_mov_b32_e32 v93, 10
	s_waitcnt vmcnt(0)
	ds_write2_b64 v0, v[69:70], v[71:72] offset0:22 offset1:23
	buffer_load_dword v69, off, s[24:27], 0 offset:256 ; 4-byte Folded Reload
	buffer_load_dword v70, off, s[24:27], 0 offset:260 ; 4-byte Folded Reload
	buffer_load_dword v71, off, s[24:27], 0 offset:264 ; 4-byte Folded Reload
	buffer_load_dword v72, off, s[24:27], 0 offset:268 ; 4-byte Folded Reload
	s_waitcnt vmcnt(0)
	ds_write2_b64 v0, v[69:70], v[71:72] offset0:24 offset1:25
	buffer_load_dword v69, off, s[24:27], 0 offset:240 ; 4-byte Folded Reload
	buffer_load_dword v70, off, s[24:27], 0 offset:244 ; 4-byte Folded Reload
	buffer_load_dword v71, off, s[24:27], 0 offset:248 ; 4-byte Folded Reload
	buffer_load_dword v72, off, s[24:27], 0 offset:252 ; 4-byte Folded Reload
	;; [unrolled: 6-line block ×16, first 2 shown]
	s_waitcnt vmcnt(0)
	ds_write2_b64 v0, v[69:70], v[71:72] offset0:54 offset1:55
	ds_write2_b64 v0, v[81:82], v[83:84] offset0:56 offset1:57
	;; [unrolled: 1-line block ×7, first 2 shown]
	buffer_load_dword v69, off, s[24:27], 0 ; 4-byte Folded Reload
	buffer_load_dword v70, off, s[24:27], 0 offset:4 ; 4-byte Folded Reload
	buffer_load_dword v71, off, s[24:27], 0 offset:8 ; 4-byte Folded Reload
	;; [unrolled: 1-line block ×3, first 2 shown]
	s_waitcnt vmcnt(0)
	ds_write2_b64 v0, v[69:70], v[71:72] offset0:68 offset1:69
	ds_write2_b64 v0, v[65:66], v[67:68] offset0:70 offset1:71
	ds_write2_b64 v0, v[61:62], v[63:64] offset0:72 offset1:73
	ds_write2_b64 v0, v[57:58], v[59:60] offset0:74 offset1:75
	ds_write2_b64 v0, v[53:54], v[55:56] offset0:76 offset1:77
	ds_write2_b64 v0, v[49:50], v[51:52] offset0:78 offset1:79
	ds_write2_b64 v0, v[45:46], v[47:48] offset0:80 offset1:81
	ds_write2_b64 v0, v[41:42], v[43:44] offset0:82 offset1:83
	ds_write2_b64 v0, v[37:38], v[39:40] offset0:84 offset1:85
	ds_write2_b64 v0, v[33:34], v[35:36] offset0:86 offset1:87
	ds_write2_b64 v0, v[29:30], v[31:32] offset0:88 offset1:89
	ds_write2_b64 v0, v[25:26], v[27:28] offset0:90 offset1:91
	ds_write2_b64 v0, v[21:22], v[23:24] offset0:92 offset1:93
	ds_write2_b64 v0, v[17:18], v[19:20] offset0:94 offset1:95
	ds_write2_b64 v0, v[13:14], v[15:16] offset0:96 offset1:97
	ds_write2_b64 v0, v[9:10], v[11:12] offset0:98 offset1:99
	ds_write2_b64 v0, v[5:6], v[7:8] offset0:100 offset1:101
	ds_write2_b64 v0, v[1:2], v[3:4] offset0:102 offset1:103
	ds_write2_b64 v0, v[121:122], v[123:124] offset0:104 offset1:105
.LBB104_228:
	s_or_b64 exec, exec, s[0:1]
	v_cmp_lt_i32_e32 vcc, 10, v93
	s_waitcnt vmcnt(0) lgkmcnt(0)
	s_barrier
	s_and_saveexec_b64 s[0:1], vcc
	s_cbranch_execz .LBB104_230
; %bb.229:
	buffer_load_dword v95, off, s[24:27], 0 offset:288 ; 4-byte Folded Reload
	buffer_load_dword v96, off, s[24:27], 0 offset:292 ; 4-byte Folded Reload
	;; [unrolled: 1-line block ×4, first 2 shown]
	s_waitcnt vmcnt(0)
	v_mul_f64 v[89:90], v[119:120], v[97:98]
	v_fma_f64 v[125:126], v[117:118], v[95:96], -v[89:90]
	v_mul_f64 v[89:90], v[117:118], v[97:98]
	v_fma_f64 v[97:98], v[119:120], v[95:96], v[89:90]
	ds_read2_b64 v[89:92], v0 offset0:22 offset1:23
	buffer_load_dword v69, off, s[24:27], 0 offset:272 ; 4-byte Folded Reload
	buffer_load_dword v70, off, s[24:27], 0 offset:276 ; 4-byte Folded Reload
	buffer_load_dword v71, off, s[24:27], 0 offset:280 ; 4-byte Folded Reload
	buffer_load_dword v72, off, s[24:27], 0 offset:284 ; 4-byte Folded Reload
	s_waitcnt lgkmcnt(0)
	v_mul_f64 v[95:96], v[91:92], v[97:98]
	v_fma_f64 v[95:96], v[89:90], v[125:126], -v[95:96]
	v_mul_f64 v[89:90], v[89:90], v[97:98]
	v_fma_f64 v[89:90], v[91:92], v[125:126], v[89:90]
	s_waitcnt vmcnt(2)
	v_add_f64 v[69:70], v[69:70], -v[95:96]
	s_waitcnt vmcnt(0)
	v_add_f64 v[71:72], v[71:72], -v[89:90]
	buffer_store_dword v69, off, s[24:27], 0 offset:272 ; 4-byte Folded Spill
	s_nop 0
	buffer_store_dword v70, off, s[24:27], 0 offset:276 ; 4-byte Folded Spill
	buffer_store_dword v71, off, s[24:27], 0 offset:280 ; 4-byte Folded Spill
	buffer_store_dword v72, off, s[24:27], 0 offset:284 ; 4-byte Folded Spill
	ds_read2_b64 v[89:92], v0 offset0:24 offset1:25
	buffer_load_dword v69, off, s[24:27], 0 offset:256 ; 4-byte Folded Reload
	buffer_load_dword v70, off, s[24:27], 0 offset:260 ; 4-byte Folded Reload
	buffer_load_dword v71, off, s[24:27], 0 offset:264 ; 4-byte Folded Reload
	buffer_load_dword v72, off, s[24:27], 0 offset:268 ; 4-byte Folded Reload
	s_waitcnt lgkmcnt(0)
	v_mul_f64 v[95:96], v[91:92], v[97:98]
	v_fma_f64 v[95:96], v[89:90], v[125:126], -v[95:96]
	v_mul_f64 v[89:90], v[89:90], v[97:98]
	v_fma_f64 v[89:90], v[91:92], v[125:126], v[89:90]
	s_waitcnt vmcnt(2)
	v_add_f64 v[69:70], v[69:70], -v[95:96]
	s_waitcnt vmcnt(0)
	v_add_f64 v[71:72], v[71:72], -v[89:90]
	buffer_store_dword v69, off, s[24:27], 0 offset:256 ; 4-byte Folded Spill
	s_nop 0
	buffer_store_dword v70, off, s[24:27], 0 offset:260 ; 4-byte Folded Spill
	buffer_store_dword v71, off, s[24:27], 0 offset:264 ; 4-byte Folded Spill
	buffer_store_dword v72, off, s[24:27], 0 offset:268 ; 4-byte Folded Spill
	;; [unrolled: 19-line block ×17, first 2 shown]
	ds_read2_b64 v[89:92], v0 offset0:56 offset1:57
	s_waitcnt lgkmcnt(0)
	v_mul_f64 v[95:96], v[91:92], v[97:98]
	v_fma_f64 v[95:96], v[89:90], v[125:126], -v[95:96]
	v_mul_f64 v[89:90], v[89:90], v[97:98]
	v_add_f64 v[81:82], v[81:82], -v[95:96]
	v_fma_f64 v[89:90], v[91:92], v[125:126], v[89:90]
	v_add_f64 v[83:84], v[83:84], -v[89:90]
	ds_read2_b64 v[89:92], v0 offset0:58 offset1:59
	s_waitcnt lgkmcnt(0)
	v_mul_f64 v[95:96], v[91:92], v[97:98]
	v_fma_f64 v[95:96], v[89:90], v[125:126], -v[95:96]
	v_mul_f64 v[89:90], v[89:90], v[97:98]
	v_add_f64 v[85:86], v[85:86], -v[95:96]
	v_fma_f64 v[89:90], v[91:92], v[125:126], v[89:90]
	v_add_f64 v[87:88], v[87:88], -v[89:90]
	ds_read2_b64 v[89:92], v0 offset0:60 offset1:61
	s_waitcnt lgkmcnt(0)
	v_mul_f64 v[95:96], v[91:92], v[97:98]
	v_fma_f64 v[95:96], v[89:90], v[125:126], -v[95:96]
	v_mul_f64 v[89:90], v[89:90], v[97:98]
	v_add_f64 v[109:110], v[109:110], -v[95:96]
	v_fma_f64 v[89:90], v[91:92], v[125:126], v[89:90]
	v_add_f64 v[111:112], v[111:112], -v[89:90]
	ds_read2_b64 v[89:92], v0 offset0:62 offset1:63
	s_waitcnt lgkmcnt(0)
	v_mul_f64 v[95:96], v[91:92], v[97:98]
	v_fma_f64 v[95:96], v[89:90], v[125:126], -v[95:96]
	v_mul_f64 v[89:90], v[89:90], v[97:98]
	v_add_f64 v[113:114], v[113:114], -v[95:96]
	v_fma_f64 v[89:90], v[91:92], v[125:126], v[89:90]
	v_add_f64 v[115:116], v[115:116], -v[89:90]
	ds_read2_b64 v[89:92], v0 offset0:64 offset1:65
	s_waitcnt lgkmcnt(0)
	v_mul_f64 v[95:96], v[91:92], v[97:98]
	v_fma_f64 v[95:96], v[89:90], v[125:126], -v[95:96]
	v_mul_f64 v[89:90], v[89:90], v[97:98]
	v_add_f64 v[77:78], v[77:78], -v[95:96]
	v_fma_f64 v[89:90], v[91:92], v[125:126], v[89:90]
	v_add_f64 v[79:80], v[79:80], -v[89:90]
	ds_read2_b64 v[89:92], v0 offset0:66 offset1:67
	s_waitcnt lgkmcnt(0)
	v_mul_f64 v[95:96], v[91:92], v[97:98]
	v_fma_f64 v[95:96], v[89:90], v[125:126], -v[95:96]
	v_mul_f64 v[89:90], v[89:90], v[97:98]
	v_add_f64 v[73:74], v[73:74], -v[95:96]
	v_fma_f64 v[89:90], v[91:92], v[125:126], v[89:90]
	v_add_f64 v[75:76], v[75:76], -v[89:90]
	ds_read2_b64 v[89:92], v0 offset0:68 offset1:69
	buffer_load_dword v69, off, s[24:27], 0 ; 4-byte Folded Reload
	buffer_load_dword v70, off, s[24:27], 0 offset:4 ; 4-byte Folded Reload
	buffer_load_dword v71, off, s[24:27], 0 offset:8 ; 4-byte Folded Reload
	;; [unrolled: 1-line block ×3, first 2 shown]
	s_waitcnt lgkmcnt(0)
	v_mul_f64 v[95:96], v[91:92], v[97:98]
	v_fma_f64 v[95:96], v[89:90], v[125:126], -v[95:96]
	v_mul_f64 v[89:90], v[89:90], v[97:98]
	v_fma_f64 v[89:90], v[91:92], v[125:126], v[89:90]
	s_waitcnt vmcnt(2)
	v_add_f64 v[69:70], v[69:70], -v[95:96]
	s_waitcnt vmcnt(0)
	v_add_f64 v[71:72], v[71:72], -v[89:90]
	buffer_store_dword v69, off, s[24:27], 0 ; 4-byte Folded Spill
	s_nop 0
	buffer_store_dword v70, off, s[24:27], 0 offset:4 ; 4-byte Folded Spill
	buffer_store_dword v71, off, s[24:27], 0 offset:8 ; 4-byte Folded Spill
	;; [unrolled: 1-line block ×3, first 2 shown]
	ds_read2_b64 v[89:92], v0 offset0:70 offset1:71
	s_waitcnt lgkmcnt(0)
	v_mul_f64 v[95:96], v[91:92], v[97:98]
	v_fma_f64 v[95:96], v[89:90], v[125:126], -v[95:96]
	v_mul_f64 v[89:90], v[89:90], v[97:98]
	v_add_f64 v[65:66], v[65:66], -v[95:96]
	v_fma_f64 v[89:90], v[91:92], v[125:126], v[89:90]
	v_add_f64 v[67:68], v[67:68], -v[89:90]
	ds_read2_b64 v[89:92], v0 offset0:72 offset1:73
	s_waitcnt lgkmcnt(0)
	v_mul_f64 v[95:96], v[91:92], v[97:98]
	v_fma_f64 v[95:96], v[89:90], v[125:126], -v[95:96]
	v_mul_f64 v[89:90], v[89:90], v[97:98]
	v_add_f64 v[61:62], v[61:62], -v[95:96]
	v_fma_f64 v[89:90], v[91:92], v[125:126], v[89:90]
	v_add_f64 v[63:64], v[63:64], -v[89:90]
	;; [unrolled: 8-line block ×17, first 2 shown]
	ds_read2_b64 v[89:92], v0 offset0:104 offset1:105
	s_waitcnt lgkmcnt(0)
	v_mul_f64 v[95:96], v[91:92], v[97:98]
	v_fma_f64 v[95:96], v[89:90], v[125:126], -v[95:96]
	v_mul_f64 v[89:90], v[89:90], v[97:98]
	v_add_f64 v[121:122], v[121:122], -v[95:96]
	v_fma_f64 v[89:90], v[91:92], v[125:126], v[89:90]
	v_mov_b32_e32 v95, v125
	v_mov_b32_e32 v96, v126
	buffer_store_dword v95, off, s[24:27], 0 offset:288 ; 4-byte Folded Spill
	s_nop 0
	buffer_store_dword v96, off, s[24:27], 0 offset:292 ; 4-byte Folded Spill
	buffer_store_dword v97, off, s[24:27], 0 offset:296 ; 4-byte Folded Spill
	;; [unrolled: 1-line block ×3, first 2 shown]
	v_add_f64 v[123:124], v[123:124], -v[89:90]
.LBB104_230:
	s_or_b64 exec, exec, s[0:1]
	s_waitcnt vmcnt(0)
	s_barrier
	buffer_load_dword v69, off, s[24:27], 0 offset:272 ; 4-byte Folded Reload
	buffer_load_dword v70, off, s[24:27], 0 offset:276 ; 4-byte Folded Reload
	;; [unrolled: 1-line block ×4, first 2 shown]
	v_lshl_add_u32 v89, v93, 4, v0
	s_cmp_lt_i32 s3, 13
	s_waitcnt vmcnt(0)
	ds_write2_b64 v89, v[69:70], v[71:72] offset1:1
	s_waitcnt lgkmcnt(0)
	s_barrier
	ds_read2_b64 v[117:120], v0 offset0:22 offset1:23
	v_mov_b32_e32 v89, 11
	s_cbranch_scc1 .LBB104_233
; %bb.231:
	v_add_u32_e32 v90, 0xc0, v0
	s_mov_b32 s0, 12
	v_mov_b32_e32 v89, 11
.LBB104_232:                            ; =>This Inner Loop Header: Depth=1
	s_waitcnt lgkmcnt(0)
	v_cmp_gt_f64_e32 vcc, 0, v[117:118]
	v_xor_b32_e32 v91, 0x80000000, v118
	ds_read2_b64 v[95:98], v90 offset1:1
	v_xor_b32_e32 v99, 0x80000000, v120
	v_add_u32_e32 v90, 16, v90
	s_waitcnt lgkmcnt(0)
	v_xor_b32_e32 v101, 0x80000000, v98
	v_cndmask_b32_e32 v92, v118, v91, vcc
	v_cmp_gt_f64_e32 vcc, 0, v[119:120]
	v_mov_b32_e32 v91, v117
	v_cndmask_b32_e32 v100, v120, v99, vcc
	v_cmp_gt_f64_e32 vcc, 0, v[95:96]
	v_mov_b32_e32 v99, v119
	v_add_f64 v[91:92], v[91:92], v[99:100]
	v_xor_b32_e32 v99, 0x80000000, v96
	v_cndmask_b32_e32 v100, v96, v99, vcc
	v_cmp_gt_f64_e32 vcc, 0, v[97:98]
	v_mov_b32_e32 v99, v95
	v_cndmask_b32_e32 v102, v98, v101, vcc
	v_mov_b32_e32 v101, v97
	v_add_f64 v[99:100], v[99:100], v[101:102]
	v_cmp_lt_f64_e32 vcc, v[91:92], v[99:100]
	v_mov_b32_e32 v91, s0
	s_add_i32 s0, s0, 1
	s_cmp_lg_u32 s3, s0
	v_cndmask_b32_e32 v118, v118, v96, vcc
	v_cndmask_b32_e32 v117, v117, v95, vcc
	;; [unrolled: 1-line block ×5, first 2 shown]
	s_cbranch_scc1 .LBB104_232
.LBB104_233:
	s_waitcnt lgkmcnt(0)
	v_cmp_eq_f64_e32 vcc, 0, v[117:118]
	v_cmp_eq_f64_e64 s[0:1], 0, v[119:120]
	s_and_b64 s[0:1], vcc, s[0:1]
	s_and_saveexec_b64 s[18:19], s[0:1]
	s_xor_b64 s[0:1], exec, s[18:19]
; %bb.234:
	v_cmp_ne_u32_e32 vcc, 0, v94
	v_cndmask_b32_e32 v94, 12, v94, vcc
; %bb.235:
	s_andn2_saveexec_b64 s[0:1], s[0:1]
	s_cbranch_execz .LBB104_241
; %bb.236:
	v_cmp_ngt_f64_e64 s[18:19], |v[117:118]|, |v[119:120]|
	s_and_saveexec_b64 s[20:21], s[18:19]
	s_xor_b64 s[18:19], exec, s[20:21]
	s_cbranch_execz .LBB104_238
; %bb.237:
	v_div_scale_f64 v[90:91], s[20:21], v[119:120], v[119:120], v[117:118]
	v_rcp_f64_e32 v[95:96], v[90:91]
	v_fma_f64 v[97:98], -v[90:91], v[95:96], 1.0
	v_fma_f64 v[95:96], v[95:96], v[97:98], v[95:96]
	v_div_scale_f64 v[97:98], vcc, v[117:118], v[119:120], v[117:118]
	v_fma_f64 v[99:100], -v[90:91], v[95:96], 1.0
	v_fma_f64 v[95:96], v[95:96], v[99:100], v[95:96]
	v_mul_f64 v[99:100], v[97:98], v[95:96]
	v_fma_f64 v[90:91], -v[90:91], v[99:100], v[97:98]
	v_div_fmas_f64 v[90:91], v[90:91], v[95:96], v[99:100]
	v_div_fixup_f64 v[90:91], v[90:91], v[119:120], v[117:118]
	v_fma_f64 v[95:96], v[117:118], v[90:91], v[119:120]
	v_div_scale_f64 v[97:98], s[20:21], v[95:96], v[95:96], 1.0
	v_div_scale_f64 v[103:104], vcc, 1.0, v[95:96], 1.0
	v_rcp_f64_e32 v[99:100], v[97:98]
	v_fma_f64 v[101:102], -v[97:98], v[99:100], 1.0
	v_fma_f64 v[99:100], v[99:100], v[101:102], v[99:100]
	v_fma_f64 v[101:102], -v[97:98], v[99:100], 1.0
	v_fma_f64 v[99:100], v[99:100], v[101:102], v[99:100]
	v_mul_f64 v[101:102], v[103:104], v[99:100]
	v_fma_f64 v[97:98], -v[97:98], v[101:102], v[103:104]
	v_div_fmas_f64 v[97:98], v[97:98], v[99:100], v[101:102]
	v_div_fixup_f64 v[119:120], v[97:98], v[95:96], 1.0
	v_mul_f64 v[117:118], v[90:91], v[119:120]
	v_xor_b32_e32 v120, 0x80000000, v120
.LBB104_238:
	s_andn2_saveexec_b64 s[18:19], s[18:19]
	s_cbranch_execz .LBB104_240
; %bb.239:
	v_div_scale_f64 v[90:91], s[20:21], v[117:118], v[117:118], v[119:120]
	v_rcp_f64_e32 v[95:96], v[90:91]
	v_fma_f64 v[97:98], -v[90:91], v[95:96], 1.0
	v_fma_f64 v[95:96], v[95:96], v[97:98], v[95:96]
	v_div_scale_f64 v[97:98], vcc, v[119:120], v[117:118], v[119:120]
	v_fma_f64 v[99:100], -v[90:91], v[95:96], 1.0
	v_fma_f64 v[95:96], v[95:96], v[99:100], v[95:96]
	v_mul_f64 v[99:100], v[97:98], v[95:96]
	v_fma_f64 v[90:91], -v[90:91], v[99:100], v[97:98]
	v_div_fmas_f64 v[90:91], v[90:91], v[95:96], v[99:100]
	v_div_fixup_f64 v[90:91], v[90:91], v[117:118], v[119:120]
	v_fma_f64 v[95:96], v[119:120], v[90:91], v[117:118]
	v_div_scale_f64 v[97:98], s[20:21], v[95:96], v[95:96], 1.0
	v_div_scale_f64 v[103:104], vcc, 1.0, v[95:96], 1.0
	v_rcp_f64_e32 v[99:100], v[97:98]
	v_fma_f64 v[101:102], -v[97:98], v[99:100], 1.0
	v_fma_f64 v[99:100], v[99:100], v[101:102], v[99:100]
	v_fma_f64 v[101:102], -v[97:98], v[99:100], 1.0
	v_fma_f64 v[99:100], v[99:100], v[101:102], v[99:100]
	v_mul_f64 v[101:102], v[103:104], v[99:100]
	v_fma_f64 v[97:98], -v[97:98], v[101:102], v[103:104]
	v_div_fmas_f64 v[97:98], v[97:98], v[99:100], v[101:102]
	v_div_fixup_f64 v[117:118], v[97:98], v[95:96], 1.0
	v_mul_f64 v[119:120], v[90:91], -v[117:118]
.LBB104_240:
	s_or_b64 exec, exec, s[18:19]
.LBB104_241:
	s_or_b64 exec, exec, s[0:1]
	v_cmp_ne_u32_e32 vcc, v93, v89
	s_and_saveexec_b64 s[0:1], vcc
	s_xor_b64 s[0:1], exec, s[0:1]
	s_cbranch_execz .LBB104_247
; %bb.242:
	v_cmp_eq_u32_e32 vcc, 11, v93
	s_and_saveexec_b64 s[18:19], vcc
	s_cbranch_execz .LBB104_246
; %bb.243:
	v_cmp_ne_u32_e32 vcc, 11, v89
	s_xor_b64 s[20:21], s[6:7], -1
	s_and_b64 s[22:23], s[20:21], vcc
	s_and_saveexec_b64 s[20:21], s[22:23]
	s_cbranch_execz .LBB104_245
; %bb.244:
	v_mov_b32_e32 v69, v81
	v_mov_b32_e32 v70, v82
	v_mov_b32_e32 v71, v83
	v_mov_b32_e32 v72, v84
	buffer_load_dword v81, off, s[24:27], 0 offset:420 ; 4-byte Folded Reload
	buffer_load_dword v82, off, s[24:27], 0 offset:424 ; 4-byte Folded Reload
	v_ashrrev_i32_e32 v90, 31, v89
	v_lshlrev_b64 v[90:91], 2, v[89:90]
	s_waitcnt vmcnt(1)
	v_add_co_u32_e32 v90, vcc, v81, v90
	s_waitcnt vmcnt(0)
	v_addc_co_u32_e32 v91, vcc, v82, v91, vcc
	global_load_dword v92, v[90:91], off
	global_load_dword v93, v[81:82], off offset:44
	s_waitcnt vmcnt(1)
	global_store_dword v[81:82], v92, off offset:44
	v_mov_b32_e32 v84, v72
	v_mov_b32_e32 v83, v71
	;; [unrolled: 1-line block ×4, first 2 shown]
	s_waitcnt vmcnt(1)
	global_store_dword v[90:91], v93, off
.LBB104_245:
	s_or_b64 exec, exec, s[20:21]
	v_mov_b32_e32 v93, v89
	v_mov_b32_e32 v69, v89
	buffer_store_dword v69, off, s[24:27], 0 offset:352 ; 4-byte Folded Spill
.LBB104_246:
	s_or_b64 exec, exec, s[18:19]
.LBB104_247:
	s_andn2_saveexec_b64 s[0:1], s[0:1]
	s_cbranch_execz .LBB104_249
; %bb.248:
	buffer_load_dword v69, off, s[24:27], 0 offset:256 ; 4-byte Folded Reload
	buffer_load_dword v70, off, s[24:27], 0 offset:260 ; 4-byte Folded Reload
	;; [unrolled: 1-line block ×4, first 2 shown]
	v_mov_b32_e32 v93, 11
	s_waitcnt vmcnt(0)
	ds_write2_b64 v0, v[69:70], v[71:72] offset0:24 offset1:25
	buffer_load_dword v69, off, s[24:27], 0 offset:240 ; 4-byte Folded Reload
	buffer_load_dword v70, off, s[24:27], 0 offset:244 ; 4-byte Folded Reload
	buffer_load_dword v71, off, s[24:27], 0 offset:248 ; 4-byte Folded Reload
	buffer_load_dword v72, off, s[24:27], 0 offset:252 ; 4-byte Folded Reload
	s_waitcnt vmcnt(0)
	ds_write2_b64 v0, v[69:70], v[71:72] offset0:26 offset1:27
	buffer_load_dword v69, off, s[24:27], 0 offset:224 ; 4-byte Folded Reload
	buffer_load_dword v70, off, s[24:27], 0 offset:228 ; 4-byte Folded Reload
	buffer_load_dword v71, off, s[24:27], 0 offset:232 ; 4-byte Folded Reload
	buffer_load_dword v72, off, s[24:27], 0 offset:236 ; 4-byte Folded Reload
	;; [unrolled: 6-line block ×15, first 2 shown]
	s_waitcnt vmcnt(0)
	ds_write2_b64 v0, v[69:70], v[71:72] offset0:54 offset1:55
	ds_write2_b64 v0, v[81:82], v[83:84] offset0:56 offset1:57
	;; [unrolled: 1-line block ×7, first 2 shown]
	buffer_load_dword v69, off, s[24:27], 0 ; 4-byte Folded Reload
	buffer_load_dword v70, off, s[24:27], 0 offset:4 ; 4-byte Folded Reload
	buffer_load_dword v71, off, s[24:27], 0 offset:8 ; 4-byte Folded Reload
	;; [unrolled: 1-line block ×3, first 2 shown]
	s_waitcnt vmcnt(0)
	ds_write2_b64 v0, v[69:70], v[71:72] offset0:68 offset1:69
	ds_write2_b64 v0, v[65:66], v[67:68] offset0:70 offset1:71
	;; [unrolled: 1-line block ×19, first 2 shown]
.LBB104_249:
	s_or_b64 exec, exec, s[0:1]
	v_cmp_lt_i32_e32 vcc, 11, v93
	s_waitcnt vmcnt(0) lgkmcnt(0)
	s_barrier
	s_and_saveexec_b64 s[0:1], vcc
	s_cbranch_execz .LBB104_251
; %bb.250:
	buffer_load_dword v95, off, s[24:27], 0 offset:272 ; 4-byte Folded Reload
	buffer_load_dword v96, off, s[24:27], 0 offset:276 ; 4-byte Folded Reload
	;; [unrolled: 1-line block ×4, first 2 shown]
	s_waitcnt vmcnt(0)
	v_mul_f64 v[89:90], v[119:120], v[97:98]
	v_fma_f64 v[125:126], v[117:118], v[95:96], -v[89:90]
	v_mul_f64 v[89:90], v[117:118], v[97:98]
	v_fma_f64 v[97:98], v[119:120], v[95:96], v[89:90]
	ds_read2_b64 v[89:92], v0 offset0:24 offset1:25
	buffer_load_dword v69, off, s[24:27], 0 offset:256 ; 4-byte Folded Reload
	buffer_load_dword v70, off, s[24:27], 0 offset:260 ; 4-byte Folded Reload
	buffer_load_dword v71, off, s[24:27], 0 offset:264 ; 4-byte Folded Reload
	buffer_load_dword v72, off, s[24:27], 0 offset:268 ; 4-byte Folded Reload
	s_waitcnt lgkmcnt(0)
	v_mul_f64 v[95:96], v[91:92], v[97:98]
	v_fma_f64 v[95:96], v[89:90], v[125:126], -v[95:96]
	v_mul_f64 v[89:90], v[89:90], v[97:98]
	v_fma_f64 v[89:90], v[91:92], v[125:126], v[89:90]
	s_waitcnt vmcnt(2)
	v_add_f64 v[69:70], v[69:70], -v[95:96]
	s_waitcnt vmcnt(0)
	v_add_f64 v[71:72], v[71:72], -v[89:90]
	buffer_store_dword v69, off, s[24:27], 0 offset:256 ; 4-byte Folded Spill
	s_nop 0
	buffer_store_dword v70, off, s[24:27], 0 offset:260 ; 4-byte Folded Spill
	buffer_store_dword v71, off, s[24:27], 0 offset:264 ; 4-byte Folded Spill
	buffer_store_dword v72, off, s[24:27], 0 offset:268 ; 4-byte Folded Spill
	ds_read2_b64 v[89:92], v0 offset0:26 offset1:27
	buffer_load_dword v69, off, s[24:27], 0 offset:240 ; 4-byte Folded Reload
	buffer_load_dword v70, off, s[24:27], 0 offset:244 ; 4-byte Folded Reload
	buffer_load_dword v71, off, s[24:27], 0 offset:248 ; 4-byte Folded Reload
	buffer_load_dword v72, off, s[24:27], 0 offset:252 ; 4-byte Folded Reload
	s_waitcnt lgkmcnt(0)
	v_mul_f64 v[95:96], v[91:92], v[97:98]
	v_fma_f64 v[95:96], v[89:90], v[125:126], -v[95:96]
	v_mul_f64 v[89:90], v[89:90], v[97:98]
	v_fma_f64 v[89:90], v[91:92], v[125:126], v[89:90]
	s_waitcnt vmcnt(2)
	v_add_f64 v[69:70], v[69:70], -v[95:96]
	s_waitcnt vmcnt(0)
	v_add_f64 v[71:72], v[71:72], -v[89:90]
	buffer_store_dword v69, off, s[24:27], 0 offset:240 ; 4-byte Folded Spill
	s_nop 0
	buffer_store_dword v70, off, s[24:27], 0 offset:244 ; 4-byte Folded Spill
	buffer_store_dword v71, off, s[24:27], 0 offset:248 ; 4-byte Folded Spill
	buffer_store_dword v72, off, s[24:27], 0 offset:252 ; 4-byte Folded Spill
	ds_read2_b64 v[89:92], v0 offset0:28 offset1:29
	buffer_load_dword v69, off, s[24:27], 0 offset:224 ; 4-byte Folded Reload
	buffer_load_dword v70, off, s[24:27], 0 offset:228 ; 4-byte Folded Reload
	buffer_load_dword v71, off, s[24:27], 0 offset:232 ; 4-byte Folded Reload
	buffer_load_dword v72, off, s[24:27], 0 offset:236 ; 4-byte Folded Reload
	s_waitcnt lgkmcnt(0)
	v_mul_f64 v[95:96], v[91:92], v[97:98]
	v_fma_f64 v[95:96], v[89:90], v[125:126], -v[95:96]
	v_mul_f64 v[89:90], v[89:90], v[97:98]
	v_fma_f64 v[89:90], v[91:92], v[125:126], v[89:90]
	s_waitcnt vmcnt(2)
	v_add_f64 v[69:70], v[69:70], -v[95:96]
	s_waitcnt vmcnt(0)
	v_add_f64 v[71:72], v[71:72], -v[89:90]
	buffer_store_dword v69, off, s[24:27], 0 offset:224 ; 4-byte Folded Spill
	s_nop 0
	buffer_store_dword v70, off, s[24:27], 0 offset:228 ; 4-byte Folded Spill
	buffer_store_dword v71, off, s[24:27], 0 offset:232 ; 4-byte Folded Spill
	buffer_store_dword v72, off, s[24:27], 0 offset:236 ; 4-byte Folded Spill
	ds_read2_b64 v[89:92], v0 offset0:30 offset1:31
	buffer_load_dword v69, off, s[24:27], 0 offset:208 ; 4-byte Folded Reload
	buffer_load_dword v70, off, s[24:27], 0 offset:212 ; 4-byte Folded Reload
	buffer_load_dword v71, off, s[24:27], 0 offset:216 ; 4-byte Folded Reload
	buffer_load_dword v72, off, s[24:27], 0 offset:220 ; 4-byte Folded Reload
	s_waitcnt lgkmcnt(0)
	v_mul_f64 v[95:96], v[91:92], v[97:98]
	v_fma_f64 v[95:96], v[89:90], v[125:126], -v[95:96]
	v_mul_f64 v[89:90], v[89:90], v[97:98]
	v_fma_f64 v[89:90], v[91:92], v[125:126], v[89:90]
	s_waitcnt vmcnt(2)
	v_add_f64 v[69:70], v[69:70], -v[95:96]
	s_waitcnt vmcnt(0)
	v_add_f64 v[71:72], v[71:72], -v[89:90]
	buffer_store_dword v69, off, s[24:27], 0 offset:208 ; 4-byte Folded Spill
	s_nop 0
	buffer_store_dword v70, off, s[24:27], 0 offset:212 ; 4-byte Folded Spill
	buffer_store_dword v71, off, s[24:27], 0 offset:216 ; 4-byte Folded Spill
	buffer_store_dword v72, off, s[24:27], 0 offset:220 ; 4-byte Folded Spill
	ds_read2_b64 v[89:92], v0 offset0:32 offset1:33
	buffer_load_dword v69, off, s[24:27], 0 offset:192 ; 4-byte Folded Reload
	buffer_load_dword v70, off, s[24:27], 0 offset:196 ; 4-byte Folded Reload
	buffer_load_dword v71, off, s[24:27], 0 offset:200 ; 4-byte Folded Reload
	buffer_load_dword v72, off, s[24:27], 0 offset:204 ; 4-byte Folded Reload
	s_waitcnt lgkmcnt(0)
	v_mul_f64 v[95:96], v[91:92], v[97:98]
	v_fma_f64 v[95:96], v[89:90], v[125:126], -v[95:96]
	v_mul_f64 v[89:90], v[89:90], v[97:98]
	v_fma_f64 v[89:90], v[91:92], v[125:126], v[89:90]
	s_waitcnt vmcnt(2)
	v_add_f64 v[69:70], v[69:70], -v[95:96]
	s_waitcnt vmcnt(0)
	v_add_f64 v[71:72], v[71:72], -v[89:90]
	buffer_store_dword v69, off, s[24:27], 0 offset:192 ; 4-byte Folded Spill
	s_nop 0
	buffer_store_dword v70, off, s[24:27], 0 offset:196 ; 4-byte Folded Spill
	buffer_store_dword v71, off, s[24:27], 0 offset:200 ; 4-byte Folded Spill
	buffer_store_dword v72, off, s[24:27], 0 offset:204 ; 4-byte Folded Spill
	ds_read2_b64 v[89:92], v0 offset0:34 offset1:35
	buffer_load_dword v69, off, s[24:27], 0 offset:176 ; 4-byte Folded Reload
	buffer_load_dword v70, off, s[24:27], 0 offset:180 ; 4-byte Folded Reload
	buffer_load_dword v71, off, s[24:27], 0 offset:184 ; 4-byte Folded Reload
	buffer_load_dword v72, off, s[24:27], 0 offset:188 ; 4-byte Folded Reload
	s_waitcnt lgkmcnt(0)
	v_mul_f64 v[95:96], v[91:92], v[97:98]
	v_fma_f64 v[95:96], v[89:90], v[125:126], -v[95:96]
	v_mul_f64 v[89:90], v[89:90], v[97:98]
	v_fma_f64 v[89:90], v[91:92], v[125:126], v[89:90]
	s_waitcnt vmcnt(2)
	v_add_f64 v[69:70], v[69:70], -v[95:96]
	s_waitcnt vmcnt(0)
	v_add_f64 v[71:72], v[71:72], -v[89:90]
	buffer_store_dword v69, off, s[24:27], 0 offset:176 ; 4-byte Folded Spill
	s_nop 0
	buffer_store_dword v70, off, s[24:27], 0 offset:180 ; 4-byte Folded Spill
	buffer_store_dword v71, off, s[24:27], 0 offset:184 ; 4-byte Folded Spill
	buffer_store_dword v72, off, s[24:27], 0 offset:188 ; 4-byte Folded Spill
	ds_read2_b64 v[89:92], v0 offset0:36 offset1:37
	buffer_load_dword v69, off, s[24:27], 0 offset:160 ; 4-byte Folded Reload
	buffer_load_dword v70, off, s[24:27], 0 offset:164 ; 4-byte Folded Reload
	buffer_load_dword v71, off, s[24:27], 0 offset:168 ; 4-byte Folded Reload
	buffer_load_dword v72, off, s[24:27], 0 offset:172 ; 4-byte Folded Reload
	s_waitcnt lgkmcnt(0)
	v_mul_f64 v[95:96], v[91:92], v[97:98]
	v_fma_f64 v[95:96], v[89:90], v[125:126], -v[95:96]
	v_mul_f64 v[89:90], v[89:90], v[97:98]
	v_fma_f64 v[89:90], v[91:92], v[125:126], v[89:90]
	s_waitcnt vmcnt(2)
	v_add_f64 v[69:70], v[69:70], -v[95:96]
	s_waitcnt vmcnt(0)
	v_add_f64 v[71:72], v[71:72], -v[89:90]
	buffer_store_dword v69, off, s[24:27], 0 offset:160 ; 4-byte Folded Spill
	s_nop 0
	buffer_store_dword v70, off, s[24:27], 0 offset:164 ; 4-byte Folded Spill
	buffer_store_dword v71, off, s[24:27], 0 offset:168 ; 4-byte Folded Spill
	buffer_store_dword v72, off, s[24:27], 0 offset:172 ; 4-byte Folded Spill
	ds_read2_b64 v[89:92], v0 offset0:38 offset1:39
	buffer_load_dword v69, off, s[24:27], 0 offset:144 ; 4-byte Folded Reload
	buffer_load_dword v70, off, s[24:27], 0 offset:148 ; 4-byte Folded Reload
	buffer_load_dword v71, off, s[24:27], 0 offset:152 ; 4-byte Folded Reload
	buffer_load_dword v72, off, s[24:27], 0 offset:156 ; 4-byte Folded Reload
	s_waitcnt lgkmcnt(0)
	v_mul_f64 v[95:96], v[91:92], v[97:98]
	v_fma_f64 v[95:96], v[89:90], v[125:126], -v[95:96]
	v_mul_f64 v[89:90], v[89:90], v[97:98]
	v_fma_f64 v[89:90], v[91:92], v[125:126], v[89:90]
	s_waitcnt vmcnt(2)
	v_add_f64 v[69:70], v[69:70], -v[95:96]
	s_waitcnt vmcnt(0)
	v_add_f64 v[71:72], v[71:72], -v[89:90]
	buffer_store_dword v69, off, s[24:27], 0 offset:144 ; 4-byte Folded Spill
	s_nop 0
	buffer_store_dword v70, off, s[24:27], 0 offset:148 ; 4-byte Folded Spill
	buffer_store_dword v71, off, s[24:27], 0 offset:152 ; 4-byte Folded Spill
	buffer_store_dword v72, off, s[24:27], 0 offset:156 ; 4-byte Folded Spill
	ds_read2_b64 v[89:92], v0 offset0:40 offset1:41
	buffer_load_dword v69, off, s[24:27], 0 offset:128 ; 4-byte Folded Reload
	buffer_load_dword v70, off, s[24:27], 0 offset:132 ; 4-byte Folded Reload
	buffer_load_dword v71, off, s[24:27], 0 offset:136 ; 4-byte Folded Reload
	buffer_load_dword v72, off, s[24:27], 0 offset:140 ; 4-byte Folded Reload
	s_waitcnt lgkmcnt(0)
	v_mul_f64 v[95:96], v[91:92], v[97:98]
	v_fma_f64 v[95:96], v[89:90], v[125:126], -v[95:96]
	v_mul_f64 v[89:90], v[89:90], v[97:98]
	v_fma_f64 v[89:90], v[91:92], v[125:126], v[89:90]
	s_waitcnt vmcnt(2)
	v_add_f64 v[69:70], v[69:70], -v[95:96]
	s_waitcnt vmcnt(0)
	v_add_f64 v[71:72], v[71:72], -v[89:90]
	buffer_store_dword v69, off, s[24:27], 0 offset:128 ; 4-byte Folded Spill
	s_nop 0
	buffer_store_dword v70, off, s[24:27], 0 offset:132 ; 4-byte Folded Spill
	buffer_store_dword v71, off, s[24:27], 0 offset:136 ; 4-byte Folded Spill
	buffer_store_dword v72, off, s[24:27], 0 offset:140 ; 4-byte Folded Spill
	ds_read2_b64 v[89:92], v0 offset0:42 offset1:43
	buffer_load_dword v69, off, s[24:27], 0 offset:112 ; 4-byte Folded Reload
	buffer_load_dword v70, off, s[24:27], 0 offset:116 ; 4-byte Folded Reload
	buffer_load_dword v71, off, s[24:27], 0 offset:120 ; 4-byte Folded Reload
	buffer_load_dword v72, off, s[24:27], 0 offset:124 ; 4-byte Folded Reload
	s_waitcnt lgkmcnt(0)
	v_mul_f64 v[95:96], v[91:92], v[97:98]
	v_fma_f64 v[95:96], v[89:90], v[125:126], -v[95:96]
	v_mul_f64 v[89:90], v[89:90], v[97:98]
	v_fma_f64 v[89:90], v[91:92], v[125:126], v[89:90]
	s_waitcnt vmcnt(2)
	v_add_f64 v[69:70], v[69:70], -v[95:96]
	s_waitcnt vmcnt(0)
	v_add_f64 v[71:72], v[71:72], -v[89:90]
	buffer_store_dword v69, off, s[24:27], 0 offset:112 ; 4-byte Folded Spill
	s_nop 0
	buffer_store_dword v70, off, s[24:27], 0 offset:116 ; 4-byte Folded Spill
	buffer_store_dword v71, off, s[24:27], 0 offset:120 ; 4-byte Folded Spill
	buffer_store_dword v72, off, s[24:27], 0 offset:124 ; 4-byte Folded Spill
	ds_read2_b64 v[89:92], v0 offset0:44 offset1:45
	buffer_load_dword v69, off, s[24:27], 0 offset:96 ; 4-byte Folded Reload
	buffer_load_dword v70, off, s[24:27], 0 offset:100 ; 4-byte Folded Reload
	buffer_load_dword v71, off, s[24:27], 0 offset:104 ; 4-byte Folded Reload
	buffer_load_dword v72, off, s[24:27], 0 offset:108 ; 4-byte Folded Reload
	s_waitcnt lgkmcnt(0)
	v_mul_f64 v[95:96], v[91:92], v[97:98]
	v_fma_f64 v[95:96], v[89:90], v[125:126], -v[95:96]
	v_mul_f64 v[89:90], v[89:90], v[97:98]
	v_fma_f64 v[89:90], v[91:92], v[125:126], v[89:90]
	s_waitcnt vmcnt(2)
	v_add_f64 v[69:70], v[69:70], -v[95:96]
	s_waitcnt vmcnt(0)
	v_add_f64 v[71:72], v[71:72], -v[89:90]
	buffer_store_dword v69, off, s[24:27], 0 offset:96 ; 4-byte Folded Spill
	s_nop 0
	buffer_store_dword v70, off, s[24:27], 0 offset:100 ; 4-byte Folded Spill
	buffer_store_dword v71, off, s[24:27], 0 offset:104 ; 4-byte Folded Spill
	buffer_store_dword v72, off, s[24:27], 0 offset:108 ; 4-byte Folded Spill
	ds_read2_b64 v[89:92], v0 offset0:46 offset1:47
	buffer_load_dword v69, off, s[24:27], 0 offset:80 ; 4-byte Folded Reload
	buffer_load_dword v70, off, s[24:27], 0 offset:84 ; 4-byte Folded Reload
	buffer_load_dword v71, off, s[24:27], 0 offset:88 ; 4-byte Folded Reload
	buffer_load_dword v72, off, s[24:27], 0 offset:92 ; 4-byte Folded Reload
	s_waitcnt lgkmcnt(0)
	v_mul_f64 v[95:96], v[91:92], v[97:98]
	v_fma_f64 v[95:96], v[89:90], v[125:126], -v[95:96]
	v_mul_f64 v[89:90], v[89:90], v[97:98]
	v_fma_f64 v[89:90], v[91:92], v[125:126], v[89:90]
	s_waitcnt vmcnt(2)
	v_add_f64 v[69:70], v[69:70], -v[95:96]
	s_waitcnt vmcnt(0)
	v_add_f64 v[71:72], v[71:72], -v[89:90]
	buffer_store_dword v69, off, s[24:27], 0 offset:80 ; 4-byte Folded Spill
	s_nop 0
	buffer_store_dword v70, off, s[24:27], 0 offset:84 ; 4-byte Folded Spill
	buffer_store_dword v71, off, s[24:27], 0 offset:88 ; 4-byte Folded Spill
	buffer_store_dword v72, off, s[24:27], 0 offset:92 ; 4-byte Folded Spill
	ds_read2_b64 v[89:92], v0 offset0:48 offset1:49
	buffer_load_dword v69, off, s[24:27], 0 offset:64 ; 4-byte Folded Reload
	buffer_load_dword v70, off, s[24:27], 0 offset:68 ; 4-byte Folded Reload
	buffer_load_dword v71, off, s[24:27], 0 offset:72 ; 4-byte Folded Reload
	buffer_load_dword v72, off, s[24:27], 0 offset:76 ; 4-byte Folded Reload
	s_waitcnt lgkmcnt(0)
	v_mul_f64 v[95:96], v[91:92], v[97:98]
	v_fma_f64 v[95:96], v[89:90], v[125:126], -v[95:96]
	v_mul_f64 v[89:90], v[89:90], v[97:98]
	v_fma_f64 v[89:90], v[91:92], v[125:126], v[89:90]
	s_waitcnt vmcnt(2)
	v_add_f64 v[69:70], v[69:70], -v[95:96]
	s_waitcnt vmcnt(0)
	v_add_f64 v[71:72], v[71:72], -v[89:90]
	buffer_store_dword v69, off, s[24:27], 0 offset:64 ; 4-byte Folded Spill
	s_nop 0
	buffer_store_dword v70, off, s[24:27], 0 offset:68 ; 4-byte Folded Spill
	buffer_store_dword v71, off, s[24:27], 0 offset:72 ; 4-byte Folded Spill
	buffer_store_dword v72, off, s[24:27], 0 offset:76 ; 4-byte Folded Spill
	ds_read2_b64 v[89:92], v0 offset0:50 offset1:51
	buffer_load_dword v69, off, s[24:27], 0 offset:48 ; 4-byte Folded Reload
	buffer_load_dword v70, off, s[24:27], 0 offset:52 ; 4-byte Folded Reload
	buffer_load_dword v71, off, s[24:27], 0 offset:56 ; 4-byte Folded Reload
	buffer_load_dword v72, off, s[24:27], 0 offset:60 ; 4-byte Folded Reload
	s_waitcnt lgkmcnt(0)
	v_mul_f64 v[95:96], v[91:92], v[97:98]
	v_fma_f64 v[95:96], v[89:90], v[125:126], -v[95:96]
	v_mul_f64 v[89:90], v[89:90], v[97:98]
	v_fma_f64 v[89:90], v[91:92], v[125:126], v[89:90]
	s_waitcnt vmcnt(2)
	v_add_f64 v[69:70], v[69:70], -v[95:96]
	s_waitcnt vmcnt(0)
	v_add_f64 v[71:72], v[71:72], -v[89:90]
	buffer_store_dword v69, off, s[24:27], 0 offset:48 ; 4-byte Folded Spill
	s_nop 0
	buffer_store_dword v70, off, s[24:27], 0 offset:52 ; 4-byte Folded Spill
	buffer_store_dword v71, off, s[24:27], 0 offset:56 ; 4-byte Folded Spill
	buffer_store_dword v72, off, s[24:27], 0 offset:60 ; 4-byte Folded Spill
	ds_read2_b64 v[89:92], v0 offset0:52 offset1:53
	buffer_load_dword v69, off, s[24:27], 0 offset:32 ; 4-byte Folded Reload
	buffer_load_dword v70, off, s[24:27], 0 offset:36 ; 4-byte Folded Reload
	buffer_load_dword v71, off, s[24:27], 0 offset:40 ; 4-byte Folded Reload
	buffer_load_dword v72, off, s[24:27], 0 offset:44 ; 4-byte Folded Reload
	s_waitcnt lgkmcnt(0)
	v_mul_f64 v[95:96], v[91:92], v[97:98]
	v_fma_f64 v[95:96], v[89:90], v[125:126], -v[95:96]
	v_mul_f64 v[89:90], v[89:90], v[97:98]
	v_fma_f64 v[89:90], v[91:92], v[125:126], v[89:90]
	s_waitcnt vmcnt(2)
	v_add_f64 v[69:70], v[69:70], -v[95:96]
	s_waitcnt vmcnt(0)
	v_add_f64 v[71:72], v[71:72], -v[89:90]
	buffer_store_dword v69, off, s[24:27], 0 offset:32 ; 4-byte Folded Spill
	s_nop 0
	buffer_store_dword v70, off, s[24:27], 0 offset:36 ; 4-byte Folded Spill
	buffer_store_dword v71, off, s[24:27], 0 offset:40 ; 4-byte Folded Spill
	buffer_store_dword v72, off, s[24:27], 0 offset:44 ; 4-byte Folded Spill
	ds_read2_b64 v[89:92], v0 offset0:54 offset1:55
	buffer_load_dword v69, off, s[24:27], 0 offset:16 ; 4-byte Folded Reload
	buffer_load_dword v70, off, s[24:27], 0 offset:20 ; 4-byte Folded Reload
	buffer_load_dword v71, off, s[24:27], 0 offset:24 ; 4-byte Folded Reload
	buffer_load_dword v72, off, s[24:27], 0 offset:28 ; 4-byte Folded Reload
	s_waitcnt lgkmcnt(0)
	v_mul_f64 v[95:96], v[91:92], v[97:98]
	v_fma_f64 v[95:96], v[89:90], v[125:126], -v[95:96]
	v_mul_f64 v[89:90], v[89:90], v[97:98]
	v_fma_f64 v[89:90], v[91:92], v[125:126], v[89:90]
	s_waitcnt vmcnt(2)
	v_add_f64 v[69:70], v[69:70], -v[95:96]
	s_waitcnt vmcnt(0)
	v_add_f64 v[71:72], v[71:72], -v[89:90]
	buffer_store_dword v69, off, s[24:27], 0 offset:16 ; 4-byte Folded Spill
	s_nop 0
	buffer_store_dword v70, off, s[24:27], 0 offset:20 ; 4-byte Folded Spill
	buffer_store_dword v71, off, s[24:27], 0 offset:24 ; 4-byte Folded Spill
	buffer_store_dword v72, off, s[24:27], 0 offset:28 ; 4-byte Folded Spill
	ds_read2_b64 v[89:92], v0 offset0:56 offset1:57
	s_waitcnt lgkmcnt(0)
	v_mul_f64 v[95:96], v[91:92], v[97:98]
	v_fma_f64 v[95:96], v[89:90], v[125:126], -v[95:96]
	v_mul_f64 v[89:90], v[89:90], v[97:98]
	v_add_f64 v[81:82], v[81:82], -v[95:96]
	v_fma_f64 v[89:90], v[91:92], v[125:126], v[89:90]
	v_add_f64 v[83:84], v[83:84], -v[89:90]
	ds_read2_b64 v[89:92], v0 offset0:58 offset1:59
	s_waitcnt lgkmcnt(0)
	v_mul_f64 v[95:96], v[91:92], v[97:98]
	v_fma_f64 v[95:96], v[89:90], v[125:126], -v[95:96]
	v_mul_f64 v[89:90], v[89:90], v[97:98]
	v_add_f64 v[85:86], v[85:86], -v[95:96]
	v_fma_f64 v[89:90], v[91:92], v[125:126], v[89:90]
	v_add_f64 v[87:88], v[87:88], -v[89:90]
	;; [unrolled: 8-line block ×6, first 2 shown]
	ds_read2_b64 v[89:92], v0 offset0:68 offset1:69
	buffer_load_dword v69, off, s[24:27], 0 ; 4-byte Folded Reload
	buffer_load_dword v70, off, s[24:27], 0 offset:4 ; 4-byte Folded Reload
	buffer_load_dword v71, off, s[24:27], 0 offset:8 ; 4-byte Folded Reload
	;; [unrolled: 1-line block ×3, first 2 shown]
	s_waitcnt lgkmcnt(0)
	v_mul_f64 v[95:96], v[91:92], v[97:98]
	v_fma_f64 v[95:96], v[89:90], v[125:126], -v[95:96]
	v_mul_f64 v[89:90], v[89:90], v[97:98]
	v_fma_f64 v[89:90], v[91:92], v[125:126], v[89:90]
	s_waitcnt vmcnt(2)
	v_add_f64 v[69:70], v[69:70], -v[95:96]
	s_waitcnt vmcnt(0)
	v_add_f64 v[71:72], v[71:72], -v[89:90]
	buffer_store_dword v69, off, s[24:27], 0 ; 4-byte Folded Spill
	s_nop 0
	buffer_store_dword v70, off, s[24:27], 0 offset:4 ; 4-byte Folded Spill
	buffer_store_dword v71, off, s[24:27], 0 offset:8 ; 4-byte Folded Spill
	;; [unrolled: 1-line block ×3, first 2 shown]
	ds_read2_b64 v[89:92], v0 offset0:70 offset1:71
	s_waitcnt lgkmcnt(0)
	v_mul_f64 v[95:96], v[91:92], v[97:98]
	v_fma_f64 v[95:96], v[89:90], v[125:126], -v[95:96]
	v_mul_f64 v[89:90], v[89:90], v[97:98]
	v_add_f64 v[65:66], v[65:66], -v[95:96]
	v_fma_f64 v[89:90], v[91:92], v[125:126], v[89:90]
	v_add_f64 v[67:68], v[67:68], -v[89:90]
	ds_read2_b64 v[89:92], v0 offset0:72 offset1:73
	s_waitcnt lgkmcnt(0)
	v_mul_f64 v[95:96], v[91:92], v[97:98]
	v_fma_f64 v[95:96], v[89:90], v[125:126], -v[95:96]
	v_mul_f64 v[89:90], v[89:90], v[97:98]
	v_add_f64 v[61:62], v[61:62], -v[95:96]
	v_fma_f64 v[89:90], v[91:92], v[125:126], v[89:90]
	v_add_f64 v[63:64], v[63:64], -v[89:90]
	;; [unrolled: 8-line block ×17, first 2 shown]
	ds_read2_b64 v[89:92], v0 offset0:104 offset1:105
	s_waitcnt lgkmcnt(0)
	v_mul_f64 v[95:96], v[91:92], v[97:98]
	v_fma_f64 v[95:96], v[89:90], v[125:126], -v[95:96]
	v_mul_f64 v[89:90], v[89:90], v[97:98]
	v_add_f64 v[121:122], v[121:122], -v[95:96]
	v_fma_f64 v[89:90], v[91:92], v[125:126], v[89:90]
	v_mov_b32_e32 v95, v125
	v_mov_b32_e32 v96, v126
	buffer_store_dword v95, off, s[24:27], 0 offset:272 ; 4-byte Folded Spill
	s_nop 0
	buffer_store_dword v96, off, s[24:27], 0 offset:276 ; 4-byte Folded Spill
	buffer_store_dword v97, off, s[24:27], 0 offset:280 ; 4-byte Folded Spill
	;; [unrolled: 1-line block ×3, first 2 shown]
	v_add_f64 v[123:124], v[123:124], -v[89:90]
.LBB104_251:
	s_or_b64 exec, exec, s[0:1]
	s_waitcnt vmcnt(0)
	s_barrier
	buffer_load_dword v69, off, s[24:27], 0 offset:256 ; 4-byte Folded Reload
	buffer_load_dword v70, off, s[24:27], 0 offset:260 ; 4-byte Folded Reload
	;; [unrolled: 1-line block ×4, first 2 shown]
	v_lshl_add_u32 v89, v93, 4, v0
	s_cmp_lt_i32 s3, 14
	s_waitcnt vmcnt(0)
	ds_write2_b64 v89, v[69:70], v[71:72] offset1:1
	s_waitcnt lgkmcnt(0)
	s_barrier
	ds_read2_b64 v[117:120], v0 offset0:24 offset1:25
	v_mov_b32_e32 v89, 12
	s_cbranch_scc1 .LBB104_254
; %bb.252:
	v_add_u32_e32 v90, 0xd0, v0
	s_mov_b32 s0, 13
	v_mov_b32_e32 v89, 12
.LBB104_253:                            ; =>This Inner Loop Header: Depth=1
	s_waitcnt lgkmcnt(0)
	v_cmp_gt_f64_e32 vcc, 0, v[117:118]
	v_xor_b32_e32 v91, 0x80000000, v118
	ds_read2_b64 v[95:98], v90 offset1:1
	v_xor_b32_e32 v99, 0x80000000, v120
	v_add_u32_e32 v90, 16, v90
	s_waitcnt lgkmcnt(0)
	v_xor_b32_e32 v101, 0x80000000, v98
	v_cndmask_b32_e32 v92, v118, v91, vcc
	v_cmp_gt_f64_e32 vcc, 0, v[119:120]
	v_mov_b32_e32 v91, v117
	v_cndmask_b32_e32 v100, v120, v99, vcc
	v_cmp_gt_f64_e32 vcc, 0, v[95:96]
	v_mov_b32_e32 v99, v119
	v_add_f64 v[91:92], v[91:92], v[99:100]
	v_xor_b32_e32 v99, 0x80000000, v96
	v_cndmask_b32_e32 v100, v96, v99, vcc
	v_cmp_gt_f64_e32 vcc, 0, v[97:98]
	v_mov_b32_e32 v99, v95
	v_cndmask_b32_e32 v102, v98, v101, vcc
	v_mov_b32_e32 v101, v97
	v_add_f64 v[99:100], v[99:100], v[101:102]
	v_cmp_lt_f64_e32 vcc, v[91:92], v[99:100]
	v_mov_b32_e32 v91, s0
	s_add_i32 s0, s0, 1
	s_cmp_lg_u32 s3, s0
	v_cndmask_b32_e32 v118, v118, v96, vcc
	v_cndmask_b32_e32 v117, v117, v95, vcc
	;; [unrolled: 1-line block ×5, first 2 shown]
	s_cbranch_scc1 .LBB104_253
.LBB104_254:
	s_waitcnt lgkmcnt(0)
	v_cmp_eq_f64_e32 vcc, 0, v[117:118]
	v_cmp_eq_f64_e64 s[0:1], 0, v[119:120]
	s_and_b64 s[0:1], vcc, s[0:1]
	s_and_saveexec_b64 s[18:19], s[0:1]
	s_xor_b64 s[0:1], exec, s[18:19]
; %bb.255:
	v_cmp_ne_u32_e32 vcc, 0, v94
	v_cndmask_b32_e32 v94, 13, v94, vcc
; %bb.256:
	s_andn2_saveexec_b64 s[0:1], s[0:1]
	s_cbranch_execz .LBB104_262
; %bb.257:
	v_cmp_ngt_f64_e64 s[18:19], |v[117:118]|, |v[119:120]|
	s_and_saveexec_b64 s[20:21], s[18:19]
	s_xor_b64 s[18:19], exec, s[20:21]
	s_cbranch_execz .LBB104_259
; %bb.258:
	v_div_scale_f64 v[90:91], s[20:21], v[119:120], v[119:120], v[117:118]
	v_rcp_f64_e32 v[95:96], v[90:91]
	v_fma_f64 v[97:98], -v[90:91], v[95:96], 1.0
	v_fma_f64 v[95:96], v[95:96], v[97:98], v[95:96]
	v_div_scale_f64 v[97:98], vcc, v[117:118], v[119:120], v[117:118]
	v_fma_f64 v[99:100], -v[90:91], v[95:96], 1.0
	v_fma_f64 v[95:96], v[95:96], v[99:100], v[95:96]
	v_mul_f64 v[99:100], v[97:98], v[95:96]
	v_fma_f64 v[90:91], -v[90:91], v[99:100], v[97:98]
	v_div_fmas_f64 v[90:91], v[90:91], v[95:96], v[99:100]
	v_div_fixup_f64 v[90:91], v[90:91], v[119:120], v[117:118]
	v_fma_f64 v[95:96], v[117:118], v[90:91], v[119:120]
	v_div_scale_f64 v[97:98], s[20:21], v[95:96], v[95:96], 1.0
	v_div_scale_f64 v[103:104], vcc, 1.0, v[95:96], 1.0
	v_rcp_f64_e32 v[99:100], v[97:98]
	v_fma_f64 v[101:102], -v[97:98], v[99:100], 1.0
	v_fma_f64 v[99:100], v[99:100], v[101:102], v[99:100]
	v_fma_f64 v[101:102], -v[97:98], v[99:100], 1.0
	v_fma_f64 v[99:100], v[99:100], v[101:102], v[99:100]
	v_mul_f64 v[101:102], v[103:104], v[99:100]
	v_fma_f64 v[97:98], -v[97:98], v[101:102], v[103:104]
	v_div_fmas_f64 v[97:98], v[97:98], v[99:100], v[101:102]
	v_div_fixup_f64 v[119:120], v[97:98], v[95:96], 1.0
	v_mul_f64 v[117:118], v[90:91], v[119:120]
	v_xor_b32_e32 v120, 0x80000000, v120
.LBB104_259:
	s_andn2_saveexec_b64 s[18:19], s[18:19]
	s_cbranch_execz .LBB104_261
; %bb.260:
	v_div_scale_f64 v[90:91], s[20:21], v[117:118], v[117:118], v[119:120]
	v_rcp_f64_e32 v[95:96], v[90:91]
	v_fma_f64 v[97:98], -v[90:91], v[95:96], 1.0
	v_fma_f64 v[95:96], v[95:96], v[97:98], v[95:96]
	v_div_scale_f64 v[97:98], vcc, v[119:120], v[117:118], v[119:120]
	v_fma_f64 v[99:100], -v[90:91], v[95:96], 1.0
	v_fma_f64 v[95:96], v[95:96], v[99:100], v[95:96]
	v_mul_f64 v[99:100], v[97:98], v[95:96]
	v_fma_f64 v[90:91], -v[90:91], v[99:100], v[97:98]
	v_div_fmas_f64 v[90:91], v[90:91], v[95:96], v[99:100]
	v_div_fixup_f64 v[90:91], v[90:91], v[117:118], v[119:120]
	v_fma_f64 v[95:96], v[119:120], v[90:91], v[117:118]
	v_div_scale_f64 v[97:98], s[20:21], v[95:96], v[95:96], 1.0
	v_div_scale_f64 v[103:104], vcc, 1.0, v[95:96], 1.0
	v_rcp_f64_e32 v[99:100], v[97:98]
	v_fma_f64 v[101:102], -v[97:98], v[99:100], 1.0
	v_fma_f64 v[99:100], v[99:100], v[101:102], v[99:100]
	v_fma_f64 v[101:102], -v[97:98], v[99:100], 1.0
	v_fma_f64 v[99:100], v[99:100], v[101:102], v[99:100]
	v_mul_f64 v[101:102], v[103:104], v[99:100]
	v_fma_f64 v[97:98], -v[97:98], v[101:102], v[103:104]
	v_div_fmas_f64 v[97:98], v[97:98], v[99:100], v[101:102]
	v_div_fixup_f64 v[117:118], v[97:98], v[95:96], 1.0
	v_mul_f64 v[119:120], v[90:91], -v[117:118]
.LBB104_261:
	s_or_b64 exec, exec, s[18:19]
.LBB104_262:
	s_or_b64 exec, exec, s[0:1]
	v_cmp_ne_u32_e32 vcc, v93, v89
	s_and_saveexec_b64 s[0:1], vcc
	s_xor_b64 s[0:1], exec, s[0:1]
	s_cbranch_execz .LBB104_268
; %bb.263:
	v_cmp_eq_u32_e32 vcc, 12, v93
	s_and_saveexec_b64 s[18:19], vcc
	s_cbranch_execz .LBB104_267
; %bb.264:
	v_cmp_ne_u32_e32 vcc, 12, v89
	s_xor_b64 s[20:21], s[6:7], -1
	s_and_b64 s[22:23], s[20:21], vcc
	s_and_saveexec_b64 s[20:21], s[22:23]
	s_cbranch_execz .LBB104_266
; %bb.265:
	v_mov_b32_e32 v69, v81
	v_mov_b32_e32 v70, v82
	;; [unrolled: 1-line block ×4, first 2 shown]
	buffer_load_dword v81, off, s[24:27], 0 offset:420 ; 4-byte Folded Reload
	buffer_load_dword v82, off, s[24:27], 0 offset:424 ; 4-byte Folded Reload
	v_ashrrev_i32_e32 v90, 31, v89
	v_lshlrev_b64 v[90:91], 2, v[89:90]
	s_waitcnt vmcnt(1)
	v_add_co_u32_e32 v90, vcc, v81, v90
	s_waitcnt vmcnt(0)
	v_addc_co_u32_e32 v91, vcc, v82, v91, vcc
	global_load_dword v92, v[90:91], off
	global_load_dword v93, v[81:82], off offset:48
	s_waitcnt vmcnt(1)
	global_store_dword v[81:82], v92, off offset:48
	v_mov_b32_e32 v84, v72
	v_mov_b32_e32 v83, v71
	;; [unrolled: 1-line block ×4, first 2 shown]
	s_waitcnt vmcnt(1)
	global_store_dword v[90:91], v93, off
.LBB104_266:
	s_or_b64 exec, exec, s[20:21]
	v_mov_b32_e32 v93, v89
	v_mov_b32_e32 v69, v89
	buffer_store_dword v69, off, s[24:27], 0 offset:352 ; 4-byte Folded Spill
.LBB104_267:
	s_or_b64 exec, exec, s[18:19]
.LBB104_268:
	s_andn2_saveexec_b64 s[0:1], s[0:1]
	s_cbranch_execz .LBB104_270
; %bb.269:
	buffer_load_dword v69, off, s[24:27], 0 offset:240 ; 4-byte Folded Reload
	buffer_load_dword v70, off, s[24:27], 0 offset:244 ; 4-byte Folded Reload
	;; [unrolled: 1-line block ×4, first 2 shown]
	v_mov_b32_e32 v93, 12
	s_waitcnt vmcnt(0)
	ds_write2_b64 v0, v[69:70], v[71:72] offset0:26 offset1:27
	buffer_load_dword v69, off, s[24:27], 0 offset:224 ; 4-byte Folded Reload
	buffer_load_dword v70, off, s[24:27], 0 offset:228 ; 4-byte Folded Reload
	buffer_load_dword v71, off, s[24:27], 0 offset:232 ; 4-byte Folded Reload
	buffer_load_dword v72, off, s[24:27], 0 offset:236 ; 4-byte Folded Reload
	s_waitcnt vmcnt(0)
	ds_write2_b64 v0, v[69:70], v[71:72] offset0:28 offset1:29
	buffer_load_dword v69, off, s[24:27], 0 offset:208 ; 4-byte Folded Reload
	buffer_load_dword v70, off, s[24:27], 0 offset:212 ; 4-byte Folded Reload
	buffer_load_dword v71, off, s[24:27], 0 offset:216 ; 4-byte Folded Reload
	buffer_load_dword v72, off, s[24:27], 0 offset:220 ; 4-byte Folded Reload
	;; [unrolled: 6-line block ×14, first 2 shown]
	s_waitcnt vmcnt(0)
	ds_write2_b64 v0, v[69:70], v[71:72] offset0:54 offset1:55
	ds_write2_b64 v0, v[81:82], v[83:84] offset0:56 offset1:57
	;; [unrolled: 1-line block ×7, first 2 shown]
	buffer_load_dword v69, off, s[24:27], 0 ; 4-byte Folded Reload
	buffer_load_dword v70, off, s[24:27], 0 offset:4 ; 4-byte Folded Reload
	buffer_load_dword v71, off, s[24:27], 0 offset:8 ; 4-byte Folded Reload
	;; [unrolled: 1-line block ×3, first 2 shown]
	s_waitcnt vmcnt(0)
	ds_write2_b64 v0, v[69:70], v[71:72] offset0:68 offset1:69
	ds_write2_b64 v0, v[65:66], v[67:68] offset0:70 offset1:71
	;; [unrolled: 1-line block ×19, first 2 shown]
.LBB104_270:
	s_or_b64 exec, exec, s[0:1]
	v_cmp_lt_i32_e32 vcc, 12, v93
	s_waitcnt vmcnt(0) lgkmcnt(0)
	s_barrier
	s_and_saveexec_b64 s[0:1], vcc
	s_cbranch_execz .LBB104_272
; %bb.271:
	buffer_load_dword v95, off, s[24:27], 0 offset:256 ; 4-byte Folded Reload
	buffer_load_dword v96, off, s[24:27], 0 offset:260 ; 4-byte Folded Reload
	;; [unrolled: 1-line block ×4, first 2 shown]
	s_waitcnt vmcnt(0)
	v_mul_f64 v[89:90], v[119:120], v[97:98]
	v_fma_f64 v[125:126], v[117:118], v[95:96], -v[89:90]
	v_mul_f64 v[89:90], v[117:118], v[97:98]
	v_fma_f64 v[97:98], v[119:120], v[95:96], v[89:90]
	ds_read2_b64 v[89:92], v0 offset0:26 offset1:27
	buffer_load_dword v69, off, s[24:27], 0 offset:240 ; 4-byte Folded Reload
	buffer_load_dword v70, off, s[24:27], 0 offset:244 ; 4-byte Folded Reload
	buffer_load_dword v71, off, s[24:27], 0 offset:248 ; 4-byte Folded Reload
	buffer_load_dword v72, off, s[24:27], 0 offset:252 ; 4-byte Folded Reload
	s_waitcnt lgkmcnt(0)
	v_mul_f64 v[95:96], v[91:92], v[97:98]
	v_fma_f64 v[95:96], v[89:90], v[125:126], -v[95:96]
	v_mul_f64 v[89:90], v[89:90], v[97:98]
	v_fma_f64 v[89:90], v[91:92], v[125:126], v[89:90]
	s_waitcnt vmcnt(2)
	v_add_f64 v[69:70], v[69:70], -v[95:96]
	s_waitcnt vmcnt(0)
	v_add_f64 v[71:72], v[71:72], -v[89:90]
	buffer_store_dword v69, off, s[24:27], 0 offset:240 ; 4-byte Folded Spill
	s_nop 0
	buffer_store_dword v70, off, s[24:27], 0 offset:244 ; 4-byte Folded Spill
	buffer_store_dword v71, off, s[24:27], 0 offset:248 ; 4-byte Folded Spill
	buffer_store_dword v72, off, s[24:27], 0 offset:252 ; 4-byte Folded Spill
	ds_read2_b64 v[89:92], v0 offset0:28 offset1:29
	buffer_load_dword v69, off, s[24:27], 0 offset:224 ; 4-byte Folded Reload
	buffer_load_dword v70, off, s[24:27], 0 offset:228 ; 4-byte Folded Reload
	buffer_load_dword v71, off, s[24:27], 0 offset:232 ; 4-byte Folded Reload
	buffer_load_dword v72, off, s[24:27], 0 offset:236 ; 4-byte Folded Reload
	s_waitcnt lgkmcnt(0)
	v_mul_f64 v[95:96], v[91:92], v[97:98]
	v_fma_f64 v[95:96], v[89:90], v[125:126], -v[95:96]
	v_mul_f64 v[89:90], v[89:90], v[97:98]
	v_fma_f64 v[89:90], v[91:92], v[125:126], v[89:90]
	s_waitcnt vmcnt(2)
	v_add_f64 v[69:70], v[69:70], -v[95:96]
	s_waitcnt vmcnt(0)
	v_add_f64 v[71:72], v[71:72], -v[89:90]
	buffer_store_dword v69, off, s[24:27], 0 offset:224 ; 4-byte Folded Spill
	s_nop 0
	buffer_store_dword v70, off, s[24:27], 0 offset:228 ; 4-byte Folded Spill
	buffer_store_dword v71, off, s[24:27], 0 offset:232 ; 4-byte Folded Spill
	buffer_store_dword v72, off, s[24:27], 0 offset:236 ; 4-byte Folded Spill
	ds_read2_b64 v[89:92], v0 offset0:30 offset1:31
	buffer_load_dword v69, off, s[24:27], 0 offset:208 ; 4-byte Folded Reload
	buffer_load_dword v70, off, s[24:27], 0 offset:212 ; 4-byte Folded Reload
	buffer_load_dword v71, off, s[24:27], 0 offset:216 ; 4-byte Folded Reload
	buffer_load_dword v72, off, s[24:27], 0 offset:220 ; 4-byte Folded Reload
	s_waitcnt lgkmcnt(0)
	v_mul_f64 v[95:96], v[91:92], v[97:98]
	v_fma_f64 v[95:96], v[89:90], v[125:126], -v[95:96]
	v_mul_f64 v[89:90], v[89:90], v[97:98]
	v_fma_f64 v[89:90], v[91:92], v[125:126], v[89:90]
	s_waitcnt vmcnt(2)
	v_add_f64 v[69:70], v[69:70], -v[95:96]
	s_waitcnt vmcnt(0)
	v_add_f64 v[71:72], v[71:72], -v[89:90]
	buffer_store_dword v69, off, s[24:27], 0 offset:208 ; 4-byte Folded Spill
	s_nop 0
	buffer_store_dword v70, off, s[24:27], 0 offset:212 ; 4-byte Folded Spill
	buffer_store_dword v71, off, s[24:27], 0 offset:216 ; 4-byte Folded Spill
	buffer_store_dword v72, off, s[24:27], 0 offset:220 ; 4-byte Folded Spill
	ds_read2_b64 v[89:92], v0 offset0:32 offset1:33
	buffer_load_dword v69, off, s[24:27], 0 offset:192 ; 4-byte Folded Reload
	buffer_load_dword v70, off, s[24:27], 0 offset:196 ; 4-byte Folded Reload
	buffer_load_dword v71, off, s[24:27], 0 offset:200 ; 4-byte Folded Reload
	buffer_load_dword v72, off, s[24:27], 0 offset:204 ; 4-byte Folded Reload
	s_waitcnt lgkmcnt(0)
	v_mul_f64 v[95:96], v[91:92], v[97:98]
	v_fma_f64 v[95:96], v[89:90], v[125:126], -v[95:96]
	v_mul_f64 v[89:90], v[89:90], v[97:98]
	v_fma_f64 v[89:90], v[91:92], v[125:126], v[89:90]
	s_waitcnt vmcnt(2)
	v_add_f64 v[69:70], v[69:70], -v[95:96]
	s_waitcnt vmcnt(0)
	v_add_f64 v[71:72], v[71:72], -v[89:90]
	buffer_store_dword v69, off, s[24:27], 0 offset:192 ; 4-byte Folded Spill
	s_nop 0
	buffer_store_dword v70, off, s[24:27], 0 offset:196 ; 4-byte Folded Spill
	buffer_store_dword v71, off, s[24:27], 0 offset:200 ; 4-byte Folded Spill
	buffer_store_dword v72, off, s[24:27], 0 offset:204 ; 4-byte Folded Spill
	ds_read2_b64 v[89:92], v0 offset0:34 offset1:35
	buffer_load_dword v69, off, s[24:27], 0 offset:176 ; 4-byte Folded Reload
	buffer_load_dword v70, off, s[24:27], 0 offset:180 ; 4-byte Folded Reload
	buffer_load_dword v71, off, s[24:27], 0 offset:184 ; 4-byte Folded Reload
	buffer_load_dword v72, off, s[24:27], 0 offset:188 ; 4-byte Folded Reload
	s_waitcnt lgkmcnt(0)
	v_mul_f64 v[95:96], v[91:92], v[97:98]
	v_fma_f64 v[95:96], v[89:90], v[125:126], -v[95:96]
	v_mul_f64 v[89:90], v[89:90], v[97:98]
	v_fma_f64 v[89:90], v[91:92], v[125:126], v[89:90]
	s_waitcnt vmcnt(2)
	v_add_f64 v[69:70], v[69:70], -v[95:96]
	s_waitcnt vmcnt(0)
	v_add_f64 v[71:72], v[71:72], -v[89:90]
	buffer_store_dword v69, off, s[24:27], 0 offset:176 ; 4-byte Folded Spill
	s_nop 0
	buffer_store_dword v70, off, s[24:27], 0 offset:180 ; 4-byte Folded Spill
	buffer_store_dword v71, off, s[24:27], 0 offset:184 ; 4-byte Folded Spill
	buffer_store_dword v72, off, s[24:27], 0 offset:188 ; 4-byte Folded Spill
	ds_read2_b64 v[89:92], v0 offset0:36 offset1:37
	buffer_load_dword v69, off, s[24:27], 0 offset:160 ; 4-byte Folded Reload
	buffer_load_dword v70, off, s[24:27], 0 offset:164 ; 4-byte Folded Reload
	buffer_load_dword v71, off, s[24:27], 0 offset:168 ; 4-byte Folded Reload
	buffer_load_dword v72, off, s[24:27], 0 offset:172 ; 4-byte Folded Reload
	s_waitcnt lgkmcnt(0)
	v_mul_f64 v[95:96], v[91:92], v[97:98]
	v_fma_f64 v[95:96], v[89:90], v[125:126], -v[95:96]
	v_mul_f64 v[89:90], v[89:90], v[97:98]
	v_fma_f64 v[89:90], v[91:92], v[125:126], v[89:90]
	s_waitcnt vmcnt(2)
	v_add_f64 v[69:70], v[69:70], -v[95:96]
	s_waitcnt vmcnt(0)
	v_add_f64 v[71:72], v[71:72], -v[89:90]
	buffer_store_dword v69, off, s[24:27], 0 offset:160 ; 4-byte Folded Spill
	s_nop 0
	buffer_store_dword v70, off, s[24:27], 0 offset:164 ; 4-byte Folded Spill
	buffer_store_dword v71, off, s[24:27], 0 offset:168 ; 4-byte Folded Spill
	buffer_store_dword v72, off, s[24:27], 0 offset:172 ; 4-byte Folded Spill
	ds_read2_b64 v[89:92], v0 offset0:38 offset1:39
	buffer_load_dword v69, off, s[24:27], 0 offset:144 ; 4-byte Folded Reload
	buffer_load_dword v70, off, s[24:27], 0 offset:148 ; 4-byte Folded Reload
	buffer_load_dword v71, off, s[24:27], 0 offset:152 ; 4-byte Folded Reload
	buffer_load_dword v72, off, s[24:27], 0 offset:156 ; 4-byte Folded Reload
	s_waitcnt lgkmcnt(0)
	v_mul_f64 v[95:96], v[91:92], v[97:98]
	v_fma_f64 v[95:96], v[89:90], v[125:126], -v[95:96]
	v_mul_f64 v[89:90], v[89:90], v[97:98]
	v_fma_f64 v[89:90], v[91:92], v[125:126], v[89:90]
	s_waitcnt vmcnt(2)
	v_add_f64 v[69:70], v[69:70], -v[95:96]
	s_waitcnt vmcnt(0)
	v_add_f64 v[71:72], v[71:72], -v[89:90]
	buffer_store_dword v69, off, s[24:27], 0 offset:144 ; 4-byte Folded Spill
	s_nop 0
	buffer_store_dword v70, off, s[24:27], 0 offset:148 ; 4-byte Folded Spill
	buffer_store_dword v71, off, s[24:27], 0 offset:152 ; 4-byte Folded Spill
	buffer_store_dword v72, off, s[24:27], 0 offset:156 ; 4-byte Folded Spill
	ds_read2_b64 v[89:92], v0 offset0:40 offset1:41
	buffer_load_dword v69, off, s[24:27], 0 offset:128 ; 4-byte Folded Reload
	buffer_load_dword v70, off, s[24:27], 0 offset:132 ; 4-byte Folded Reload
	buffer_load_dword v71, off, s[24:27], 0 offset:136 ; 4-byte Folded Reload
	buffer_load_dword v72, off, s[24:27], 0 offset:140 ; 4-byte Folded Reload
	s_waitcnt lgkmcnt(0)
	v_mul_f64 v[95:96], v[91:92], v[97:98]
	v_fma_f64 v[95:96], v[89:90], v[125:126], -v[95:96]
	v_mul_f64 v[89:90], v[89:90], v[97:98]
	v_fma_f64 v[89:90], v[91:92], v[125:126], v[89:90]
	s_waitcnt vmcnt(2)
	v_add_f64 v[69:70], v[69:70], -v[95:96]
	s_waitcnt vmcnt(0)
	v_add_f64 v[71:72], v[71:72], -v[89:90]
	buffer_store_dword v69, off, s[24:27], 0 offset:128 ; 4-byte Folded Spill
	s_nop 0
	buffer_store_dword v70, off, s[24:27], 0 offset:132 ; 4-byte Folded Spill
	buffer_store_dword v71, off, s[24:27], 0 offset:136 ; 4-byte Folded Spill
	buffer_store_dword v72, off, s[24:27], 0 offset:140 ; 4-byte Folded Spill
	ds_read2_b64 v[89:92], v0 offset0:42 offset1:43
	buffer_load_dword v69, off, s[24:27], 0 offset:112 ; 4-byte Folded Reload
	buffer_load_dword v70, off, s[24:27], 0 offset:116 ; 4-byte Folded Reload
	buffer_load_dword v71, off, s[24:27], 0 offset:120 ; 4-byte Folded Reload
	buffer_load_dword v72, off, s[24:27], 0 offset:124 ; 4-byte Folded Reload
	s_waitcnt lgkmcnt(0)
	v_mul_f64 v[95:96], v[91:92], v[97:98]
	v_fma_f64 v[95:96], v[89:90], v[125:126], -v[95:96]
	v_mul_f64 v[89:90], v[89:90], v[97:98]
	v_fma_f64 v[89:90], v[91:92], v[125:126], v[89:90]
	s_waitcnt vmcnt(2)
	v_add_f64 v[69:70], v[69:70], -v[95:96]
	s_waitcnt vmcnt(0)
	v_add_f64 v[71:72], v[71:72], -v[89:90]
	buffer_store_dword v69, off, s[24:27], 0 offset:112 ; 4-byte Folded Spill
	s_nop 0
	buffer_store_dword v70, off, s[24:27], 0 offset:116 ; 4-byte Folded Spill
	buffer_store_dword v71, off, s[24:27], 0 offset:120 ; 4-byte Folded Spill
	buffer_store_dword v72, off, s[24:27], 0 offset:124 ; 4-byte Folded Spill
	ds_read2_b64 v[89:92], v0 offset0:44 offset1:45
	buffer_load_dword v69, off, s[24:27], 0 offset:96 ; 4-byte Folded Reload
	buffer_load_dword v70, off, s[24:27], 0 offset:100 ; 4-byte Folded Reload
	buffer_load_dword v71, off, s[24:27], 0 offset:104 ; 4-byte Folded Reload
	buffer_load_dword v72, off, s[24:27], 0 offset:108 ; 4-byte Folded Reload
	s_waitcnt lgkmcnt(0)
	v_mul_f64 v[95:96], v[91:92], v[97:98]
	v_fma_f64 v[95:96], v[89:90], v[125:126], -v[95:96]
	v_mul_f64 v[89:90], v[89:90], v[97:98]
	v_fma_f64 v[89:90], v[91:92], v[125:126], v[89:90]
	s_waitcnt vmcnt(2)
	v_add_f64 v[69:70], v[69:70], -v[95:96]
	s_waitcnt vmcnt(0)
	v_add_f64 v[71:72], v[71:72], -v[89:90]
	buffer_store_dword v69, off, s[24:27], 0 offset:96 ; 4-byte Folded Spill
	s_nop 0
	buffer_store_dword v70, off, s[24:27], 0 offset:100 ; 4-byte Folded Spill
	buffer_store_dword v71, off, s[24:27], 0 offset:104 ; 4-byte Folded Spill
	buffer_store_dword v72, off, s[24:27], 0 offset:108 ; 4-byte Folded Spill
	ds_read2_b64 v[89:92], v0 offset0:46 offset1:47
	buffer_load_dword v69, off, s[24:27], 0 offset:80 ; 4-byte Folded Reload
	buffer_load_dword v70, off, s[24:27], 0 offset:84 ; 4-byte Folded Reload
	buffer_load_dword v71, off, s[24:27], 0 offset:88 ; 4-byte Folded Reload
	buffer_load_dword v72, off, s[24:27], 0 offset:92 ; 4-byte Folded Reload
	s_waitcnt lgkmcnt(0)
	v_mul_f64 v[95:96], v[91:92], v[97:98]
	v_fma_f64 v[95:96], v[89:90], v[125:126], -v[95:96]
	v_mul_f64 v[89:90], v[89:90], v[97:98]
	v_fma_f64 v[89:90], v[91:92], v[125:126], v[89:90]
	s_waitcnt vmcnt(2)
	v_add_f64 v[69:70], v[69:70], -v[95:96]
	s_waitcnt vmcnt(0)
	v_add_f64 v[71:72], v[71:72], -v[89:90]
	buffer_store_dword v69, off, s[24:27], 0 offset:80 ; 4-byte Folded Spill
	s_nop 0
	buffer_store_dword v70, off, s[24:27], 0 offset:84 ; 4-byte Folded Spill
	buffer_store_dword v71, off, s[24:27], 0 offset:88 ; 4-byte Folded Spill
	buffer_store_dword v72, off, s[24:27], 0 offset:92 ; 4-byte Folded Spill
	ds_read2_b64 v[89:92], v0 offset0:48 offset1:49
	buffer_load_dword v69, off, s[24:27], 0 offset:64 ; 4-byte Folded Reload
	buffer_load_dword v70, off, s[24:27], 0 offset:68 ; 4-byte Folded Reload
	buffer_load_dword v71, off, s[24:27], 0 offset:72 ; 4-byte Folded Reload
	buffer_load_dword v72, off, s[24:27], 0 offset:76 ; 4-byte Folded Reload
	s_waitcnt lgkmcnt(0)
	v_mul_f64 v[95:96], v[91:92], v[97:98]
	v_fma_f64 v[95:96], v[89:90], v[125:126], -v[95:96]
	v_mul_f64 v[89:90], v[89:90], v[97:98]
	v_fma_f64 v[89:90], v[91:92], v[125:126], v[89:90]
	s_waitcnt vmcnt(2)
	v_add_f64 v[69:70], v[69:70], -v[95:96]
	s_waitcnt vmcnt(0)
	v_add_f64 v[71:72], v[71:72], -v[89:90]
	buffer_store_dword v69, off, s[24:27], 0 offset:64 ; 4-byte Folded Spill
	s_nop 0
	buffer_store_dword v70, off, s[24:27], 0 offset:68 ; 4-byte Folded Spill
	buffer_store_dword v71, off, s[24:27], 0 offset:72 ; 4-byte Folded Spill
	buffer_store_dword v72, off, s[24:27], 0 offset:76 ; 4-byte Folded Spill
	ds_read2_b64 v[89:92], v0 offset0:50 offset1:51
	buffer_load_dword v69, off, s[24:27], 0 offset:48 ; 4-byte Folded Reload
	buffer_load_dword v70, off, s[24:27], 0 offset:52 ; 4-byte Folded Reload
	buffer_load_dword v71, off, s[24:27], 0 offset:56 ; 4-byte Folded Reload
	buffer_load_dword v72, off, s[24:27], 0 offset:60 ; 4-byte Folded Reload
	s_waitcnt lgkmcnt(0)
	v_mul_f64 v[95:96], v[91:92], v[97:98]
	v_fma_f64 v[95:96], v[89:90], v[125:126], -v[95:96]
	v_mul_f64 v[89:90], v[89:90], v[97:98]
	v_fma_f64 v[89:90], v[91:92], v[125:126], v[89:90]
	s_waitcnt vmcnt(2)
	v_add_f64 v[69:70], v[69:70], -v[95:96]
	s_waitcnt vmcnt(0)
	v_add_f64 v[71:72], v[71:72], -v[89:90]
	buffer_store_dword v69, off, s[24:27], 0 offset:48 ; 4-byte Folded Spill
	s_nop 0
	buffer_store_dword v70, off, s[24:27], 0 offset:52 ; 4-byte Folded Spill
	buffer_store_dword v71, off, s[24:27], 0 offset:56 ; 4-byte Folded Spill
	buffer_store_dword v72, off, s[24:27], 0 offset:60 ; 4-byte Folded Spill
	ds_read2_b64 v[89:92], v0 offset0:52 offset1:53
	buffer_load_dword v69, off, s[24:27], 0 offset:32 ; 4-byte Folded Reload
	buffer_load_dword v70, off, s[24:27], 0 offset:36 ; 4-byte Folded Reload
	buffer_load_dword v71, off, s[24:27], 0 offset:40 ; 4-byte Folded Reload
	buffer_load_dword v72, off, s[24:27], 0 offset:44 ; 4-byte Folded Reload
	s_waitcnt lgkmcnt(0)
	v_mul_f64 v[95:96], v[91:92], v[97:98]
	v_fma_f64 v[95:96], v[89:90], v[125:126], -v[95:96]
	v_mul_f64 v[89:90], v[89:90], v[97:98]
	v_fma_f64 v[89:90], v[91:92], v[125:126], v[89:90]
	s_waitcnt vmcnt(2)
	v_add_f64 v[69:70], v[69:70], -v[95:96]
	s_waitcnt vmcnt(0)
	v_add_f64 v[71:72], v[71:72], -v[89:90]
	buffer_store_dword v69, off, s[24:27], 0 offset:32 ; 4-byte Folded Spill
	s_nop 0
	buffer_store_dword v70, off, s[24:27], 0 offset:36 ; 4-byte Folded Spill
	buffer_store_dword v71, off, s[24:27], 0 offset:40 ; 4-byte Folded Spill
	buffer_store_dword v72, off, s[24:27], 0 offset:44 ; 4-byte Folded Spill
	ds_read2_b64 v[89:92], v0 offset0:54 offset1:55
	buffer_load_dword v69, off, s[24:27], 0 offset:16 ; 4-byte Folded Reload
	buffer_load_dword v70, off, s[24:27], 0 offset:20 ; 4-byte Folded Reload
	buffer_load_dword v71, off, s[24:27], 0 offset:24 ; 4-byte Folded Reload
	buffer_load_dword v72, off, s[24:27], 0 offset:28 ; 4-byte Folded Reload
	s_waitcnt lgkmcnt(0)
	v_mul_f64 v[95:96], v[91:92], v[97:98]
	v_fma_f64 v[95:96], v[89:90], v[125:126], -v[95:96]
	v_mul_f64 v[89:90], v[89:90], v[97:98]
	v_fma_f64 v[89:90], v[91:92], v[125:126], v[89:90]
	s_waitcnt vmcnt(2)
	v_add_f64 v[69:70], v[69:70], -v[95:96]
	s_waitcnt vmcnt(0)
	v_add_f64 v[71:72], v[71:72], -v[89:90]
	buffer_store_dword v69, off, s[24:27], 0 offset:16 ; 4-byte Folded Spill
	s_nop 0
	buffer_store_dword v70, off, s[24:27], 0 offset:20 ; 4-byte Folded Spill
	buffer_store_dword v71, off, s[24:27], 0 offset:24 ; 4-byte Folded Spill
	buffer_store_dword v72, off, s[24:27], 0 offset:28 ; 4-byte Folded Spill
	ds_read2_b64 v[89:92], v0 offset0:56 offset1:57
	s_waitcnt lgkmcnt(0)
	v_mul_f64 v[95:96], v[91:92], v[97:98]
	v_fma_f64 v[95:96], v[89:90], v[125:126], -v[95:96]
	v_mul_f64 v[89:90], v[89:90], v[97:98]
	v_add_f64 v[81:82], v[81:82], -v[95:96]
	v_fma_f64 v[89:90], v[91:92], v[125:126], v[89:90]
	v_add_f64 v[83:84], v[83:84], -v[89:90]
	ds_read2_b64 v[89:92], v0 offset0:58 offset1:59
	s_waitcnt lgkmcnt(0)
	v_mul_f64 v[95:96], v[91:92], v[97:98]
	v_fma_f64 v[95:96], v[89:90], v[125:126], -v[95:96]
	v_mul_f64 v[89:90], v[89:90], v[97:98]
	v_add_f64 v[85:86], v[85:86], -v[95:96]
	v_fma_f64 v[89:90], v[91:92], v[125:126], v[89:90]
	v_add_f64 v[87:88], v[87:88], -v[89:90]
	;; [unrolled: 8-line block ×6, first 2 shown]
	ds_read2_b64 v[89:92], v0 offset0:68 offset1:69
	buffer_load_dword v69, off, s[24:27], 0 ; 4-byte Folded Reload
	buffer_load_dword v70, off, s[24:27], 0 offset:4 ; 4-byte Folded Reload
	buffer_load_dword v71, off, s[24:27], 0 offset:8 ; 4-byte Folded Reload
	buffer_load_dword v72, off, s[24:27], 0 offset:12 ; 4-byte Folded Reload
	s_waitcnt lgkmcnt(0)
	v_mul_f64 v[95:96], v[91:92], v[97:98]
	v_fma_f64 v[95:96], v[89:90], v[125:126], -v[95:96]
	v_mul_f64 v[89:90], v[89:90], v[97:98]
	v_fma_f64 v[89:90], v[91:92], v[125:126], v[89:90]
	s_waitcnt vmcnt(2)
	v_add_f64 v[69:70], v[69:70], -v[95:96]
	s_waitcnt vmcnt(0)
	v_add_f64 v[71:72], v[71:72], -v[89:90]
	buffer_store_dword v69, off, s[24:27], 0 ; 4-byte Folded Spill
	s_nop 0
	buffer_store_dword v70, off, s[24:27], 0 offset:4 ; 4-byte Folded Spill
	buffer_store_dword v71, off, s[24:27], 0 offset:8 ; 4-byte Folded Spill
	;; [unrolled: 1-line block ×3, first 2 shown]
	ds_read2_b64 v[89:92], v0 offset0:70 offset1:71
	s_waitcnt lgkmcnt(0)
	v_mul_f64 v[95:96], v[91:92], v[97:98]
	v_fma_f64 v[95:96], v[89:90], v[125:126], -v[95:96]
	v_mul_f64 v[89:90], v[89:90], v[97:98]
	v_add_f64 v[65:66], v[65:66], -v[95:96]
	v_fma_f64 v[89:90], v[91:92], v[125:126], v[89:90]
	v_add_f64 v[67:68], v[67:68], -v[89:90]
	ds_read2_b64 v[89:92], v0 offset0:72 offset1:73
	s_waitcnt lgkmcnt(0)
	v_mul_f64 v[95:96], v[91:92], v[97:98]
	v_fma_f64 v[95:96], v[89:90], v[125:126], -v[95:96]
	v_mul_f64 v[89:90], v[89:90], v[97:98]
	v_add_f64 v[61:62], v[61:62], -v[95:96]
	v_fma_f64 v[89:90], v[91:92], v[125:126], v[89:90]
	v_add_f64 v[63:64], v[63:64], -v[89:90]
	;; [unrolled: 8-line block ×17, first 2 shown]
	ds_read2_b64 v[89:92], v0 offset0:104 offset1:105
	s_waitcnt lgkmcnt(0)
	v_mul_f64 v[95:96], v[91:92], v[97:98]
	v_fma_f64 v[95:96], v[89:90], v[125:126], -v[95:96]
	v_mul_f64 v[89:90], v[89:90], v[97:98]
	v_add_f64 v[121:122], v[121:122], -v[95:96]
	v_fma_f64 v[89:90], v[91:92], v[125:126], v[89:90]
	v_mov_b32_e32 v95, v125
	v_mov_b32_e32 v96, v126
	buffer_store_dword v95, off, s[24:27], 0 offset:256 ; 4-byte Folded Spill
	s_nop 0
	buffer_store_dword v96, off, s[24:27], 0 offset:260 ; 4-byte Folded Spill
	buffer_store_dword v97, off, s[24:27], 0 offset:264 ; 4-byte Folded Spill
	;; [unrolled: 1-line block ×3, first 2 shown]
	v_add_f64 v[123:124], v[123:124], -v[89:90]
.LBB104_272:
	s_or_b64 exec, exec, s[0:1]
	s_waitcnt vmcnt(0)
	s_barrier
	buffer_load_dword v69, off, s[24:27], 0 offset:240 ; 4-byte Folded Reload
	buffer_load_dword v70, off, s[24:27], 0 offset:244 ; 4-byte Folded Reload
	;; [unrolled: 1-line block ×4, first 2 shown]
	v_lshl_add_u32 v89, v93, 4, v0
	s_cmp_lt_i32 s3, 15
	s_waitcnt vmcnt(0)
	ds_write2_b64 v89, v[69:70], v[71:72] offset1:1
	s_waitcnt lgkmcnt(0)
	s_barrier
	ds_read2_b64 v[117:120], v0 offset0:26 offset1:27
	v_mov_b32_e32 v89, 13
	s_cbranch_scc1 .LBB104_275
; %bb.273:
	v_add_u32_e32 v90, 0xe0, v0
	s_mov_b32 s0, 14
	v_mov_b32_e32 v89, 13
.LBB104_274:                            ; =>This Inner Loop Header: Depth=1
	s_waitcnt lgkmcnt(0)
	v_cmp_gt_f64_e32 vcc, 0, v[117:118]
	v_xor_b32_e32 v91, 0x80000000, v118
	ds_read2_b64 v[95:98], v90 offset1:1
	v_xor_b32_e32 v99, 0x80000000, v120
	v_add_u32_e32 v90, 16, v90
	s_waitcnt lgkmcnt(0)
	v_xor_b32_e32 v101, 0x80000000, v98
	v_cndmask_b32_e32 v92, v118, v91, vcc
	v_cmp_gt_f64_e32 vcc, 0, v[119:120]
	v_mov_b32_e32 v91, v117
	v_cndmask_b32_e32 v100, v120, v99, vcc
	v_cmp_gt_f64_e32 vcc, 0, v[95:96]
	v_mov_b32_e32 v99, v119
	v_add_f64 v[91:92], v[91:92], v[99:100]
	v_xor_b32_e32 v99, 0x80000000, v96
	v_cndmask_b32_e32 v100, v96, v99, vcc
	v_cmp_gt_f64_e32 vcc, 0, v[97:98]
	v_mov_b32_e32 v99, v95
	v_cndmask_b32_e32 v102, v98, v101, vcc
	v_mov_b32_e32 v101, v97
	v_add_f64 v[99:100], v[99:100], v[101:102]
	v_cmp_lt_f64_e32 vcc, v[91:92], v[99:100]
	v_mov_b32_e32 v91, s0
	s_add_i32 s0, s0, 1
	s_cmp_lg_u32 s3, s0
	v_cndmask_b32_e32 v118, v118, v96, vcc
	v_cndmask_b32_e32 v117, v117, v95, vcc
	;; [unrolled: 1-line block ×5, first 2 shown]
	s_cbranch_scc1 .LBB104_274
.LBB104_275:
	s_waitcnt lgkmcnt(0)
	v_cmp_eq_f64_e32 vcc, 0, v[117:118]
	v_cmp_eq_f64_e64 s[0:1], 0, v[119:120]
	s_and_b64 s[0:1], vcc, s[0:1]
	s_and_saveexec_b64 s[18:19], s[0:1]
	s_xor_b64 s[0:1], exec, s[18:19]
; %bb.276:
	v_cmp_ne_u32_e32 vcc, 0, v94
	v_cndmask_b32_e32 v94, 14, v94, vcc
; %bb.277:
	s_andn2_saveexec_b64 s[0:1], s[0:1]
	s_cbranch_execz .LBB104_283
; %bb.278:
	v_cmp_ngt_f64_e64 s[18:19], |v[117:118]|, |v[119:120]|
	s_and_saveexec_b64 s[20:21], s[18:19]
	s_xor_b64 s[18:19], exec, s[20:21]
	s_cbranch_execz .LBB104_280
; %bb.279:
	v_div_scale_f64 v[90:91], s[20:21], v[119:120], v[119:120], v[117:118]
	v_rcp_f64_e32 v[95:96], v[90:91]
	v_fma_f64 v[97:98], -v[90:91], v[95:96], 1.0
	v_fma_f64 v[95:96], v[95:96], v[97:98], v[95:96]
	v_div_scale_f64 v[97:98], vcc, v[117:118], v[119:120], v[117:118]
	v_fma_f64 v[99:100], -v[90:91], v[95:96], 1.0
	v_fma_f64 v[95:96], v[95:96], v[99:100], v[95:96]
	v_mul_f64 v[99:100], v[97:98], v[95:96]
	v_fma_f64 v[90:91], -v[90:91], v[99:100], v[97:98]
	v_div_fmas_f64 v[90:91], v[90:91], v[95:96], v[99:100]
	v_div_fixup_f64 v[90:91], v[90:91], v[119:120], v[117:118]
	v_fma_f64 v[95:96], v[117:118], v[90:91], v[119:120]
	v_div_scale_f64 v[97:98], s[20:21], v[95:96], v[95:96], 1.0
	v_div_scale_f64 v[103:104], vcc, 1.0, v[95:96], 1.0
	v_rcp_f64_e32 v[99:100], v[97:98]
	v_fma_f64 v[101:102], -v[97:98], v[99:100], 1.0
	v_fma_f64 v[99:100], v[99:100], v[101:102], v[99:100]
	v_fma_f64 v[101:102], -v[97:98], v[99:100], 1.0
	v_fma_f64 v[99:100], v[99:100], v[101:102], v[99:100]
	v_mul_f64 v[101:102], v[103:104], v[99:100]
	v_fma_f64 v[97:98], -v[97:98], v[101:102], v[103:104]
	v_div_fmas_f64 v[97:98], v[97:98], v[99:100], v[101:102]
	v_div_fixup_f64 v[119:120], v[97:98], v[95:96], 1.0
	v_mul_f64 v[117:118], v[90:91], v[119:120]
	v_xor_b32_e32 v120, 0x80000000, v120
.LBB104_280:
	s_andn2_saveexec_b64 s[18:19], s[18:19]
	s_cbranch_execz .LBB104_282
; %bb.281:
	v_div_scale_f64 v[90:91], s[20:21], v[117:118], v[117:118], v[119:120]
	v_rcp_f64_e32 v[95:96], v[90:91]
	v_fma_f64 v[97:98], -v[90:91], v[95:96], 1.0
	v_fma_f64 v[95:96], v[95:96], v[97:98], v[95:96]
	v_div_scale_f64 v[97:98], vcc, v[119:120], v[117:118], v[119:120]
	v_fma_f64 v[99:100], -v[90:91], v[95:96], 1.0
	v_fma_f64 v[95:96], v[95:96], v[99:100], v[95:96]
	v_mul_f64 v[99:100], v[97:98], v[95:96]
	v_fma_f64 v[90:91], -v[90:91], v[99:100], v[97:98]
	v_div_fmas_f64 v[90:91], v[90:91], v[95:96], v[99:100]
	v_div_fixup_f64 v[90:91], v[90:91], v[117:118], v[119:120]
	v_fma_f64 v[95:96], v[119:120], v[90:91], v[117:118]
	v_div_scale_f64 v[97:98], s[20:21], v[95:96], v[95:96], 1.0
	v_div_scale_f64 v[103:104], vcc, 1.0, v[95:96], 1.0
	v_rcp_f64_e32 v[99:100], v[97:98]
	v_fma_f64 v[101:102], -v[97:98], v[99:100], 1.0
	v_fma_f64 v[99:100], v[99:100], v[101:102], v[99:100]
	v_fma_f64 v[101:102], -v[97:98], v[99:100], 1.0
	v_fma_f64 v[99:100], v[99:100], v[101:102], v[99:100]
	v_mul_f64 v[101:102], v[103:104], v[99:100]
	v_fma_f64 v[97:98], -v[97:98], v[101:102], v[103:104]
	v_div_fmas_f64 v[97:98], v[97:98], v[99:100], v[101:102]
	v_div_fixup_f64 v[117:118], v[97:98], v[95:96], 1.0
	v_mul_f64 v[119:120], v[90:91], -v[117:118]
.LBB104_282:
	s_or_b64 exec, exec, s[18:19]
.LBB104_283:
	s_or_b64 exec, exec, s[0:1]
	v_cmp_ne_u32_e32 vcc, v93, v89
	s_and_saveexec_b64 s[0:1], vcc
	s_xor_b64 s[0:1], exec, s[0:1]
	s_cbranch_execz .LBB104_289
; %bb.284:
	v_cmp_eq_u32_e32 vcc, 13, v93
	s_and_saveexec_b64 s[18:19], vcc
	s_cbranch_execz .LBB104_288
; %bb.285:
	v_cmp_ne_u32_e32 vcc, 13, v89
	s_xor_b64 s[20:21], s[6:7], -1
	s_and_b64 s[22:23], s[20:21], vcc
	s_and_saveexec_b64 s[20:21], s[22:23]
	s_cbranch_execz .LBB104_287
; %bb.286:
	v_mov_b32_e32 v69, v81
	v_mov_b32_e32 v70, v82
	v_mov_b32_e32 v71, v83
	v_mov_b32_e32 v72, v84
	buffer_load_dword v81, off, s[24:27], 0 offset:420 ; 4-byte Folded Reload
	buffer_load_dword v82, off, s[24:27], 0 offset:424 ; 4-byte Folded Reload
	v_ashrrev_i32_e32 v90, 31, v89
	v_lshlrev_b64 v[90:91], 2, v[89:90]
	s_waitcnt vmcnt(1)
	v_add_co_u32_e32 v90, vcc, v81, v90
	s_waitcnt vmcnt(0)
	v_addc_co_u32_e32 v91, vcc, v82, v91, vcc
	global_load_dword v92, v[90:91], off
	global_load_dword v93, v[81:82], off offset:52
	s_waitcnt vmcnt(1)
	global_store_dword v[81:82], v92, off offset:52
	v_mov_b32_e32 v84, v72
	v_mov_b32_e32 v83, v71
	;; [unrolled: 1-line block ×4, first 2 shown]
	s_waitcnt vmcnt(1)
	global_store_dword v[90:91], v93, off
.LBB104_287:
	s_or_b64 exec, exec, s[20:21]
	v_mov_b32_e32 v93, v89
	v_mov_b32_e32 v69, v89
	buffer_store_dword v69, off, s[24:27], 0 offset:352 ; 4-byte Folded Spill
.LBB104_288:
	s_or_b64 exec, exec, s[18:19]
.LBB104_289:
	s_andn2_saveexec_b64 s[0:1], s[0:1]
	s_cbranch_execz .LBB104_291
; %bb.290:
	buffer_load_dword v69, off, s[24:27], 0 offset:224 ; 4-byte Folded Reload
	buffer_load_dword v70, off, s[24:27], 0 offset:228 ; 4-byte Folded Reload
	;; [unrolled: 1-line block ×4, first 2 shown]
	v_mov_b32_e32 v93, 13
	s_waitcnt vmcnt(0)
	ds_write2_b64 v0, v[69:70], v[71:72] offset0:28 offset1:29
	buffer_load_dword v69, off, s[24:27], 0 offset:208 ; 4-byte Folded Reload
	buffer_load_dword v70, off, s[24:27], 0 offset:212 ; 4-byte Folded Reload
	buffer_load_dword v71, off, s[24:27], 0 offset:216 ; 4-byte Folded Reload
	buffer_load_dword v72, off, s[24:27], 0 offset:220 ; 4-byte Folded Reload
	s_waitcnt vmcnt(0)
	ds_write2_b64 v0, v[69:70], v[71:72] offset0:30 offset1:31
	buffer_load_dword v69, off, s[24:27], 0 offset:192 ; 4-byte Folded Reload
	buffer_load_dword v70, off, s[24:27], 0 offset:196 ; 4-byte Folded Reload
	buffer_load_dword v71, off, s[24:27], 0 offset:200 ; 4-byte Folded Reload
	buffer_load_dword v72, off, s[24:27], 0 offset:204 ; 4-byte Folded Reload
	;; [unrolled: 6-line block ×13, first 2 shown]
	s_waitcnt vmcnt(0)
	ds_write2_b64 v0, v[69:70], v[71:72] offset0:54 offset1:55
	ds_write2_b64 v0, v[81:82], v[83:84] offset0:56 offset1:57
	;; [unrolled: 1-line block ×7, first 2 shown]
	buffer_load_dword v69, off, s[24:27], 0 ; 4-byte Folded Reload
	buffer_load_dword v70, off, s[24:27], 0 offset:4 ; 4-byte Folded Reload
	buffer_load_dword v71, off, s[24:27], 0 offset:8 ; 4-byte Folded Reload
	;; [unrolled: 1-line block ×3, first 2 shown]
	s_waitcnt vmcnt(0)
	ds_write2_b64 v0, v[69:70], v[71:72] offset0:68 offset1:69
	ds_write2_b64 v0, v[65:66], v[67:68] offset0:70 offset1:71
	;; [unrolled: 1-line block ×19, first 2 shown]
.LBB104_291:
	s_or_b64 exec, exec, s[0:1]
	v_cmp_lt_i32_e32 vcc, 13, v93
	s_waitcnt vmcnt(0) lgkmcnt(0)
	s_barrier
	s_and_saveexec_b64 s[0:1], vcc
	s_cbranch_execz .LBB104_293
; %bb.292:
	buffer_load_dword v95, off, s[24:27], 0 offset:240 ; 4-byte Folded Reload
	buffer_load_dword v96, off, s[24:27], 0 offset:244 ; 4-byte Folded Reload
	;; [unrolled: 1-line block ×4, first 2 shown]
	s_waitcnt vmcnt(0)
	v_mul_f64 v[89:90], v[119:120], v[97:98]
	v_fma_f64 v[125:126], v[117:118], v[95:96], -v[89:90]
	v_mul_f64 v[89:90], v[117:118], v[97:98]
	v_fma_f64 v[97:98], v[119:120], v[95:96], v[89:90]
	ds_read2_b64 v[89:92], v0 offset0:28 offset1:29
	buffer_load_dword v69, off, s[24:27], 0 offset:224 ; 4-byte Folded Reload
	buffer_load_dword v70, off, s[24:27], 0 offset:228 ; 4-byte Folded Reload
	buffer_load_dword v71, off, s[24:27], 0 offset:232 ; 4-byte Folded Reload
	buffer_load_dword v72, off, s[24:27], 0 offset:236 ; 4-byte Folded Reload
	s_waitcnt lgkmcnt(0)
	v_mul_f64 v[95:96], v[91:92], v[97:98]
	v_fma_f64 v[95:96], v[89:90], v[125:126], -v[95:96]
	v_mul_f64 v[89:90], v[89:90], v[97:98]
	v_fma_f64 v[89:90], v[91:92], v[125:126], v[89:90]
	s_waitcnt vmcnt(2)
	v_add_f64 v[69:70], v[69:70], -v[95:96]
	s_waitcnt vmcnt(0)
	v_add_f64 v[71:72], v[71:72], -v[89:90]
	buffer_store_dword v69, off, s[24:27], 0 offset:224 ; 4-byte Folded Spill
	s_nop 0
	buffer_store_dword v70, off, s[24:27], 0 offset:228 ; 4-byte Folded Spill
	buffer_store_dword v71, off, s[24:27], 0 offset:232 ; 4-byte Folded Spill
	buffer_store_dword v72, off, s[24:27], 0 offset:236 ; 4-byte Folded Spill
	ds_read2_b64 v[89:92], v0 offset0:30 offset1:31
	buffer_load_dword v69, off, s[24:27], 0 offset:208 ; 4-byte Folded Reload
	buffer_load_dword v70, off, s[24:27], 0 offset:212 ; 4-byte Folded Reload
	buffer_load_dword v71, off, s[24:27], 0 offset:216 ; 4-byte Folded Reload
	buffer_load_dword v72, off, s[24:27], 0 offset:220 ; 4-byte Folded Reload
	s_waitcnt lgkmcnt(0)
	v_mul_f64 v[95:96], v[91:92], v[97:98]
	v_fma_f64 v[95:96], v[89:90], v[125:126], -v[95:96]
	v_mul_f64 v[89:90], v[89:90], v[97:98]
	v_fma_f64 v[89:90], v[91:92], v[125:126], v[89:90]
	s_waitcnt vmcnt(2)
	v_add_f64 v[69:70], v[69:70], -v[95:96]
	s_waitcnt vmcnt(0)
	v_add_f64 v[71:72], v[71:72], -v[89:90]
	buffer_store_dword v69, off, s[24:27], 0 offset:208 ; 4-byte Folded Spill
	s_nop 0
	buffer_store_dword v70, off, s[24:27], 0 offset:212 ; 4-byte Folded Spill
	buffer_store_dword v71, off, s[24:27], 0 offset:216 ; 4-byte Folded Spill
	buffer_store_dword v72, off, s[24:27], 0 offset:220 ; 4-byte Folded Spill
	;; [unrolled: 19-line block ×14, first 2 shown]
	ds_read2_b64 v[89:92], v0 offset0:56 offset1:57
	s_waitcnt lgkmcnt(0)
	v_mul_f64 v[95:96], v[91:92], v[97:98]
	v_fma_f64 v[95:96], v[89:90], v[125:126], -v[95:96]
	v_mul_f64 v[89:90], v[89:90], v[97:98]
	v_add_f64 v[81:82], v[81:82], -v[95:96]
	v_fma_f64 v[89:90], v[91:92], v[125:126], v[89:90]
	v_add_f64 v[83:84], v[83:84], -v[89:90]
	ds_read2_b64 v[89:92], v0 offset0:58 offset1:59
	s_waitcnt lgkmcnt(0)
	v_mul_f64 v[95:96], v[91:92], v[97:98]
	v_fma_f64 v[95:96], v[89:90], v[125:126], -v[95:96]
	v_mul_f64 v[89:90], v[89:90], v[97:98]
	v_add_f64 v[85:86], v[85:86], -v[95:96]
	v_fma_f64 v[89:90], v[91:92], v[125:126], v[89:90]
	v_add_f64 v[87:88], v[87:88], -v[89:90]
	;; [unrolled: 8-line block ×6, first 2 shown]
	ds_read2_b64 v[89:92], v0 offset0:68 offset1:69
	buffer_load_dword v69, off, s[24:27], 0 ; 4-byte Folded Reload
	buffer_load_dword v70, off, s[24:27], 0 offset:4 ; 4-byte Folded Reload
	buffer_load_dword v71, off, s[24:27], 0 offset:8 ; 4-byte Folded Reload
	;; [unrolled: 1-line block ×3, first 2 shown]
	s_waitcnt lgkmcnt(0)
	v_mul_f64 v[95:96], v[91:92], v[97:98]
	v_fma_f64 v[95:96], v[89:90], v[125:126], -v[95:96]
	v_mul_f64 v[89:90], v[89:90], v[97:98]
	v_fma_f64 v[89:90], v[91:92], v[125:126], v[89:90]
	s_waitcnt vmcnt(2)
	v_add_f64 v[69:70], v[69:70], -v[95:96]
	s_waitcnt vmcnt(0)
	v_add_f64 v[71:72], v[71:72], -v[89:90]
	buffer_store_dword v69, off, s[24:27], 0 ; 4-byte Folded Spill
	s_nop 0
	buffer_store_dword v70, off, s[24:27], 0 offset:4 ; 4-byte Folded Spill
	buffer_store_dword v71, off, s[24:27], 0 offset:8 ; 4-byte Folded Spill
	;; [unrolled: 1-line block ×3, first 2 shown]
	ds_read2_b64 v[89:92], v0 offset0:70 offset1:71
	s_waitcnt lgkmcnt(0)
	v_mul_f64 v[95:96], v[91:92], v[97:98]
	v_fma_f64 v[95:96], v[89:90], v[125:126], -v[95:96]
	v_mul_f64 v[89:90], v[89:90], v[97:98]
	v_add_f64 v[65:66], v[65:66], -v[95:96]
	v_fma_f64 v[89:90], v[91:92], v[125:126], v[89:90]
	v_add_f64 v[67:68], v[67:68], -v[89:90]
	ds_read2_b64 v[89:92], v0 offset0:72 offset1:73
	s_waitcnt lgkmcnt(0)
	v_mul_f64 v[95:96], v[91:92], v[97:98]
	v_fma_f64 v[95:96], v[89:90], v[125:126], -v[95:96]
	v_mul_f64 v[89:90], v[89:90], v[97:98]
	v_add_f64 v[61:62], v[61:62], -v[95:96]
	v_fma_f64 v[89:90], v[91:92], v[125:126], v[89:90]
	v_add_f64 v[63:64], v[63:64], -v[89:90]
	;; [unrolled: 8-line block ×17, first 2 shown]
	ds_read2_b64 v[89:92], v0 offset0:104 offset1:105
	s_waitcnt lgkmcnt(0)
	v_mul_f64 v[95:96], v[91:92], v[97:98]
	v_fma_f64 v[95:96], v[89:90], v[125:126], -v[95:96]
	v_mul_f64 v[89:90], v[89:90], v[97:98]
	v_add_f64 v[121:122], v[121:122], -v[95:96]
	v_fma_f64 v[89:90], v[91:92], v[125:126], v[89:90]
	v_mov_b32_e32 v95, v125
	v_mov_b32_e32 v96, v126
	buffer_store_dword v95, off, s[24:27], 0 offset:240 ; 4-byte Folded Spill
	s_nop 0
	buffer_store_dword v96, off, s[24:27], 0 offset:244 ; 4-byte Folded Spill
	buffer_store_dword v97, off, s[24:27], 0 offset:248 ; 4-byte Folded Spill
	;; [unrolled: 1-line block ×3, first 2 shown]
	v_add_f64 v[123:124], v[123:124], -v[89:90]
.LBB104_293:
	s_or_b64 exec, exec, s[0:1]
	s_waitcnt vmcnt(0)
	s_barrier
	buffer_load_dword v69, off, s[24:27], 0 offset:224 ; 4-byte Folded Reload
	buffer_load_dword v70, off, s[24:27], 0 offset:228 ; 4-byte Folded Reload
	buffer_load_dword v71, off, s[24:27], 0 offset:232 ; 4-byte Folded Reload
	buffer_load_dword v72, off, s[24:27], 0 offset:236 ; 4-byte Folded Reload
	v_lshl_add_u32 v89, v93, 4, v0
	s_cmp_lt_i32 s3, 16
	s_waitcnt vmcnt(0)
	ds_write2_b64 v89, v[69:70], v[71:72] offset1:1
	s_waitcnt lgkmcnt(0)
	s_barrier
	ds_read2_b64 v[117:120], v0 offset0:28 offset1:29
	v_mov_b32_e32 v89, 14
	s_cbranch_scc1 .LBB104_296
; %bb.294:
	v_add_u32_e32 v90, 0xf0, v0
	s_mov_b32 s0, 15
	v_mov_b32_e32 v89, 14
.LBB104_295:                            ; =>This Inner Loop Header: Depth=1
	s_waitcnt lgkmcnt(0)
	v_cmp_gt_f64_e32 vcc, 0, v[117:118]
	v_xor_b32_e32 v91, 0x80000000, v118
	ds_read2_b64 v[95:98], v90 offset1:1
	v_xor_b32_e32 v99, 0x80000000, v120
	v_add_u32_e32 v90, 16, v90
	s_waitcnt lgkmcnt(0)
	v_xor_b32_e32 v101, 0x80000000, v98
	v_cndmask_b32_e32 v92, v118, v91, vcc
	v_cmp_gt_f64_e32 vcc, 0, v[119:120]
	v_mov_b32_e32 v91, v117
	v_cndmask_b32_e32 v100, v120, v99, vcc
	v_cmp_gt_f64_e32 vcc, 0, v[95:96]
	v_mov_b32_e32 v99, v119
	v_add_f64 v[91:92], v[91:92], v[99:100]
	v_xor_b32_e32 v99, 0x80000000, v96
	v_cndmask_b32_e32 v100, v96, v99, vcc
	v_cmp_gt_f64_e32 vcc, 0, v[97:98]
	v_mov_b32_e32 v99, v95
	v_cndmask_b32_e32 v102, v98, v101, vcc
	v_mov_b32_e32 v101, v97
	v_add_f64 v[99:100], v[99:100], v[101:102]
	v_cmp_lt_f64_e32 vcc, v[91:92], v[99:100]
	v_mov_b32_e32 v91, s0
	s_add_i32 s0, s0, 1
	s_cmp_lg_u32 s3, s0
	v_cndmask_b32_e32 v118, v118, v96, vcc
	v_cndmask_b32_e32 v117, v117, v95, vcc
	v_cndmask_b32_e32 v120, v120, v98, vcc
	v_cndmask_b32_e32 v119, v119, v97, vcc
	v_cndmask_b32_e32 v89, v89, v91, vcc
	s_cbranch_scc1 .LBB104_295
.LBB104_296:
	s_waitcnt lgkmcnt(0)
	v_cmp_eq_f64_e32 vcc, 0, v[117:118]
	v_cmp_eq_f64_e64 s[0:1], 0, v[119:120]
	s_and_b64 s[0:1], vcc, s[0:1]
	s_and_saveexec_b64 s[18:19], s[0:1]
	s_xor_b64 s[0:1], exec, s[18:19]
; %bb.297:
	v_cmp_ne_u32_e32 vcc, 0, v94
	v_cndmask_b32_e32 v94, 15, v94, vcc
; %bb.298:
	s_andn2_saveexec_b64 s[0:1], s[0:1]
	s_cbranch_execz .LBB104_304
; %bb.299:
	v_cmp_ngt_f64_e64 s[18:19], |v[117:118]|, |v[119:120]|
	s_and_saveexec_b64 s[20:21], s[18:19]
	s_xor_b64 s[18:19], exec, s[20:21]
	s_cbranch_execz .LBB104_301
; %bb.300:
	v_div_scale_f64 v[90:91], s[20:21], v[119:120], v[119:120], v[117:118]
	v_rcp_f64_e32 v[95:96], v[90:91]
	v_fma_f64 v[97:98], -v[90:91], v[95:96], 1.0
	v_fma_f64 v[95:96], v[95:96], v[97:98], v[95:96]
	v_div_scale_f64 v[97:98], vcc, v[117:118], v[119:120], v[117:118]
	v_fma_f64 v[99:100], -v[90:91], v[95:96], 1.0
	v_fma_f64 v[95:96], v[95:96], v[99:100], v[95:96]
	v_mul_f64 v[99:100], v[97:98], v[95:96]
	v_fma_f64 v[90:91], -v[90:91], v[99:100], v[97:98]
	v_div_fmas_f64 v[90:91], v[90:91], v[95:96], v[99:100]
	v_div_fixup_f64 v[90:91], v[90:91], v[119:120], v[117:118]
	v_fma_f64 v[95:96], v[117:118], v[90:91], v[119:120]
	v_div_scale_f64 v[97:98], s[20:21], v[95:96], v[95:96], 1.0
	v_div_scale_f64 v[103:104], vcc, 1.0, v[95:96], 1.0
	v_rcp_f64_e32 v[99:100], v[97:98]
	v_fma_f64 v[101:102], -v[97:98], v[99:100], 1.0
	v_fma_f64 v[99:100], v[99:100], v[101:102], v[99:100]
	v_fma_f64 v[101:102], -v[97:98], v[99:100], 1.0
	v_fma_f64 v[99:100], v[99:100], v[101:102], v[99:100]
	v_mul_f64 v[101:102], v[103:104], v[99:100]
	v_fma_f64 v[97:98], -v[97:98], v[101:102], v[103:104]
	v_div_fmas_f64 v[97:98], v[97:98], v[99:100], v[101:102]
	v_div_fixup_f64 v[119:120], v[97:98], v[95:96], 1.0
	v_mul_f64 v[117:118], v[90:91], v[119:120]
	v_xor_b32_e32 v120, 0x80000000, v120
.LBB104_301:
	s_andn2_saveexec_b64 s[18:19], s[18:19]
	s_cbranch_execz .LBB104_303
; %bb.302:
	v_div_scale_f64 v[90:91], s[20:21], v[117:118], v[117:118], v[119:120]
	v_rcp_f64_e32 v[95:96], v[90:91]
	v_fma_f64 v[97:98], -v[90:91], v[95:96], 1.0
	v_fma_f64 v[95:96], v[95:96], v[97:98], v[95:96]
	v_div_scale_f64 v[97:98], vcc, v[119:120], v[117:118], v[119:120]
	v_fma_f64 v[99:100], -v[90:91], v[95:96], 1.0
	v_fma_f64 v[95:96], v[95:96], v[99:100], v[95:96]
	v_mul_f64 v[99:100], v[97:98], v[95:96]
	v_fma_f64 v[90:91], -v[90:91], v[99:100], v[97:98]
	v_div_fmas_f64 v[90:91], v[90:91], v[95:96], v[99:100]
	v_div_fixup_f64 v[90:91], v[90:91], v[117:118], v[119:120]
	v_fma_f64 v[95:96], v[119:120], v[90:91], v[117:118]
	v_div_scale_f64 v[97:98], s[20:21], v[95:96], v[95:96], 1.0
	v_div_scale_f64 v[103:104], vcc, 1.0, v[95:96], 1.0
	v_rcp_f64_e32 v[99:100], v[97:98]
	v_fma_f64 v[101:102], -v[97:98], v[99:100], 1.0
	v_fma_f64 v[99:100], v[99:100], v[101:102], v[99:100]
	v_fma_f64 v[101:102], -v[97:98], v[99:100], 1.0
	v_fma_f64 v[99:100], v[99:100], v[101:102], v[99:100]
	v_mul_f64 v[101:102], v[103:104], v[99:100]
	v_fma_f64 v[97:98], -v[97:98], v[101:102], v[103:104]
	v_div_fmas_f64 v[97:98], v[97:98], v[99:100], v[101:102]
	v_div_fixup_f64 v[117:118], v[97:98], v[95:96], 1.0
	v_mul_f64 v[119:120], v[90:91], -v[117:118]
.LBB104_303:
	s_or_b64 exec, exec, s[18:19]
.LBB104_304:
	s_or_b64 exec, exec, s[0:1]
	v_cmp_ne_u32_e32 vcc, v93, v89
	s_and_saveexec_b64 s[0:1], vcc
	s_xor_b64 s[0:1], exec, s[0:1]
	s_cbranch_execz .LBB104_310
; %bb.305:
	v_cmp_eq_u32_e32 vcc, 14, v93
	s_and_saveexec_b64 s[18:19], vcc
	s_cbranch_execz .LBB104_309
; %bb.306:
	v_cmp_ne_u32_e32 vcc, 14, v89
	s_xor_b64 s[20:21], s[6:7], -1
	s_and_b64 s[22:23], s[20:21], vcc
	s_and_saveexec_b64 s[20:21], s[22:23]
	s_cbranch_execz .LBB104_308
; %bb.307:
	v_mov_b32_e32 v69, v81
	v_mov_b32_e32 v70, v82
	;; [unrolled: 1-line block ×4, first 2 shown]
	buffer_load_dword v81, off, s[24:27], 0 offset:420 ; 4-byte Folded Reload
	buffer_load_dword v82, off, s[24:27], 0 offset:424 ; 4-byte Folded Reload
	v_ashrrev_i32_e32 v90, 31, v89
	v_lshlrev_b64 v[90:91], 2, v[89:90]
	s_waitcnt vmcnt(1)
	v_add_co_u32_e32 v90, vcc, v81, v90
	s_waitcnt vmcnt(0)
	v_addc_co_u32_e32 v91, vcc, v82, v91, vcc
	global_load_dword v92, v[90:91], off
	global_load_dword v93, v[81:82], off offset:56
	s_waitcnt vmcnt(1)
	global_store_dword v[81:82], v92, off offset:56
	v_mov_b32_e32 v84, v72
	v_mov_b32_e32 v83, v71
	;; [unrolled: 1-line block ×4, first 2 shown]
	s_waitcnt vmcnt(1)
	global_store_dword v[90:91], v93, off
.LBB104_308:
	s_or_b64 exec, exec, s[20:21]
	v_mov_b32_e32 v93, v89
	v_mov_b32_e32 v69, v89
	buffer_store_dword v69, off, s[24:27], 0 offset:352 ; 4-byte Folded Spill
.LBB104_309:
	s_or_b64 exec, exec, s[18:19]
.LBB104_310:
	s_andn2_saveexec_b64 s[0:1], s[0:1]
	s_cbranch_execz .LBB104_312
; %bb.311:
	buffer_load_dword v69, off, s[24:27], 0 offset:208 ; 4-byte Folded Reload
	buffer_load_dword v70, off, s[24:27], 0 offset:212 ; 4-byte Folded Reload
	buffer_load_dword v71, off, s[24:27], 0 offset:216 ; 4-byte Folded Reload
	buffer_load_dword v72, off, s[24:27], 0 offset:220 ; 4-byte Folded Reload
	v_mov_b32_e32 v93, 14
	s_waitcnt vmcnt(0)
	ds_write2_b64 v0, v[69:70], v[71:72] offset0:30 offset1:31
	buffer_load_dword v69, off, s[24:27], 0 offset:192 ; 4-byte Folded Reload
	buffer_load_dword v70, off, s[24:27], 0 offset:196 ; 4-byte Folded Reload
	buffer_load_dword v71, off, s[24:27], 0 offset:200 ; 4-byte Folded Reload
	buffer_load_dword v72, off, s[24:27], 0 offset:204 ; 4-byte Folded Reload
	s_waitcnt vmcnt(0)
	ds_write2_b64 v0, v[69:70], v[71:72] offset0:32 offset1:33
	buffer_load_dword v69, off, s[24:27], 0 offset:176 ; 4-byte Folded Reload
	buffer_load_dword v70, off, s[24:27], 0 offset:180 ; 4-byte Folded Reload
	buffer_load_dword v71, off, s[24:27], 0 offset:184 ; 4-byte Folded Reload
	buffer_load_dword v72, off, s[24:27], 0 offset:188 ; 4-byte Folded Reload
	;; [unrolled: 6-line block ×12, first 2 shown]
	s_waitcnt vmcnt(0)
	ds_write2_b64 v0, v[69:70], v[71:72] offset0:54 offset1:55
	ds_write2_b64 v0, v[81:82], v[83:84] offset0:56 offset1:57
	;; [unrolled: 1-line block ×7, first 2 shown]
	buffer_load_dword v69, off, s[24:27], 0 ; 4-byte Folded Reload
	buffer_load_dword v70, off, s[24:27], 0 offset:4 ; 4-byte Folded Reload
	buffer_load_dword v71, off, s[24:27], 0 offset:8 ; 4-byte Folded Reload
	;; [unrolled: 1-line block ×3, first 2 shown]
	s_waitcnt vmcnt(0)
	ds_write2_b64 v0, v[69:70], v[71:72] offset0:68 offset1:69
	ds_write2_b64 v0, v[65:66], v[67:68] offset0:70 offset1:71
	;; [unrolled: 1-line block ×19, first 2 shown]
.LBB104_312:
	s_or_b64 exec, exec, s[0:1]
	v_cmp_lt_i32_e32 vcc, 14, v93
	s_waitcnt vmcnt(0) lgkmcnt(0)
	s_barrier
	s_and_saveexec_b64 s[0:1], vcc
	s_cbranch_execz .LBB104_314
; %bb.313:
	buffer_load_dword v95, off, s[24:27], 0 offset:224 ; 4-byte Folded Reload
	buffer_load_dword v96, off, s[24:27], 0 offset:228 ; 4-byte Folded Reload
	;; [unrolled: 1-line block ×4, first 2 shown]
	s_waitcnt vmcnt(0)
	v_mul_f64 v[89:90], v[119:120], v[97:98]
	v_fma_f64 v[125:126], v[117:118], v[95:96], -v[89:90]
	v_mul_f64 v[89:90], v[117:118], v[97:98]
	v_fma_f64 v[97:98], v[119:120], v[95:96], v[89:90]
	ds_read2_b64 v[89:92], v0 offset0:30 offset1:31
	buffer_load_dword v69, off, s[24:27], 0 offset:208 ; 4-byte Folded Reload
	buffer_load_dword v70, off, s[24:27], 0 offset:212 ; 4-byte Folded Reload
	buffer_load_dword v71, off, s[24:27], 0 offset:216 ; 4-byte Folded Reload
	buffer_load_dword v72, off, s[24:27], 0 offset:220 ; 4-byte Folded Reload
	s_waitcnt lgkmcnt(0)
	v_mul_f64 v[95:96], v[91:92], v[97:98]
	v_fma_f64 v[95:96], v[89:90], v[125:126], -v[95:96]
	v_mul_f64 v[89:90], v[89:90], v[97:98]
	v_fma_f64 v[89:90], v[91:92], v[125:126], v[89:90]
	s_waitcnt vmcnt(2)
	v_add_f64 v[69:70], v[69:70], -v[95:96]
	s_waitcnt vmcnt(0)
	v_add_f64 v[71:72], v[71:72], -v[89:90]
	buffer_store_dword v69, off, s[24:27], 0 offset:208 ; 4-byte Folded Spill
	s_nop 0
	buffer_store_dword v70, off, s[24:27], 0 offset:212 ; 4-byte Folded Spill
	buffer_store_dword v71, off, s[24:27], 0 offset:216 ; 4-byte Folded Spill
	buffer_store_dword v72, off, s[24:27], 0 offset:220 ; 4-byte Folded Spill
	ds_read2_b64 v[89:92], v0 offset0:32 offset1:33
	buffer_load_dword v69, off, s[24:27], 0 offset:192 ; 4-byte Folded Reload
	buffer_load_dword v70, off, s[24:27], 0 offset:196 ; 4-byte Folded Reload
	buffer_load_dword v71, off, s[24:27], 0 offset:200 ; 4-byte Folded Reload
	buffer_load_dword v72, off, s[24:27], 0 offset:204 ; 4-byte Folded Reload
	s_waitcnt lgkmcnt(0)
	v_mul_f64 v[95:96], v[91:92], v[97:98]
	v_fma_f64 v[95:96], v[89:90], v[125:126], -v[95:96]
	v_mul_f64 v[89:90], v[89:90], v[97:98]
	v_fma_f64 v[89:90], v[91:92], v[125:126], v[89:90]
	s_waitcnt vmcnt(2)
	v_add_f64 v[69:70], v[69:70], -v[95:96]
	s_waitcnt vmcnt(0)
	v_add_f64 v[71:72], v[71:72], -v[89:90]
	buffer_store_dword v69, off, s[24:27], 0 offset:192 ; 4-byte Folded Spill
	s_nop 0
	buffer_store_dword v70, off, s[24:27], 0 offset:196 ; 4-byte Folded Spill
	buffer_store_dword v71, off, s[24:27], 0 offset:200 ; 4-byte Folded Spill
	buffer_store_dword v72, off, s[24:27], 0 offset:204 ; 4-byte Folded Spill
	;; [unrolled: 19-line block ×13, first 2 shown]
	ds_read2_b64 v[89:92], v0 offset0:56 offset1:57
	s_waitcnt lgkmcnt(0)
	v_mul_f64 v[95:96], v[91:92], v[97:98]
	v_fma_f64 v[95:96], v[89:90], v[125:126], -v[95:96]
	v_mul_f64 v[89:90], v[89:90], v[97:98]
	v_add_f64 v[81:82], v[81:82], -v[95:96]
	v_fma_f64 v[89:90], v[91:92], v[125:126], v[89:90]
	v_add_f64 v[83:84], v[83:84], -v[89:90]
	ds_read2_b64 v[89:92], v0 offset0:58 offset1:59
	s_waitcnt lgkmcnt(0)
	v_mul_f64 v[95:96], v[91:92], v[97:98]
	v_fma_f64 v[95:96], v[89:90], v[125:126], -v[95:96]
	v_mul_f64 v[89:90], v[89:90], v[97:98]
	v_add_f64 v[85:86], v[85:86], -v[95:96]
	v_fma_f64 v[89:90], v[91:92], v[125:126], v[89:90]
	v_add_f64 v[87:88], v[87:88], -v[89:90]
	;; [unrolled: 8-line block ×6, first 2 shown]
	ds_read2_b64 v[89:92], v0 offset0:68 offset1:69
	buffer_load_dword v69, off, s[24:27], 0 ; 4-byte Folded Reload
	buffer_load_dword v70, off, s[24:27], 0 offset:4 ; 4-byte Folded Reload
	buffer_load_dword v71, off, s[24:27], 0 offset:8 ; 4-byte Folded Reload
	;; [unrolled: 1-line block ×3, first 2 shown]
	s_waitcnt lgkmcnt(0)
	v_mul_f64 v[95:96], v[91:92], v[97:98]
	v_fma_f64 v[95:96], v[89:90], v[125:126], -v[95:96]
	v_mul_f64 v[89:90], v[89:90], v[97:98]
	v_fma_f64 v[89:90], v[91:92], v[125:126], v[89:90]
	s_waitcnt vmcnt(2)
	v_add_f64 v[69:70], v[69:70], -v[95:96]
	s_waitcnt vmcnt(0)
	v_add_f64 v[71:72], v[71:72], -v[89:90]
	buffer_store_dword v69, off, s[24:27], 0 ; 4-byte Folded Spill
	s_nop 0
	buffer_store_dword v70, off, s[24:27], 0 offset:4 ; 4-byte Folded Spill
	buffer_store_dword v71, off, s[24:27], 0 offset:8 ; 4-byte Folded Spill
	;; [unrolled: 1-line block ×3, first 2 shown]
	ds_read2_b64 v[89:92], v0 offset0:70 offset1:71
	s_waitcnt lgkmcnt(0)
	v_mul_f64 v[95:96], v[91:92], v[97:98]
	v_fma_f64 v[95:96], v[89:90], v[125:126], -v[95:96]
	v_mul_f64 v[89:90], v[89:90], v[97:98]
	v_add_f64 v[65:66], v[65:66], -v[95:96]
	v_fma_f64 v[89:90], v[91:92], v[125:126], v[89:90]
	v_add_f64 v[67:68], v[67:68], -v[89:90]
	ds_read2_b64 v[89:92], v0 offset0:72 offset1:73
	s_waitcnt lgkmcnt(0)
	v_mul_f64 v[95:96], v[91:92], v[97:98]
	v_fma_f64 v[95:96], v[89:90], v[125:126], -v[95:96]
	v_mul_f64 v[89:90], v[89:90], v[97:98]
	v_add_f64 v[61:62], v[61:62], -v[95:96]
	v_fma_f64 v[89:90], v[91:92], v[125:126], v[89:90]
	v_add_f64 v[63:64], v[63:64], -v[89:90]
	;; [unrolled: 8-line block ×17, first 2 shown]
	ds_read2_b64 v[89:92], v0 offset0:104 offset1:105
	s_waitcnt lgkmcnt(0)
	v_mul_f64 v[95:96], v[91:92], v[97:98]
	v_fma_f64 v[95:96], v[89:90], v[125:126], -v[95:96]
	v_mul_f64 v[89:90], v[89:90], v[97:98]
	v_add_f64 v[121:122], v[121:122], -v[95:96]
	v_fma_f64 v[89:90], v[91:92], v[125:126], v[89:90]
	v_mov_b32_e32 v95, v125
	v_mov_b32_e32 v96, v126
	buffer_store_dword v95, off, s[24:27], 0 offset:224 ; 4-byte Folded Spill
	s_nop 0
	buffer_store_dword v96, off, s[24:27], 0 offset:228 ; 4-byte Folded Spill
	buffer_store_dword v97, off, s[24:27], 0 offset:232 ; 4-byte Folded Spill
	;; [unrolled: 1-line block ×3, first 2 shown]
	v_add_f64 v[123:124], v[123:124], -v[89:90]
.LBB104_314:
	s_or_b64 exec, exec, s[0:1]
	s_waitcnt vmcnt(0)
	s_barrier
	buffer_load_dword v69, off, s[24:27], 0 offset:208 ; 4-byte Folded Reload
	buffer_load_dword v70, off, s[24:27], 0 offset:212 ; 4-byte Folded Reload
	;; [unrolled: 1-line block ×4, first 2 shown]
	v_lshl_add_u32 v89, v93, 4, v0
	s_cmp_lt_i32 s3, 17
	s_waitcnt vmcnt(0)
	ds_write2_b64 v89, v[69:70], v[71:72] offset1:1
	s_waitcnt lgkmcnt(0)
	s_barrier
	ds_read2_b64 v[117:120], v0 offset0:30 offset1:31
	v_mov_b32_e32 v89, 15
	s_cbranch_scc1 .LBB104_317
; %bb.315:
	v_add_u32_e32 v90, 0x100, v0
	s_mov_b32 s0, 16
	v_mov_b32_e32 v89, 15
.LBB104_316:                            ; =>This Inner Loop Header: Depth=1
	s_waitcnt lgkmcnt(0)
	v_cmp_gt_f64_e32 vcc, 0, v[117:118]
	v_xor_b32_e32 v91, 0x80000000, v118
	ds_read2_b64 v[95:98], v90 offset1:1
	v_xor_b32_e32 v99, 0x80000000, v120
	v_add_u32_e32 v90, 16, v90
	s_waitcnt lgkmcnt(0)
	v_xor_b32_e32 v101, 0x80000000, v98
	v_cndmask_b32_e32 v92, v118, v91, vcc
	v_cmp_gt_f64_e32 vcc, 0, v[119:120]
	v_mov_b32_e32 v91, v117
	v_cndmask_b32_e32 v100, v120, v99, vcc
	v_cmp_gt_f64_e32 vcc, 0, v[95:96]
	v_mov_b32_e32 v99, v119
	v_add_f64 v[91:92], v[91:92], v[99:100]
	v_xor_b32_e32 v99, 0x80000000, v96
	v_cndmask_b32_e32 v100, v96, v99, vcc
	v_cmp_gt_f64_e32 vcc, 0, v[97:98]
	v_mov_b32_e32 v99, v95
	v_cndmask_b32_e32 v102, v98, v101, vcc
	v_mov_b32_e32 v101, v97
	v_add_f64 v[99:100], v[99:100], v[101:102]
	v_cmp_lt_f64_e32 vcc, v[91:92], v[99:100]
	v_mov_b32_e32 v91, s0
	s_add_i32 s0, s0, 1
	s_cmp_lg_u32 s3, s0
	v_cndmask_b32_e32 v118, v118, v96, vcc
	v_cndmask_b32_e32 v117, v117, v95, vcc
	;; [unrolled: 1-line block ×5, first 2 shown]
	s_cbranch_scc1 .LBB104_316
.LBB104_317:
	s_waitcnt lgkmcnt(0)
	v_cmp_eq_f64_e32 vcc, 0, v[117:118]
	v_cmp_eq_f64_e64 s[0:1], 0, v[119:120]
	s_and_b64 s[0:1], vcc, s[0:1]
	s_and_saveexec_b64 s[18:19], s[0:1]
	s_xor_b64 s[0:1], exec, s[18:19]
; %bb.318:
	v_cmp_ne_u32_e32 vcc, 0, v94
	v_cndmask_b32_e32 v94, 16, v94, vcc
; %bb.319:
	s_andn2_saveexec_b64 s[0:1], s[0:1]
	s_cbranch_execz .LBB104_325
; %bb.320:
	v_cmp_ngt_f64_e64 s[18:19], |v[117:118]|, |v[119:120]|
	s_and_saveexec_b64 s[20:21], s[18:19]
	s_xor_b64 s[18:19], exec, s[20:21]
	s_cbranch_execz .LBB104_322
; %bb.321:
	v_div_scale_f64 v[90:91], s[20:21], v[119:120], v[119:120], v[117:118]
	v_rcp_f64_e32 v[95:96], v[90:91]
	v_fma_f64 v[97:98], -v[90:91], v[95:96], 1.0
	v_fma_f64 v[95:96], v[95:96], v[97:98], v[95:96]
	v_div_scale_f64 v[97:98], vcc, v[117:118], v[119:120], v[117:118]
	v_fma_f64 v[99:100], -v[90:91], v[95:96], 1.0
	v_fma_f64 v[95:96], v[95:96], v[99:100], v[95:96]
	v_mul_f64 v[99:100], v[97:98], v[95:96]
	v_fma_f64 v[90:91], -v[90:91], v[99:100], v[97:98]
	v_div_fmas_f64 v[90:91], v[90:91], v[95:96], v[99:100]
	v_div_fixup_f64 v[90:91], v[90:91], v[119:120], v[117:118]
	v_fma_f64 v[95:96], v[117:118], v[90:91], v[119:120]
	v_div_scale_f64 v[97:98], s[20:21], v[95:96], v[95:96], 1.0
	v_div_scale_f64 v[103:104], vcc, 1.0, v[95:96], 1.0
	v_rcp_f64_e32 v[99:100], v[97:98]
	v_fma_f64 v[101:102], -v[97:98], v[99:100], 1.0
	v_fma_f64 v[99:100], v[99:100], v[101:102], v[99:100]
	v_fma_f64 v[101:102], -v[97:98], v[99:100], 1.0
	v_fma_f64 v[99:100], v[99:100], v[101:102], v[99:100]
	v_mul_f64 v[101:102], v[103:104], v[99:100]
	v_fma_f64 v[97:98], -v[97:98], v[101:102], v[103:104]
	v_div_fmas_f64 v[97:98], v[97:98], v[99:100], v[101:102]
	v_div_fixup_f64 v[119:120], v[97:98], v[95:96], 1.0
	v_mul_f64 v[117:118], v[90:91], v[119:120]
	v_xor_b32_e32 v120, 0x80000000, v120
.LBB104_322:
	s_andn2_saveexec_b64 s[18:19], s[18:19]
	s_cbranch_execz .LBB104_324
; %bb.323:
	v_div_scale_f64 v[90:91], s[20:21], v[117:118], v[117:118], v[119:120]
	v_rcp_f64_e32 v[95:96], v[90:91]
	v_fma_f64 v[97:98], -v[90:91], v[95:96], 1.0
	v_fma_f64 v[95:96], v[95:96], v[97:98], v[95:96]
	v_div_scale_f64 v[97:98], vcc, v[119:120], v[117:118], v[119:120]
	v_fma_f64 v[99:100], -v[90:91], v[95:96], 1.0
	v_fma_f64 v[95:96], v[95:96], v[99:100], v[95:96]
	v_mul_f64 v[99:100], v[97:98], v[95:96]
	v_fma_f64 v[90:91], -v[90:91], v[99:100], v[97:98]
	v_div_fmas_f64 v[90:91], v[90:91], v[95:96], v[99:100]
	v_div_fixup_f64 v[90:91], v[90:91], v[117:118], v[119:120]
	v_fma_f64 v[95:96], v[119:120], v[90:91], v[117:118]
	v_div_scale_f64 v[97:98], s[20:21], v[95:96], v[95:96], 1.0
	v_div_scale_f64 v[103:104], vcc, 1.0, v[95:96], 1.0
	v_rcp_f64_e32 v[99:100], v[97:98]
	v_fma_f64 v[101:102], -v[97:98], v[99:100], 1.0
	v_fma_f64 v[99:100], v[99:100], v[101:102], v[99:100]
	v_fma_f64 v[101:102], -v[97:98], v[99:100], 1.0
	v_fma_f64 v[99:100], v[99:100], v[101:102], v[99:100]
	v_mul_f64 v[101:102], v[103:104], v[99:100]
	v_fma_f64 v[97:98], -v[97:98], v[101:102], v[103:104]
	v_div_fmas_f64 v[97:98], v[97:98], v[99:100], v[101:102]
	v_div_fixup_f64 v[117:118], v[97:98], v[95:96], 1.0
	v_mul_f64 v[119:120], v[90:91], -v[117:118]
.LBB104_324:
	s_or_b64 exec, exec, s[18:19]
.LBB104_325:
	s_or_b64 exec, exec, s[0:1]
	v_cmp_ne_u32_e32 vcc, v93, v89
	s_and_saveexec_b64 s[0:1], vcc
	s_xor_b64 s[0:1], exec, s[0:1]
	s_cbranch_execz .LBB104_331
; %bb.326:
	v_cmp_eq_u32_e32 vcc, 15, v93
	s_and_saveexec_b64 s[18:19], vcc
	s_cbranch_execz .LBB104_330
; %bb.327:
	v_cmp_ne_u32_e32 vcc, 15, v89
	s_xor_b64 s[20:21], s[6:7], -1
	s_and_b64 s[22:23], s[20:21], vcc
	s_and_saveexec_b64 s[20:21], s[22:23]
	s_cbranch_execz .LBB104_329
; %bb.328:
	v_mov_b32_e32 v69, v81
	v_mov_b32_e32 v70, v82
	;; [unrolled: 1-line block ×4, first 2 shown]
	buffer_load_dword v81, off, s[24:27], 0 offset:420 ; 4-byte Folded Reload
	buffer_load_dword v82, off, s[24:27], 0 offset:424 ; 4-byte Folded Reload
	v_ashrrev_i32_e32 v90, 31, v89
	v_lshlrev_b64 v[90:91], 2, v[89:90]
	s_waitcnt vmcnt(1)
	v_add_co_u32_e32 v90, vcc, v81, v90
	s_waitcnt vmcnt(0)
	v_addc_co_u32_e32 v91, vcc, v82, v91, vcc
	global_load_dword v92, v[90:91], off
	global_load_dword v93, v[81:82], off offset:60
	s_waitcnt vmcnt(1)
	global_store_dword v[81:82], v92, off offset:60
	v_mov_b32_e32 v84, v72
	v_mov_b32_e32 v83, v71
	;; [unrolled: 1-line block ×4, first 2 shown]
	s_waitcnt vmcnt(1)
	global_store_dword v[90:91], v93, off
.LBB104_329:
	s_or_b64 exec, exec, s[20:21]
	v_mov_b32_e32 v93, v89
	v_mov_b32_e32 v69, v89
	buffer_store_dword v69, off, s[24:27], 0 offset:352 ; 4-byte Folded Spill
.LBB104_330:
	s_or_b64 exec, exec, s[18:19]
.LBB104_331:
	s_andn2_saveexec_b64 s[0:1], s[0:1]
	s_cbranch_execz .LBB104_333
; %bb.332:
	buffer_load_dword v69, off, s[24:27], 0 offset:192 ; 4-byte Folded Reload
	buffer_load_dword v70, off, s[24:27], 0 offset:196 ; 4-byte Folded Reload
	;; [unrolled: 1-line block ×4, first 2 shown]
	v_mov_b32_e32 v93, 15
	s_waitcnt vmcnt(0)
	ds_write2_b64 v0, v[69:70], v[71:72] offset0:32 offset1:33
	buffer_load_dword v69, off, s[24:27], 0 offset:176 ; 4-byte Folded Reload
	buffer_load_dword v70, off, s[24:27], 0 offset:180 ; 4-byte Folded Reload
	buffer_load_dword v71, off, s[24:27], 0 offset:184 ; 4-byte Folded Reload
	buffer_load_dword v72, off, s[24:27], 0 offset:188 ; 4-byte Folded Reload
	s_waitcnt vmcnt(0)
	ds_write2_b64 v0, v[69:70], v[71:72] offset0:34 offset1:35
	buffer_load_dword v69, off, s[24:27], 0 offset:160 ; 4-byte Folded Reload
	buffer_load_dword v70, off, s[24:27], 0 offset:164 ; 4-byte Folded Reload
	buffer_load_dword v71, off, s[24:27], 0 offset:168 ; 4-byte Folded Reload
	buffer_load_dword v72, off, s[24:27], 0 offset:172 ; 4-byte Folded Reload
	;; [unrolled: 6-line block ×11, first 2 shown]
	s_waitcnt vmcnt(0)
	ds_write2_b64 v0, v[69:70], v[71:72] offset0:54 offset1:55
	ds_write2_b64 v0, v[81:82], v[83:84] offset0:56 offset1:57
	;; [unrolled: 1-line block ×7, first 2 shown]
	buffer_load_dword v69, off, s[24:27], 0 ; 4-byte Folded Reload
	buffer_load_dword v70, off, s[24:27], 0 offset:4 ; 4-byte Folded Reload
	buffer_load_dword v71, off, s[24:27], 0 offset:8 ; 4-byte Folded Reload
	;; [unrolled: 1-line block ×3, first 2 shown]
	s_waitcnt vmcnt(0)
	ds_write2_b64 v0, v[69:70], v[71:72] offset0:68 offset1:69
	ds_write2_b64 v0, v[65:66], v[67:68] offset0:70 offset1:71
	;; [unrolled: 1-line block ×19, first 2 shown]
.LBB104_333:
	s_or_b64 exec, exec, s[0:1]
	v_cmp_lt_i32_e32 vcc, 15, v93
	s_waitcnt vmcnt(0) lgkmcnt(0)
	s_barrier
	s_and_saveexec_b64 s[0:1], vcc
	s_cbranch_execz .LBB104_335
; %bb.334:
	buffer_load_dword v95, off, s[24:27], 0 offset:208 ; 4-byte Folded Reload
	buffer_load_dword v96, off, s[24:27], 0 offset:212 ; 4-byte Folded Reload
	;; [unrolled: 1-line block ×4, first 2 shown]
	s_waitcnt vmcnt(0)
	v_mul_f64 v[89:90], v[119:120], v[97:98]
	v_fma_f64 v[125:126], v[117:118], v[95:96], -v[89:90]
	v_mul_f64 v[89:90], v[117:118], v[97:98]
	v_fma_f64 v[97:98], v[119:120], v[95:96], v[89:90]
	ds_read2_b64 v[89:92], v0 offset0:32 offset1:33
	buffer_load_dword v69, off, s[24:27], 0 offset:192 ; 4-byte Folded Reload
	buffer_load_dword v70, off, s[24:27], 0 offset:196 ; 4-byte Folded Reload
	buffer_load_dword v71, off, s[24:27], 0 offset:200 ; 4-byte Folded Reload
	buffer_load_dword v72, off, s[24:27], 0 offset:204 ; 4-byte Folded Reload
	s_waitcnt lgkmcnt(0)
	v_mul_f64 v[95:96], v[91:92], v[97:98]
	v_fma_f64 v[95:96], v[89:90], v[125:126], -v[95:96]
	v_mul_f64 v[89:90], v[89:90], v[97:98]
	v_fma_f64 v[89:90], v[91:92], v[125:126], v[89:90]
	s_waitcnt vmcnt(2)
	v_add_f64 v[69:70], v[69:70], -v[95:96]
	s_waitcnt vmcnt(0)
	v_add_f64 v[71:72], v[71:72], -v[89:90]
	buffer_store_dword v69, off, s[24:27], 0 offset:192 ; 4-byte Folded Spill
	s_nop 0
	buffer_store_dword v70, off, s[24:27], 0 offset:196 ; 4-byte Folded Spill
	buffer_store_dword v71, off, s[24:27], 0 offset:200 ; 4-byte Folded Spill
	buffer_store_dword v72, off, s[24:27], 0 offset:204 ; 4-byte Folded Spill
	ds_read2_b64 v[89:92], v0 offset0:34 offset1:35
	buffer_load_dword v69, off, s[24:27], 0 offset:176 ; 4-byte Folded Reload
	buffer_load_dword v70, off, s[24:27], 0 offset:180 ; 4-byte Folded Reload
	buffer_load_dword v71, off, s[24:27], 0 offset:184 ; 4-byte Folded Reload
	buffer_load_dword v72, off, s[24:27], 0 offset:188 ; 4-byte Folded Reload
	s_waitcnt lgkmcnt(0)
	v_mul_f64 v[95:96], v[91:92], v[97:98]
	v_fma_f64 v[95:96], v[89:90], v[125:126], -v[95:96]
	v_mul_f64 v[89:90], v[89:90], v[97:98]
	v_fma_f64 v[89:90], v[91:92], v[125:126], v[89:90]
	s_waitcnt vmcnt(2)
	v_add_f64 v[69:70], v[69:70], -v[95:96]
	s_waitcnt vmcnt(0)
	v_add_f64 v[71:72], v[71:72], -v[89:90]
	buffer_store_dword v69, off, s[24:27], 0 offset:176 ; 4-byte Folded Spill
	s_nop 0
	buffer_store_dword v70, off, s[24:27], 0 offset:180 ; 4-byte Folded Spill
	buffer_store_dword v71, off, s[24:27], 0 offset:184 ; 4-byte Folded Spill
	buffer_store_dword v72, off, s[24:27], 0 offset:188 ; 4-byte Folded Spill
	;; [unrolled: 19-line block ×12, first 2 shown]
	ds_read2_b64 v[89:92], v0 offset0:56 offset1:57
	s_waitcnt lgkmcnt(0)
	v_mul_f64 v[95:96], v[91:92], v[97:98]
	v_fma_f64 v[95:96], v[89:90], v[125:126], -v[95:96]
	v_mul_f64 v[89:90], v[89:90], v[97:98]
	v_add_f64 v[81:82], v[81:82], -v[95:96]
	v_fma_f64 v[89:90], v[91:92], v[125:126], v[89:90]
	v_add_f64 v[83:84], v[83:84], -v[89:90]
	ds_read2_b64 v[89:92], v0 offset0:58 offset1:59
	s_waitcnt lgkmcnt(0)
	v_mul_f64 v[95:96], v[91:92], v[97:98]
	v_fma_f64 v[95:96], v[89:90], v[125:126], -v[95:96]
	v_mul_f64 v[89:90], v[89:90], v[97:98]
	v_add_f64 v[85:86], v[85:86], -v[95:96]
	v_fma_f64 v[89:90], v[91:92], v[125:126], v[89:90]
	v_add_f64 v[87:88], v[87:88], -v[89:90]
	;; [unrolled: 8-line block ×6, first 2 shown]
	ds_read2_b64 v[89:92], v0 offset0:68 offset1:69
	buffer_load_dword v69, off, s[24:27], 0 ; 4-byte Folded Reload
	buffer_load_dword v70, off, s[24:27], 0 offset:4 ; 4-byte Folded Reload
	buffer_load_dword v71, off, s[24:27], 0 offset:8 ; 4-byte Folded Reload
	;; [unrolled: 1-line block ×3, first 2 shown]
	s_waitcnt lgkmcnt(0)
	v_mul_f64 v[95:96], v[91:92], v[97:98]
	v_fma_f64 v[95:96], v[89:90], v[125:126], -v[95:96]
	v_mul_f64 v[89:90], v[89:90], v[97:98]
	v_fma_f64 v[89:90], v[91:92], v[125:126], v[89:90]
	s_waitcnt vmcnt(2)
	v_add_f64 v[69:70], v[69:70], -v[95:96]
	s_waitcnt vmcnt(0)
	v_add_f64 v[71:72], v[71:72], -v[89:90]
	buffer_store_dword v69, off, s[24:27], 0 ; 4-byte Folded Spill
	s_nop 0
	buffer_store_dword v70, off, s[24:27], 0 offset:4 ; 4-byte Folded Spill
	buffer_store_dword v71, off, s[24:27], 0 offset:8 ; 4-byte Folded Spill
	;; [unrolled: 1-line block ×3, first 2 shown]
	ds_read2_b64 v[89:92], v0 offset0:70 offset1:71
	s_waitcnt lgkmcnt(0)
	v_mul_f64 v[95:96], v[91:92], v[97:98]
	v_fma_f64 v[95:96], v[89:90], v[125:126], -v[95:96]
	v_mul_f64 v[89:90], v[89:90], v[97:98]
	v_add_f64 v[65:66], v[65:66], -v[95:96]
	v_fma_f64 v[89:90], v[91:92], v[125:126], v[89:90]
	v_add_f64 v[67:68], v[67:68], -v[89:90]
	ds_read2_b64 v[89:92], v0 offset0:72 offset1:73
	s_waitcnt lgkmcnt(0)
	v_mul_f64 v[95:96], v[91:92], v[97:98]
	v_fma_f64 v[95:96], v[89:90], v[125:126], -v[95:96]
	v_mul_f64 v[89:90], v[89:90], v[97:98]
	v_add_f64 v[61:62], v[61:62], -v[95:96]
	v_fma_f64 v[89:90], v[91:92], v[125:126], v[89:90]
	v_add_f64 v[63:64], v[63:64], -v[89:90]
	;; [unrolled: 8-line block ×17, first 2 shown]
	ds_read2_b64 v[89:92], v0 offset0:104 offset1:105
	s_waitcnt lgkmcnt(0)
	v_mul_f64 v[95:96], v[91:92], v[97:98]
	v_fma_f64 v[95:96], v[89:90], v[125:126], -v[95:96]
	v_mul_f64 v[89:90], v[89:90], v[97:98]
	v_add_f64 v[121:122], v[121:122], -v[95:96]
	v_fma_f64 v[89:90], v[91:92], v[125:126], v[89:90]
	v_mov_b32_e32 v95, v125
	v_mov_b32_e32 v96, v126
	buffer_store_dword v95, off, s[24:27], 0 offset:208 ; 4-byte Folded Spill
	s_nop 0
	buffer_store_dword v96, off, s[24:27], 0 offset:212 ; 4-byte Folded Spill
	buffer_store_dword v97, off, s[24:27], 0 offset:216 ; 4-byte Folded Spill
	;; [unrolled: 1-line block ×3, first 2 shown]
	v_add_f64 v[123:124], v[123:124], -v[89:90]
.LBB104_335:
	s_or_b64 exec, exec, s[0:1]
	s_waitcnt vmcnt(0)
	s_barrier
	buffer_load_dword v69, off, s[24:27], 0 offset:192 ; 4-byte Folded Reload
	buffer_load_dword v70, off, s[24:27], 0 offset:196 ; 4-byte Folded Reload
	;; [unrolled: 1-line block ×4, first 2 shown]
	v_lshl_add_u32 v89, v93, 4, v0
	s_cmp_lt_i32 s3, 18
	s_waitcnt vmcnt(0)
	ds_write2_b64 v89, v[69:70], v[71:72] offset1:1
	s_waitcnt lgkmcnt(0)
	s_barrier
	ds_read2_b64 v[117:120], v0 offset0:32 offset1:33
	v_mov_b32_e32 v89, 16
	s_cbranch_scc1 .LBB104_338
; %bb.336:
	v_add_u32_e32 v90, 0x110, v0
	s_mov_b32 s0, 17
	v_mov_b32_e32 v89, 16
.LBB104_337:                            ; =>This Inner Loop Header: Depth=1
	s_waitcnt lgkmcnt(0)
	v_cmp_gt_f64_e32 vcc, 0, v[117:118]
	v_xor_b32_e32 v91, 0x80000000, v118
	ds_read2_b64 v[95:98], v90 offset1:1
	v_xor_b32_e32 v99, 0x80000000, v120
	v_add_u32_e32 v90, 16, v90
	s_waitcnt lgkmcnt(0)
	v_xor_b32_e32 v101, 0x80000000, v98
	v_cndmask_b32_e32 v92, v118, v91, vcc
	v_cmp_gt_f64_e32 vcc, 0, v[119:120]
	v_mov_b32_e32 v91, v117
	v_cndmask_b32_e32 v100, v120, v99, vcc
	v_cmp_gt_f64_e32 vcc, 0, v[95:96]
	v_mov_b32_e32 v99, v119
	v_add_f64 v[91:92], v[91:92], v[99:100]
	v_xor_b32_e32 v99, 0x80000000, v96
	v_cndmask_b32_e32 v100, v96, v99, vcc
	v_cmp_gt_f64_e32 vcc, 0, v[97:98]
	v_mov_b32_e32 v99, v95
	v_cndmask_b32_e32 v102, v98, v101, vcc
	v_mov_b32_e32 v101, v97
	v_add_f64 v[99:100], v[99:100], v[101:102]
	v_cmp_lt_f64_e32 vcc, v[91:92], v[99:100]
	v_mov_b32_e32 v91, s0
	s_add_i32 s0, s0, 1
	s_cmp_lg_u32 s3, s0
	v_cndmask_b32_e32 v118, v118, v96, vcc
	v_cndmask_b32_e32 v117, v117, v95, vcc
	;; [unrolled: 1-line block ×5, first 2 shown]
	s_cbranch_scc1 .LBB104_337
.LBB104_338:
	s_waitcnt lgkmcnt(0)
	v_cmp_eq_f64_e32 vcc, 0, v[117:118]
	v_cmp_eq_f64_e64 s[0:1], 0, v[119:120]
	s_and_b64 s[0:1], vcc, s[0:1]
	s_and_saveexec_b64 s[18:19], s[0:1]
	s_xor_b64 s[0:1], exec, s[18:19]
; %bb.339:
	v_cmp_ne_u32_e32 vcc, 0, v94
	v_cndmask_b32_e32 v94, 17, v94, vcc
; %bb.340:
	s_andn2_saveexec_b64 s[0:1], s[0:1]
	s_cbranch_execz .LBB104_346
; %bb.341:
	v_cmp_ngt_f64_e64 s[18:19], |v[117:118]|, |v[119:120]|
	s_and_saveexec_b64 s[20:21], s[18:19]
	s_xor_b64 s[18:19], exec, s[20:21]
	s_cbranch_execz .LBB104_343
; %bb.342:
	v_div_scale_f64 v[90:91], s[20:21], v[119:120], v[119:120], v[117:118]
	v_rcp_f64_e32 v[95:96], v[90:91]
	v_fma_f64 v[97:98], -v[90:91], v[95:96], 1.0
	v_fma_f64 v[95:96], v[95:96], v[97:98], v[95:96]
	v_div_scale_f64 v[97:98], vcc, v[117:118], v[119:120], v[117:118]
	v_fma_f64 v[99:100], -v[90:91], v[95:96], 1.0
	v_fma_f64 v[95:96], v[95:96], v[99:100], v[95:96]
	v_mul_f64 v[99:100], v[97:98], v[95:96]
	v_fma_f64 v[90:91], -v[90:91], v[99:100], v[97:98]
	v_div_fmas_f64 v[90:91], v[90:91], v[95:96], v[99:100]
	v_div_fixup_f64 v[90:91], v[90:91], v[119:120], v[117:118]
	v_fma_f64 v[95:96], v[117:118], v[90:91], v[119:120]
	v_div_scale_f64 v[97:98], s[20:21], v[95:96], v[95:96], 1.0
	v_div_scale_f64 v[103:104], vcc, 1.0, v[95:96], 1.0
	v_rcp_f64_e32 v[99:100], v[97:98]
	v_fma_f64 v[101:102], -v[97:98], v[99:100], 1.0
	v_fma_f64 v[99:100], v[99:100], v[101:102], v[99:100]
	v_fma_f64 v[101:102], -v[97:98], v[99:100], 1.0
	v_fma_f64 v[99:100], v[99:100], v[101:102], v[99:100]
	v_mul_f64 v[101:102], v[103:104], v[99:100]
	v_fma_f64 v[97:98], -v[97:98], v[101:102], v[103:104]
	v_div_fmas_f64 v[97:98], v[97:98], v[99:100], v[101:102]
	v_div_fixup_f64 v[119:120], v[97:98], v[95:96], 1.0
	v_mul_f64 v[117:118], v[90:91], v[119:120]
	v_xor_b32_e32 v120, 0x80000000, v120
.LBB104_343:
	s_andn2_saveexec_b64 s[18:19], s[18:19]
	s_cbranch_execz .LBB104_345
; %bb.344:
	v_div_scale_f64 v[90:91], s[20:21], v[117:118], v[117:118], v[119:120]
	v_rcp_f64_e32 v[95:96], v[90:91]
	v_fma_f64 v[97:98], -v[90:91], v[95:96], 1.0
	v_fma_f64 v[95:96], v[95:96], v[97:98], v[95:96]
	v_div_scale_f64 v[97:98], vcc, v[119:120], v[117:118], v[119:120]
	v_fma_f64 v[99:100], -v[90:91], v[95:96], 1.0
	v_fma_f64 v[95:96], v[95:96], v[99:100], v[95:96]
	v_mul_f64 v[99:100], v[97:98], v[95:96]
	v_fma_f64 v[90:91], -v[90:91], v[99:100], v[97:98]
	v_div_fmas_f64 v[90:91], v[90:91], v[95:96], v[99:100]
	v_div_fixup_f64 v[90:91], v[90:91], v[117:118], v[119:120]
	v_fma_f64 v[95:96], v[119:120], v[90:91], v[117:118]
	v_div_scale_f64 v[97:98], s[20:21], v[95:96], v[95:96], 1.0
	v_div_scale_f64 v[103:104], vcc, 1.0, v[95:96], 1.0
	v_rcp_f64_e32 v[99:100], v[97:98]
	v_fma_f64 v[101:102], -v[97:98], v[99:100], 1.0
	v_fma_f64 v[99:100], v[99:100], v[101:102], v[99:100]
	v_fma_f64 v[101:102], -v[97:98], v[99:100], 1.0
	v_fma_f64 v[99:100], v[99:100], v[101:102], v[99:100]
	v_mul_f64 v[101:102], v[103:104], v[99:100]
	v_fma_f64 v[97:98], -v[97:98], v[101:102], v[103:104]
	v_div_fmas_f64 v[97:98], v[97:98], v[99:100], v[101:102]
	v_div_fixup_f64 v[117:118], v[97:98], v[95:96], 1.0
	v_mul_f64 v[119:120], v[90:91], -v[117:118]
.LBB104_345:
	s_or_b64 exec, exec, s[18:19]
.LBB104_346:
	s_or_b64 exec, exec, s[0:1]
	v_cmp_ne_u32_e32 vcc, v93, v89
	s_and_saveexec_b64 s[0:1], vcc
	s_xor_b64 s[0:1], exec, s[0:1]
	s_cbranch_execz .LBB104_352
; %bb.347:
	v_cmp_eq_u32_e32 vcc, 16, v93
	s_and_saveexec_b64 s[18:19], vcc
	s_cbranch_execz .LBB104_351
; %bb.348:
	v_cmp_ne_u32_e32 vcc, 16, v89
	s_xor_b64 s[20:21], s[6:7], -1
	s_and_b64 s[22:23], s[20:21], vcc
	s_and_saveexec_b64 s[20:21], s[22:23]
	s_cbranch_execz .LBB104_350
; %bb.349:
	v_mov_b32_e32 v69, v81
	v_mov_b32_e32 v70, v82
	;; [unrolled: 1-line block ×4, first 2 shown]
	buffer_load_dword v81, off, s[24:27], 0 offset:420 ; 4-byte Folded Reload
	buffer_load_dword v82, off, s[24:27], 0 offset:424 ; 4-byte Folded Reload
	v_ashrrev_i32_e32 v90, 31, v89
	v_lshlrev_b64 v[90:91], 2, v[89:90]
	s_waitcnt vmcnt(1)
	v_add_co_u32_e32 v90, vcc, v81, v90
	s_waitcnt vmcnt(0)
	v_addc_co_u32_e32 v91, vcc, v82, v91, vcc
	global_load_dword v92, v[90:91], off
	global_load_dword v93, v[81:82], off offset:64
	s_waitcnt vmcnt(1)
	global_store_dword v[81:82], v92, off offset:64
	v_mov_b32_e32 v84, v72
	v_mov_b32_e32 v83, v71
	;; [unrolled: 1-line block ×4, first 2 shown]
	s_waitcnt vmcnt(1)
	global_store_dword v[90:91], v93, off
.LBB104_350:
	s_or_b64 exec, exec, s[20:21]
	v_mov_b32_e32 v93, v89
	v_mov_b32_e32 v69, v89
	buffer_store_dword v69, off, s[24:27], 0 offset:352 ; 4-byte Folded Spill
.LBB104_351:
	s_or_b64 exec, exec, s[18:19]
.LBB104_352:
	s_andn2_saveexec_b64 s[0:1], s[0:1]
	s_cbranch_execz .LBB104_354
; %bb.353:
	buffer_load_dword v69, off, s[24:27], 0 offset:176 ; 4-byte Folded Reload
	buffer_load_dword v70, off, s[24:27], 0 offset:180 ; 4-byte Folded Reload
	;; [unrolled: 1-line block ×4, first 2 shown]
	v_mov_b32_e32 v93, 16
	s_waitcnt vmcnt(0)
	ds_write2_b64 v0, v[69:70], v[71:72] offset0:34 offset1:35
	buffer_load_dword v69, off, s[24:27], 0 offset:160 ; 4-byte Folded Reload
	buffer_load_dword v70, off, s[24:27], 0 offset:164 ; 4-byte Folded Reload
	buffer_load_dword v71, off, s[24:27], 0 offset:168 ; 4-byte Folded Reload
	buffer_load_dword v72, off, s[24:27], 0 offset:172 ; 4-byte Folded Reload
	s_waitcnt vmcnt(0)
	ds_write2_b64 v0, v[69:70], v[71:72] offset0:36 offset1:37
	buffer_load_dword v69, off, s[24:27], 0 offset:144 ; 4-byte Folded Reload
	buffer_load_dword v70, off, s[24:27], 0 offset:148 ; 4-byte Folded Reload
	buffer_load_dword v71, off, s[24:27], 0 offset:152 ; 4-byte Folded Reload
	buffer_load_dword v72, off, s[24:27], 0 offset:156 ; 4-byte Folded Reload
	;; [unrolled: 6-line block ×10, first 2 shown]
	s_waitcnt vmcnt(0)
	ds_write2_b64 v0, v[69:70], v[71:72] offset0:54 offset1:55
	ds_write2_b64 v0, v[81:82], v[83:84] offset0:56 offset1:57
	;; [unrolled: 1-line block ×7, first 2 shown]
	buffer_load_dword v69, off, s[24:27], 0 ; 4-byte Folded Reload
	buffer_load_dword v70, off, s[24:27], 0 offset:4 ; 4-byte Folded Reload
	buffer_load_dword v71, off, s[24:27], 0 offset:8 ; 4-byte Folded Reload
	;; [unrolled: 1-line block ×3, first 2 shown]
	s_waitcnt vmcnt(0)
	ds_write2_b64 v0, v[69:70], v[71:72] offset0:68 offset1:69
	ds_write2_b64 v0, v[65:66], v[67:68] offset0:70 offset1:71
	;; [unrolled: 1-line block ×19, first 2 shown]
.LBB104_354:
	s_or_b64 exec, exec, s[0:1]
	v_cmp_lt_i32_e32 vcc, 16, v93
	s_waitcnt vmcnt(0) lgkmcnt(0)
	s_barrier
	s_and_saveexec_b64 s[0:1], vcc
	s_cbranch_execz .LBB104_356
; %bb.355:
	buffer_load_dword v95, off, s[24:27], 0 offset:192 ; 4-byte Folded Reload
	buffer_load_dword v96, off, s[24:27], 0 offset:196 ; 4-byte Folded Reload
	;; [unrolled: 1-line block ×4, first 2 shown]
	s_waitcnt vmcnt(0)
	v_mul_f64 v[89:90], v[119:120], v[97:98]
	v_fma_f64 v[125:126], v[117:118], v[95:96], -v[89:90]
	v_mul_f64 v[89:90], v[117:118], v[97:98]
	v_fma_f64 v[97:98], v[119:120], v[95:96], v[89:90]
	ds_read2_b64 v[89:92], v0 offset0:34 offset1:35
	buffer_load_dword v69, off, s[24:27], 0 offset:176 ; 4-byte Folded Reload
	buffer_load_dword v70, off, s[24:27], 0 offset:180 ; 4-byte Folded Reload
	buffer_load_dword v71, off, s[24:27], 0 offset:184 ; 4-byte Folded Reload
	buffer_load_dword v72, off, s[24:27], 0 offset:188 ; 4-byte Folded Reload
	s_waitcnt lgkmcnt(0)
	v_mul_f64 v[95:96], v[91:92], v[97:98]
	v_fma_f64 v[95:96], v[89:90], v[125:126], -v[95:96]
	v_mul_f64 v[89:90], v[89:90], v[97:98]
	v_fma_f64 v[89:90], v[91:92], v[125:126], v[89:90]
	s_waitcnt vmcnt(2)
	v_add_f64 v[69:70], v[69:70], -v[95:96]
	s_waitcnt vmcnt(0)
	v_add_f64 v[71:72], v[71:72], -v[89:90]
	buffer_store_dword v69, off, s[24:27], 0 offset:176 ; 4-byte Folded Spill
	s_nop 0
	buffer_store_dword v70, off, s[24:27], 0 offset:180 ; 4-byte Folded Spill
	buffer_store_dword v71, off, s[24:27], 0 offset:184 ; 4-byte Folded Spill
	buffer_store_dword v72, off, s[24:27], 0 offset:188 ; 4-byte Folded Spill
	ds_read2_b64 v[89:92], v0 offset0:36 offset1:37
	buffer_load_dword v69, off, s[24:27], 0 offset:160 ; 4-byte Folded Reload
	buffer_load_dword v70, off, s[24:27], 0 offset:164 ; 4-byte Folded Reload
	buffer_load_dword v71, off, s[24:27], 0 offset:168 ; 4-byte Folded Reload
	buffer_load_dword v72, off, s[24:27], 0 offset:172 ; 4-byte Folded Reload
	s_waitcnt lgkmcnt(0)
	v_mul_f64 v[95:96], v[91:92], v[97:98]
	v_fma_f64 v[95:96], v[89:90], v[125:126], -v[95:96]
	v_mul_f64 v[89:90], v[89:90], v[97:98]
	v_fma_f64 v[89:90], v[91:92], v[125:126], v[89:90]
	s_waitcnt vmcnt(2)
	v_add_f64 v[69:70], v[69:70], -v[95:96]
	s_waitcnt vmcnt(0)
	v_add_f64 v[71:72], v[71:72], -v[89:90]
	buffer_store_dword v69, off, s[24:27], 0 offset:160 ; 4-byte Folded Spill
	s_nop 0
	buffer_store_dword v70, off, s[24:27], 0 offset:164 ; 4-byte Folded Spill
	buffer_store_dword v71, off, s[24:27], 0 offset:168 ; 4-byte Folded Spill
	buffer_store_dword v72, off, s[24:27], 0 offset:172 ; 4-byte Folded Spill
	;; [unrolled: 19-line block ×11, first 2 shown]
	ds_read2_b64 v[89:92], v0 offset0:56 offset1:57
	s_waitcnt lgkmcnt(0)
	v_mul_f64 v[95:96], v[91:92], v[97:98]
	v_fma_f64 v[95:96], v[89:90], v[125:126], -v[95:96]
	v_mul_f64 v[89:90], v[89:90], v[97:98]
	v_add_f64 v[81:82], v[81:82], -v[95:96]
	v_fma_f64 v[89:90], v[91:92], v[125:126], v[89:90]
	v_add_f64 v[83:84], v[83:84], -v[89:90]
	ds_read2_b64 v[89:92], v0 offset0:58 offset1:59
	s_waitcnt lgkmcnt(0)
	v_mul_f64 v[95:96], v[91:92], v[97:98]
	v_fma_f64 v[95:96], v[89:90], v[125:126], -v[95:96]
	v_mul_f64 v[89:90], v[89:90], v[97:98]
	v_add_f64 v[85:86], v[85:86], -v[95:96]
	v_fma_f64 v[89:90], v[91:92], v[125:126], v[89:90]
	v_add_f64 v[87:88], v[87:88], -v[89:90]
	;; [unrolled: 8-line block ×6, first 2 shown]
	ds_read2_b64 v[89:92], v0 offset0:68 offset1:69
	buffer_load_dword v69, off, s[24:27], 0 ; 4-byte Folded Reload
	buffer_load_dword v70, off, s[24:27], 0 offset:4 ; 4-byte Folded Reload
	buffer_load_dword v71, off, s[24:27], 0 offset:8 ; 4-byte Folded Reload
	;; [unrolled: 1-line block ×3, first 2 shown]
	s_waitcnt lgkmcnt(0)
	v_mul_f64 v[95:96], v[91:92], v[97:98]
	v_fma_f64 v[95:96], v[89:90], v[125:126], -v[95:96]
	v_mul_f64 v[89:90], v[89:90], v[97:98]
	v_fma_f64 v[89:90], v[91:92], v[125:126], v[89:90]
	s_waitcnt vmcnt(2)
	v_add_f64 v[69:70], v[69:70], -v[95:96]
	s_waitcnt vmcnt(0)
	v_add_f64 v[71:72], v[71:72], -v[89:90]
	buffer_store_dword v69, off, s[24:27], 0 ; 4-byte Folded Spill
	s_nop 0
	buffer_store_dword v70, off, s[24:27], 0 offset:4 ; 4-byte Folded Spill
	buffer_store_dword v71, off, s[24:27], 0 offset:8 ; 4-byte Folded Spill
	buffer_store_dword v72, off, s[24:27], 0 offset:12 ; 4-byte Folded Spill
	ds_read2_b64 v[89:92], v0 offset0:70 offset1:71
	s_waitcnt lgkmcnt(0)
	v_mul_f64 v[95:96], v[91:92], v[97:98]
	v_fma_f64 v[95:96], v[89:90], v[125:126], -v[95:96]
	v_mul_f64 v[89:90], v[89:90], v[97:98]
	v_add_f64 v[65:66], v[65:66], -v[95:96]
	v_fma_f64 v[89:90], v[91:92], v[125:126], v[89:90]
	v_add_f64 v[67:68], v[67:68], -v[89:90]
	ds_read2_b64 v[89:92], v0 offset0:72 offset1:73
	s_waitcnt lgkmcnt(0)
	v_mul_f64 v[95:96], v[91:92], v[97:98]
	v_fma_f64 v[95:96], v[89:90], v[125:126], -v[95:96]
	v_mul_f64 v[89:90], v[89:90], v[97:98]
	v_add_f64 v[61:62], v[61:62], -v[95:96]
	v_fma_f64 v[89:90], v[91:92], v[125:126], v[89:90]
	v_add_f64 v[63:64], v[63:64], -v[89:90]
	;; [unrolled: 8-line block ×17, first 2 shown]
	ds_read2_b64 v[89:92], v0 offset0:104 offset1:105
	s_waitcnt lgkmcnt(0)
	v_mul_f64 v[95:96], v[91:92], v[97:98]
	v_fma_f64 v[95:96], v[89:90], v[125:126], -v[95:96]
	v_mul_f64 v[89:90], v[89:90], v[97:98]
	v_add_f64 v[121:122], v[121:122], -v[95:96]
	v_fma_f64 v[89:90], v[91:92], v[125:126], v[89:90]
	v_mov_b32_e32 v95, v125
	v_mov_b32_e32 v96, v126
	buffer_store_dword v95, off, s[24:27], 0 offset:192 ; 4-byte Folded Spill
	s_nop 0
	buffer_store_dword v96, off, s[24:27], 0 offset:196 ; 4-byte Folded Spill
	buffer_store_dword v97, off, s[24:27], 0 offset:200 ; 4-byte Folded Spill
	;; [unrolled: 1-line block ×3, first 2 shown]
	v_add_f64 v[123:124], v[123:124], -v[89:90]
.LBB104_356:
	s_or_b64 exec, exec, s[0:1]
	s_waitcnt vmcnt(0)
	s_barrier
	buffer_load_dword v69, off, s[24:27], 0 offset:176 ; 4-byte Folded Reload
	buffer_load_dword v70, off, s[24:27], 0 offset:180 ; 4-byte Folded Reload
	;; [unrolled: 1-line block ×4, first 2 shown]
	v_lshl_add_u32 v89, v93, 4, v0
	s_cmp_lt_i32 s3, 19
	s_waitcnt vmcnt(0)
	ds_write2_b64 v89, v[69:70], v[71:72] offset1:1
	s_waitcnt lgkmcnt(0)
	s_barrier
	ds_read2_b64 v[117:120], v0 offset0:34 offset1:35
	v_mov_b32_e32 v89, 17
	s_cbranch_scc1 .LBB104_359
; %bb.357:
	v_add_u32_e32 v90, 0x120, v0
	s_mov_b32 s0, 18
	v_mov_b32_e32 v89, 17
.LBB104_358:                            ; =>This Inner Loop Header: Depth=1
	s_waitcnt lgkmcnt(0)
	v_cmp_gt_f64_e32 vcc, 0, v[117:118]
	v_xor_b32_e32 v91, 0x80000000, v118
	ds_read2_b64 v[95:98], v90 offset1:1
	v_xor_b32_e32 v99, 0x80000000, v120
	v_add_u32_e32 v90, 16, v90
	s_waitcnt lgkmcnt(0)
	v_xor_b32_e32 v101, 0x80000000, v98
	v_cndmask_b32_e32 v92, v118, v91, vcc
	v_cmp_gt_f64_e32 vcc, 0, v[119:120]
	v_mov_b32_e32 v91, v117
	v_cndmask_b32_e32 v100, v120, v99, vcc
	v_cmp_gt_f64_e32 vcc, 0, v[95:96]
	v_mov_b32_e32 v99, v119
	v_add_f64 v[91:92], v[91:92], v[99:100]
	v_xor_b32_e32 v99, 0x80000000, v96
	v_cndmask_b32_e32 v100, v96, v99, vcc
	v_cmp_gt_f64_e32 vcc, 0, v[97:98]
	v_mov_b32_e32 v99, v95
	v_cndmask_b32_e32 v102, v98, v101, vcc
	v_mov_b32_e32 v101, v97
	v_add_f64 v[99:100], v[99:100], v[101:102]
	v_cmp_lt_f64_e32 vcc, v[91:92], v[99:100]
	v_mov_b32_e32 v91, s0
	s_add_i32 s0, s0, 1
	s_cmp_lg_u32 s3, s0
	v_cndmask_b32_e32 v118, v118, v96, vcc
	v_cndmask_b32_e32 v117, v117, v95, vcc
	;; [unrolled: 1-line block ×5, first 2 shown]
	s_cbranch_scc1 .LBB104_358
.LBB104_359:
	s_waitcnt lgkmcnt(0)
	v_cmp_eq_f64_e32 vcc, 0, v[117:118]
	v_cmp_eq_f64_e64 s[0:1], 0, v[119:120]
	s_and_b64 s[0:1], vcc, s[0:1]
	s_and_saveexec_b64 s[18:19], s[0:1]
	s_xor_b64 s[0:1], exec, s[18:19]
; %bb.360:
	v_cmp_ne_u32_e32 vcc, 0, v94
	v_cndmask_b32_e32 v94, 18, v94, vcc
; %bb.361:
	s_andn2_saveexec_b64 s[0:1], s[0:1]
	s_cbranch_execz .LBB104_367
; %bb.362:
	v_cmp_ngt_f64_e64 s[18:19], |v[117:118]|, |v[119:120]|
	s_and_saveexec_b64 s[20:21], s[18:19]
	s_xor_b64 s[18:19], exec, s[20:21]
	s_cbranch_execz .LBB104_364
; %bb.363:
	v_div_scale_f64 v[90:91], s[20:21], v[119:120], v[119:120], v[117:118]
	v_rcp_f64_e32 v[95:96], v[90:91]
	v_fma_f64 v[97:98], -v[90:91], v[95:96], 1.0
	v_fma_f64 v[95:96], v[95:96], v[97:98], v[95:96]
	v_div_scale_f64 v[97:98], vcc, v[117:118], v[119:120], v[117:118]
	v_fma_f64 v[99:100], -v[90:91], v[95:96], 1.0
	v_fma_f64 v[95:96], v[95:96], v[99:100], v[95:96]
	v_mul_f64 v[99:100], v[97:98], v[95:96]
	v_fma_f64 v[90:91], -v[90:91], v[99:100], v[97:98]
	v_div_fmas_f64 v[90:91], v[90:91], v[95:96], v[99:100]
	v_div_fixup_f64 v[90:91], v[90:91], v[119:120], v[117:118]
	v_fma_f64 v[95:96], v[117:118], v[90:91], v[119:120]
	v_div_scale_f64 v[97:98], s[20:21], v[95:96], v[95:96], 1.0
	v_div_scale_f64 v[103:104], vcc, 1.0, v[95:96], 1.0
	v_rcp_f64_e32 v[99:100], v[97:98]
	v_fma_f64 v[101:102], -v[97:98], v[99:100], 1.0
	v_fma_f64 v[99:100], v[99:100], v[101:102], v[99:100]
	v_fma_f64 v[101:102], -v[97:98], v[99:100], 1.0
	v_fma_f64 v[99:100], v[99:100], v[101:102], v[99:100]
	v_mul_f64 v[101:102], v[103:104], v[99:100]
	v_fma_f64 v[97:98], -v[97:98], v[101:102], v[103:104]
	v_div_fmas_f64 v[97:98], v[97:98], v[99:100], v[101:102]
	v_div_fixup_f64 v[119:120], v[97:98], v[95:96], 1.0
	v_mul_f64 v[117:118], v[90:91], v[119:120]
	v_xor_b32_e32 v120, 0x80000000, v120
.LBB104_364:
	s_andn2_saveexec_b64 s[18:19], s[18:19]
	s_cbranch_execz .LBB104_366
; %bb.365:
	v_div_scale_f64 v[90:91], s[20:21], v[117:118], v[117:118], v[119:120]
	v_rcp_f64_e32 v[95:96], v[90:91]
	v_fma_f64 v[97:98], -v[90:91], v[95:96], 1.0
	v_fma_f64 v[95:96], v[95:96], v[97:98], v[95:96]
	v_div_scale_f64 v[97:98], vcc, v[119:120], v[117:118], v[119:120]
	v_fma_f64 v[99:100], -v[90:91], v[95:96], 1.0
	v_fma_f64 v[95:96], v[95:96], v[99:100], v[95:96]
	v_mul_f64 v[99:100], v[97:98], v[95:96]
	v_fma_f64 v[90:91], -v[90:91], v[99:100], v[97:98]
	v_div_fmas_f64 v[90:91], v[90:91], v[95:96], v[99:100]
	v_div_fixup_f64 v[90:91], v[90:91], v[117:118], v[119:120]
	v_fma_f64 v[95:96], v[119:120], v[90:91], v[117:118]
	v_div_scale_f64 v[97:98], s[20:21], v[95:96], v[95:96], 1.0
	v_div_scale_f64 v[103:104], vcc, 1.0, v[95:96], 1.0
	v_rcp_f64_e32 v[99:100], v[97:98]
	v_fma_f64 v[101:102], -v[97:98], v[99:100], 1.0
	v_fma_f64 v[99:100], v[99:100], v[101:102], v[99:100]
	v_fma_f64 v[101:102], -v[97:98], v[99:100], 1.0
	v_fma_f64 v[99:100], v[99:100], v[101:102], v[99:100]
	v_mul_f64 v[101:102], v[103:104], v[99:100]
	v_fma_f64 v[97:98], -v[97:98], v[101:102], v[103:104]
	v_div_fmas_f64 v[97:98], v[97:98], v[99:100], v[101:102]
	v_div_fixup_f64 v[117:118], v[97:98], v[95:96], 1.0
	v_mul_f64 v[119:120], v[90:91], -v[117:118]
.LBB104_366:
	s_or_b64 exec, exec, s[18:19]
.LBB104_367:
	s_or_b64 exec, exec, s[0:1]
	v_cmp_ne_u32_e32 vcc, v93, v89
	s_and_saveexec_b64 s[0:1], vcc
	s_xor_b64 s[0:1], exec, s[0:1]
	s_cbranch_execz .LBB104_373
; %bb.368:
	v_cmp_eq_u32_e32 vcc, 17, v93
	s_and_saveexec_b64 s[18:19], vcc
	s_cbranch_execz .LBB104_372
; %bb.369:
	v_cmp_ne_u32_e32 vcc, 17, v89
	s_xor_b64 s[20:21], s[6:7], -1
	s_and_b64 s[22:23], s[20:21], vcc
	s_and_saveexec_b64 s[20:21], s[22:23]
	s_cbranch_execz .LBB104_371
; %bb.370:
	v_mov_b32_e32 v69, v81
	v_mov_b32_e32 v70, v82
	;; [unrolled: 1-line block ×4, first 2 shown]
	buffer_load_dword v81, off, s[24:27], 0 offset:420 ; 4-byte Folded Reload
	buffer_load_dword v82, off, s[24:27], 0 offset:424 ; 4-byte Folded Reload
	v_ashrrev_i32_e32 v90, 31, v89
	v_lshlrev_b64 v[90:91], 2, v[89:90]
	s_waitcnt vmcnt(1)
	v_add_co_u32_e32 v90, vcc, v81, v90
	s_waitcnt vmcnt(0)
	v_addc_co_u32_e32 v91, vcc, v82, v91, vcc
	global_load_dword v92, v[90:91], off
	global_load_dword v93, v[81:82], off offset:68
	s_waitcnt vmcnt(1)
	global_store_dword v[81:82], v92, off offset:68
	v_mov_b32_e32 v84, v72
	v_mov_b32_e32 v83, v71
	;; [unrolled: 1-line block ×4, first 2 shown]
	s_waitcnt vmcnt(1)
	global_store_dword v[90:91], v93, off
.LBB104_371:
	s_or_b64 exec, exec, s[20:21]
	v_mov_b32_e32 v93, v89
	v_mov_b32_e32 v69, v89
	buffer_store_dword v69, off, s[24:27], 0 offset:352 ; 4-byte Folded Spill
.LBB104_372:
	s_or_b64 exec, exec, s[18:19]
.LBB104_373:
	s_andn2_saveexec_b64 s[0:1], s[0:1]
	s_cbranch_execz .LBB104_375
; %bb.374:
	buffer_load_dword v69, off, s[24:27], 0 offset:160 ; 4-byte Folded Reload
	buffer_load_dword v70, off, s[24:27], 0 offset:164 ; 4-byte Folded Reload
	;; [unrolled: 1-line block ×4, first 2 shown]
	v_mov_b32_e32 v93, 17
	s_waitcnt vmcnt(0)
	ds_write2_b64 v0, v[69:70], v[71:72] offset0:36 offset1:37
	buffer_load_dword v69, off, s[24:27], 0 offset:144 ; 4-byte Folded Reload
	buffer_load_dword v70, off, s[24:27], 0 offset:148 ; 4-byte Folded Reload
	buffer_load_dword v71, off, s[24:27], 0 offset:152 ; 4-byte Folded Reload
	buffer_load_dword v72, off, s[24:27], 0 offset:156 ; 4-byte Folded Reload
	s_waitcnt vmcnt(0)
	ds_write2_b64 v0, v[69:70], v[71:72] offset0:38 offset1:39
	buffer_load_dword v69, off, s[24:27], 0 offset:128 ; 4-byte Folded Reload
	buffer_load_dword v70, off, s[24:27], 0 offset:132 ; 4-byte Folded Reload
	buffer_load_dword v71, off, s[24:27], 0 offset:136 ; 4-byte Folded Reload
	buffer_load_dword v72, off, s[24:27], 0 offset:140 ; 4-byte Folded Reload
	;; [unrolled: 6-line block ×9, first 2 shown]
	s_waitcnt vmcnt(0)
	ds_write2_b64 v0, v[69:70], v[71:72] offset0:54 offset1:55
	ds_write2_b64 v0, v[81:82], v[83:84] offset0:56 offset1:57
	ds_write2_b64 v0, v[85:86], v[87:88] offset0:58 offset1:59
	ds_write2_b64 v0, v[109:110], v[111:112] offset0:60 offset1:61
	ds_write2_b64 v0, v[113:114], v[115:116] offset0:62 offset1:63
	ds_write2_b64 v0, v[77:78], v[79:80] offset0:64 offset1:65
	ds_write2_b64 v0, v[73:74], v[75:76] offset0:66 offset1:67
	buffer_load_dword v69, off, s[24:27], 0 ; 4-byte Folded Reload
	buffer_load_dword v70, off, s[24:27], 0 offset:4 ; 4-byte Folded Reload
	buffer_load_dword v71, off, s[24:27], 0 offset:8 ; 4-byte Folded Reload
	;; [unrolled: 1-line block ×3, first 2 shown]
	s_waitcnt vmcnt(0)
	ds_write2_b64 v0, v[69:70], v[71:72] offset0:68 offset1:69
	ds_write2_b64 v0, v[65:66], v[67:68] offset0:70 offset1:71
	ds_write2_b64 v0, v[61:62], v[63:64] offset0:72 offset1:73
	ds_write2_b64 v0, v[57:58], v[59:60] offset0:74 offset1:75
	ds_write2_b64 v0, v[53:54], v[55:56] offset0:76 offset1:77
	ds_write2_b64 v0, v[49:50], v[51:52] offset0:78 offset1:79
	ds_write2_b64 v0, v[45:46], v[47:48] offset0:80 offset1:81
	ds_write2_b64 v0, v[41:42], v[43:44] offset0:82 offset1:83
	ds_write2_b64 v0, v[37:38], v[39:40] offset0:84 offset1:85
	ds_write2_b64 v0, v[33:34], v[35:36] offset0:86 offset1:87
	ds_write2_b64 v0, v[29:30], v[31:32] offset0:88 offset1:89
	ds_write2_b64 v0, v[25:26], v[27:28] offset0:90 offset1:91
	ds_write2_b64 v0, v[21:22], v[23:24] offset0:92 offset1:93
	ds_write2_b64 v0, v[17:18], v[19:20] offset0:94 offset1:95
	ds_write2_b64 v0, v[13:14], v[15:16] offset0:96 offset1:97
	ds_write2_b64 v0, v[9:10], v[11:12] offset0:98 offset1:99
	ds_write2_b64 v0, v[5:6], v[7:8] offset0:100 offset1:101
	ds_write2_b64 v0, v[1:2], v[3:4] offset0:102 offset1:103
	ds_write2_b64 v0, v[121:122], v[123:124] offset0:104 offset1:105
.LBB104_375:
	s_or_b64 exec, exec, s[0:1]
	v_cmp_lt_i32_e32 vcc, 17, v93
	s_waitcnt vmcnt(0) lgkmcnt(0)
	s_barrier
	s_and_saveexec_b64 s[0:1], vcc
	s_cbranch_execz .LBB104_377
; %bb.376:
	buffer_load_dword v95, off, s[24:27], 0 offset:176 ; 4-byte Folded Reload
	buffer_load_dword v96, off, s[24:27], 0 offset:180 ; 4-byte Folded Reload
	;; [unrolled: 1-line block ×4, first 2 shown]
	s_waitcnt vmcnt(0)
	v_mul_f64 v[89:90], v[119:120], v[97:98]
	v_fma_f64 v[125:126], v[117:118], v[95:96], -v[89:90]
	v_mul_f64 v[89:90], v[117:118], v[97:98]
	v_fma_f64 v[97:98], v[119:120], v[95:96], v[89:90]
	ds_read2_b64 v[89:92], v0 offset0:36 offset1:37
	buffer_load_dword v69, off, s[24:27], 0 offset:160 ; 4-byte Folded Reload
	buffer_load_dword v70, off, s[24:27], 0 offset:164 ; 4-byte Folded Reload
	buffer_load_dword v71, off, s[24:27], 0 offset:168 ; 4-byte Folded Reload
	buffer_load_dword v72, off, s[24:27], 0 offset:172 ; 4-byte Folded Reload
	s_waitcnt lgkmcnt(0)
	v_mul_f64 v[95:96], v[91:92], v[97:98]
	v_fma_f64 v[95:96], v[89:90], v[125:126], -v[95:96]
	v_mul_f64 v[89:90], v[89:90], v[97:98]
	v_fma_f64 v[89:90], v[91:92], v[125:126], v[89:90]
	s_waitcnt vmcnt(2)
	v_add_f64 v[69:70], v[69:70], -v[95:96]
	s_waitcnt vmcnt(0)
	v_add_f64 v[71:72], v[71:72], -v[89:90]
	buffer_store_dword v69, off, s[24:27], 0 offset:160 ; 4-byte Folded Spill
	s_nop 0
	buffer_store_dword v70, off, s[24:27], 0 offset:164 ; 4-byte Folded Spill
	buffer_store_dword v71, off, s[24:27], 0 offset:168 ; 4-byte Folded Spill
	buffer_store_dword v72, off, s[24:27], 0 offset:172 ; 4-byte Folded Spill
	ds_read2_b64 v[89:92], v0 offset0:38 offset1:39
	buffer_load_dword v69, off, s[24:27], 0 offset:144 ; 4-byte Folded Reload
	buffer_load_dword v70, off, s[24:27], 0 offset:148 ; 4-byte Folded Reload
	buffer_load_dword v71, off, s[24:27], 0 offset:152 ; 4-byte Folded Reload
	buffer_load_dword v72, off, s[24:27], 0 offset:156 ; 4-byte Folded Reload
	s_waitcnt lgkmcnt(0)
	v_mul_f64 v[95:96], v[91:92], v[97:98]
	v_fma_f64 v[95:96], v[89:90], v[125:126], -v[95:96]
	v_mul_f64 v[89:90], v[89:90], v[97:98]
	v_fma_f64 v[89:90], v[91:92], v[125:126], v[89:90]
	s_waitcnt vmcnt(2)
	v_add_f64 v[69:70], v[69:70], -v[95:96]
	s_waitcnt vmcnt(0)
	v_add_f64 v[71:72], v[71:72], -v[89:90]
	buffer_store_dword v69, off, s[24:27], 0 offset:144 ; 4-byte Folded Spill
	s_nop 0
	buffer_store_dword v70, off, s[24:27], 0 offset:148 ; 4-byte Folded Spill
	buffer_store_dword v71, off, s[24:27], 0 offset:152 ; 4-byte Folded Spill
	buffer_store_dword v72, off, s[24:27], 0 offset:156 ; 4-byte Folded Spill
	;; [unrolled: 19-line block ×10, first 2 shown]
	ds_read2_b64 v[89:92], v0 offset0:56 offset1:57
	s_waitcnt lgkmcnt(0)
	v_mul_f64 v[95:96], v[91:92], v[97:98]
	v_fma_f64 v[95:96], v[89:90], v[125:126], -v[95:96]
	v_mul_f64 v[89:90], v[89:90], v[97:98]
	v_add_f64 v[81:82], v[81:82], -v[95:96]
	v_fma_f64 v[89:90], v[91:92], v[125:126], v[89:90]
	v_add_f64 v[83:84], v[83:84], -v[89:90]
	ds_read2_b64 v[89:92], v0 offset0:58 offset1:59
	s_waitcnt lgkmcnt(0)
	v_mul_f64 v[95:96], v[91:92], v[97:98]
	v_fma_f64 v[95:96], v[89:90], v[125:126], -v[95:96]
	v_mul_f64 v[89:90], v[89:90], v[97:98]
	v_add_f64 v[85:86], v[85:86], -v[95:96]
	v_fma_f64 v[89:90], v[91:92], v[125:126], v[89:90]
	v_add_f64 v[87:88], v[87:88], -v[89:90]
	;; [unrolled: 8-line block ×6, first 2 shown]
	ds_read2_b64 v[89:92], v0 offset0:68 offset1:69
	buffer_load_dword v69, off, s[24:27], 0 ; 4-byte Folded Reload
	buffer_load_dword v70, off, s[24:27], 0 offset:4 ; 4-byte Folded Reload
	buffer_load_dword v71, off, s[24:27], 0 offset:8 ; 4-byte Folded Reload
	;; [unrolled: 1-line block ×3, first 2 shown]
	s_waitcnt lgkmcnt(0)
	v_mul_f64 v[95:96], v[91:92], v[97:98]
	v_fma_f64 v[95:96], v[89:90], v[125:126], -v[95:96]
	v_mul_f64 v[89:90], v[89:90], v[97:98]
	v_fma_f64 v[89:90], v[91:92], v[125:126], v[89:90]
	s_waitcnt vmcnt(2)
	v_add_f64 v[69:70], v[69:70], -v[95:96]
	s_waitcnt vmcnt(0)
	v_add_f64 v[71:72], v[71:72], -v[89:90]
	buffer_store_dword v69, off, s[24:27], 0 ; 4-byte Folded Spill
	s_nop 0
	buffer_store_dword v70, off, s[24:27], 0 offset:4 ; 4-byte Folded Spill
	buffer_store_dword v71, off, s[24:27], 0 offset:8 ; 4-byte Folded Spill
	;; [unrolled: 1-line block ×3, first 2 shown]
	ds_read2_b64 v[89:92], v0 offset0:70 offset1:71
	s_waitcnt lgkmcnt(0)
	v_mul_f64 v[95:96], v[91:92], v[97:98]
	v_fma_f64 v[95:96], v[89:90], v[125:126], -v[95:96]
	v_mul_f64 v[89:90], v[89:90], v[97:98]
	v_add_f64 v[65:66], v[65:66], -v[95:96]
	v_fma_f64 v[89:90], v[91:92], v[125:126], v[89:90]
	v_add_f64 v[67:68], v[67:68], -v[89:90]
	ds_read2_b64 v[89:92], v0 offset0:72 offset1:73
	s_waitcnt lgkmcnt(0)
	v_mul_f64 v[95:96], v[91:92], v[97:98]
	v_fma_f64 v[95:96], v[89:90], v[125:126], -v[95:96]
	v_mul_f64 v[89:90], v[89:90], v[97:98]
	v_add_f64 v[61:62], v[61:62], -v[95:96]
	v_fma_f64 v[89:90], v[91:92], v[125:126], v[89:90]
	v_add_f64 v[63:64], v[63:64], -v[89:90]
	;; [unrolled: 8-line block ×17, first 2 shown]
	ds_read2_b64 v[89:92], v0 offset0:104 offset1:105
	s_waitcnt lgkmcnt(0)
	v_mul_f64 v[95:96], v[91:92], v[97:98]
	v_fma_f64 v[95:96], v[89:90], v[125:126], -v[95:96]
	v_mul_f64 v[89:90], v[89:90], v[97:98]
	v_add_f64 v[121:122], v[121:122], -v[95:96]
	v_fma_f64 v[89:90], v[91:92], v[125:126], v[89:90]
	v_mov_b32_e32 v95, v125
	v_mov_b32_e32 v96, v126
	buffer_store_dword v95, off, s[24:27], 0 offset:176 ; 4-byte Folded Spill
	s_nop 0
	buffer_store_dword v96, off, s[24:27], 0 offset:180 ; 4-byte Folded Spill
	buffer_store_dword v97, off, s[24:27], 0 offset:184 ; 4-byte Folded Spill
	;; [unrolled: 1-line block ×3, first 2 shown]
	v_add_f64 v[123:124], v[123:124], -v[89:90]
.LBB104_377:
	s_or_b64 exec, exec, s[0:1]
	s_waitcnt vmcnt(0)
	s_barrier
	buffer_load_dword v69, off, s[24:27], 0 offset:160 ; 4-byte Folded Reload
	buffer_load_dword v70, off, s[24:27], 0 offset:164 ; 4-byte Folded Reload
	;; [unrolled: 1-line block ×4, first 2 shown]
	v_lshl_add_u32 v89, v93, 4, v0
	s_cmp_lt_i32 s3, 20
	s_waitcnt vmcnt(0)
	ds_write2_b64 v89, v[69:70], v[71:72] offset1:1
	s_waitcnt lgkmcnt(0)
	s_barrier
	ds_read2_b64 v[117:120], v0 offset0:36 offset1:37
	v_mov_b32_e32 v89, 18
	s_cbranch_scc1 .LBB104_380
; %bb.378:
	v_add_u32_e32 v90, 0x130, v0
	s_mov_b32 s0, 19
	v_mov_b32_e32 v89, 18
.LBB104_379:                            ; =>This Inner Loop Header: Depth=1
	s_waitcnt lgkmcnt(0)
	v_cmp_gt_f64_e32 vcc, 0, v[117:118]
	v_xor_b32_e32 v91, 0x80000000, v118
	ds_read2_b64 v[95:98], v90 offset1:1
	v_xor_b32_e32 v99, 0x80000000, v120
	v_add_u32_e32 v90, 16, v90
	s_waitcnt lgkmcnt(0)
	v_xor_b32_e32 v101, 0x80000000, v98
	v_cndmask_b32_e32 v92, v118, v91, vcc
	v_cmp_gt_f64_e32 vcc, 0, v[119:120]
	v_mov_b32_e32 v91, v117
	v_cndmask_b32_e32 v100, v120, v99, vcc
	v_cmp_gt_f64_e32 vcc, 0, v[95:96]
	v_mov_b32_e32 v99, v119
	v_add_f64 v[91:92], v[91:92], v[99:100]
	v_xor_b32_e32 v99, 0x80000000, v96
	v_cndmask_b32_e32 v100, v96, v99, vcc
	v_cmp_gt_f64_e32 vcc, 0, v[97:98]
	v_mov_b32_e32 v99, v95
	v_cndmask_b32_e32 v102, v98, v101, vcc
	v_mov_b32_e32 v101, v97
	v_add_f64 v[99:100], v[99:100], v[101:102]
	v_cmp_lt_f64_e32 vcc, v[91:92], v[99:100]
	v_mov_b32_e32 v91, s0
	s_add_i32 s0, s0, 1
	s_cmp_lg_u32 s3, s0
	v_cndmask_b32_e32 v118, v118, v96, vcc
	v_cndmask_b32_e32 v117, v117, v95, vcc
	v_cndmask_b32_e32 v120, v120, v98, vcc
	v_cndmask_b32_e32 v119, v119, v97, vcc
	v_cndmask_b32_e32 v89, v89, v91, vcc
	s_cbranch_scc1 .LBB104_379
.LBB104_380:
	s_waitcnt lgkmcnt(0)
	v_cmp_eq_f64_e32 vcc, 0, v[117:118]
	v_cmp_eq_f64_e64 s[0:1], 0, v[119:120]
	s_and_b64 s[0:1], vcc, s[0:1]
	s_and_saveexec_b64 s[18:19], s[0:1]
	s_xor_b64 s[0:1], exec, s[18:19]
; %bb.381:
	v_cmp_ne_u32_e32 vcc, 0, v94
	v_cndmask_b32_e32 v94, 19, v94, vcc
; %bb.382:
	s_andn2_saveexec_b64 s[0:1], s[0:1]
	s_cbranch_execz .LBB104_388
; %bb.383:
	v_cmp_ngt_f64_e64 s[18:19], |v[117:118]|, |v[119:120]|
	s_and_saveexec_b64 s[20:21], s[18:19]
	s_xor_b64 s[18:19], exec, s[20:21]
	s_cbranch_execz .LBB104_385
; %bb.384:
	v_div_scale_f64 v[90:91], s[20:21], v[119:120], v[119:120], v[117:118]
	v_rcp_f64_e32 v[95:96], v[90:91]
	v_fma_f64 v[97:98], -v[90:91], v[95:96], 1.0
	v_fma_f64 v[95:96], v[95:96], v[97:98], v[95:96]
	v_div_scale_f64 v[97:98], vcc, v[117:118], v[119:120], v[117:118]
	v_fma_f64 v[99:100], -v[90:91], v[95:96], 1.0
	v_fma_f64 v[95:96], v[95:96], v[99:100], v[95:96]
	v_mul_f64 v[99:100], v[97:98], v[95:96]
	v_fma_f64 v[90:91], -v[90:91], v[99:100], v[97:98]
	v_div_fmas_f64 v[90:91], v[90:91], v[95:96], v[99:100]
	v_div_fixup_f64 v[90:91], v[90:91], v[119:120], v[117:118]
	v_fma_f64 v[95:96], v[117:118], v[90:91], v[119:120]
	v_div_scale_f64 v[97:98], s[20:21], v[95:96], v[95:96], 1.0
	v_div_scale_f64 v[103:104], vcc, 1.0, v[95:96], 1.0
	v_rcp_f64_e32 v[99:100], v[97:98]
	v_fma_f64 v[101:102], -v[97:98], v[99:100], 1.0
	v_fma_f64 v[99:100], v[99:100], v[101:102], v[99:100]
	v_fma_f64 v[101:102], -v[97:98], v[99:100], 1.0
	v_fma_f64 v[99:100], v[99:100], v[101:102], v[99:100]
	v_mul_f64 v[101:102], v[103:104], v[99:100]
	v_fma_f64 v[97:98], -v[97:98], v[101:102], v[103:104]
	v_div_fmas_f64 v[97:98], v[97:98], v[99:100], v[101:102]
	v_div_fixup_f64 v[119:120], v[97:98], v[95:96], 1.0
	v_mul_f64 v[117:118], v[90:91], v[119:120]
	v_xor_b32_e32 v120, 0x80000000, v120
.LBB104_385:
	s_andn2_saveexec_b64 s[18:19], s[18:19]
	s_cbranch_execz .LBB104_387
; %bb.386:
	v_div_scale_f64 v[90:91], s[20:21], v[117:118], v[117:118], v[119:120]
	v_rcp_f64_e32 v[95:96], v[90:91]
	v_fma_f64 v[97:98], -v[90:91], v[95:96], 1.0
	v_fma_f64 v[95:96], v[95:96], v[97:98], v[95:96]
	v_div_scale_f64 v[97:98], vcc, v[119:120], v[117:118], v[119:120]
	v_fma_f64 v[99:100], -v[90:91], v[95:96], 1.0
	v_fma_f64 v[95:96], v[95:96], v[99:100], v[95:96]
	v_mul_f64 v[99:100], v[97:98], v[95:96]
	v_fma_f64 v[90:91], -v[90:91], v[99:100], v[97:98]
	v_div_fmas_f64 v[90:91], v[90:91], v[95:96], v[99:100]
	v_div_fixup_f64 v[90:91], v[90:91], v[117:118], v[119:120]
	v_fma_f64 v[95:96], v[119:120], v[90:91], v[117:118]
	v_div_scale_f64 v[97:98], s[20:21], v[95:96], v[95:96], 1.0
	v_div_scale_f64 v[103:104], vcc, 1.0, v[95:96], 1.0
	v_rcp_f64_e32 v[99:100], v[97:98]
	v_fma_f64 v[101:102], -v[97:98], v[99:100], 1.0
	v_fma_f64 v[99:100], v[99:100], v[101:102], v[99:100]
	v_fma_f64 v[101:102], -v[97:98], v[99:100], 1.0
	v_fma_f64 v[99:100], v[99:100], v[101:102], v[99:100]
	v_mul_f64 v[101:102], v[103:104], v[99:100]
	v_fma_f64 v[97:98], -v[97:98], v[101:102], v[103:104]
	v_div_fmas_f64 v[97:98], v[97:98], v[99:100], v[101:102]
	v_div_fixup_f64 v[117:118], v[97:98], v[95:96], 1.0
	v_mul_f64 v[119:120], v[90:91], -v[117:118]
.LBB104_387:
	s_or_b64 exec, exec, s[18:19]
.LBB104_388:
	s_or_b64 exec, exec, s[0:1]
	v_cmp_ne_u32_e32 vcc, v93, v89
	s_and_saveexec_b64 s[0:1], vcc
	s_xor_b64 s[0:1], exec, s[0:1]
	s_cbranch_execz .LBB104_394
; %bb.389:
	v_cmp_eq_u32_e32 vcc, 18, v93
	s_and_saveexec_b64 s[18:19], vcc
	s_cbranch_execz .LBB104_393
; %bb.390:
	v_cmp_ne_u32_e32 vcc, 18, v89
	s_xor_b64 s[20:21], s[6:7], -1
	s_and_b64 s[22:23], s[20:21], vcc
	s_and_saveexec_b64 s[20:21], s[22:23]
	s_cbranch_execz .LBB104_392
; %bb.391:
	v_mov_b32_e32 v69, v81
	v_mov_b32_e32 v70, v82
	;; [unrolled: 1-line block ×4, first 2 shown]
	buffer_load_dword v81, off, s[24:27], 0 offset:420 ; 4-byte Folded Reload
	buffer_load_dword v82, off, s[24:27], 0 offset:424 ; 4-byte Folded Reload
	v_ashrrev_i32_e32 v90, 31, v89
	v_lshlrev_b64 v[90:91], 2, v[89:90]
	s_waitcnt vmcnt(1)
	v_add_co_u32_e32 v90, vcc, v81, v90
	s_waitcnt vmcnt(0)
	v_addc_co_u32_e32 v91, vcc, v82, v91, vcc
	global_load_dword v92, v[90:91], off
	global_load_dword v93, v[81:82], off offset:72
	s_waitcnt vmcnt(1)
	global_store_dword v[81:82], v92, off offset:72
	v_mov_b32_e32 v84, v72
	v_mov_b32_e32 v83, v71
	;; [unrolled: 1-line block ×4, first 2 shown]
	s_waitcnt vmcnt(1)
	global_store_dword v[90:91], v93, off
.LBB104_392:
	s_or_b64 exec, exec, s[20:21]
	v_mov_b32_e32 v93, v89
	v_mov_b32_e32 v69, v89
	buffer_store_dword v69, off, s[24:27], 0 offset:352 ; 4-byte Folded Spill
.LBB104_393:
	s_or_b64 exec, exec, s[18:19]
.LBB104_394:
	s_andn2_saveexec_b64 s[0:1], s[0:1]
	s_cbranch_execz .LBB104_396
; %bb.395:
	buffer_load_dword v69, off, s[24:27], 0 offset:144 ; 4-byte Folded Reload
	buffer_load_dword v70, off, s[24:27], 0 offset:148 ; 4-byte Folded Reload
	;; [unrolled: 1-line block ×4, first 2 shown]
	v_mov_b32_e32 v93, 18
	s_waitcnt vmcnt(0)
	ds_write2_b64 v0, v[69:70], v[71:72] offset0:38 offset1:39
	buffer_load_dword v69, off, s[24:27], 0 offset:128 ; 4-byte Folded Reload
	buffer_load_dword v70, off, s[24:27], 0 offset:132 ; 4-byte Folded Reload
	buffer_load_dword v71, off, s[24:27], 0 offset:136 ; 4-byte Folded Reload
	buffer_load_dword v72, off, s[24:27], 0 offset:140 ; 4-byte Folded Reload
	s_waitcnt vmcnt(0)
	ds_write2_b64 v0, v[69:70], v[71:72] offset0:40 offset1:41
	buffer_load_dword v69, off, s[24:27], 0 offset:112 ; 4-byte Folded Reload
	buffer_load_dword v70, off, s[24:27], 0 offset:116 ; 4-byte Folded Reload
	buffer_load_dword v71, off, s[24:27], 0 offset:120 ; 4-byte Folded Reload
	buffer_load_dword v72, off, s[24:27], 0 offset:124 ; 4-byte Folded Reload
	;; [unrolled: 6-line block ×8, first 2 shown]
	s_waitcnt vmcnt(0)
	ds_write2_b64 v0, v[69:70], v[71:72] offset0:54 offset1:55
	ds_write2_b64 v0, v[81:82], v[83:84] offset0:56 offset1:57
	;; [unrolled: 1-line block ×7, first 2 shown]
	buffer_load_dword v69, off, s[24:27], 0 ; 4-byte Folded Reload
	buffer_load_dword v70, off, s[24:27], 0 offset:4 ; 4-byte Folded Reload
	buffer_load_dword v71, off, s[24:27], 0 offset:8 ; 4-byte Folded Reload
	;; [unrolled: 1-line block ×3, first 2 shown]
	s_waitcnt vmcnt(0)
	ds_write2_b64 v0, v[69:70], v[71:72] offset0:68 offset1:69
	ds_write2_b64 v0, v[65:66], v[67:68] offset0:70 offset1:71
	;; [unrolled: 1-line block ×19, first 2 shown]
.LBB104_396:
	s_or_b64 exec, exec, s[0:1]
	v_cmp_lt_i32_e32 vcc, 18, v93
	s_waitcnt vmcnt(0) lgkmcnt(0)
	s_barrier
	s_and_saveexec_b64 s[0:1], vcc
	s_cbranch_execz .LBB104_398
; %bb.397:
	buffer_load_dword v95, off, s[24:27], 0 offset:160 ; 4-byte Folded Reload
	buffer_load_dword v96, off, s[24:27], 0 offset:164 ; 4-byte Folded Reload
	;; [unrolled: 1-line block ×4, first 2 shown]
	s_waitcnt vmcnt(0)
	v_mul_f64 v[89:90], v[119:120], v[97:98]
	v_fma_f64 v[125:126], v[117:118], v[95:96], -v[89:90]
	v_mul_f64 v[89:90], v[117:118], v[97:98]
	v_fma_f64 v[97:98], v[119:120], v[95:96], v[89:90]
	ds_read2_b64 v[89:92], v0 offset0:38 offset1:39
	buffer_load_dword v69, off, s[24:27], 0 offset:144 ; 4-byte Folded Reload
	buffer_load_dword v70, off, s[24:27], 0 offset:148 ; 4-byte Folded Reload
	buffer_load_dword v71, off, s[24:27], 0 offset:152 ; 4-byte Folded Reload
	buffer_load_dword v72, off, s[24:27], 0 offset:156 ; 4-byte Folded Reload
	s_waitcnt lgkmcnt(0)
	v_mul_f64 v[95:96], v[91:92], v[97:98]
	v_fma_f64 v[95:96], v[89:90], v[125:126], -v[95:96]
	v_mul_f64 v[89:90], v[89:90], v[97:98]
	v_fma_f64 v[89:90], v[91:92], v[125:126], v[89:90]
	s_waitcnt vmcnt(2)
	v_add_f64 v[69:70], v[69:70], -v[95:96]
	s_waitcnt vmcnt(0)
	v_add_f64 v[71:72], v[71:72], -v[89:90]
	buffer_store_dword v69, off, s[24:27], 0 offset:144 ; 4-byte Folded Spill
	s_nop 0
	buffer_store_dword v70, off, s[24:27], 0 offset:148 ; 4-byte Folded Spill
	buffer_store_dword v71, off, s[24:27], 0 offset:152 ; 4-byte Folded Spill
	buffer_store_dword v72, off, s[24:27], 0 offset:156 ; 4-byte Folded Spill
	ds_read2_b64 v[89:92], v0 offset0:40 offset1:41
	buffer_load_dword v69, off, s[24:27], 0 offset:128 ; 4-byte Folded Reload
	buffer_load_dword v70, off, s[24:27], 0 offset:132 ; 4-byte Folded Reload
	buffer_load_dword v71, off, s[24:27], 0 offset:136 ; 4-byte Folded Reload
	buffer_load_dword v72, off, s[24:27], 0 offset:140 ; 4-byte Folded Reload
	s_waitcnt lgkmcnt(0)
	v_mul_f64 v[95:96], v[91:92], v[97:98]
	v_fma_f64 v[95:96], v[89:90], v[125:126], -v[95:96]
	v_mul_f64 v[89:90], v[89:90], v[97:98]
	v_fma_f64 v[89:90], v[91:92], v[125:126], v[89:90]
	s_waitcnt vmcnt(2)
	v_add_f64 v[69:70], v[69:70], -v[95:96]
	s_waitcnt vmcnt(0)
	v_add_f64 v[71:72], v[71:72], -v[89:90]
	buffer_store_dword v69, off, s[24:27], 0 offset:128 ; 4-byte Folded Spill
	s_nop 0
	buffer_store_dword v70, off, s[24:27], 0 offset:132 ; 4-byte Folded Spill
	buffer_store_dword v71, off, s[24:27], 0 offset:136 ; 4-byte Folded Spill
	buffer_store_dword v72, off, s[24:27], 0 offset:140 ; 4-byte Folded Spill
	;; [unrolled: 19-line block ×9, first 2 shown]
	ds_read2_b64 v[89:92], v0 offset0:56 offset1:57
	s_waitcnt lgkmcnt(0)
	v_mul_f64 v[95:96], v[91:92], v[97:98]
	v_fma_f64 v[95:96], v[89:90], v[125:126], -v[95:96]
	v_mul_f64 v[89:90], v[89:90], v[97:98]
	v_add_f64 v[81:82], v[81:82], -v[95:96]
	v_fma_f64 v[89:90], v[91:92], v[125:126], v[89:90]
	v_add_f64 v[83:84], v[83:84], -v[89:90]
	ds_read2_b64 v[89:92], v0 offset0:58 offset1:59
	s_waitcnt lgkmcnt(0)
	v_mul_f64 v[95:96], v[91:92], v[97:98]
	v_fma_f64 v[95:96], v[89:90], v[125:126], -v[95:96]
	v_mul_f64 v[89:90], v[89:90], v[97:98]
	v_add_f64 v[85:86], v[85:86], -v[95:96]
	v_fma_f64 v[89:90], v[91:92], v[125:126], v[89:90]
	v_add_f64 v[87:88], v[87:88], -v[89:90]
	;; [unrolled: 8-line block ×6, first 2 shown]
	ds_read2_b64 v[89:92], v0 offset0:68 offset1:69
	buffer_load_dword v69, off, s[24:27], 0 ; 4-byte Folded Reload
	buffer_load_dword v70, off, s[24:27], 0 offset:4 ; 4-byte Folded Reload
	buffer_load_dword v71, off, s[24:27], 0 offset:8 ; 4-byte Folded Reload
	;; [unrolled: 1-line block ×3, first 2 shown]
	s_waitcnt lgkmcnt(0)
	v_mul_f64 v[95:96], v[91:92], v[97:98]
	v_fma_f64 v[95:96], v[89:90], v[125:126], -v[95:96]
	v_mul_f64 v[89:90], v[89:90], v[97:98]
	v_fma_f64 v[89:90], v[91:92], v[125:126], v[89:90]
	s_waitcnt vmcnt(2)
	v_add_f64 v[69:70], v[69:70], -v[95:96]
	s_waitcnt vmcnt(0)
	v_add_f64 v[71:72], v[71:72], -v[89:90]
	buffer_store_dword v69, off, s[24:27], 0 ; 4-byte Folded Spill
	s_nop 0
	buffer_store_dword v70, off, s[24:27], 0 offset:4 ; 4-byte Folded Spill
	buffer_store_dword v71, off, s[24:27], 0 offset:8 ; 4-byte Folded Spill
	;; [unrolled: 1-line block ×3, first 2 shown]
	ds_read2_b64 v[89:92], v0 offset0:70 offset1:71
	s_waitcnt lgkmcnt(0)
	v_mul_f64 v[95:96], v[91:92], v[97:98]
	v_fma_f64 v[95:96], v[89:90], v[125:126], -v[95:96]
	v_mul_f64 v[89:90], v[89:90], v[97:98]
	v_add_f64 v[65:66], v[65:66], -v[95:96]
	v_fma_f64 v[89:90], v[91:92], v[125:126], v[89:90]
	v_add_f64 v[67:68], v[67:68], -v[89:90]
	ds_read2_b64 v[89:92], v0 offset0:72 offset1:73
	s_waitcnt lgkmcnt(0)
	v_mul_f64 v[95:96], v[91:92], v[97:98]
	v_fma_f64 v[95:96], v[89:90], v[125:126], -v[95:96]
	v_mul_f64 v[89:90], v[89:90], v[97:98]
	v_add_f64 v[61:62], v[61:62], -v[95:96]
	v_fma_f64 v[89:90], v[91:92], v[125:126], v[89:90]
	v_add_f64 v[63:64], v[63:64], -v[89:90]
	ds_read2_b64 v[89:92], v0 offset0:74 offset1:75
	s_waitcnt lgkmcnt(0)
	v_mul_f64 v[95:96], v[91:92], v[97:98]
	v_fma_f64 v[95:96], v[89:90], v[125:126], -v[95:96]
	v_mul_f64 v[89:90], v[89:90], v[97:98]
	v_add_f64 v[57:58], v[57:58], -v[95:96]
	v_fma_f64 v[89:90], v[91:92], v[125:126], v[89:90]
	v_add_f64 v[59:60], v[59:60], -v[89:90]
	ds_read2_b64 v[89:92], v0 offset0:76 offset1:77
	s_waitcnt lgkmcnt(0)
	v_mul_f64 v[95:96], v[91:92], v[97:98]
	v_fma_f64 v[95:96], v[89:90], v[125:126], -v[95:96]
	v_mul_f64 v[89:90], v[89:90], v[97:98]
	v_add_f64 v[53:54], v[53:54], -v[95:96]
	v_fma_f64 v[89:90], v[91:92], v[125:126], v[89:90]
	v_add_f64 v[55:56], v[55:56], -v[89:90]
	ds_read2_b64 v[89:92], v0 offset0:78 offset1:79
	s_waitcnt lgkmcnt(0)
	v_mul_f64 v[95:96], v[91:92], v[97:98]
	v_fma_f64 v[95:96], v[89:90], v[125:126], -v[95:96]
	v_mul_f64 v[89:90], v[89:90], v[97:98]
	v_add_f64 v[49:50], v[49:50], -v[95:96]
	v_fma_f64 v[89:90], v[91:92], v[125:126], v[89:90]
	v_add_f64 v[51:52], v[51:52], -v[89:90]
	ds_read2_b64 v[89:92], v0 offset0:80 offset1:81
	s_waitcnt lgkmcnt(0)
	v_mul_f64 v[95:96], v[91:92], v[97:98]
	v_fma_f64 v[95:96], v[89:90], v[125:126], -v[95:96]
	v_mul_f64 v[89:90], v[89:90], v[97:98]
	v_add_f64 v[45:46], v[45:46], -v[95:96]
	v_fma_f64 v[89:90], v[91:92], v[125:126], v[89:90]
	v_add_f64 v[47:48], v[47:48], -v[89:90]
	ds_read2_b64 v[89:92], v0 offset0:82 offset1:83
	s_waitcnt lgkmcnt(0)
	v_mul_f64 v[95:96], v[91:92], v[97:98]
	v_fma_f64 v[95:96], v[89:90], v[125:126], -v[95:96]
	v_mul_f64 v[89:90], v[89:90], v[97:98]
	v_add_f64 v[41:42], v[41:42], -v[95:96]
	v_fma_f64 v[89:90], v[91:92], v[125:126], v[89:90]
	v_add_f64 v[43:44], v[43:44], -v[89:90]
	ds_read2_b64 v[89:92], v0 offset0:84 offset1:85
	s_waitcnt lgkmcnt(0)
	v_mul_f64 v[95:96], v[91:92], v[97:98]
	v_fma_f64 v[95:96], v[89:90], v[125:126], -v[95:96]
	v_mul_f64 v[89:90], v[89:90], v[97:98]
	v_add_f64 v[37:38], v[37:38], -v[95:96]
	v_fma_f64 v[89:90], v[91:92], v[125:126], v[89:90]
	v_add_f64 v[39:40], v[39:40], -v[89:90]
	ds_read2_b64 v[89:92], v0 offset0:86 offset1:87
	s_waitcnt lgkmcnt(0)
	v_mul_f64 v[95:96], v[91:92], v[97:98]
	v_fma_f64 v[95:96], v[89:90], v[125:126], -v[95:96]
	v_mul_f64 v[89:90], v[89:90], v[97:98]
	v_add_f64 v[33:34], v[33:34], -v[95:96]
	v_fma_f64 v[89:90], v[91:92], v[125:126], v[89:90]
	v_add_f64 v[35:36], v[35:36], -v[89:90]
	ds_read2_b64 v[89:92], v0 offset0:88 offset1:89
	s_waitcnt lgkmcnt(0)
	v_mul_f64 v[95:96], v[91:92], v[97:98]
	v_fma_f64 v[95:96], v[89:90], v[125:126], -v[95:96]
	v_mul_f64 v[89:90], v[89:90], v[97:98]
	v_add_f64 v[29:30], v[29:30], -v[95:96]
	v_fma_f64 v[89:90], v[91:92], v[125:126], v[89:90]
	v_add_f64 v[31:32], v[31:32], -v[89:90]
	ds_read2_b64 v[89:92], v0 offset0:90 offset1:91
	s_waitcnt lgkmcnt(0)
	v_mul_f64 v[95:96], v[91:92], v[97:98]
	v_fma_f64 v[95:96], v[89:90], v[125:126], -v[95:96]
	v_mul_f64 v[89:90], v[89:90], v[97:98]
	v_add_f64 v[25:26], v[25:26], -v[95:96]
	v_fma_f64 v[89:90], v[91:92], v[125:126], v[89:90]
	v_add_f64 v[27:28], v[27:28], -v[89:90]
	ds_read2_b64 v[89:92], v0 offset0:92 offset1:93
	s_waitcnt lgkmcnt(0)
	v_mul_f64 v[95:96], v[91:92], v[97:98]
	v_fma_f64 v[95:96], v[89:90], v[125:126], -v[95:96]
	v_mul_f64 v[89:90], v[89:90], v[97:98]
	v_add_f64 v[21:22], v[21:22], -v[95:96]
	v_fma_f64 v[89:90], v[91:92], v[125:126], v[89:90]
	v_add_f64 v[23:24], v[23:24], -v[89:90]
	ds_read2_b64 v[89:92], v0 offset0:94 offset1:95
	s_waitcnt lgkmcnt(0)
	v_mul_f64 v[95:96], v[91:92], v[97:98]
	v_fma_f64 v[95:96], v[89:90], v[125:126], -v[95:96]
	v_mul_f64 v[89:90], v[89:90], v[97:98]
	v_add_f64 v[17:18], v[17:18], -v[95:96]
	v_fma_f64 v[89:90], v[91:92], v[125:126], v[89:90]
	v_add_f64 v[19:20], v[19:20], -v[89:90]
	ds_read2_b64 v[89:92], v0 offset0:96 offset1:97
	s_waitcnt lgkmcnt(0)
	v_mul_f64 v[95:96], v[91:92], v[97:98]
	v_fma_f64 v[95:96], v[89:90], v[125:126], -v[95:96]
	v_mul_f64 v[89:90], v[89:90], v[97:98]
	v_add_f64 v[13:14], v[13:14], -v[95:96]
	v_fma_f64 v[89:90], v[91:92], v[125:126], v[89:90]
	v_add_f64 v[15:16], v[15:16], -v[89:90]
	ds_read2_b64 v[89:92], v0 offset0:98 offset1:99
	s_waitcnt lgkmcnt(0)
	v_mul_f64 v[95:96], v[91:92], v[97:98]
	v_fma_f64 v[95:96], v[89:90], v[125:126], -v[95:96]
	v_mul_f64 v[89:90], v[89:90], v[97:98]
	v_add_f64 v[9:10], v[9:10], -v[95:96]
	v_fma_f64 v[89:90], v[91:92], v[125:126], v[89:90]
	v_add_f64 v[11:12], v[11:12], -v[89:90]
	ds_read2_b64 v[89:92], v0 offset0:100 offset1:101
	s_waitcnt lgkmcnt(0)
	v_mul_f64 v[95:96], v[91:92], v[97:98]
	v_fma_f64 v[95:96], v[89:90], v[125:126], -v[95:96]
	v_mul_f64 v[89:90], v[89:90], v[97:98]
	v_add_f64 v[5:6], v[5:6], -v[95:96]
	v_fma_f64 v[89:90], v[91:92], v[125:126], v[89:90]
	v_add_f64 v[7:8], v[7:8], -v[89:90]
	ds_read2_b64 v[89:92], v0 offset0:102 offset1:103
	s_waitcnt lgkmcnt(0)
	v_mul_f64 v[95:96], v[91:92], v[97:98]
	v_fma_f64 v[95:96], v[89:90], v[125:126], -v[95:96]
	v_mul_f64 v[89:90], v[89:90], v[97:98]
	v_add_f64 v[1:2], v[1:2], -v[95:96]
	v_fma_f64 v[89:90], v[91:92], v[125:126], v[89:90]
	v_add_f64 v[3:4], v[3:4], -v[89:90]
	ds_read2_b64 v[89:92], v0 offset0:104 offset1:105
	s_waitcnt lgkmcnt(0)
	v_mul_f64 v[95:96], v[91:92], v[97:98]
	v_fma_f64 v[95:96], v[89:90], v[125:126], -v[95:96]
	v_mul_f64 v[89:90], v[89:90], v[97:98]
	v_add_f64 v[121:122], v[121:122], -v[95:96]
	v_fma_f64 v[89:90], v[91:92], v[125:126], v[89:90]
	v_mov_b32_e32 v95, v125
	v_mov_b32_e32 v96, v126
	buffer_store_dword v95, off, s[24:27], 0 offset:160 ; 4-byte Folded Spill
	s_nop 0
	buffer_store_dword v96, off, s[24:27], 0 offset:164 ; 4-byte Folded Spill
	buffer_store_dword v97, off, s[24:27], 0 offset:168 ; 4-byte Folded Spill
	;; [unrolled: 1-line block ×3, first 2 shown]
	v_add_f64 v[123:124], v[123:124], -v[89:90]
.LBB104_398:
	s_or_b64 exec, exec, s[0:1]
	s_waitcnt vmcnt(0)
	s_barrier
	buffer_load_dword v69, off, s[24:27], 0 offset:144 ; 4-byte Folded Reload
	buffer_load_dword v70, off, s[24:27], 0 offset:148 ; 4-byte Folded Reload
	;; [unrolled: 1-line block ×4, first 2 shown]
	v_lshl_add_u32 v89, v93, 4, v0
	s_cmp_lt_i32 s3, 21
	s_waitcnt vmcnt(0)
	ds_write2_b64 v89, v[69:70], v[71:72] offset1:1
	s_waitcnt lgkmcnt(0)
	s_barrier
	ds_read2_b64 v[117:120], v0 offset0:38 offset1:39
	v_mov_b32_e32 v89, 19
	s_cbranch_scc1 .LBB104_401
; %bb.399:
	v_add_u32_e32 v90, 0x140, v0
	s_mov_b32 s0, 20
	v_mov_b32_e32 v89, 19
.LBB104_400:                            ; =>This Inner Loop Header: Depth=1
	s_waitcnt lgkmcnt(0)
	v_cmp_gt_f64_e32 vcc, 0, v[117:118]
	v_xor_b32_e32 v91, 0x80000000, v118
	ds_read2_b64 v[95:98], v90 offset1:1
	v_xor_b32_e32 v99, 0x80000000, v120
	v_add_u32_e32 v90, 16, v90
	s_waitcnt lgkmcnt(0)
	v_xor_b32_e32 v101, 0x80000000, v98
	v_cndmask_b32_e32 v92, v118, v91, vcc
	v_cmp_gt_f64_e32 vcc, 0, v[119:120]
	v_mov_b32_e32 v91, v117
	v_cndmask_b32_e32 v100, v120, v99, vcc
	v_cmp_gt_f64_e32 vcc, 0, v[95:96]
	v_mov_b32_e32 v99, v119
	v_add_f64 v[91:92], v[91:92], v[99:100]
	v_xor_b32_e32 v99, 0x80000000, v96
	v_cndmask_b32_e32 v100, v96, v99, vcc
	v_cmp_gt_f64_e32 vcc, 0, v[97:98]
	v_mov_b32_e32 v99, v95
	v_cndmask_b32_e32 v102, v98, v101, vcc
	v_mov_b32_e32 v101, v97
	v_add_f64 v[99:100], v[99:100], v[101:102]
	v_cmp_lt_f64_e32 vcc, v[91:92], v[99:100]
	v_mov_b32_e32 v91, s0
	s_add_i32 s0, s0, 1
	s_cmp_lg_u32 s3, s0
	v_cndmask_b32_e32 v118, v118, v96, vcc
	v_cndmask_b32_e32 v117, v117, v95, vcc
	;; [unrolled: 1-line block ×5, first 2 shown]
	s_cbranch_scc1 .LBB104_400
.LBB104_401:
	s_waitcnt lgkmcnt(0)
	v_cmp_eq_f64_e32 vcc, 0, v[117:118]
	v_cmp_eq_f64_e64 s[0:1], 0, v[119:120]
	s_and_b64 s[0:1], vcc, s[0:1]
	s_and_saveexec_b64 s[18:19], s[0:1]
	s_xor_b64 s[0:1], exec, s[18:19]
; %bb.402:
	v_cmp_ne_u32_e32 vcc, 0, v94
	v_cndmask_b32_e32 v94, 20, v94, vcc
; %bb.403:
	s_andn2_saveexec_b64 s[0:1], s[0:1]
	s_cbranch_execz .LBB104_409
; %bb.404:
	v_cmp_ngt_f64_e64 s[18:19], |v[117:118]|, |v[119:120]|
	s_and_saveexec_b64 s[20:21], s[18:19]
	s_xor_b64 s[18:19], exec, s[20:21]
	s_cbranch_execz .LBB104_406
; %bb.405:
	v_div_scale_f64 v[90:91], s[20:21], v[119:120], v[119:120], v[117:118]
	v_rcp_f64_e32 v[95:96], v[90:91]
	v_fma_f64 v[97:98], -v[90:91], v[95:96], 1.0
	v_fma_f64 v[95:96], v[95:96], v[97:98], v[95:96]
	v_div_scale_f64 v[97:98], vcc, v[117:118], v[119:120], v[117:118]
	v_fma_f64 v[99:100], -v[90:91], v[95:96], 1.0
	v_fma_f64 v[95:96], v[95:96], v[99:100], v[95:96]
	v_mul_f64 v[99:100], v[97:98], v[95:96]
	v_fma_f64 v[90:91], -v[90:91], v[99:100], v[97:98]
	v_div_fmas_f64 v[90:91], v[90:91], v[95:96], v[99:100]
	v_div_fixup_f64 v[90:91], v[90:91], v[119:120], v[117:118]
	v_fma_f64 v[95:96], v[117:118], v[90:91], v[119:120]
	v_div_scale_f64 v[97:98], s[20:21], v[95:96], v[95:96], 1.0
	v_div_scale_f64 v[103:104], vcc, 1.0, v[95:96], 1.0
	v_rcp_f64_e32 v[99:100], v[97:98]
	v_fma_f64 v[101:102], -v[97:98], v[99:100], 1.0
	v_fma_f64 v[99:100], v[99:100], v[101:102], v[99:100]
	v_fma_f64 v[101:102], -v[97:98], v[99:100], 1.0
	v_fma_f64 v[99:100], v[99:100], v[101:102], v[99:100]
	v_mul_f64 v[101:102], v[103:104], v[99:100]
	v_fma_f64 v[97:98], -v[97:98], v[101:102], v[103:104]
	v_div_fmas_f64 v[97:98], v[97:98], v[99:100], v[101:102]
	v_div_fixup_f64 v[119:120], v[97:98], v[95:96], 1.0
	v_mul_f64 v[117:118], v[90:91], v[119:120]
	v_xor_b32_e32 v120, 0x80000000, v120
.LBB104_406:
	s_andn2_saveexec_b64 s[18:19], s[18:19]
	s_cbranch_execz .LBB104_408
; %bb.407:
	v_div_scale_f64 v[90:91], s[20:21], v[117:118], v[117:118], v[119:120]
	v_rcp_f64_e32 v[95:96], v[90:91]
	v_fma_f64 v[97:98], -v[90:91], v[95:96], 1.0
	v_fma_f64 v[95:96], v[95:96], v[97:98], v[95:96]
	v_div_scale_f64 v[97:98], vcc, v[119:120], v[117:118], v[119:120]
	v_fma_f64 v[99:100], -v[90:91], v[95:96], 1.0
	v_fma_f64 v[95:96], v[95:96], v[99:100], v[95:96]
	v_mul_f64 v[99:100], v[97:98], v[95:96]
	v_fma_f64 v[90:91], -v[90:91], v[99:100], v[97:98]
	v_div_fmas_f64 v[90:91], v[90:91], v[95:96], v[99:100]
	v_div_fixup_f64 v[90:91], v[90:91], v[117:118], v[119:120]
	v_fma_f64 v[95:96], v[119:120], v[90:91], v[117:118]
	v_div_scale_f64 v[97:98], s[20:21], v[95:96], v[95:96], 1.0
	v_div_scale_f64 v[103:104], vcc, 1.0, v[95:96], 1.0
	v_rcp_f64_e32 v[99:100], v[97:98]
	v_fma_f64 v[101:102], -v[97:98], v[99:100], 1.0
	v_fma_f64 v[99:100], v[99:100], v[101:102], v[99:100]
	v_fma_f64 v[101:102], -v[97:98], v[99:100], 1.0
	v_fma_f64 v[99:100], v[99:100], v[101:102], v[99:100]
	v_mul_f64 v[101:102], v[103:104], v[99:100]
	v_fma_f64 v[97:98], -v[97:98], v[101:102], v[103:104]
	v_div_fmas_f64 v[97:98], v[97:98], v[99:100], v[101:102]
	v_div_fixup_f64 v[117:118], v[97:98], v[95:96], 1.0
	v_mul_f64 v[119:120], v[90:91], -v[117:118]
.LBB104_408:
	s_or_b64 exec, exec, s[18:19]
.LBB104_409:
	s_or_b64 exec, exec, s[0:1]
	v_cmp_ne_u32_e32 vcc, v93, v89
	s_and_saveexec_b64 s[0:1], vcc
	s_xor_b64 s[0:1], exec, s[0:1]
	s_cbranch_execz .LBB104_415
; %bb.410:
	v_cmp_eq_u32_e32 vcc, 19, v93
	s_and_saveexec_b64 s[18:19], vcc
	s_cbranch_execz .LBB104_414
; %bb.411:
	v_cmp_ne_u32_e32 vcc, 19, v89
	s_xor_b64 s[20:21], s[6:7], -1
	s_and_b64 s[22:23], s[20:21], vcc
	s_and_saveexec_b64 s[20:21], s[22:23]
	s_cbranch_execz .LBB104_413
; %bb.412:
	v_mov_b32_e32 v69, v81
	v_mov_b32_e32 v70, v82
	v_mov_b32_e32 v71, v83
	v_mov_b32_e32 v72, v84
	buffer_load_dword v81, off, s[24:27], 0 offset:420 ; 4-byte Folded Reload
	buffer_load_dword v82, off, s[24:27], 0 offset:424 ; 4-byte Folded Reload
	v_ashrrev_i32_e32 v90, 31, v89
	v_lshlrev_b64 v[90:91], 2, v[89:90]
	s_waitcnt vmcnt(1)
	v_add_co_u32_e32 v90, vcc, v81, v90
	s_waitcnt vmcnt(0)
	v_addc_co_u32_e32 v91, vcc, v82, v91, vcc
	global_load_dword v92, v[90:91], off
	global_load_dword v93, v[81:82], off offset:76
	s_waitcnt vmcnt(1)
	global_store_dword v[81:82], v92, off offset:76
	v_mov_b32_e32 v84, v72
	v_mov_b32_e32 v83, v71
	;; [unrolled: 1-line block ×4, first 2 shown]
	s_waitcnt vmcnt(1)
	global_store_dword v[90:91], v93, off
.LBB104_413:
	s_or_b64 exec, exec, s[20:21]
	v_mov_b32_e32 v93, v89
	v_mov_b32_e32 v69, v89
	buffer_store_dword v69, off, s[24:27], 0 offset:352 ; 4-byte Folded Spill
.LBB104_414:
	s_or_b64 exec, exec, s[18:19]
.LBB104_415:
	s_andn2_saveexec_b64 s[0:1], s[0:1]
	s_cbranch_execz .LBB104_417
; %bb.416:
	buffer_load_dword v69, off, s[24:27], 0 offset:128 ; 4-byte Folded Reload
	buffer_load_dword v70, off, s[24:27], 0 offset:132 ; 4-byte Folded Reload
	;; [unrolled: 1-line block ×4, first 2 shown]
	v_mov_b32_e32 v93, 19
	s_waitcnt vmcnt(0)
	ds_write2_b64 v0, v[69:70], v[71:72] offset0:40 offset1:41
	buffer_load_dword v69, off, s[24:27], 0 offset:112 ; 4-byte Folded Reload
	buffer_load_dword v70, off, s[24:27], 0 offset:116 ; 4-byte Folded Reload
	buffer_load_dword v71, off, s[24:27], 0 offset:120 ; 4-byte Folded Reload
	buffer_load_dword v72, off, s[24:27], 0 offset:124 ; 4-byte Folded Reload
	s_waitcnt vmcnt(0)
	ds_write2_b64 v0, v[69:70], v[71:72] offset0:42 offset1:43
	buffer_load_dword v69, off, s[24:27], 0 offset:96 ; 4-byte Folded Reload
	buffer_load_dword v70, off, s[24:27], 0 offset:100 ; 4-byte Folded Reload
	buffer_load_dword v71, off, s[24:27], 0 offset:104 ; 4-byte Folded Reload
	buffer_load_dword v72, off, s[24:27], 0 offset:108 ; 4-byte Folded Reload
	;; [unrolled: 6-line block ×7, first 2 shown]
	s_waitcnt vmcnt(0)
	ds_write2_b64 v0, v[69:70], v[71:72] offset0:54 offset1:55
	ds_write2_b64 v0, v[81:82], v[83:84] offset0:56 offset1:57
	;; [unrolled: 1-line block ×7, first 2 shown]
	buffer_load_dword v69, off, s[24:27], 0 ; 4-byte Folded Reload
	buffer_load_dword v70, off, s[24:27], 0 offset:4 ; 4-byte Folded Reload
	buffer_load_dword v71, off, s[24:27], 0 offset:8 ; 4-byte Folded Reload
	;; [unrolled: 1-line block ×3, first 2 shown]
	s_waitcnt vmcnt(0)
	ds_write2_b64 v0, v[69:70], v[71:72] offset0:68 offset1:69
	ds_write2_b64 v0, v[65:66], v[67:68] offset0:70 offset1:71
	ds_write2_b64 v0, v[61:62], v[63:64] offset0:72 offset1:73
	ds_write2_b64 v0, v[57:58], v[59:60] offset0:74 offset1:75
	ds_write2_b64 v0, v[53:54], v[55:56] offset0:76 offset1:77
	ds_write2_b64 v0, v[49:50], v[51:52] offset0:78 offset1:79
	ds_write2_b64 v0, v[45:46], v[47:48] offset0:80 offset1:81
	ds_write2_b64 v0, v[41:42], v[43:44] offset0:82 offset1:83
	ds_write2_b64 v0, v[37:38], v[39:40] offset0:84 offset1:85
	ds_write2_b64 v0, v[33:34], v[35:36] offset0:86 offset1:87
	ds_write2_b64 v0, v[29:30], v[31:32] offset0:88 offset1:89
	ds_write2_b64 v0, v[25:26], v[27:28] offset0:90 offset1:91
	ds_write2_b64 v0, v[21:22], v[23:24] offset0:92 offset1:93
	ds_write2_b64 v0, v[17:18], v[19:20] offset0:94 offset1:95
	ds_write2_b64 v0, v[13:14], v[15:16] offset0:96 offset1:97
	ds_write2_b64 v0, v[9:10], v[11:12] offset0:98 offset1:99
	ds_write2_b64 v0, v[5:6], v[7:8] offset0:100 offset1:101
	ds_write2_b64 v0, v[1:2], v[3:4] offset0:102 offset1:103
	ds_write2_b64 v0, v[121:122], v[123:124] offset0:104 offset1:105
.LBB104_417:
	s_or_b64 exec, exec, s[0:1]
	v_cmp_lt_i32_e32 vcc, 19, v93
	s_waitcnt vmcnt(0) lgkmcnt(0)
	s_barrier
	s_and_saveexec_b64 s[0:1], vcc
	s_cbranch_execz .LBB104_419
; %bb.418:
	buffer_load_dword v95, off, s[24:27], 0 offset:144 ; 4-byte Folded Reload
	buffer_load_dword v96, off, s[24:27], 0 offset:148 ; 4-byte Folded Reload
	buffer_load_dword v97, off, s[24:27], 0 offset:152 ; 4-byte Folded Reload
	buffer_load_dword v98, off, s[24:27], 0 offset:156 ; 4-byte Folded Reload
	s_waitcnt vmcnt(0)
	v_mul_f64 v[89:90], v[119:120], v[97:98]
	v_fma_f64 v[125:126], v[117:118], v[95:96], -v[89:90]
	v_mul_f64 v[89:90], v[117:118], v[97:98]
	v_fma_f64 v[97:98], v[119:120], v[95:96], v[89:90]
	ds_read2_b64 v[89:92], v0 offset0:40 offset1:41
	buffer_load_dword v69, off, s[24:27], 0 offset:128 ; 4-byte Folded Reload
	buffer_load_dword v70, off, s[24:27], 0 offset:132 ; 4-byte Folded Reload
	buffer_load_dword v71, off, s[24:27], 0 offset:136 ; 4-byte Folded Reload
	buffer_load_dword v72, off, s[24:27], 0 offset:140 ; 4-byte Folded Reload
	s_waitcnt lgkmcnt(0)
	v_mul_f64 v[95:96], v[91:92], v[97:98]
	v_fma_f64 v[95:96], v[89:90], v[125:126], -v[95:96]
	v_mul_f64 v[89:90], v[89:90], v[97:98]
	v_fma_f64 v[89:90], v[91:92], v[125:126], v[89:90]
	s_waitcnt vmcnt(2)
	v_add_f64 v[69:70], v[69:70], -v[95:96]
	s_waitcnt vmcnt(0)
	v_add_f64 v[71:72], v[71:72], -v[89:90]
	buffer_store_dword v69, off, s[24:27], 0 offset:128 ; 4-byte Folded Spill
	s_nop 0
	buffer_store_dword v70, off, s[24:27], 0 offset:132 ; 4-byte Folded Spill
	buffer_store_dword v71, off, s[24:27], 0 offset:136 ; 4-byte Folded Spill
	buffer_store_dword v72, off, s[24:27], 0 offset:140 ; 4-byte Folded Spill
	ds_read2_b64 v[89:92], v0 offset0:42 offset1:43
	buffer_load_dword v69, off, s[24:27], 0 offset:112 ; 4-byte Folded Reload
	buffer_load_dword v70, off, s[24:27], 0 offset:116 ; 4-byte Folded Reload
	buffer_load_dword v71, off, s[24:27], 0 offset:120 ; 4-byte Folded Reload
	buffer_load_dword v72, off, s[24:27], 0 offset:124 ; 4-byte Folded Reload
	s_waitcnt lgkmcnt(0)
	v_mul_f64 v[95:96], v[91:92], v[97:98]
	v_fma_f64 v[95:96], v[89:90], v[125:126], -v[95:96]
	v_mul_f64 v[89:90], v[89:90], v[97:98]
	v_fma_f64 v[89:90], v[91:92], v[125:126], v[89:90]
	s_waitcnt vmcnt(2)
	v_add_f64 v[69:70], v[69:70], -v[95:96]
	s_waitcnt vmcnt(0)
	v_add_f64 v[71:72], v[71:72], -v[89:90]
	buffer_store_dword v69, off, s[24:27], 0 offset:112 ; 4-byte Folded Spill
	s_nop 0
	buffer_store_dword v70, off, s[24:27], 0 offset:116 ; 4-byte Folded Spill
	buffer_store_dword v71, off, s[24:27], 0 offset:120 ; 4-byte Folded Spill
	buffer_store_dword v72, off, s[24:27], 0 offset:124 ; 4-byte Folded Spill
	;; [unrolled: 19-line block ×8, first 2 shown]
	ds_read2_b64 v[89:92], v0 offset0:56 offset1:57
	s_waitcnt lgkmcnt(0)
	v_mul_f64 v[95:96], v[91:92], v[97:98]
	v_fma_f64 v[95:96], v[89:90], v[125:126], -v[95:96]
	v_mul_f64 v[89:90], v[89:90], v[97:98]
	v_add_f64 v[81:82], v[81:82], -v[95:96]
	v_fma_f64 v[89:90], v[91:92], v[125:126], v[89:90]
	v_add_f64 v[83:84], v[83:84], -v[89:90]
	ds_read2_b64 v[89:92], v0 offset0:58 offset1:59
	s_waitcnt lgkmcnt(0)
	v_mul_f64 v[95:96], v[91:92], v[97:98]
	v_fma_f64 v[95:96], v[89:90], v[125:126], -v[95:96]
	v_mul_f64 v[89:90], v[89:90], v[97:98]
	v_add_f64 v[85:86], v[85:86], -v[95:96]
	v_fma_f64 v[89:90], v[91:92], v[125:126], v[89:90]
	v_add_f64 v[87:88], v[87:88], -v[89:90]
	;; [unrolled: 8-line block ×6, first 2 shown]
	ds_read2_b64 v[89:92], v0 offset0:68 offset1:69
	buffer_load_dword v69, off, s[24:27], 0 ; 4-byte Folded Reload
	buffer_load_dword v70, off, s[24:27], 0 offset:4 ; 4-byte Folded Reload
	buffer_load_dword v71, off, s[24:27], 0 offset:8 ; 4-byte Folded Reload
	;; [unrolled: 1-line block ×3, first 2 shown]
	s_waitcnt lgkmcnt(0)
	v_mul_f64 v[95:96], v[91:92], v[97:98]
	v_fma_f64 v[95:96], v[89:90], v[125:126], -v[95:96]
	v_mul_f64 v[89:90], v[89:90], v[97:98]
	v_fma_f64 v[89:90], v[91:92], v[125:126], v[89:90]
	s_waitcnt vmcnt(2)
	v_add_f64 v[69:70], v[69:70], -v[95:96]
	s_waitcnt vmcnt(0)
	v_add_f64 v[71:72], v[71:72], -v[89:90]
	buffer_store_dword v69, off, s[24:27], 0 ; 4-byte Folded Spill
	s_nop 0
	buffer_store_dword v70, off, s[24:27], 0 offset:4 ; 4-byte Folded Spill
	buffer_store_dword v71, off, s[24:27], 0 offset:8 ; 4-byte Folded Spill
	;; [unrolled: 1-line block ×3, first 2 shown]
	ds_read2_b64 v[89:92], v0 offset0:70 offset1:71
	s_waitcnt lgkmcnt(0)
	v_mul_f64 v[95:96], v[91:92], v[97:98]
	v_fma_f64 v[95:96], v[89:90], v[125:126], -v[95:96]
	v_mul_f64 v[89:90], v[89:90], v[97:98]
	v_add_f64 v[65:66], v[65:66], -v[95:96]
	v_fma_f64 v[89:90], v[91:92], v[125:126], v[89:90]
	v_add_f64 v[67:68], v[67:68], -v[89:90]
	ds_read2_b64 v[89:92], v0 offset0:72 offset1:73
	s_waitcnt lgkmcnt(0)
	v_mul_f64 v[95:96], v[91:92], v[97:98]
	v_fma_f64 v[95:96], v[89:90], v[125:126], -v[95:96]
	v_mul_f64 v[89:90], v[89:90], v[97:98]
	v_add_f64 v[61:62], v[61:62], -v[95:96]
	v_fma_f64 v[89:90], v[91:92], v[125:126], v[89:90]
	v_add_f64 v[63:64], v[63:64], -v[89:90]
	;; [unrolled: 8-line block ×17, first 2 shown]
	ds_read2_b64 v[89:92], v0 offset0:104 offset1:105
	s_waitcnt lgkmcnt(0)
	v_mul_f64 v[95:96], v[91:92], v[97:98]
	v_fma_f64 v[95:96], v[89:90], v[125:126], -v[95:96]
	v_mul_f64 v[89:90], v[89:90], v[97:98]
	v_add_f64 v[121:122], v[121:122], -v[95:96]
	v_fma_f64 v[89:90], v[91:92], v[125:126], v[89:90]
	v_mov_b32_e32 v95, v125
	v_mov_b32_e32 v96, v126
	buffer_store_dword v95, off, s[24:27], 0 offset:144 ; 4-byte Folded Spill
	s_nop 0
	buffer_store_dword v96, off, s[24:27], 0 offset:148 ; 4-byte Folded Spill
	buffer_store_dword v97, off, s[24:27], 0 offset:152 ; 4-byte Folded Spill
	;; [unrolled: 1-line block ×3, first 2 shown]
	v_add_f64 v[123:124], v[123:124], -v[89:90]
.LBB104_419:
	s_or_b64 exec, exec, s[0:1]
	s_waitcnt vmcnt(0)
	s_barrier
	buffer_load_dword v69, off, s[24:27], 0 offset:128 ; 4-byte Folded Reload
	buffer_load_dword v70, off, s[24:27], 0 offset:132 ; 4-byte Folded Reload
	;; [unrolled: 1-line block ×4, first 2 shown]
	v_lshl_add_u32 v89, v93, 4, v0
	s_cmp_lt_i32 s3, 22
	s_waitcnt vmcnt(0)
	ds_write2_b64 v89, v[69:70], v[71:72] offset1:1
	s_waitcnt lgkmcnt(0)
	s_barrier
	ds_read2_b64 v[117:120], v0 offset0:40 offset1:41
	v_mov_b32_e32 v89, 20
	s_cbranch_scc1 .LBB104_422
; %bb.420:
	v_add_u32_e32 v90, 0x150, v0
	s_mov_b32 s0, 21
	v_mov_b32_e32 v89, 20
.LBB104_421:                            ; =>This Inner Loop Header: Depth=1
	s_waitcnt lgkmcnt(0)
	v_cmp_gt_f64_e32 vcc, 0, v[117:118]
	v_xor_b32_e32 v91, 0x80000000, v118
	ds_read2_b64 v[95:98], v90 offset1:1
	v_xor_b32_e32 v99, 0x80000000, v120
	v_add_u32_e32 v90, 16, v90
	s_waitcnt lgkmcnt(0)
	v_xor_b32_e32 v101, 0x80000000, v98
	v_cndmask_b32_e32 v92, v118, v91, vcc
	v_cmp_gt_f64_e32 vcc, 0, v[119:120]
	v_mov_b32_e32 v91, v117
	v_cndmask_b32_e32 v100, v120, v99, vcc
	v_cmp_gt_f64_e32 vcc, 0, v[95:96]
	v_mov_b32_e32 v99, v119
	v_add_f64 v[91:92], v[91:92], v[99:100]
	v_xor_b32_e32 v99, 0x80000000, v96
	v_cndmask_b32_e32 v100, v96, v99, vcc
	v_cmp_gt_f64_e32 vcc, 0, v[97:98]
	v_mov_b32_e32 v99, v95
	v_cndmask_b32_e32 v102, v98, v101, vcc
	v_mov_b32_e32 v101, v97
	v_add_f64 v[99:100], v[99:100], v[101:102]
	v_cmp_lt_f64_e32 vcc, v[91:92], v[99:100]
	v_mov_b32_e32 v91, s0
	s_add_i32 s0, s0, 1
	s_cmp_lg_u32 s3, s0
	v_cndmask_b32_e32 v118, v118, v96, vcc
	v_cndmask_b32_e32 v117, v117, v95, vcc
	;; [unrolled: 1-line block ×5, first 2 shown]
	s_cbranch_scc1 .LBB104_421
.LBB104_422:
	s_waitcnt lgkmcnt(0)
	v_cmp_eq_f64_e32 vcc, 0, v[117:118]
	v_cmp_eq_f64_e64 s[0:1], 0, v[119:120]
	s_and_b64 s[0:1], vcc, s[0:1]
	s_and_saveexec_b64 s[18:19], s[0:1]
	s_xor_b64 s[0:1], exec, s[18:19]
; %bb.423:
	v_cmp_ne_u32_e32 vcc, 0, v94
	v_cndmask_b32_e32 v94, 21, v94, vcc
; %bb.424:
	s_andn2_saveexec_b64 s[0:1], s[0:1]
	s_cbranch_execz .LBB104_430
; %bb.425:
	v_cmp_ngt_f64_e64 s[18:19], |v[117:118]|, |v[119:120]|
	s_and_saveexec_b64 s[20:21], s[18:19]
	s_xor_b64 s[18:19], exec, s[20:21]
	s_cbranch_execz .LBB104_427
; %bb.426:
	v_div_scale_f64 v[90:91], s[20:21], v[119:120], v[119:120], v[117:118]
	v_rcp_f64_e32 v[95:96], v[90:91]
	v_fma_f64 v[97:98], -v[90:91], v[95:96], 1.0
	v_fma_f64 v[95:96], v[95:96], v[97:98], v[95:96]
	v_div_scale_f64 v[97:98], vcc, v[117:118], v[119:120], v[117:118]
	v_fma_f64 v[99:100], -v[90:91], v[95:96], 1.0
	v_fma_f64 v[95:96], v[95:96], v[99:100], v[95:96]
	v_mul_f64 v[99:100], v[97:98], v[95:96]
	v_fma_f64 v[90:91], -v[90:91], v[99:100], v[97:98]
	v_div_fmas_f64 v[90:91], v[90:91], v[95:96], v[99:100]
	v_div_fixup_f64 v[90:91], v[90:91], v[119:120], v[117:118]
	v_fma_f64 v[95:96], v[117:118], v[90:91], v[119:120]
	v_div_scale_f64 v[97:98], s[20:21], v[95:96], v[95:96], 1.0
	v_div_scale_f64 v[103:104], vcc, 1.0, v[95:96], 1.0
	v_rcp_f64_e32 v[99:100], v[97:98]
	v_fma_f64 v[101:102], -v[97:98], v[99:100], 1.0
	v_fma_f64 v[99:100], v[99:100], v[101:102], v[99:100]
	v_fma_f64 v[101:102], -v[97:98], v[99:100], 1.0
	v_fma_f64 v[99:100], v[99:100], v[101:102], v[99:100]
	v_mul_f64 v[101:102], v[103:104], v[99:100]
	v_fma_f64 v[97:98], -v[97:98], v[101:102], v[103:104]
	v_div_fmas_f64 v[97:98], v[97:98], v[99:100], v[101:102]
	v_div_fixup_f64 v[119:120], v[97:98], v[95:96], 1.0
	v_mul_f64 v[117:118], v[90:91], v[119:120]
	v_xor_b32_e32 v120, 0x80000000, v120
.LBB104_427:
	s_andn2_saveexec_b64 s[18:19], s[18:19]
	s_cbranch_execz .LBB104_429
; %bb.428:
	v_div_scale_f64 v[90:91], s[20:21], v[117:118], v[117:118], v[119:120]
	v_rcp_f64_e32 v[95:96], v[90:91]
	v_fma_f64 v[97:98], -v[90:91], v[95:96], 1.0
	v_fma_f64 v[95:96], v[95:96], v[97:98], v[95:96]
	v_div_scale_f64 v[97:98], vcc, v[119:120], v[117:118], v[119:120]
	v_fma_f64 v[99:100], -v[90:91], v[95:96], 1.0
	v_fma_f64 v[95:96], v[95:96], v[99:100], v[95:96]
	v_mul_f64 v[99:100], v[97:98], v[95:96]
	v_fma_f64 v[90:91], -v[90:91], v[99:100], v[97:98]
	v_div_fmas_f64 v[90:91], v[90:91], v[95:96], v[99:100]
	v_div_fixup_f64 v[90:91], v[90:91], v[117:118], v[119:120]
	v_fma_f64 v[95:96], v[119:120], v[90:91], v[117:118]
	v_div_scale_f64 v[97:98], s[20:21], v[95:96], v[95:96], 1.0
	v_div_scale_f64 v[103:104], vcc, 1.0, v[95:96], 1.0
	v_rcp_f64_e32 v[99:100], v[97:98]
	v_fma_f64 v[101:102], -v[97:98], v[99:100], 1.0
	v_fma_f64 v[99:100], v[99:100], v[101:102], v[99:100]
	v_fma_f64 v[101:102], -v[97:98], v[99:100], 1.0
	v_fma_f64 v[99:100], v[99:100], v[101:102], v[99:100]
	v_mul_f64 v[101:102], v[103:104], v[99:100]
	v_fma_f64 v[97:98], -v[97:98], v[101:102], v[103:104]
	v_div_fmas_f64 v[97:98], v[97:98], v[99:100], v[101:102]
	v_div_fixup_f64 v[117:118], v[97:98], v[95:96], 1.0
	v_mul_f64 v[119:120], v[90:91], -v[117:118]
.LBB104_429:
	s_or_b64 exec, exec, s[18:19]
.LBB104_430:
	s_or_b64 exec, exec, s[0:1]
	v_cmp_ne_u32_e32 vcc, v93, v89
	s_and_saveexec_b64 s[0:1], vcc
	s_xor_b64 s[0:1], exec, s[0:1]
	s_cbranch_execz .LBB104_436
; %bb.431:
	v_cmp_eq_u32_e32 vcc, 20, v93
	s_and_saveexec_b64 s[18:19], vcc
	s_cbranch_execz .LBB104_435
; %bb.432:
	v_cmp_ne_u32_e32 vcc, 20, v89
	s_xor_b64 s[20:21], s[6:7], -1
	s_and_b64 s[22:23], s[20:21], vcc
	s_and_saveexec_b64 s[20:21], s[22:23]
	s_cbranch_execz .LBB104_434
; %bb.433:
	v_mov_b32_e32 v69, v81
	v_mov_b32_e32 v70, v82
	v_mov_b32_e32 v71, v83
	v_mov_b32_e32 v72, v84
	buffer_load_dword v81, off, s[24:27], 0 offset:420 ; 4-byte Folded Reload
	buffer_load_dword v82, off, s[24:27], 0 offset:424 ; 4-byte Folded Reload
	v_ashrrev_i32_e32 v90, 31, v89
	v_lshlrev_b64 v[90:91], 2, v[89:90]
	s_waitcnt vmcnt(1)
	v_add_co_u32_e32 v90, vcc, v81, v90
	s_waitcnt vmcnt(0)
	v_addc_co_u32_e32 v91, vcc, v82, v91, vcc
	global_load_dword v92, v[90:91], off
	global_load_dword v93, v[81:82], off offset:80
	s_waitcnt vmcnt(1)
	global_store_dword v[81:82], v92, off offset:80
	v_mov_b32_e32 v84, v72
	v_mov_b32_e32 v83, v71
	;; [unrolled: 1-line block ×4, first 2 shown]
	s_waitcnt vmcnt(1)
	global_store_dword v[90:91], v93, off
.LBB104_434:
	s_or_b64 exec, exec, s[20:21]
	v_mov_b32_e32 v93, v89
	v_mov_b32_e32 v69, v89
	buffer_store_dword v69, off, s[24:27], 0 offset:352 ; 4-byte Folded Spill
.LBB104_435:
	s_or_b64 exec, exec, s[18:19]
.LBB104_436:
	s_andn2_saveexec_b64 s[0:1], s[0:1]
	s_cbranch_execz .LBB104_438
; %bb.437:
	buffer_load_dword v69, off, s[24:27], 0 offset:112 ; 4-byte Folded Reload
	buffer_load_dword v70, off, s[24:27], 0 offset:116 ; 4-byte Folded Reload
	;; [unrolled: 1-line block ×4, first 2 shown]
	v_mov_b32_e32 v93, 20
	s_waitcnt vmcnt(0)
	ds_write2_b64 v0, v[69:70], v[71:72] offset0:42 offset1:43
	buffer_load_dword v69, off, s[24:27], 0 offset:96 ; 4-byte Folded Reload
	buffer_load_dword v70, off, s[24:27], 0 offset:100 ; 4-byte Folded Reload
	buffer_load_dword v71, off, s[24:27], 0 offset:104 ; 4-byte Folded Reload
	buffer_load_dword v72, off, s[24:27], 0 offset:108 ; 4-byte Folded Reload
	s_waitcnt vmcnt(0)
	ds_write2_b64 v0, v[69:70], v[71:72] offset0:44 offset1:45
	buffer_load_dword v69, off, s[24:27], 0 offset:80 ; 4-byte Folded Reload
	buffer_load_dword v70, off, s[24:27], 0 offset:84 ; 4-byte Folded Reload
	buffer_load_dword v71, off, s[24:27], 0 offset:88 ; 4-byte Folded Reload
	buffer_load_dword v72, off, s[24:27], 0 offset:92 ; 4-byte Folded Reload
	s_waitcnt vmcnt(0)
	ds_write2_b64 v0, v[69:70], v[71:72] offset0:46 offset1:47
	buffer_load_dword v69, off, s[24:27], 0 offset:64 ; 4-byte Folded Reload
	buffer_load_dword v70, off, s[24:27], 0 offset:68 ; 4-byte Folded Reload
	buffer_load_dword v71, off, s[24:27], 0 offset:72 ; 4-byte Folded Reload
	buffer_load_dword v72, off, s[24:27], 0 offset:76 ; 4-byte Folded Reload
	s_waitcnt vmcnt(0)
	ds_write2_b64 v0, v[69:70], v[71:72] offset0:48 offset1:49
	buffer_load_dword v69, off, s[24:27], 0 offset:48 ; 4-byte Folded Reload
	buffer_load_dword v70, off, s[24:27], 0 offset:52 ; 4-byte Folded Reload
	buffer_load_dword v71, off, s[24:27], 0 offset:56 ; 4-byte Folded Reload
	buffer_load_dword v72, off, s[24:27], 0 offset:60 ; 4-byte Folded Reload
	s_waitcnt vmcnt(0)
	ds_write2_b64 v0, v[69:70], v[71:72] offset0:50 offset1:51
	buffer_load_dword v69, off, s[24:27], 0 offset:32 ; 4-byte Folded Reload
	buffer_load_dword v70, off, s[24:27], 0 offset:36 ; 4-byte Folded Reload
	buffer_load_dword v71, off, s[24:27], 0 offset:40 ; 4-byte Folded Reload
	buffer_load_dword v72, off, s[24:27], 0 offset:44 ; 4-byte Folded Reload
	s_waitcnt vmcnt(0)
	ds_write2_b64 v0, v[69:70], v[71:72] offset0:52 offset1:53
	buffer_load_dword v69, off, s[24:27], 0 offset:16 ; 4-byte Folded Reload
	buffer_load_dword v70, off, s[24:27], 0 offset:20 ; 4-byte Folded Reload
	buffer_load_dword v71, off, s[24:27], 0 offset:24 ; 4-byte Folded Reload
	buffer_load_dword v72, off, s[24:27], 0 offset:28 ; 4-byte Folded Reload
	s_waitcnt vmcnt(0)
	ds_write2_b64 v0, v[69:70], v[71:72] offset0:54 offset1:55
	ds_write2_b64 v0, v[81:82], v[83:84] offset0:56 offset1:57
	;; [unrolled: 1-line block ×7, first 2 shown]
	buffer_load_dword v69, off, s[24:27], 0 ; 4-byte Folded Reload
	buffer_load_dword v70, off, s[24:27], 0 offset:4 ; 4-byte Folded Reload
	buffer_load_dword v71, off, s[24:27], 0 offset:8 ; 4-byte Folded Reload
	;; [unrolled: 1-line block ×3, first 2 shown]
	s_waitcnt vmcnt(0)
	ds_write2_b64 v0, v[69:70], v[71:72] offset0:68 offset1:69
	ds_write2_b64 v0, v[65:66], v[67:68] offset0:70 offset1:71
	;; [unrolled: 1-line block ×19, first 2 shown]
.LBB104_438:
	s_or_b64 exec, exec, s[0:1]
	v_cmp_lt_i32_e32 vcc, 20, v93
	s_waitcnt vmcnt(0) lgkmcnt(0)
	s_barrier
	s_and_saveexec_b64 s[0:1], vcc
	s_cbranch_execz .LBB104_440
; %bb.439:
	buffer_load_dword v95, off, s[24:27], 0 offset:128 ; 4-byte Folded Reload
	buffer_load_dword v96, off, s[24:27], 0 offset:132 ; 4-byte Folded Reload
	;; [unrolled: 1-line block ×4, first 2 shown]
	s_waitcnt vmcnt(0)
	v_mul_f64 v[89:90], v[119:120], v[97:98]
	v_fma_f64 v[105:106], v[117:118], v[95:96], -v[89:90]
	v_mul_f64 v[89:90], v[117:118], v[97:98]
	v_fma_f64 v[97:98], v[119:120], v[95:96], v[89:90]
	ds_read2_b64 v[89:92], v0 offset0:42 offset1:43
	buffer_load_dword v69, off, s[24:27], 0 offset:112 ; 4-byte Folded Reload
	buffer_load_dword v70, off, s[24:27], 0 offset:116 ; 4-byte Folded Reload
	buffer_load_dword v71, off, s[24:27], 0 offset:120 ; 4-byte Folded Reload
	buffer_load_dword v72, off, s[24:27], 0 offset:124 ; 4-byte Folded Reload
	s_waitcnt lgkmcnt(0)
	v_mul_f64 v[95:96], v[91:92], v[97:98]
	v_fma_f64 v[95:96], v[89:90], v[105:106], -v[95:96]
	v_mul_f64 v[89:90], v[89:90], v[97:98]
	v_fma_f64 v[89:90], v[91:92], v[105:106], v[89:90]
	s_waitcnt vmcnt(2)
	v_add_f64 v[69:70], v[69:70], -v[95:96]
	s_waitcnt vmcnt(0)
	v_add_f64 v[71:72], v[71:72], -v[89:90]
	buffer_store_dword v69, off, s[24:27], 0 offset:112 ; 4-byte Folded Spill
	s_nop 0
	buffer_store_dword v70, off, s[24:27], 0 offset:116 ; 4-byte Folded Spill
	buffer_store_dword v71, off, s[24:27], 0 offset:120 ; 4-byte Folded Spill
	buffer_store_dword v72, off, s[24:27], 0 offset:124 ; 4-byte Folded Spill
	ds_read2_b64 v[89:92], v0 offset0:44 offset1:45
	buffer_load_dword v69, off, s[24:27], 0 offset:96 ; 4-byte Folded Reload
	buffer_load_dword v70, off, s[24:27], 0 offset:100 ; 4-byte Folded Reload
	buffer_load_dword v71, off, s[24:27], 0 offset:104 ; 4-byte Folded Reload
	buffer_load_dword v72, off, s[24:27], 0 offset:108 ; 4-byte Folded Reload
	s_waitcnt lgkmcnt(0)
	v_mul_f64 v[95:96], v[91:92], v[97:98]
	v_fma_f64 v[95:96], v[89:90], v[105:106], -v[95:96]
	v_mul_f64 v[89:90], v[89:90], v[97:98]
	v_fma_f64 v[89:90], v[91:92], v[105:106], v[89:90]
	s_waitcnt vmcnt(2)
	v_add_f64 v[69:70], v[69:70], -v[95:96]
	s_waitcnt vmcnt(0)
	v_add_f64 v[71:72], v[71:72], -v[89:90]
	buffer_store_dword v69, off, s[24:27], 0 offset:96 ; 4-byte Folded Spill
	s_nop 0
	buffer_store_dword v70, off, s[24:27], 0 offset:100 ; 4-byte Folded Spill
	buffer_store_dword v71, off, s[24:27], 0 offset:104 ; 4-byte Folded Spill
	buffer_store_dword v72, off, s[24:27], 0 offset:108 ; 4-byte Folded Spill
	;; [unrolled: 19-line block ×7, first 2 shown]
	ds_read2_b64 v[89:92], v0 offset0:56 offset1:57
	s_waitcnt lgkmcnt(0)
	v_mul_f64 v[95:96], v[91:92], v[97:98]
	v_fma_f64 v[95:96], v[89:90], v[105:106], -v[95:96]
	v_mul_f64 v[89:90], v[89:90], v[97:98]
	v_add_f64 v[81:82], v[81:82], -v[95:96]
	v_fma_f64 v[89:90], v[91:92], v[105:106], v[89:90]
	v_add_f64 v[83:84], v[83:84], -v[89:90]
	ds_read2_b64 v[89:92], v0 offset0:58 offset1:59
	s_waitcnt lgkmcnt(0)
	v_mul_f64 v[95:96], v[91:92], v[97:98]
	v_fma_f64 v[95:96], v[89:90], v[105:106], -v[95:96]
	v_mul_f64 v[89:90], v[89:90], v[97:98]
	v_add_f64 v[85:86], v[85:86], -v[95:96]
	v_fma_f64 v[89:90], v[91:92], v[105:106], v[89:90]
	v_add_f64 v[87:88], v[87:88], -v[89:90]
	;; [unrolled: 8-line block ×6, first 2 shown]
	ds_read2_b64 v[89:92], v0 offset0:68 offset1:69
	buffer_load_dword v69, off, s[24:27], 0 ; 4-byte Folded Reload
	buffer_load_dword v70, off, s[24:27], 0 offset:4 ; 4-byte Folded Reload
	buffer_load_dword v71, off, s[24:27], 0 offset:8 ; 4-byte Folded Reload
	;; [unrolled: 1-line block ×3, first 2 shown]
	s_waitcnt lgkmcnt(0)
	v_mul_f64 v[95:96], v[91:92], v[97:98]
	v_fma_f64 v[95:96], v[89:90], v[105:106], -v[95:96]
	v_mul_f64 v[89:90], v[89:90], v[97:98]
	v_fma_f64 v[89:90], v[91:92], v[105:106], v[89:90]
	s_waitcnt vmcnt(2)
	v_add_f64 v[69:70], v[69:70], -v[95:96]
	s_waitcnt vmcnt(0)
	v_add_f64 v[71:72], v[71:72], -v[89:90]
	buffer_store_dword v69, off, s[24:27], 0 ; 4-byte Folded Spill
	s_nop 0
	buffer_store_dword v70, off, s[24:27], 0 offset:4 ; 4-byte Folded Spill
	buffer_store_dword v71, off, s[24:27], 0 offset:8 ; 4-byte Folded Spill
	;; [unrolled: 1-line block ×3, first 2 shown]
	ds_read2_b64 v[89:92], v0 offset0:70 offset1:71
	s_waitcnt lgkmcnt(0)
	v_mul_f64 v[95:96], v[91:92], v[97:98]
	v_fma_f64 v[95:96], v[89:90], v[105:106], -v[95:96]
	v_mul_f64 v[89:90], v[89:90], v[97:98]
	v_add_f64 v[65:66], v[65:66], -v[95:96]
	v_fma_f64 v[89:90], v[91:92], v[105:106], v[89:90]
	v_add_f64 v[67:68], v[67:68], -v[89:90]
	ds_read2_b64 v[89:92], v0 offset0:72 offset1:73
	s_waitcnt lgkmcnt(0)
	v_mul_f64 v[95:96], v[91:92], v[97:98]
	v_fma_f64 v[95:96], v[89:90], v[105:106], -v[95:96]
	v_mul_f64 v[89:90], v[89:90], v[97:98]
	v_add_f64 v[61:62], v[61:62], -v[95:96]
	v_fma_f64 v[89:90], v[91:92], v[105:106], v[89:90]
	v_add_f64 v[63:64], v[63:64], -v[89:90]
	ds_read2_b64 v[89:92], v0 offset0:74 offset1:75
	s_waitcnt lgkmcnt(0)
	v_mul_f64 v[95:96], v[91:92], v[97:98]
	v_fma_f64 v[95:96], v[89:90], v[105:106], -v[95:96]
	v_mul_f64 v[89:90], v[89:90], v[97:98]
	v_add_f64 v[57:58], v[57:58], -v[95:96]
	v_fma_f64 v[89:90], v[91:92], v[105:106], v[89:90]
	v_add_f64 v[59:60], v[59:60], -v[89:90]
	ds_read2_b64 v[89:92], v0 offset0:76 offset1:77
	s_waitcnt lgkmcnt(0)
	v_mul_f64 v[95:96], v[91:92], v[97:98]
	v_fma_f64 v[95:96], v[89:90], v[105:106], -v[95:96]
	v_mul_f64 v[89:90], v[89:90], v[97:98]
	v_add_f64 v[53:54], v[53:54], -v[95:96]
	v_fma_f64 v[89:90], v[91:92], v[105:106], v[89:90]
	v_add_f64 v[55:56], v[55:56], -v[89:90]
	ds_read2_b64 v[89:92], v0 offset0:78 offset1:79
	s_waitcnt lgkmcnt(0)
	v_mul_f64 v[95:96], v[91:92], v[97:98]
	v_fma_f64 v[95:96], v[89:90], v[105:106], -v[95:96]
	v_mul_f64 v[89:90], v[89:90], v[97:98]
	v_add_f64 v[49:50], v[49:50], -v[95:96]
	v_fma_f64 v[89:90], v[91:92], v[105:106], v[89:90]
	v_add_f64 v[51:52], v[51:52], -v[89:90]
	ds_read2_b64 v[89:92], v0 offset0:80 offset1:81
	s_waitcnt lgkmcnt(0)
	v_mul_f64 v[95:96], v[91:92], v[97:98]
	v_fma_f64 v[95:96], v[89:90], v[105:106], -v[95:96]
	v_mul_f64 v[89:90], v[89:90], v[97:98]
	v_add_f64 v[45:46], v[45:46], -v[95:96]
	v_fma_f64 v[89:90], v[91:92], v[105:106], v[89:90]
	v_add_f64 v[47:48], v[47:48], -v[89:90]
	ds_read2_b64 v[89:92], v0 offset0:82 offset1:83
	s_waitcnt lgkmcnt(0)
	v_mul_f64 v[95:96], v[91:92], v[97:98]
	v_fma_f64 v[95:96], v[89:90], v[105:106], -v[95:96]
	v_mul_f64 v[89:90], v[89:90], v[97:98]
	v_add_f64 v[41:42], v[41:42], -v[95:96]
	v_fma_f64 v[89:90], v[91:92], v[105:106], v[89:90]
	v_add_f64 v[43:44], v[43:44], -v[89:90]
	ds_read2_b64 v[89:92], v0 offset0:84 offset1:85
	s_waitcnt lgkmcnt(0)
	v_mul_f64 v[95:96], v[91:92], v[97:98]
	v_fma_f64 v[95:96], v[89:90], v[105:106], -v[95:96]
	v_mul_f64 v[89:90], v[89:90], v[97:98]
	v_add_f64 v[37:38], v[37:38], -v[95:96]
	v_fma_f64 v[89:90], v[91:92], v[105:106], v[89:90]
	v_add_f64 v[39:40], v[39:40], -v[89:90]
	ds_read2_b64 v[89:92], v0 offset0:86 offset1:87
	s_waitcnt lgkmcnt(0)
	v_mul_f64 v[95:96], v[91:92], v[97:98]
	v_fma_f64 v[95:96], v[89:90], v[105:106], -v[95:96]
	v_mul_f64 v[89:90], v[89:90], v[97:98]
	v_add_f64 v[33:34], v[33:34], -v[95:96]
	v_fma_f64 v[89:90], v[91:92], v[105:106], v[89:90]
	v_add_f64 v[35:36], v[35:36], -v[89:90]
	ds_read2_b64 v[89:92], v0 offset0:88 offset1:89
	s_waitcnt lgkmcnt(0)
	v_mul_f64 v[95:96], v[91:92], v[97:98]
	v_fma_f64 v[95:96], v[89:90], v[105:106], -v[95:96]
	v_mul_f64 v[89:90], v[89:90], v[97:98]
	v_add_f64 v[29:30], v[29:30], -v[95:96]
	v_fma_f64 v[89:90], v[91:92], v[105:106], v[89:90]
	v_add_f64 v[31:32], v[31:32], -v[89:90]
	ds_read2_b64 v[89:92], v0 offset0:90 offset1:91
	s_waitcnt lgkmcnt(0)
	v_mul_f64 v[95:96], v[91:92], v[97:98]
	v_fma_f64 v[95:96], v[89:90], v[105:106], -v[95:96]
	v_mul_f64 v[89:90], v[89:90], v[97:98]
	v_add_f64 v[25:26], v[25:26], -v[95:96]
	v_fma_f64 v[89:90], v[91:92], v[105:106], v[89:90]
	v_add_f64 v[27:28], v[27:28], -v[89:90]
	ds_read2_b64 v[89:92], v0 offset0:92 offset1:93
	s_waitcnt lgkmcnt(0)
	v_mul_f64 v[95:96], v[91:92], v[97:98]
	v_fma_f64 v[95:96], v[89:90], v[105:106], -v[95:96]
	v_mul_f64 v[89:90], v[89:90], v[97:98]
	v_add_f64 v[21:22], v[21:22], -v[95:96]
	v_fma_f64 v[89:90], v[91:92], v[105:106], v[89:90]
	v_add_f64 v[23:24], v[23:24], -v[89:90]
	ds_read2_b64 v[89:92], v0 offset0:94 offset1:95
	s_waitcnt lgkmcnt(0)
	v_mul_f64 v[95:96], v[91:92], v[97:98]
	v_fma_f64 v[95:96], v[89:90], v[105:106], -v[95:96]
	v_mul_f64 v[89:90], v[89:90], v[97:98]
	v_add_f64 v[17:18], v[17:18], -v[95:96]
	v_fma_f64 v[89:90], v[91:92], v[105:106], v[89:90]
	v_add_f64 v[19:20], v[19:20], -v[89:90]
	ds_read2_b64 v[89:92], v0 offset0:96 offset1:97
	s_waitcnt lgkmcnt(0)
	v_mul_f64 v[95:96], v[91:92], v[97:98]
	v_fma_f64 v[95:96], v[89:90], v[105:106], -v[95:96]
	v_mul_f64 v[89:90], v[89:90], v[97:98]
	v_add_f64 v[13:14], v[13:14], -v[95:96]
	v_fma_f64 v[89:90], v[91:92], v[105:106], v[89:90]
	v_add_f64 v[15:16], v[15:16], -v[89:90]
	ds_read2_b64 v[89:92], v0 offset0:98 offset1:99
	s_waitcnt lgkmcnt(0)
	v_mul_f64 v[95:96], v[91:92], v[97:98]
	v_fma_f64 v[95:96], v[89:90], v[105:106], -v[95:96]
	v_mul_f64 v[89:90], v[89:90], v[97:98]
	v_add_f64 v[9:10], v[9:10], -v[95:96]
	v_fma_f64 v[89:90], v[91:92], v[105:106], v[89:90]
	v_add_f64 v[11:12], v[11:12], -v[89:90]
	ds_read2_b64 v[89:92], v0 offset0:100 offset1:101
	s_waitcnt lgkmcnt(0)
	v_mul_f64 v[95:96], v[91:92], v[97:98]
	v_fma_f64 v[95:96], v[89:90], v[105:106], -v[95:96]
	v_mul_f64 v[89:90], v[89:90], v[97:98]
	v_add_f64 v[5:6], v[5:6], -v[95:96]
	v_fma_f64 v[89:90], v[91:92], v[105:106], v[89:90]
	v_add_f64 v[7:8], v[7:8], -v[89:90]
	ds_read2_b64 v[89:92], v0 offset0:102 offset1:103
	s_waitcnt lgkmcnt(0)
	v_mul_f64 v[95:96], v[91:92], v[97:98]
	v_fma_f64 v[95:96], v[89:90], v[105:106], -v[95:96]
	v_mul_f64 v[89:90], v[89:90], v[97:98]
	v_add_f64 v[1:2], v[1:2], -v[95:96]
	v_fma_f64 v[89:90], v[91:92], v[105:106], v[89:90]
	v_add_f64 v[3:4], v[3:4], -v[89:90]
	ds_read2_b64 v[89:92], v0 offset0:104 offset1:105
	s_waitcnt lgkmcnt(0)
	v_mul_f64 v[95:96], v[91:92], v[97:98]
	v_fma_f64 v[95:96], v[89:90], v[105:106], -v[95:96]
	v_mul_f64 v[89:90], v[89:90], v[97:98]
	v_add_f64 v[121:122], v[121:122], -v[95:96]
	v_fma_f64 v[89:90], v[91:92], v[105:106], v[89:90]
	v_mov_b32_e32 v95, v105
	v_mov_b32_e32 v96, v106
	buffer_store_dword v95, off, s[24:27], 0 offset:128 ; 4-byte Folded Spill
	s_nop 0
	buffer_store_dword v96, off, s[24:27], 0 offset:132 ; 4-byte Folded Spill
	buffer_store_dword v97, off, s[24:27], 0 offset:136 ; 4-byte Folded Spill
	;; [unrolled: 1-line block ×3, first 2 shown]
	v_add_f64 v[123:124], v[123:124], -v[89:90]
.LBB104_440:
	s_or_b64 exec, exec, s[0:1]
	s_waitcnt vmcnt(0)
	s_barrier
	buffer_load_dword v69, off, s[24:27], 0 offset:112 ; 4-byte Folded Reload
	buffer_load_dword v70, off, s[24:27], 0 offset:116 ; 4-byte Folded Reload
	;; [unrolled: 1-line block ×4, first 2 shown]
	v_lshl_add_u32 v89, v93, 4, v0
	s_cmp_lt_i32 s3, 23
	s_waitcnt vmcnt(0)
	ds_write2_b64 v89, v[69:70], v[71:72] offset1:1
	s_waitcnt lgkmcnt(0)
	s_barrier
	ds_read2_b64 v[117:120], v0 offset0:42 offset1:43
	v_mov_b32_e32 v89, 21
	s_cbranch_scc1 .LBB104_443
; %bb.441:
	v_add_u32_e32 v90, 0x160, v0
	s_mov_b32 s0, 22
	v_mov_b32_e32 v89, 21
.LBB104_442:                            ; =>This Inner Loop Header: Depth=1
	s_waitcnt lgkmcnt(0)
	v_cmp_gt_f64_e32 vcc, 0, v[117:118]
	v_xor_b32_e32 v91, 0x80000000, v118
	ds_read2_b64 v[95:98], v90 offset1:1
	v_xor_b32_e32 v99, 0x80000000, v120
	v_add_u32_e32 v90, 16, v90
	s_waitcnt lgkmcnt(0)
	v_xor_b32_e32 v101, 0x80000000, v98
	v_cndmask_b32_e32 v92, v118, v91, vcc
	v_cmp_gt_f64_e32 vcc, 0, v[119:120]
	v_mov_b32_e32 v91, v117
	v_cndmask_b32_e32 v100, v120, v99, vcc
	v_cmp_gt_f64_e32 vcc, 0, v[95:96]
	v_mov_b32_e32 v99, v119
	v_add_f64 v[91:92], v[91:92], v[99:100]
	v_xor_b32_e32 v99, 0x80000000, v96
	v_cndmask_b32_e32 v100, v96, v99, vcc
	v_cmp_gt_f64_e32 vcc, 0, v[97:98]
	v_mov_b32_e32 v99, v95
	v_cndmask_b32_e32 v102, v98, v101, vcc
	v_mov_b32_e32 v101, v97
	v_add_f64 v[99:100], v[99:100], v[101:102]
	v_cmp_lt_f64_e32 vcc, v[91:92], v[99:100]
	v_mov_b32_e32 v91, s0
	s_add_i32 s0, s0, 1
	s_cmp_lg_u32 s3, s0
	v_cndmask_b32_e32 v118, v118, v96, vcc
	v_cndmask_b32_e32 v117, v117, v95, vcc
	;; [unrolled: 1-line block ×5, first 2 shown]
	s_cbranch_scc1 .LBB104_442
.LBB104_443:
	s_waitcnt lgkmcnt(0)
	v_cmp_eq_f64_e32 vcc, 0, v[117:118]
	v_cmp_eq_f64_e64 s[0:1], 0, v[119:120]
	s_and_b64 s[0:1], vcc, s[0:1]
	s_and_saveexec_b64 s[18:19], s[0:1]
	s_xor_b64 s[0:1], exec, s[18:19]
; %bb.444:
	v_cmp_ne_u32_e32 vcc, 0, v94
	v_cndmask_b32_e32 v94, 22, v94, vcc
; %bb.445:
	s_andn2_saveexec_b64 s[0:1], s[0:1]
	s_cbranch_execz .LBB104_451
; %bb.446:
	v_cmp_ngt_f64_e64 s[18:19], |v[117:118]|, |v[119:120]|
	s_and_saveexec_b64 s[20:21], s[18:19]
	s_xor_b64 s[18:19], exec, s[20:21]
	s_cbranch_execz .LBB104_448
; %bb.447:
	v_div_scale_f64 v[90:91], s[20:21], v[119:120], v[119:120], v[117:118]
	v_rcp_f64_e32 v[95:96], v[90:91]
	v_fma_f64 v[97:98], -v[90:91], v[95:96], 1.0
	v_fma_f64 v[95:96], v[95:96], v[97:98], v[95:96]
	v_div_scale_f64 v[97:98], vcc, v[117:118], v[119:120], v[117:118]
	v_fma_f64 v[99:100], -v[90:91], v[95:96], 1.0
	v_fma_f64 v[95:96], v[95:96], v[99:100], v[95:96]
	v_mul_f64 v[99:100], v[97:98], v[95:96]
	v_fma_f64 v[90:91], -v[90:91], v[99:100], v[97:98]
	v_div_fmas_f64 v[90:91], v[90:91], v[95:96], v[99:100]
	v_div_fixup_f64 v[90:91], v[90:91], v[119:120], v[117:118]
	v_fma_f64 v[95:96], v[117:118], v[90:91], v[119:120]
	v_div_scale_f64 v[97:98], s[20:21], v[95:96], v[95:96], 1.0
	v_div_scale_f64 v[103:104], vcc, 1.0, v[95:96], 1.0
	v_rcp_f64_e32 v[99:100], v[97:98]
	v_fma_f64 v[101:102], -v[97:98], v[99:100], 1.0
	v_fma_f64 v[99:100], v[99:100], v[101:102], v[99:100]
	v_fma_f64 v[101:102], -v[97:98], v[99:100], 1.0
	v_fma_f64 v[99:100], v[99:100], v[101:102], v[99:100]
	v_mul_f64 v[101:102], v[103:104], v[99:100]
	v_fma_f64 v[97:98], -v[97:98], v[101:102], v[103:104]
	v_div_fmas_f64 v[97:98], v[97:98], v[99:100], v[101:102]
	v_div_fixup_f64 v[119:120], v[97:98], v[95:96], 1.0
	v_mul_f64 v[117:118], v[90:91], v[119:120]
	v_xor_b32_e32 v120, 0x80000000, v120
.LBB104_448:
	s_andn2_saveexec_b64 s[18:19], s[18:19]
	s_cbranch_execz .LBB104_450
; %bb.449:
	v_div_scale_f64 v[90:91], s[20:21], v[117:118], v[117:118], v[119:120]
	v_rcp_f64_e32 v[95:96], v[90:91]
	v_fma_f64 v[97:98], -v[90:91], v[95:96], 1.0
	v_fma_f64 v[95:96], v[95:96], v[97:98], v[95:96]
	v_div_scale_f64 v[97:98], vcc, v[119:120], v[117:118], v[119:120]
	v_fma_f64 v[99:100], -v[90:91], v[95:96], 1.0
	v_fma_f64 v[95:96], v[95:96], v[99:100], v[95:96]
	v_mul_f64 v[99:100], v[97:98], v[95:96]
	v_fma_f64 v[90:91], -v[90:91], v[99:100], v[97:98]
	v_div_fmas_f64 v[90:91], v[90:91], v[95:96], v[99:100]
	v_div_fixup_f64 v[90:91], v[90:91], v[117:118], v[119:120]
	v_fma_f64 v[95:96], v[119:120], v[90:91], v[117:118]
	v_div_scale_f64 v[97:98], s[20:21], v[95:96], v[95:96], 1.0
	v_div_scale_f64 v[103:104], vcc, 1.0, v[95:96], 1.0
	v_rcp_f64_e32 v[99:100], v[97:98]
	v_fma_f64 v[101:102], -v[97:98], v[99:100], 1.0
	v_fma_f64 v[99:100], v[99:100], v[101:102], v[99:100]
	v_fma_f64 v[101:102], -v[97:98], v[99:100], 1.0
	v_fma_f64 v[99:100], v[99:100], v[101:102], v[99:100]
	v_mul_f64 v[101:102], v[103:104], v[99:100]
	v_fma_f64 v[97:98], -v[97:98], v[101:102], v[103:104]
	v_div_fmas_f64 v[97:98], v[97:98], v[99:100], v[101:102]
	v_div_fixup_f64 v[117:118], v[97:98], v[95:96], 1.0
	v_mul_f64 v[119:120], v[90:91], -v[117:118]
.LBB104_450:
	s_or_b64 exec, exec, s[18:19]
.LBB104_451:
	s_or_b64 exec, exec, s[0:1]
	v_cmp_ne_u32_e32 vcc, v93, v89
	s_and_saveexec_b64 s[0:1], vcc
	s_xor_b64 s[0:1], exec, s[0:1]
	s_cbranch_execz .LBB104_457
; %bb.452:
	v_cmp_eq_u32_e32 vcc, 21, v93
	s_and_saveexec_b64 s[18:19], vcc
	s_cbranch_execz .LBB104_456
; %bb.453:
	v_cmp_ne_u32_e32 vcc, 21, v89
	s_xor_b64 s[20:21], s[6:7], -1
	s_and_b64 s[22:23], s[20:21], vcc
	s_and_saveexec_b64 s[20:21], s[22:23]
	s_cbranch_execz .LBB104_455
; %bb.454:
	v_mov_b32_e32 v69, v81
	v_mov_b32_e32 v70, v82
	;; [unrolled: 1-line block ×4, first 2 shown]
	buffer_load_dword v81, off, s[24:27], 0 offset:420 ; 4-byte Folded Reload
	buffer_load_dword v82, off, s[24:27], 0 offset:424 ; 4-byte Folded Reload
	v_ashrrev_i32_e32 v90, 31, v89
	v_lshlrev_b64 v[90:91], 2, v[89:90]
	s_waitcnt vmcnt(1)
	v_add_co_u32_e32 v90, vcc, v81, v90
	s_waitcnt vmcnt(0)
	v_addc_co_u32_e32 v91, vcc, v82, v91, vcc
	global_load_dword v92, v[90:91], off
	global_load_dword v93, v[81:82], off offset:84
	s_waitcnt vmcnt(1)
	global_store_dword v[81:82], v92, off offset:84
	v_mov_b32_e32 v84, v72
	v_mov_b32_e32 v83, v71
	;; [unrolled: 1-line block ×4, first 2 shown]
	s_waitcnt vmcnt(1)
	global_store_dword v[90:91], v93, off
.LBB104_455:
	s_or_b64 exec, exec, s[20:21]
	v_mov_b32_e32 v93, v89
	v_mov_b32_e32 v69, v89
	buffer_store_dword v69, off, s[24:27], 0 offset:352 ; 4-byte Folded Spill
.LBB104_456:
	s_or_b64 exec, exec, s[18:19]
.LBB104_457:
	s_andn2_saveexec_b64 s[0:1], s[0:1]
	s_cbranch_execz .LBB104_459
; %bb.458:
	buffer_load_dword v69, off, s[24:27], 0 offset:96 ; 4-byte Folded Reload
	buffer_load_dword v70, off, s[24:27], 0 offset:100 ; 4-byte Folded Reload
	buffer_load_dword v71, off, s[24:27], 0 offset:104 ; 4-byte Folded Reload
	buffer_load_dword v72, off, s[24:27], 0 offset:108 ; 4-byte Folded Reload
	v_mov_b32_e32 v93, 21
	s_waitcnt vmcnt(0)
	ds_write2_b64 v0, v[69:70], v[71:72] offset0:44 offset1:45
	buffer_load_dword v69, off, s[24:27], 0 offset:80 ; 4-byte Folded Reload
	buffer_load_dword v70, off, s[24:27], 0 offset:84 ; 4-byte Folded Reload
	buffer_load_dword v71, off, s[24:27], 0 offset:88 ; 4-byte Folded Reload
	buffer_load_dword v72, off, s[24:27], 0 offset:92 ; 4-byte Folded Reload
	s_waitcnt vmcnt(0)
	ds_write2_b64 v0, v[69:70], v[71:72] offset0:46 offset1:47
	buffer_load_dword v69, off, s[24:27], 0 offset:64 ; 4-byte Folded Reload
	buffer_load_dword v70, off, s[24:27], 0 offset:68 ; 4-byte Folded Reload
	buffer_load_dword v71, off, s[24:27], 0 offset:72 ; 4-byte Folded Reload
	buffer_load_dword v72, off, s[24:27], 0 offset:76 ; 4-byte Folded Reload
	;; [unrolled: 6-line block ×5, first 2 shown]
	s_waitcnt vmcnt(0)
	ds_write2_b64 v0, v[69:70], v[71:72] offset0:54 offset1:55
	ds_write2_b64 v0, v[81:82], v[83:84] offset0:56 offset1:57
	;; [unrolled: 1-line block ×7, first 2 shown]
	buffer_load_dword v69, off, s[24:27], 0 ; 4-byte Folded Reload
	buffer_load_dword v70, off, s[24:27], 0 offset:4 ; 4-byte Folded Reload
	buffer_load_dword v71, off, s[24:27], 0 offset:8 ; 4-byte Folded Reload
	;; [unrolled: 1-line block ×3, first 2 shown]
	s_waitcnt vmcnt(0)
	ds_write2_b64 v0, v[69:70], v[71:72] offset0:68 offset1:69
	ds_write2_b64 v0, v[65:66], v[67:68] offset0:70 offset1:71
	;; [unrolled: 1-line block ×19, first 2 shown]
.LBB104_459:
	s_or_b64 exec, exec, s[0:1]
	v_cmp_lt_i32_e32 vcc, 21, v93
	s_waitcnt vmcnt(0) lgkmcnt(0)
	s_barrier
	s_and_saveexec_b64 s[0:1], vcc
	s_cbranch_execz .LBB104_461
; %bb.460:
	buffer_load_dword v97, off, s[24:27], 0 offset:112 ; 4-byte Folded Reload
	buffer_load_dword v98, off, s[24:27], 0 offset:116 ; 4-byte Folded Reload
	;; [unrolled: 1-line block ×4, first 2 shown]
	s_waitcnt vmcnt(0)
	v_mul_f64 v[89:90], v[119:120], v[99:100]
	v_mul_f64 v[91:92], v[117:118], v[99:100]
	v_fma_f64 v[89:90], v[117:118], v[97:98], -v[89:90]
	v_fma_f64 v[99:100], v[119:120], v[97:98], v[91:92]
	ds_read2_b64 v[95:98], v0 offset0:44 offset1:45
	buffer_load_dword v69, off, s[24:27], 0 offset:96 ; 4-byte Folded Reload
	buffer_load_dword v70, off, s[24:27], 0 offset:100 ; 4-byte Folded Reload
	buffer_load_dword v71, off, s[24:27], 0 offset:104 ; 4-byte Folded Reload
	buffer_load_dword v72, off, s[24:27], 0 offset:108 ; 4-byte Folded Reload
	s_waitcnt lgkmcnt(0)
	v_mul_f64 v[91:92], v[97:98], v[99:100]
	v_fma_f64 v[91:92], v[95:96], v[89:90], -v[91:92]
	v_mul_f64 v[95:96], v[95:96], v[99:100]
	v_fma_f64 v[95:96], v[97:98], v[89:90], v[95:96]
	s_waitcnt vmcnt(2)
	v_add_f64 v[69:70], v[69:70], -v[91:92]
	s_waitcnt vmcnt(0)
	v_add_f64 v[71:72], v[71:72], -v[95:96]
	buffer_store_dword v69, off, s[24:27], 0 offset:96 ; 4-byte Folded Spill
	s_nop 0
	buffer_store_dword v70, off, s[24:27], 0 offset:100 ; 4-byte Folded Spill
	buffer_store_dword v71, off, s[24:27], 0 offset:104 ; 4-byte Folded Spill
	buffer_store_dword v72, off, s[24:27], 0 offset:108 ; 4-byte Folded Spill
	ds_read2_b64 v[95:98], v0 offset0:46 offset1:47
	buffer_load_dword v69, off, s[24:27], 0 offset:80 ; 4-byte Folded Reload
	buffer_load_dword v70, off, s[24:27], 0 offset:84 ; 4-byte Folded Reload
	buffer_load_dword v71, off, s[24:27], 0 offset:88 ; 4-byte Folded Reload
	buffer_load_dword v72, off, s[24:27], 0 offset:92 ; 4-byte Folded Reload
	s_waitcnt lgkmcnt(0)
	v_mul_f64 v[91:92], v[97:98], v[99:100]
	v_fma_f64 v[91:92], v[95:96], v[89:90], -v[91:92]
	v_mul_f64 v[95:96], v[95:96], v[99:100]
	v_fma_f64 v[95:96], v[97:98], v[89:90], v[95:96]
	s_waitcnt vmcnt(2)
	v_add_f64 v[69:70], v[69:70], -v[91:92]
	s_waitcnt vmcnt(0)
	v_add_f64 v[71:72], v[71:72], -v[95:96]
	buffer_store_dword v69, off, s[24:27], 0 offset:80 ; 4-byte Folded Spill
	s_nop 0
	buffer_store_dword v70, off, s[24:27], 0 offset:84 ; 4-byte Folded Spill
	buffer_store_dword v71, off, s[24:27], 0 offset:88 ; 4-byte Folded Spill
	buffer_store_dword v72, off, s[24:27], 0 offset:92 ; 4-byte Folded Spill
	;; [unrolled: 19-line block ×6, first 2 shown]
	ds_read2_b64 v[95:98], v0 offset0:56 offset1:57
	s_waitcnt lgkmcnt(0)
	v_mul_f64 v[91:92], v[97:98], v[99:100]
	v_fma_f64 v[91:92], v[95:96], v[89:90], -v[91:92]
	v_mul_f64 v[95:96], v[95:96], v[99:100]
	v_add_f64 v[81:82], v[81:82], -v[91:92]
	v_fma_f64 v[95:96], v[97:98], v[89:90], v[95:96]
	v_add_f64 v[83:84], v[83:84], -v[95:96]
	ds_read2_b64 v[95:98], v0 offset0:58 offset1:59
	s_waitcnt lgkmcnt(0)
	v_mul_f64 v[91:92], v[97:98], v[99:100]
	v_fma_f64 v[91:92], v[95:96], v[89:90], -v[91:92]
	v_mul_f64 v[95:96], v[95:96], v[99:100]
	v_add_f64 v[85:86], v[85:86], -v[91:92]
	v_fma_f64 v[95:96], v[97:98], v[89:90], v[95:96]
	v_add_f64 v[87:88], v[87:88], -v[95:96]
	;; [unrolled: 8-line block ×6, first 2 shown]
	ds_read2_b64 v[95:98], v0 offset0:68 offset1:69
	buffer_load_dword v69, off, s[24:27], 0 ; 4-byte Folded Reload
	buffer_load_dword v70, off, s[24:27], 0 offset:4 ; 4-byte Folded Reload
	buffer_load_dword v71, off, s[24:27], 0 offset:8 ; 4-byte Folded Reload
	buffer_load_dword v72, off, s[24:27], 0 offset:12 ; 4-byte Folded Reload
	s_waitcnt lgkmcnt(0)
	v_mul_f64 v[91:92], v[97:98], v[99:100]
	v_fma_f64 v[91:92], v[95:96], v[89:90], -v[91:92]
	v_mul_f64 v[95:96], v[95:96], v[99:100]
	v_fma_f64 v[95:96], v[97:98], v[89:90], v[95:96]
	s_waitcnt vmcnt(2)
	v_add_f64 v[69:70], v[69:70], -v[91:92]
	s_waitcnt vmcnt(0)
	v_add_f64 v[71:72], v[71:72], -v[95:96]
	buffer_store_dword v69, off, s[24:27], 0 ; 4-byte Folded Spill
	s_nop 0
	buffer_store_dword v70, off, s[24:27], 0 offset:4 ; 4-byte Folded Spill
	buffer_store_dword v71, off, s[24:27], 0 offset:8 ; 4-byte Folded Spill
	;; [unrolled: 1-line block ×3, first 2 shown]
	ds_read2_b64 v[95:98], v0 offset0:70 offset1:71
	s_waitcnt lgkmcnt(0)
	v_mul_f64 v[91:92], v[97:98], v[99:100]
	v_fma_f64 v[91:92], v[95:96], v[89:90], -v[91:92]
	v_mul_f64 v[95:96], v[95:96], v[99:100]
	v_add_f64 v[65:66], v[65:66], -v[91:92]
	v_fma_f64 v[95:96], v[97:98], v[89:90], v[95:96]
	v_add_f64 v[67:68], v[67:68], -v[95:96]
	ds_read2_b64 v[95:98], v0 offset0:72 offset1:73
	s_waitcnt lgkmcnt(0)
	v_mul_f64 v[91:92], v[97:98], v[99:100]
	v_fma_f64 v[91:92], v[95:96], v[89:90], -v[91:92]
	v_mul_f64 v[95:96], v[95:96], v[99:100]
	v_add_f64 v[61:62], v[61:62], -v[91:92]
	v_fma_f64 v[95:96], v[97:98], v[89:90], v[95:96]
	v_add_f64 v[63:64], v[63:64], -v[95:96]
	;; [unrolled: 8-line block ×17, first 2 shown]
	ds_read2_b64 v[95:98], v0 offset0:104 offset1:105
	s_waitcnt lgkmcnt(0)
	v_mul_f64 v[91:92], v[97:98], v[99:100]
	v_fma_f64 v[91:92], v[95:96], v[89:90], -v[91:92]
	v_mul_f64 v[95:96], v[95:96], v[99:100]
	v_add_f64 v[121:122], v[121:122], -v[91:92]
	v_fma_f64 v[95:96], v[97:98], v[89:90], v[95:96]
	v_mov_b32_e32 v98, v90
	v_mov_b32_e32 v97, v89
	buffer_store_dword v97, off, s[24:27], 0 offset:112 ; 4-byte Folded Spill
	s_nop 0
	buffer_store_dword v98, off, s[24:27], 0 offset:116 ; 4-byte Folded Spill
	buffer_store_dword v99, off, s[24:27], 0 offset:120 ; 4-byte Folded Spill
	;; [unrolled: 1-line block ×3, first 2 shown]
	v_add_f64 v[123:124], v[123:124], -v[95:96]
.LBB104_461:
	s_or_b64 exec, exec, s[0:1]
	s_waitcnt vmcnt(0)
	s_barrier
	buffer_load_dword v69, off, s[24:27], 0 offset:96 ; 4-byte Folded Reload
	buffer_load_dword v70, off, s[24:27], 0 offset:100 ; 4-byte Folded Reload
	;; [unrolled: 1-line block ×4, first 2 shown]
	v_lshl_add_u32 v89, v93, 4, v0
	s_cmp_lt_i32 s3, 24
	s_waitcnt vmcnt(0)
	ds_write2_b64 v89, v[69:70], v[71:72] offset1:1
	s_waitcnt lgkmcnt(0)
	s_barrier
	ds_read2_b64 v[117:120], v0 offset0:44 offset1:45
	v_mov_b32_e32 v89, 22
	s_cbranch_scc1 .LBB104_464
; %bb.462:
	v_add_u32_e32 v90, 0x170, v0
	s_mov_b32 s0, 23
	v_mov_b32_e32 v89, 22
.LBB104_463:                            ; =>This Inner Loop Header: Depth=1
	s_waitcnt lgkmcnt(0)
	v_cmp_gt_f64_e32 vcc, 0, v[117:118]
	v_xor_b32_e32 v91, 0x80000000, v118
	ds_read2_b64 v[95:98], v90 offset1:1
	v_xor_b32_e32 v99, 0x80000000, v120
	v_add_u32_e32 v90, 16, v90
	s_waitcnt lgkmcnt(0)
	v_xor_b32_e32 v101, 0x80000000, v98
	v_cndmask_b32_e32 v92, v118, v91, vcc
	v_cmp_gt_f64_e32 vcc, 0, v[119:120]
	v_mov_b32_e32 v91, v117
	v_cndmask_b32_e32 v100, v120, v99, vcc
	v_cmp_gt_f64_e32 vcc, 0, v[95:96]
	v_mov_b32_e32 v99, v119
	v_add_f64 v[91:92], v[91:92], v[99:100]
	v_xor_b32_e32 v99, 0x80000000, v96
	v_cndmask_b32_e32 v100, v96, v99, vcc
	v_cmp_gt_f64_e32 vcc, 0, v[97:98]
	v_mov_b32_e32 v99, v95
	v_cndmask_b32_e32 v102, v98, v101, vcc
	v_mov_b32_e32 v101, v97
	v_add_f64 v[99:100], v[99:100], v[101:102]
	v_cmp_lt_f64_e32 vcc, v[91:92], v[99:100]
	v_mov_b32_e32 v91, s0
	s_add_i32 s0, s0, 1
	s_cmp_lg_u32 s3, s0
	v_cndmask_b32_e32 v118, v118, v96, vcc
	v_cndmask_b32_e32 v117, v117, v95, vcc
	;; [unrolled: 1-line block ×5, first 2 shown]
	s_cbranch_scc1 .LBB104_463
.LBB104_464:
	s_waitcnt lgkmcnt(0)
	v_cmp_eq_f64_e32 vcc, 0, v[117:118]
	v_cmp_eq_f64_e64 s[0:1], 0, v[119:120]
	s_and_b64 s[0:1], vcc, s[0:1]
	s_and_saveexec_b64 s[18:19], s[0:1]
	s_xor_b64 s[0:1], exec, s[18:19]
; %bb.465:
	v_cmp_ne_u32_e32 vcc, 0, v94
	v_cndmask_b32_e32 v94, 23, v94, vcc
; %bb.466:
	s_andn2_saveexec_b64 s[0:1], s[0:1]
	s_cbranch_execz .LBB104_472
; %bb.467:
	v_cmp_ngt_f64_e64 s[18:19], |v[117:118]|, |v[119:120]|
	s_and_saveexec_b64 s[20:21], s[18:19]
	s_xor_b64 s[18:19], exec, s[20:21]
	s_cbranch_execz .LBB104_469
; %bb.468:
	v_div_scale_f64 v[90:91], s[20:21], v[119:120], v[119:120], v[117:118]
	v_rcp_f64_e32 v[95:96], v[90:91]
	v_fma_f64 v[97:98], -v[90:91], v[95:96], 1.0
	v_fma_f64 v[95:96], v[95:96], v[97:98], v[95:96]
	v_div_scale_f64 v[97:98], vcc, v[117:118], v[119:120], v[117:118]
	v_fma_f64 v[99:100], -v[90:91], v[95:96], 1.0
	v_fma_f64 v[95:96], v[95:96], v[99:100], v[95:96]
	v_mul_f64 v[99:100], v[97:98], v[95:96]
	v_fma_f64 v[90:91], -v[90:91], v[99:100], v[97:98]
	v_div_fmas_f64 v[90:91], v[90:91], v[95:96], v[99:100]
	v_div_fixup_f64 v[90:91], v[90:91], v[119:120], v[117:118]
	v_fma_f64 v[95:96], v[117:118], v[90:91], v[119:120]
	v_div_scale_f64 v[97:98], s[20:21], v[95:96], v[95:96], 1.0
	v_div_scale_f64 v[103:104], vcc, 1.0, v[95:96], 1.0
	v_rcp_f64_e32 v[99:100], v[97:98]
	v_fma_f64 v[101:102], -v[97:98], v[99:100], 1.0
	v_fma_f64 v[99:100], v[99:100], v[101:102], v[99:100]
	v_fma_f64 v[101:102], -v[97:98], v[99:100], 1.0
	v_fma_f64 v[99:100], v[99:100], v[101:102], v[99:100]
	v_mul_f64 v[101:102], v[103:104], v[99:100]
	v_fma_f64 v[97:98], -v[97:98], v[101:102], v[103:104]
	v_div_fmas_f64 v[97:98], v[97:98], v[99:100], v[101:102]
	v_div_fixup_f64 v[119:120], v[97:98], v[95:96], 1.0
	v_mul_f64 v[117:118], v[90:91], v[119:120]
	v_xor_b32_e32 v120, 0x80000000, v120
.LBB104_469:
	s_andn2_saveexec_b64 s[18:19], s[18:19]
	s_cbranch_execz .LBB104_471
; %bb.470:
	v_div_scale_f64 v[90:91], s[20:21], v[117:118], v[117:118], v[119:120]
	v_rcp_f64_e32 v[95:96], v[90:91]
	v_fma_f64 v[97:98], -v[90:91], v[95:96], 1.0
	v_fma_f64 v[95:96], v[95:96], v[97:98], v[95:96]
	v_div_scale_f64 v[97:98], vcc, v[119:120], v[117:118], v[119:120]
	v_fma_f64 v[99:100], -v[90:91], v[95:96], 1.0
	v_fma_f64 v[95:96], v[95:96], v[99:100], v[95:96]
	v_mul_f64 v[99:100], v[97:98], v[95:96]
	v_fma_f64 v[90:91], -v[90:91], v[99:100], v[97:98]
	v_div_fmas_f64 v[90:91], v[90:91], v[95:96], v[99:100]
	v_div_fixup_f64 v[90:91], v[90:91], v[117:118], v[119:120]
	v_fma_f64 v[95:96], v[119:120], v[90:91], v[117:118]
	v_div_scale_f64 v[97:98], s[20:21], v[95:96], v[95:96], 1.0
	v_div_scale_f64 v[103:104], vcc, 1.0, v[95:96], 1.0
	v_rcp_f64_e32 v[99:100], v[97:98]
	v_fma_f64 v[101:102], -v[97:98], v[99:100], 1.0
	v_fma_f64 v[99:100], v[99:100], v[101:102], v[99:100]
	v_fma_f64 v[101:102], -v[97:98], v[99:100], 1.0
	v_fma_f64 v[99:100], v[99:100], v[101:102], v[99:100]
	v_mul_f64 v[101:102], v[103:104], v[99:100]
	v_fma_f64 v[97:98], -v[97:98], v[101:102], v[103:104]
	v_div_fmas_f64 v[97:98], v[97:98], v[99:100], v[101:102]
	v_div_fixup_f64 v[117:118], v[97:98], v[95:96], 1.0
	v_mul_f64 v[119:120], v[90:91], -v[117:118]
.LBB104_471:
	s_or_b64 exec, exec, s[18:19]
.LBB104_472:
	s_or_b64 exec, exec, s[0:1]
	v_cmp_ne_u32_e32 vcc, v93, v89
	s_and_saveexec_b64 s[0:1], vcc
	s_xor_b64 s[0:1], exec, s[0:1]
	s_cbranch_execz .LBB104_478
; %bb.473:
	v_cmp_eq_u32_e32 vcc, 22, v93
	s_and_saveexec_b64 s[18:19], vcc
	s_cbranch_execz .LBB104_477
; %bb.474:
	v_cmp_ne_u32_e32 vcc, 22, v89
	s_xor_b64 s[20:21], s[6:7], -1
	s_and_b64 s[22:23], s[20:21], vcc
	s_and_saveexec_b64 s[20:21], s[22:23]
	s_cbranch_execz .LBB104_476
; %bb.475:
	v_mov_b32_e32 v69, v81
	v_mov_b32_e32 v70, v82
	v_mov_b32_e32 v71, v83
	v_mov_b32_e32 v72, v84
	buffer_load_dword v81, off, s[24:27], 0 offset:420 ; 4-byte Folded Reload
	buffer_load_dword v82, off, s[24:27], 0 offset:424 ; 4-byte Folded Reload
	v_ashrrev_i32_e32 v90, 31, v89
	v_lshlrev_b64 v[90:91], 2, v[89:90]
	s_waitcnt vmcnt(1)
	v_add_co_u32_e32 v90, vcc, v81, v90
	s_waitcnt vmcnt(0)
	v_addc_co_u32_e32 v91, vcc, v82, v91, vcc
	global_load_dword v92, v[90:91], off
	global_load_dword v93, v[81:82], off offset:88
	s_waitcnt vmcnt(1)
	global_store_dword v[81:82], v92, off offset:88
	v_mov_b32_e32 v84, v72
	v_mov_b32_e32 v83, v71
	;; [unrolled: 1-line block ×4, first 2 shown]
	s_waitcnt vmcnt(1)
	global_store_dword v[90:91], v93, off
.LBB104_476:
	s_or_b64 exec, exec, s[20:21]
	v_mov_b32_e32 v93, v89
	v_mov_b32_e32 v69, v89
	buffer_store_dword v69, off, s[24:27], 0 offset:352 ; 4-byte Folded Spill
.LBB104_477:
	s_or_b64 exec, exec, s[18:19]
.LBB104_478:
	s_andn2_saveexec_b64 s[0:1], s[0:1]
	s_cbranch_execz .LBB104_480
; %bb.479:
	buffer_load_dword v69, off, s[24:27], 0 offset:80 ; 4-byte Folded Reload
	buffer_load_dword v70, off, s[24:27], 0 offset:84 ; 4-byte Folded Reload
	;; [unrolled: 1-line block ×4, first 2 shown]
	v_mov_b32_e32 v93, 22
	s_waitcnt vmcnt(0)
	ds_write2_b64 v0, v[69:70], v[71:72] offset0:46 offset1:47
	buffer_load_dword v69, off, s[24:27], 0 offset:64 ; 4-byte Folded Reload
	buffer_load_dword v70, off, s[24:27], 0 offset:68 ; 4-byte Folded Reload
	buffer_load_dword v71, off, s[24:27], 0 offset:72 ; 4-byte Folded Reload
	buffer_load_dword v72, off, s[24:27], 0 offset:76 ; 4-byte Folded Reload
	s_waitcnt vmcnt(0)
	ds_write2_b64 v0, v[69:70], v[71:72] offset0:48 offset1:49
	buffer_load_dword v69, off, s[24:27], 0 offset:48 ; 4-byte Folded Reload
	buffer_load_dword v70, off, s[24:27], 0 offset:52 ; 4-byte Folded Reload
	buffer_load_dword v71, off, s[24:27], 0 offset:56 ; 4-byte Folded Reload
	buffer_load_dword v72, off, s[24:27], 0 offset:60 ; 4-byte Folded Reload
	;; [unrolled: 6-line block ×4, first 2 shown]
	s_waitcnt vmcnt(0)
	ds_write2_b64 v0, v[69:70], v[71:72] offset0:54 offset1:55
	ds_write2_b64 v0, v[81:82], v[83:84] offset0:56 offset1:57
	;; [unrolled: 1-line block ×7, first 2 shown]
	buffer_load_dword v69, off, s[24:27], 0 ; 4-byte Folded Reload
	buffer_load_dword v70, off, s[24:27], 0 offset:4 ; 4-byte Folded Reload
	buffer_load_dword v71, off, s[24:27], 0 offset:8 ; 4-byte Folded Reload
	;; [unrolled: 1-line block ×3, first 2 shown]
	s_waitcnt vmcnt(0)
	ds_write2_b64 v0, v[69:70], v[71:72] offset0:68 offset1:69
	ds_write2_b64 v0, v[65:66], v[67:68] offset0:70 offset1:71
	;; [unrolled: 1-line block ×19, first 2 shown]
.LBB104_480:
	s_or_b64 exec, exec, s[0:1]
	v_cmp_lt_i32_e32 vcc, 22, v93
	s_waitcnt vmcnt(0) lgkmcnt(0)
	s_barrier
	s_and_saveexec_b64 s[0:1], vcc
	s_cbranch_execz .LBB104_482
; %bb.481:
	buffer_load_dword v97, off, s[24:27], 0 offset:96 ; 4-byte Folded Reload
	buffer_load_dword v98, off, s[24:27], 0 offset:100 ; 4-byte Folded Reload
	;; [unrolled: 1-line block ×4, first 2 shown]
	s_waitcnt vmcnt(0)
	v_mul_f64 v[89:90], v[119:120], v[99:100]
	v_mul_f64 v[91:92], v[117:118], v[99:100]
	v_fma_f64 v[89:90], v[117:118], v[97:98], -v[89:90]
	v_fma_f64 v[99:100], v[119:120], v[97:98], v[91:92]
	ds_read2_b64 v[95:98], v0 offset0:46 offset1:47
	buffer_load_dword v69, off, s[24:27], 0 offset:80 ; 4-byte Folded Reload
	buffer_load_dword v70, off, s[24:27], 0 offset:84 ; 4-byte Folded Reload
	buffer_load_dword v71, off, s[24:27], 0 offset:88 ; 4-byte Folded Reload
	buffer_load_dword v72, off, s[24:27], 0 offset:92 ; 4-byte Folded Reload
	s_waitcnt lgkmcnt(0)
	v_mul_f64 v[91:92], v[97:98], v[99:100]
	v_fma_f64 v[91:92], v[95:96], v[89:90], -v[91:92]
	v_mul_f64 v[95:96], v[95:96], v[99:100]
	v_fma_f64 v[95:96], v[97:98], v[89:90], v[95:96]
	s_waitcnt vmcnt(2)
	v_add_f64 v[69:70], v[69:70], -v[91:92]
	s_waitcnt vmcnt(0)
	v_add_f64 v[71:72], v[71:72], -v[95:96]
	buffer_store_dword v69, off, s[24:27], 0 offset:80 ; 4-byte Folded Spill
	s_nop 0
	buffer_store_dword v70, off, s[24:27], 0 offset:84 ; 4-byte Folded Spill
	buffer_store_dword v71, off, s[24:27], 0 offset:88 ; 4-byte Folded Spill
	buffer_store_dword v72, off, s[24:27], 0 offset:92 ; 4-byte Folded Spill
	ds_read2_b64 v[95:98], v0 offset0:48 offset1:49
	buffer_load_dword v69, off, s[24:27], 0 offset:64 ; 4-byte Folded Reload
	buffer_load_dword v70, off, s[24:27], 0 offset:68 ; 4-byte Folded Reload
	buffer_load_dword v71, off, s[24:27], 0 offset:72 ; 4-byte Folded Reload
	buffer_load_dword v72, off, s[24:27], 0 offset:76 ; 4-byte Folded Reload
	s_waitcnt lgkmcnt(0)
	v_mul_f64 v[91:92], v[97:98], v[99:100]
	v_fma_f64 v[91:92], v[95:96], v[89:90], -v[91:92]
	v_mul_f64 v[95:96], v[95:96], v[99:100]
	v_fma_f64 v[95:96], v[97:98], v[89:90], v[95:96]
	s_waitcnt vmcnt(2)
	v_add_f64 v[69:70], v[69:70], -v[91:92]
	s_waitcnt vmcnt(0)
	v_add_f64 v[71:72], v[71:72], -v[95:96]
	buffer_store_dword v69, off, s[24:27], 0 offset:64 ; 4-byte Folded Spill
	s_nop 0
	buffer_store_dword v70, off, s[24:27], 0 offset:68 ; 4-byte Folded Spill
	buffer_store_dword v71, off, s[24:27], 0 offset:72 ; 4-byte Folded Spill
	buffer_store_dword v72, off, s[24:27], 0 offset:76 ; 4-byte Folded Spill
	;; [unrolled: 19-line block ×5, first 2 shown]
	ds_read2_b64 v[95:98], v0 offset0:56 offset1:57
	s_waitcnt lgkmcnt(0)
	v_mul_f64 v[91:92], v[97:98], v[99:100]
	v_fma_f64 v[91:92], v[95:96], v[89:90], -v[91:92]
	v_mul_f64 v[95:96], v[95:96], v[99:100]
	v_add_f64 v[81:82], v[81:82], -v[91:92]
	v_fma_f64 v[95:96], v[97:98], v[89:90], v[95:96]
	v_add_f64 v[83:84], v[83:84], -v[95:96]
	ds_read2_b64 v[95:98], v0 offset0:58 offset1:59
	s_waitcnt lgkmcnt(0)
	v_mul_f64 v[91:92], v[97:98], v[99:100]
	v_fma_f64 v[91:92], v[95:96], v[89:90], -v[91:92]
	v_mul_f64 v[95:96], v[95:96], v[99:100]
	v_add_f64 v[85:86], v[85:86], -v[91:92]
	v_fma_f64 v[95:96], v[97:98], v[89:90], v[95:96]
	v_add_f64 v[87:88], v[87:88], -v[95:96]
	;; [unrolled: 8-line block ×6, first 2 shown]
	ds_read2_b64 v[95:98], v0 offset0:68 offset1:69
	buffer_load_dword v69, off, s[24:27], 0 ; 4-byte Folded Reload
	buffer_load_dword v70, off, s[24:27], 0 offset:4 ; 4-byte Folded Reload
	buffer_load_dword v71, off, s[24:27], 0 offset:8 ; 4-byte Folded Reload
	;; [unrolled: 1-line block ×3, first 2 shown]
	s_waitcnt lgkmcnt(0)
	v_mul_f64 v[91:92], v[97:98], v[99:100]
	v_fma_f64 v[91:92], v[95:96], v[89:90], -v[91:92]
	v_mul_f64 v[95:96], v[95:96], v[99:100]
	v_fma_f64 v[95:96], v[97:98], v[89:90], v[95:96]
	s_waitcnt vmcnt(2)
	v_add_f64 v[69:70], v[69:70], -v[91:92]
	s_waitcnt vmcnt(0)
	v_add_f64 v[71:72], v[71:72], -v[95:96]
	buffer_store_dword v69, off, s[24:27], 0 ; 4-byte Folded Spill
	s_nop 0
	buffer_store_dword v70, off, s[24:27], 0 offset:4 ; 4-byte Folded Spill
	buffer_store_dword v71, off, s[24:27], 0 offset:8 ; 4-byte Folded Spill
	;; [unrolled: 1-line block ×3, first 2 shown]
	ds_read2_b64 v[95:98], v0 offset0:70 offset1:71
	s_waitcnt lgkmcnt(0)
	v_mul_f64 v[91:92], v[97:98], v[99:100]
	v_fma_f64 v[91:92], v[95:96], v[89:90], -v[91:92]
	v_mul_f64 v[95:96], v[95:96], v[99:100]
	v_add_f64 v[65:66], v[65:66], -v[91:92]
	v_fma_f64 v[95:96], v[97:98], v[89:90], v[95:96]
	v_add_f64 v[67:68], v[67:68], -v[95:96]
	ds_read2_b64 v[95:98], v0 offset0:72 offset1:73
	s_waitcnt lgkmcnt(0)
	v_mul_f64 v[91:92], v[97:98], v[99:100]
	v_fma_f64 v[91:92], v[95:96], v[89:90], -v[91:92]
	v_mul_f64 v[95:96], v[95:96], v[99:100]
	v_add_f64 v[61:62], v[61:62], -v[91:92]
	v_fma_f64 v[95:96], v[97:98], v[89:90], v[95:96]
	v_add_f64 v[63:64], v[63:64], -v[95:96]
	;; [unrolled: 8-line block ×17, first 2 shown]
	ds_read2_b64 v[95:98], v0 offset0:104 offset1:105
	s_waitcnt lgkmcnt(0)
	v_mul_f64 v[91:92], v[97:98], v[99:100]
	v_fma_f64 v[91:92], v[95:96], v[89:90], -v[91:92]
	v_mul_f64 v[95:96], v[95:96], v[99:100]
	v_add_f64 v[121:122], v[121:122], -v[91:92]
	v_fma_f64 v[95:96], v[97:98], v[89:90], v[95:96]
	v_mov_b32_e32 v98, v90
	v_mov_b32_e32 v97, v89
	buffer_store_dword v97, off, s[24:27], 0 offset:96 ; 4-byte Folded Spill
	s_nop 0
	buffer_store_dword v98, off, s[24:27], 0 offset:100 ; 4-byte Folded Spill
	buffer_store_dword v99, off, s[24:27], 0 offset:104 ; 4-byte Folded Spill
	;; [unrolled: 1-line block ×3, first 2 shown]
	v_add_f64 v[123:124], v[123:124], -v[95:96]
.LBB104_482:
	s_or_b64 exec, exec, s[0:1]
	s_waitcnt vmcnt(0)
	s_barrier
	buffer_load_dword v69, off, s[24:27], 0 offset:80 ; 4-byte Folded Reload
	buffer_load_dword v70, off, s[24:27], 0 offset:84 ; 4-byte Folded Reload
	;; [unrolled: 1-line block ×4, first 2 shown]
	v_lshl_add_u32 v89, v93, 4, v0
	s_cmp_lt_i32 s3, 25
	s_waitcnt vmcnt(0)
	ds_write2_b64 v89, v[69:70], v[71:72] offset1:1
	s_waitcnt lgkmcnt(0)
	s_barrier
	ds_read2_b64 v[117:120], v0 offset0:46 offset1:47
	v_mov_b32_e32 v89, 23
	s_cbranch_scc1 .LBB104_485
; %bb.483:
	v_add_u32_e32 v90, 0x180, v0
	s_mov_b32 s0, 24
	v_mov_b32_e32 v89, 23
.LBB104_484:                            ; =>This Inner Loop Header: Depth=1
	s_waitcnt lgkmcnt(0)
	v_cmp_gt_f64_e32 vcc, 0, v[117:118]
	v_xor_b32_e32 v91, 0x80000000, v118
	ds_read2_b64 v[95:98], v90 offset1:1
	v_xor_b32_e32 v99, 0x80000000, v120
	v_add_u32_e32 v90, 16, v90
	s_waitcnt lgkmcnt(0)
	v_xor_b32_e32 v101, 0x80000000, v98
	v_cndmask_b32_e32 v92, v118, v91, vcc
	v_cmp_gt_f64_e32 vcc, 0, v[119:120]
	v_mov_b32_e32 v91, v117
	v_cndmask_b32_e32 v100, v120, v99, vcc
	v_cmp_gt_f64_e32 vcc, 0, v[95:96]
	v_mov_b32_e32 v99, v119
	v_add_f64 v[91:92], v[91:92], v[99:100]
	v_xor_b32_e32 v99, 0x80000000, v96
	v_cndmask_b32_e32 v100, v96, v99, vcc
	v_cmp_gt_f64_e32 vcc, 0, v[97:98]
	v_mov_b32_e32 v99, v95
	v_cndmask_b32_e32 v102, v98, v101, vcc
	v_mov_b32_e32 v101, v97
	v_add_f64 v[99:100], v[99:100], v[101:102]
	v_cmp_lt_f64_e32 vcc, v[91:92], v[99:100]
	v_mov_b32_e32 v91, s0
	s_add_i32 s0, s0, 1
	s_cmp_lg_u32 s3, s0
	v_cndmask_b32_e32 v118, v118, v96, vcc
	v_cndmask_b32_e32 v117, v117, v95, vcc
	;; [unrolled: 1-line block ×5, first 2 shown]
	s_cbranch_scc1 .LBB104_484
.LBB104_485:
	s_waitcnt lgkmcnt(0)
	v_cmp_eq_f64_e32 vcc, 0, v[117:118]
	v_cmp_eq_f64_e64 s[0:1], 0, v[119:120]
	s_and_b64 s[0:1], vcc, s[0:1]
	s_and_saveexec_b64 s[18:19], s[0:1]
	s_xor_b64 s[0:1], exec, s[18:19]
; %bb.486:
	v_cmp_ne_u32_e32 vcc, 0, v94
	v_cndmask_b32_e32 v94, 24, v94, vcc
; %bb.487:
	s_andn2_saveexec_b64 s[0:1], s[0:1]
	s_cbranch_execz .LBB104_493
; %bb.488:
	v_cmp_ngt_f64_e64 s[18:19], |v[117:118]|, |v[119:120]|
	s_and_saveexec_b64 s[20:21], s[18:19]
	s_xor_b64 s[18:19], exec, s[20:21]
	s_cbranch_execz .LBB104_490
; %bb.489:
	v_div_scale_f64 v[90:91], s[20:21], v[119:120], v[119:120], v[117:118]
	v_rcp_f64_e32 v[95:96], v[90:91]
	v_fma_f64 v[97:98], -v[90:91], v[95:96], 1.0
	v_fma_f64 v[95:96], v[95:96], v[97:98], v[95:96]
	v_div_scale_f64 v[97:98], vcc, v[117:118], v[119:120], v[117:118]
	v_fma_f64 v[99:100], -v[90:91], v[95:96], 1.0
	v_fma_f64 v[95:96], v[95:96], v[99:100], v[95:96]
	v_mul_f64 v[99:100], v[97:98], v[95:96]
	v_fma_f64 v[90:91], -v[90:91], v[99:100], v[97:98]
	v_div_fmas_f64 v[90:91], v[90:91], v[95:96], v[99:100]
	v_div_fixup_f64 v[90:91], v[90:91], v[119:120], v[117:118]
	v_fma_f64 v[95:96], v[117:118], v[90:91], v[119:120]
	v_div_scale_f64 v[97:98], s[20:21], v[95:96], v[95:96], 1.0
	v_div_scale_f64 v[103:104], vcc, 1.0, v[95:96], 1.0
	v_rcp_f64_e32 v[99:100], v[97:98]
	v_fma_f64 v[101:102], -v[97:98], v[99:100], 1.0
	v_fma_f64 v[99:100], v[99:100], v[101:102], v[99:100]
	v_fma_f64 v[101:102], -v[97:98], v[99:100], 1.0
	v_fma_f64 v[99:100], v[99:100], v[101:102], v[99:100]
	v_mul_f64 v[101:102], v[103:104], v[99:100]
	v_fma_f64 v[97:98], -v[97:98], v[101:102], v[103:104]
	v_div_fmas_f64 v[97:98], v[97:98], v[99:100], v[101:102]
	v_div_fixup_f64 v[119:120], v[97:98], v[95:96], 1.0
	v_mul_f64 v[117:118], v[90:91], v[119:120]
	v_xor_b32_e32 v120, 0x80000000, v120
.LBB104_490:
	s_andn2_saveexec_b64 s[18:19], s[18:19]
	s_cbranch_execz .LBB104_492
; %bb.491:
	v_div_scale_f64 v[90:91], s[20:21], v[117:118], v[117:118], v[119:120]
	v_rcp_f64_e32 v[95:96], v[90:91]
	v_fma_f64 v[97:98], -v[90:91], v[95:96], 1.0
	v_fma_f64 v[95:96], v[95:96], v[97:98], v[95:96]
	v_div_scale_f64 v[97:98], vcc, v[119:120], v[117:118], v[119:120]
	v_fma_f64 v[99:100], -v[90:91], v[95:96], 1.0
	v_fma_f64 v[95:96], v[95:96], v[99:100], v[95:96]
	v_mul_f64 v[99:100], v[97:98], v[95:96]
	v_fma_f64 v[90:91], -v[90:91], v[99:100], v[97:98]
	v_div_fmas_f64 v[90:91], v[90:91], v[95:96], v[99:100]
	v_div_fixup_f64 v[90:91], v[90:91], v[117:118], v[119:120]
	v_fma_f64 v[95:96], v[119:120], v[90:91], v[117:118]
	v_div_scale_f64 v[97:98], s[20:21], v[95:96], v[95:96], 1.0
	v_div_scale_f64 v[103:104], vcc, 1.0, v[95:96], 1.0
	v_rcp_f64_e32 v[99:100], v[97:98]
	v_fma_f64 v[101:102], -v[97:98], v[99:100], 1.0
	v_fma_f64 v[99:100], v[99:100], v[101:102], v[99:100]
	v_fma_f64 v[101:102], -v[97:98], v[99:100], 1.0
	v_fma_f64 v[99:100], v[99:100], v[101:102], v[99:100]
	v_mul_f64 v[101:102], v[103:104], v[99:100]
	v_fma_f64 v[97:98], -v[97:98], v[101:102], v[103:104]
	v_div_fmas_f64 v[97:98], v[97:98], v[99:100], v[101:102]
	v_div_fixup_f64 v[117:118], v[97:98], v[95:96], 1.0
	v_mul_f64 v[119:120], v[90:91], -v[117:118]
.LBB104_492:
	s_or_b64 exec, exec, s[18:19]
.LBB104_493:
	s_or_b64 exec, exec, s[0:1]
	v_cmp_ne_u32_e32 vcc, v93, v89
	s_and_saveexec_b64 s[0:1], vcc
	s_xor_b64 s[0:1], exec, s[0:1]
	s_cbranch_execz .LBB104_499
; %bb.494:
	v_cmp_eq_u32_e32 vcc, 23, v93
	s_and_saveexec_b64 s[18:19], vcc
	s_cbranch_execz .LBB104_498
; %bb.495:
	v_cmp_ne_u32_e32 vcc, 23, v89
	s_xor_b64 s[20:21], s[6:7], -1
	s_and_b64 s[22:23], s[20:21], vcc
	s_and_saveexec_b64 s[20:21], s[22:23]
	s_cbranch_execz .LBB104_497
; %bb.496:
	v_mov_b32_e32 v69, v81
	v_mov_b32_e32 v70, v82
	;; [unrolled: 1-line block ×4, first 2 shown]
	buffer_load_dword v81, off, s[24:27], 0 offset:420 ; 4-byte Folded Reload
	buffer_load_dword v82, off, s[24:27], 0 offset:424 ; 4-byte Folded Reload
	v_ashrrev_i32_e32 v90, 31, v89
	v_lshlrev_b64 v[90:91], 2, v[89:90]
	s_waitcnt vmcnt(1)
	v_add_co_u32_e32 v90, vcc, v81, v90
	s_waitcnt vmcnt(0)
	v_addc_co_u32_e32 v91, vcc, v82, v91, vcc
	global_load_dword v92, v[90:91], off
	global_load_dword v93, v[81:82], off offset:92
	s_waitcnt vmcnt(1)
	global_store_dword v[81:82], v92, off offset:92
	v_mov_b32_e32 v84, v72
	v_mov_b32_e32 v83, v71
	;; [unrolled: 1-line block ×4, first 2 shown]
	s_waitcnt vmcnt(1)
	global_store_dword v[90:91], v93, off
.LBB104_497:
	s_or_b64 exec, exec, s[20:21]
	v_mov_b32_e32 v93, v89
	v_mov_b32_e32 v69, v89
	buffer_store_dword v69, off, s[24:27], 0 offset:352 ; 4-byte Folded Spill
.LBB104_498:
	s_or_b64 exec, exec, s[18:19]
.LBB104_499:
	s_andn2_saveexec_b64 s[0:1], s[0:1]
	s_cbranch_execz .LBB104_501
; %bb.500:
	buffer_load_dword v69, off, s[24:27], 0 offset:64 ; 4-byte Folded Reload
	buffer_load_dword v70, off, s[24:27], 0 offset:68 ; 4-byte Folded Reload
	;; [unrolled: 1-line block ×4, first 2 shown]
	v_mov_b32_e32 v93, 23
	s_waitcnt vmcnt(0)
	ds_write2_b64 v0, v[69:70], v[71:72] offset0:48 offset1:49
	buffer_load_dword v69, off, s[24:27], 0 offset:48 ; 4-byte Folded Reload
	buffer_load_dword v70, off, s[24:27], 0 offset:52 ; 4-byte Folded Reload
	buffer_load_dword v71, off, s[24:27], 0 offset:56 ; 4-byte Folded Reload
	buffer_load_dword v72, off, s[24:27], 0 offset:60 ; 4-byte Folded Reload
	s_waitcnt vmcnt(0)
	ds_write2_b64 v0, v[69:70], v[71:72] offset0:50 offset1:51
	buffer_load_dword v69, off, s[24:27], 0 offset:32 ; 4-byte Folded Reload
	buffer_load_dword v70, off, s[24:27], 0 offset:36 ; 4-byte Folded Reload
	buffer_load_dword v71, off, s[24:27], 0 offset:40 ; 4-byte Folded Reload
	buffer_load_dword v72, off, s[24:27], 0 offset:44 ; 4-byte Folded Reload
	;; [unrolled: 6-line block ×3, first 2 shown]
	s_waitcnt vmcnt(0)
	ds_write2_b64 v0, v[69:70], v[71:72] offset0:54 offset1:55
	ds_write2_b64 v0, v[81:82], v[83:84] offset0:56 offset1:57
	;; [unrolled: 1-line block ×7, first 2 shown]
	buffer_load_dword v69, off, s[24:27], 0 ; 4-byte Folded Reload
	buffer_load_dword v70, off, s[24:27], 0 offset:4 ; 4-byte Folded Reload
	buffer_load_dword v71, off, s[24:27], 0 offset:8 ; 4-byte Folded Reload
	;; [unrolled: 1-line block ×3, first 2 shown]
	s_waitcnt vmcnt(0)
	ds_write2_b64 v0, v[69:70], v[71:72] offset0:68 offset1:69
	ds_write2_b64 v0, v[65:66], v[67:68] offset0:70 offset1:71
	;; [unrolled: 1-line block ×19, first 2 shown]
.LBB104_501:
	s_or_b64 exec, exec, s[0:1]
	v_cmp_lt_i32_e32 vcc, 23, v93
	s_waitcnt vmcnt(0) lgkmcnt(0)
	s_barrier
	s_and_saveexec_b64 s[0:1], vcc
	s_cbranch_execz .LBB104_503
; %bb.502:
	buffer_load_dword v97, off, s[24:27], 0 offset:80 ; 4-byte Folded Reload
	buffer_load_dword v98, off, s[24:27], 0 offset:84 ; 4-byte Folded Reload
	;; [unrolled: 1-line block ×4, first 2 shown]
	s_waitcnt vmcnt(0)
	v_mul_f64 v[89:90], v[119:120], v[99:100]
	v_mul_f64 v[91:92], v[117:118], v[99:100]
	v_fma_f64 v[89:90], v[117:118], v[97:98], -v[89:90]
	v_fma_f64 v[99:100], v[119:120], v[97:98], v[91:92]
	ds_read2_b64 v[95:98], v0 offset0:48 offset1:49
	buffer_load_dword v69, off, s[24:27], 0 offset:64 ; 4-byte Folded Reload
	buffer_load_dword v70, off, s[24:27], 0 offset:68 ; 4-byte Folded Reload
	buffer_load_dword v71, off, s[24:27], 0 offset:72 ; 4-byte Folded Reload
	buffer_load_dword v72, off, s[24:27], 0 offset:76 ; 4-byte Folded Reload
	s_waitcnt lgkmcnt(0)
	v_mul_f64 v[91:92], v[97:98], v[99:100]
	v_fma_f64 v[91:92], v[95:96], v[89:90], -v[91:92]
	v_mul_f64 v[95:96], v[95:96], v[99:100]
	v_fma_f64 v[95:96], v[97:98], v[89:90], v[95:96]
	s_waitcnt vmcnt(2)
	v_add_f64 v[69:70], v[69:70], -v[91:92]
	s_waitcnt vmcnt(0)
	v_add_f64 v[71:72], v[71:72], -v[95:96]
	buffer_store_dword v69, off, s[24:27], 0 offset:64 ; 4-byte Folded Spill
	s_nop 0
	buffer_store_dword v70, off, s[24:27], 0 offset:68 ; 4-byte Folded Spill
	buffer_store_dword v71, off, s[24:27], 0 offset:72 ; 4-byte Folded Spill
	buffer_store_dword v72, off, s[24:27], 0 offset:76 ; 4-byte Folded Spill
	ds_read2_b64 v[95:98], v0 offset0:50 offset1:51
	buffer_load_dword v69, off, s[24:27], 0 offset:48 ; 4-byte Folded Reload
	buffer_load_dword v70, off, s[24:27], 0 offset:52 ; 4-byte Folded Reload
	buffer_load_dword v71, off, s[24:27], 0 offset:56 ; 4-byte Folded Reload
	buffer_load_dword v72, off, s[24:27], 0 offset:60 ; 4-byte Folded Reload
	s_waitcnt lgkmcnt(0)
	v_mul_f64 v[91:92], v[97:98], v[99:100]
	v_fma_f64 v[91:92], v[95:96], v[89:90], -v[91:92]
	v_mul_f64 v[95:96], v[95:96], v[99:100]
	v_fma_f64 v[95:96], v[97:98], v[89:90], v[95:96]
	s_waitcnt vmcnt(2)
	v_add_f64 v[69:70], v[69:70], -v[91:92]
	s_waitcnt vmcnt(0)
	v_add_f64 v[71:72], v[71:72], -v[95:96]
	buffer_store_dword v69, off, s[24:27], 0 offset:48 ; 4-byte Folded Spill
	s_nop 0
	buffer_store_dword v70, off, s[24:27], 0 offset:52 ; 4-byte Folded Spill
	buffer_store_dword v71, off, s[24:27], 0 offset:56 ; 4-byte Folded Spill
	buffer_store_dword v72, off, s[24:27], 0 offset:60 ; 4-byte Folded Spill
	;; [unrolled: 19-line block ×4, first 2 shown]
	ds_read2_b64 v[95:98], v0 offset0:56 offset1:57
	s_waitcnt lgkmcnt(0)
	v_mul_f64 v[91:92], v[97:98], v[99:100]
	v_fma_f64 v[91:92], v[95:96], v[89:90], -v[91:92]
	v_mul_f64 v[95:96], v[95:96], v[99:100]
	v_add_f64 v[81:82], v[81:82], -v[91:92]
	v_fma_f64 v[95:96], v[97:98], v[89:90], v[95:96]
	v_add_f64 v[83:84], v[83:84], -v[95:96]
	ds_read2_b64 v[95:98], v0 offset0:58 offset1:59
	s_waitcnt lgkmcnt(0)
	v_mul_f64 v[91:92], v[97:98], v[99:100]
	v_fma_f64 v[91:92], v[95:96], v[89:90], -v[91:92]
	v_mul_f64 v[95:96], v[95:96], v[99:100]
	v_add_f64 v[85:86], v[85:86], -v[91:92]
	v_fma_f64 v[95:96], v[97:98], v[89:90], v[95:96]
	v_add_f64 v[87:88], v[87:88], -v[95:96]
	;; [unrolled: 8-line block ×6, first 2 shown]
	ds_read2_b64 v[95:98], v0 offset0:68 offset1:69
	buffer_load_dword v69, off, s[24:27], 0 ; 4-byte Folded Reload
	buffer_load_dword v70, off, s[24:27], 0 offset:4 ; 4-byte Folded Reload
	buffer_load_dword v71, off, s[24:27], 0 offset:8 ; 4-byte Folded Reload
	;; [unrolled: 1-line block ×3, first 2 shown]
	s_waitcnt lgkmcnt(0)
	v_mul_f64 v[91:92], v[97:98], v[99:100]
	v_fma_f64 v[91:92], v[95:96], v[89:90], -v[91:92]
	v_mul_f64 v[95:96], v[95:96], v[99:100]
	v_fma_f64 v[95:96], v[97:98], v[89:90], v[95:96]
	s_waitcnt vmcnt(2)
	v_add_f64 v[69:70], v[69:70], -v[91:92]
	s_waitcnt vmcnt(0)
	v_add_f64 v[71:72], v[71:72], -v[95:96]
	buffer_store_dword v69, off, s[24:27], 0 ; 4-byte Folded Spill
	s_nop 0
	buffer_store_dword v70, off, s[24:27], 0 offset:4 ; 4-byte Folded Spill
	buffer_store_dword v71, off, s[24:27], 0 offset:8 ; 4-byte Folded Spill
	;; [unrolled: 1-line block ×3, first 2 shown]
	ds_read2_b64 v[95:98], v0 offset0:70 offset1:71
	s_waitcnt lgkmcnt(0)
	v_mul_f64 v[91:92], v[97:98], v[99:100]
	v_fma_f64 v[91:92], v[95:96], v[89:90], -v[91:92]
	v_mul_f64 v[95:96], v[95:96], v[99:100]
	v_add_f64 v[65:66], v[65:66], -v[91:92]
	v_fma_f64 v[95:96], v[97:98], v[89:90], v[95:96]
	v_add_f64 v[67:68], v[67:68], -v[95:96]
	ds_read2_b64 v[95:98], v0 offset0:72 offset1:73
	s_waitcnt lgkmcnt(0)
	v_mul_f64 v[91:92], v[97:98], v[99:100]
	v_fma_f64 v[91:92], v[95:96], v[89:90], -v[91:92]
	v_mul_f64 v[95:96], v[95:96], v[99:100]
	v_add_f64 v[61:62], v[61:62], -v[91:92]
	v_fma_f64 v[95:96], v[97:98], v[89:90], v[95:96]
	v_add_f64 v[63:64], v[63:64], -v[95:96]
	;; [unrolled: 8-line block ×17, first 2 shown]
	ds_read2_b64 v[95:98], v0 offset0:104 offset1:105
	s_waitcnt lgkmcnt(0)
	v_mul_f64 v[91:92], v[97:98], v[99:100]
	v_fma_f64 v[91:92], v[95:96], v[89:90], -v[91:92]
	v_mul_f64 v[95:96], v[95:96], v[99:100]
	v_add_f64 v[121:122], v[121:122], -v[91:92]
	v_fma_f64 v[95:96], v[97:98], v[89:90], v[95:96]
	v_mov_b32_e32 v98, v90
	v_mov_b32_e32 v97, v89
	buffer_store_dword v97, off, s[24:27], 0 offset:80 ; 4-byte Folded Spill
	s_nop 0
	buffer_store_dword v98, off, s[24:27], 0 offset:84 ; 4-byte Folded Spill
	buffer_store_dword v99, off, s[24:27], 0 offset:88 ; 4-byte Folded Spill
	;; [unrolled: 1-line block ×3, first 2 shown]
	v_add_f64 v[123:124], v[123:124], -v[95:96]
.LBB104_503:
	s_or_b64 exec, exec, s[0:1]
	s_waitcnt vmcnt(0)
	s_barrier
	buffer_load_dword v69, off, s[24:27], 0 offset:64 ; 4-byte Folded Reload
	buffer_load_dword v70, off, s[24:27], 0 offset:68 ; 4-byte Folded Reload
	;; [unrolled: 1-line block ×4, first 2 shown]
	v_lshl_add_u32 v89, v93, 4, v0
	s_cmp_lt_i32 s3, 26
	s_waitcnt vmcnt(0)
	ds_write2_b64 v89, v[69:70], v[71:72] offset1:1
	s_waitcnt lgkmcnt(0)
	s_barrier
	ds_read2_b64 v[117:120], v0 offset0:48 offset1:49
	v_mov_b32_e32 v89, 24
	s_cbranch_scc1 .LBB104_506
; %bb.504:
	v_add_u32_e32 v90, 0x190, v0
	s_mov_b32 s0, 25
	v_mov_b32_e32 v89, 24
.LBB104_505:                            ; =>This Inner Loop Header: Depth=1
	s_waitcnt lgkmcnt(0)
	v_cmp_gt_f64_e32 vcc, 0, v[117:118]
	v_xor_b32_e32 v91, 0x80000000, v118
	ds_read2_b64 v[95:98], v90 offset1:1
	v_xor_b32_e32 v99, 0x80000000, v120
	v_add_u32_e32 v90, 16, v90
	s_waitcnt lgkmcnt(0)
	v_xor_b32_e32 v101, 0x80000000, v98
	v_cndmask_b32_e32 v92, v118, v91, vcc
	v_cmp_gt_f64_e32 vcc, 0, v[119:120]
	v_mov_b32_e32 v91, v117
	v_cndmask_b32_e32 v100, v120, v99, vcc
	v_cmp_gt_f64_e32 vcc, 0, v[95:96]
	v_mov_b32_e32 v99, v119
	v_add_f64 v[91:92], v[91:92], v[99:100]
	v_xor_b32_e32 v99, 0x80000000, v96
	v_cndmask_b32_e32 v100, v96, v99, vcc
	v_cmp_gt_f64_e32 vcc, 0, v[97:98]
	v_mov_b32_e32 v99, v95
	v_cndmask_b32_e32 v102, v98, v101, vcc
	v_mov_b32_e32 v101, v97
	v_add_f64 v[99:100], v[99:100], v[101:102]
	v_cmp_lt_f64_e32 vcc, v[91:92], v[99:100]
	v_mov_b32_e32 v91, s0
	s_add_i32 s0, s0, 1
	s_cmp_lg_u32 s3, s0
	v_cndmask_b32_e32 v118, v118, v96, vcc
	v_cndmask_b32_e32 v117, v117, v95, vcc
	;; [unrolled: 1-line block ×5, first 2 shown]
	s_cbranch_scc1 .LBB104_505
.LBB104_506:
	s_waitcnt lgkmcnt(0)
	v_cmp_eq_f64_e32 vcc, 0, v[117:118]
	v_cmp_eq_f64_e64 s[0:1], 0, v[119:120]
	s_and_b64 s[0:1], vcc, s[0:1]
	s_and_saveexec_b64 s[18:19], s[0:1]
	s_xor_b64 s[0:1], exec, s[18:19]
; %bb.507:
	v_cmp_ne_u32_e32 vcc, 0, v94
	v_cndmask_b32_e32 v94, 25, v94, vcc
; %bb.508:
	s_andn2_saveexec_b64 s[0:1], s[0:1]
	s_cbranch_execz .LBB104_514
; %bb.509:
	v_cmp_ngt_f64_e64 s[18:19], |v[117:118]|, |v[119:120]|
	s_and_saveexec_b64 s[20:21], s[18:19]
	s_xor_b64 s[18:19], exec, s[20:21]
	s_cbranch_execz .LBB104_511
; %bb.510:
	v_div_scale_f64 v[90:91], s[20:21], v[119:120], v[119:120], v[117:118]
	v_rcp_f64_e32 v[95:96], v[90:91]
	v_fma_f64 v[97:98], -v[90:91], v[95:96], 1.0
	v_fma_f64 v[95:96], v[95:96], v[97:98], v[95:96]
	v_div_scale_f64 v[97:98], vcc, v[117:118], v[119:120], v[117:118]
	v_fma_f64 v[99:100], -v[90:91], v[95:96], 1.0
	v_fma_f64 v[95:96], v[95:96], v[99:100], v[95:96]
	v_mul_f64 v[99:100], v[97:98], v[95:96]
	v_fma_f64 v[90:91], -v[90:91], v[99:100], v[97:98]
	v_div_fmas_f64 v[90:91], v[90:91], v[95:96], v[99:100]
	v_div_fixup_f64 v[90:91], v[90:91], v[119:120], v[117:118]
	v_fma_f64 v[95:96], v[117:118], v[90:91], v[119:120]
	v_div_scale_f64 v[97:98], s[20:21], v[95:96], v[95:96], 1.0
	v_div_scale_f64 v[103:104], vcc, 1.0, v[95:96], 1.0
	v_rcp_f64_e32 v[99:100], v[97:98]
	v_fma_f64 v[101:102], -v[97:98], v[99:100], 1.0
	v_fma_f64 v[99:100], v[99:100], v[101:102], v[99:100]
	v_fma_f64 v[101:102], -v[97:98], v[99:100], 1.0
	v_fma_f64 v[99:100], v[99:100], v[101:102], v[99:100]
	v_mul_f64 v[101:102], v[103:104], v[99:100]
	v_fma_f64 v[97:98], -v[97:98], v[101:102], v[103:104]
	v_div_fmas_f64 v[97:98], v[97:98], v[99:100], v[101:102]
	v_div_fixup_f64 v[119:120], v[97:98], v[95:96], 1.0
	v_mul_f64 v[117:118], v[90:91], v[119:120]
	v_xor_b32_e32 v120, 0x80000000, v120
.LBB104_511:
	s_andn2_saveexec_b64 s[18:19], s[18:19]
	s_cbranch_execz .LBB104_513
; %bb.512:
	v_div_scale_f64 v[90:91], s[20:21], v[117:118], v[117:118], v[119:120]
	v_rcp_f64_e32 v[95:96], v[90:91]
	v_fma_f64 v[97:98], -v[90:91], v[95:96], 1.0
	v_fma_f64 v[95:96], v[95:96], v[97:98], v[95:96]
	v_div_scale_f64 v[97:98], vcc, v[119:120], v[117:118], v[119:120]
	v_fma_f64 v[99:100], -v[90:91], v[95:96], 1.0
	v_fma_f64 v[95:96], v[95:96], v[99:100], v[95:96]
	v_mul_f64 v[99:100], v[97:98], v[95:96]
	v_fma_f64 v[90:91], -v[90:91], v[99:100], v[97:98]
	v_div_fmas_f64 v[90:91], v[90:91], v[95:96], v[99:100]
	v_div_fixup_f64 v[90:91], v[90:91], v[117:118], v[119:120]
	v_fma_f64 v[95:96], v[119:120], v[90:91], v[117:118]
	v_div_scale_f64 v[97:98], s[20:21], v[95:96], v[95:96], 1.0
	v_div_scale_f64 v[103:104], vcc, 1.0, v[95:96], 1.0
	v_rcp_f64_e32 v[99:100], v[97:98]
	v_fma_f64 v[101:102], -v[97:98], v[99:100], 1.0
	v_fma_f64 v[99:100], v[99:100], v[101:102], v[99:100]
	v_fma_f64 v[101:102], -v[97:98], v[99:100], 1.0
	v_fma_f64 v[99:100], v[99:100], v[101:102], v[99:100]
	v_mul_f64 v[101:102], v[103:104], v[99:100]
	v_fma_f64 v[97:98], -v[97:98], v[101:102], v[103:104]
	v_div_fmas_f64 v[97:98], v[97:98], v[99:100], v[101:102]
	v_div_fixup_f64 v[117:118], v[97:98], v[95:96], 1.0
	v_mul_f64 v[119:120], v[90:91], -v[117:118]
.LBB104_513:
	s_or_b64 exec, exec, s[18:19]
.LBB104_514:
	s_or_b64 exec, exec, s[0:1]
	v_cmp_ne_u32_e32 vcc, v93, v89
	s_and_saveexec_b64 s[0:1], vcc
	s_xor_b64 s[0:1], exec, s[0:1]
	s_cbranch_execz .LBB104_520
; %bb.515:
	v_cmp_eq_u32_e32 vcc, 24, v93
	s_and_saveexec_b64 s[18:19], vcc
	s_cbranch_execz .LBB104_519
; %bb.516:
	v_cmp_ne_u32_e32 vcc, 24, v89
	s_xor_b64 s[20:21], s[6:7], -1
	s_and_b64 s[22:23], s[20:21], vcc
	s_and_saveexec_b64 s[20:21], s[22:23]
	s_cbranch_execz .LBB104_518
; %bb.517:
	v_mov_b32_e32 v69, v81
	v_mov_b32_e32 v70, v82
	;; [unrolled: 1-line block ×4, first 2 shown]
	buffer_load_dword v81, off, s[24:27], 0 offset:420 ; 4-byte Folded Reload
	buffer_load_dword v82, off, s[24:27], 0 offset:424 ; 4-byte Folded Reload
	v_ashrrev_i32_e32 v90, 31, v89
	v_lshlrev_b64 v[90:91], 2, v[89:90]
	s_waitcnt vmcnt(1)
	v_add_co_u32_e32 v90, vcc, v81, v90
	s_waitcnt vmcnt(0)
	v_addc_co_u32_e32 v91, vcc, v82, v91, vcc
	global_load_dword v92, v[90:91], off
	global_load_dword v93, v[81:82], off offset:96
	s_waitcnt vmcnt(1)
	global_store_dword v[81:82], v92, off offset:96
	v_mov_b32_e32 v84, v72
	v_mov_b32_e32 v83, v71
	v_mov_b32_e32 v82, v70
	v_mov_b32_e32 v81, v69
	s_waitcnt vmcnt(1)
	global_store_dword v[90:91], v93, off
.LBB104_518:
	s_or_b64 exec, exec, s[20:21]
	v_mov_b32_e32 v93, v89
	v_mov_b32_e32 v69, v89
	buffer_store_dword v69, off, s[24:27], 0 offset:352 ; 4-byte Folded Spill
.LBB104_519:
	s_or_b64 exec, exec, s[18:19]
.LBB104_520:
	s_andn2_saveexec_b64 s[0:1], s[0:1]
	s_cbranch_execz .LBB104_522
; %bb.521:
	buffer_load_dword v69, off, s[24:27], 0 offset:48 ; 4-byte Folded Reload
	buffer_load_dword v70, off, s[24:27], 0 offset:52 ; 4-byte Folded Reload
	;; [unrolled: 1-line block ×4, first 2 shown]
	v_mov_b32_e32 v93, 24
	s_waitcnt vmcnt(0)
	ds_write2_b64 v0, v[69:70], v[71:72] offset0:50 offset1:51
	buffer_load_dword v69, off, s[24:27], 0 offset:32 ; 4-byte Folded Reload
	buffer_load_dword v70, off, s[24:27], 0 offset:36 ; 4-byte Folded Reload
	;; [unrolled: 1-line block ×4, first 2 shown]
	s_waitcnt vmcnt(0)
	ds_write2_b64 v0, v[69:70], v[71:72] offset0:52 offset1:53
	buffer_load_dword v69, off, s[24:27], 0 offset:16 ; 4-byte Folded Reload
	buffer_load_dword v70, off, s[24:27], 0 offset:20 ; 4-byte Folded Reload
	;; [unrolled: 1-line block ×4, first 2 shown]
	s_waitcnt vmcnt(0)
	ds_write2_b64 v0, v[69:70], v[71:72] offset0:54 offset1:55
	ds_write2_b64 v0, v[81:82], v[83:84] offset0:56 offset1:57
	;; [unrolled: 1-line block ×7, first 2 shown]
	buffer_load_dword v69, off, s[24:27], 0 ; 4-byte Folded Reload
	buffer_load_dword v70, off, s[24:27], 0 offset:4 ; 4-byte Folded Reload
	buffer_load_dword v71, off, s[24:27], 0 offset:8 ; 4-byte Folded Reload
	;; [unrolled: 1-line block ×3, first 2 shown]
	s_waitcnt vmcnt(0)
	ds_write2_b64 v0, v[69:70], v[71:72] offset0:68 offset1:69
	ds_write2_b64 v0, v[65:66], v[67:68] offset0:70 offset1:71
	;; [unrolled: 1-line block ×19, first 2 shown]
.LBB104_522:
	s_or_b64 exec, exec, s[0:1]
	v_cmp_lt_i32_e32 vcc, 24, v93
	s_waitcnt vmcnt(0) lgkmcnt(0)
	s_barrier
	s_and_saveexec_b64 s[0:1], vcc
	s_cbranch_execz .LBB104_524
; %bb.523:
	buffer_load_dword v97, off, s[24:27], 0 offset:64 ; 4-byte Folded Reload
	buffer_load_dword v98, off, s[24:27], 0 offset:68 ; 4-byte Folded Reload
	;; [unrolled: 1-line block ×4, first 2 shown]
	s_waitcnt vmcnt(0)
	v_mul_f64 v[89:90], v[119:120], v[99:100]
	v_mul_f64 v[91:92], v[117:118], v[99:100]
	v_fma_f64 v[89:90], v[117:118], v[97:98], -v[89:90]
	v_fma_f64 v[99:100], v[119:120], v[97:98], v[91:92]
	ds_read2_b64 v[95:98], v0 offset0:50 offset1:51
	buffer_load_dword v69, off, s[24:27], 0 offset:48 ; 4-byte Folded Reload
	buffer_load_dword v70, off, s[24:27], 0 offset:52 ; 4-byte Folded Reload
	buffer_load_dword v71, off, s[24:27], 0 offset:56 ; 4-byte Folded Reload
	buffer_load_dword v72, off, s[24:27], 0 offset:60 ; 4-byte Folded Reload
	s_waitcnt lgkmcnt(0)
	v_mul_f64 v[91:92], v[97:98], v[99:100]
	v_fma_f64 v[91:92], v[95:96], v[89:90], -v[91:92]
	v_mul_f64 v[95:96], v[95:96], v[99:100]
	v_fma_f64 v[95:96], v[97:98], v[89:90], v[95:96]
	s_waitcnt vmcnt(2)
	v_add_f64 v[69:70], v[69:70], -v[91:92]
	s_waitcnt vmcnt(0)
	v_add_f64 v[71:72], v[71:72], -v[95:96]
	buffer_store_dword v69, off, s[24:27], 0 offset:48 ; 4-byte Folded Spill
	s_nop 0
	buffer_store_dword v70, off, s[24:27], 0 offset:52 ; 4-byte Folded Spill
	buffer_store_dword v71, off, s[24:27], 0 offset:56 ; 4-byte Folded Spill
	buffer_store_dword v72, off, s[24:27], 0 offset:60 ; 4-byte Folded Spill
	ds_read2_b64 v[95:98], v0 offset0:52 offset1:53
	buffer_load_dword v69, off, s[24:27], 0 offset:32 ; 4-byte Folded Reload
	buffer_load_dword v70, off, s[24:27], 0 offset:36 ; 4-byte Folded Reload
	buffer_load_dword v71, off, s[24:27], 0 offset:40 ; 4-byte Folded Reload
	buffer_load_dword v72, off, s[24:27], 0 offset:44 ; 4-byte Folded Reload
	s_waitcnt lgkmcnt(0)
	v_mul_f64 v[91:92], v[97:98], v[99:100]
	v_fma_f64 v[91:92], v[95:96], v[89:90], -v[91:92]
	v_mul_f64 v[95:96], v[95:96], v[99:100]
	v_fma_f64 v[95:96], v[97:98], v[89:90], v[95:96]
	s_waitcnt vmcnt(2)
	v_add_f64 v[69:70], v[69:70], -v[91:92]
	s_waitcnt vmcnt(0)
	v_add_f64 v[71:72], v[71:72], -v[95:96]
	buffer_store_dword v69, off, s[24:27], 0 offset:32 ; 4-byte Folded Spill
	s_nop 0
	buffer_store_dword v70, off, s[24:27], 0 offset:36 ; 4-byte Folded Spill
	buffer_store_dword v71, off, s[24:27], 0 offset:40 ; 4-byte Folded Spill
	buffer_store_dword v72, off, s[24:27], 0 offset:44 ; 4-byte Folded Spill
	;; [unrolled: 19-line block ×3, first 2 shown]
	ds_read2_b64 v[95:98], v0 offset0:56 offset1:57
	s_waitcnt lgkmcnt(0)
	v_mul_f64 v[91:92], v[97:98], v[99:100]
	v_fma_f64 v[91:92], v[95:96], v[89:90], -v[91:92]
	v_mul_f64 v[95:96], v[95:96], v[99:100]
	v_add_f64 v[81:82], v[81:82], -v[91:92]
	v_fma_f64 v[95:96], v[97:98], v[89:90], v[95:96]
	v_add_f64 v[83:84], v[83:84], -v[95:96]
	ds_read2_b64 v[95:98], v0 offset0:58 offset1:59
	s_waitcnt lgkmcnt(0)
	v_mul_f64 v[91:92], v[97:98], v[99:100]
	v_fma_f64 v[91:92], v[95:96], v[89:90], -v[91:92]
	v_mul_f64 v[95:96], v[95:96], v[99:100]
	v_add_f64 v[85:86], v[85:86], -v[91:92]
	v_fma_f64 v[95:96], v[97:98], v[89:90], v[95:96]
	v_add_f64 v[87:88], v[87:88], -v[95:96]
	;; [unrolled: 8-line block ×6, first 2 shown]
	ds_read2_b64 v[95:98], v0 offset0:68 offset1:69
	buffer_load_dword v69, off, s[24:27], 0 ; 4-byte Folded Reload
	buffer_load_dword v70, off, s[24:27], 0 offset:4 ; 4-byte Folded Reload
	buffer_load_dword v71, off, s[24:27], 0 offset:8 ; 4-byte Folded Reload
	;; [unrolled: 1-line block ×3, first 2 shown]
	s_waitcnt lgkmcnt(0)
	v_mul_f64 v[91:92], v[97:98], v[99:100]
	v_fma_f64 v[91:92], v[95:96], v[89:90], -v[91:92]
	v_mul_f64 v[95:96], v[95:96], v[99:100]
	v_fma_f64 v[95:96], v[97:98], v[89:90], v[95:96]
	s_waitcnt vmcnt(2)
	v_add_f64 v[69:70], v[69:70], -v[91:92]
	s_waitcnt vmcnt(0)
	v_add_f64 v[71:72], v[71:72], -v[95:96]
	buffer_store_dword v69, off, s[24:27], 0 ; 4-byte Folded Spill
	s_nop 0
	buffer_store_dword v70, off, s[24:27], 0 offset:4 ; 4-byte Folded Spill
	buffer_store_dword v71, off, s[24:27], 0 offset:8 ; 4-byte Folded Spill
	;; [unrolled: 1-line block ×3, first 2 shown]
	ds_read2_b64 v[95:98], v0 offset0:70 offset1:71
	s_waitcnt lgkmcnt(0)
	v_mul_f64 v[91:92], v[97:98], v[99:100]
	v_fma_f64 v[91:92], v[95:96], v[89:90], -v[91:92]
	v_mul_f64 v[95:96], v[95:96], v[99:100]
	v_add_f64 v[65:66], v[65:66], -v[91:92]
	v_fma_f64 v[95:96], v[97:98], v[89:90], v[95:96]
	v_add_f64 v[67:68], v[67:68], -v[95:96]
	ds_read2_b64 v[95:98], v0 offset0:72 offset1:73
	s_waitcnt lgkmcnt(0)
	v_mul_f64 v[91:92], v[97:98], v[99:100]
	v_fma_f64 v[91:92], v[95:96], v[89:90], -v[91:92]
	v_mul_f64 v[95:96], v[95:96], v[99:100]
	v_add_f64 v[61:62], v[61:62], -v[91:92]
	v_fma_f64 v[95:96], v[97:98], v[89:90], v[95:96]
	v_add_f64 v[63:64], v[63:64], -v[95:96]
	;; [unrolled: 8-line block ×17, first 2 shown]
	ds_read2_b64 v[95:98], v0 offset0:104 offset1:105
	s_waitcnt lgkmcnt(0)
	v_mul_f64 v[91:92], v[97:98], v[99:100]
	v_fma_f64 v[91:92], v[95:96], v[89:90], -v[91:92]
	v_mul_f64 v[95:96], v[95:96], v[99:100]
	v_add_f64 v[121:122], v[121:122], -v[91:92]
	v_fma_f64 v[95:96], v[97:98], v[89:90], v[95:96]
	v_mov_b32_e32 v98, v90
	v_mov_b32_e32 v97, v89
	buffer_store_dword v97, off, s[24:27], 0 offset:64 ; 4-byte Folded Spill
	s_nop 0
	buffer_store_dword v98, off, s[24:27], 0 offset:68 ; 4-byte Folded Spill
	buffer_store_dword v99, off, s[24:27], 0 offset:72 ; 4-byte Folded Spill
	;; [unrolled: 1-line block ×3, first 2 shown]
	v_add_f64 v[123:124], v[123:124], -v[95:96]
.LBB104_524:
	s_or_b64 exec, exec, s[0:1]
	s_waitcnt vmcnt(0)
	s_barrier
	buffer_load_dword v69, off, s[24:27], 0 offset:48 ; 4-byte Folded Reload
	buffer_load_dword v70, off, s[24:27], 0 offset:52 ; 4-byte Folded Reload
	buffer_load_dword v71, off, s[24:27], 0 offset:56 ; 4-byte Folded Reload
	buffer_load_dword v72, off, s[24:27], 0 offset:60 ; 4-byte Folded Reload
	v_lshl_add_u32 v89, v93, 4, v0
	s_cmp_lt_i32 s3, 27
	s_waitcnt vmcnt(0)
	ds_write2_b64 v89, v[69:70], v[71:72] offset1:1
	s_waitcnt lgkmcnt(0)
	s_barrier
	ds_read2_b64 v[117:120], v0 offset0:50 offset1:51
	v_mov_b32_e32 v89, 25
	s_cbranch_scc1 .LBB104_527
; %bb.525:
	v_add_u32_e32 v90, 0x1a0, v0
	s_mov_b32 s0, 26
	v_mov_b32_e32 v89, 25
.LBB104_526:                            ; =>This Inner Loop Header: Depth=1
	s_waitcnt lgkmcnt(0)
	v_cmp_gt_f64_e32 vcc, 0, v[117:118]
	v_xor_b32_e32 v91, 0x80000000, v118
	ds_read2_b64 v[95:98], v90 offset1:1
	v_xor_b32_e32 v99, 0x80000000, v120
	v_add_u32_e32 v90, 16, v90
	s_waitcnt lgkmcnt(0)
	v_xor_b32_e32 v101, 0x80000000, v98
	v_cndmask_b32_e32 v92, v118, v91, vcc
	v_cmp_gt_f64_e32 vcc, 0, v[119:120]
	v_mov_b32_e32 v91, v117
	v_cndmask_b32_e32 v100, v120, v99, vcc
	v_cmp_gt_f64_e32 vcc, 0, v[95:96]
	v_mov_b32_e32 v99, v119
	v_add_f64 v[91:92], v[91:92], v[99:100]
	v_xor_b32_e32 v99, 0x80000000, v96
	v_cndmask_b32_e32 v100, v96, v99, vcc
	v_cmp_gt_f64_e32 vcc, 0, v[97:98]
	v_mov_b32_e32 v99, v95
	v_cndmask_b32_e32 v102, v98, v101, vcc
	v_mov_b32_e32 v101, v97
	v_add_f64 v[99:100], v[99:100], v[101:102]
	v_cmp_lt_f64_e32 vcc, v[91:92], v[99:100]
	v_mov_b32_e32 v91, s0
	s_add_i32 s0, s0, 1
	s_cmp_lg_u32 s3, s0
	v_cndmask_b32_e32 v118, v118, v96, vcc
	v_cndmask_b32_e32 v117, v117, v95, vcc
	;; [unrolled: 1-line block ×5, first 2 shown]
	s_cbranch_scc1 .LBB104_526
.LBB104_527:
	s_waitcnt lgkmcnt(0)
	v_cmp_eq_f64_e32 vcc, 0, v[117:118]
	v_cmp_eq_f64_e64 s[0:1], 0, v[119:120]
	s_and_b64 s[0:1], vcc, s[0:1]
	s_and_saveexec_b64 s[18:19], s[0:1]
	s_xor_b64 s[0:1], exec, s[18:19]
; %bb.528:
	v_cmp_ne_u32_e32 vcc, 0, v94
	v_cndmask_b32_e32 v94, 26, v94, vcc
; %bb.529:
	s_andn2_saveexec_b64 s[0:1], s[0:1]
	s_cbranch_execz .LBB104_535
; %bb.530:
	v_cmp_ngt_f64_e64 s[18:19], |v[117:118]|, |v[119:120]|
	s_and_saveexec_b64 s[20:21], s[18:19]
	s_xor_b64 s[18:19], exec, s[20:21]
	s_cbranch_execz .LBB104_532
; %bb.531:
	v_div_scale_f64 v[90:91], s[20:21], v[119:120], v[119:120], v[117:118]
	v_rcp_f64_e32 v[95:96], v[90:91]
	v_fma_f64 v[97:98], -v[90:91], v[95:96], 1.0
	v_fma_f64 v[95:96], v[95:96], v[97:98], v[95:96]
	v_div_scale_f64 v[97:98], vcc, v[117:118], v[119:120], v[117:118]
	v_fma_f64 v[99:100], -v[90:91], v[95:96], 1.0
	v_fma_f64 v[95:96], v[95:96], v[99:100], v[95:96]
	v_mul_f64 v[99:100], v[97:98], v[95:96]
	v_fma_f64 v[90:91], -v[90:91], v[99:100], v[97:98]
	v_div_fmas_f64 v[90:91], v[90:91], v[95:96], v[99:100]
	v_div_fixup_f64 v[90:91], v[90:91], v[119:120], v[117:118]
	v_fma_f64 v[95:96], v[117:118], v[90:91], v[119:120]
	v_div_scale_f64 v[97:98], s[20:21], v[95:96], v[95:96], 1.0
	v_div_scale_f64 v[103:104], vcc, 1.0, v[95:96], 1.0
	v_rcp_f64_e32 v[99:100], v[97:98]
	v_fma_f64 v[101:102], -v[97:98], v[99:100], 1.0
	v_fma_f64 v[99:100], v[99:100], v[101:102], v[99:100]
	v_fma_f64 v[101:102], -v[97:98], v[99:100], 1.0
	v_fma_f64 v[99:100], v[99:100], v[101:102], v[99:100]
	v_mul_f64 v[101:102], v[103:104], v[99:100]
	v_fma_f64 v[97:98], -v[97:98], v[101:102], v[103:104]
	v_div_fmas_f64 v[97:98], v[97:98], v[99:100], v[101:102]
	v_div_fixup_f64 v[119:120], v[97:98], v[95:96], 1.0
	v_mul_f64 v[117:118], v[90:91], v[119:120]
	v_xor_b32_e32 v120, 0x80000000, v120
.LBB104_532:
	s_andn2_saveexec_b64 s[18:19], s[18:19]
	s_cbranch_execz .LBB104_534
; %bb.533:
	v_div_scale_f64 v[90:91], s[20:21], v[117:118], v[117:118], v[119:120]
	v_rcp_f64_e32 v[95:96], v[90:91]
	v_fma_f64 v[97:98], -v[90:91], v[95:96], 1.0
	v_fma_f64 v[95:96], v[95:96], v[97:98], v[95:96]
	v_div_scale_f64 v[97:98], vcc, v[119:120], v[117:118], v[119:120]
	v_fma_f64 v[99:100], -v[90:91], v[95:96], 1.0
	v_fma_f64 v[95:96], v[95:96], v[99:100], v[95:96]
	v_mul_f64 v[99:100], v[97:98], v[95:96]
	v_fma_f64 v[90:91], -v[90:91], v[99:100], v[97:98]
	v_div_fmas_f64 v[90:91], v[90:91], v[95:96], v[99:100]
	v_div_fixup_f64 v[90:91], v[90:91], v[117:118], v[119:120]
	v_fma_f64 v[95:96], v[119:120], v[90:91], v[117:118]
	v_div_scale_f64 v[97:98], s[20:21], v[95:96], v[95:96], 1.0
	v_div_scale_f64 v[103:104], vcc, 1.0, v[95:96], 1.0
	v_rcp_f64_e32 v[99:100], v[97:98]
	v_fma_f64 v[101:102], -v[97:98], v[99:100], 1.0
	v_fma_f64 v[99:100], v[99:100], v[101:102], v[99:100]
	v_fma_f64 v[101:102], -v[97:98], v[99:100], 1.0
	v_fma_f64 v[99:100], v[99:100], v[101:102], v[99:100]
	v_mul_f64 v[101:102], v[103:104], v[99:100]
	v_fma_f64 v[97:98], -v[97:98], v[101:102], v[103:104]
	v_div_fmas_f64 v[97:98], v[97:98], v[99:100], v[101:102]
	v_div_fixup_f64 v[117:118], v[97:98], v[95:96], 1.0
	v_mul_f64 v[119:120], v[90:91], -v[117:118]
.LBB104_534:
	s_or_b64 exec, exec, s[18:19]
.LBB104_535:
	s_or_b64 exec, exec, s[0:1]
	v_cmp_ne_u32_e32 vcc, v93, v89
	s_and_saveexec_b64 s[0:1], vcc
	s_xor_b64 s[0:1], exec, s[0:1]
	s_cbranch_execz .LBB104_541
; %bb.536:
	v_cmp_eq_u32_e32 vcc, 25, v93
	s_and_saveexec_b64 s[18:19], vcc
	s_cbranch_execz .LBB104_540
; %bb.537:
	v_cmp_ne_u32_e32 vcc, 25, v89
	s_xor_b64 s[20:21], s[6:7], -1
	s_and_b64 s[22:23], s[20:21], vcc
	s_and_saveexec_b64 s[20:21], s[22:23]
	s_cbranch_execz .LBB104_539
; %bb.538:
	v_mov_b32_e32 v69, v81
	v_mov_b32_e32 v70, v82
	;; [unrolled: 1-line block ×4, first 2 shown]
	buffer_load_dword v81, off, s[24:27], 0 offset:420 ; 4-byte Folded Reload
	buffer_load_dword v82, off, s[24:27], 0 offset:424 ; 4-byte Folded Reload
	v_ashrrev_i32_e32 v90, 31, v89
	v_lshlrev_b64 v[90:91], 2, v[89:90]
	s_waitcnt vmcnt(1)
	v_add_co_u32_e32 v90, vcc, v81, v90
	s_waitcnt vmcnt(0)
	v_addc_co_u32_e32 v91, vcc, v82, v91, vcc
	global_load_dword v92, v[90:91], off
	global_load_dword v93, v[81:82], off offset:100
	s_waitcnt vmcnt(1)
	global_store_dword v[81:82], v92, off offset:100
	v_mov_b32_e32 v84, v72
	v_mov_b32_e32 v83, v71
	;; [unrolled: 1-line block ×4, first 2 shown]
	s_waitcnt vmcnt(1)
	global_store_dword v[90:91], v93, off
.LBB104_539:
	s_or_b64 exec, exec, s[20:21]
	v_mov_b32_e32 v93, v89
	v_mov_b32_e32 v69, v89
	buffer_store_dword v69, off, s[24:27], 0 offset:352 ; 4-byte Folded Spill
.LBB104_540:
	s_or_b64 exec, exec, s[18:19]
.LBB104_541:
	s_andn2_saveexec_b64 s[0:1], s[0:1]
	s_cbranch_execz .LBB104_543
; %bb.542:
	buffer_load_dword v69, off, s[24:27], 0 offset:32 ; 4-byte Folded Reload
	buffer_load_dword v70, off, s[24:27], 0 offset:36 ; 4-byte Folded Reload
	;; [unrolled: 1-line block ×4, first 2 shown]
	v_mov_b32_e32 v93, 25
	s_waitcnt vmcnt(0)
	ds_write2_b64 v0, v[69:70], v[71:72] offset0:52 offset1:53
	buffer_load_dword v69, off, s[24:27], 0 offset:16 ; 4-byte Folded Reload
	buffer_load_dword v70, off, s[24:27], 0 offset:20 ; 4-byte Folded Reload
	;; [unrolled: 1-line block ×4, first 2 shown]
	s_waitcnt vmcnt(0)
	ds_write2_b64 v0, v[69:70], v[71:72] offset0:54 offset1:55
	ds_write2_b64 v0, v[81:82], v[83:84] offset0:56 offset1:57
	;; [unrolled: 1-line block ×7, first 2 shown]
	buffer_load_dword v69, off, s[24:27], 0 ; 4-byte Folded Reload
	buffer_load_dword v70, off, s[24:27], 0 offset:4 ; 4-byte Folded Reload
	buffer_load_dword v71, off, s[24:27], 0 offset:8 ; 4-byte Folded Reload
	;; [unrolled: 1-line block ×3, first 2 shown]
	s_waitcnt vmcnt(0)
	ds_write2_b64 v0, v[69:70], v[71:72] offset0:68 offset1:69
	ds_write2_b64 v0, v[65:66], v[67:68] offset0:70 offset1:71
	;; [unrolled: 1-line block ×19, first 2 shown]
.LBB104_543:
	s_or_b64 exec, exec, s[0:1]
	v_cmp_lt_i32_e32 vcc, 25, v93
	s_waitcnt vmcnt(0) lgkmcnt(0)
	s_barrier
	s_and_saveexec_b64 s[0:1], vcc
	s_cbranch_execz .LBB104_545
; %bb.544:
	buffer_load_dword v97, off, s[24:27], 0 offset:48 ; 4-byte Folded Reload
	buffer_load_dword v98, off, s[24:27], 0 offset:52 ; 4-byte Folded Reload
	;; [unrolled: 1-line block ×4, first 2 shown]
	s_waitcnt vmcnt(0)
	v_mul_f64 v[89:90], v[119:120], v[99:100]
	v_mul_f64 v[91:92], v[117:118], v[99:100]
	v_fma_f64 v[89:90], v[117:118], v[97:98], -v[89:90]
	v_fma_f64 v[99:100], v[119:120], v[97:98], v[91:92]
	ds_read2_b64 v[95:98], v0 offset0:52 offset1:53
	buffer_load_dword v69, off, s[24:27], 0 offset:32 ; 4-byte Folded Reload
	buffer_load_dword v70, off, s[24:27], 0 offset:36 ; 4-byte Folded Reload
	;; [unrolled: 1-line block ×4, first 2 shown]
	s_waitcnt lgkmcnt(0)
	v_mul_f64 v[91:92], v[97:98], v[99:100]
	v_fma_f64 v[91:92], v[95:96], v[89:90], -v[91:92]
	v_mul_f64 v[95:96], v[95:96], v[99:100]
	v_fma_f64 v[95:96], v[97:98], v[89:90], v[95:96]
	s_waitcnt vmcnt(2)
	v_add_f64 v[69:70], v[69:70], -v[91:92]
	s_waitcnt vmcnt(0)
	v_add_f64 v[71:72], v[71:72], -v[95:96]
	buffer_store_dword v69, off, s[24:27], 0 offset:32 ; 4-byte Folded Spill
	s_nop 0
	buffer_store_dword v70, off, s[24:27], 0 offset:36 ; 4-byte Folded Spill
	buffer_store_dword v71, off, s[24:27], 0 offset:40 ; 4-byte Folded Spill
	buffer_store_dword v72, off, s[24:27], 0 offset:44 ; 4-byte Folded Spill
	ds_read2_b64 v[95:98], v0 offset0:54 offset1:55
	buffer_load_dword v69, off, s[24:27], 0 offset:16 ; 4-byte Folded Reload
	buffer_load_dword v70, off, s[24:27], 0 offset:20 ; 4-byte Folded Reload
	;; [unrolled: 1-line block ×4, first 2 shown]
	s_waitcnt lgkmcnt(0)
	v_mul_f64 v[91:92], v[97:98], v[99:100]
	v_fma_f64 v[91:92], v[95:96], v[89:90], -v[91:92]
	v_mul_f64 v[95:96], v[95:96], v[99:100]
	v_fma_f64 v[95:96], v[97:98], v[89:90], v[95:96]
	s_waitcnt vmcnt(2)
	v_add_f64 v[69:70], v[69:70], -v[91:92]
	s_waitcnt vmcnt(0)
	v_add_f64 v[71:72], v[71:72], -v[95:96]
	buffer_store_dword v69, off, s[24:27], 0 offset:16 ; 4-byte Folded Spill
	s_nop 0
	buffer_store_dword v70, off, s[24:27], 0 offset:20 ; 4-byte Folded Spill
	buffer_store_dword v71, off, s[24:27], 0 offset:24 ; 4-byte Folded Spill
	;; [unrolled: 1-line block ×3, first 2 shown]
	ds_read2_b64 v[95:98], v0 offset0:56 offset1:57
	s_waitcnt lgkmcnt(0)
	v_mul_f64 v[91:92], v[97:98], v[99:100]
	v_fma_f64 v[91:92], v[95:96], v[89:90], -v[91:92]
	v_mul_f64 v[95:96], v[95:96], v[99:100]
	v_add_f64 v[81:82], v[81:82], -v[91:92]
	v_fma_f64 v[95:96], v[97:98], v[89:90], v[95:96]
	v_add_f64 v[83:84], v[83:84], -v[95:96]
	ds_read2_b64 v[95:98], v0 offset0:58 offset1:59
	s_waitcnt lgkmcnt(0)
	v_mul_f64 v[91:92], v[97:98], v[99:100]
	v_fma_f64 v[91:92], v[95:96], v[89:90], -v[91:92]
	v_mul_f64 v[95:96], v[95:96], v[99:100]
	v_add_f64 v[85:86], v[85:86], -v[91:92]
	v_fma_f64 v[95:96], v[97:98], v[89:90], v[95:96]
	v_add_f64 v[87:88], v[87:88], -v[95:96]
	;; [unrolled: 8-line block ×6, first 2 shown]
	ds_read2_b64 v[95:98], v0 offset0:68 offset1:69
	buffer_load_dword v69, off, s[24:27], 0 ; 4-byte Folded Reload
	buffer_load_dword v70, off, s[24:27], 0 offset:4 ; 4-byte Folded Reload
	buffer_load_dword v71, off, s[24:27], 0 offset:8 ; 4-byte Folded Reload
	;; [unrolled: 1-line block ×3, first 2 shown]
	s_waitcnt lgkmcnt(0)
	v_mul_f64 v[91:92], v[97:98], v[99:100]
	v_fma_f64 v[91:92], v[95:96], v[89:90], -v[91:92]
	v_mul_f64 v[95:96], v[95:96], v[99:100]
	v_fma_f64 v[95:96], v[97:98], v[89:90], v[95:96]
	s_waitcnt vmcnt(2)
	v_add_f64 v[69:70], v[69:70], -v[91:92]
	s_waitcnt vmcnt(0)
	v_add_f64 v[71:72], v[71:72], -v[95:96]
	buffer_store_dword v69, off, s[24:27], 0 ; 4-byte Folded Spill
	s_nop 0
	buffer_store_dword v70, off, s[24:27], 0 offset:4 ; 4-byte Folded Spill
	buffer_store_dword v71, off, s[24:27], 0 offset:8 ; 4-byte Folded Spill
	;; [unrolled: 1-line block ×3, first 2 shown]
	ds_read2_b64 v[95:98], v0 offset0:70 offset1:71
	s_waitcnt lgkmcnt(0)
	v_mul_f64 v[91:92], v[97:98], v[99:100]
	v_fma_f64 v[91:92], v[95:96], v[89:90], -v[91:92]
	v_mul_f64 v[95:96], v[95:96], v[99:100]
	v_add_f64 v[65:66], v[65:66], -v[91:92]
	v_fma_f64 v[95:96], v[97:98], v[89:90], v[95:96]
	v_add_f64 v[67:68], v[67:68], -v[95:96]
	ds_read2_b64 v[95:98], v0 offset0:72 offset1:73
	s_waitcnt lgkmcnt(0)
	v_mul_f64 v[91:92], v[97:98], v[99:100]
	v_fma_f64 v[91:92], v[95:96], v[89:90], -v[91:92]
	v_mul_f64 v[95:96], v[95:96], v[99:100]
	v_add_f64 v[61:62], v[61:62], -v[91:92]
	v_fma_f64 v[95:96], v[97:98], v[89:90], v[95:96]
	v_add_f64 v[63:64], v[63:64], -v[95:96]
	;; [unrolled: 8-line block ×17, first 2 shown]
	ds_read2_b64 v[95:98], v0 offset0:104 offset1:105
	s_waitcnt lgkmcnt(0)
	v_mul_f64 v[91:92], v[97:98], v[99:100]
	v_fma_f64 v[91:92], v[95:96], v[89:90], -v[91:92]
	v_mul_f64 v[95:96], v[95:96], v[99:100]
	v_add_f64 v[121:122], v[121:122], -v[91:92]
	v_fma_f64 v[95:96], v[97:98], v[89:90], v[95:96]
	v_mov_b32_e32 v98, v90
	v_mov_b32_e32 v97, v89
	buffer_store_dword v97, off, s[24:27], 0 offset:48 ; 4-byte Folded Spill
	s_nop 0
	buffer_store_dword v98, off, s[24:27], 0 offset:52 ; 4-byte Folded Spill
	buffer_store_dword v99, off, s[24:27], 0 offset:56 ; 4-byte Folded Spill
	;; [unrolled: 1-line block ×3, first 2 shown]
	v_add_f64 v[123:124], v[123:124], -v[95:96]
.LBB104_545:
	s_or_b64 exec, exec, s[0:1]
	s_waitcnt vmcnt(0)
	s_barrier
	buffer_load_dword v69, off, s[24:27], 0 offset:32 ; 4-byte Folded Reload
	buffer_load_dword v70, off, s[24:27], 0 offset:36 ; 4-byte Folded Reload
	;; [unrolled: 1-line block ×4, first 2 shown]
	v_lshl_add_u32 v89, v93, 4, v0
	s_cmp_lt_i32 s3, 28
	s_waitcnt vmcnt(0)
	ds_write2_b64 v89, v[69:70], v[71:72] offset1:1
	s_waitcnt lgkmcnt(0)
	s_barrier
	ds_read2_b64 v[117:120], v0 offset0:52 offset1:53
	v_mov_b32_e32 v89, 26
	s_cbranch_scc1 .LBB104_548
; %bb.546:
	v_add_u32_e32 v90, 0x1b0, v0
	s_mov_b32 s0, 27
	v_mov_b32_e32 v89, 26
.LBB104_547:                            ; =>This Inner Loop Header: Depth=1
	s_waitcnt lgkmcnt(0)
	v_cmp_gt_f64_e32 vcc, 0, v[117:118]
	v_xor_b32_e32 v91, 0x80000000, v118
	ds_read2_b64 v[95:98], v90 offset1:1
	v_xor_b32_e32 v99, 0x80000000, v120
	v_add_u32_e32 v90, 16, v90
	s_waitcnt lgkmcnt(0)
	v_xor_b32_e32 v101, 0x80000000, v98
	v_cndmask_b32_e32 v92, v118, v91, vcc
	v_cmp_gt_f64_e32 vcc, 0, v[119:120]
	v_mov_b32_e32 v91, v117
	v_cndmask_b32_e32 v100, v120, v99, vcc
	v_cmp_gt_f64_e32 vcc, 0, v[95:96]
	v_mov_b32_e32 v99, v119
	v_add_f64 v[91:92], v[91:92], v[99:100]
	v_xor_b32_e32 v99, 0x80000000, v96
	v_cndmask_b32_e32 v100, v96, v99, vcc
	v_cmp_gt_f64_e32 vcc, 0, v[97:98]
	v_mov_b32_e32 v99, v95
	v_cndmask_b32_e32 v102, v98, v101, vcc
	v_mov_b32_e32 v101, v97
	v_add_f64 v[99:100], v[99:100], v[101:102]
	v_cmp_lt_f64_e32 vcc, v[91:92], v[99:100]
	v_mov_b32_e32 v91, s0
	s_add_i32 s0, s0, 1
	s_cmp_lg_u32 s3, s0
	v_cndmask_b32_e32 v118, v118, v96, vcc
	v_cndmask_b32_e32 v117, v117, v95, vcc
	;; [unrolled: 1-line block ×5, first 2 shown]
	s_cbranch_scc1 .LBB104_547
.LBB104_548:
	s_waitcnt lgkmcnt(0)
	v_cmp_eq_f64_e32 vcc, 0, v[117:118]
	v_cmp_eq_f64_e64 s[0:1], 0, v[119:120]
	s_and_b64 s[0:1], vcc, s[0:1]
	s_and_saveexec_b64 s[18:19], s[0:1]
	s_xor_b64 s[0:1], exec, s[18:19]
; %bb.549:
	v_cmp_ne_u32_e32 vcc, 0, v94
	v_cndmask_b32_e32 v94, 27, v94, vcc
; %bb.550:
	s_andn2_saveexec_b64 s[0:1], s[0:1]
	s_cbranch_execz .LBB104_556
; %bb.551:
	v_cmp_ngt_f64_e64 s[18:19], |v[117:118]|, |v[119:120]|
	s_and_saveexec_b64 s[20:21], s[18:19]
	s_xor_b64 s[18:19], exec, s[20:21]
	s_cbranch_execz .LBB104_553
; %bb.552:
	v_div_scale_f64 v[90:91], s[20:21], v[119:120], v[119:120], v[117:118]
	v_rcp_f64_e32 v[95:96], v[90:91]
	v_fma_f64 v[97:98], -v[90:91], v[95:96], 1.0
	v_fma_f64 v[95:96], v[95:96], v[97:98], v[95:96]
	v_div_scale_f64 v[97:98], vcc, v[117:118], v[119:120], v[117:118]
	v_fma_f64 v[99:100], -v[90:91], v[95:96], 1.0
	v_fma_f64 v[95:96], v[95:96], v[99:100], v[95:96]
	v_mul_f64 v[99:100], v[97:98], v[95:96]
	v_fma_f64 v[90:91], -v[90:91], v[99:100], v[97:98]
	v_div_fmas_f64 v[90:91], v[90:91], v[95:96], v[99:100]
	v_div_fixup_f64 v[90:91], v[90:91], v[119:120], v[117:118]
	v_fma_f64 v[95:96], v[117:118], v[90:91], v[119:120]
	v_div_scale_f64 v[97:98], s[20:21], v[95:96], v[95:96], 1.0
	v_div_scale_f64 v[103:104], vcc, 1.0, v[95:96], 1.0
	v_rcp_f64_e32 v[99:100], v[97:98]
	v_fma_f64 v[101:102], -v[97:98], v[99:100], 1.0
	v_fma_f64 v[99:100], v[99:100], v[101:102], v[99:100]
	v_fma_f64 v[101:102], -v[97:98], v[99:100], 1.0
	v_fma_f64 v[99:100], v[99:100], v[101:102], v[99:100]
	v_mul_f64 v[101:102], v[103:104], v[99:100]
	v_fma_f64 v[97:98], -v[97:98], v[101:102], v[103:104]
	v_div_fmas_f64 v[97:98], v[97:98], v[99:100], v[101:102]
	v_div_fixup_f64 v[119:120], v[97:98], v[95:96], 1.0
	v_mul_f64 v[117:118], v[90:91], v[119:120]
	v_xor_b32_e32 v120, 0x80000000, v120
.LBB104_553:
	s_andn2_saveexec_b64 s[18:19], s[18:19]
	s_cbranch_execz .LBB104_555
; %bb.554:
	v_div_scale_f64 v[90:91], s[20:21], v[117:118], v[117:118], v[119:120]
	v_rcp_f64_e32 v[95:96], v[90:91]
	v_fma_f64 v[97:98], -v[90:91], v[95:96], 1.0
	v_fma_f64 v[95:96], v[95:96], v[97:98], v[95:96]
	v_div_scale_f64 v[97:98], vcc, v[119:120], v[117:118], v[119:120]
	v_fma_f64 v[99:100], -v[90:91], v[95:96], 1.0
	v_fma_f64 v[95:96], v[95:96], v[99:100], v[95:96]
	v_mul_f64 v[99:100], v[97:98], v[95:96]
	v_fma_f64 v[90:91], -v[90:91], v[99:100], v[97:98]
	v_div_fmas_f64 v[90:91], v[90:91], v[95:96], v[99:100]
	v_div_fixup_f64 v[90:91], v[90:91], v[117:118], v[119:120]
	v_fma_f64 v[95:96], v[119:120], v[90:91], v[117:118]
	v_div_scale_f64 v[97:98], s[20:21], v[95:96], v[95:96], 1.0
	v_div_scale_f64 v[103:104], vcc, 1.0, v[95:96], 1.0
	v_rcp_f64_e32 v[99:100], v[97:98]
	v_fma_f64 v[101:102], -v[97:98], v[99:100], 1.0
	v_fma_f64 v[99:100], v[99:100], v[101:102], v[99:100]
	v_fma_f64 v[101:102], -v[97:98], v[99:100], 1.0
	v_fma_f64 v[99:100], v[99:100], v[101:102], v[99:100]
	v_mul_f64 v[101:102], v[103:104], v[99:100]
	v_fma_f64 v[97:98], -v[97:98], v[101:102], v[103:104]
	v_div_fmas_f64 v[97:98], v[97:98], v[99:100], v[101:102]
	v_div_fixup_f64 v[117:118], v[97:98], v[95:96], 1.0
	v_mul_f64 v[119:120], v[90:91], -v[117:118]
.LBB104_555:
	s_or_b64 exec, exec, s[18:19]
.LBB104_556:
	s_or_b64 exec, exec, s[0:1]
	v_cmp_ne_u32_e32 vcc, v93, v89
	s_and_saveexec_b64 s[0:1], vcc
	s_xor_b64 s[0:1], exec, s[0:1]
	s_cbranch_execz .LBB104_562
; %bb.557:
	v_cmp_eq_u32_e32 vcc, 26, v93
	s_and_saveexec_b64 s[18:19], vcc
	s_cbranch_execz .LBB104_561
; %bb.558:
	v_cmp_ne_u32_e32 vcc, 26, v89
	s_xor_b64 s[20:21], s[6:7], -1
	s_and_b64 s[22:23], s[20:21], vcc
	s_and_saveexec_b64 s[20:21], s[22:23]
	s_cbranch_execz .LBB104_560
; %bb.559:
	v_mov_b32_e32 v69, v81
	v_mov_b32_e32 v70, v82
	;; [unrolled: 1-line block ×4, first 2 shown]
	buffer_load_dword v81, off, s[24:27], 0 offset:420 ; 4-byte Folded Reload
	buffer_load_dword v82, off, s[24:27], 0 offset:424 ; 4-byte Folded Reload
	v_ashrrev_i32_e32 v90, 31, v89
	v_lshlrev_b64 v[90:91], 2, v[89:90]
	s_waitcnt vmcnt(1)
	v_add_co_u32_e32 v90, vcc, v81, v90
	s_waitcnt vmcnt(0)
	v_addc_co_u32_e32 v91, vcc, v82, v91, vcc
	global_load_dword v92, v[90:91], off
	global_load_dword v93, v[81:82], off offset:104
	s_waitcnt vmcnt(1)
	global_store_dword v[81:82], v92, off offset:104
	v_mov_b32_e32 v84, v72
	v_mov_b32_e32 v83, v71
	;; [unrolled: 1-line block ×4, first 2 shown]
	s_waitcnt vmcnt(1)
	global_store_dword v[90:91], v93, off
.LBB104_560:
	s_or_b64 exec, exec, s[20:21]
	v_mov_b32_e32 v93, v89
	v_mov_b32_e32 v69, v89
	buffer_store_dword v69, off, s[24:27], 0 offset:352 ; 4-byte Folded Spill
.LBB104_561:
	s_or_b64 exec, exec, s[18:19]
.LBB104_562:
	s_andn2_saveexec_b64 s[0:1], s[0:1]
	s_cbranch_execz .LBB104_564
; %bb.563:
	buffer_load_dword v69, off, s[24:27], 0 offset:16 ; 4-byte Folded Reload
	buffer_load_dword v70, off, s[24:27], 0 offset:20 ; 4-byte Folded Reload
	;; [unrolled: 1-line block ×4, first 2 shown]
	v_mov_b32_e32 v93, 26
	s_waitcnt vmcnt(0)
	ds_write2_b64 v0, v[69:70], v[71:72] offset0:54 offset1:55
	ds_write2_b64 v0, v[81:82], v[83:84] offset0:56 offset1:57
	;; [unrolled: 1-line block ×7, first 2 shown]
	buffer_load_dword v69, off, s[24:27], 0 ; 4-byte Folded Reload
	buffer_load_dword v70, off, s[24:27], 0 offset:4 ; 4-byte Folded Reload
	buffer_load_dword v71, off, s[24:27], 0 offset:8 ; 4-byte Folded Reload
	;; [unrolled: 1-line block ×3, first 2 shown]
	s_waitcnt vmcnt(0)
	ds_write2_b64 v0, v[69:70], v[71:72] offset0:68 offset1:69
	ds_write2_b64 v0, v[65:66], v[67:68] offset0:70 offset1:71
	ds_write2_b64 v0, v[61:62], v[63:64] offset0:72 offset1:73
	ds_write2_b64 v0, v[57:58], v[59:60] offset0:74 offset1:75
	ds_write2_b64 v0, v[53:54], v[55:56] offset0:76 offset1:77
	ds_write2_b64 v0, v[49:50], v[51:52] offset0:78 offset1:79
	ds_write2_b64 v0, v[45:46], v[47:48] offset0:80 offset1:81
	ds_write2_b64 v0, v[41:42], v[43:44] offset0:82 offset1:83
	ds_write2_b64 v0, v[37:38], v[39:40] offset0:84 offset1:85
	ds_write2_b64 v0, v[33:34], v[35:36] offset0:86 offset1:87
	ds_write2_b64 v0, v[29:30], v[31:32] offset0:88 offset1:89
	ds_write2_b64 v0, v[25:26], v[27:28] offset0:90 offset1:91
	ds_write2_b64 v0, v[21:22], v[23:24] offset0:92 offset1:93
	ds_write2_b64 v0, v[17:18], v[19:20] offset0:94 offset1:95
	ds_write2_b64 v0, v[13:14], v[15:16] offset0:96 offset1:97
	ds_write2_b64 v0, v[9:10], v[11:12] offset0:98 offset1:99
	ds_write2_b64 v0, v[5:6], v[7:8] offset0:100 offset1:101
	ds_write2_b64 v0, v[1:2], v[3:4] offset0:102 offset1:103
	ds_write2_b64 v0, v[121:122], v[123:124] offset0:104 offset1:105
.LBB104_564:
	s_or_b64 exec, exec, s[0:1]
	v_cmp_lt_i32_e32 vcc, 26, v93
	s_waitcnt vmcnt(0) lgkmcnt(0)
	s_barrier
	s_and_saveexec_b64 s[0:1], vcc
	s_cbranch_execz .LBB104_566
; %bb.565:
	buffer_load_dword v97, off, s[24:27], 0 offset:32 ; 4-byte Folded Reload
	buffer_load_dword v98, off, s[24:27], 0 offset:36 ; 4-byte Folded Reload
	;; [unrolled: 1-line block ×4, first 2 shown]
	s_waitcnt vmcnt(0)
	v_mul_f64 v[89:90], v[119:120], v[99:100]
	v_mul_f64 v[91:92], v[117:118], v[99:100]
	v_fma_f64 v[89:90], v[117:118], v[97:98], -v[89:90]
	v_fma_f64 v[99:100], v[119:120], v[97:98], v[91:92]
	ds_read2_b64 v[95:98], v0 offset0:54 offset1:55
	buffer_load_dword v69, off, s[24:27], 0 offset:16 ; 4-byte Folded Reload
	buffer_load_dword v70, off, s[24:27], 0 offset:20 ; 4-byte Folded Reload
	;; [unrolled: 1-line block ×4, first 2 shown]
	s_waitcnt lgkmcnt(0)
	v_mul_f64 v[91:92], v[97:98], v[99:100]
	v_fma_f64 v[91:92], v[95:96], v[89:90], -v[91:92]
	v_mul_f64 v[95:96], v[95:96], v[99:100]
	v_fma_f64 v[95:96], v[97:98], v[89:90], v[95:96]
	s_waitcnt vmcnt(2)
	v_add_f64 v[69:70], v[69:70], -v[91:92]
	s_waitcnt vmcnt(0)
	v_add_f64 v[71:72], v[71:72], -v[95:96]
	buffer_store_dword v69, off, s[24:27], 0 offset:16 ; 4-byte Folded Spill
	s_nop 0
	buffer_store_dword v70, off, s[24:27], 0 offset:20 ; 4-byte Folded Spill
	buffer_store_dword v71, off, s[24:27], 0 offset:24 ; 4-byte Folded Spill
	;; [unrolled: 1-line block ×3, first 2 shown]
	ds_read2_b64 v[95:98], v0 offset0:56 offset1:57
	s_waitcnt lgkmcnt(0)
	v_mul_f64 v[91:92], v[97:98], v[99:100]
	v_fma_f64 v[91:92], v[95:96], v[89:90], -v[91:92]
	v_mul_f64 v[95:96], v[95:96], v[99:100]
	v_add_f64 v[81:82], v[81:82], -v[91:92]
	v_fma_f64 v[95:96], v[97:98], v[89:90], v[95:96]
	v_add_f64 v[83:84], v[83:84], -v[95:96]
	ds_read2_b64 v[95:98], v0 offset0:58 offset1:59
	s_waitcnt lgkmcnt(0)
	v_mul_f64 v[91:92], v[97:98], v[99:100]
	v_fma_f64 v[91:92], v[95:96], v[89:90], -v[91:92]
	v_mul_f64 v[95:96], v[95:96], v[99:100]
	v_add_f64 v[85:86], v[85:86], -v[91:92]
	v_fma_f64 v[95:96], v[97:98], v[89:90], v[95:96]
	v_add_f64 v[87:88], v[87:88], -v[95:96]
	;; [unrolled: 8-line block ×6, first 2 shown]
	ds_read2_b64 v[95:98], v0 offset0:68 offset1:69
	buffer_load_dword v69, off, s[24:27], 0 ; 4-byte Folded Reload
	buffer_load_dword v70, off, s[24:27], 0 offset:4 ; 4-byte Folded Reload
	buffer_load_dword v71, off, s[24:27], 0 offset:8 ; 4-byte Folded Reload
	;; [unrolled: 1-line block ×3, first 2 shown]
	s_waitcnt lgkmcnt(0)
	v_mul_f64 v[91:92], v[97:98], v[99:100]
	v_fma_f64 v[91:92], v[95:96], v[89:90], -v[91:92]
	v_mul_f64 v[95:96], v[95:96], v[99:100]
	v_fma_f64 v[95:96], v[97:98], v[89:90], v[95:96]
	s_waitcnt vmcnt(2)
	v_add_f64 v[69:70], v[69:70], -v[91:92]
	s_waitcnt vmcnt(0)
	v_add_f64 v[71:72], v[71:72], -v[95:96]
	buffer_store_dword v69, off, s[24:27], 0 ; 4-byte Folded Spill
	s_nop 0
	buffer_store_dword v70, off, s[24:27], 0 offset:4 ; 4-byte Folded Spill
	buffer_store_dword v71, off, s[24:27], 0 offset:8 ; 4-byte Folded Spill
	;; [unrolled: 1-line block ×3, first 2 shown]
	ds_read2_b64 v[95:98], v0 offset0:70 offset1:71
	s_waitcnt lgkmcnt(0)
	v_mul_f64 v[91:92], v[97:98], v[99:100]
	v_fma_f64 v[91:92], v[95:96], v[89:90], -v[91:92]
	v_mul_f64 v[95:96], v[95:96], v[99:100]
	v_add_f64 v[65:66], v[65:66], -v[91:92]
	v_fma_f64 v[95:96], v[97:98], v[89:90], v[95:96]
	v_add_f64 v[67:68], v[67:68], -v[95:96]
	ds_read2_b64 v[95:98], v0 offset0:72 offset1:73
	s_waitcnt lgkmcnt(0)
	v_mul_f64 v[91:92], v[97:98], v[99:100]
	v_fma_f64 v[91:92], v[95:96], v[89:90], -v[91:92]
	v_mul_f64 v[95:96], v[95:96], v[99:100]
	v_add_f64 v[61:62], v[61:62], -v[91:92]
	v_fma_f64 v[95:96], v[97:98], v[89:90], v[95:96]
	v_add_f64 v[63:64], v[63:64], -v[95:96]
	;; [unrolled: 8-line block ×17, first 2 shown]
	ds_read2_b64 v[95:98], v0 offset0:104 offset1:105
	s_waitcnt lgkmcnt(0)
	v_mul_f64 v[91:92], v[97:98], v[99:100]
	v_fma_f64 v[91:92], v[95:96], v[89:90], -v[91:92]
	v_mul_f64 v[95:96], v[95:96], v[99:100]
	v_add_f64 v[121:122], v[121:122], -v[91:92]
	v_fma_f64 v[95:96], v[97:98], v[89:90], v[95:96]
	v_mov_b32_e32 v98, v90
	v_mov_b32_e32 v97, v89
	buffer_store_dword v97, off, s[24:27], 0 offset:32 ; 4-byte Folded Spill
	s_nop 0
	buffer_store_dword v98, off, s[24:27], 0 offset:36 ; 4-byte Folded Spill
	buffer_store_dword v99, off, s[24:27], 0 offset:40 ; 4-byte Folded Spill
	;; [unrolled: 1-line block ×3, first 2 shown]
	v_add_f64 v[123:124], v[123:124], -v[95:96]
.LBB104_566:
	s_or_b64 exec, exec, s[0:1]
	s_waitcnt vmcnt(0)
	s_barrier
	buffer_load_dword v69, off, s[24:27], 0 offset:16 ; 4-byte Folded Reload
	buffer_load_dword v70, off, s[24:27], 0 offset:20 ; 4-byte Folded Reload
	;; [unrolled: 1-line block ×4, first 2 shown]
	v_lshl_add_u32 v89, v93, 4, v0
	s_cmp_lt_i32 s3, 29
	s_waitcnt vmcnt(0)
	ds_write2_b64 v89, v[69:70], v[71:72] offset1:1
	s_waitcnt lgkmcnt(0)
	s_barrier
	ds_read2_b64 v[117:120], v0 offset0:54 offset1:55
	v_mov_b32_e32 v89, 27
	s_cbranch_scc1 .LBB104_569
; %bb.567:
	v_add_u32_e32 v90, 0x1c0, v0
	s_mov_b32 s0, 28
	v_mov_b32_e32 v89, 27
.LBB104_568:                            ; =>This Inner Loop Header: Depth=1
	s_waitcnt lgkmcnt(0)
	v_cmp_gt_f64_e32 vcc, 0, v[117:118]
	v_xor_b32_e32 v91, 0x80000000, v118
	ds_read2_b64 v[95:98], v90 offset1:1
	v_xor_b32_e32 v99, 0x80000000, v120
	v_add_u32_e32 v90, 16, v90
	s_waitcnt lgkmcnt(0)
	v_xor_b32_e32 v101, 0x80000000, v98
	v_cndmask_b32_e32 v92, v118, v91, vcc
	v_cmp_gt_f64_e32 vcc, 0, v[119:120]
	v_mov_b32_e32 v91, v117
	v_cndmask_b32_e32 v100, v120, v99, vcc
	v_cmp_gt_f64_e32 vcc, 0, v[95:96]
	v_mov_b32_e32 v99, v119
	v_add_f64 v[91:92], v[91:92], v[99:100]
	v_xor_b32_e32 v99, 0x80000000, v96
	v_cndmask_b32_e32 v100, v96, v99, vcc
	v_cmp_gt_f64_e32 vcc, 0, v[97:98]
	v_mov_b32_e32 v99, v95
	v_cndmask_b32_e32 v102, v98, v101, vcc
	v_mov_b32_e32 v101, v97
	v_add_f64 v[99:100], v[99:100], v[101:102]
	v_cmp_lt_f64_e32 vcc, v[91:92], v[99:100]
	v_mov_b32_e32 v91, s0
	s_add_i32 s0, s0, 1
	s_cmp_lg_u32 s3, s0
	v_cndmask_b32_e32 v118, v118, v96, vcc
	v_cndmask_b32_e32 v117, v117, v95, vcc
	;; [unrolled: 1-line block ×5, first 2 shown]
	s_cbranch_scc1 .LBB104_568
.LBB104_569:
	s_waitcnt lgkmcnt(0)
	v_cmp_eq_f64_e32 vcc, 0, v[117:118]
	v_cmp_eq_f64_e64 s[0:1], 0, v[119:120]
	s_and_b64 s[0:1], vcc, s[0:1]
	s_and_saveexec_b64 s[18:19], s[0:1]
	s_xor_b64 s[0:1], exec, s[18:19]
; %bb.570:
	v_cmp_ne_u32_e32 vcc, 0, v94
	v_cndmask_b32_e32 v94, 28, v94, vcc
; %bb.571:
	s_andn2_saveexec_b64 s[0:1], s[0:1]
	s_cbranch_execz .LBB104_577
; %bb.572:
	v_cmp_ngt_f64_e64 s[18:19], |v[117:118]|, |v[119:120]|
	s_and_saveexec_b64 s[20:21], s[18:19]
	s_xor_b64 s[18:19], exec, s[20:21]
	s_cbranch_execz .LBB104_574
; %bb.573:
	v_div_scale_f64 v[90:91], s[20:21], v[119:120], v[119:120], v[117:118]
	v_rcp_f64_e32 v[95:96], v[90:91]
	v_fma_f64 v[97:98], -v[90:91], v[95:96], 1.0
	v_fma_f64 v[95:96], v[95:96], v[97:98], v[95:96]
	v_div_scale_f64 v[97:98], vcc, v[117:118], v[119:120], v[117:118]
	v_fma_f64 v[99:100], -v[90:91], v[95:96], 1.0
	v_fma_f64 v[95:96], v[95:96], v[99:100], v[95:96]
	v_mul_f64 v[99:100], v[97:98], v[95:96]
	v_fma_f64 v[90:91], -v[90:91], v[99:100], v[97:98]
	v_div_fmas_f64 v[90:91], v[90:91], v[95:96], v[99:100]
	v_div_fixup_f64 v[90:91], v[90:91], v[119:120], v[117:118]
	v_fma_f64 v[95:96], v[117:118], v[90:91], v[119:120]
	v_div_scale_f64 v[97:98], s[20:21], v[95:96], v[95:96], 1.0
	v_div_scale_f64 v[103:104], vcc, 1.0, v[95:96], 1.0
	v_rcp_f64_e32 v[99:100], v[97:98]
	v_fma_f64 v[101:102], -v[97:98], v[99:100], 1.0
	v_fma_f64 v[99:100], v[99:100], v[101:102], v[99:100]
	v_fma_f64 v[101:102], -v[97:98], v[99:100], 1.0
	v_fma_f64 v[99:100], v[99:100], v[101:102], v[99:100]
	v_mul_f64 v[101:102], v[103:104], v[99:100]
	v_fma_f64 v[97:98], -v[97:98], v[101:102], v[103:104]
	v_div_fmas_f64 v[97:98], v[97:98], v[99:100], v[101:102]
	v_div_fixup_f64 v[119:120], v[97:98], v[95:96], 1.0
	v_mul_f64 v[117:118], v[90:91], v[119:120]
	v_xor_b32_e32 v120, 0x80000000, v120
.LBB104_574:
	s_andn2_saveexec_b64 s[18:19], s[18:19]
	s_cbranch_execz .LBB104_576
; %bb.575:
	v_div_scale_f64 v[90:91], s[20:21], v[117:118], v[117:118], v[119:120]
	v_rcp_f64_e32 v[95:96], v[90:91]
	v_fma_f64 v[97:98], -v[90:91], v[95:96], 1.0
	v_fma_f64 v[95:96], v[95:96], v[97:98], v[95:96]
	v_div_scale_f64 v[97:98], vcc, v[119:120], v[117:118], v[119:120]
	v_fma_f64 v[99:100], -v[90:91], v[95:96], 1.0
	v_fma_f64 v[95:96], v[95:96], v[99:100], v[95:96]
	v_mul_f64 v[99:100], v[97:98], v[95:96]
	v_fma_f64 v[90:91], -v[90:91], v[99:100], v[97:98]
	v_div_fmas_f64 v[90:91], v[90:91], v[95:96], v[99:100]
	v_div_fixup_f64 v[90:91], v[90:91], v[117:118], v[119:120]
	v_fma_f64 v[95:96], v[119:120], v[90:91], v[117:118]
	v_div_scale_f64 v[97:98], s[20:21], v[95:96], v[95:96], 1.0
	v_div_scale_f64 v[103:104], vcc, 1.0, v[95:96], 1.0
	v_rcp_f64_e32 v[99:100], v[97:98]
	v_fma_f64 v[101:102], -v[97:98], v[99:100], 1.0
	v_fma_f64 v[99:100], v[99:100], v[101:102], v[99:100]
	v_fma_f64 v[101:102], -v[97:98], v[99:100], 1.0
	v_fma_f64 v[99:100], v[99:100], v[101:102], v[99:100]
	v_mul_f64 v[101:102], v[103:104], v[99:100]
	v_fma_f64 v[97:98], -v[97:98], v[101:102], v[103:104]
	v_div_fmas_f64 v[97:98], v[97:98], v[99:100], v[101:102]
	v_div_fixup_f64 v[117:118], v[97:98], v[95:96], 1.0
	v_mul_f64 v[119:120], v[90:91], -v[117:118]
.LBB104_576:
	s_or_b64 exec, exec, s[18:19]
.LBB104_577:
	s_or_b64 exec, exec, s[0:1]
	v_cmp_ne_u32_e32 vcc, v93, v89
	s_and_saveexec_b64 s[0:1], vcc
	s_xor_b64 s[0:1], exec, s[0:1]
	s_cbranch_execz .LBB104_583
; %bb.578:
	v_cmp_eq_u32_e32 vcc, 27, v93
	s_and_saveexec_b64 s[18:19], vcc
	s_cbranch_execz .LBB104_582
; %bb.579:
	v_cmp_ne_u32_e32 vcc, 27, v89
	s_xor_b64 s[20:21], s[6:7], -1
	s_and_b64 s[22:23], s[20:21], vcc
	s_and_saveexec_b64 s[20:21], s[22:23]
	s_cbranch_execz .LBB104_581
; %bb.580:
	v_mov_b32_e32 v69, v81
	v_mov_b32_e32 v70, v82
	;; [unrolled: 1-line block ×4, first 2 shown]
	buffer_load_dword v81, off, s[24:27], 0 offset:420 ; 4-byte Folded Reload
	buffer_load_dword v82, off, s[24:27], 0 offset:424 ; 4-byte Folded Reload
	v_ashrrev_i32_e32 v90, 31, v89
	v_lshlrev_b64 v[90:91], 2, v[89:90]
	s_waitcnt vmcnt(1)
	v_add_co_u32_e32 v90, vcc, v81, v90
	s_waitcnt vmcnt(0)
	v_addc_co_u32_e32 v91, vcc, v82, v91, vcc
	global_load_dword v92, v[90:91], off
	global_load_dword v93, v[81:82], off offset:108
	s_waitcnt vmcnt(1)
	global_store_dword v[81:82], v92, off offset:108
	v_mov_b32_e32 v84, v72
	v_mov_b32_e32 v83, v71
	;; [unrolled: 1-line block ×4, first 2 shown]
	s_waitcnt vmcnt(1)
	global_store_dword v[90:91], v93, off
.LBB104_581:
	s_or_b64 exec, exec, s[20:21]
	v_mov_b32_e32 v93, v89
	v_mov_b32_e32 v69, v89
	buffer_store_dword v69, off, s[24:27], 0 offset:352 ; 4-byte Folded Spill
.LBB104_582:
	s_or_b64 exec, exec, s[18:19]
.LBB104_583:
	s_andn2_saveexec_b64 s[0:1], s[0:1]
	s_cbranch_execz .LBB104_585
; %bb.584:
	ds_write2_b64 v0, v[81:82], v[83:84] offset0:56 offset1:57
	ds_write2_b64 v0, v[85:86], v[87:88] offset0:58 offset1:59
	;; [unrolled: 1-line block ×6, first 2 shown]
	buffer_load_dword v69, off, s[24:27], 0 ; 4-byte Folded Reload
	buffer_load_dword v70, off, s[24:27], 0 offset:4 ; 4-byte Folded Reload
	buffer_load_dword v71, off, s[24:27], 0 offset:8 ; 4-byte Folded Reload
	;; [unrolled: 1-line block ×3, first 2 shown]
	v_mov_b32_e32 v93, 27
	s_waitcnt vmcnt(0)
	ds_write2_b64 v0, v[69:70], v[71:72] offset0:68 offset1:69
	ds_write2_b64 v0, v[65:66], v[67:68] offset0:70 offset1:71
	;; [unrolled: 1-line block ×19, first 2 shown]
.LBB104_585:
	s_or_b64 exec, exec, s[0:1]
	v_cmp_lt_i32_e32 vcc, 27, v93
	s_waitcnt vmcnt(0) lgkmcnt(0)
	s_barrier
	s_and_saveexec_b64 s[0:1], vcc
	s_cbranch_execz .LBB104_587
; %bb.586:
	buffer_load_dword v97, off, s[24:27], 0 offset:16 ; 4-byte Folded Reload
	buffer_load_dword v98, off, s[24:27], 0 offset:20 ; 4-byte Folded Reload
	;; [unrolled: 1-line block ×4, first 2 shown]
	s_waitcnt vmcnt(0)
	v_mul_f64 v[91:92], v[117:118], v[99:100]
	v_mul_f64 v[89:90], v[119:120], v[99:100]
	v_fma_f64 v[99:100], v[119:120], v[97:98], v[91:92]
	v_fma_f64 v[89:90], v[117:118], v[97:98], -v[89:90]
	ds_read2_b64 v[95:98], v0 offset0:56 offset1:57
	s_waitcnt lgkmcnt(0)
	v_mul_f64 v[91:92], v[97:98], v[99:100]
	v_fma_f64 v[91:92], v[95:96], v[89:90], -v[91:92]
	v_mul_f64 v[95:96], v[95:96], v[99:100]
	v_add_f64 v[81:82], v[81:82], -v[91:92]
	v_fma_f64 v[95:96], v[97:98], v[89:90], v[95:96]
	v_add_f64 v[83:84], v[83:84], -v[95:96]
	ds_read2_b64 v[95:98], v0 offset0:58 offset1:59
	s_waitcnt lgkmcnt(0)
	v_mul_f64 v[91:92], v[97:98], v[99:100]
	v_fma_f64 v[91:92], v[95:96], v[89:90], -v[91:92]
	v_mul_f64 v[95:96], v[95:96], v[99:100]
	v_add_f64 v[85:86], v[85:86], -v[91:92]
	v_fma_f64 v[95:96], v[97:98], v[89:90], v[95:96]
	v_add_f64 v[87:88], v[87:88], -v[95:96]
	;; [unrolled: 8-line block ×6, first 2 shown]
	ds_read2_b64 v[95:98], v0 offset0:68 offset1:69
	buffer_load_dword v69, off, s[24:27], 0 ; 4-byte Folded Reload
	buffer_load_dword v70, off, s[24:27], 0 offset:4 ; 4-byte Folded Reload
	buffer_load_dword v71, off, s[24:27], 0 offset:8 ; 4-byte Folded Reload
	buffer_load_dword v72, off, s[24:27], 0 offset:12 ; 4-byte Folded Reload
	s_waitcnt lgkmcnt(0)
	v_mul_f64 v[91:92], v[97:98], v[99:100]
	v_fma_f64 v[91:92], v[95:96], v[89:90], -v[91:92]
	v_mul_f64 v[95:96], v[95:96], v[99:100]
	v_fma_f64 v[95:96], v[97:98], v[89:90], v[95:96]
	s_waitcnt vmcnt(2)
	v_add_f64 v[69:70], v[69:70], -v[91:92]
	s_waitcnt vmcnt(0)
	v_add_f64 v[71:72], v[71:72], -v[95:96]
	buffer_store_dword v69, off, s[24:27], 0 ; 4-byte Folded Spill
	s_nop 0
	buffer_store_dword v70, off, s[24:27], 0 offset:4 ; 4-byte Folded Spill
	buffer_store_dword v71, off, s[24:27], 0 offset:8 ; 4-byte Folded Spill
	;; [unrolled: 1-line block ×3, first 2 shown]
	ds_read2_b64 v[95:98], v0 offset0:70 offset1:71
	s_waitcnt lgkmcnt(0)
	v_mul_f64 v[91:92], v[97:98], v[99:100]
	v_fma_f64 v[91:92], v[95:96], v[89:90], -v[91:92]
	v_mul_f64 v[95:96], v[95:96], v[99:100]
	v_add_f64 v[65:66], v[65:66], -v[91:92]
	v_fma_f64 v[95:96], v[97:98], v[89:90], v[95:96]
	v_add_f64 v[67:68], v[67:68], -v[95:96]
	ds_read2_b64 v[95:98], v0 offset0:72 offset1:73
	s_waitcnt lgkmcnt(0)
	v_mul_f64 v[91:92], v[97:98], v[99:100]
	v_fma_f64 v[91:92], v[95:96], v[89:90], -v[91:92]
	v_mul_f64 v[95:96], v[95:96], v[99:100]
	v_add_f64 v[61:62], v[61:62], -v[91:92]
	v_fma_f64 v[95:96], v[97:98], v[89:90], v[95:96]
	v_add_f64 v[63:64], v[63:64], -v[95:96]
	;; [unrolled: 8-line block ×17, first 2 shown]
	ds_read2_b64 v[95:98], v0 offset0:104 offset1:105
	s_waitcnt lgkmcnt(0)
	v_mul_f64 v[91:92], v[97:98], v[99:100]
	v_fma_f64 v[91:92], v[95:96], v[89:90], -v[91:92]
	v_mul_f64 v[95:96], v[95:96], v[99:100]
	v_add_f64 v[121:122], v[121:122], -v[91:92]
	v_fma_f64 v[95:96], v[97:98], v[89:90], v[95:96]
	v_mov_b32_e32 v98, v90
	v_mov_b32_e32 v97, v89
	buffer_store_dword v97, off, s[24:27], 0 offset:16 ; 4-byte Folded Spill
	s_nop 0
	buffer_store_dword v98, off, s[24:27], 0 offset:20 ; 4-byte Folded Spill
	buffer_store_dword v99, off, s[24:27], 0 offset:24 ; 4-byte Folded Spill
	buffer_store_dword v100, off, s[24:27], 0 offset:28 ; 4-byte Folded Spill
	v_add_f64 v[123:124], v[123:124], -v[95:96]
.LBB104_587:
	s_or_b64 exec, exec, s[0:1]
	v_lshl_add_u32 v89, v93, 4, v0
	s_waitcnt vmcnt(0)
	s_barrier
	ds_write2_b64 v89, v[81:82], v[83:84] offset1:1
	s_waitcnt lgkmcnt(0)
	s_barrier
	ds_read2_b64 v[117:120], v0 offset0:56 offset1:57
	s_cmp_lt_i32 s3, 30
	v_mov_b32_e32 v89, 28
	s_cbranch_scc1 .LBB104_590
; %bb.588:
	v_add_u32_e32 v90, 0x1d0, v0
	s_mov_b32 s0, 29
	v_mov_b32_e32 v89, 28
.LBB104_589:                            ; =>This Inner Loop Header: Depth=1
	s_waitcnt lgkmcnt(0)
	v_cmp_gt_f64_e32 vcc, 0, v[117:118]
	v_xor_b32_e32 v91, 0x80000000, v118
	ds_read2_b64 v[95:98], v90 offset1:1
	v_xor_b32_e32 v99, 0x80000000, v120
	v_add_u32_e32 v90, 16, v90
	s_waitcnt lgkmcnt(0)
	v_xor_b32_e32 v101, 0x80000000, v98
	v_cndmask_b32_e32 v92, v118, v91, vcc
	v_cmp_gt_f64_e32 vcc, 0, v[119:120]
	v_mov_b32_e32 v91, v117
	v_cndmask_b32_e32 v100, v120, v99, vcc
	v_cmp_gt_f64_e32 vcc, 0, v[95:96]
	v_mov_b32_e32 v99, v119
	v_add_f64 v[91:92], v[91:92], v[99:100]
	v_xor_b32_e32 v99, 0x80000000, v96
	v_cndmask_b32_e32 v100, v96, v99, vcc
	v_cmp_gt_f64_e32 vcc, 0, v[97:98]
	v_mov_b32_e32 v99, v95
	v_cndmask_b32_e32 v102, v98, v101, vcc
	v_mov_b32_e32 v101, v97
	v_add_f64 v[99:100], v[99:100], v[101:102]
	v_cmp_lt_f64_e32 vcc, v[91:92], v[99:100]
	v_mov_b32_e32 v91, s0
	s_add_i32 s0, s0, 1
	s_cmp_lg_u32 s3, s0
	v_cndmask_b32_e32 v118, v118, v96, vcc
	v_cndmask_b32_e32 v117, v117, v95, vcc
	;; [unrolled: 1-line block ×5, first 2 shown]
	s_cbranch_scc1 .LBB104_589
.LBB104_590:
	s_waitcnt lgkmcnt(0)
	v_cmp_eq_f64_e32 vcc, 0, v[117:118]
	v_cmp_eq_f64_e64 s[0:1], 0, v[119:120]
	s_and_b64 s[0:1], vcc, s[0:1]
	s_and_saveexec_b64 s[18:19], s[0:1]
	s_xor_b64 s[0:1], exec, s[18:19]
; %bb.591:
	v_cmp_ne_u32_e32 vcc, 0, v94
	v_cndmask_b32_e32 v94, 29, v94, vcc
; %bb.592:
	s_andn2_saveexec_b64 s[0:1], s[0:1]
	s_cbranch_execz .LBB104_598
; %bb.593:
	v_cmp_ngt_f64_e64 s[18:19], |v[117:118]|, |v[119:120]|
	s_and_saveexec_b64 s[20:21], s[18:19]
	s_xor_b64 s[18:19], exec, s[20:21]
	s_cbranch_execz .LBB104_595
; %bb.594:
	v_div_scale_f64 v[90:91], s[20:21], v[119:120], v[119:120], v[117:118]
	v_rcp_f64_e32 v[95:96], v[90:91]
	v_fma_f64 v[97:98], -v[90:91], v[95:96], 1.0
	v_fma_f64 v[95:96], v[95:96], v[97:98], v[95:96]
	v_div_scale_f64 v[97:98], vcc, v[117:118], v[119:120], v[117:118]
	v_fma_f64 v[99:100], -v[90:91], v[95:96], 1.0
	v_fma_f64 v[95:96], v[95:96], v[99:100], v[95:96]
	v_mul_f64 v[99:100], v[97:98], v[95:96]
	v_fma_f64 v[90:91], -v[90:91], v[99:100], v[97:98]
	v_div_fmas_f64 v[90:91], v[90:91], v[95:96], v[99:100]
	v_div_fixup_f64 v[90:91], v[90:91], v[119:120], v[117:118]
	v_fma_f64 v[95:96], v[117:118], v[90:91], v[119:120]
	v_div_scale_f64 v[97:98], s[20:21], v[95:96], v[95:96], 1.0
	v_div_scale_f64 v[103:104], vcc, 1.0, v[95:96], 1.0
	v_rcp_f64_e32 v[99:100], v[97:98]
	v_fma_f64 v[101:102], -v[97:98], v[99:100], 1.0
	v_fma_f64 v[99:100], v[99:100], v[101:102], v[99:100]
	v_fma_f64 v[101:102], -v[97:98], v[99:100], 1.0
	v_fma_f64 v[99:100], v[99:100], v[101:102], v[99:100]
	v_mul_f64 v[101:102], v[103:104], v[99:100]
	v_fma_f64 v[97:98], -v[97:98], v[101:102], v[103:104]
	v_div_fmas_f64 v[97:98], v[97:98], v[99:100], v[101:102]
	v_div_fixup_f64 v[119:120], v[97:98], v[95:96], 1.0
	v_mul_f64 v[117:118], v[90:91], v[119:120]
	v_xor_b32_e32 v120, 0x80000000, v120
.LBB104_595:
	s_andn2_saveexec_b64 s[18:19], s[18:19]
	s_cbranch_execz .LBB104_597
; %bb.596:
	v_div_scale_f64 v[90:91], s[20:21], v[117:118], v[117:118], v[119:120]
	v_rcp_f64_e32 v[95:96], v[90:91]
	v_fma_f64 v[97:98], -v[90:91], v[95:96], 1.0
	v_fma_f64 v[95:96], v[95:96], v[97:98], v[95:96]
	v_div_scale_f64 v[97:98], vcc, v[119:120], v[117:118], v[119:120]
	v_fma_f64 v[99:100], -v[90:91], v[95:96], 1.0
	v_fma_f64 v[95:96], v[95:96], v[99:100], v[95:96]
	v_mul_f64 v[99:100], v[97:98], v[95:96]
	v_fma_f64 v[90:91], -v[90:91], v[99:100], v[97:98]
	v_div_fmas_f64 v[90:91], v[90:91], v[95:96], v[99:100]
	v_div_fixup_f64 v[90:91], v[90:91], v[117:118], v[119:120]
	v_fma_f64 v[95:96], v[119:120], v[90:91], v[117:118]
	v_div_scale_f64 v[97:98], s[20:21], v[95:96], v[95:96], 1.0
	v_div_scale_f64 v[103:104], vcc, 1.0, v[95:96], 1.0
	v_rcp_f64_e32 v[99:100], v[97:98]
	v_fma_f64 v[101:102], -v[97:98], v[99:100], 1.0
	v_fma_f64 v[99:100], v[99:100], v[101:102], v[99:100]
	v_fma_f64 v[101:102], -v[97:98], v[99:100], 1.0
	v_fma_f64 v[99:100], v[99:100], v[101:102], v[99:100]
	v_mul_f64 v[101:102], v[103:104], v[99:100]
	v_fma_f64 v[97:98], -v[97:98], v[101:102], v[103:104]
	v_div_fmas_f64 v[97:98], v[97:98], v[99:100], v[101:102]
	v_div_fixup_f64 v[117:118], v[97:98], v[95:96], 1.0
	v_mul_f64 v[119:120], v[90:91], -v[117:118]
.LBB104_597:
	s_or_b64 exec, exec, s[18:19]
.LBB104_598:
	s_or_b64 exec, exec, s[0:1]
	v_cmp_ne_u32_e32 vcc, v93, v89
	s_and_saveexec_b64 s[0:1], vcc
	s_xor_b64 s[0:1], exec, s[0:1]
	s_cbranch_execz .LBB104_604
; %bb.599:
	v_cmp_eq_u32_e32 vcc, 28, v93
	s_and_saveexec_b64 s[18:19], vcc
	s_cbranch_execz .LBB104_603
; %bb.600:
	v_cmp_ne_u32_e32 vcc, 28, v89
	s_xor_b64 s[20:21], s[6:7], -1
	s_and_b64 s[22:23], s[20:21], vcc
	s_and_saveexec_b64 s[20:21], s[22:23]
	s_cbranch_execz .LBB104_602
; %bb.601:
	v_mov_b32_e32 v69, v81
	v_mov_b32_e32 v70, v82
	;; [unrolled: 1-line block ×4, first 2 shown]
	buffer_load_dword v81, off, s[24:27], 0 offset:420 ; 4-byte Folded Reload
	buffer_load_dword v82, off, s[24:27], 0 offset:424 ; 4-byte Folded Reload
	v_ashrrev_i32_e32 v90, 31, v89
	v_lshlrev_b64 v[90:91], 2, v[89:90]
	s_waitcnt vmcnt(1)
	v_add_co_u32_e32 v90, vcc, v81, v90
	s_waitcnt vmcnt(0)
	v_addc_co_u32_e32 v91, vcc, v82, v91, vcc
	global_load_dword v92, v[90:91], off
	global_load_dword v93, v[81:82], off offset:112
	s_waitcnt vmcnt(1)
	global_store_dword v[81:82], v92, off offset:112
	v_mov_b32_e32 v84, v72
	v_mov_b32_e32 v83, v71
	;; [unrolled: 1-line block ×4, first 2 shown]
	s_waitcnt vmcnt(1)
	global_store_dword v[90:91], v93, off
.LBB104_602:
	s_or_b64 exec, exec, s[20:21]
	v_mov_b32_e32 v93, v89
	v_mov_b32_e32 v69, v89
	buffer_store_dword v69, off, s[24:27], 0 offset:352 ; 4-byte Folded Spill
.LBB104_603:
	s_or_b64 exec, exec, s[18:19]
.LBB104_604:
	s_andn2_saveexec_b64 s[0:1], s[0:1]
	s_cbranch_execz .LBB104_606
; %bb.605:
	ds_write2_b64 v0, v[85:86], v[87:88] offset0:58 offset1:59
	ds_write2_b64 v0, v[109:110], v[111:112] offset0:60 offset1:61
	;; [unrolled: 1-line block ×5, first 2 shown]
	buffer_load_dword v69, off, s[24:27], 0 ; 4-byte Folded Reload
	buffer_load_dword v70, off, s[24:27], 0 offset:4 ; 4-byte Folded Reload
	buffer_load_dword v71, off, s[24:27], 0 offset:8 ; 4-byte Folded Reload
	;; [unrolled: 1-line block ×3, first 2 shown]
	v_mov_b32_e32 v93, 28
	s_waitcnt vmcnt(0)
	ds_write2_b64 v0, v[69:70], v[71:72] offset0:68 offset1:69
	ds_write2_b64 v0, v[65:66], v[67:68] offset0:70 offset1:71
	;; [unrolled: 1-line block ×19, first 2 shown]
.LBB104_606:
	s_or_b64 exec, exec, s[0:1]
	v_cmp_lt_i32_e32 vcc, 28, v93
	s_waitcnt vmcnt(0) lgkmcnt(0)
	s_barrier
	s_and_saveexec_b64 s[0:1], vcc
	s_cbranch_execz .LBB104_608
; %bb.607:
	v_mul_f64 v[91:92], v[117:118], v[83:84]
	v_mul_f64 v[89:90], v[119:120], v[83:84]
	ds_read2_b64 v[95:98], v0 offset0:58 offset1:59
	v_fma_f64 v[83:84], v[119:120], v[81:82], v[91:92]
	v_fma_f64 v[89:90], v[117:118], v[81:82], -v[89:90]
	s_waitcnt lgkmcnt(0)
	v_mul_f64 v[91:92], v[97:98], v[83:84]
	v_mov_b32_e32 v81, v89
	v_mov_b32_e32 v82, v90
	v_fma_f64 v[91:92], v[95:96], v[89:90], -v[91:92]
	v_mul_f64 v[95:96], v[95:96], v[83:84]
	v_add_f64 v[85:86], v[85:86], -v[91:92]
	v_fma_f64 v[95:96], v[97:98], v[89:90], v[95:96]
	v_add_f64 v[87:88], v[87:88], -v[95:96]
	ds_read2_b64 v[95:98], v0 offset0:60 offset1:61
	s_waitcnt lgkmcnt(0)
	v_mul_f64 v[91:92], v[97:98], v[83:84]
	v_fma_f64 v[91:92], v[95:96], v[89:90], -v[91:92]
	v_mul_f64 v[95:96], v[95:96], v[83:84]
	v_add_f64 v[109:110], v[109:110], -v[91:92]
	v_fma_f64 v[95:96], v[97:98], v[89:90], v[95:96]
	v_add_f64 v[111:112], v[111:112], -v[95:96]
	ds_read2_b64 v[95:98], v0 offset0:62 offset1:63
	s_waitcnt lgkmcnt(0)
	v_mul_f64 v[91:92], v[97:98], v[83:84]
	;; [unrolled: 8-line block ×4, first 2 shown]
	v_fma_f64 v[91:92], v[95:96], v[89:90], -v[91:92]
	v_mul_f64 v[95:96], v[95:96], v[83:84]
	v_add_f64 v[73:74], v[73:74], -v[91:92]
	v_fma_f64 v[95:96], v[97:98], v[89:90], v[95:96]
	v_add_f64 v[75:76], v[75:76], -v[95:96]
	ds_read2_b64 v[95:98], v0 offset0:68 offset1:69
	buffer_load_dword v69, off, s[24:27], 0 ; 4-byte Folded Reload
	buffer_load_dword v70, off, s[24:27], 0 offset:4 ; 4-byte Folded Reload
	buffer_load_dword v71, off, s[24:27], 0 offset:8 ; 4-byte Folded Reload
	;; [unrolled: 1-line block ×3, first 2 shown]
	s_waitcnt lgkmcnt(0)
	v_mul_f64 v[91:92], v[97:98], v[83:84]
	v_fma_f64 v[91:92], v[95:96], v[89:90], -v[91:92]
	v_mul_f64 v[95:96], v[95:96], v[83:84]
	v_fma_f64 v[95:96], v[97:98], v[89:90], v[95:96]
	s_waitcnt vmcnt(2)
	v_add_f64 v[69:70], v[69:70], -v[91:92]
	s_waitcnt vmcnt(0)
	v_add_f64 v[71:72], v[71:72], -v[95:96]
	buffer_store_dword v69, off, s[24:27], 0 ; 4-byte Folded Spill
	s_nop 0
	buffer_store_dword v70, off, s[24:27], 0 offset:4 ; 4-byte Folded Spill
	buffer_store_dword v71, off, s[24:27], 0 offset:8 ; 4-byte Folded Spill
	buffer_store_dword v72, off, s[24:27], 0 offset:12 ; 4-byte Folded Spill
	ds_read2_b64 v[95:98], v0 offset0:70 offset1:71
	s_waitcnt lgkmcnt(0)
	v_mul_f64 v[91:92], v[97:98], v[83:84]
	v_fma_f64 v[91:92], v[95:96], v[89:90], -v[91:92]
	v_mul_f64 v[95:96], v[95:96], v[83:84]
	v_add_f64 v[65:66], v[65:66], -v[91:92]
	v_fma_f64 v[95:96], v[97:98], v[89:90], v[95:96]
	v_add_f64 v[67:68], v[67:68], -v[95:96]
	ds_read2_b64 v[95:98], v0 offset0:72 offset1:73
	s_waitcnt lgkmcnt(0)
	v_mul_f64 v[91:92], v[97:98], v[83:84]
	v_fma_f64 v[91:92], v[95:96], v[89:90], -v[91:92]
	v_mul_f64 v[95:96], v[95:96], v[83:84]
	v_add_f64 v[61:62], v[61:62], -v[91:92]
	v_fma_f64 v[95:96], v[97:98], v[89:90], v[95:96]
	v_add_f64 v[63:64], v[63:64], -v[95:96]
	;; [unrolled: 8-line block ×18, first 2 shown]
.LBB104_608:
	s_or_b64 exec, exec, s[0:1]
	v_lshl_add_u32 v89, v93, 4, v0
	s_waitcnt vmcnt(0)
	s_barrier
	ds_write2_b64 v89, v[85:86], v[87:88] offset1:1
	s_waitcnt lgkmcnt(0)
	s_barrier
	ds_read2_b64 v[117:120], v0 offset0:58 offset1:59
	s_cmp_lt_i32 s3, 31
	v_mov_b32_e32 v89, 29
	s_cbranch_scc1 .LBB104_611
; %bb.609:
	v_add_u32_e32 v90, 0x1e0, v0
	s_mov_b32 s0, 30
	v_mov_b32_e32 v89, 29
.LBB104_610:                            ; =>This Inner Loop Header: Depth=1
	s_waitcnt lgkmcnt(0)
	v_cmp_gt_f64_e32 vcc, 0, v[117:118]
	v_xor_b32_e32 v91, 0x80000000, v118
	ds_read2_b64 v[95:98], v90 offset1:1
	v_xor_b32_e32 v99, 0x80000000, v120
	v_add_u32_e32 v90, 16, v90
	s_waitcnt lgkmcnt(0)
	v_xor_b32_e32 v101, 0x80000000, v98
	v_cndmask_b32_e32 v92, v118, v91, vcc
	v_cmp_gt_f64_e32 vcc, 0, v[119:120]
	v_mov_b32_e32 v91, v117
	v_cndmask_b32_e32 v100, v120, v99, vcc
	v_cmp_gt_f64_e32 vcc, 0, v[95:96]
	v_mov_b32_e32 v99, v119
	v_add_f64 v[91:92], v[91:92], v[99:100]
	v_xor_b32_e32 v99, 0x80000000, v96
	v_cndmask_b32_e32 v100, v96, v99, vcc
	v_cmp_gt_f64_e32 vcc, 0, v[97:98]
	v_mov_b32_e32 v99, v95
	v_cndmask_b32_e32 v102, v98, v101, vcc
	v_mov_b32_e32 v101, v97
	v_add_f64 v[99:100], v[99:100], v[101:102]
	v_cmp_lt_f64_e32 vcc, v[91:92], v[99:100]
	v_mov_b32_e32 v91, s0
	s_add_i32 s0, s0, 1
	s_cmp_lg_u32 s3, s0
	v_cndmask_b32_e32 v118, v118, v96, vcc
	v_cndmask_b32_e32 v117, v117, v95, vcc
	;; [unrolled: 1-line block ×5, first 2 shown]
	s_cbranch_scc1 .LBB104_610
.LBB104_611:
	s_waitcnt lgkmcnt(0)
	v_cmp_eq_f64_e32 vcc, 0, v[117:118]
	v_cmp_eq_f64_e64 s[0:1], 0, v[119:120]
	s_and_b64 s[0:1], vcc, s[0:1]
	s_and_saveexec_b64 s[18:19], s[0:1]
	s_xor_b64 s[0:1], exec, s[18:19]
; %bb.612:
	v_cmp_ne_u32_e32 vcc, 0, v94
	v_cndmask_b32_e32 v94, 30, v94, vcc
; %bb.613:
	s_andn2_saveexec_b64 s[0:1], s[0:1]
	s_cbranch_execz .LBB104_619
; %bb.614:
	v_cmp_ngt_f64_e64 s[18:19], |v[117:118]|, |v[119:120]|
	s_and_saveexec_b64 s[20:21], s[18:19]
	s_xor_b64 s[18:19], exec, s[20:21]
	s_cbranch_execz .LBB104_616
; %bb.615:
	v_div_scale_f64 v[90:91], s[20:21], v[119:120], v[119:120], v[117:118]
	v_rcp_f64_e32 v[95:96], v[90:91]
	v_fma_f64 v[97:98], -v[90:91], v[95:96], 1.0
	v_fma_f64 v[95:96], v[95:96], v[97:98], v[95:96]
	v_div_scale_f64 v[97:98], vcc, v[117:118], v[119:120], v[117:118]
	v_fma_f64 v[99:100], -v[90:91], v[95:96], 1.0
	v_fma_f64 v[95:96], v[95:96], v[99:100], v[95:96]
	v_mul_f64 v[99:100], v[97:98], v[95:96]
	v_fma_f64 v[90:91], -v[90:91], v[99:100], v[97:98]
	v_div_fmas_f64 v[90:91], v[90:91], v[95:96], v[99:100]
	v_div_fixup_f64 v[90:91], v[90:91], v[119:120], v[117:118]
	v_fma_f64 v[95:96], v[117:118], v[90:91], v[119:120]
	v_div_scale_f64 v[97:98], s[20:21], v[95:96], v[95:96], 1.0
	v_div_scale_f64 v[103:104], vcc, 1.0, v[95:96], 1.0
	v_rcp_f64_e32 v[99:100], v[97:98]
	v_fma_f64 v[101:102], -v[97:98], v[99:100], 1.0
	v_fma_f64 v[99:100], v[99:100], v[101:102], v[99:100]
	v_fma_f64 v[101:102], -v[97:98], v[99:100], 1.0
	v_fma_f64 v[99:100], v[99:100], v[101:102], v[99:100]
	v_mul_f64 v[101:102], v[103:104], v[99:100]
	v_fma_f64 v[97:98], -v[97:98], v[101:102], v[103:104]
	v_div_fmas_f64 v[97:98], v[97:98], v[99:100], v[101:102]
	v_div_fixup_f64 v[119:120], v[97:98], v[95:96], 1.0
	v_mul_f64 v[117:118], v[90:91], v[119:120]
	v_xor_b32_e32 v120, 0x80000000, v120
.LBB104_616:
	s_andn2_saveexec_b64 s[18:19], s[18:19]
	s_cbranch_execz .LBB104_618
; %bb.617:
	v_div_scale_f64 v[90:91], s[20:21], v[117:118], v[117:118], v[119:120]
	v_rcp_f64_e32 v[95:96], v[90:91]
	v_fma_f64 v[97:98], -v[90:91], v[95:96], 1.0
	v_fma_f64 v[95:96], v[95:96], v[97:98], v[95:96]
	v_div_scale_f64 v[97:98], vcc, v[119:120], v[117:118], v[119:120]
	v_fma_f64 v[99:100], -v[90:91], v[95:96], 1.0
	v_fma_f64 v[95:96], v[95:96], v[99:100], v[95:96]
	v_mul_f64 v[99:100], v[97:98], v[95:96]
	v_fma_f64 v[90:91], -v[90:91], v[99:100], v[97:98]
	v_div_fmas_f64 v[90:91], v[90:91], v[95:96], v[99:100]
	v_div_fixup_f64 v[90:91], v[90:91], v[117:118], v[119:120]
	v_fma_f64 v[95:96], v[119:120], v[90:91], v[117:118]
	v_div_scale_f64 v[97:98], s[20:21], v[95:96], v[95:96], 1.0
	v_div_scale_f64 v[103:104], vcc, 1.0, v[95:96], 1.0
	v_rcp_f64_e32 v[99:100], v[97:98]
	v_fma_f64 v[101:102], -v[97:98], v[99:100], 1.0
	v_fma_f64 v[99:100], v[99:100], v[101:102], v[99:100]
	v_fma_f64 v[101:102], -v[97:98], v[99:100], 1.0
	v_fma_f64 v[99:100], v[99:100], v[101:102], v[99:100]
	v_mul_f64 v[101:102], v[103:104], v[99:100]
	v_fma_f64 v[97:98], -v[97:98], v[101:102], v[103:104]
	v_div_fmas_f64 v[97:98], v[97:98], v[99:100], v[101:102]
	v_div_fixup_f64 v[117:118], v[97:98], v[95:96], 1.0
	v_mul_f64 v[119:120], v[90:91], -v[117:118]
.LBB104_618:
	s_or_b64 exec, exec, s[18:19]
.LBB104_619:
	s_or_b64 exec, exec, s[0:1]
	v_cmp_ne_u32_e32 vcc, v93, v89
	s_mov_b64 s[0:1], exec
	s_and_b64 s[18:19], s[0:1], vcc
	v_mov_b32_e32 v108, v84
	s_xor_b64 s[0:1], s[18:19], s[0:1]
	v_mov_b32_e32 v107, v83
	v_mov_b32_e32 v106, v82
	;; [unrolled: 1-line block ×3, first 2 shown]
	s_mov_b64 exec, s[18:19]
	s_cbranch_execz .LBB104_625
; %bb.620:
	v_cmp_eq_u32_e32 vcc, 29, v93
	s_and_saveexec_b64 s[18:19], vcc
	s_cbranch_execz .LBB104_624
; %bb.621:
	v_cmp_ne_u32_e32 vcc, 29, v89
	s_xor_b64 s[20:21], s[6:7], -1
	s_and_b64 s[22:23], s[20:21], vcc
	s_and_saveexec_b64 s[20:21], s[22:23]
	s_cbranch_execz .LBB104_623
; %bb.622:
	buffer_load_dword v81, off, s[24:27], 0 offset:420 ; 4-byte Folded Reload
	buffer_load_dword v82, off, s[24:27], 0 offset:424 ; 4-byte Folded Reload
	v_ashrrev_i32_e32 v90, 31, v89
	v_lshlrev_b64 v[90:91], 2, v[89:90]
	s_waitcnt vmcnt(1)
	v_add_co_u32_e32 v90, vcc, v81, v90
	s_waitcnt vmcnt(0)
	v_addc_co_u32_e32 v91, vcc, v82, v91, vcc
	global_load_dword v92, v[90:91], off
	global_load_dword v93, v[81:82], off offset:116
	s_waitcnt vmcnt(1)
	global_store_dword v[81:82], v92, off offset:116
	v_mov_b32_e32 v81, v105
	v_mov_b32_e32 v82, v106
	;; [unrolled: 1-line block ×4, first 2 shown]
	s_waitcnt vmcnt(1)
	global_store_dword v[90:91], v93, off
.LBB104_623:
	s_or_b64 exec, exec, s[20:21]
	v_mov_b32_e32 v93, v89
	v_mov_b32_e32 v69, v89
	buffer_store_dword v69, off, s[24:27], 0 offset:352 ; 4-byte Folded Spill
.LBB104_624:
	s_or_b64 exec, exec, s[18:19]
.LBB104_625:
	s_andn2_saveexec_b64 s[0:1], s[0:1]
	s_cbranch_execz .LBB104_627
; %bb.626:
	ds_write2_b64 v0, v[109:110], v[111:112] offset0:60 offset1:61
	ds_write2_b64 v0, v[113:114], v[115:116] offset0:62 offset1:63
	;; [unrolled: 1-line block ×4, first 2 shown]
	buffer_load_dword v69, off, s[24:27], 0 ; 4-byte Folded Reload
	buffer_load_dword v70, off, s[24:27], 0 offset:4 ; 4-byte Folded Reload
	buffer_load_dword v71, off, s[24:27], 0 offset:8 ; 4-byte Folded Reload
	;; [unrolled: 1-line block ×3, first 2 shown]
	v_mov_b32_e32 v93, 29
	s_waitcnt vmcnt(0)
	ds_write2_b64 v0, v[69:70], v[71:72] offset0:68 offset1:69
	ds_write2_b64 v0, v[65:66], v[67:68] offset0:70 offset1:71
	ds_write2_b64 v0, v[61:62], v[63:64] offset0:72 offset1:73
	ds_write2_b64 v0, v[57:58], v[59:60] offset0:74 offset1:75
	ds_write2_b64 v0, v[53:54], v[55:56] offset0:76 offset1:77
	ds_write2_b64 v0, v[49:50], v[51:52] offset0:78 offset1:79
	ds_write2_b64 v0, v[45:46], v[47:48] offset0:80 offset1:81
	ds_write2_b64 v0, v[41:42], v[43:44] offset0:82 offset1:83
	ds_write2_b64 v0, v[37:38], v[39:40] offset0:84 offset1:85
	ds_write2_b64 v0, v[33:34], v[35:36] offset0:86 offset1:87
	ds_write2_b64 v0, v[29:30], v[31:32] offset0:88 offset1:89
	ds_write2_b64 v0, v[25:26], v[27:28] offset0:90 offset1:91
	ds_write2_b64 v0, v[21:22], v[23:24] offset0:92 offset1:93
	ds_write2_b64 v0, v[17:18], v[19:20] offset0:94 offset1:95
	ds_write2_b64 v0, v[13:14], v[15:16] offset0:96 offset1:97
	ds_write2_b64 v0, v[9:10], v[11:12] offset0:98 offset1:99
	ds_write2_b64 v0, v[5:6], v[7:8] offset0:100 offset1:101
	ds_write2_b64 v0, v[1:2], v[3:4] offset0:102 offset1:103
	ds_write2_b64 v0, v[121:122], v[123:124] offset0:104 offset1:105
.LBB104_627:
	s_or_b64 exec, exec, s[0:1]
	v_cmp_lt_i32_e32 vcc, 29, v93
	s_waitcnt vmcnt(0) lgkmcnt(0)
	s_barrier
	s_and_saveexec_b64 s[0:1], vcc
	s_cbranch_execz .LBB104_629
; %bb.628:
	v_mul_f64 v[91:92], v[117:118], v[87:88]
	v_mul_f64 v[89:90], v[119:120], v[87:88]
	ds_read2_b64 v[95:98], v0 offset0:60 offset1:61
	v_fma_f64 v[87:88], v[119:120], v[85:86], v[91:92]
	v_fma_f64 v[89:90], v[117:118], v[85:86], -v[89:90]
	s_waitcnt lgkmcnt(0)
	v_mul_f64 v[91:92], v[97:98], v[87:88]
	v_mov_b32_e32 v85, v89
	v_mov_b32_e32 v86, v90
	v_fma_f64 v[91:92], v[95:96], v[89:90], -v[91:92]
	v_mul_f64 v[95:96], v[95:96], v[87:88]
	v_add_f64 v[109:110], v[109:110], -v[91:92]
	v_fma_f64 v[95:96], v[97:98], v[89:90], v[95:96]
	v_add_f64 v[111:112], v[111:112], -v[95:96]
	ds_read2_b64 v[95:98], v0 offset0:62 offset1:63
	s_waitcnt lgkmcnt(0)
	v_mul_f64 v[91:92], v[97:98], v[87:88]
	v_fma_f64 v[91:92], v[95:96], v[89:90], -v[91:92]
	v_mul_f64 v[95:96], v[95:96], v[87:88]
	v_add_f64 v[113:114], v[113:114], -v[91:92]
	v_fma_f64 v[95:96], v[97:98], v[89:90], v[95:96]
	v_add_f64 v[115:116], v[115:116], -v[95:96]
	ds_read2_b64 v[95:98], v0 offset0:64 offset1:65
	s_waitcnt lgkmcnt(0)
	v_mul_f64 v[91:92], v[97:98], v[87:88]
	;; [unrolled: 8-line block ×3, first 2 shown]
	v_fma_f64 v[91:92], v[95:96], v[89:90], -v[91:92]
	v_mul_f64 v[95:96], v[95:96], v[87:88]
	v_add_f64 v[73:74], v[73:74], -v[91:92]
	v_fma_f64 v[95:96], v[97:98], v[89:90], v[95:96]
	v_add_f64 v[75:76], v[75:76], -v[95:96]
	ds_read2_b64 v[95:98], v0 offset0:68 offset1:69
	buffer_load_dword v69, off, s[24:27], 0 ; 4-byte Folded Reload
	buffer_load_dword v70, off, s[24:27], 0 offset:4 ; 4-byte Folded Reload
	buffer_load_dword v71, off, s[24:27], 0 offset:8 ; 4-byte Folded Reload
	;; [unrolled: 1-line block ×3, first 2 shown]
	s_waitcnt lgkmcnt(0)
	v_mul_f64 v[91:92], v[97:98], v[87:88]
	v_fma_f64 v[91:92], v[95:96], v[89:90], -v[91:92]
	v_mul_f64 v[95:96], v[95:96], v[87:88]
	v_fma_f64 v[95:96], v[97:98], v[89:90], v[95:96]
	s_waitcnt vmcnt(2)
	v_add_f64 v[69:70], v[69:70], -v[91:92]
	s_waitcnt vmcnt(0)
	v_add_f64 v[71:72], v[71:72], -v[95:96]
	buffer_store_dword v69, off, s[24:27], 0 ; 4-byte Folded Spill
	s_nop 0
	buffer_store_dword v70, off, s[24:27], 0 offset:4 ; 4-byte Folded Spill
	buffer_store_dword v71, off, s[24:27], 0 offset:8 ; 4-byte Folded Spill
	;; [unrolled: 1-line block ×3, first 2 shown]
	ds_read2_b64 v[95:98], v0 offset0:70 offset1:71
	s_waitcnt lgkmcnt(0)
	v_mul_f64 v[91:92], v[97:98], v[87:88]
	v_fma_f64 v[91:92], v[95:96], v[89:90], -v[91:92]
	v_mul_f64 v[95:96], v[95:96], v[87:88]
	v_add_f64 v[65:66], v[65:66], -v[91:92]
	v_fma_f64 v[95:96], v[97:98], v[89:90], v[95:96]
	v_add_f64 v[67:68], v[67:68], -v[95:96]
	ds_read2_b64 v[95:98], v0 offset0:72 offset1:73
	s_waitcnt lgkmcnt(0)
	v_mul_f64 v[91:92], v[97:98], v[87:88]
	v_fma_f64 v[91:92], v[95:96], v[89:90], -v[91:92]
	v_mul_f64 v[95:96], v[95:96], v[87:88]
	v_add_f64 v[61:62], v[61:62], -v[91:92]
	v_fma_f64 v[95:96], v[97:98], v[89:90], v[95:96]
	v_add_f64 v[63:64], v[63:64], -v[95:96]
	;; [unrolled: 8-line block ×18, first 2 shown]
.LBB104_629:
	s_or_b64 exec, exec, s[0:1]
	v_lshl_add_u32 v89, v93, 4, v0
	s_waitcnt vmcnt(0)
	s_barrier
	ds_write2_b64 v89, v[109:110], v[111:112] offset1:1
	s_waitcnt lgkmcnt(0)
	s_barrier
	ds_read2_b64 v[117:120], v0 offset0:60 offset1:61
	s_cmp_lt_i32 s3, 32
	v_mov_b32_e32 v89, 30
	s_cbranch_scc1 .LBB104_632
; %bb.630:
	v_add_u32_e32 v90, 0x1f0, v0
	s_mov_b32 s0, 31
	v_mov_b32_e32 v89, 30
.LBB104_631:                            ; =>This Inner Loop Header: Depth=1
	s_waitcnt lgkmcnt(0)
	v_cmp_gt_f64_e32 vcc, 0, v[117:118]
	v_xor_b32_e32 v91, 0x80000000, v118
	ds_read2_b64 v[95:98], v90 offset1:1
	v_xor_b32_e32 v99, 0x80000000, v120
	v_add_u32_e32 v90, 16, v90
	s_waitcnt lgkmcnt(0)
	v_xor_b32_e32 v101, 0x80000000, v98
	v_cndmask_b32_e32 v92, v118, v91, vcc
	v_cmp_gt_f64_e32 vcc, 0, v[119:120]
	v_mov_b32_e32 v91, v117
	v_cndmask_b32_e32 v100, v120, v99, vcc
	v_cmp_gt_f64_e32 vcc, 0, v[95:96]
	v_mov_b32_e32 v99, v119
	v_add_f64 v[91:92], v[91:92], v[99:100]
	v_xor_b32_e32 v99, 0x80000000, v96
	v_cndmask_b32_e32 v100, v96, v99, vcc
	v_cmp_gt_f64_e32 vcc, 0, v[97:98]
	v_mov_b32_e32 v99, v95
	v_cndmask_b32_e32 v102, v98, v101, vcc
	v_mov_b32_e32 v101, v97
	v_add_f64 v[99:100], v[99:100], v[101:102]
	v_cmp_lt_f64_e32 vcc, v[91:92], v[99:100]
	v_mov_b32_e32 v91, s0
	s_add_i32 s0, s0, 1
	s_cmp_lg_u32 s3, s0
	v_cndmask_b32_e32 v118, v118, v96, vcc
	v_cndmask_b32_e32 v117, v117, v95, vcc
	;; [unrolled: 1-line block ×5, first 2 shown]
	s_cbranch_scc1 .LBB104_631
.LBB104_632:
	s_waitcnt lgkmcnt(0)
	v_cmp_eq_f64_e32 vcc, 0, v[117:118]
	v_cmp_eq_f64_e64 s[0:1], 0, v[119:120]
	s_and_b64 s[0:1], vcc, s[0:1]
	s_and_saveexec_b64 s[18:19], s[0:1]
	s_xor_b64 s[0:1], exec, s[18:19]
; %bb.633:
	v_cmp_ne_u32_e32 vcc, 0, v94
	v_cndmask_b32_e32 v94, 31, v94, vcc
; %bb.634:
	s_andn2_saveexec_b64 s[0:1], s[0:1]
	s_cbranch_execz .LBB104_640
; %bb.635:
	v_cmp_ngt_f64_e64 s[18:19], |v[117:118]|, |v[119:120]|
	s_and_saveexec_b64 s[20:21], s[18:19]
	s_xor_b64 s[18:19], exec, s[20:21]
	s_cbranch_execz .LBB104_637
; %bb.636:
	v_div_scale_f64 v[90:91], s[20:21], v[119:120], v[119:120], v[117:118]
	v_rcp_f64_e32 v[95:96], v[90:91]
	v_fma_f64 v[97:98], -v[90:91], v[95:96], 1.0
	v_fma_f64 v[95:96], v[95:96], v[97:98], v[95:96]
	v_div_scale_f64 v[97:98], vcc, v[117:118], v[119:120], v[117:118]
	v_fma_f64 v[99:100], -v[90:91], v[95:96], 1.0
	v_fma_f64 v[95:96], v[95:96], v[99:100], v[95:96]
	v_mul_f64 v[99:100], v[97:98], v[95:96]
	v_fma_f64 v[90:91], -v[90:91], v[99:100], v[97:98]
	v_div_fmas_f64 v[90:91], v[90:91], v[95:96], v[99:100]
	v_div_fixup_f64 v[90:91], v[90:91], v[119:120], v[117:118]
	v_fma_f64 v[95:96], v[117:118], v[90:91], v[119:120]
	v_div_scale_f64 v[97:98], s[20:21], v[95:96], v[95:96], 1.0
	v_div_scale_f64 v[103:104], vcc, 1.0, v[95:96], 1.0
	v_rcp_f64_e32 v[99:100], v[97:98]
	v_fma_f64 v[101:102], -v[97:98], v[99:100], 1.0
	v_fma_f64 v[99:100], v[99:100], v[101:102], v[99:100]
	v_fma_f64 v[101:102], -v[97:98], v[99:100], 1.0
	v_fma_f64 v[99:100], v[99:100], v[101:102], v[99:100]
	v_mul_f64 v[101:102], v[103:104], v[99:100]
	v_fma_f64 v[97:98], -v[97:98], v[101:102], v[103:104]
	v_div_fmas_f64 v[97:98], v[97:98], v[99:100], v[101:102]
	v_div_fixup_f64 v[119:120], v[97:98], v[95:96], 1.0
	v_mul_f64 v[117:118], v[90:91], v[119:120]
	v_xor_b32_e32 v120, 0x80000000, v120
.LBB104_637:
	s_andn2_saveexec_b64 s[18:19], s[18:19]
	s_cbranch_execz .LBB104_639
; %bb.638:
	v_div_scale_f64 v[90:91], s[20:21], v[117:118], v[117:118], v[119:120]
	v_rcp_f64_e32 v[95:96], v[90:91]
	v_fma_f64 v[97:98], -v[90:91], v[95:96], 1.0
	v_fma_f64 v[95:96], v[95:96], v[97:98], v[95:96]
	v_div_scale_f64 v[97:98], vcc, v[119:120], v[117:118], v[119:120]
	v_fma_f64 v[99:100], -v[90:91], v[95:96], 1.0
	v_fma_f64 v[95:96], v[95:96], v[99:100], v[95:96]
	v_mul_f64 v[99:100], v[97:98], v[95:96]
	v_fma_f64 v[90:91], -v[90:91], v[99:100], v[97:98]
	v_div_fmas_f64 v[90:91], v[90:91], v[95:96], v[99:100]
	v_div_fixup_f64 v[90:91], v[90:91], v[117:118], v[119:120]
	v_fma_f64 v[95:96], v[119:120], v[90:91], v[117:118]
	v_div_scale_f64 v[97:98], s[20:21], v[95:96], v[95:96], 1.0
	v_div_scale_f64 v[103:104], vcc, 1.0, v[95:96], 1.0
	v_rcp_f64_e32 v[99:100], v[97:98]
	v_fma_f64 v[101:102], -v[97:98], v[99:100], 1.0
	v_fma_f64 v[99:100], v[99:100], v[101:102], v[99:100]
	v_fma_f64 v[101:102], -v[97:98], v[99:100], 1.0
	v_fma_f64 v[99:100], v[99:100], v[101:102], v[99:100]
	v_mul_f64 v[101:102], v[103:104], v[99:100]
	v_fma_f64 v[97:98], -v[97:98], v[101:102], v[103:104]
	v_div_fmas_f64 v[97:98], v[97:98], v[99:100], v[101:102]
	v_div_fixup_f64 v[117:118], v[97:98], v[95:96], 1.0
	v_mul_f64 v[119:120], v[90:91], -v[117:118]
.LBB104_639:
	s_or_b64 exec, exec, s[18:19]
.LBB104_640:
	s_or_b64 exec, exec, s[0:1]
	v_cmp_ne_u32_e32 vcc, v93, v89
	s_and_saveexec_b64 s[0:1], vcc
	s_xor_b64 s[0:1], exec, s[0:1]
	s_cbranch_execz .LBB104_646
; %bb.641:
	v_cmp_eq_u32_e32 vcc, 30, v93
	s_and_saveexec_b64 s[18:19], vcc
	s_cbranch_execz .LBB104_645
; %bb.642:
	v_cmp_ne_u32_e32 vcc, 30, v89
	s_xor_b64 s[20:21], s[6:7], -1
	s_and_b64 s[22:23], s[20:21], vcc
	s_and_saveexec_b64 s[20:21], s[22:23]
	s_cbranch_execz .LBB104_644
; %bb.643:
	buffer_load_dword v81, off, s[24:27], 0 offset:420 ; 4-byte Folded Reload
	buffer_load_dword v82, off, s[24:27], 0 offset:424 ; 4-byte Folded Reload
	v_ashrrev_i32_e32 v90, 31, v89
	v_lshlrev_b64 v[90:91], 2, v[89:90]
	s_waitcnt vmcnt(1)
	v_add_co_u32_e32 v90, vcc, v81, v90
	s_waitcnt vmcnt(0)
	v_addc_co_u32_e32 v91, vcc, v82, v91, vcc
	global_load_dword v92, v[90:91], off
	global_load_dword v93, v[81:82], off offset:120
	s_waitcnt vmcnt(1)
	global_store_dword v[81:82], v92, off offset:120
	v_mov_b32_e32 v81, v105
	v_mov_b32_e32 v82, v106
	;; [unrolled: 1-line block ×4, first 2 shown]
	s_waitcnt vmcnt(1)
	global_store_dword v[90:91], v93, off
.LBB104_644:
	s_or_b64 exec, exec, s[20:21]
	v_mov_b32_e32 v93, v89
	v_mov_b32_e32 v69, v89
	buffer_store_dword v69, off, s[24:27], 0 offset:352 ; 4-byte Folded Spill
.LBB104_645:
	s_or_b64 exec, exec, s[18:19]
.LBB104_646:
	s_andn2_saveexec_b64 s[0:1], s[0:1]
	s_cbranch_execz .LBB104_648
; %bb.647:
	ds_write2_b64 v0, v[113:114], v[115:116] offset0:62 offset1:63
	ds_write2_b64 v0, v[77:78], v[79:80] offset0:64 offset1:65
	;; [unrolled: 1-line block ×3, first 2 shown]
	buffer_load_dword v69, off, s[24:27], 0 ; 4-byte Folded Reload
	buffer_load_dword v70, off, s[24:27], 0 offset:4 ; 4-byte Folded Reload
	buffer_load_dword v71, off, s[24:27], 0 offset:8 ; 4-byte Folded Reload
	;; [unrolled: 1-line block ×3, first 2 shown]
	v_mov_b32_e32 v93, 30
	s_waitcnt vmcnt(0)
	ds_write2_b64 v0, v[69:70], v[71:72] offset0:68 offset1:69
	ds_write2_b64 v0, v[65:66], v[67:68] offset0:70 offset1:71
	;; [unrolled: 1-line block ×19, first 2 shown]
.LBB104_648:
	s_or_b64 exec, exec, s[0:1]
	v_cmp_lt_i32_e32 vcc, 30, v93
	s_waitcnt vmcnt(0) lgkmcnt(0)
	s_barrier
	s_and_saveexec_b64 s[0:1], vcc
	s_cbranch_execz .LBB104_650
; %bb.649:
	v_mov_b32_e32 v81, v85
	v_mov_b32_e32 v82, v86
	;; [unrolled: 1-line block ×4, first 2 shown]
	v_mul_f64 v[87:88], v[117:118], v[111:112]
	v_mul_f64 v[89:90], v[119:120], v[111:112]
	ds_read2_b64 v[95:98], v0 offset0:62 offset1:63
	v_fma_f64 v[111:112], v[119:120], v[109:110], v[87:88]
	v_fma_f64 v[89:90], v[117:118], v[109:110], -v[89:90]
	s_waitcnt lgkmcnt(0)
	v_mul_f64 v[85:86], v[97:98], v[111:112]
	v_mul_f64 v[91:92], v[95:96], v[111:112]
	v_mov_b32_e32 v110, v90
	v_mov_b32_e32 v109, v89
	v_fma_f64 v[85:86], v[95:96], v[89:90], -v[85:86]
	v_fma_f64 v[91:92], v[97:98], v[89:90], v[91:92]
	ds_read2_b64 v[95:98], v0 offset0:64 offset1:65
	v_add_f64 v[113:114], v[113:114], -v[85:86]
	v_add_f64 v[115:116], v[115:116], -v[91:92]
	s_waitcnt lgkmcnt(0)
	v_mul_f64 v[85:86], v[97:98], v[111:112]
	v_mul_f64 v[91:92], v[95:96], v[111:112]
	v_fma_f64 v[85:86], v[95:96], v[89:90], -v[85:86]
	v_fma_f64 v[91:92], v[97:98], v[89:90], v[91:92]
	ds_read2_b64 v[95:98], v0 offset0:66 offset1:67
	v_add_f64 v[77:78], v[77:78], -v[85:86]
	v_add_f64 v[79:80], v[79:80], -v[91:92]
	s_waitcnt lgkmcnt(0)
	v_mul_f64 v[85:86], v[97:98], v[111:112]
	v_mul_f64 v[91:92], v[95:96], v[111:112]
	v_fma_f64 v[85:86], v[95:96], v[89:90], -v[85:86]
	v_fma_f64 v[91:92], v[97:98], v[89:90], v[91:92]
	ds_read2_b64 v[95:98], v0 offset0:68 offset1:69
	buffer_load_dword v69, off, s[24:27], 0 ; 4-byte Folded Reload
	buffer_load_dword v70, off, s[24:27], 0 offset:4 ; 4-byte Folded Reload
	buffer_load_dword v71, off, s[24:27], 0 offset:8 ; 4-byte Folded Reload
	;; [unrolled: 1-line block ×3, first 2 shown]
	v_add_f64 v[73:74], v[73:74], -v[85:86]
	v_add_f64 v[75:76], v[75:76], -v[91:92]
	s_waitcnt lgkmcnt(0)
	v_mul_f64 v[85:86], v[97:98], v[111:112]
	v_mul_f64 v[91:92], v[95:96], v[111:112]
	v_fma_f64 v[85:86], v[95:96], v[89:90], -v[85:86]
	v_fma_f64 v[91:92], v[97:98], v[89:90], v[91:92]
	s_waitcnt vmcnt(2)
	v_add_f64 v[69:70], v[69:70], -v[85:86]
	s_waitcnt vmcnt(0)
	v_add_f64 v[71:72], v[71:72], -v[91:92]
	buffer_store_dword v69, off, s[24:27], 0 ; 4-byte Folded Spill
	s_nop 0
	buffer_store_dword v70, off, s[24:27], 0 offset:4 ; 4-byte Folded Spill
	buffer_store_dword v71, off, s[24:27], 0 offset:8 ; 4-byte Folded Spill
	;; [unrolled: 1-line block ×3, first 2 shown]
	ds_read2_b64 v[95:98], v0 offset0:70 offset1:71
	s_waitcnt lgkmcnt(0)
	v_mul_f64 v[85:86], v[97:98], v[111:112]
	v_mul_f64 v[91:92], v[95:96], v[111:112]
	v_fma_f64 v[85:86], v[95:96], v[89:90], -v[85:86]
	v_fma_f64 v[91:92], v[97:98], v[89:90], v[91:92]
	ds_read2_b64 v[95:98], v0 offset0:72 offset1:73
	v_add_f64 v[65:66], v[65:66], -v[85:86]
	v_add_f64 v[67:68], v[67:68], -v[91:92]
	s_waitcnt lgkmcnt(0)
	v_mul_f64 v[85:86], v[97:98], v[111:112]
	v_mul_f64 v[91:92], v[95:96], v[111:112]
	v_fma_f64 v[85:86], v[95:96], v[89:90], -v[85:86]
	v_fma_f64 v[91:92], v[97:98], v[89:90], v[91:92]
	ds_read2_b64 v[95:98], v0 offset0:74 offset1:75
	v_add_f64 v[61:62], v[61:62], -v[85:86]
	v_add_f64 v[63:64], v[63:64], -v[91:92]
	;; [unrolled: 8-line block ×17, first 2 shown]
	s_waitcnt lgkmcnt(0)
	v_mul_f64 v[85:86], v[97:98], v[111:112]
	v_mul_f64 v[91:92], v[95:96], v[111:112]
	v_fma_f64 v[85:86], v[95:96], v[89:90], -v[85:86]
	v_fma_f64 v[91:92], v[97:98], v[89:90], v[91:92]
	v_add_f64 v[121:122], v[121:122], -v[85:86]
	v_add_f64 v[123:124], v[123:124], -v[91:92]
	v_mov_b32_e32 v88, v84
	v_mov_b32_e32 v87, v83
	;; [unrolled: 1-line block ×8, first 2 shown]
.LBB104_650:
	s_or_b64 exec, exec, s[0:1]
	v_lshl_add_u32 v89, v93, 4, v0
	s_waitcnt vmcnt(0)
	s_barrier
	ds_write2_b64 v89, v[113:114], v[115:116] offset1:1
	s_waitcnt lgkmcnt(0)
	s_barrier
	ds_read2_b64 v[117:120], v0 offset0:62 offset1:63
	s_cmp_lt_i32 s3, 33
	v_mov_b32_e32 v89, 31
	s_cbranch_scc1 .LBB104_653
; %bb.651:
	v_add_u32_e32 v90, 0x200, v0
	s_mov_b32 s0, 32
	v_mov_b32_e32 v89, 31
.LBB104_652:                            ; =>This Inner Loop Header: Depth=1
	s_waitcnt lgkmcnt(0)
	v_cmp_gt_f64_e32 vcc, 0, v[117:118]
	v_xor_b32_e32 v91, 0x80000000, v118
	ds_read2_b64 v[95:98], v90 offset1:1
	v_xor_b32_e32 v99, 0x80000000, v120
	v_add_u32_e32 v90, 16, v90
	s_waitcnt lgkmcnt(0)
	v_xor_b32_e32 v101, 0x80000000, v98
	v_cndmask_b32_e32 v92, v118, v91, vcc
	v_cmp_gt_f64_e32 vcc, 0, v[119:120]
	v_mov_b32_e32 v91, v117
	v_cndmask_b32_e32 v100, v120, v99, vcc
	v_cmp_gt_f64_e32 vcc, 0, v[95:96]
	v_mov_b32_e32 v99, v119
	v_add_f64 v[91:92], v[91:92], v[99:100]
	v_xor_b32_e32 v99, 0x80000000, v96
	v_cndmask_b32_e32 v100, v96, v99, vcc
	v_cmp_gt_f64_e32 vcc, 0, v[97:98]
	v_mov_b32_e32 v99, v95
	v_cndmask_b32_e32 v102, v98, v101, vcc
	v_mov_b32_e32 v101, v97
	v_add_f64 v[99:100], v[99:100], v[101:102]
	v_cmp_lt_f64_e32 vcc, v[91:92], v[99:100]
	v_mov_b32_e32 v91, s0
	s_add_i32 s0, s0, 1
	s_cmp_lg_u32 s3, s0
	v_cndmask_b32_e32 v118, v118, v96, vcc
	v_cndmask_b32_e32 v117, v117, v95, vcc
	;; [unrolled: 1-line block ×5, first 2 shown]
	s_cbranch_scc1 .LBB104_652
.LBB104_653:
	s_waitcnt lgkmcnt(0)
	v_cmp_eq_f64_e32 vcc, 0, v[117:118]
	v_cmp_eq_f64_e64 s[0:1], 0, v[119:120]
	s_and_b64 s[0:1], vcc, s[0:1]
	s_and_saveexec_b64 s[18:19], s[0:1]
	s_xor_b64 s[0:1], exec, s[18:19]
; %bb.654:
	v_cmp_ne_u32_e32 vcc, 0, v94
	v_cndmask_b32_e32 v94, 32, v94, vcc
; %bb.655:
	s_andn2_saveexec_b64 s[0:1], s[0:1]
	s_cbranch_execz .LBB104_661
; %bb.656:
	v_cmp_ngt_f64_e64 s[18:19], |v[117:118]|, |v[119:120]|
	s_and_saveexec_b64 s[20:21], s[18:19]
	s_xor_b64 s[18:19], exec, s[20:21]
	s_cbranch_execz .LBB104_658
; %bb.657:
	v_div_scale_f64 v[90:91], s[20:21], v[119:120], v[119:120], v[117:118]
	v_rcp_f64_e32 v[95:96], v[90:91]
	v_fma_f64 v[97:98], -v[90:91], v[95:96], 1.0
	v_fma_f64 v[95:96], v[95:96], v[97:98], v[95:96]
	v_div_scale_f64 v[97:98], vcc, v[117:118], v[119:120], v[117:118]
	v_fma_f64 v[99:100], -v[90:91], v[95:96], 1.0
	v_fma_f64 v[95:96], v[95:96], v[99:100], v[95:96]
	v_mul_f64 v[99:100], v[97:98], v[95:96]
	v_fma_f64 v[90:91], -v[90:91], v[99:100], v[97:98]
	v_div_fmas_f64 v[90:91], v[90:91], v[95:96], v[99:100]
	v_div_fixup_f64 v[90:91], v[90:91], v[119:120], v[117:118]
	v_fma_f64 v[95:96], v[117:118], v[90:91], v[119:120]
	v_div_scale_f64 v[97:98], s[20:21], v[95:96], v[95:96], 1.0
	v_div_scale_f64 v[103:104], vcc, 1.0, v[95:96], 1.0
	v_rcp_f64_e32 v[99:100], v[97:98]
	v_fma_f64 v[101:102], -v[97:98], v[99:100], 1.0
	v_fma_f64 v[99:100], v[99:100], v[101:102], v[99:100]
	v_fma_f64 v[101:102], -v[97:98], v[99:100], 1.0
	v_fma_f64 v[99:100], v[99:100], v[101:102], v[99:100]
	v_mul_f64 v[101:102], v[103:104], v[99:100]
	v_fma_f64 v[97:98], -v[97:98], v[101:102], v[103:104]
	v_div_fmas_f64 v[97:98], v[97:98], v[99:100], v[101:102]
	v_div_fixup_f64 v[119:120], v[97:98], v[95:96], 1.0
	v_mul_f64 v[117:118], v[90:91], v[119:120]
	v_xor_b32_e32 v120, 0x80000000, v120
.LBB104_658:
	s_andn2_saveexec_b64 s[18:19], s[18:19]
	s_cbranch_execz .LBB104_660
; %bb.659:
	v_div_scale_f64 v[90:91], s[20:21], v[117:118], v[117:118], v[119:120]
	v_rcp_f64_e32 v[95:96], v[90:91]
	v_fma_f64 v[97:98], -v[90:91], v[95:96], 1.0
	v_fma_f64 v[95:96], v[95:96], v[97:98], v[95:96]
	v_div_scale_f64 v[97:98], vcc, v[119:120], v[117:118], v[119:120]
	v_fma_f64 v[99:100], -v[90:91], v[95:96], 1.0
	v_fma_f64 v[95:96], v[95:96], v[99:100], v[95:96]
	v_mul_f64 v[99:100], v[97:98], v[95:96]
	v_fma_f64 v[90:91], -v[90:91], v[99:100], v[97:98]
	v_div_fmas_f64 v[90:91], v[90:91], v[95:96], v[99:100]
	v_div_fixup_f64 v[90:91], v[90:91], v[117:118], v[119:120]
	v_fma_f64 v[95:96], v[119:120], v[90:91], v[117:118]
	v_div_scale_f64 v[97:98], s[20:21], v[95:96], v[95:96], 1.0
	v_div_scale_f64 v[103:104], vcc, 1.0, v[95:96], 1.0
	v_rcp_f64_e32 v[99:100], v[97:98]
	v_fma_f64 v[101:102], -v[97:98], v[99:100], 1.0
	v_fma_f64 v[99:100], v[99:100], v[101:102], v[99:100]
	v_fma_f64 v[101:102], -v[97:98], v[99:100], 1.0
	v_fma_f64 v[99:100], v[99:100], v[101:102], v[99:100]
	v_mul_f64 v[101:102], v[103:104], v[99:100]
	v_fma_f64 v[97:98], -v[97:98], v[101:102], v[103:104]
	v_div_fmas_f64 v[97:98], v[97:98], v[99:100], v[101:102]
	v_div_fixup_f64 v[117:118], v[97:98], v[95:96], 1.0
	v_mul_f64 v[119:120], v[90:91], -v[117:118]
.LBB104_660:
	s_or_b64 exec, exec, s[18:19]
.LBB104_661:
	s_or_b64 exec, exec, s[0:1]
	v_cmp_ne_u32_e32 vcc, v93, v89
	s_and_saveexec_b64 s[0:1], vcc
	s_xor_b64 s[0:1], exec, s[0:1]
	s_cbranch_execz .LBB104_667
; %bb.662:
	v_cmp_eq_u32_e32 vcc, 31, v93
	s_and_saveexec_b64 s[18:19], vcc
	s_cbranch_execz .LBB104_666
; %bb.663:
	v_cmp_ne_u32_e32 vcc, 31, v89
	s_xor_b64 s[20:21], s[6:7], -1
	s_and_b64 s[22:23], s[20:21], vcc
	s_and_saveexec_b64 s[20:21], s[22:23]
	s_cbranch_execz .LBB104_665
; %bb.664:
	buffer_load_dword v81, off, s[24:27], 0 offset:420 ; 4-byte Folded Reload
	buffer_load_dword v82, off, s[24:27], 0 offset:424 ; 4-byte Folded Reload
	v_ashrrev_i32_e32 v90, 31, v89
	v_lshlrev_b64 v[90:91], 2, v[89:90]
	s_waitcnt vmcnt(1)
	v_add_co_u32_e32 v90, vcc, v81, v90
	s_waitcnt vmcnt(0)
	v_addc_co_u32_e32 v91, vcc, v82, v91, vcc
	global_load_dword v92, v[90:91], off
	global_load_dword v93, v[81:82], off offset:124
	s_waitcnt vmcnt(1)
	global_store_dword v[81:82], v92, off offset:124
	v_mov_b32_e32 v81, v105
	v_mov_b32_e32 v82, v106
	;; [unrolled: 1-line block ×4, first 2 shown]
	s_waitcnt vmcnt(1)
	global_store_dword v[90:91], v93, off
.LBB104_665:
	s_or_b64 exec, exec, s[20:21]
	v_mov_b32_e32 v93, v89
	v_mov_b32_e32 v69, v89
	buffer_store_dword v69, off, s[24:27], 0 offset:352 ; 4-byte Folded Spill
.LBB104_666:
	s_or_b64 exec, exec, s[18:19]
.LBB104_667:
	s_andn2_saveexec_b64 s[0:1], s[0:1]
	s_cbranch_execz .LBB104_669
; %bb.668:
	ds_write2_b64 v0, v[77:78], v[79:80] offset0:64 offset1:65
	ds_write2_b64 v0, v[73:74], v[75:76] offset0:66 offset1:67
	buffer_load_dword v69, off, s[24:27], 0 ; 4-byte Folded Reload
	buffer_load_dword v70, off, s[24:27], 0 offset:4 ; 4-byte Folded Reload
	buffer_load_dword v71, off, s[24:27], 0 offset:8 ; 4-byte Folded Reload
	;; [unrolled: 1-line block ×3, first 2 shown]
	v_mov_b32_e32 v93, 31
	s_waitcnt vmcnt(0)
	ds_write2_b64 v0, v[69:70], v[71:72] offset0:68 offset1:69
	ds_write2_b64 v0, v[65:66], v[67:68] offset0:70 offset1:71
	;; [unrolled: 1-line block ×19, first 2 shown]
.LBB104_669:
	s_or_b64 exec, exec, s[0:1]
	v_cmp_lt_i32_e32 vcc, 31, v93
	s_waitcnt vmcnt(0) lgkmcnt(0)
	s_barrier
	s_and_saveexec_b64 s[0:1], vcc
	s_cbranch_execz .LBB104_671
; %bb.670:
	v_mul_f64 v[83:84], v[117:118], v[115:116]
	v_mul_f64 v[89:90], v[119:120], v[115:116]
	ds_read2_b64 v[95:98], v0 offset0:64 offset1:65
	v_fma_f64 v[115:116], v[119:120], v[113:114], v[83:84]
	v_fma_f64 v[89:90], v[117:118], v[113:114], -v[89:90]
	s_waitcnt lgkmcnt(0)
	v_mul_f64 v[81:82], v[97:98], v[115:116]
	v_mul_f64 v[91:92], v[95:96], v[115:116]
	v_mov_b32_e32 v114, v90
	v_mov_b32_e32 v113, v89
	v_fma_f64 v[81:82], v[95:96], v[89:90], -v[81:82]
	v_fma_f64 v[91:92], v[97:98], v[89:90], v[91:92]
	ds_read2_b64 v[95:98], v0 offset0:66 offset1:67
	v_add_f64 v[77:78], v[77:78], -v[81:82]
	v_add_f64 v[79:80], v[79:80], -v[91:92]
	s_waitcnt lgkmcnt(0)
	v_mul_f64 v[81:82], v[97:98], v[115:116]
	v_mul_f64 v[91:92], v[95:96], v[115:116]
	v_fma_f64 v[81:82], v[95:96], v[89:90], -v[81:82]
	v_fma_f64 v[91:92], v[97:98], v[89:90], v[91:92]
	ds_read2_b64 v[95:98], v0 offset0:68 offset1:69
	buffer_load_dword v69, off, s[24:27], 0 ; 4-byte Folded Reload
	buffer_load_dword v70, off, s[24:27], 0 offset:4 ; 4-byte Folded Reload
	buffer_load_dword v71, off, s[24:27], 0 offset:8 ; 4-byte Folded Reload
	;; [unrolled: 1-line block ×3, first 2 shown]
	v_add_f64 v[73:74], v[73:74], -v[81:82]
	v_add_f64 v[75:76], v[75:76], -v[91:92]
	s_waitcnt lgkmcnt(0)
	v_mul_f64 v[81:82], v[97:98], v[115:116]
	v_mul_f64 v[91:92], v[95:96], v[115:116]
	v_fma_f64 v[81:82], v[95:96], v[89:90], -v[81:82]
	v_fma_f64 v[91:92], v[97:98], v[89:90], v[91:92]
	s_waitcnt vmcnt(2)
	v_add_f64 v[69:70], v[69:70], -v[81:82]
	s_waitcnt vmcnt(0)
	v_add_f64 v[71:72], v[71:72], -v[91:92]
	buffer_store_dword v69, off, s[24:27], 0 ; 4-byte Folded Spill
	s_nop 0
	buffer_store_dword v70, off, s[24:27], 0 offset:4 ; 4-byte Folded Spill
	buffer_store_dword v71, off, s[24:27], 0 offset:8 ; 4-byte Folded Spill
	;; [unrolled: 1-line block ×3, first 2 shown]
	ds_read2_b64 v[95:98], v0 offset0:70 offset1:71
	s_waitcnt lgkmcnt(0)
	v_mul_f64 v[81:82], v[97:98], v[115:116]
	v_mul_f64 v[91:92], v[95:96], v[115:116]
	v_fma_f64 v[81:82], v[95:96], v[89:90], -v[81:82]
	v_fma_f64 v[91:92], v[97:98], v[89:90], v[91:92]
	ds_read2_b64 v[95:98], v0 offset0:72 offset1:73
	v_add_f64 v[65:66], v[65:66], -v[81:82]
	v_add_f64 v[67:68], v[67:68], -v[91:92]
	s_waitcnt lgkmcnt(0)
	v_mul_f64 v[81:82], v[97:98], v[115:116]
	v_mul_f64 v[91:92], v[95:96], v[115:116]
	v_fma_f64 v[81:82], v[95:96], v[89:90], -v[81:82]
	v_fma_f64 v[91:92], v[97:98], v[89:90], v[91:92]
	ds_read2_b64 v[95:98], v0 offset0:74 offset1:75
	v_add_f64 v[61:62], v[61:62], -v[81:82]
	v_add_f64 v[63:64], v[63:64], -v[91:92]
	;; [unrolled: 8-line block ×17, first 2 shown]
	s_waitcnt lgkmcnt(0)
	v_mul_f64 v[81:82], v[97:98], v[115:116]
	v_mul_f64 v[91:92], v[95:96], v[115:116]
	v_fma_f64 v[81:82], v[95:96], v[89:90], -v[81:82]
	v_fma_f64 v[91:92], v[97:98], v[89:90], v[91:92]
	v_add_f64 v[121:122], v[121:122], -v[81:82]
	v_add_f64 v[123:124], v[123:124], -v[91:92]
	v_mov_b32_e32 v81, v105
	v_mov_b32_e32 v82, v106
	;; [unrolled: 1-line block ×4, first 2 shown]
.LBB104_671:
	s_or_b64 exec, exec, s[0:1]
	v_lshl_add_u32 v89, v93, 4, v0
	s_waitcnt vmcnt(0)
	s_barrier
	ds_write2_b64 v89, v[77:78], v[79:80] offset1:1
	s_waitcnt lgkmcnt(0)
	s_barrier
	ds_read2_b64 v[117:120], v0 offset0:64 offset1:65
	s_cmp_lt_i32 s3, 34
	v_mov_b32_e32 v89, 32
	s_cbranch_scc1 .LBB104_674
; %bb.672:
	v_add_u32_e32 v90, 0x210, v0
	s_mov_b32 s0, 33
	v_mov_b32_e32 v89, 32
.LBB104_673:                            ; =>This Inner Loop Header: Depth=1
	s_waitcnt lgkmcnt(0)
	v_cmp_gt_f64_e32 vcc, 0, v[117:118]
	v_xor_b32_e32 v91, 0x80000000, v118
	ds_read2_b64 v[95:98], v90 offset1:1
	v_xor_b32_e32 v99, 0x80000000, v120
	v_add_u32_e32 v90, 16, v90
	s_waitcnt lgkmcnt(0)
	v_xor_b32_e32 v101, 0x80000000, v98
	v_cndmask_b32_e32 v92, v118, v91, vcc
	v_cmp_gt_f64_e32 vcc, 0, v[119:120]
	v_mov_b32_e32 v91, v117
	v_cndmask_b32_e32 v100, v120, v99, vcc
	v_cmp_gt_f64_e32 vcc, 0, v[95:96]
	v_mov_b32_e32 v99, v119
	v_add_f64 v[91:92], v[91:92], v[99:100]
	v_xor_b32_e32 v99, 0x80000000, v96
	v_cndmask_b32_e32 v100, v96, v99, vcc
	v_cmp_gt_f64_e32 vcc, 0, v[97:98]
	v_mov_b32_e32 v99, v95
	v_cndmask_b32_e32 v102, v98, v101, vcc
	v_mov_b32_e32 v101, v97
	v_add_f64 v[99:100], v[99:100], v[101:102]
	v_cmp_lt_f64_e32 vcc, v[91:92], v[99:100]
	v_mov_b32_e32 v91, s0
	s_add_i32 s0, s0, 1
	s_cmp_lg_u32 s3, s0
	v_cndmask_b32_e32 v118, v118, v96, vcc
	v_cndmask_b32_e32 v117, v117, v95, vcc
	;; [unrolled: 1-line block ×5, first 2 shown]
	s_cbranch_scc1 .LBB104_673
.LBB104_674:
	s_waitcnt lgkmcnt(0)
	v_cmp_eq_f64_e32 vcc, 0, v[117:118]
	v_cmp_eq_f64_e64 s[0:1], 0, v[119:120]
	s_and_b64 s[0:1], vcc, s[0:1]
	s_and_saveexec_b64 s[18:19], s[0:1]
	s_xor_b64 s[0:1], exec, s[18:19]
; %bb.675:
	v_cmp_ne_u32_e32 vcc, 0, v94
	v_cndmask_b32_e32 v94, 33, v94, vcc
; %bb.676:
	s_andn2_saveexec_b64 s[0:1], s[0:1]
	s_cbranch_execz .LBB104_682
; %bb.677:
	v_cmp_ngt_f64_e64 s[18:19], |v[117:118]|, |v[119:120]|
	s_and_saveexec_b64 s[20:21], s[18:19]
	s_xor_b64 s[18:19], exec, s[20:21]
	s_cbranch_execz .LBB104_679
; %bb.678:
	v_div_scale_f64 v[90:91], s[20:21], v[119:120], v[119:120], v[117:118]
	v_rcp_f64_e32 v[95:96], v[90:91]
	v_fma_f64 v[97:98], -v[90:91], v[95:96], 1.0
	v_fma_f64 v[95:96], v[95:96], v[97:98], v[95:96]
	v_div_scale_f64 v[97:98], vcc, v[117:118], v[119:120], v[117:118]
	v_fma_f64 v[99:100], -v[90:91], v[95:96], 1.0
	v_fma_f64 v[95:96], v[95:96], v[99:100], v[95:96]
	v_mul_f64 v[99:100], v[97:98], v[95:96]
	v_fma_f64 v[90:91], -v[90:91], v[99:100], v[97:98]
	v_div_fmas_f64 v[90:91], v[90:91], v[95:96], v[99:100]
	v_div_fixup_f64 v[90:91], v[90:91], v[119:120], v[117:118]
	v_fma_f64 v[95:96], v[117:118], v[90:91], v[119:120]
	v_div_scale_f64 v[97:98], s[20:21], v[95:96], v[95:96], 1.0
	v_div_scale_f64 v[103:104], vcc, 1.0, v[95:96], 1.0
	v_rcp_f64_e32 v[99:100], v[97:98]
	v_fma_f64 v[101:102], -v[97:98], v[99:100], 1.0
	v_fma_f64 v[99:100], v[99:100], v[101:102], v[99:100]
	v_fma_f64 v[101:102], -v[97:98], v[99:100], 1.0
	v_fma_f64 v[99:100], v[99:100], v[101:102], v[99:100]
	v_mul_f64 v[101:102], v[103:104], v[99:100]
	v_fma_f64 v[97:98], -v[97:98], v[101:102], v[103:104]
	v_div_fmas_f64 v[97:98], v[97:98], v[99:100], v[101:102]
	v_div_fixup_f64 v[119:120], v[97:98], v[95:96], 1.0
	v_mul_f64 v[117:118], v[90:91], v[119:120]
	v_xor_b32_e32 v120, 0x80000000, v120
.LBB104_679:
	s_andn2_saveexec_b64 s[18:19], s[18:19]
	s_cbranch_execz .LBB104_681
; %bb.680:
	v_div_scale_f64 v[90:91], s[20:21], v[117:118], v[117:118], v[119:120]
	v_rcp_f64_e32 v[95:96], v[90:91]
	v_fma_f64 v[97:98], -v[90:91], v[95:96], 1.0
	v_fma_f64 v[95:96], v[95:96], v[97:98], v[95:96]
	v_div_scale_f64 v[97:98], vcc, v[119:120], v[117:118], v[119:120]
	v_fma_f64 v[99:100], -v[90:91], v[95:96], 1.0
	v_fma_f64 v[95:96], v[95:96], v[99:100], v[95:96]
	v_mul_f64 v[99:100], v[97:98], v[95:96]
	v_fma_f64 v[90:91], -v[90:91], v[99:100], v[97:98]
	v_div_fmas_f64 v[90:91], v[90:91], v[95:96], v[99:100]
	v_div_fixup_f64 v[90:91], v[90:91], v[117:118], v[119:120]
	v_fma_f64 v[95:96], v[119:120], v[90:91], v[117:118]
	v_div_scale_f64 v[97:98], s[20:21], v[95:96], v[95:96], 1.0
	v_div_scale_f64 v[103:104], vcc, 1.0, v[95:96], 1.0
	v_rcp_f64_e32 v[99:100], v[97:98]
	v_fma_f64 v[101:102], -v[97:98], v[99:100], 1.0
	v_fma_f64 v[99:100], v[99:100], v[101:102], v[99:100]
	v_fma_f64 v[101:102], -v[97:98], v[99:100], 1.0
	v_fma_f64 v[99:100], v[99:100], v[101:102], v[99:100]
	v_mul_f64 v[101:102], v[103:104], v[99:100]
	v_fma_f64 v[97:98], -v[97:98], v[101:102], v[103:104]
	v_div_fmas_f64 v[97:98], v[97:98], v[99:100], v[101:102]
	v_div_fixup_f64 v[117:118], v[97:98], v[95:96], 1.0
	v_mul_f64 v[119:120], v[90:91], -v[117:118]
.LBB104_681:
	s_or_b64 exec, exec, s[18:19]
.LBB104_682:
	s_or_b64 exec, exec, s[0:1]
	v_cmp_ne_u32_e32 vcc, v93, v89
	s_and_saveexec_b64 s[0:1], vcc
	s_xor_b64 s[0:1], exec, s[0:1]
	s_cbranch_execz .LBB104_688
; %bb.683:
	v_cmp_eq_u32_e32 vcc, 32, v93
	s_and_saveexec_b64 s[18:19], vcc
	s_cbranch_execz .LBB104_687
; %bb.684:
	v_cmp_ne_u32_e32 vcc, 32, v89
	s_xor_b64 s[20:21], s[6:7], -1
	s_and_b64 s[22:23], s[20:21], vcc
	s_and_saveexec_b64 s[20:21], s[22:23]
	s_cbranch_execz .LBB104_686
; %bb.685:
	buffer_load_dword v81, off, s[24:27], 0 offset:420 ; 4-byte Folded Reload
	buffer_load_dword v82, off, s[24:27], 0 offset:424 ; 4-byte Folded Reload
	v_ashrrev_i32_e32 v90, 31, v89
	v_lshlrev_b64 v[90:91], 2, v[89:90]
	s_waitcnt vmcnt(1)
	v_add_co_u32_e32 v90, vcc, v81, v90
	s_waitcnt vmcnt(0)
	v_addc_co_u32_e32 v91, vcc, v82, v91, vcc
	global_load_dword v92, v[90:91], off
	global_load_dword v93, v[81:82], off offset:128
	s_waitcnt vmcnt(1)
	global_store_dword v[81:82], v92, off offset:128
	v_mov_b32_e32 v81, v105
	v_mov_b32_e32 v82, v106
	;; [unrolled: 1-line block ×4, first 2 shown]
	s_waitcnt vmcnt(1)
	global_store_dword v[90:91], v93, off
.LBB104_686:
	s_or_b64 exec, exec, s[20:21]
	v_mov_b32_e32 v93, v89
	v_mov_b32_e32 v69, v89
	buffer_store_dword v69, off, s[24:27], 0 offset:352 ; 4-byte Folded Spill
.LBB104_687:
	s_or_b64 exec, exec, s[18:19]
.LBB104_688:
	s_andn2_saveexec_b64 s[0:1], s[0:1]
	s_cbranch_execz .LBB104_690
; %bb.689:
	ds_write2_b64 v0, v[73:74], v[75:76] offset0:66 offset1:67
	buffer_load_dword v69, off, s[24:27], 0 ; 4-byte Folded Reload
	buffer_load_dword v70, off, s[24:27], 0 offset:4 ; 4-byte Folded Reload
	buffer_load_dword v71, off, s[24:27], 0 offset:8 ; 4-byte Folded Reload
	;; [unrolled: 1-line block ×3, first 2 shown]
	v_mov_b32_e32 v93, 32
	s_waitcnt vmcnt(0)
	ds_write2_b64 v0, v[69:70], v[71:72] offset0:68 offset1:69
	ds_write2_b64 v0, v[65:66], v[67:68] offset0:70 offset1:71
	;; [unrolled: 1-line block ×19, first 2 shown]
.LBB104_690:
	s_or_b64 exec, exec, s[0:1]
	v_cmp_lt_i32_e32 vcc, 32, v93
	s_waitcnt vmcnt(0) lgkmcnt(0)
	s_barrier
	s_and_saveexec_b64 s[0:1], vcc
	s_cbranch_execz .LBB104_692
; %bb.691:
	v_mul_f64 v[89:90], v[119:120], v[79:80]
	v_mul_f64 v[79:80], v[117:118], v[79:80]
	ds_read2_b64 v[95:98], v0 offset0:66 offset1:67
	v_fma_f64 v[89:90], v[117:118], v[77:78], -v[89:90]
	v_fma_f64 v[79:80], v[119:120], v[77:78], v[79:80]
	s_waitcnt lgkmcnt(0)
	v_mul_f64 v[77:78], v[97:98], v[79:80]
	v_mul_f64 v[91:92], v[95:96], v[79:80]
	v_fma_f64 v[77:78], v[95:96], v[89:90], -v[77:78]
	v_fma_f64 v[91:92], v[97:98], v[89:90], v[91:92]
	ds_read2_b64 v[95:98], v0 offset0:68 offset1:69
	buffer_load_dword v69, off, s[24:27], 0 ; 4-byte Folded Reload
	buffer_load_dword v70, off, s[24:27], 0 offset:4 ; 4-byte Folded Reload
	buffer_load_dword v71, off, s[24:27], 0 offset:8 ; 4-byte Folded Reload
	;; [unrolled: 1-line block ×3, first 2 shown]
	v_add_f64 v[73:74], v[73:74], -v[77:78]
	v_add_f64 v[75:76], v[75:76], -v[91:92]
	s_waitcnt lgkmcnt(0)
	v_mul_f64 v[77:78], v[97:98], v[79:80]
	v_mul_f64 v[91:92], v[95:96], v[79:80]
	v_fma_f64 v[77:78], v[95:96], v[89:90], -v[77:78]
	v_fma_f64 v[91:92], v[97:98], v[89:90], v[91:92]
	s_waitcnt vmcnt(2)
	v_add_f64 v[69:70], v[69:70], -v[77:78]
	s_waitcnt vmcnt(0)
	v_add_f64 v[71:72], v[71:72], -v[91:92]
	buffer_store_dword v69, off, s[24:27], 0 ; 4-byte Folded Spill
	s_nop 0
	buffer_store_dword v70, off, s[24:27], 0 offset:4 ; 4-byte Folded Spill
	buffer_store_dword v71, off, s[24:27], 0 offset:8 ; 4-byte Folded Spill
	;; [unrolled: 1-line block ×3, first 2 shown]
	ds_read2_b64 v[95:98], v0 offset0:70 offset1:71
	s_waitcnt lgkmcnt(0)
	v_mul_f64 v[77:78], v[97:98], v[79:80]
	v_mul_f64 v[91:92], v[95:96], v[79:80]
	v_fma_f64 v[77:78], v[95:96], v[89:90], -v[77:78]
	v_fma_f64 v[91:92], v[97:98], v[89:90], v[91:92]
	ds_read2_b64 v[95:98], v0 offset0:72 offset1:73
	v_add_f64 v[65:66], v[65:66], -v[77:78]
	v_add_f64 v[67:68], v[67:68], -v[91:92]
	s_waitcnt lgkmcnt(0)
	v_mul_f64 v[77:78], v[97:98], v[79:80]
	v_mul_f64 v[91:92], v[95:96], v[79:80]
	v_fma_f64 v[77:78], v[95:96], v[89:90], -v[77:78]
	v_fma_f64 v[91:92], v[97:98], v[89:90], v[91:92]
	ds_read2_b64 v[95:98], v0 offset0:74 offset1:75
	v_add_f64 v[61:62], v[61:62], -v[77:78]
	v_add_f64 v[63:64], v[63:64], -v[91:92]
	;; [unrolled: 8-line block ×17, first 2 shown]
	s_waitcnt lgkmcnt(0)
	v_mul_f64 v[77:78], v[97:98], v[79:80]
	v_mul_f64 v[91:92], v[95:96], v[79:80]
	v_fma_f64 v[77:78], v[95:96], v[89:90], -v[77:78]
	v_fma_f64 v[91:92], v[97:98], v[89:90], v[91:92]
	v_add_f64 v[121:122], v[121:122], -v[77:78]
	v_add_f64 v[123:124], v[123:124], -v[91:92]
	v_mov_b32_e32 v77, v89
	v_mov_b32_e32 v78, v90
.LBB104_692:
	s_or_b64 exec, exec, s[0:1]
	v_lshl_add_u32 v89, v93, 4, v0
	s_waitcnt vmcnt(0)
	s_barrier
	ds_write2_b64 v89, v[73:74], v[75:76] offset1:1
	s_waitcnt lgkmcnt(0)
	s_barrier
	ds_read2_b64 v[117:120], v0 offset0:66 offset1:67
	s_cmp_lt_i32 s3, 35
	v_mov_b32_e32 v89, 33
	s_cbranch_scc1 .LBB104_695
; %bb.693:
	v_add_u32_e32 v90, 0x220, v0
	s_mov_b32 s0, 34
	v_mov_b32_e32 v89, 33
.LBB104_694:                            ; =>This Inner Loop Header: Depth=1
	s_waitcnt lgkmcnt(0)
	v_cmp_gt_f64_e32 vcc, 0, v[117:118]
	v_xor_b32_e32 v91, 0x80000000, v118
	ds_read2_b64 v[95:98], v90 offset1:1
	v_xor_b32_e32 v99, 0x80000000, v120
	v_add_u32_e32 v90, 16, v90
	s_waitcnt lgkmcnt(0)
	v_xor_b32_e32 v101, 0x80000000, v98
	v_cndmask_b32_e32 v92, v118, v91, vcc
	v_cmp_gt_f64_e32 vcc, 0, v[119:120]
	v_mov_b32_e32 v91, v117
	v_cndmask_b32_e32 v100, v120, v99, vcc
	v_cmp_gt_f64_e32 vcc, 0, v[95:96]
	v_mov_b32_e32 v99, v119
	v_add_f64 v[91:92], v[91:92], v[99:100]
	v_xor_b32_e32 v99, 0x80000000, v96
	v_cndmask_b32_e32 v100, v96, v99, vcc
	v_cmp_gt_f64_e32 vcc, 0, v[97:98]
	v_mov_b32_e32 v99, v95
	v_cndmask_b32_e32 v102, v98, v101, vcc
	v_mov_b32_e32 v101, v97
	v_add_f64 v[99:100], v[99:100], v[101:102]
	v_cmp_lt_f64_e32 vcc, v[91:92], v[99:100]
	v_mov_b32_e32 v91, s0
	s_add_i32 s0, s0, 1
	s_cmp_lg_u32 s3, s0
	v_cndmask_b32_e32 v118, v118, v96, vcc
	v_cndmask_b32_e32 v117, v117, v95, vcc
	;; [unrolled: 1-line block ×5, first 2 shown]
	s_cbranch_scc1 .LBB104_694
.LBB104_695:
	s_waitcnt lgkmcnt(0)
	v_cmp_eq_f64_e32 vcc, 0, v[117:118]
	v_cmp_eq_f64_e64 s[0:1], 0, v[119:120]
	s_and_b64 s[0:1], vcc, s[0:1]
	s_and_saveexec_b64 s[18:19], s[0:1]
	s_xor_b64 s[0:1], exec, s[18:19]
; %bb.696:
	v_cmp_ne_u32_e32 vcc, 0, v94
	v_cndmask_b32_e32 v94, 34, v94, vcc
; %bb.697:
	s_andn2_saveexec_b64 s[0:1], s[0:1]
	s_cbranch_execz .LBB104_703
; %bb.698:
	v_cmp_ngt_f64_e64 s[18:19], |v[117:118]|, |v[119:120]|
	s_and_saveexec_b64 s[20:21], s[18:19]
	s_xor_b64 s[18:19], exec, s[20:21]
	s_cbranch_execz .LBB104_700
; %bb.699:
	v_div_scale_f64 v[90:91], s[20:21], v[119:120], v[119:120], v[117:118]
	v_rcp_f64_e32 v[95:96], v[90:91]
	v_fma_f64 v[97:98], -v[90:91], v[95:96], 1.0
	v_fma_f64 v[95:96], v[95:96], v[97:98], v[95:96]
	v_div_scale_f64 v[97:98], vcc, v[117:118], v[119:120], v[117:118]
	v_fma_f64 v[99:100], -v[90:91], v[95:96], 1.0
	v_fma_f64 v[95:96], v[95:96], v[99:100], v[95:96]
	v_mul_f64 v[99:100], v[97:98], v[95:96]
	v_fma_f64 v[90:91], -v[90:91], v[99:100], v[97:98]
	v_div_fmas_f64 v[90:91], v[90:91], v[95:96], v[99:100]
	v_div_fixup_f64 v[90:91], v[90:91], v[119:120], v[117:118]
	v_fma_f64 v[95:96], v[117:118], v[90:91], v[119:120]
	v_div_scale_f64 v[97:98], s[20:21], v[95:96], v[95:96], 1.0
	v_div_scale_f64 v[103:104], vcc, 1.0, v[95:96], 1.0
	v_rcp_f64_e32 v[99:100], v[97:98]
	v_fma_f64 v[101:102], -v[97:98], v[99:100], 1.0
	v_fma_f64 v[99:100], v[99:100], v[101:102], v[99:100]
	v_fma_f64 v[101:102], -v[97:98], v[99:100], 1.0
	v_fma_f64 v[99:100], v[99:100], v[101:102], v[99:100]
	v_mul_f64 v[101:102], v[103:104], v[99:100]
	v_fma_f64 v[97:98], -v[97:98], v[101:102], v[103:104]
	v_div_fmas_f64 v[97:98], v[97:98], v[99:100], v[101:102]
	v_div_fixup_f64 v[119:120], v[97:98], v[95:96], 1.0
	v_mul_f64 v[117:118], v[90:91], v[119:120]
	v_xor_b32_e32 v120, 0x80000000, v120
.LBB104_700:
	s_andn2_saveexec_b64 s[18:19], s[18:19]
	s_cbranch_execz .LBB104_702
; %bb.701:
	v_div_scale_f64 v[90:91], s[20:21], v[117:118], v[117:118], v[119:120]
	v_rcp_f64_e32 v[95:96], v[90:91]
	v_fma_f64 v[97:98], -v[90:91], v[95:96], 1.0
	v_fma_f64 v[95:96], v[95:96], v[97:98], v[95:96]
	v_div_scale_f64 v[97:98], vcc, v[119:120], v[117:118], v[119:120]
	v_fma_f64 v[99:100], -v[90:91], v[95:96], 1.0
	v_fma_f64 v[95:96], v[95:96], v[99:100], v[95:96]
	v_mul_f64 v[99:100], v[97:98], v[95:96]
	v_fma_f64 v[90:91], -v[90:91], v[99:100], v[97:98]
	v_div_fmas_f64 v[90:91], v[90:91], v[95:96], v[99:100]
	v_div_fixup_f64 v[90:91], v[90:91], v[117:118], v[119:120]
	v_fma_f64 v[95:96], v[119:120], v[90:91], v[117:118]
	v_div_scale_f64 v[97:98], s[20:21], v[95:96], v[95:96], 1.0
	v_div_scale_f64 v[103:104], vcc, 1.0, v[95:96], 1.0
	v_rcp_f64_e32 v[99:100], v[97:98]
	v_fma_f64 v[101:102], -v[97:98], v[99:100], 1.0
	v_fma_f64 v[99:100], v[99:100], v[101:102], v[99:100]
	v_fma_f64 v[101:102], -v[97:98], v[99:100], 1.0
	v_fma_f64 v[99:100], v[99:100], v[101:102], v[99:100]
	v_mul_f64 v[101:102], v[103:104], v[99:100]
	v_fma_f64 v[97:98], -v[97:98], v[101:102], v[103:104]
	v_div_fmas_f64 v[97:98], v[97:98], v[99:100], v[101:102]
	v_div_fixup_f64 v[117:118], v[97:98], v[95:96], 1.0
	v_mul_f64 v[119:120], v[90:91], -v[117:118]
.LBB104_702:
	s_or_b64 exec, exec, s[18:19]
.LBB104_703:
	s_or_b64 exec, exec, s[0:1]
	v_cmp_ne_u32_e32 vcc, v93, v89
	s_and_saveexec_b64 s[0:1], vcc
	s_xor_b64 s[0:1], exec, s[0:1]
	s_cbranch_execz .LBB104_709
; %bb.704:
	v_cmp_eq_u32_e32 vcc, 33, v93
	s_and_saveexec_b64 s[18:19], vcc
	s_cbranch_execz .LBB104_708
; %bb.705:
	v_cmp_ne_u32_e32 vcc, 33, v89
	s_xor_b64 s[20:21], s[6:7], -1
	s_and_b64 s[22:23], s[20:21], vcc
	s_and_saveexec_b64 s[20:21], s[22:23]
	s_cbranch_execz .LBB104_707
; %bb.706:
	buffer_load_dword v81, off, s[24:27], 0 offset:420 ; 4-byte Folded Reload
	buffer_load_dword v82, off, s[24:27], 0 offset:424 ; 4-byte Folded Reload
	v_ashrrev_i32_e32 v90, 31, v89
	v_lshlrev_b64 v[90:91], 2, v[89:90]
	s_waitcnt vmcnt(1)
	v_add_co_u32_e32 v90, vcc, v81, v90
	s_waitcnt vmcnt(0)
	v_addc_co_u32_e32 v91, vcc, v82, v91, vcc
	global_load_dword v92, v[90:91], off
	global_load_dword v93, v[81:82], off offset:132
	s_waitcnt vmcnt(1)
	global_store_dword v[81:82], v92, off offset:132
	v_mov_b32_e32 v81, v105
	v_mov_b32_e32 v82, v106
	;; [unrolled: 1-line block ×4, first 2 shown]
	s_waitcnt vmcnt(1)
	global_store_dword v[90:91], v93, off
.LBB104_707:
	s_or_b64 exec, exec, s[20:21]
	v_mov_b32_e32 v93, v89
	v_mov_b32_e32 v69, v89
	buffer_store_dword v69, off, s[24:27], 0 offset:352 ; 4-byte Folded Spill
.LBB104_708:
	s_or_b64 exec, exec, s[18:19]
.LBB104_709:
	s_andn2_saveexec_b64 s[0:1], s[0:1]
	s_cbranch_execz .LBB104_711
; %bb.710:
	buffer_load_dword v69, off, s[24:27], 0 ; 4-byte Folded Reload
	buffer_load_dword v70, off, s[24:27], 0 offset:4 ; 4-byte Folded Reload
	buffer_load_dword v71, off, s[24:27], 0 offset:8 ; 4-byte Folded Reload
	;; [unrolled: 1-line block ×3, first 2 shown]
	v_mov_b32_e32 v93, 33
	s_waitcnt vmcnt(0)
	ds_write2_b64 v0, v[69:70], v[71:72] offset0:68 offset1:69
	ds_write2_b64 v0, v[65:66], v[67:68] offset0:70 offset1:71
	;; [unrolled: 1-line block ×19, first 2 shown]
.LBB104_711:
	s_or_b64 exec, exec, s[0:1]
	v_cmp_lt_i32_e32 vcc, 33, v93
	s_waitcnt vmcnt(0) lgkmcnt(0)
	s_barrier
	s_and_saveexec_b64 s[0:1], vcc
	s_cbranch_execz .LBB104_713
; %bb.712:
	ds_read2_b64 v[95:98], v0 offset0:68 offset1:69
	buffer_load_dword v69, off, s[24:27], 0 ; 4-byte Folded Reload
	buffer_load_dword v70, off, s[24:27], 0 offset:4 ; 4-byte Folded Reload
	buffer_load_dword v71, off, s[24:27], 0 offset:8 ; 4-byte Folded Reload
	;; [unrolled: 1-line block ×3, first 2 shown]
	v_mul_f64 v[89:90], v[119:120], v[75:76]
	v_mul_f64 v[75:76], v[117:118], v[75:76]
	v_fma_f64 v[89:90], v[117:118], v[73:74], -v[89:90]
	v_fma_f64 v[75:76], v[119:120], v[73:74], v[75:76]
	s_waitcnt lgkmcnt(0)
	v_mul_f64 v[73:74], v[97:98], v[75:76]
	v_mul_f64 v[91:92], v[95:96], v[75:76]
	v_fma_f64 v[73:74], v[95:96], v[89:90], -v[73:74]
	v_fma_f64 v[91:92], v[97:98], v[89:90], v[91:92]
	s_waitcnt vmcnt(2)
	v_add_f64 v[69:70], v[69:70], -v[73:74]
	s_waitcnt vmcnt(0)
	v_add_f64 v[71:72], v[71:72], -v[91:92]
	buffer_store_dword v69, off, s[24:27], 0 ; 4-byte Folded Spill
	s_nop 0
	buffer_store_dword v70, off, s[24:27], 0 offset:4 ; 4-byte Folded Spill
	buffer_store_dword v71, off, s[24:27], 0 offset:8 ; 4-byte Folded Spill
	;; [unrolled: 1-line block ×3, first 2 shown]
	ds_read2_b64 v[95:98], v0 offset0:70 offset1:71
	s_waitcnt lgkmcnt(0)
	v_mul_f64 v[73:74], v[97:98], v[75:76]
	v_mul_f64 v[91:92], v[95:96], v[75:76]
	v_fma_f64 v[73:74], v[95:96], v[89:90], -v[73:74]
	v_fma_f64 v[91:92], v[97:98], v[89:90], v[91:92]
	ds_read2_b64 v[95:98], v0 offset0:72 offset1:73
	v_add_f64 v[65:66], v[65:66], -v[73:74]
	v_add_f64 v[67:68], v[67:68], -v[91:92]
	s_waitcnt lgkmcnt(0)
	v_mul_f64 v[73:74], v[97:98], v[75:76]
	v_mul_f64 v[91:92], v[95:96], v[75:76]
	v_fma_f64 v[73:74], v[95:96], v[89:90], -v[73:74]
	v_fma_f64 v[91:92], v[97:98], v[89:90], v[91:92]
	ds_read2_b64 v[95:98], v0 offset0:74 offset1:75
	v_add_f64 v[61:62], v[61:62], -v[73:74]
	v_add_f64 v[63:64], v[63:64], -v[91:92]
	;; [unrolled: 8-line block ×17, first 2 shown]
	s_waitcnt lgkmcnt(0)
	v_mul_f64 v[73:74], v[97:98], v[75:76]
	v_mul_f64 v[91:92], v[95:96], v[75:76]
	v_fma_f64 v[73:74], v[95:96], v[89:90], -v[73:74]
	v_fma_f64 v[91:92], v[97:98], v[89:90], v[91:92]
	v_add_f64 v[121:122], v[121:122], -v[73:74]
	v_add_f64 v[123:124], v[123:124], -v[91:92]
	v_mov_b32_e32 v73, v89
	v_mov_b32_e32 v74, v90
.LBB104_713:
	s_or_b64 exec, exec, s[0:1]
	s_waitcnt vmcnt(0)
	s_barrier
	buffer_load_dword v69, off, s[24:27], 0 ; 4-byte Folded Reload
	buffer_load_dword v70, off, s[24:27], 0 offset:4 ; 4-byte Folded Reload
	buffer_load_dword v71, off, s[24:27], 0 offset:8 ; 4-byte Folded Reload
	;; [unrolled: 1-line block ×3, first 2 shown]
	v_lshl_add_u32 v89, v93, 4, v0
	s_cmp_lt_i32 s3, 36
	s_waitcnt vmcnt(0)
	ds_write2_b64 v89, v[69:70], v[71:72] offset1:1
	s_waitcnt lgkmcnt(0)
	s_barrier
	ds_read2_b64 v[117:120], v0 offset0:68 offset1:69
	v_mov_b32_e32 v89, 34
	s_cbranch_scc1 .LBB104_716
; %bb.714:
	v_add_u32_e32 v90, 0x230, v0
	s_mov_b32 s0, 35
	v_mov_b32_e32 v89, 34
.LBB104_715:                            ; =>This Inner Loop Header: Depth=1
	s_waitcnt lgkmcnt(0)
	v_cmp_gt_f64_e32 vcc, 0, v[117:118]
	v_xor_b32_e32 v91, 0x80000000, v118
	ds_read2_b64 v[95:98], v90 offset1:1
	v_xor_b32_e32 v99, 0x80000000, v120
	v_add_u32_e32 v90, 16, v90
	s_waitcnt lgkmcnt(0)
	v_xor_b32_e32 v101, 0x80000000, v98
	v_cndmask_b32_e32 v92, v118, v91, vcc
	v_cmp_gt_f64_e32 vcc, 0, v[119:120]
	v_mov_b32_e32 v91, v117
	v_cndmask_b32_e32 v100, v120, v99, vcc
	v_cmp_gt_f64_e32 vcc, 0, v[95:96]
	v_mov_b32_e32 v99, v119
	v_add_f64 v[91:92], v[91:92], v[99:100]
	v_xor_b32_e32 v99, 0x80000000, v96
	v_cndmask_b32_e32 v100, v96, v99, vcc
	v_cmp_gt_f64_e32 vcc, 0, v[97:98]
	v_mov_b32_e32 v99, v95
	v_cndmask_b32_e32 v102, v98, v101, vcc
	v_mov_b32_e32 v101, v97
	v_add_f64 v[99:100], v[99:100], v[101:102]
	v_cmp_lt_f64_e32 vcc, v[91:92], v[99:100]
	v_mov_b32_e32 v91, s0
	s_add_i32 s0, s0, 1
	s_cmp_lg_u32 s3, s0
	v_cndmask_b32_e32 v118, v118, v96, vcc
	v_cndmask_b32_e32 v117, v117, v95, vcc
	;; [unrolled: 1-line block ×5, first 2 shown]
	s_cbranch_scc1 .LBB104_715
.LBB104_716:
	s_waitcnt lgkmcnt(0)
	v_cmp_eq_f64_e32 vcc, 0, v[117:118]
	v_cmp_eq_f64_e64 s[0:1], 0, v[119:120]
	s_and_b64 s[0:1], vcc, s[0:1]
	s_and_saveexec_b64 s[18:19], s[0:1]
	s_xor_b64 s[0:1], exec, s[18:19]
; %bb.717:
	v_cmp_ne_u32_e32 vcc, 0, v94
	v_cndmask_b32_e32 v94, 35, v94, vcc
; %bb.718:
	s_andn2_saveexec_b64 s[0:1], s[0:1]
	s_cbranch_execz .LBB104_724
; %bb.719:
	v_cmp_ngt_f64_e64 s[18:19], |v[117:118]|, |v[119:120]|
	s_and_saveexec_b64 s[20:21], s[18:19]
	s_xor_b64 s[18:19], exec, s[20:21]
	s_cbranch_execz .LBB104_721
; %bb.720:
	v_div_scale_f64 v[90:91], s[20:21], v[119:120], v[119:120], v[117:118]
	v_rcp_f64_e32 v[95:96], v[90:91]
	v_fma_f64 v[97:98], -v[90:91], v[95:96], 1.0
	v_fma_f64 v[95:96], v[95:96], v[97:98], v[95:96]
	v_div_scale_f64 v[97:98], vcc, v[117:118], v[119:120], v[117:118]
	v_fma_f64 v[99:100], -v[90:91], v[95:96], 1.0
	v_fma_f64 v[95:96], v[95:96], v[99:100], v[95:96]
	v_mul_f64 v[99:100], v[97:98], v[95:96]
	v_fma_f64 v[90:91], -v[90:91], v[99:100], v[97:98]
	v_div_fmas_f64 v[90:91], v[90:91], v[95:96], v[99:100]
	v_div_fixup_f64 v[90:91], v[90:91], v[119:120], v[117:118]
	v_fma_f64 v[95:96], v[117:118], v[90:91], v[119:120]
	v_div_scale_f64 v[97:98], s[20:21], v[95:96], v[95:96], 1.0
	v_div_scale_f64 v[103:104], vcc, 1.0, v[95:96], 1.0
	v_rcp_f64_e32 v[99:100], v[97:98]
	v_fma_f64 v[101:102], -v[97:98], v[99:100], 1.0
	v_fma_f64 v[99:100], v[99:100], v[101:102], v[99:100]
	v_fma_f64 v[101:102], -v[97:98], v[99:100], 1.0
	v_fma_f64 v[99:100], v[99:100], v[101:102], v[99:100]
	v_mul_f64 v[101:102], v[103:104], v[99:100]
	v_fma_f64 v[97:98], -v[97:98], v[101:102], v[103:104]
	v_div_fmas_f64 v[97:98], v[97:98], v[99:100], v[101:102]
	v_div_fixup_f64 v[119:120], v[97:98], v[95:96], 1.0
	v_mul_f64 v[117:118], v[90:91], v[119:120]
	v_xor_b32_e32 v120, 0x80000000, v120
.LBB104_721:
	s_andn2_saveexec_b64 s[18:19], s[18:19]
	s_cbranch_execz .LBB104_723
; %bb.722:
	v_div_scale_f64 v[90:91], s[20:21], v[117:118], v[117:118], v[119:120]
	v_rcp_f64_e32 v[95:96], v[90:91]
	v_fma_f64 v[97:98], -v[90:91], v[95:96], 1.0
	v_fma_f64 v[95:96], v[95:96], v[97:98], v[95:96]
	v_div_scale_f64 v[97:98], vcc, v[119:120], v[117:118], v[119:120]
	v_fma_f64 v[99:100], -v[90:91], v[95:96], 1.0
	v_fma_f64 v[95:96], v[95:96], v[99:100], v[95:96]
	v_mul_f64 v[99:100], v[97:98], v[95:96]
	v_fma_f64 v[90:91], -v[90:91], v[99:100], v[97:98]
	v_div_fmas_f64 v[90:91], v[90:91], v[95:96], v[99:100]
	v_div_fixup_f64 v[90:91], v[90:91], v[117:118], v[119:120]
	v_fma_f64 v[95:96], v[119:120], v[90:91], v[117:118]
	v_div_scale_f64 v[97:98], s[20:21], v[95:96], v[95:96], 1.0
	v_div_scale_f64 v[103:104], vcc, 1.0, v[95:96], 1.0
	v_rcp_f64_e32 v[99:100], v[97:98]
	v_fma_f64 v[101:102], -v[97:98], v[99:100], 1.0
	v_fma_f64 v[99:100], v[99:100], v[101:102], v[99:100]
	v_fma_f64 v[101:102], -v[97:98], v[99:100], 1.0
	v_fma_f64 v[99:100], v[99:100], v[101:102], v[99:100]
	v_mul_f64 v[101:102], v[103:104], v[99:100]
	v_fma_f64 v[97:98], -v[97:98], v[101:102], v[103:104]
	v_div_fmas_f64 v[97:98], v[97:98], v[99:100], v[101:102]
	v_div_fixup_f64 v[117:118], v[97:98], v[95:96], 1.0
	v_mul_f64 v[119:120], v[90:91], -v[117:118]
.LBB104_723:
	s_or_b64 exec, exec, s[18:19]
.LBB104_724:
	s_or_b64 exec, exec, s[0:1]
	v_cmp_ne_u32_e32 vcc, v93, v89
	s_and_saveexec_b64 s[0:1], vcc
	s_xor_b64 s[0:1], exec, s[0:1]
	s_cbranch_execz .LBB104_730
; %bb.725:
	v_cmp_eq_u32_e32 vcc, 34, v93
	s_and_saveexec_b64 s[18:19], vcc
	s_cbranch_execz .LBB104_729
; %bb.726:
	v_cmp_ne_u32_e32 vcc, 34, v89
	s_xor_b64 s[20:21], s[6:7], -1
	s_and_b64 s[22:23], s[20:21], vcc
	s_and_saveexec_b64 s[20:21], s[22:23]
	s_cbranch_execz .LBB104_728
; %bb.727:
	buffer_load_dword v81, off, s[24:27], 0 offset:420 ; 4-byte Folded Reload
	buffer_load_dword v82, off, s[24:27], 0 offset:424 ; 4-byte Folded Reload
	v_ashrrev_i32_e32 v90, 31, v89
	v_lshlrev_b64 v[90:91], 2, v[89:90]
	s_waitcnt vmcnt(1)
	v_add_co_u32_e32 v90, vcc, v81, v90
	s_waitcnt vmcnt(0)
	v_addc_co_u32_e32 v91, vcc, v82, v91, vcc
	global_load_dword v92, v[90:91], off
	global_load_dword v93, v[81:82], off offset:136
	s_waitcnt vmcnt(1)
	global_store_dword v[81:82], v92, off offset:136
	v_mov_b32_e32 v81, v105
	v_mov_b32_e32 v82, v106
	;; [unrolled: 1-line block ×4, first 2 shown]
	s_waitcnt vmcnt(1)
	global_store_dword v[90:91], v93, off
.LBB104_728:
	s_or_b64 exec, exec, s[20:21]
	v_mov_b32_e32 v93, v89
	v_mov_b32_e32 v69, v89
	buffer_store_dword v69, off, s[24:27], 0 offset:352 ; 4-byte Folded Spill
.LBB104_729:
	s_or_b64 exec, exec, s[18:19]
.LBB104_730:
	s_andn2_saveexec_b64 s[0:1], s[0:1]
	s_cbranch_execz .LBB104_732
; %bb.731:
	v_mov_b32_e32 v93, 34
	ds_write2_b64 v0, v[65:66], v[67:68] offset0:70 offset1:71
	ds_write2_b64 v0, v[61:62], v[63:64] offset0:72 offset1:73
	;; [unrolled: 1-line block ×18, first 2 shown]
.LBB104_732:
	s_or_b64 exec, exec, s[0:1]
	v_cmp_lt_i32_e32 vcc, 34, v93
	s_waitcnt vmcnt(0) lgkmcnt(0)
	s_barrier
	s_and_saveexec_b64 s[0:1], vcc
	s_cbranch_execz .LBB104_734
; %bb.733:
	buffer_load_dword v69, off, s[24:27], 0 ; 4-byte Folded Reload
	buffer_load_dword v70, off, s[24:27], 0 offset:4 ; 4-byte Folded Reload
	buffer_load_dword v71, off, s[24:27], 0 offset:8 ; 4-byte Folded Reload
	;; [unrolled: 1-line block ×3, first 2 shown]
	ds_read2_b64 v[95:98], v0 offset0:70 offset1:71
	s_waitcnt vmcnt(0)
	v_mul_f64 v[89:90], v[119:120], v[71:72]
	v_mul_f64 v[71:72], v[117:118], v[71:72]
	v_fma_f64 v[89:90], v[117:118], v[69:70], -v[89:90]
	v_fma_f64 v[71:72], v[119:120], v[69:70], v[71:72]
	s_waitcnt lgkmcnt(0)
	v_mul_f64 v[69:70], v[97:98], v[71:72]
	v_mul_f64 v[91:92], v[95:96], v[71:72]
	v_fma_f64 v[69:70], v[95:96], v[89:90], -v[69:70]
	v_fma_f64 v[91:92], v[97:98], v[89:90], v[91:92]
	ds_read2_b64 v[95:98], v0 offset0:72 offset1:73
	v_add_f64 v[65:66], v[65:66], -v[69:70]
	v_add_f64 v[67:68], v[67:68], -v[91:92]
	s_waitcnt lgkmcnt(0)
	v_mul_f64 v[69:70], v[97:98], v[71:72]
	v_mul_f64 v[91:92], v[95:96], v[71:72]
	v_fma_f64 v[69:70], v[95:96], v[89:90], -v[69:70]
	v_fma_f64 v[91:92], v[97:98], v[89:90], v[91:92]
	ds_read2_b64 v[95:98], v0 offset0:74 offset1:75
	v_add_f64 v[61:62], v[61:62], -v[69:70]
	v_add_f64 v[63:64], v[63:64], -v[91:92]
	;; [unrolled: 8-line block ×17, first 2 shown]
	s_waitcnt lgkmcnt(0)
	v_mul_f64 v[69:70], v[97:98], v[71:72]
	v_mul_f64 v[91:92], v[95:96], v[71:72]
	v_fma_f64 v[69:70], v[95:96], v[89:90], -v[69:70]
	v_fma_f64 v[91:92], v[97:98], v[89:90], v[91:92]
	v_add_f64 v[121:122], v[121:122], -v[69:70]
	v_add_f64 v[123:124], v[123:124], -v[91:92]
	v_mov_b32_e32 v69, v89
	v_mov_b32_e32 v70, v90
	buffer_store_dword v69, off, s[24:27], 0 ; 4-byte Folded Spill
	s_nop 0
	buffer_store_dword v70, off, s[24:27], 0 offset:4 ; 4-byte Folded Spill
	buffer_store_dword v71, off, s[24:27], 0 offset:8 ; 4-byte Folded Spill
	;; [unrolled: 1-line block ×3, first 2 shown]
.LBB104_734:
	s_or_b64 exec, exec, s[0:1]
	v_lshl_add_u32 v89, v93, 4, v0
	s_waitcnt vmcnt(0)
	s_barrier
	ds_write2_b64 v89, v[65:66], v[67:68] offset1:1
	s_waitcnt lgkmcnt(0)
	s_barrier
	ds_read2_b64 v[117:120], v0 offset0:70 offset1:71
	s_cmp_lt_i32 s3, 37
	v_mov_b32_e32 v89, 35
	s_cbranch_scc1 .LBB104_737
; %bb.735:
	v_add_u32_e32 v90, 0x240, v0
	s_mov_b32 s0, 36
	v_mov_b32_e32 v89, 35
.LBB104_736:                            ; =>This Inner Loop Header: Depth=1
	s_waitcnt lgkmcnt(0)
	v_cmp_gt_f64_e32 vcc, 0, v[117:118]
	v_xor_b32_e32 v91, 0x80000000, v118
	ds_read2_b64 v[95:98], v90 offset1:1
	v_xor_b32_e32 v99, 0x80000000, v120
	v_add_u32_e32 v90, 16, v90
	s_waitcnt lgkmcnt(0)
	v_xor_b32_e32 v101, 0x80000000, v98
	v_cndmask_b32_e32 v92, v118, v91, vcc
	v_cmp_gt_f64_e32 vcc, 0, v[119:120]
	v_mov_b32_e32 v91, v117
	v_cndmask_b32_e32 v100, v120, v99, vcc
	v_cmp_gt_f64_e32 vcc, 0, v[95:96]
	v_mov_b32_e32 v99, v119
	v_add_f64 v[91:92], v[91:92], v[99:100]
	v_xor_b32_e32 v99, 0x80000000, v96
	v_cndmask_b32_e32 v100, v96, v99, vcc
	v_cmp_gt_f64_e32 vcc, 0, v[97:98]
	v_mov_b32_e32 v99, v95
	v_cndmask_b32_e32 v102, v98, v101, vcc
	v_mov_b32_e32 v101, v97
	v_add_f64 v[99:100], v[99:100], v[101:102]
	v_cmp_lt_f64_e32 vcc, v[91:92], v[99:100]
	v_mov_b32_e32 v91, s0
	s_add_i32 s0, s0, 1
	s_cmp_lg_u32 s3, s0
	v_cndmask_b32_e32 v118, v118, v96, vcc
	v_cndmask_b32_e32 v117, v117, v95, vcc
	;; [unrolled: 1-line block ×5, first 2 shown]
	s_cbranch_scc1 .LBB104_736
.LBB104_737:
	s_waitcnt lgkmcnt(0)
	v_cmp_eq_f64_e32 vcc, 0, v[117:118]
	v_cmp_eq_f64_e64 s[0:1], 0, v[119:120]
	s_and_b64 s[0:1], vcc, s[0:1]
	s_and_saveexec_b64 s[18:19], s[0:1]
	s_xor_b64 s[0:1], exec, s[18:19]
; %bb.738:
	v_cmp_ne_u32_e32 vcc, 0, v94
	v_cndmask_b32_e32 v94, 36, v94, vcc
; %bb.739:
	s_andn2_saveexec_b64 s[0:1], s[0:1]
	s_cbranch_execz .LBB104_745
; %bb.740:
	v_cmp_ngt_f64_e64 s[18:19], |v[117:118]|, |v[119:120]|
	s_and_saveexec_b64 s[20:21], s[18:19]
	s_xor_b64 s[18:19], exec, s[20:21]
	s_cbranch_execz .LBB104_742
; %bb.741:
	v_div_scale_f64 v[90:91], s[20:21], v[119:120], v[119:120], v[117:118]
	v_rcp_f64_e32 v[95:96], v[90:91]
	v_fma_f64 v[97:98], -v[90:91], v[95:96], 1.0
	v_fma_f64 v[95:96], v[95:96], v[97:98], v[95:96]
	v_div_scale_f64 v[97:98], vcc, v[117:118], v[119:120], v[117:118]
	v_fma_f64 v[99:100], -v[90:91], v[95:96], 1.0
	v_fma_f64 v[95:96], v[95:96], v[99:100], v[95:96]
	v_mul_f64 v[99:100], v[97:98], v[95:96]
	v_fma_f64 v[90:91], -v[90:91], v[99:100], v[97:98]
	v_div_fmas_f64 v[90:91], v[90:91], v[95:96], v[99:100]
	v_div_fixup_f64 v[90:91], v[90:91], v[119:120], v[117:118]
	v_fma_f64 v[95:96], v[117:118], v[90:91], v[119:120]
	v_div_scale_f64 v[97:98], s[20:21], v[95:96], v[95:96], 1.0
	v_div_scale_f64 v[103:104], vcc, 1.0, v[95:96], 1.0
	v_rcp_f64_e32 v[99:100], v[97:98]
	v_fma_f64 v[101:102], -v[97:98], v[99:100], 1.0
	v_fma_f64 v[99:100], v[99:100], v[101:102], v[99:100]
	v_fma_f64 v[101:102], -v[97:98], v[99:100], 1.0
	v_fma_f64 v[99:100], v[99:100], v[101:102], v[99:100]
	v_mul_f64 v[101:102], v[103:104], v[99:100]
	v_fma_f64 v[97:98], -v[97:98], v[101:102], v[103:104]
	v_div_fmas_f64 v[97:98], v[97:98], v[99:100], v[101:102]
	v_div_fixup_f64 v[119:120], v[97:98], v[95:96], 1.0
	v_mul_f64 v[117:118], v[90:91], v[119:120]
	v_xor_b32_e32 v120, 0x80000000, v120
.LBB104_742:
	s_andn2_saveexec_b64 s[18:19], s[18:19]
	s_cbranch_execz .LBB104_744
; %bb.743:
	v_div_scale_f64 v[90:91], s[20:21], v[117:118], v[117:118], v[119:120]
	v_rcp_f64_e32 v[95:96], v[90:91]
	v_fma_f64 v[97:98], -v[90:91], v[95:96], 1.0
	v_fma_f64 v[95:96], v[95:96], v[97:98], v[95:96]
	v_div_scale_f64 v[97:98], vcc, v[119:120], v[117:118], v[119:120]
	v_fma_f64 v[99:100], -v[90:91], v[95:96], 1.0
	v_fma_f64 v[95:96], v[95:96], v[99:100], v[95:96]
	v_mul_f64 v[99:100], v[97:98], v[95:96]
	v_fma_f64 v[90:91], -v[90:91], v[99:100], v[97:98]
	v_div_fmas_f64 v[90:91], v[90:91], v[95:96], v[99:100]
	v_div_fixup_f64 v[90:91], v[90:91], v[117:118], v[119:120]
	v_fma_f64 v[95:96], v[119:120], v[90:91], v[117:118]
	v_div_scale_f64 v[97:98], s[20:21], v[95:96], v[95:96], 1.0
	v_div_scale_f64 v[103:104], vcc, 1.0, v[95:96], 1.0
	v_rcp_f64_e32 v[99:100], v[97:98]
	v_fma_f64 v[101:102], -v[97:98], v[99:100], 1.0
	v_fma_f64 v[99:100], v[99:100], v[101:102], v[99:100]
	v_fma_f64 v[101:102], -v[97:98], v[99:100], 1.0
	v_fma_f64 v[99:100], v[99:100], v[101:102], v[99:100]
	v_mul_f64 v[101:102], v[103:104], v[99:100]
	v_fma_f64 v[97:98], -v[97:98], v[101:102], v[103:104]
	v_div_fmas_f64 v[97:98], v[97:98], v[99:100], v[101:102]
	v_div_fixup_f64 v[117:118], v[97:98], v[95:96], 1.0
	v_mul_f64 v[119:120], v[90:91], -v[117:118]
.LBB104_744:
	s_or_b64 exec, exec, s[18:19]
.LBB104_745:
	s_or_b64 exec, exec, s[0:1]
	v_cmp_ne_u32_e32 vcc, v93, v89
	s_and_saveexec_b64 s[0:1], vcc
	s_xor_b64 s[0:1], exec, s[0:1]
	s_cbranch_execz .LBB104_751
; %bb.746:
	v_cmp_eq_u32_e32 vcc, 35, v93
	s_and_saveexec_b64 s[18:19], vcc
	s_cbranch_execz .LBB104_750
; %bb.747:
	v_cmp_ne_u32_e32 vcc, 35, v89
	s_xor_b64 s[20:21], s[6:7], -1
	s_and_b64 s[22:23], s[20:21], vcc
	s_and_saveexec_b64 s[20:21], s[22:23]
	s_cbranch_execz .LBB104_749
; %bb.748:
	buffer_load_dword v81, off, s[24:27], 0 offset:420 ; 4-byte Folded Reload
	buffer_load_dword v82, off, s[24:27], 0 offset:424 ; 4-byte Folded Reload
	v_ashrrev_i32_e32 v90, 31, v89
	v_lshlrev_b64 v[90:91], 2, v[89:90]
	s_waitcnt vmcnt(1)
	v_add_co_u32_e32 v90, vcc, v81, v90
	s_waitcnt vmcnt(0)
	v_addc_co_u32_e32 v91, vcc, v82, v91, vcc
	global_load_dword v92, v[90:91], off
	global_load_dword v93, v[81:82], off offset:140
	s_waitcnt vmcnt(1)
	global_store_dword v[81:82], v92, off offset:140
	v_mov_b32_e32 v81, v105
	v_mov_b32_e32 v82, v106
	v_mov_b32_e32 v83, v107
	v_mov_b32_e32 v84, v108
	s_waitcnt vmcnt(1)
	global_store_dword v[90:91], v93, off
.LBB104_749:
	s_or_b64 exec, exec, s[20:21]
	v_mov_b32_e32 v93, v89
	v_mov_b32_e32 v69, v89
	buffer_store_dword v69, off, s[24:27], 0 offset:352 ; 4-byte Folded Spill
.LBB104_750:
	s_or_b64 exec, exec, s[18:19]
.LBB104_751:
	s_andn2_saveexec_b64 s[0:1], s[0:1]
	s_cbranch_execz .LBB104_753
; %bb.752:
	v_mov_b32_e32 v93, 35
	ds_write2_b64 v0, v[61:62], v[63:64] offset0:72 offset1:73
	ds_write2_b64 v0, v[57:58], v[59:60] offset0:74 offset1:75
	;; [unrolled: 1-line block ×17, first 2 shown]
.LBB104_753:
	s_or_b64 exec, exec, s[0:1]
	v_cmp_lt_i32_e32 vcc, 35, v93
	s_waitcnt vmcnt(0) lgkmcnt(0)
	s_barrier
	s_and_saveexec_b64 s[0:1], vcc
	s_cbranch_execz .LBB104_755
; %bb.754:
	v_mul_f64 v[89:90], v[119:120], v[67:68]
	v_mul_f64 v[67:68], v[117:118], v[67:68]
	ds_read2_b64 v[95:98], v0 offset0:72 offset1:73
	v_fma_f64 v[89:90], v[117:118], v[65:66], -v[89:90]
	v_fma_f64 v[67:68], v[119:120], v[65:66], v[67:68]
	s_waitcnt lgkmcnt(0)
	v_mul_f64 v[65:66], v[97:98], v[67:68]
	v_mul_f64 v[91:92], v[95:96], v[67:68]
	v_fma_f64 v[65:66], v[95:96], v[89:90], -v[65:66]
	v_fma_f64 v[91:92], v[97:98], v[89:90], v[91:92]
	ds_read2_b64 v[95:98], v0 offset0:74 offset1:75
	v_add_f64 v[61:62], v[61:62], -v[65:66]
	v_add_f64 v[63:64], v[63:64], -v[91:92]
	s_waitcnt lgkmcnt(0)
	v_mul_f64 v[65:66], v[97:98], v[67:68]
	v_mul_f64 v[91:92], v[95:96], v[67:68]
	v_fma_f64 v[65:66], v[95:96], v[89:90], -v[65:66]
	v_fma_f64 v[91:92], v[97:98], v[89:90], v[91:92]
	ds_read2_b64 v[95:98], v0 offset0:76 offset1:77
	v_add_f64 v[57:58], v[57:58], -v[65:66]
	v_add_f64 v[59:60], v[59:60], -v[91:92]
	;; [unrolled: 8-line block ×16, first 2 shown]
	s_waitcnt lgkmcnt(0)
	v_mul_f64 v[65:66], v[97:98], v[67:68]
	v_mul_f64 v[91:92], v[95:96], v[67:68]
	v_fma_f64 v[65:66], v[95:96], v[89:90], -v[65:66]
	v_fma_f64 v[91:92], v[97:98], v[89:90], v[91:92]
	v_add_f64 v[121:122], v[121:122], -v[65:66]
	v_add_f64 v[123:124], v[123:124], -v[91:92]
	v_mov_b32_e32 v65, v89
	v_mov_b32_e32 v66, v90
.LBB104_755:
	s_or_b64 exec, exec, s[0:1]
	v_lshl_add_u32 v89, v93, 4, v0
	s_barrier
	ds_write2_b64 v89, v[61:62], v[63:64] offset1:1
	s_waitcnt lgkmcnt(0)
	s_barrier
	ds_read2_b64 v[117:120], v0 offset0:72 offset1:73
	s_cmp_lt_i32 s3, 38
	v_mov_b32_e32 v89, 36
	s_cbranch_scc1 .LBB104_758
; %bb.756:
	v_add_u32_e32 v90, 0x250, v0
	s_mov_b32 s0, 37
	v_mov_b32_e32 v89, 36
.LBB104_757:                            ; =>This Inner Loop Header: Depth=1
	s_waitcnt lgkmcnt(0)
	v_cmp_gt_f64_e32 vcc, 0, v[117:118]
	v_xor_b32_e32 v91, 0x80000000, v118
	ds_read2_b64 v[95:98], v90 offset1:1
	v_xor_b32_e32 v99, 0x80000000, v120
	v_add_u32_e32 v90, 16, v90
	s_waitcnt lgkmcnt(0)
	v_xor_b32_e32 v101, 0x80000000, v98
	v_cndmask_b32_e32 v92, v118, v91, vcc
	v_cmp_gt_f64_e32 vcc, 0, v[119:120]
	v_mov_b32_e32 v91, v117
	v_cndmask_b32_e32 v100, v120, v99, vcc
	v_cmp_gt_f64_e32 vcc, 0, v[95:96]
	v_mov_b32_e32 v99, v119
	v_add_f64 v[91:92], v[91:92], v[99:100]
	v_xor_b32_e32 v99, 0x80000000, v96
	v_cndmask_b32_e32 v100, v96, v99, vcc
	v_cmp_gt_f64_e32 vcc, 0, v[97:98]
	v_mov_b32_e32 v99, v95
	v_cndmask_b32_e32 v102, v98, v101, vcc
	v_mov_b32_e32 v101, v97
	v_add_f64 v[99:100], v[99:100], v[101:102]
	v_cmp_lt_f64_e32 vcc, v[91:92], v[99:100]
	v_mov_b32_e32 v91, s0
	s_add_i32 s0, s0, 1
	s_cmp_lg_u32 s3, s0
	v_cndmask_b32_e32 v118, v118, v96, vcc
	v_cndmask_b32_e32 v117, v117, v95, vcc
	;; [unrolled: 1-line block ×5, first 2 shown]
	s_cbranch_scc1 .LBB104_757
.LBB104_758:
	s_waitcnt lgkmcnt(0)
	v_cmp_eq_f64_e32 vcc, 0, v[117:118]
	v_cmp_eq_f64_e64 s[0:1], 0, v[119:120]
	s_and_b64 s[0:1], vcc, s[0:1]
	s_and_saveexec_b64 s[18:19], s[0:1]
	s_xor_b64 s[0:1], exec, s[18:19]
; %bb.759:
	v_cmp_ne_u32_e32 vcc, 0, v94
	v_cndmask_b32_e32 v94, 37, v94, vcc
; %bb.760:
	s_andn2_saveexec_b64 s[0:1], s[0:1]
	s_cbranch_execz .LBB104_766
; %bb.761:
	v_cmp_ngt_f64_e64 s[18:19], |v[117:118]|, |v[119:120]|
	s_and_saveexec_b64 s[20:21], s[18:19]
	s_xor_b64 s[18:19], exec, s[20:21]
	s_cbranch_execz .LBB104_763
; %bb.762:
	v_div_scale_f64 v[90:91], s[20:21], v[119:120], v[119:120], v[117:118]
	v_rcp_f64_e32 v[95:96], v[90:91]
	v_fma_f64 v[97:98], -v[90:91], v[95:96], 1.0
	v_fma_f64 v[95:96], v[95:96], v[97:98], v[95:96]
	v_div_scale_f64 v[97:98], vcc, v[117:118], v[119:120], v[117:118]
	v_fma_f64 v[99:100], -v[90:91], v[95:96], 1.0
	v_fma_f64 v[95:96], v[95:96], v[99:100], v[95:96]
	v_mul_f64 v[99:100], v[97:98], v[95:96]
	v_fma_f64 v[90:91], -v[90:91], v[99:100], v[97:98]
	v_div_fmas_f64 v[90:91], v[90:91], v[95:96], v[99:100]
	v_div_fixup_f64 v[90:91], v[90:91], v[119:120], v[117:118]
	v_fma_f64 v[95:96], v[117:118], v[90:91], v[119:120]
	v_div_scale_f64 v[97:98], s[20:21], v[95:96], v[95:96], 1.0
	v_div_scale_f64 v[103:104], vcc, 1.0, v[95:96], 1.0
	v_rcp_f64_e32 v[99:100], v[97:98]
	v_fma_f64 v[101:102], -v[97:98], v[99:100], 1.0
	v_fma_f64 v[99:100], v[99:100], v[101:102], v[99:100]
	v_fma_f64 v[101:102], -v[97:98], v[99:100], 1.0
	v_fma_f64 v[99:100], v[99:100], v[101:102], v[99:100]
	v_mul_f64 v[101:102], v[103:104], v[99:100]
	v_fma_f64 v[97:98], -v[97:98], v[101:102], v[103:104]
	v_div_fmas_f64 v[97:98], v[97:98], v[99:100], v[101:102]
	v_div_fixup_f64 v[119:120], v[97:98], v[95:96], 1.0
	v_mul_f64 v[117:118], v[90:91], v[119:120]
	v_xor_b32_e32 v120, 0x80000000, v120
.LBB104_763:
	s_andn2_saveexec_b64 s[18:19], s[18:19]
	s_cbranch_execz .LBB104_765
; %bb.764:
	v_div_scale_f64 v[90:91], s[20:21], v[117:118], v[117:118], v[119:120]
	v_rcp_f64_e32 v[95:96], v[90:91]
	v_fma_f64 v[97:98], -v[90:91], v[95:96], 1.0
	v_fma_f64 v[95:96], v[95:96], v[97:98], v[95:96]
	v_div_scale_f64 v[97:98], vcc, v[119:120], v[117:118], v[119:120]
	v_fma_f64 v[99:100], -v[90:91], v[95:96], 1.0
	v_fma_f64 v[95:96], v[95:96], v[99:100], v[95:96]
	v_mul_f64 v[99:100], v[97:98], v[95:96]
	v_fma_f64 v[90:91], -v[90:91], v[99:100], v[97:98]
	v_div_fmas_f64 v[90:91], v[90:91], v[95:96], v[99:100]
	v_div_fixup_f64 v[90:91], v[90:91], v[117:118], v[119:120]
	v_fma_f64 v[95:96], v[119:120], v[90:91], v[117:118]
	v_div_scale_f64 v[97:98], s[20:21], v[95:96], v[95:96], 1.0
	v_div_scale_f64 v[103:104], vcc, 1.0, v[95:96], 1.0
	v_rcp_f64_e32 v[99:100], v[97:98]
	v_fma_f64 v[101:102], -v[97:98], v[99:100], 1.0
	v_fma_f64 v[99:100], v[99:100], v[101:102], v[99:100]
	v_fma_f64 v[101:102], -v[97:98], v[99:100], 1.0
	v_fma_f64 v[99:100], v[99:100], v[101:102], v[99:100]
	v_mul_f64 v[101:102], v[103:104], v[99:100]
	v_fma_f64 v[97:98], -v[97:98], v[101:102], v[103:104]
	v_div_fmas_f64 v[97:98], v[97:98], v[99:100], v[101:102]
	v_div_fixup_f64 v[117:118], v[97:98], v[95:96], 1.0
	v_mul_f64 v[119:120], v[90:91], -v[117:118]
.LBB104_765:
	s_or_b64 exec, exec, s[18:19]
.LBB104_766:
	s_or_b64 exec, exec, s[0:1]
	v_cmp_ne_u32_e32 vcc, v93, v89
	s_and_saveexec_b64 s[0:1], vcc
	s_xor_b64 s[0:1], exec, s[0:1]
	s_cbranch_execz .LBB104_772
; %bb.767:
	v_cmp_eq_u32_e32 vcc, 36, v93
	s_and_saveexec_b64 s[18:19], vcc
	s_cbranch_execz .LBB104_771
; %bb.768:
	v_cmp_ne_u32_e32 vcc, 36, v89
	s_xor_b64 s[20:21], s[6:7], -1
	s_and_b64 s[22:23], s[20:21], vcc
	s_and_saveexec_b64 s[20:21], s[22:23]
	s_cbranch_execz .LBB104_770
; %bb.769:
	buffer_load_dword v81, off, s[24:27], 0 offset:420 ; 4-byte Folded Reload
	buffer_load_dword v82, off, s[24:27], 0 offset:424 ; 4-byte Folded Reload
	v_ashrrev_i32_e32 v90, 31, v89
	v_lshlrev_b64 v[90:91], 2, v[89:90]
	s_waitcnt vmcnt(1)
	v_add_co_u32_e32 v90, vcc, v81, v90
	s_waitcnt vmcnt(0)
	v_addc_co_u32_e32 v91, vcc, v82, v91, vcc
	global_load_dword v92, v[90:91], off
	global_load_dword v93, v[81:82], off offset:144
	s_waitcnt vmcnt(1)
	global_store_dword v[81:82], v92, off offset:144
	v_mov_b32_e32 v81, v105
	v_mov_b32_e32 v82, v106
	v_mov_b32_e32 v83, v107
	v_mov_b32_e32 v84, v108
	s_waitcnt vmcnt(1)
	global_store_dword v[90:91], v93, off
.LBB104_770:
	s_or_b64 exec, exec, s[20:21]
	v_mov_b32_e32 v93, v89
	v_mov_b32_e32 v69, v89
	buffer_store_dword v69, off, s[24:27], 0 offset:352 ; 4-byte Folded Spill
.LBB104_771:
	s_or_b64 exec, exec, s[18:19]
.LBB104_772:
	s_andn2_saveexec_b64 s[0:1], s[0:1]
	s_cbranch_execz .LBB104_774
; %bb.773:
	v_mov_b32_e32 v93, 36
	ds_write2_b64 v0, v[57:58], v[59:60] offset0:74 offset1:75
	ds_write2_b64 v0, v[53:54], v[55:56] offset0:76 offset1:77
	;; [unrolled: 1-line block ×16, first 2 shown]
.LBB104_774:
	s_or_b64 exec, exec, s[0:1]
	v_cmp_lt_i32_e32 vcc, 36, v93
	s_waitcnt vmcnt(0) lgkmcnt(0)
	s_barrier
	s_and_saveexec_b64 s[0:1], vcc
	s_cbranch_execz .LBB104_776
; %bb.775:
	v_mul_f64 v[89:90], v[117:118], v[63:64]
	v_mul_f64 v[63:64], v[119:120], v[63:64]
	ds_read2_b64 v[95:98], v0 offset0:74 offset1:75
	v_fma_f64 v[89:90], v[119:120], v[61:62], v[89:90]
	v_fma_f64 v[61:62], v[117:118], v[61:62], -v[63:64]
	s_waitcnt lgkmcnt(0)
	v_mul_f64 v[63:64], v[97:98], v[89:90]
	v_mul_f64 v[91:92], v[95:96], v[89:90]
	v_fma_f64 v[63:64], v[95:96], v[61:62], -v[63:64]
	v_fma_f64 v[91:92], v[97:98], v[61:62], v[91:92]
	ds_read2_b64 v[95:98], v0 offset0:76 offset1:77
	v_add_f64 v[57:58], v[57:58], -v[63:64]
	v_add_f64 v[59:60], v[59:60], -v[91:92]
	s_waitcnt lgkmcnt(0)
	v_mul_f64 v[63:64], v[97:98], v[89:90]
	v_mul_f64 v[91:92], v[95:96], v[89:90]
	v_fma_f64 v[63:64], v[95:96], v[61:62], -v[63:64]
	v_fma_f64 v[91:92], v[97:98], v[61:62], v[91:92]
	ds_read2_b64 v[95:98], v0 offset0:78 offset1:79
	v_add_f64 v[53:54], v[53:54], -v[63:64]
	v_add_f64 v[55:56], v[55:56], -v[91:92]
	;; [unrolled: 8-line block ×15, first 2 shown]
	s_waitcnt lgkmcnt(0)
	v_mul_f64 v[63:64], v[97:98], v[89:90]
	v_mul_f64 v[91:92], v[95:96], v[89:90]
	v_fma_f64 v[63:64], v[95:96], v[61:62], -v[63:64]
	v_fma_f64 v[91:92], v[97:98], v[61:62], v[91:92]
	v_add_f64 v[121:122], v[121:122], -v[63:64]
	v_add_f64 v[123:124], v[123:124], -v[91:92]
	v_mov_b32_e32 v63, v89
	v_mov_b32_e32 v64, v90
.LBB104_776:
	s_or_b64 exec, exec, s[0:1]
	v_lshl_add_u32 v89, v93, 4, v0
	s_barrier
	ds_write2_b64 v89, v[57:58], v[59:60] offset1:1
	s_waitcnt lgkmcnt(0)
	s_barrier
	ds_read2_b64 v[117:120], v0 offset0:74 offset1:75
	s_cmp_lt_i32 s3, 39
	v_mov_b32_e32 v89, 37
	s_cbranch_scc1 .LBB104_779
; %bb.777:
	v_add_u32_e32 v90, 0x260, v0
	s_mov_b32 s0, 38
	v_mov_b32_e32 v89, 37
.LBB104_778:                            ; =>This Inner Loop Header: Depth=1
	s_waitcnt lgkmcnt(0)
	v_cmp_gt_f64_e32 vcc, 0, v[117:118]
	v_xor_b32_e32 v91, 0x80000000, v118
	ds_read2_b64 v[95:98], v90 offset1:1
	v_xor_b32_e32 v99, 0x80000000, v120
	v_add_u32_e32 v90, 16, v90
	s_waitcnt lgkmcnt(0)
	v_xor_b32_e32 v101, 0x80000000, v98
	v_cndmask_b32_e32 v92, v118, v91, vcc
	v_cmp_gt_f64_e32 vcc, 0, v[119:120]
	v_mov_b32_e32 v91, v117
	v_cndmask_b32_e32 v100, v120, v99, vcc
	v_cmp_gt_f64_e32 vcc, 0, v[95:96]
	v_mov_b32_e32 v99, v119
	v_add_f64 v[91:92], v[91:92], v[99:100]
	v_xor_b32_e32 v99, 0x80000000, v96
	v_cndmask_b32_e32 v100, v96, v99, vcc
	v_cmp_gt_f64_e32 vcc, 0, v[97:98]
	v_mov_b32_e32 v99, v95
	v_cndmask_b32_e32 v102, v98, v101, vcc
	v_mov_b32_e32 v101, v97
	v_add_f64 v[99:100], v[99:100], v[101:102]
	v_cmp_lt_f64_e32 vcc, v[91:92], v[99:100]
	v_mov_b32_e32 v91, s0
	s_add_i32 s0, s0, 1
	s_cmp_lg_u32 s3, s0
	v_cndmask_b32_e32 v118, v118, v96, vcc
	v_cndmask_b32_e32 v117, v117, v95, vcc
	;; [unrolled: 1-line block ×5, first 2 shown]
	s_cbranch_scc1 .LBB104_778
.LBB104_779:
	s_waitcnt lgkmcnt(0)
	v_cmp_eq_f64_e32 vcc, 0, v[117:118]
	v_cmp_eq_f64_e64 s[0:1], 0, v[119:120]
	s_and_b64 s[0:1], vcc, s[0:1]
	s_and_saveexec_b64 s[18:19], s[0:1]
	s_xor_b64 s[0:1], exec, s[18:19]
; %bb.780:
	v_cmp_ne_u32_e32 vcc, 0, v94
	v_cndmask_b32_e32 v94, 38, v94, vcc
; %bb.781:
	s_andn2_saveexec_b64 s[0:1], s[0:1]
	s_cbranch_execz .LBB104_787
; %bb.782:
	v_cmp_ngt_f64_e64 s[18:19], |v[117:118]|, |v[119:120]|
	s_and_saveexec_b64 s[20:21], s[18:19]
	s_xor_b64 s[18:19], exec, s[20:21]
	s_cbranch_execz .LBB104_784
; %bb.783:
	v_div_scale_f64 v[90:91], s[20:21], v[119:120], v[119:120], v[117:118]
	v_rcp_f64_e32 v[95:96], v[90:91]
	v_fma_f64 v[97:98], -v[90:91], v[95:96], 1.0
	v_fma_f64 v[95:96], v[95:96], v[97:98], v[95:96]
	v_div_scale_f64 v[97:98], vcc, v[117:118], v[119:120], v[117:118]
	v_fma_f64 v[99:100], -v[90:91], v[95:96], 1.0
	v_fma_f64 v[95:96], v[95:96], v[99:100], v[95:96]
	v_mul_f64 v[99:100], v[97:98], v[95:96]
	v_fma_f64 v[90:91], -v[90:91], v[99:100], v[97:98]
	v_div_fmas_f64 v[90:91], v[90:91], v[95:96], v[99:100]
	v_div_fixup_f64 v[90:91], v[90:91], v[119:120], v[117:118]
	v_fma_f64 v[95:96], v[117:118], v[90:91], v[119:120]
	v_div_scale_f64 v[97:98], s[20:21], v[95:96], v[95:96], 1.0
	v_div_scale_f64 v[103:104], vcc, 1.0, v[95:96], 1.0
	v_rcp_f64_e32 v[99:100], v[97:98]
	v_fma_f64 v[101:102], -v[97:98], v[99:100], 1.0
	v_fma_f64 v[99:100], v[99:100], v[101:102], v[99:100]
	v_fma_f64 v[101:102], -v[97:98], v[99:100], 1.0
	v_fma_f64 v[99:100], v[99:100], v[101:102], v[99:100]
	v_mul_f64 v[101:102], v[103:104], v[99:100]
	v_fma_f64 v[97:98], -v[97:98], v[101:102], v[103:104]
	v_div_fmas_f64 v[97:98], v[97:98], v[99:100], v[101:102]
	v_div_fixup_f64 v[119:120], v[97:98], v[95:96], 1.0
	v_mul_f64 v[117:118], v[90:91], v[119:120]
	v_xor_b32_e32 v120, 0x80000000, v120
.LBB104_784:
	s_andn2_saveexec_b64 s[18:19], s[18:19]
	s_cbranch_execz .LBB104_786
; %bb.785:
	v_div_scale_f64 v[90:91], s[20:21], v[117:118], v[117:118], v[119:120]
	v_rcp_f64_e32 v[95:96], v[90:91]
	v_fma_f64 v[97:98], -v[90:91], v[95:96], 1.0
	v_fma_f64 v[95:96], v[95:96], v[97:98], v[95:96]
	v_div_scale_f64 v[97:98], vcc, v[119:120], v[117:118], v[119:120]
	v_fma_f64 v[99:100], -v[90:91], v[95:96], 1.0
	v_fma_f64 v[95:96], v[95:96], v[99:100], v[95:96]
	v_mul_f64 v[99:100], v[97:98], v[95:96]
	v_fma_f64 v[90:91], -v[90:91], v[99:100], v[97:98]
	v_div_fmas_f64 v[90:91], v[90:91], v[95:96], v[99:100]
	v_div_fixup_f64 v[90:91], v[90:91], v[117:118], v[119:120]
	v_fma_f64 v[95:96], v[119:120], v[90:91], v[117:118]
	v_div_scale_f64 v[97:98], s[20:21], v[95:96], v[95:96], 1.0
	v_div_scale_f64 v[103:104], vcc, 1.0, v[95:96], 1.0
	v_rcp_f64_e32 v[99:100], v[97:98]
	v_fma_f64 v[101:102], -v[97:98], v[99:100], 1.0
	v_fma_f64 v[99:100], v[99:100], v[101:102], v[99:100]
	v_fma_f64 v[101:102], -v[97:98], v[99:100], 1.0
	v_fma_f64 v[99:100], v[99:100], v[101:102], v[99:100]
	v_mul_f64 v[101:102], v[103:104], v[99:100]
	v_fma_f64 v[97:98], -v[97:98], v[101:102], v[103:104]
	v_div_fmas_f64 v[97:98], v[97:98], v[99:100], v[101:102]
	v_div_fixup_f64 v[117:118], v[97:98], v[95:96], 1.0
	v_mul_f64 v[119:120], v[90:91], -v[117:118]
.LBB104_786:
	s_or_b64 exec, exec, s[18:19]
.LBB104_787:
	s_or_b64 exec, exec, s[0:1]
	v_cmp_ne_u32_e32 vcc, v93, v89
	s_and_saveexec_b64 s[0:1], vcc
	s_xor_b64 s[0:1], exec, s[0:1]
	s_cbranch_execz .LBB104_793
; %bb.788:
	v_cmp_eq_u32_e32 vcc, 37, v93
	s_and_saveexec_b64 s[18:19], vcc
	s_cbranch_execz .LBB104_792
; %bb.789:
	v_cmp_ne_u32_e32 vcc, 37, v89
	s_xor_b64 s[20:21], s[6:7], -1
	s_and_b64 s[22:23], s[20:21], vcc
	s_and_saveexec_b64 s[20:21], s[22:23]
	s_cbranch_execz .LBB104_791
; %bb.790:
	buffer_load_dword v81, off, s[24:27], 0 offset:420 ; 4-byte Folded Reload
	buffer_load_dword v82, off, s[24:27], 0 offset:424 ; 4-byte Folded Reload
	v_ashrrev_i32_e32 v90, 31, v89
	v_lshlrev_b64 v[90:91], 2, v[89:90]
	s_waitcnt vmcnt(1)
	v_add_co_u32_e32 v90, vcc, v81, v90
	s_waitcnt vmcnt(0)
	v_addc_co_u32_e32 v91, vcc, v82, v91, vcc
	global_load_dword v92, v[90:91], off
	global_load_dword v93, v[81:82], off offset:148
	s_waitcnt vmcnt(1)
	global_store_dword v[81:82], v92, off offset:148
	v_mov_b32_e32 v81, v105
	v_mov_b32_e32 v82, v106
	;; [unrolled: 1-line block ×4, first 2 shown]
	s_waitcnt vmcnt(1)
	global_store_dword v[90:91], v93, off
.LBB104_791:
	s_or_b64 exec, exec, s[20:21]
	v_mov_b32_e32 v93, v89
	v_mov_b32_e32 v69, v89
	buffer_store_dword v69, off, s[24:27], 0 offset:352 ; 4-byte Folded Spill
.LBB104_792:
	s_or_b64 exec, exec, s[18:19]
.LBB104_793:
	s_andn2_saveexec_b64 s[0:1], s[0:1]
	s_cbranch_execz .LBB104_795
; %bb.794:
	v_mov_b32_e32 v93, 37
	ds_write2_b64 v0, v[53:54], v[55:56] offset0:76 offset1:77
	ds_write2_b64 v0, v[49:50], v[51:52] offset0:78 offset1:79
	;; [unrolled: 1-line block ×15, first 2 shown]
.LBB104_795:
	s_or_b64 exec, exec, s[0:1]
	v_cmp_lt_i32_e32 vcc, 37, v93
	s_waitcnt vmcnt(0) lgkmcnt(0)
	s_barrier
	s_and_saveexec_b64 s[0:1], vcc
	s_cbranch_execz .LBB104_797
; %bb.796:
	v_mul_f64 v[89:90], v[117:118], v[59:60]
	v_mul_f64 v[59:60], v[119:120], v[59:60]
	ds_read2_b64 v[95:98], v0 offset0:76 offset1:77
	v_fma_f64 v[89:90], v[119:120], v[57:58], v[89:90]
	v_fma_f64 v[57:58], v[117:118], v[57:58], -v[59:60]
	s_waitcnt lgkmcnt(0)
	v_mul_f64 v[59:60], v[97:98], v[89:90]
	v_mul_f64 v[91:92], v[95:96], v[89:90]
	v_fma_f64 v[59:60], v[95:96], v[57:58], -v[59:60]
	v_fma_f64 v[91:92], v[97:98], v[57:58], v[91:92]
	ds_read2_b64 v[95:98], v0 offset0:78 offset1:79
	v_add_f64 v[53:54], v[53:54], -v[59:60]
	v_add_f64 v[55:56], v[55:56], -v[91:92]
	s_waitcnt lgkmcnt(0)
	v_mul_f64 v[59:60], v[97:98], v[89:90]
	v_mul_f64 v[91:92], v[95:96], v[89:90]
	v_fma_f64 v[59:60], v[95:96], v[57:58], -v[59:60]
	v_fma_f64 v[91:92], v[97:98], v[57:58], v[91:92]
	ds_read2_b64 v[95:98], v0 offset0:80 offset1:81
	v_add_f64 v[49:50], v[49:50], -v[59:60]
	v_add_f64 v[51:52], v[51:52], -v[91:92]
	s_waitcnt lgkmcnt(0)
	v_mul_f64 v[59:60], v[97:98], v[89:90]
	v_mul_f64 v[91:92], v[95:96], v[89:90]
	v_fma_f64 v[59:60], v[95:96], v[57:58], -v[59:60]
	v_fma_f64 v[91:92], v[97:98], v[57:58], v[91:92]
	ds_read2_b64 v[95:98], v0 offset0:82 offset1:83
	v_add_f64 v[45:46], v[45:46], -v[59:60]
	v_add_f64 v[47:48], v[47:48], -v[91:92]
	s_waitcnt lgkmcnt(0)
	v_mul_f64 v[59:60], v[97:98], v[89:90]
	v_mul_f64 v[91:92], v[95:96], v[89:90]
	v_fma_f64 v[59:60], v[95:96], v[57:58], -v[59:60]
	v_fma_f64 v[91:92], v[97:98], v[57:58], v[91:92]
	ds_read2_b64 v[95:98], v0 offset0:84 offset1:85
	v_add_f64 v[41:42], v[41:42], -v[59:60]
	v_add_f64 v[43:44], v[43:44], -v[91:92]
	s_waitcnt lgkmcnt(0)
	v_mul_f64 v[59:60], v[97:98], v[89:90]
	v_mul_f64 v[91:92], v[95:96], v[89:90]
	v_fma_f64 v[59:60], v[95:96], v[57:58], -v[59:60]
	v_fma_f64 v[91:92], v[97:98], v[57:58], v[91:92]
	ds_read2_b64 v[95:98], v0 offset0:86 offset1:87
	v_add_f64 v[37:38], v[37:38], -v[59:60]
	v_add_f64 v[39:40], v[39:40], -v[91:92]
	s_waitcnt lgkmcnt(0)
	v_mul_f64 v[59:60], v[97:98], v[89:90]
	v_mul_f64 v[91:92], v[95:96], v[89:90]
	v_fma_f64 v[59:60], v[95:96], v[57:58], -v[59:60]
	v_fma_f64 v[91:92], v[97:98], v[57:58], v[91:92]
	ds_read2_b64 v[95:98], v0 offset0:88 offset1:89
	v_add_f64 v[33:34], v[33:34], -v[59:60]
	v_add_f64 v[35:36], v[35:36], -v[91:92]
	s_waitcnt lgkmcnt(0)
	v_mul_f64 v[59:60], v[97:98], v[89:90]
	v_mul_f64 v[91:92], v[95:96], v[89:90]
	v_fma_f64 v[59:60], v[95:96], v[57:58], -v[59:60]
	v_fma_f64 v[91:92], v[97:98], v[57:58], v[91:92]
	ds_read2_b64 v[95:98], v0 offset0:90 offset1:91
	v_add_f64 v[29:30], v[29:30], -v[59:60]
	v_add_f64 v[31:32], v[31:32], -v[91:92]
	s_waitcnt lgkmcnt(0)
	v_mul_f64 v[59:60], v[97:98], v[89:90]
	v_mul_f64 v[91:92], v[95:96], v[89:90]
	v_fma_f64 v[59:60], v[95:96], v[57:58], -v[59:60]
	v_fma_f64 v[91:92], v[97:98], v[57:58], v[91:92]
	ds_read2_b64 v[95:98], v0 offset0:92 offset1:93
	v_add_f64 v[25:26], v[25:26], -v[59:60]
	v_add_f64 v[27:28], v[27:28], -v[91:92]
	s_waitcnt lgkmcnt(0)
	v_mul_f64 v[59:60], v[97:98], v[89:90]
	v_mul_f64 v[91:92], v[95:96], v[89:90]
	v_fma_f64 v[59:60], v[95:96], v[57:58], -v[59:60]
	v_fma_f64 v[91:92], v[97:98], v[57:58], v[91:92]
	ds_read2_b64 v[95:98], v0 offset0:94 offset1:95
	v_add_f64 v[21:22], v[21:22], -v[59:60]
	v_add_f64 v[23:24], v[23:24], -v[91:92]
	s_waitcnt lgkmcnt(0)
	v_mul_f64 v[59:60], v[97:98], v[89:90]
	v_mul_f64 v[91:92], v[95:96], v[89:90]
	v_fma_f64 v[59:60], v[95:96], v[57:58], -v[59:60]
	v_fma_f64 v[91:92], v[97:98], v[57:58], v[91:92]
	ds_read2_b64 v[95:98], v0 offset0:96 offset1:97
	v_add_f64 v[17:18], v[17:18], -v[59:60]
	v_add_f64 v[19:20], v[19:20], -v[91:92]
	s_waitcnt lgkmcnt(0)
	v_mul_f64 v[59:60], v[97:98], v[89:90]
	v_mul_f64 v[91:92], v[95:96], v[89:90]
	v_fma_f64 v[59:60], v[95:96], v[57:58], -v[59:60]
	v_fma_f64 v[91:92], v[97:98], v[57:58], v[91:92]
	ds_read2_b64 v[95:98], v0 offset0:98 offset1:99
	v_add_f64 v[13:14], v[13:14], -v[59:60]
	v_add_f64 v[15:16], v[15:16], -v[91:92]
	s_waitcnt lgkmcnt(0)
	v_mul_f64 v[59:60], v[97:98], v[89:90]
	v_mul_f64 v[91:92], v[95:96], v[89:90]
	v_fma_f64 v[59:60], v[95:96], v[57:58], -v[59:60]
	v_fma_f64 v[91:92], v[97:98], v[57:58], v[91:92]
	ds_read2_b64 v[95:98], v0 offset0:100 offset1:101
	v_add_f64 v[9:10], v[9:10], -v[59:60]
	v_add_f64 v[11:12], v[11:12], -v[91:92]
	s_waitcnt lgkmcnt(0)
	v_mul_f64 v[59:60], v[97:98], v[89:90]
	v_mul_f64 v[91:92], v[95:96], v[89:90]
	v_fma_f64 v[59:60], v[95:96], v[57:58], -v[59:60]
	v_fma_f64 v[91:92], v[97:98], v[57:58], v[91:92]
	ds_read2_b64 v[95:98], v0 offset0:102 offset1:103
	v_add_f64 v[5:6], v[5:6], -v[59:60]
	v_add_f64 v[7:8], v[7:8], -v[91:92]
	s_waitcnt lgkmcnt(0)
	v_mul_f64 v[59:60], v[97:98], v[89:90]
	v_mul_f64 v[91:92], v[95:96], v[89:90]
	v_fma_f64 v[59:60], v[95:96], v[57:58], -v[59:60]
	v_fma_f64 v[91:92], v[97:98], v[57:58], v[91:92]
	ds_read2_b64 v[95:98], v0 offset0:104 offset1:105
	v_add_f64 v[1:2], v[1:2], -v[59:60]
	v_add_f64 v[3:4], v[3:4], -v[91:92]
	s_waitcnt lgkmcnt(0)
	v_mul_f64 v[59:60], v[97:98], v[89:90]
	v_mul_f64 v[91:92], v[95:96], v[89:90]
	v_fma_f64 v[59:60], v[95:96], v[57:58], -v[59:60]
	v_fma_f64 v[91:92], v[97:98], v[57:58], v[91:92]
	v_add_f64 v[121:122], v[121:122], -v[59:60]
	v_add_f64 v[123:124], v[123:124], -v[91:92]
	v_mov_b32_e32 v59, v89
	v_mov_b32_e32 v60, v90
.LBB104_797:
	s_or_b64 exec, exec, s[0:1]
	v_lshl_add_u32 v89, v93, 4, v0
	s_barrier
	ds_write2_b64 v89, v[53:54], v[55:56] offset1:1
	s_waitcnt lgkmcnt(0)
	s_barrier
	ds_read2_b64 v[117:120], v0 offset0:76 offset1:77
	s_cmp_lt_i32 s3, 40
	v_mov_b32_e32 v89, 38
	s_cbranch_scc1 .LBB104_800
; %bb.798:
	v_add_u32_e32 v90, 0x270, v0
	s_mov_b32 s0, 39
	v_mov_b32_e32 v89, 38
.LBB104_799:                            ; =>This Inner Loop Header: Depth=1
	s_waitcnt lgkmcnt(0)
	v_cmp_gt_f64_e32 vcc, 0, v[117:118]
	v_xor_b32_e32 v91, 0x80000000, v118
	ds_read2_b64 v[95:98], v90 offset1:1
	v_xor_b32_e32 v99, 0x80000000, v120
	v_add_u32_e32 v90, 16, v90
	s_waitcnt lgkmcnt(0)
	v_xor_b32_e32 v101, 0x80000000, v98
	v_cndmask_b32_e32 v92, v118, v91, vcc
	v_cmp_gt_f64_e32 vcc, 0, v[119:120]
	v_mov_b32_e32 v91, v117
	v_cndmask_b32_e32 v100, v120, v99, vcc
	v_cmp_gt_f64_e32 vcc, 0, v[95:96]
	v_mov_b32_e32 v99, v119
	v_add_f64 v[91:92], v[91:92], v[99:100]
	v_xor_b32_e32 v99, 0x80000000, v96
	v_cndmask_b32_e32 v100, v96, v99, vcc
	v_cmp_gt_f64_e32 vcc, 0, v[97:98]
	v_mov_b32_e32 v99, v95
	v_cndmask_b32_e32 v102, v98, v101, vcc
	v_mov_b32_e32 v101, v97
	v_add_f64 v[99:100], v[99:100], v[101:102]
	v_cmp_lt_f64_e32 vcc, v[91:92], v[99:100]
	v_mov_b32_e32 v91, s0
	s_add_i32 s0, s0, 1
	s_cmp_lg_u32 s3, s0
	v_cndmask_b32_e32 v118, v118, v96, vcc
	v_cndmask_b32_e32 v117, v117, v95, vcc
	;; [unrolled: 1-line block ×5, first 2 shown]
	s_cbranch_scc1 .LBB104_799
.LBB104_800:
	s_waitcnt lgkmcnt(0)
	v_cmp_eq_f64_e32 vcc, 0, v[117:118]
	v_cmp_eq_f64_e64 s[0:1], 0, v[119:120]
	s_and_b64 s[0:1], vcc, s[0:1]
	s_and_saveexec_b64 s[18:19], s[0:1]
	s_xor_b64 s[0:1], exec, s[18:19]
; %bb.801:
	v_cmp_ne_u32_e32 vcc, 0, v94
	v_cndmask_b32_e32 v94, 39, v94, vcc
; %bb.802:
	s_andn2_saveexec_b64 s[0:1], s[0:1]
	s_cbranch_execz .LBB104_808
; %bb.803:
	v_cmp_ngt_f64_e64 s[18:19], |v[117:118]|, |v[119:120]|
	s_and_saveexec_b64 s[20:21], s[18:19]
	s_xor_b64 s[18:19], exec, s[20:21]
	s_cbranch_execz .LBB104_805
; %bb.804:
	v_div_scale_f64 v[90:91], s[20:21], v[119:120], v[119:120], v[117:118]
	v_rcp_f64_e32 v[95:96], v[90:91]
	v_fma_f64 v[97:98], -v[90:91], v[95:96], 1.0
	v_fma_f64 v[95:96], v[95:96], v[97:98], v[95:96]
	v_div_scale_f64 v[97:98], vcc, v[117:118], v[119:120], v[117:118]
	v_fma_f64 v[99:100], -v[90:91], v[95:96], 1.0
	v_fma_f64 v[95:96], v[95:96], v[99:100], v[95:96]
	v_mul_f64 v[99:100], v[97:98], v[95:96]
	v_fma_f64 v[90:91], -v[90:91], v[99:100], v[97:98]
	v_div_fmas_f64 v[90:91], v[90:91], v[95:96], v[99:100]
	v_div_fixup_f64 v[90:91], v[90:91], v[119:120], v[117:118]
	v_fma_f64 v[95:96], v[117:118], v[90:91], v[119:120]
	v_div_scale_f64 v[97:98], s[20:21], v[95:96], v[95:96], 1.0
	v_div_scale_f64 v[103:104], vcc, 1.0, v[95:96], 1.0
	v_rcp_f64_e32 v[99:100], v[97:98]
	v_fma_f64 v[101:102], -v[97:98], v[99:100], 1.0
	v_fma_f64 v[99:100], v[99:100], v[101:102], v[99:100]
	v_fma_f64 v[101:102], -v[97:98], v[99:100], 1.0
	v_fma_f64 v[99:100], v[99:100], v[101:102], v[99:100]
	v_mul_f64 v[101:102], v[103:104], v[99:100]
	v_fma_f64 v[97:98], -v[97:98], v[101:102], v[103:104]
	v_div_fmas_f64 v[97:98], v[97:98], v[99:100], v[101:102]
	v_div_fixup_f64 v[119:120], v[97:98], v[95:96], 1.0
	v_mul_f64 v[117:118], v[90:91], v[119:120]
	v_xor_b32_e32 v120, 0x80000000, v120
.LBB104_805:
	s_andn2_saveexec_b64 s[18:19], s[18:19]
	s_cbranch_execz .LBB104_807
; %bb.806:
	v_div_scale_f64 v[90:91], s[20:21], v[117:118], v[117:118], v[119:120]
	v_rcp_f64_e32 v[95:96], v[90:91]
	v_fma_f64 v[97:98], -v[90:91], v[95:96], 1.0
	v_fma_f64 v[95:96], v[95:96], v[97:98], v[95:96]
	v_div_scale_f64 v[97:98], vcc, v[119:120], v[117:118], v[119:120]
	v_fma_f64 v[99:100], -v[90:91], v[95:96], 1.0
	v_fma_f64 v[95:96], v[95:96], v[99:100], v[95:96]
	v_mul_f64 v[99:100], v[97:98], v[95:96]
	v_fma_f64 v[90:91], -v[90:91], v[99:100], v[97:98]
	v_div_fmas_f64 v[90:91], v[90:91], v[95:96], v[99:100]
	v_div_fixup_f64 v[90:91], v[90:91], v[117:118], v[119:120]
	v_fma_f64 v[95:96], v[119:120], v[90:91], v[117:118]
	v_div_scale_f64 v[97:98], s[20:21], v[95:96], v[95:96], 1.0
	v_div_scale_f64 v[103:104], vcc, 1.0, v[95:96], 1.0
	v_rcp_f64_e32 v[99:100], v[97:98]
	v_fma_f64 v[101:102], -v[97:98], v[99:100], 1.0
	v_fma_f64 v[99:100], v[99:100], v[101:102], v[99:100]
	v_fma_f64 v[101:102], -v[97:98], v[99:100], 1.0
	v_fma_f64 v[99:100], v[99:100], v[101:102], v[99:100]
	v_mul_f64 v[101:102], v[103:104], v[99:100]
	v_fma_f64 v[97:98], -v[97:98], v[101:102], v[103:104]
	v_div_fmas_f64 v[97:98], v[97:98], v[99:100], v[101:102]
	v_div_fixup_f64 v[117:118], v[97:98], v[95:96], 1.0
	v_mul_f64 v[119:120], v[90:91], -v[117:118]
.LBB104_807:
	s_or_b64 exec, exec, s[18:19]
.LBB104_808:
	s_or_b64 exec, exec, s[0:1]
	v_cmp_ne_u32_e32 vcc, v93, v89
	s_and_saveexec_b64 s[0:1], vcc
	s_xor_b64 s[0:1], exec, s[0:1]
	s_cbranch_execz .LBB104_814
; %bb.809:
	v_cmp_eq_u32_e32 vcc, 38, v93
	s_and_saveexec_b64 s[18:19], vcc
	s_cbranch_execz .LBB104_813
; %bb.810:
	v_cmp_ne_u32_e32 vcc, 38, v89
	s_xor_b64 s[20:21], s[6:7], -1
	s_and_b64 s[22:23], s[20:21], vcc
	s_and_saveexec_b64 s[20:21], s[22:23]
	s_cbranch_execz .LBB104_812
; %bb.811:
	buffer_load_dword v81, off, s[24:27], 0 offset:420 ; 4-byte Folded Reload
	buffer_load_dword v82, off, s[24:27], 0 offset:424 ; 4-byte Folded Reload
	v_ashrrev_i32_e32 v90, 31, v89
	v_lshlrev_b64 v[90:91], 2, v[89:90]
	s_waitcnt vmcnt(1)
	v_add_co_u32_e32 v90, vcc, v81, v90
	s_waitcnt vmcnt(0)
	v_addc_co_u32_e32 v91, vcc, v82, v91, vcc
	global_load_dword v92, v[90:91], off
	global_load_dword v93, v[81:82], off offset:152
	s_waitcnt vmcnt(1)
	global_store_dword v[81:82], v92, off offset:152
	v_mov_b32_e32 v81, v105
	v_mov_b32_e32 v82, v106
	;; [unrolled: 1-line block ×4, first 2 shown]
	s_waitcnt vmcnt(1)
	global_store_dword v[90:91], v93, off
.LBB104_812:
	s_or_b64 exec, exec, s[20:21]
	v_mov_b32_e32 v93, v89
	v_mov_b32_e32 v69, v89
	buffer_store_dword v69, off, s[24:27], 0 offset:352 ; 4-byte Folded Spill
.LBB104_813:
	s_or_b64 exec, exec, s[18:19]
.LBB104_814:
	s_andn2_saveexec_b64 s[0:1], s[0:1]
	s_cbranch_execz .LBB104_816
; %bb.815:
	v_mov_b32_e32 v93, 38
	ds_write2_b64 v0, v[49:50], v[51:52] offset0:78 offset1:79
	ds_write2_b64 v0, v[45:46], v[47:48] offset0:80 offset1:81
	;; [unrolled: 1-line block ×14, first 2 shown]
.LBB104_816:
	s_or_b64 exec, exec, s[0:1]
	v_cmp_lt_i32_e32 vcc, 38, v93
	s_waitcnt vmcnt(0) lgkmcnt(0)
	s_barrier
	s_and_saveexec_b64 s[0:1], vcc
	s_cbranch_execz .LBB104_818
; %bb.817:
	v_mul_f64 v[89:90], v[117:118], v[55:56]
	v_mul_f64 v[55:56], v[119:120], v[55:56]
	ds_read2_b64 v[95:98], v0 offset0:78 offset1:79
	v_fma_f64 v[89:90], v[119:120], v[53:54], v[89:90]
	v_fma_f64 v[53:54], v[117:118], v[53:54], -v[55:56]
	s_waitcnt lgkmcnt(0)
	v_mul_f64 v[55:56], v[97:98], v[89:90]
	v_mul_f64 v[91:92], v[95:96], v[89:90]
	v_fma_f64 v[55:56], v[95:96], v[53:54], -v[55:56]
	v_fma_f64 v[91:92], v[97:98], v[53:54], v[91:92]
	ds_read2_b64 v[95:98], v0 offset0:80 offset1:81
	v_add_f64 v[49:50], v[49:50], -v[55:56]
	v_add_f64 v[51:52], v[51:52], -v[91:92]
	s_waitcnt lgkmcnt(0)
	v_mul_f64 v[55:56], v[97:98], v[89:90]
	v_mul_f64 v[91:92], v[95:96], v[89:90]
	v_fma_f64 v[55:56], v[95:96], v[53:54], -v[55:56]
	v_fma_f64 v[91:92], v[97:98], v[53:54], v[91:92]
	ds_read2_b64 v[95:98], v0 offset0:82 offset1:83
	v_add_f64 v[45:46], v[45:46], -v[55:56]
	v_add_f64 v[47:48], v[47:48], -v[91:92]
	;; [unrolled: 8-line block ×13, first 2 shown]
	s_waitcnt lgkmcnt(0)
	v_mul_f64 v[55:56], v[97:98], v[89:90]
	v_mul_f64 v[91:92], v[95:96], v[89:90]
	v_fma_f64 v[55:56], v[95:96], v[53:54], -v[55:56]
	v_fma_f64 v[91:92], v[97:98], v[53:54], v[91:92]
	v_add_f64 v[121:122], v[121:122], -v[55:56]
	v_add_f64 v[123:124], v[123:124], -v[91:92]
	v_mov_b32_e32 v55, v89
	v_mov_b32_e32 v56, v90
.LBB104_818:
	s_or_b64 exec, exec, s[0:1]
	v_lshl_add_u32 v89, v93, 4, v0
	s_barrier
	ds_write2_b64 v89, v[49:50], v[51:52] offset1:1
	s_waitcnt lgkmcnt(0)
	s_barrier
	ds_read2_b64 v[117:120], v0 offset0:78 offset1:79
	s_cmp_lt_i32 s3, 41
	v_mov_b32_e32 v89, 39
	s_cbranch_scc1 .LBB104_821
; %bb.819:
	v_add_u32_e32 v90, 0x280, v0
	s_mov_b32 s0, 40
	v_mov_b32_e32 v89, 39
.LBB104_820:                            ; =>This Inner Loop Header: Depth=1
	s_waitcnt lgkmcnt(0)
	v_cmp_gt_f64_e32 vcc, 0, v[117:118]
	v_xor_b32_e32 v91, 0x80000000, v118
	ds_read2_b64 v[95:98], v90 offset1:1
	v_xor_b32_e32 v99, 0x80000000, v120
	v_add_u32_e32 v90, 16, v90
	s_waitcnt lgkmcnt(0)
	v_xor_b32_e32 v101, 0x80000000, v98
	v_cndmask_b32_e32 v92, v118, v91, vcc
	v_cmp_gt_f64_e32 vcc, 0, v[119:120]
	v_mov_b32_e32 v91, v117
	v_cndmask_b32_e32 v100, v120, v99, vcc
	v_cmp_gt_f64_e32 vcc, 0, v[95:96]
	v_mov_b32_e32 v99, v119
	v_add_f64 v[91:92], v[91:92], v[99:100]
	v_xor_b32_e32 v99, 0x80000000, v96
	v_cndmask_b32_e32 v100, v96, v99, vcc
	v_cmp_gt_f64_e32 vcc, 0, v[97:98]
	v_mov_b32_e32 v99, v95
	v_cndmask_b32_e32 v102, v98, v101, vcc
	v_mov_b32_e32 v101, v97
	v_add_f64 v[99:100], v[99:100], v[101:102]
	v_cmp_lt_f64_e32 vcc, v[91:92], v[99:100]
	v_mov_b32_e32 v91, s0
	s_add_i32 s0, s0, 1
	s_cmp_lg_u32 s3, s0
	v_cndmask_b32_e32 v118, v118, v96, vcc
	v_cndmask_b32_e32 v117, v117, v95, vcc
	;; [unrolled: 1-line block ×5, first 2 shown]
	s_cbranch_scc1 .LBB104_820
.LBB104_821:
	s_waitcnt lgkmcnt(0)
	v_cmp_eq_f64_e32 vcc, 0, v[117:118]
	v_cmp_eq_f64_e64 s[0:1], 0, v[119:120]
	s_and_b64 s[0:1], vcc, s[0:1]
	s_and_saveexec_b64 s[18:19], s[0:1]
	s_xor_b64 s[0:1], exec, s[18:19]
; %bb.822:
	v_cmp_ne_u32_e32 vcc, 0, v94
	v_cndmask_b32_e32 v94, 40, v94, vcc
; %bb.823:
	s_andn2_saveexec_b64 s[0:1], s[0:1]
	s_cbranch_execz .LBB104_829
; %bb.824:
	v_cmp_ngt_f64_e64 s[18:19], |v[117:118]|, |v[119:120]|
	s_and_saveexec_b64 s[20:21], s[18:19]
	s_xor_b64 s[18:19], exec, s[20:21]
	s_cbranch_execz .LBB104_826
; %bb.825:
	v_div_scale_f64 v[90:91], s[20:21], v[119:120], v[119:120], v[117:118]
	v_rcp_f64_e32 v[95:96], v[90:91]
	v_fma_f64 v[97:98], -v[90:91], v[95:96], 1.0
	v_fma_f64 v[95:96], v[95:96], v[97:98], v[95:96]
	v_div_scale_f64 v[97:98], vcc, v[117:118], v[119:120], v[117:118]
	v_fma_f64 v[99:100], -v[90:91], v[95:96], 1.0
	v_fma_f64 v[95:96], v[95:96], v[99:100], v[95:96]
	v_mul_f64 v[99:100], v[97:98], v[95:96]
	v_fma_f64 v[90:91], -v[90:91], v[99:100], v[97:98]
	v_div_fmas_f64 v[90:91], v[90:91], v[95:96], v[99:100]
	v_div_fixup_f64 v[90:91], v[90:91], v[119:120], v[117:118]
	v_fma_f64 v[95:96], v[117:118], v[90:91], v[119:120]
	v_div_scale_f64 v[97:98], s[20:21], v[95:96], v[95:96], 1.0
	v_div_scale_f64 v[103:104], vcc, 1.0, v[95:96], 1.0
	v_rcp_f64_e32 v[99:100], v[97:98]
	v_fma_f64 v[101:102], -v[97:98], v[99:100], 1.0
	v_fma_f64 v[99:100], v[99:100], v[101:102], v[99:100]
	v_fma_f64 v[101:102], -v[97:98], v[99:100], 1.0
	v_fma_f64 v[99:100], v[99:100], v[101:102], v[99:100]
	v_mul_f64 v[101:102], v[103:104], v[99:100]
	v_fma_f64 v[97:98], -v[97:98], v[101:102], v[103:104]
	v_div_fmas_f64 v[97:98], v[97:98], v[99:100], v[101:102]
	v_div_fixup_f64 v[119:120], v[97:98], v[95:96], 1.0
	v_mul_f64 v[117:118], v[90:91], v[119:120]
	v_xor_b32_e32 v120, 0x80000000, v120
.LBB104_826:
	s_andn2_saveexec_b64 s[18:19], s[18:19]
	s_cbranch_execz .LBB104_828
; %bb.827:
	v_div_scale_f64 v[90:91], s[20:21], v[117:118], v[117:118], v[119:120]
	v_rcp_f64_e32 v[95:96], v[90:91]
	v_fma_f64 v[97:98], -v[90:91], v[95:96], 1.0
	v_fma_f64 v[95:96], v[95:96], v[97:98], v[95:96]
	v_div_scale_f64 v[97:98], vcc, v[119:120], v[117:118], v[119:120]
	v_fma_f64 v[99:100], -v[90:91], v[95:96], 1.0
	v_fma_f64 v[95:96], v[95:96], v[99:100], v[95:96]
	v_mul_f64 v[99:100], v[97:98], v[95:96]
	v_fma_f64 v[90:91], -v[90:91], v[99:100], v[97:98]
	v_div_fmas_f64 v[90:91], v[90:91], v[95:96], v[99:100]
	v_div_fixup_f64 v[90:91], v[90:91], v[117:118], v[119:120]
	v_fma_f64 v[95:96], v[119:120], v[90:91], v[117:118]
	v_div_scale_f64 v[97:98], s[20:21], v[95:96], v[95:96], 1.0
	v_div_scale_f64 v[103:104], vcc, 1.0, v[95:96], 1.0
	v_rcp_f64_e32 v[99:100], v[97:98]
	v_fma_f64 v[101:102], -v[97:98], v[99:100], 1.0
	v_fma_f64 v[99:100], v[99:100], v[101:102], v[99:100]
	v_fma_f64 v[101:102], -v[97:98], v[99:100], 1.0
	v_fma_f64 v[99:100], v[99:100], v[101:102], v[99:100]
	v_mul_f64 v[101:102], v[103:104], v[99:100]
	v_fma_f64 v[97:98], -v[97:98], v[101:102], v[103:104]
	v_div_fmas_f64 v[97:98], v[97:98], v[99:100], v[101:102]
	v_div_fixup_f64 v[117:118], v[97:98], v[95:96], 1.0
	v_mul_f64 v[119:120], v[90:91], -v[117:118]
.LBB104_828:
	s_or_b64 exec, exec, s[18:19]
.LBB104_829:
	s_or_b64 exec, exec, s[0:1]
	v_cmp_ne_u32_e32 vcc, v93, v89
	s_and_saveexec_b64 s[0:1], vcc
	s_xor_b64 s[0:1], exec, s[0:1]
	s_cbranch_execz .LBB104_835
; %bb.830:
	v_cmp_eq_u32_e32 vcc, 39, v93
	s_and_saveexec_b64 s[18:19], vcc
	s_cbranch_execz .LBB104_834
; %bb.831:
	v_cmp_ne_u32_e32 vcc, 39, v89
	s_xor_b64 s[20:21], s[6:7], -1
	s_and_b64 s[22:23], s[20:21], vcc
	s_and_saveexec_b64 s[20:21], s[22:23]
	s_cbranch_execz .LBB104_833
; %bb.832:
	buffer_load_dword v81, off, s[24:27], 0 offset:420 ; 4-byte Folded Reload
	buffer_load_dword v82, off, s[24:27], 0 offset:424 ; 4-byte Folded Reload
	v_ashrrev_i32_e32 v90, 31, v89
	v_lshlrev_b64 v[90:91], 2, v[89:90]
	s_waitcnt vmcnt(1)
	v_add_co_u32_e32 v90, vcc, v81, v90
	s_waitcnt vmcnt(0)
	v_addc_co_u32_e32 v91, vcc, v82, v91, vcc
	global_load_dword v92, v[90:91], off
	global_load_dword v93, v[81:82], off offset:156
	s_waitcnt vmcnt(1)
	global_store_dword v[81:82], v92, off offset:156
	v_mov_b32_e32 v81, v105
	v_mov_b32_e32 v82, v106
	;; [unrolled: 1-line block ×4, first 2 shown]
	s_waitcnt vmcnt(1)
	global_store_dword v[90:91], v93, off
.LBB104_833:
	s_or_b64 exec, exec, s[20:21]
	v_mov_b32_e32 v93, v89
	v_mov_b32_e32 v69, v89
	buffer_store_dword v69, off, s[24:27], 0 offset:352 ; 4-byte Folded Spill
.LBB104_834:
	s_or_b64 exec, exec, s[18:19]
.LBB104_835:
	s_andn2_saveexec_b64 s[0:1], s[0:1]
	s_cbranch_execz .LBB104_837
; %bb.836:
	v_mov_b32_e32 v93, 39
	ds_write2_b64 v0, v[45:46], v[47:48] offset0:80 offset1:81
	ds_write2_b64 v0, v[41:42], v[43:44] offset0:82 offset1:83
	;; [unrolled: 1-line block ×13, first 2 shown]
.LBB104_837:
	s_or_b64 exec, exec, s[0:1]
	v_cmp_lt_i32_e32 vcc, 39, v93
	s_waitcnt vmcnt(0) lgkmcnt(0)
	s_barrier
	s_and_saveexec_b64 s[0:1], vcc
	s_cbranch_execz .LBB104_839
; %bb.838:
	v_mul_f64 v[89:90], v[117:118], v[51:52]
	v_mul_f64 v[51:52], v[119:120], v[51:52]
	ds_read2_b64 v[95:98], v0 offset0:80 offset1:81
	v_fma_f64 v[89:90], v[119:120], v[49:50], v[89:90]
	v_fma_f64 v[49:50], v[117:118], v[49:50], -v[51:52]
	s_waitcnt lgkmcnt(0)
	v_mul_f64 v[51:52], v[97:98], v[89:90]
	v_mul_f64 v[91:92], v[95:96], v[89:90]
	v_fma_f64 v[51:52], v[95:96], v[49:50], -v[51:52]
	v_fma_f64 v[91:92], v[97:98], v[49:50], v[91:92]
	ds_read2_b64 v[95:98], v0 offset0:82 offset1:83
	v_add_f64 v[45:46], v[45:46], -v[51:52]
	v_add_f64 v[47:48], v[47:48], -v[91:92]
	s_waitcnt lgkmcnt(0)
	v_mul_f64 v[51:52], v[97:98], v[89:90]
	v_mul_f64 v[91:92], v[95:96], v[89:90]
	v_fma_f64 v[51:52], v[95:96], v[49:50], -v[51:52]
	v_fma_f64 v[91:92], v[97:98], v[49:50], v[91:92]
	ds_read2_b64 v[95:98], v0 offset0:84 offset1:85
	v_add_f64 v[41:42], v[41:42], -v[51:52]
	v_add_f64 v[43:44], v[43:44], -v[91:92]
	;; [unrolled: 8-line block ×12, first 2 shown]
	s_waitcnt lgkmcnt(0)
	v_mul_f64 v[51:52], v[97:98], v[89:90]
	v_mul_f64 v[91:92], v[95:96], v[89:90]
	v_fma_f64 v[51:52], v[95:96], v[49:50], -v[51:52]
	v_fma_f64 v[91:92], v[97:98], v[49:50], v[91:92]
	v_add_f64 v[121:122], v[121:122], -v[51:52]
	v_add_f64 v[123:124], v[123:124], -v[91:92]
	v_mov_b32_e32 v51, v89
	v_mov_b32_e32 v52, v90
.LBB104_839:
	s_or_b64 exec, exec, s[0:1]
	v_lshl_add_u32 v89, v93, 4, v0
	s_barrier
	ds_write2_b64 v89, v[45:46], v[47:48] offset1:1
	s_waitcnt lgkmcnt(0)
	s_barrier
	ds_read2_b64 v[117:120], v0 offset0:80 offset1:81
	s_cmp_lt_i32 s3, 42
	v_mov_b32_e32 v89, 40
	s_cbranch_scc1 .LBB104_842
; %bb.840:
	v_add_u32_e32 v90, 0x290, v0
	s_mov_b32 s0, 41
	v_mov_b32_e32 v89, 40
.LBB104_841:                            ; =>This Inner Loop Header: Depth=1
	s_waitcnt lgkmcnt(0)
	v_cmp_gt_f64_e32 vcc, 0, v[117:118]
	v_xor_b32_e32 v91, 0x80000000, v118
	ds_read2_b64 v[95:98], v90 offset1:1
	v_xor_b32_e32 v99, 0x80000000, v120
	v_add_u32_e32 v90, 16, v90
	s_waitcnt lgkmcnt(0)
	v_xor_b32_e32 v101, 0x80000000, v98
	v_cndmask_b32_e32 v92, v118, v91, vcc
	v_cmp_gt_f64_e32 vcc, 0, v[119:120]
	v_mov_b32_e32 v91, v117
	v_cndmask_b32_e32 v100, v120, v99, vcc
	v_cmp_gt_f64_e32 vcc, 0, v[95:96]
	v_mov_b32_e32 v99, v119
	v_add_f64 v[91:92], v[91:92], v[99:100]
	v_xor_b32_e32 v99, 0x80000000, v96
	v_cndmask_b32_e32 v100, v96, v99, vcc
	v_cmp_gt_f64_e32 vcc, 0, v[97:98]
	v_mov_b32_e32 v99, v95
	v_cndmask_b32_e32 v102, v98, v101, vcc
	v_mov_b32_e32 v101, v97
	v_add_f64 v[99:100], v[99:100], v[101:102]
	v_cmp_lt_f64_e32 vcc, v[91:92], v[99:100]
	v_mov_b32_e32 v91, s0
	s_add_i32 s0, s0, 1
	s_cmp_lg_u32 s3, s0
	v_cndmask_b32_e32 v118, v118, v96, vcc
	v_cndmask_b32_e32 v117, v117, v95, vcc
	;; [unrolled: 1-line block ×5, first 2 shown]
	s_cbranch_scc1 .LBB104_841
.LBB104_842:
	s_waitcnt lgkmcnt(0)
	v_cmp_eq_f64_e32 vcc, 0, v[117:118]
	v_cmp_eq_f64_e64 s[0:1], 0, v[119:120]
	s_and_b64 s[0:1], vcc, s[0:1]
	s_and_saveexec_b64 s[18:19], s[0:1]
	s_xor_b64 s[0:1], exec, s[18:19]
; %bb.843:
	v_cmp_ne_u32_e32 vcc, 0, v94
	v_cndmask_b32_e32 v94, 41, v94, vcc
; %bb.844:
	s_andn2_saveexec_b64 s[0:1], s[0:1]
	s_cbranch_execz .LBB104_850
; %bb.845:
	v_cmp_ngt_f64_e64 s[18:19], |v[117:118]|, |v[119:120]|
	s_and_saveexec_b64 s[20:21], s[18:19]
	s_xor_b64 s[18:19], exec, s[20:21]
	s_cbranch_execz .LBB104_847
; %bb.846:
	v_div_scale_f64 v[90:91], s[20:21], v[119:120], v[119:120], v[117:118]
	v_rcp_f64_e32 v[95:96], v[90:91]
	v_fma_f64 v[97:98], -v[90:91], v[95:96], 1.0
	v_fma_f64 v[95:96], v[95:96], v[97:98], v[95:96]
	v_div_scale_f64 v[97:98], vcc, v[117:118], v[119:120], v[117:118]
	v_fma_f64 v[99:100], -v[90:91], v[95:96], 1.0
	v_fma_f64 v[95:96], v[95:96], v[99:100], v[95:96]
	v_mul_f64 v[99:100], v[97:98], v[95:96]
	v_fma_f64 v[90:91], -v[90:91], v[99:100], v[97:98]
	v_div_fmas_f64 v[90:91], v[90:91], v[95:96], v[99:100]
	v_div_fixup_f64 v[90:91], v[90:91], v[119:120], v[117:118]
	v_fma_f64 v[95:96], v[117:118], v[90:91], v[119:120]
	v_div_scale_f64 v[97:98], s[20:21], v[95:96], v[95:96], 1.0
	v_div_scale_f64 v[103:104], vcc, 1.0, v[95:96], 1.0
	v_rcp_f64_e32 v[99:100], v[97:98]
	v_fma_f64 v[101:102], -v[97:98], v[99:100], 1.0
	v_fma_f64 v[99:100], v[99:100], v[101:102], v[99:100]
	v_fma_f64 v[101:102], -v[97:98], v[99:100], 1.0
	v_fma_f64 v[99:100], v[99:100], v[101:102], v[99:100]
	v_mul_f64 v[101:102], v[103:104], v[99:100]
	v_fma_f64 v[97:98], -v[97:98], v[101:102], v[103:104]
	v_div_fmas_f64 v[97:98], v[97:98], v[99:100], v[101:102]
	v_div_fixup_f64 v[119:120], v[97:98], v[95:96], 1.0
	v_mul_f64 v[117:118], v[90:91], v[119:120]
	v_xor_b32_e32 v120, 0x80000000, v120
.LBB104_847:
	s_andn2_saveexec_b64 s[18:19], s[18:19]
	s_cbranch_execz .LBB104_849
; %bb.848:
	v_div_scale_f64 v[90:91], s[20:21], v[117:118], v[117:118], v[119:120]
	v_rcp_f64_e32 v[95:96], v[90:91]
	v_fma_f64 v[97:98], -v[90:91], v[95:96], 1.0
	v_fma_f64 v[95:96], v[95:96], v[97:98], v[95:96]
	v_div_scale_f64 v[97:98], vcc, v[119:120], v[117:118], v[119:120]
	v_fma_f64 v[99:100], -v[90:91], v[95:96], 1.0
	v_fma_f64 v[95:96], v[95:96], v[99:100], v[95:96]
	v_mul_f64 v[99:100], v[97:98], v[95:96]
	v_fma_f64 v[90:91], -v[90:91], v[99:100], v[97:98]
	v_div_fmas_f64 v[90:91], v[90:91], v[95:96], v[99:100]
	v_div_fixup_f64 v[90:91], v[90:91], v[117:118], v[119:120]
	v_fma_f64 v[95:96], v[119:120], v[90:91], v[117:118]
	v_div_scale_f64 v[97:98], s[20:21], v[95:96], v[95:96], 1.0
	v_div_scale_f64 v[103:104], vcc, 1.0, v[95:96], 1.0
	v_rcp_f64_e32 v[99:100], v[97:98]
	v_fma_f64 v[101:102], -v[97:98], v[99:100], 1.0
	v_fma_f64 v[99:100], v[99:100], v[101:102], v[99:100]
	v_fma_f64 v[101:102], -v[97:98], v[99:100], 1.0
	v_fma_f64 v[99:100], v[99:100], v[101:102], v[99:100]
	v_mul_f64 v[101:102], v[103:104], v[99:100]
	v_fma_f64 v[97:98], -v[97:98], v[101:102], v[103:104]
	v_div_fmas_f64 v[97:98], v[97:98], v[99:100], v[101:102]
	v_div_fixup_f64 v[117:118], v[97:98], v[95:96], 1.0
	v_mul_f64 v[119:120], v[90:91], -v[117:118]
.LBB104_849:
	s_or_b64 exec, exec, s[18:19]
.LBB104_850:
	s_or_b64 exec, exec, s[0:1]
	v_cmp_ne_u32_e32 vcc, v93, v89
	s_and_saveexec_b64 s[0:1], vcc
	s_xor_b64 s[0:1], exec, s[0:1]
	s_cbranch_execz .LBB104_856
; %bb.851:
	v_cmp_eq_u32_e32 vcc, 40, v93
	s_and_saveexec_b64 s[18:19], vcc
	s_cbranch_execz .LBB104_855
; %bb.852:
	v_cmp_ne_u32_e32 vcc, 40, v89
	s_xor_b64 s[20:21], s[6:7], -1
	s_and_b64 s[22:23], s[20:21], vcc
	s_and_saveexec_b64 s[20:21], s[22:23]
	s_cbranch_execz .LBB104_854
; %bb.853:
	buffer_load_dword v81, off, s[24:27], 0 offset:420 ; 4-byte Folded Reload
	buffer_load_dword v82, off, s[24:27], 0 offset:424 ; 4-byte Folded Reload
	v_ashrrev_i32_e32 v90, 31, v89
	v_lshlrev_b64 v[90:91], 2, v[89:90]
	s_waitcnt vmcnt(1)
	v_add_co_u32_e32 v90, vcc, v81, v90
	s_waitcnt vmcnt(0)
	v_addc_co_u32_e32 v91, vcc, v82, v91, vcc
	global_load_dword v92, v[90:91], off
	global_load_dword v93, v[81:82], off offset:160
	s_waitcnt vmcnt(1)
	global_store_dword v[81:82], v92, off offset:160
	v_mov_b32_e32 v81, v105
	v_mov_b32_e32 v82, v106
	;; [unrolled: 1-line block ×4, first 2 shown]
	s_waitcnt vmcnt(1)
	global_store_dword v[90:91], v93, off
.LBB104_854:
	s_or_b64 exec, exec, s[20:21]
	v_mov_b32_e32 v93, v89
	v_mov_b32_e32 v69, v89
	buffer_store_dword v69, off, s[24:27], 0 offset:352 ; 4-byte Folded Spill
.LBB104_855:
	s_or_b64 exec, exec, s[18:19]
.LBB104_856:
	s_andn2_saveexec_b64 s[0:1], s[0:1]
	s_cbranch_execz .LBB104_858
; %bb.857:
	v_mov_b32_e32 v93, 40
	ds_write2_b64 v0, v[41:42], v[43:44] offset0:82 offset1:83
	ds_write2_b64 v0, v[37:38], v[39:40] offset0:84 offset1:85
	;; [unrolled: 1-line block ×12, first 2 shown]
.LBB104_858:
	s_or_b64 exec, exec, s[0:1]
	v_cmp_lt_i32_e32 vcc, 40, v93
	s_waitcnt vmcnt(0) lgkmcnt(0)
	s_barrier
	s_and_saveexec_b64 s[0:1], vcc
	s_cbranch_execz .LBB104_860
; %bb.859:
	v_mul_f64 v[89:90], v[117:118], v[47:48]
	v_mul_f64 v[47:48], v[119:120], v[47:48]
	ds_read2_b64 v[95:98], v0 offset0:82 offset1:83
	v_fma_f64 v[89:90], v[119:120], v[45:46], v[89:90]
	v_fma_f64 v[45:46], v[117:118], v[45:46], -v[47:48]
	s_waitcnt lgkmcnt(0)
	v_mul_f64 v[47:48], v[97:98], v[89:90]
	v_mul_f64 v[91:92], v[95:96], v[89:90]
	v_fma_f64 v[47:48], v[95:96], v[45:46], -v[47:48]
	v_fma_f64 v[91:92], v[97:98], v[45:46], v[91:92]
	ds_read2_b64 v[95:98], v0 offset0:84 offset1:85
	v_add_f64 v[41:42], v[41:42], -v[47:48]
	v_add_f64 v[43:44], v[43:44], -v[91:92]
	s_waitcnt lgkmcnt(0)
	v_mul_f64 v[47:48], v[97:98], v[89:90]
	v_mul_f64 v[91:92], v[95:96], v[89:90]
	v_fma_f64 v[47:48], v[95:96], v[45:46], -v[47:48]
	v_fma_f64 v[91:92], v[97:98], v[45:46], v[91:92]
	ds_read2_b64 v[95:98], v0 offset0:86 offset1:87
	v_add_f64 v[37:38], v[37:38], -v[47:48]
	v_add_f64 v[39:40], v[39:40], -v[91:92]
	;; [unrolled: 8-line block ×11, first 2 shown]
	s_waitcnt lgkmcnt(0)
	v_mul_f64 v[47:48], v[97:98], v[89:90]
	v_mul_f64 v[91:92], v[95:96], v[89:90]
	v_fma_f64 v[47:48], v[95:96], v[45:46], -v[47:48]
	v_fma_f64 v[91:92], v[97:98], v[45:46], v[91:92]
	v_add_f64 v[121:122], v[121:122], -v[47:48]
	v_add_f64 v[123:124], v[123:124], -v[91:92]
	v_mov_b32_e32 v47, v89
	v_mov_b32_e32 v48, v90
.LBB104_860:
	s_or_b64 exec, exec, s[0:1]
	v_lshl_add_u32 v89, v93, 4, v0
	s_barrier
	ds_write2_b64 v89, v[41:42], v[43:44] offset1:1
	s_waitcnt lgkmcnt(0)
	s_barrier
	ds_read2_b64 v[117:120], v0 offset0:82 offset1:83
	s_cmp_lt_i32 s3, 43
	v_mov_b32_e32 v89, 41
	s_cbranch_scc1 .LBB104_863
; %bb.861:
	v_add_u32_e32 v90, 0x2a0, v0
	s_mov_b32 s0, 42
	v_mov_b32_e32 v89, 41
.LBB104_862:                            ; =>This Inner Loop Header: Depth=1
	s_waitcnt lgkmcnt(0)
	v_cmp_gt_f64_e32 vcc, 0, v[117:118]
	v_xor_b32_e32 v91, 0x80000000, v118
	ds_read2_b64 v[95:98], v90 offset1:1
	v_xor_b32_e32 v99, 0x80000000, v120
	v_add_u32_e32 v90, 16, v90
	s_waitcnt lgkmcnt(0)
	v_xor_b32_e32 v101, 0x80000000, v98
	v_cndmask_b32_e32 v92, v118, v91, vcc
	v_cmp_gt_f64_e32 vcc, 0, v[119:120]
	v_mov_b32_e32 v91, v117
	v_cndmask_b32_e32 v100, v120, v99, vcc
	v_cmp_gt_f64_e32 vcc, 0, v[95:96]
	v_mov_b32_e32 v99, v119
	v_add_f64 v[91:92], v[91:92], v[99:100]
	v_xor_b32_e32 v99, 0x80000000, v96
	v_cndmask_b32_e32 v100, v96, v99, vcc
	v_cmp_gt_f64_e32 vcc, 0, v[97:98]
	v_mov_b32_e32 v99, v95
	v_cndmask_b32_e32 v102, v98, v101, vcc
	v_mov_b32_e32 v101, v97
	v_add_f64 v[99:100], v[99:100], v[101:102]
	v_cmp_lt_f64_e32 vcc, v[91:92], v[99:100]
	v_mov_b32_e32 v91, s0
	s_add_i32 s0, s0, 1
	s_cmp_lg_u32 s3, s0
	v_cndmask_b32_e32 v118, v118, v96, vcc
	v_cndmask_b32_e32 v117, v117, v95, vcc
	;; [unrolled: 1-line block ×5, first 2 shown]
	s_cbranch_scc1 .LBB104_862
.LBB104_863:
	s_waitcnt lgkmcnt(0)
	v_cmp_eq_f64_e32 vcc, 0, v[117:118]
	v_cmp_eq_f64_e64 s[0:1], 0, v[119:120]
	s_and_b64 s[0:1], vcc, s[0:1]
	s_and_saveexec_b64 s[18:19], s[0:1]
	s_xor_b64 s[0:1], exec, s[18:19]
; %bb.864:
	v_cmp_ne_u32_e32 vcc, 0, v94
	v_cndmask_b32_e32 v94, 42, v94, vcc
; %bb.865:
	s_andn2_saveexec_b64 s[0:1], s[0:1]
	s_cbranch_execz .LBB104_871
; %bb.866:
	v_cmp_ngt_f64_e64 s[18:19], |v[117:118]|, |v[119:120]|
	s_and_saveexec_b64 s[20:21], s[18:19]
	s_xor_b64 s[18:19], exec, s[20:21]
	s_cbranch_execz .LBB104_868
; %bb.867:
	v_div_scale_f64 v[90:91], s[20:21], v[119:120], v[119:120], v[117:118]
	v_rcp_f64_e32 v[95:96], v[90:91]
	v_fma_f64 v[97:98], -v[90:91], v[95:96], 1.0
	v_fma_f64 v[95:96], v[95:96], v[97:98], v[95:96]
	v_div_scale_f64 v[97:98], vcc, v[117:118], v[119:120], v[117:118]
	v_fma_f64 v[99:100], -v[90:91], v[95:96], 1.0
	v_fma_f64 v[95:96], v[95:96], v[99:100], v[95:96]
	v_mul_f64 v[99:100], v[97:98], v[95:96]
	v_fma_f64 v[90:91], -v[90:91], v[99:100], v[97:98]
	v_div_fmas_f64 v[90:91], v[90:91], v[95:96], v[99:100]
	v_div_fixup_f64 v[90:91], v[90:91], v[119:120], v[117:118]
	v_fma_f64 v[95:96], v[117:118], v[90:91], v[119:120]
	v_div_scale_f64 v[97:98], s[20:21], v[95:96], v[95:96], 1.0
	v_div_scale_f64 v[103:104], vcc, 1.0, v[95:96], 1.0
	v_rcp_f64_e32 v[99:100], v[97:98]
	v_fma_f64 v[101:102], -v[97:98], v[99:100], 1.0
	v_fma_f64 v[99:100], v[99:100], v[101:102], v[99:100]
	v_fma_f64 v[101:102], -v[97:98], v[99:100], 1.0
	v_fma_f64 v[99:100], v[99:100], v[101:102], v[99:100]
	v_mul_f64 v[101:102], v[103:104], v[99:100]
	v_fma_f64 v[97:98], -v[97:98], v[101:102], v[103:104]
	v_div_fmas_f64 v[97:98], v[97:98], v[99:100], v[101:102]
	v_div_fixup_f64 v[119:120], v[97:98], v[95:96], 1.0
	v_mul_f64 v[117:118], v[90:91], v[119:120]
	v_xor_b32_e32 v120, 0x80000000, v120
.LBB104_868:
	s_andn2_saveexec_b64 s[18:19], s[18:19]
	s_cbranch_execz .LBB104_870
; %bb.869:
	v_div_scale_f64 v[90:91], s[20:21], v[117:118], v[117:118], v[119:120]
	v_rcp_f64_e32 v[95:96], v[90:91]
	v_fma_f64 v[97:98], -v[90:91], v[95:96], 1.0
	v_fma_f64 v[95:96], v[95:96], v[97:98], v[95:96]
	v_div_scale_f64 v[97:98], vcc, v[119:120], v[117:118], v[119:120]
	v_fma_f64 v[99:100], -v[90:91], v[95:96], 1.0
	v_fma_f64 v[95:96], v[95:96], v[99:100], v[95:96]
	v_mul_f64 v[99:100], v[97:98], v[95:96]
	v_fma_f64 v[90:91], -v[90:91], v[99:100], v[97:98]
	v_div_fmas_f64 v[90:91], v[90:91], v[95:96], v[99:100]
	v_div_fixup_f64 v[90:91], v[90:91], v[117:118], v[119:120]
	v_fma_f64 v[95:96], v[119:120], v[90:91], v[117:118]
	v_div_scale_f64 v[97:98], s[20:21], v[95:96], v[95:96], 1.0
	v_div_scale_f64 v[103:104], vcc, 1.0, v[95:96], 1.0
	v_rcp_f64_e32 v[99:100], v[97:98]
	v_fma_f64 v[101:102], -v[97:98], v[99:100], 1.0
	v_fma_f64 v[99:100], v[99:100], v[101:102], v[99:100]
	v_fma_f64 v[101:102], -v[97:98], v[99:100], 1.0
	v_fma_f64 v[99:100], v[99:100], v[101:102], v[99:100]
	v_mul_f64 v[101:102], v[103:104], v[99:100]
	v_fma_f64 v[97:98], -v[97:98], v[101:102], v[103:104]
	v_div_fmas_f64 v[97:98], v[97:98], v[99:100], v[101:102]
	v_div_fixup_f64 v[117:118], v[97:98], v[95:96], 1.0
	v_mul_f64 v[119:120], v[90:91], -v[117:118]
.LBB104_870:
	s_or_b64 exec, exec, s[18:19]
.LBB104_871:
	s_or_b64 exec, exec, s[0:1]
	v_cmp_ne_u32_e32 vcc, v93, v89
	s_and_saveexec_b64 s[0:1], vcc
	s_xor_b64 s[0:1], exec, s[0:1]
	s_cbranch_execz .LBB104_877
; %bb.872:
	v_cmp_eq_u32_e32 vcc, 41, v93
	s_and_saveexec_b64 s[18:19], vcc
	s_cbranch_execz .LBB104_876
; %bb.873:
	v_cmp_ne_u32_e32 vcc, 41, v89
	s_xor_b64 s[20:21], s[6:7], -1
	s_and_b64 s[22:23], s[20:21], vcc
	s_and_saveexec_b64 s[20:21], s[22:23]
	s_cbranch_execz .LBB104_875
; %bb.874:
	buffer_load_dword v81, off, s[24:27], 0 offset:420 ; 4-byte Folded Reload
	buffer_load_dword v82, off, s[24:27], 0 offset:424 ; 4-byte Folded Reload
	v_ashrrev_i32_e32 v90, 31, v89
	v_lshlrev_b64 v[90:91], 2, v[89:90]
	s_waitcnt vmcnt(1)
	v_add_co_u32_e32 v90, vcc, v81, v90
	s_waitcnt vmcnt(0)
	v_addc_co_u32_e32 v91, vcc, v82, v91, vcc
	global_load_dword v92, v[90:91], off
	global_load_dword v93, v[81:82], off offset:164
	s_waitcnt vmcnt(1)
	global_store_dword v[81:82], v92, off offset:164
	v_mov_b32_e32 v81, v105
	v_mov_b32_e32 v82, v106
	;; [unrolled: 1-line block ×4, first 2 shown]
	s_waitcnt vmcnt(1)
	global_store_dword v[90:91], v93, off
.LBB104_875:
	s_or_b64 exec, exec, s[20:21]
	v_mov_b32_e32 v93, v89
	v_mov_b32_e32 v69, v89
	buffer_store_dword v69, off, s[24:27], 0 offset:352 ; 4-byte Folded Spill
.LBB104_876:
	s_or_b64 exec, exec, s[18:19]
.LBB104_877:
	s_andn2_saveexec_b64 s[0:1], s[0:1]
	s_cbranch_execz .LBB104_879
; %bb.878:
	v_mov_b32_e32 v93, 41
	ds_write2_b64 v0, v[37:38], v[39:40] offset0:84 offset1:85
	ds_write2_b64 v0, v[33:34], v[35:36] offset0:86 offset1:87
	;; [unrolled: 1-line block ×11, first 2 shown]
.LBB104_879:
	s_or_b64 exec, exec, s[0:1]
	v_cmp_lt_i32_e32 vcc, 41, v93
	s_waitcnt vmcnt(0) lgkmcnt(0)
	s_barrier
	s_and_saveexec_b64 s[0:1], vcc
	s_cbranch_execz .LBB104_881
; %bb.880:
	v_mul_f64 v[89:90], v[117:118], v[43:44]
	v_mul_f64 v[43:44], v[119:120], v[43:44]
	ds_read2_b64 v[95:98], v0 offset0:84 offset1:85
	v_fma_f64 v[89:90], v[119:120], v[41:42], v[89:90]
	v_fma_f64 v[41:42], v[117:118], v[41:42], -v[43:44]
	s_waitcnt lgkmcnt(0)
	v_mul_f64 v[43:44], v[97:98], v[89:90]
	v_mul_f64 v[91:92], v[95:96], v[89:90]
	v_fma_f64 v[43:44], v[95:96], v[41:42], -v[43:44]
	v_fma_f64 v[91:92], v[97:98], v[41:42], v[91:92]
	ds_read2_b64 v[95:98], v0 offset0:86 offset1:87
	v_add_f64 v[37:38], v[37:38], -v[43:44]
	v_add_f64 v[39:40], v[39:40], -v[91:92]
	s_waitcnt lgkmcnt(0)
	v_mul_f64 v[43:44], v[97:98], v[89:90]
	v_mul_f64 v[91:92], v[95:96], v[89:90]
	v_fma_f64 v[43:44], v[95:96], v[41:42], -v[43:44]
	v_fma_f64 v[91:92], v[97:98], v[41:42], v[91:92]
	ds_read2_b64 v[95:98], v0 offset0:88 offset1:89
	v_add_f64 v[33:34], v[33:34], -v[43:44]
	v_add_f64 v[35:36], v[35:36], -v[91:92]
	;; [unrolled: 8-line block ×10, first 2 shown]
	s_waitcnt lgkmcnt(0)
	v_mul_f64 v[43:44], v[97:98], v[89:90]
	v_mul_f64 v[91:92], v[95:96], v[89:90]
	v_fma_f64 v[43:44], v[95:96], v[41:42], -v[43:44]
	v_fma_f64 v[91:92], v[97:98], v[41:42], v[91:92]
	v_add_f64 v[121:122], v[121:122], -v[43:44]
	v_add_f64 v[123:124], v[123:124], -v[91:92]
	v_mov_b32_e32 v43, v89
	v_mov_b32_e32 v44, v90
.LBB104_881:
	s_or_b64 exec, exec, s[0:1]
	v_lshl_add_u32 v89, v93, 4, v0
	s_barrier
	ds_write2_b64 v89, v[37:38], v[39:40] offset1:1
	s_waitcnt lgkmcnt(0)
	s_barrier
	ds_read2_b64 v[117:120], v0 offset0:84 offset1:85
	s_cmp_lt_i32 s3, 44
	v_mov_b32_e32 v89, 42
	s_cbranch_scc1 .LBB104_884
; %bb.882:
	v_add_u32_e32 v90, 0x2b0, v0
	s_mov_b32 s0, 43
	v_mov_b32_e32 v89, 42
.LBB104_883:                            ; =>This Inner Loop Header: Depth=1
	s_waitcnt lgkmcnt(0)
	v_cmp_gt_f64_e32 vcc, 0, v[117:118]
	v_xor_b32_e32 v91, 0x80000000, v118
	ds_read2_b64 v[95:98], v90 offset1:1
	v_xor_b32_e32 v99, 0x80000000, v120
	v_add_u32_e32 v90, 16, v90
	s_waitcnt lgkmcnt(0)
	v_xor_b32_e32 v101, 0x80000000, v98
	v_cndmask_b32_e32 v92, v118, v91, vcc
	v_cmp_gt_f64_e32 vcc, 0, v[119:120]
	v_mov_b32_e32 v91, v117
	v_cndmask_b32_e32 v100, v120, v99, vcc
	v_cmp_gt_f64_e32 vcc, 0, v[95:96]
	v_mov_b32_e32 v99, v119
	v_add_f64 v[91:92], v[91:92], v[99:100]
	v_xor_b32_e32 v99, 0x80000000, v96
	v_cndmask_b32_e32 v100, v96, v99, vcc
	v_cmp_gt_f64_e32 vcc, 0, v[97:98]
	v_mov_b32_e32 v99, v95
	v_cndmask_b32_e32 v102, v98, v101, vcc
	v_mov_b32_e32 v101, v97
	v_add_f64 v[99:100], v[99:100], v[101:102]
	v_cmp_lt_f64_e32 vcc, v[91:92], v[99:100]
	v_mov_b32_e32 v91, s0
	s_add_i32 s0, s0, 1
	s_cmp_lg_u32 s3, s0
	v_cndmask_b32_e32 v118, v118, v96, vcc
	v_cndmask_b32_e32 v117, v117, v95, vcc
	v_cndmask_b32_e32 v120, v120, v98, vcc
	v_cndmask_b32_e32 v119, v119, v97, vcc
	v_cndmask_b32_e32 v89, v89, v91, vcc
	s_cbranch_scc1 .LBB104_883
.LBB104_884:
	s_waitcnt lgkmcnt(0)
	v_cmp_eq_f64_e32 vcc, 0, v[117:118]
	v_cmp_eq_f64_e64 s[0:1], 0, v[119:120]
	s_and_b64 s[0:1], vcc, s[0:1]
	s_and_saveexec_b64 s[18:19], s[0:1]
	s_xor_b64 s[0:1], exec, s[18:19]
; %bb.885:
	v_cmp_ne_u32_e32 vcc, 0, v94
	v_cndmask_b32_e32 v94, 43, v94, vcc
; %bb.886:
	s_andn2_saveexec_b64 s[0:1], s[0:1]
	s_cbranch_execz .LBB104_892
; %bb.887:
	v_cmp_ngt_f64_e64 s[18:19], |v[117:118]|, |v[119:120]|
	s_and_saveexec_b64 s[20:21], s[18:19]
	s_xor_b64 s[18:19], exec, s[20:21]
	s_cbranch_execz .LBB104_889
; %bb.888:
	v_div_scale_f64 v[90:91], s[20:21], v[119:120], v[119:120], v[117:118]
	v_rcp_f64_e32 v[95:96], v[90:91]
	v_fma_f64 v[97:98], -v[90:91], v[95:96], 1.0
	v_fma_f64 v[95:96], v[95:96], v[97:98], v[95:96]
	v_div_scale_f64 v[97:98], vcc, v[117:118], v[119:120], v[117:118]
	v_fma_f64 v[99:100], -v[90:91], v[95:96], 1.0
	v_fma_f64 v[95:96], v[95:96], v[99:100], v[95:96]
	v_mul_f64 v[99:100], v[97:98], v[95:96]
	v_fma_f64 v[90:91], -v[90:91], v[99:100], v[97:98]
	v_div_fmas_f64 v[90:91], v[90:91], v[95:96], v[99:100]
	v_div_fixup_f64 v[90:91], v[90:91], v[119:120], v[117:118]
	v_fma_f64 v[95:96], v[117:118], v[90:91], v[119:120]
	v_div_scale_f64 v[97:98], s[20:21], v[95:96], v[95:96], 1.0
	v_div_scale_f64 v[103:104], vcc, 1.0, v[95:96], 1.0
	v_rcp_f64_e32 v[99:100], v[97:98]
	v_fma_f64 v[101:102], -v[97:98], v[99:100], 1.0
	v_fma_f64 v[99:100], v[99:100], v[101:102], v[99:100]
	v_fma_f64 v[101:102], -v[97:98], v[99:100], 1.0
	v_fma_f64 v[99:100], v[99:100], v[101:102], v[99:100]
	v_mul_f64 v[101:102], v[103:104], v[99:100]
	v_fma_f64 v[97:98], -v[97:98], v[101:102], v[103:104]
	v_div_fmas_f64 v[97:98], v[97:98], v[99:100], v[101:102]
	v_div_fixup_f64 v[119:120], v[97:98], v[95:96], 1.0
	v_mul_f64 v[117:118], v[90:91], v[119:120]
	v_xor_b32_e32 v120, 0x80000000, v120
.LBB104_889:
	s_andn2_saveexec_b64 s[18:19], s[18:19]
	s_cbranch_execz .LBB104_891
; %bb.890:
	v_div_scale_f64 v[90:91], s[20:21], v[117:118], v[117:118], v[119:120]
	v_rcp_f64_e32 v[95:96], v[90:91]
	v_fma_f64 v[97:98], -v[90:91], v[95:96], 1.0
	v_fma_f64 v[95:96], v[95:96], v[97:98], v[95:96]
	v_div_scale_f64 v[97:98], vcc, v[119:120], v[117:118], v[119:120]
	v_fma_f64 v[99:100], -v[90:91], v[95:96], 1.0
	v_fma_f64 v[95:96], v[95:96], v[99:100], v[95:96]
	v_mul_f64 v[99:100], v[97:98], v[95:96]
	v_fma_f64 v[90:91], -v[90:91], v[99:100], v[97:98]
	v_div_fmas_f64 v[90:91], v[90:91], v[95:96], v[99:100]
	v_div_fixup_f64 v[90:91], v[90:91], v[117:118], v[119:120]
	v_fma_f64 v[95:96], v[119:120], v[90:91], v[117:118]
	v_div_scale_f64 v[97:98], s[20:21], v[95:96], v[95:96], 1.0
	v_div_scale_f64 v[103:104], vcc, 1.0, v[95:96], 1.0
	v_rcp_f64_e32 v[99:100], v[97:98]
	v_fma_f64 v[101:102], -v[97:98], v[99:100], 1.0
	v_fma_f64 v[99:100], v[99:100], v[101:102], v[99:100]
	v_fma_f64 v[101:102], -v[97:98], v[99:100], 1.0
	v_fma_f64 v[99:100], v[99:100], v[101:102], v[99:100]
	v_mul_f64 v[101:102], v[103:104], v[99:100]
	v_fma_f64 v[97:98], -v[97:98], v[101:102], v[103:104]
	v_div_fmas_f64 v[97:98], v[97:98], v[99:100], v[101:102]
	v_div_fixup_f64 v[117:118], v[97:98], v[95:96], 1.0
	v_mul_f64 v[119:120], v[90:91], -v[117:118]
.LBB104_891:
	s_or_b64 exec, exec, s[18:19]
.LBB104_892:
	s_or_b64 exec, exec, s[0:1]
	v_cmp_ne_u32_e32 vcc, v93, v89
	s_and_saveexec_b64 s[0:1], vcc
	s_xor_b64 s[0:1], exec, s[0:1]
	s_cbranch_execz .LBB104_898
; %bb.893:
	v_cmp_eq_u32_e32 vcc, 42, v93
	s_and_saveexec_b64 s[18:19], vcc
	s_cbranch_execz .LBB104_897
; %bb.894:
	v_cmp_ne_u32_e32 vcc, 42, v89
	s_xor_b64 s[20:21], s[6:7], -1
	s_and_b64 s[22:23], s[20:21], vcc
	s_and_saveexec_b64 s[20:21], s[22:23]
	s_cbranch_execz .LBB104_896
; %bb.895:
	buffer_load_dword v81, off, s[24:27], 0 offset:420 ; 4-byte Folded Reload
	buffer_load_dword v82, off, s[24:27], 0 offset:424 ; 4-byte Folded Reload
	v_ashrrev_i32_e32 v90, 31, v89
	v_lshlrev_b64 v[90:91], 2, v[89:90]
	s_waitcnt vmcnt(1)
	v_add_co_u32_e32 v90, vcc, v81, v90
	s_waitcnt vmcnt(0)
	v_addc_co_u32_e32 v91, vcc, v82, v91, vcc
	global_load_dword v92, v[90:91], off
	global_load_dword v93, v[81:82], off offset:168
	s_waitcnt vmcnt(1)
	global_store_dword v[81:82], v92, off offset:168
	v_mov_b32_e32 v81, v105
	v_mov_b32_e32 v82, v106
	;; [unrolled: 1-line block ×4, first 2 shown]
	s_waitcnt vmcnt(1)
	global_store_dword v[90:91], v93, off
.LBB104_896:
	s_or_b64 exec, exec, s[20:21]
	v_mov_b32_e32 v93, v89
	v_mov_b32_e32 v69, v89
	buffer_store_dword v69, off, s[24:27], 0 offset:352 ; 4-byte Folded Spill
.LBB104_897:
	s_or_b64 exec, exec, s[18:19]
.LBB104_898:
	s_andn2_saveexec_b64 s[0:1], s[0:1]
	s_cbranch_execz .LBB104_900
; %bb.899:
	v_mov_b32_e32 v93, 42
	ds_write2_b64 v0, v[33:34], v[35:36] offset0:86 offset1:87
	ds_write2_b64 v0, v[29:30], v[31:32] offset0:88 offset1:89
	;; [unrolled: 1-line block ×10, first 2 shown]
.LBB104_900:
	s_or_b64 exec, exec, s[0:1]
	v_cmp_lt_i32_e32 vcc, 42, v93
	s_waitcnt vmcnt(0) lgkmcnt(0)
	s_barrier
	s_and_saveexec_b64 s[0:1], vcc
	s_cbranch_execz .LBB104_902
; %bb.901:
	v_mul_f64 v[89:90], v[117:118], v[39:40]
	v_mul_f64 v[39:40], v[119:120], v[39:40]
	ds_read2_b64 v[95:98], v0 offset0:86 offset1:87
	v_fma_f64 v[89:90], v[119:120], v[37:38], v[89:90]
	v_fma_f64 v[37:38], v[117:118], v[37:38], -v[39:40]
	s_waitcnt lgkmcnt(0)
	v_mul_f64 v[39:40], v[97:98], v[89:90]
	v_mul_f64 v[91:92], v[95:96], v[89:90]
	v_fma_f64 v[39:40], v[95:96], v[37:38], -v[39:40]
	v_fma_f64 v[91:92], v[97:98], v[37:38], v[91:92]
	ds_read2_b64 v[95:98], v0 offset0:88 offset1:89
	v_add_f64 v[33:34], v[33:34], -v[39:40]
	v_add_f64 v[35:36], v[35:36], -v[91:92]
	s_waitcnt lgkmcnt(0)
	v_mul_f64 v[39:40], v[97:98], v[89:90]
	v_mul_f64 v[91:92], v[95:96], v[89:90]
	v_fma_f64 v[39:40], v[95:96], v[37:38], -v[39:40]
	v_fma_f64 v[91:92], v[97:98], v[37:38], v[91:92]
	ds_read2_b64 v[95:98], v0 offset0:90 offset1:91
	v_add_f64 v[29:30], v[29:30], -v[39:40]
	v_add_f64 v[31:32], v[31:32], -v[91:92]
	;; [unrolled: 8-line block ×9, first 2 shown]
	s_waitcnt lgkmcnt(0)
	v_mul_f64 v[39:40], v[97:98], v[89:90]
	v_mul_f64 v[91:92], v[95:96], v[89:90]
	v_fma_f64 v[39:40], v[95:96], v[37:38], -v[39:40]
	v_fma_f64 v[91:92], v[97:98], v[37:38], v[91:92]
	v_add_f64 v[121:122], v[121:122], -v[39:40]
	v_add_f64 v[123:124], v[123:124], -v[91:92]
	v_mov_b32_e32 v39, v89
	v_mov_b32_e32 v40, v90
.LBB104_902:
	s_or_b64 exec, exec, s[0:1]
	v_lshl_add_u32 v89, v93, 4, v0
	s_barrier
	ds_write2_b64 v89, v[33:34], v[35:36] offset1:1
	s_waitcnt lgkmcnt(0)
	s_barrier
	ds_read2_b64 v[117:120], v0 offset0:86 offset1:87
	s_cmp_lt_i32 s3, 45
	v_mov_b32_e32 v89, 43
	s_cbranch_scc1 .LBB104_905
; %bb.903:
	v_add_u32_e32 v90, 0x2c0, v0
	s_mov_b32 s0, 44
	v_mov_b32_e32 v89, 43
.LBB104_904:                            ; =>This Inner Loop Header: Depth=1
	s_waitcnt lgkmcnt(0)
	v_cmp_gt_f64_e32 vcc, 0, v[117:118]
	v_xor_b32_e32 v91, 0x80000000, v118
	ds_read2_b64 v[95:98], v90 offset1:1
	v_xor_b32_e32 v99, 0x80000000, v120
	v_add_u32_e32 v90, 16, v90
	s_waitcnt lgkmcnt(0)
	v_xor_b32_e32 v101, 0x80000000, v98
	v_cndmask_b32_e32 v92, v118, v91, vcc
	v_cmp_gt_f64_e32 vcc, 0, v[119:120]
	v_mov_b32_e32 v91, v117
	v_cndmask_b32_e32 v100, v120, v99, vcc
	v_cmp_gt_f64_e32 vcc, 0, v[95:96]
	v_mov_b32_e32 v99, v119
	v_add_f64 v[91:92], v[91:92], v[99:100]
	v_xor_b32_e32 v99, 0x80000000, v96
	v_cndmask_b32_e32 v100, v96, v99, vcc
	v_cmp_gt_f64_e32 vcc, 0, v[97:98]
	v_mov_b32_e32 v99, v95
	v_cndmask_b32_e32 v102, v98, v101, vcc
	v_mov_b32_e32 v101, v97
	v_add_f64 v[99:100], v[99:100], v[101:102]
	v_cmp_lt_f64_e32 vcc, v[91:92], v[99:100]
	v_mov_b32_e32 v91, s0
	s_add_i32 s0, s0, 1
	s_cmp_lg_u32 s3, s0
	v_cndmask_b32_e32 v118, v118, v96, vcc
	v_cndmask_b32_e32 v117, v117, v95, vcc
	;; [unrolled: 1-line block ×5, first 2 shown]
	s_cbranch_scc1 .LBB104_904
.LBB104_905:
	s_waitcnt lgkmcnt(0)
	v_cmp_eq_f64_e32 vcc, 0, v[117:118]
	v_cmp_eq_f64_e64 s[0:1], 0, v[119:120]
	s_and_b64 s[0:1], vcc, s[0:1]
	s_and_saveexec_b64 s[18:19], s[0:1]
	s_xor_b64 s[0:1], exec, s[18:19]
; %bb.906:
	v_cmp_ne_u32_e32 vcc, 0, v94
	v_cndmask_b32_e32 v94, 44, v94, vcc
; %bb.907:
	s_andn2_saveexec_b64 s[0:1], s[0:1]
	s_cbranch_execz .LBB104_913
; %bb.908:
	v_cmp_ngt_f64_e64 s[18:19], |v[117:118]|, |v[119:120]|
	s_and_saveexec_b64 s[20:21], s[18:19]
	s_xor_b64 s[18:19], exec, s[20:21]
	s_cbranch_execz .LBB104_910
; %bb.909:
	v_div_scale_f64 v[90:91], s[20:21], v[119:120], v[119:120], v[117:118]
	v_rcp_f64_e32 v[95:96], v[90:91]
	v_fma_f64 v[97:98], -v[90:91], v[95:96], 1.0
	v_fma_f64 v[95:96], v[95:96], v[97:98], v[95:96]
	v_div_scale_f64 v[97:98], vcc, v[117:118], v[119:120], v[117:118]
	v_fma_f64 v[99:100], -v[90:91], v[95:96], 1.0
	v_fma_f64 v[95:96], v[95:96], v[99:100], v[95:96]
	v_mul_f64 v[99:100], v[97:98], v[95:96]
	v_fma_f64 v[90:91], -v[90:91], v[99:100], v[97:98]
	v_div_fmas_f64 v[90:91], v[90:91], v[95:96], v[99:100]
	v_div_fixup_f64 v[90:91], v[90:91], v[119:120], v[117:118]
	v_fma_f64 v[95:96], v[117:118], v[90:91], v[119:120]
	v_div_scale_f64 v[97:98], s[20:21], v[95:96], v[95:96], 1.0
	v_div_scale_f64 v[103:104], vcc, 1.0, v[95:96], 1.0
	v_rcp_f64_e32 v[99:100], v[97:98]
	v_fma_f64 v[101:102], -v[97:98], v[99:100], 1.0
	v_fma_f64 v[99:100], v[99:100], v[101:102], v[99:100]
	v_fma_f64 v[101:102], -v[97:98], v[99:100], 1.0
	v_fma_f64 v[99:100], v[99:100], v[101:102], v[99:100]
	v_mul_f64 v[101:102], v[103:104], v[99:100]
	v_fma_f64 v[97:98], -v[97:98], v[101:102], v[103:104]
	v_div_fmas_f64 v[97:98], v[97:98], v[99:100], v[101:102]
	v_div_fixup_f64 v[119:120], v[97:98], v[95:96], 1.0
	v_mul_f64 v[117:118], v[90:91], v[119:120]
	v_xor_b32_e32 v120, 0x80000000, v120
.LBB104_910:
	s_andn2_saveexec_b64 s[18:19], s[18:19]
	s_cbranch_execz .LBB104_912
; %bb.911:
	v_div_scale_f64 v[90:91], s[20:21], v[117:118], v[117:118], v[119:120]
	v_rcp_f64_e32 v[95:96], v[90:91]
	v_fma_f64 v[97:98], -v[90:91], v[95:96], 1.0
	v_fma_f64 v[95:96], v[95:96], v[97:98], v[95:96]
	v_div_scale_f64 v[97:98], vcc, v[119:120], v[117:118], v[119:120]
	v_fma_f64 v[99:100], -v[90:91], v[95:96], 1.0
	v_fma_f64 v[95:96], v[95:96], v[99:100], v[95:96]
	v_mul_f64 v[99:100], v[97:98], v[95:96]
	v_fma_f64 v[90:91], -v[90:91], v[99:100], v[97:98]
	v_div_fmas_f64 v[90:91], v[90:91], v[95:96], v[99:100]
	v_div_fixup_f64 v[90:91], v[90:91], v[117:118], v[119:120]
	v_fma_f64 v[95:96], v[119:120], v[90:91], v[117:118]
	v_div_scale_f64 v[97:98], s[20:21], v[95:96], v[95:96], 1.0
	v_div_scale_f64 v[103:104], vcc, 1.0, v[95:96], 1.0
	v_rcp_f64_e32 v[99:100], v[97:98]
	v_fma_f64 v[101:102], -v[97:98], v[99:100], 1.0
	v_fma_f64 v[99:100], v[99:100], v[101:102], v[99:100]
	v_fma_f64 v[101:102], -v[97:98], v[99:100], 1.0
	v_fma_f64 v[99:100], v[99:100], v[101:102], v[99:100]
	v_mul_f64 v[101:102], v[103:104], v[99:100]
	v_fma_f64 v[97:98], -v[97:98], v[101:102], v[103:104]
	v_div_fmas_f64 v[97:98], v[97:98], v[99:100], v[101:102]
	v_div_fixup_f64 v[117:118], v[97:98], v[95:96], 1.0
	v_mul_f64 v[119:120], v[90:91], -v[117:118]
.LBB104_912:
	s_or_b64 exec, exec, s[18:19]
.LBB104_913:
	s_or_b64 exec, exec, s[0:1]
	v_cmp_ne_u32_e32 vcc, v93, v89
	s_and_saveexec_b64 s[0:1], vcc
	s_xor_b64 s[0:1], exec, s[0:1]
	s_cbranch_execz .LBB104_919
; %bb.914:
	v_cmp_eq_u32_e32 vcc, 43, v93
	s_and_saveexec_b64 s[18:19], vcc
	s_cbranch_execz .LBB104_918
; %bb.915:
	v_cmp_ne_u32_e32 vcc, 43, v89
	s_xor_b64 s[20:21], s[6:7], -1
	s_and_b64 s[22:23], s[20:21], vcc
	s_and_saveexec_b64 s[20:21], s[22:23]
	s_cbranch_execz .LBB104_917
; %bb.916:
	buffer_load_dword v81, off, s[24:27], 0 offset:420 ; 4-byte Folded Reload
	buffer_load_dword v82, off, s[24:27], 0 offset:424 ; 4-byte Folded Reload
	v_ashrrev_i32_e32 v90, 31, v89
	v_lshlrev_b64 v[90:91], 2, v[89:90]
	s_waitcnt vmcnt(1)
	v_add_co_u32_e32 v90, vcc, v81, v90
	s_waitcnt vmcnt(0)
	v_addc_co_u32_e32 v91, vcc, v82, v91, vcc
	global_load_dword v92, v[90:91], off
	global_load_dword v93, v[81:82], off offset:172
	s_waitcnt vmcnt(1)
	global_store_dword v[81:82], v92, off offset:172
	v_mov_b32_e32 v81, v105
	v_mov_b32_e32 v82, v106
	;; [unrolled: 1-line block ×4, first 2 shown]
	s_waitcnt vmcnt(1)
	global_store_dword v[90:91], v93, off
.LBB104_917:
	s_or_b64 exec, exec, s[20:21]
	v_mov_b32_e32 v93, v89
	v_mov_b32_e32 v69, v89
	buffer_store_dword v69, off, s[24:27], 0 offset:352 ; 4-byte Folded Spill
.LBB104_918:
	s_or_b64 exec, exec, s[18:19]
.LBB104_919:
	s_andn2_saveexec_b64 s[0:1], s[0:1]
	s_cbranch_execz .LBB104_921
; %bb.920:
	v_mov_b32_e32 v93, 43
	ds_write2_b64 v0, v[29:30], v[31:32] offset0:88 offset1:89
	ds_write2_b64 v0, v[25:26], v[27:28] offset0:90 offset1:91
	;; [unrolled: 1-line block ×9, first 2 shown]
.LBB104_921:
	s_or_b64 exec, exec, s[0:1]
	v_cmp_lt_i32_e32 vcc, 43, v93
	s_waitcnt vmcnt(0) lgkmcnt(0)
	s_barrier
	s_and_saveexec_b64 s[0:1], vcc
	s_cbranch_execz .LBB104_923
; %bb.922:
	v_mul_f64 v[89:90], v[117:118], v[35:36]
	v_mul_f64 v[35:36], v[119:120], v[35:36]
	ds_read2_b64 v[95:98], v0 offset0:88 offset1:89
	v_fma_f64 v[89:90], v[119:120], v[33:34], v[89:90]
	v_fma_f64 v[33:34], v[117:118], v[33:34], -v[35:36]
	s_waitcnt lgkmcnt(0)
	v_mul_f64 v[35:36], v[97:98], v[89:90]
	v_mul_f64 v[91:92], v[95:96], v[89:90]
	v_fma_f64 v[35:36], v[95:96], v[33:34], -v[35:36]
	v_fma_f64 v[91:92], v[97:98], v[33:34], v[91:92]
	ds_read2_b64 v[95:98], v0 offset0:90 offset1:91
	v_add_f64 v[29:30], v[29:30], -v[35:36]
	v_add_f64 v[31:32], v[31:32], -v[91:92]
	s_waitcnt lgkmcnt(0)
	v_mul_f64 v[35:36], v[97:98], v[89:90]
	v_mul_f64 v[91:92], v[95:96], v[89:90]
	v_fma_f64 v[35:36], v[95:96], v[33:34], -v[35:36]
	v_fma_f64 v[91:92], v[97:98], v[33:34], v[91:92]
	ds_read2_b64 v[95:98], v0 offset0:92 offset1:93
	v_add_f64 v[25:26], v[25:26], -v[35:36]
	v_add_f64 v[27:28], v[27:28], -v[91:92]
	;; [unrolled: 8-line block ×8, first 2 shown]
	s_waitcnt lgkmcnt(0)
	v_mul_f64 v[35:36], v[97:98], v[89:90]
	v_mul_f64 v[91:92], v[95:96], v[89:90]
	v_fma_f64 v[35:36], v[95:96], v[33:34], -v[35:36]
	v_fma_f64 v[91:92], v[97:98], v[33:34], v[91:92]
	v_add_f64 v[121:122], v[121:122], -v[35:36]
	v_add_f64 v[123:124], v[123:124], -v[91:92]
	v_mov_b32_e32 v35, v89
	v_mov_b32_e32 v36, v90
.LBB104_923:
	s_or_b64 exec, exec, s[0:1]
	v_lshl_add_u32 v89, v93, 4, v0
	s_barrier
	ds_write2_b64 v89, v[29:30], v[31:32] offset1:1
	s_waitcnt lgkmcnt(0)
	s_barrier
	ds_read2_b64 v[117:120], v0 offset0:88 offset1:89
	s_cmp_lt_i32 s3, 46
	v_mov_b32_e32 v89, 44
	s_cbranch_scc1 .LBB104_926
; %bb.924:
	v_add_u32_e32 v90, 0x2d0, v0
	s_mov_b32 s0, 45
	v_mov_b32_e32 v89, 44
.LBB104_925:                            ; =>This Inner Loop Header: Depth=1
	s_waitcnt lgkmcnt(0)
	v_cmp_gt_f64_e32 vcc, 0, v[117:118]
	v_xor_b32_e32 v91, 0x80000000, v118
	ds_read2_b64 v[95:98], v90 offset1:1
	v_xor_b32_e32 v99, 0x80000000, v120
	v_add_u32_e32 v90, 16, v90
	s_waitcnt lgkmcnt(0)
	v_xor_b32_e32 v101, 0x80000000, v98
	v_cndmask_b32_e32 v92, v118, v91, vcc
	v_cmp_gt_f64_e32 vcc, 0, v[119:120]
	v_mov_b32_e32 v91, v117
	v_cndmask_b32_e32 v100, v120, v99, vcc
	v_cmp_gt_f64_e32 vcc, 0, v[95:96]
	v_mov_b32_e32 v99, v119
	v_add_f64 v[91:92], v[91:92], v[99:100]
	v_xor_b32_e32 v99, 0x80000000, v96
	v_cndmask_b32_e32 v100, v96, v99, vcc
	v_cmp_gt_f64_e32 vcc, 0, v[97:98]
	v_mov_b32_e32 v99, v95
	v_cndmask_b32_e32 v102, v98, v101, vcc
	v_mov_b32_e32 v101, v97
	v_add_f64 v[99:100], v[99:100], v[101:102]
	v_cmp_lt_f64_e32 vcc, v[91:92], v[99:100]
	v_mov_b32_e32 v91, s0
	s_add_i32 s0, s0, 1
	s_cmp_lg_u32 s3, s0
	v_cndmask_b32_e32 v118, v118, v96, vcc
	v_cndmask_b32_e32 v117, v117, v95, vcc
	v_cndmask_b32_e32 v120, v120, v98, vcc
	v_cndmask_b32_e32 v119, v119, v97, vcc
	v_cndmask_b32_e32 v89, v89, v91, vcc
	s_cbranch_scc1 .LBB104_925
.LBB104_926:
	s_waitcnt lgkmcnt(0)
	v_cmp_eq_f64_e32 vcc, 0, v[117:118]
	v_cmp_eq_f64_e64 s[0:1], 0, v[119:120]
	s_and_b64 s[0:1], vcc, s[0:1]
	s_and_saveexec_b64 s[18:19], s[0:1]
	s_xor_b64 s[0:1], exec, s[18:19]
; %bb.927:
	v_cmp_ne_u32_e32 vcc, 0, v94
	v_cndmask_b32_e32 v94, 45, v94, vcc
; %bb.928:
	s_andn2_saveexec_b64 s[0:1], s[0:1]
	s_cbranch_execz .LBB104_934
; %bb.929:
	v_cmp_ngt_f64_e64 s[18:19], |v[117:118]|, |v[119:120]|
	s_and_saveexec_b64 s[20:21], s[18:19]
	s_xor_b64 s[18:19], exec, s[20:21]
	s_cbranch_execz .LBB104_931
; %bb.930:
	v_div_scale_f64 v[90:91], s[20:21], v[119:120], v[119:120], v[117:118]
	v_rcp_f64_e32 v[95:96], v[90:91]
	v_fma_f64 v[97:98], -v[90:91], v[95:96], 1.0
	v_fma_f64 v[95:96], v[95:96], v[97:98], v[95:96]
	v_div_scale_f64 v[97:98], vcc, v[117:118], v[119:120], v[117:118]
	v_fma_f64 v[99:100], -v[90:91], v[95:96], 1.0
	v_fma_f64 v[95:96], v[95:96], v[99:100], v[95:96]
	v_mul_f64 v[99:100], v[97:98], v[95:96]
	v_fma_f64 v[90:91], -v[90:91], v[99:100], v[97:98]
	v_div_fmas_f64 v[90:91], v[90:91], v[95:96], v[99:100]
	v_div_fixup_f64 v[90:91], v[90:91], v[119:120], v[117:118]
	v_fma_f64 v[95:96], v[117:118], v[90:91], v[119:120]
	v_div_scale_f64 v[97:98], s[20:21], v[95:96], v[95:96], 1.0
	v_div_scale_f64 v[103:104], vcc, 1.0, v[95:96], 1.0
	v_rcp_f64_e32 v[99:100], v[97:98]
	v_fma_f64 v[101:102], -v[97:98], v[99:100], 1.0
	v_fma_f64 v[99:100], v[99:100], v[101:102], v[99:100]
	v_fma_f64 v[101:102], -v[97:98], v[99:100], 1.0
	v_fma_f64 v[99:100], v[99:100], v[101:102], v[99:100]
	v_mul_f64 v[101:102], v[103:104], v[99:100]
	v_fma_f64 v[97:98], -v[97:98], v[101:102], v[103:104]
	v_div_fmas_f64 v[97:98], v[97:98], v[99:100], v[101:102]
	v_div_fixup_f64 v[119:120], v[97:98], v[95:96], 1.0
	v_mul_f64 v[117:118], v[90:91], v[119:120]
	v_xor_b32_e32 v120, 0x80000000, v120
.LBB104_931:
	s_andn2_saveexec_b64 s[18:19], s[18:19]
	s_cbranch_execz .LBB104_933
; %bb.932:
	v_div_scale_f64 v[90:91], s[20:21], v[117:118], v[117:118], v[119:120]
	v_rcp_f64_e32 v[95:96], v[90:91]
	v_fma_f64 v[97:98], -v[90:91], v[95:96], 1.0
	v_fma_f64 v[95:96], v[95:96], v[97:98], v[95:96]
	v_div_scale_f64 v[97:98], vcc, v[119:120], v[117:118], v[119:120]
	v_fma_f64 v[99:100], -v[90:91], v[95:96], 1.0
	v_fma_f64 v[95:96], v[95:96], v[99:100], v[95:96]
	v_mul_f64 v[99:100], v[97:98], v[95:96]
	v_fma_f64 v[90:91], -v[90:91], v[99:100], v[97:98]
	v_div_fmas_f64 v[90:91], v[90:91], v[95:96], v[99:100]
	v_div_fixup_f64 v[90:91], v[90:91], v[117:118], v[119:120]
	v_fma_f64 v[95:96], v[119:120], v[90:91], v[117:118]
	v_div_scale_f64 v[97:98], s[20:21], v[95:96], v[95:96], 1.0
	v_div_scale_f64 v[103:104], vcc, 1.0, v[95:96], 1.0
	v_rcp_f64_e32 v[99:100], v[97:98]
	v_fma_f64 v[101:102], -v[97:98], v[99:100], 1.0
	v_fma_f64 v[99:100], v[99:100], v[101:102], v[99:100]
	v_fma_f64 v[101:102], -v[97:98], v[99:100], 1.0
	v_fma_f64 v[99:100], v[99:100], v[101:102], v[99:100]
	v_mul_f64 v[101:102], v[103:104], v[99:100]
	v_fma_f64 v[97:98], -v[97:98], v[101:102], v[103:104]
	v_div_fmas_f64 v[97:98], v[97:98], v[99:100], v[101:102]
	v_div_fixup_f64 v[117:118], v[97:98], v[95:96], 1.0
	v_mul_f64 v[119:120], v[90:91], -v[117:118]
.LBB104_933:
	s_or_b64 exec, exec, s[18:19]
.LBB104_934:
	s_or_b64 exec, exec, s[0:1]
	v_cmp_ne_u32_e32 vcc, v93, v89
	s_and_saveexec_b64 s[0:1], vcc
	s_xor_b64 s[0:1], exec, s[0:1]
	s_cbranch_execz .LBB104_940
; %bb.935:
	v_cmp_eq_u32_e32 vcc, 44, v93
	s_and_saveexec_b64 s[18:19], vcc
	s_cbranch_execz .LBB104_939
; %bb.936:
	v_cmp_ne_u32_e32 vcc, 44, v89
	s_xor_b64 s[20:21], s[6:7], -1
	s_and_b64 s[22:23], s[20:21], vcc
	s_and_saveexec_b64 s[20:21], s[22:23]
	s_cbranch_execz .LBB104_938
; %bb.937:
	buffer_load_dword v81, off, s[24:27], 0 offset:420 ; 4-byte Folded Reload
	buffer_load_dword v82, off, s[24:27], 0 offset:424 ; 4-byte Folded Reload
	v_ashrrev_i32_e32 v90, 31, v89
	v_lshlrev_b64 v[90:91], 2, v[89:90]
	s_waitcnt vmcnt(1)
	v_add_co_u32_e32 v90, vcc, v81, v90
	s_waitcnt vmcnt(0)
	v_addc_co_u32_e32 v91, vcc, v82, v91, vcc
	global_load_dword v92, v[90:91], off
	global_load_dword v93, v[81:82], off offset:176
	s_waitcnt vmcnt(1)
	global_store_dword v[81:82], v92, off offset:176
	v_mov_b32_e32 v81, v105
	v_mov_b32_e32 v82, v106
	;; [unrolled: 1-line block ×4, first 2 shown]
	s_waitcnt vmcnt(1)
	global_store_dword v[90:91], v93, off
.LBB104_938:
	s_or_b64 exec, exec, s[20:21]
	v_mov_b32_e32 v93, v89
	v_mov_b32_e32 v69, v89
	buffer_store_dword v69, off, s[24:27], 0 offset:352 ; 4-byte Folded Spill
.LBB104_939:
	s_or_b64 exec, exec, s[18:19]
.LBB104_940:
	s_andn2_saveexec_b64 s[0:1], s[0:1]
	s_cbranch_execz .LBB104_942
; %bb.941:
	v_mov_b32_e32 v93, 44
	ds_write2_b64 v0, v[25:26], v[27:28] offset0:90 offset1:91
	ds_write2_b64 v0, v[21:22], v[23:24] offset0:92 offset1:93
	;; [unrolled: 1-line block ×8, first 2 shown]
.LBB104_942:
	s_or_b64 exec, exec, s[0:1]
	v_cmp_lt_i32_e32 vcc, 44, v93
	s_waitcnt vmcnt(0) lgkmcnt(0)
	s_barrier
	s_and_saveexec_b64 s[0:1], vcc
	s_cbranch_execz .LBB104_944
; %bb.943:
	v_mul_f64 v[89:90], v[117:118], v[31:32]
	v_mul_f64 v[31:32], v[119:120], v[31:32]
	ds_read2_b64 v[95:98], v0 offset0:90 offset1:91
	v_fma_f64 v[89:90], v[119:120], v[29:30], v[89:90]
	v_fma_f64 v[29:30], v[117:118], v[29:30], -v[31:32]
	s_waitcnt lgkmcnt(0)
	v_mul_f64 v[31:32], v[97:98], v[89:90]
	v_mul_f64 v[91:92], v[95:96], v[89:90]
	v_fma_f64 v[31:32], v[95:96], v[29:30], -v[31:32]
	v_fma_f64 v[91:92], v[97:98], v[29:30], v[91:92]
	ds_read2_b64 v[95:98], v0 offset0:92 offset1:93
	v_add_f64 v[25:26], v[25:26], -v[31:32]
	v_add_f64 v[27:28], v[27:28], -v[91:92]
	s_waitcnt lgkmcnt(0)
	v_mul_f64 v[31:32], v[97:98], v[89:90]
	v_mul_f64 v[91:92], v[95:96], v[89:90]
	v_fma_f64 v[31:32], v[95:96], v[29:30], -v[31:32]
	v_fma_f64 v[91:92], v[97:98], v[29:30], v[91:92]
	ds_read2_b64 v[95:98], v0 offset0:94 offset1:95
	v_add_f64 v[21:22], v[21:22], -v[31:32]
	v_add_f64 v[23:24], v[23:24], -v[91:92]
	;; [unrolled: 8-line block ×7, first 2 shown]
	s_waitcnt lgkmcnt(0)
	v_mul_f64 v[31:32], v[97:98], v[89:90]
	v_mul_f64 v[91:92], v[95:96], v[89:90]
	v_fma_f64 v[31:32], v[95:96], v[29:30], -v[31:32]
	v_fma_f64 v[91:92], v[97:98], v[29:30], v[91:92]
	v_add_f64 v[121:122], v[121:122], -v[31:32]
	v_add_f64 v[123:124], v[123:124], -v[91:92]
	v_mov_b32_e32 v31, v89
	v_mov_b32_e32 v32, v90
.LBB104_944:
	s_or_b64 exec, exec, s[0:1]
	v_lshl_add_u32 v89, v93, 4, v0
	s_barrier
	ds_write2_b64 v89, v[25:26], v[27:28] offset1:1
	s_waitcnt lgkmcnt(0)
	s_barrier
	ds_read2_b64 v[117:120], v0 offset0:90 offset1:91
	s_cmp_lt_i32 s3, 47
	v_mov_b32_e32 v89, 45
	s_cbranch_scc1 .LBB104_947
; %bb.945:
	v_add_u32_e32 v90, 0x2e0, v0
	s_mov_b32 s0, 46
	v_mov_b32_e32 v89, 45
.LBB104_946:                            ; =>This Inner Loop Header: Depth=1
	s_waitcnt lgkmcnt(0)
	v_cmp_gt_f64_e32 vcc, 0, v[117:118]
	v_xor_b32_e32 v91, 0x80000000, v118
	ds_read2_b64 v[95:98], v90 offset1:1
	v_xor_b32_e32 v99, 0x80000000, v120
	v_add_u32_e32 v90, 16, v90
	s_waitcnt lgkmcnt(0)
	v_xor_b32_e32 v101, 0x80000000, v98
	v_cndmask_b32_e32 v92, v118, v91, vcc
	v_cmp_gt_f64_e32 vcc, 0, v[119:120]
	v_mov_b32_e32 v91, v117
	v_cndmask_b32_e32 v100, v120, v99, vcc
	v_cmp_gt_f64_e32 vcc, 0, v[95:96]
	v_mov_b32_e32 v99, v119
	v_add_f64 v[91:92], v[91:92], v[99:100]
	v_xor_b32_e32 v99, 0x80000000, v96
	v_cndmask_b32_e32 v100, v96, v99, vcc
	v_cmp_gt_f64_e32 vcc, 0, v[97:98]
	v_mov_b32_e32 v99, v95
	v_cndmask_b32_e32 v102, v98, v101, vcc
	v_mov_b32_e32 v101, v97
	v_add_f64 v[99:100], v[99:100], v[101:102]
	v_cmp_lt_f64_e32 vcc, v[91:92], v[99:100]
	v_mov_b32_e32 v91, s0
	s_add_i32 s0, s0, 1
	s_cmp_lg_u32 s3, s0
	v_cndmask_b32_e32 v118, v118, v96, vcc
	v_cndmask_b32_e32 v117, v117, v95, vcc
	;; [unrolled: 1-line block ×5, first 2 shown]
	s_cbranch_scc1 .LBB104_946
.LBB104_947:
	s_waitcnt lgkmcnt(0)
	v_cmp_eq_f64_e32 vcc, 0, v[117:118]
	v_cmp_eq_f64_e64 s[0:1], 0, v[119:120]
	s_and_b64 s[0:1], vcc, s[0:1]
	s_and_saveexec_b64 s[18:19], s[0:1]
	s_xor_b64 s[0:1], exec, s[18:19]
; %bb.948:
	v_cmp_ne_u32_e32 vcc, 0, v94
	v_cndmask_b32_e32 v94, 46, v94, vcc
; %bb.949:
	s_andn2_saveexec_b64 s[0:1], s[0:1]
	s_cbranch_execz .LBB104_955
; %bb.950:
	v_cmp_ngt_f64_e64 s[18:19], |v[117:118]|, |v[119:120]|
	s_and_saveexec_b64 s[20:21], s[18:19]
	s_xor_b64 s[18:19], exec, s[20:21]
	s_cbranch_execz .LBB104_952
; %bb.951:
	v_div_scale_f64 v[90:91], s[20:21], v[119:120], v[119:120], v[117:118]
	v_rcp_f64_e32 v[95:96], v[90:91]
	v_fma_f64 v[97:98], -v[90:91], v[95:96], 1.0
	v_fma_f64 v[95:96], v[95:96], v[97:98], v[95:96]
	v_div_scale_f64 v[97:98], vcc, v[117:118], v[119:120], v[117:118]
	v_fma_f64 v[99:100], -v[90:91], v[95:96], 1.0
	v_fma_f64 v[95:96], v[95:96], v[99:100], v[95:96]
	v_mul_f64 v[99:100], v[97:98], v[95:96]
	v_fma_f64 v[90:91], -v[90:91], v[99:100], v[97:98]
	v_div_fmas_f64 v[90:91], v[90:91], v[95:96], v[99:100]
	v_div_fixup_f64 v[90:91], v[90:91], v[119:120], v[117:118]
	v_fma_f64 v[95:96], v[117:118], v[90:91], v[119:120]
	v_div_scale_f64 v[97:98], s[20:21], v[95:96], v[95:96], 1.0
	v_div_scale_f64 v[103:104], vcc, 1.0, v[95:96], 1.0
	v_rcp_f64_e32 v[99:100], v[97:98]
	v_fma_f64 v[101:102], -v[97:98], v[99:100], 1.0
	v_fma_f64 v[99:100], v[99:100], v[101:102], v[99:100]
	v_fma_f64 v[101:102], -v[97:98], v[99:100], 1.0
	v_fma_f64 v[99:100], v[99:100], v[101:102], v[99:100]
	v_mul_f64 v[101:102], v[103:104], v[99:100]
	v_fma_f64 v[97:98], -v[97:98], v[101:102], v[103:104]
	v_div_fmas_f64 v[97:98], v[97:98], v[99:100], v[101:102]
	v_div_fixup_f64 v[119:120], v[97:98], v[95:96], 1.0
	v_mul_f64 v[117:118], v[90:91], v[119:120]
	v_xor_b32_e32 v120, 0x80000000, v120
.LBB104_952:
	s_andn2_saveexec_b64 s[18:19], s[18:19]
	s_cbranch_execz .LBB104_954
; %bb.953:
	v_div_scale_f64 v[90:91], s[20:21], v[117:118], v[117:118], v[119:120]
	v_rcp_f64_e32 v[95:96], v[90:91]
	v_fma_f64 v[97:98], -v[90:91], v[95:96], 1.0
	v_fma_f64 v[95:96], v[95:96], v[97:98], v[95:96]
	v_div_scale_f64 v[97:98], vcc, v[119:120], v[117:118], v[119:120]
	v_fma_f64 v[99:100], -v[90:91], v[95:96], 1.0
	v_fma_f64 v[95:96], v[95:96], v[99:100], v[95:96]
	v_mul_f64 v[99:100], v[97:98], v[95:96]
	v_fma_f64 v[90:91], -v[90:91], v[99:100], v[97:98]
	v_div_fmas_f64 v[90:91], v[90:91], v[95:96], v[99:100]
	v_div_fixup_f64 v[90:91], v[90:91], v[117:118], v[119:120]
	v_fma_f64 v[95:96], v[119:120], v[90:91], v[117:118]
	v_div_scale_f64 v[97:98], s[20:21], v[95:96], v[95:96], 1.0
	v_div_scale_f64 v[103:104], vcc, 1.0, v[95:96], 1.0
	v_rcp_f64_e32 v[99:100], v[97:98]
	v_fma_f64 v[101:102], -v[97:98], v[99:100], 1.0
	v_fma_f64 v[99:100], v[99:100], v[101:102], v[99:100]
	v_fma_f64 v[101:102], -v[97:98], v[99:100], 1.0
	v_fma_f64 v[99:100], v[99:100], v[101:102], v[99:100]
	v_mul_f64 v[101:102], v[103:104], v[99:100]
	v_fma_f64 v[97:98], -v[97:98], v[101:102], v[103:104]
	v_div_fmas_f64 v[97:98], v[97:98], v[99:100], v[101:102]
	v_div_fixup_f64 v[117:118], v[97:98], v[95:96], 1.0
	v_mul_f64 v[119:120], v[90:91], -v[117:118]
.LBB104_954:
	s_or_b64 exec, exec, s[18:19]
.LBB104_955:
	s_or_b64 exec, exec, s[0:1]
	v_cmp_ne_u32_e32 vcc, v93, v89
	s_and_saveexec_b64 s[0:1], vcc
	s_xor_b64 s[0:1], exec, s[0:1]
	s_cbranch_execz .LBB104_961
; %bb.956:
	v_cmp_eq_u32_e32 vcc, 45, v93
	s_and_saveexec_b64 s[18:19], vcc
	s_cbranch_execz .LBB104_960
; %bb.957:
	v_cmp_ne_u32_e32 vcc, 45, v89
	s_xor_b64 s[20:21], s[6:7], -1
	s_and_b64 s[22:23], s[20:21], vcc
	s_and_saveexec_b64 s[20:21], s[22:23]
	s_cbranch_execz .LBB104_959
; %bb.958:
	buffer_load_dword v81, off, s[24:27], 0 offset:420 ; 4-byte Folded Reload
	buffer_load_dword v82, off, s[24:27], 0 offset:424 ; 4-byte Folded Reload
	v_ashrrev_i32_e32 v90, 31, v89
	v_lshlrev_b64 v[90:91], 2, v[89:90]
	s_waitcnt vmcnt(1)
	v_add_co_u32_e32 v90, vcc, v81, v90
	s_waitcnt vmcnt(0)
	v_addc_co_u32_e32 v91, vcc, v82, v91, vcc
	global_load_dword v92, v[90:91], off
	global_load_dword v93, v[81:82], off offset:180
	s_waitcnt vmcnt(1)
	global_store_dword v[81:82], v92, off offset:180
	v_mov_b32_e32 v81, v105
	v_mov_b32_e32 v82, v106
	;; [unrolled: 1-line block ×4, first 2 shown]
	s_waitcnt vmcnt(1)
	global_store_dword v[90:91], v93, off
.LBB104_959:
	s_or_b64 exec, exec, s[20:21]
	v_mov_b32_e32 v93, v89
	v_mov_b32_e32 v69, v89
	buffer_store_dword v69, off, s[24:27], 0 offset:352 ; 4-byte Folded Spill
.LBB104_960:
	s_or_b64 exec, exec, s[18:19]
.LBB104_961:
	s_andn2_saveexec_b64 s[0:1], s[0:1]
	s_cbranch_execz .LBB104_963
; %bb.962:
	v_mov_b32_e32 v93, 45
	ds_write2_b64 v0, v[21:22], v[23:24] offset0:92 offset1:93
	ds_write2_b64 v0, v[17:18], v[19:20] offset0:94 offset1:95
	;; [unrolled: 1-line block ×7, first 2 shown]
.LBB104_963:
	s_or_b64 exec, exec, s[0:1]
	v_cmp_lt_i32_e32 vcc, 45, v93
	s_waitcnt vmcnt(0) lgkmcnt(0)
	s_barrier
	s_and_saveexec_b64 s[0:1], vcc
	s_cbranch_execz .LBB104_965
; %bb.964:
	v_mul_f64 v[89:90], v[117:118], v[27:28]
	v_mul_f64 v[27:28], v[119:120], v[27:28]
	ds_read2_b64 v[95:98], v0 offset0:92 offset1:93
	v_fma_f64 v[89:90], v[119:120], v[25:26], v[89:90]
	v_fma_f64 v[25:26], v[117:118], v[25:26], -v[27:28]
	s_waitcnt lgkmcnt(0)
	v_mul_f64 v[27:28], v[97:98], v[89:90]
	v_mul_f64 v[91:92], v[95:96], v[89:90]
	v_fma_f64 v[27:28], v[95:96], v[25:26], -v[27:28]
	v_fma_f64 v[91:92], v[97:98], v[25:26], v[91:92]
	ds_read2_b64 v[95:98], v0 offset0:94 offset1:95
	v_add_f64 v[21:22], v[21:22], -v[27:28]
	v_add_f64 v[23:24], v[23:24], -v[91:92]
	s_waitcnt lgkmcnt(0)
	v_mul_f64 v[27:28], v[97:98], v[89:90]
	v_mul_f64 v[91:92], v[95:96], v[89:90]
	v_fma_f64 v[27:28], v[95:96], v[25:26], -v[27:28]
	v_fma_f64 v[91:92], v[97:98], v[25:26], v[91:92]
	ds_read2_b64 v[95:98], v0 offset0:96 offset1:97
	v_add_f64 v[17:18], v[17:18], -v[27:28]
	v_add_f64 v[19:20], v[19:20], -v[91:92]
	;; [unrolled: 8-line block ×6, first 2 shown]
	s_waitcnt lgkmcnt(0)
	v_mul_f64 v[27:28], v[97:98], v[89:90]
	v_mul_f64 v[91:92], v[95:96], v[89:90]
	v_fma_f64 v[27:28], v[95:96], v[25:26], -v[27:28]
	v_fma_f64 v[91:92], v[97:98], v[25:26], v[91:92]
	v_add_f64 v[121:122], v[121:122], -v[27:28]
	v_add_f64 v[123:124], v[123:124], -v[91:92]
	v_mov_b32_e32 v27, v89
	v_mov_b32_e32 v28, v90
.LBB104_965:
	s_or_b64 exec, exec, s[0:1]
	v_lshl_add_u32 v89, v93, 4, v0
	s_barrier
	ds_write2_b64 v89, v[21:22], v[23:24] offset1:1
	s_waitcnt lgkmcnt(0)
	s_barrier
	ds_read2_b64 v[117:120], v0 offset0:92 offset1:93
	s_cmp_lt_i32 s3, 48
	v_mov_b32_e32 v89, 46
	s_cbranch_scc1 .LBB104_968
; %bb.966:
	v_add_u32_e32 v90, 0x2f0, v0
	s_mov_b32 s0, 47
	v_mov_b32_e32 v89, 46
.LBB104_967:                            ; =>This Inner Loop Header: Depth=1
	s_waitcnt lgkmcnt(0)
	v_cmp_gt_f64_e32 vcc, 0, v[117:118]
	v_xor_b32_e32 v91, 0x80000000, v118
	ds_read2_b64 v[95:98], v90 offset1:1
	v_xor_b32_e32 v99, 0x80000000, v120
	v_add_u32_e32 v90, 16, v90
	s_waitcnt lgkmcnt(0)
	v_xor_b32_e32 v101, 0x80000000, v98
	v_cndmask_b32_e32 v92, v118, v91, vcc
	v_cmp_gt_f64_e32 vcc, 0, v[119:120]
	v_mov_b32_e32 v91, v117
	v_cndmask_b32_e32 v100, v120, v99, vcc
	v_cmp_gt_f64_e32 vcc, 0, v[95:96]
	v_mov_b32_e32 v99, v119
	v_add_f64 v[91:92], v[91:92], v[99:100]
	v_xor_b32_e32 v99, 0x80000000, v96
	v_cndmask_b32_e32 v100, v96, v99, vcc
	v_cmp_gt_f64_e32 vcc, 0, v[97:98]
	v_mov_b32_e32 v99, v95
	v_cndmask_b32_e32 v102, v98, v101, vcc
	v_mov_b32_e32 v101, v97
	v_add_f64 v[99:100], v[99:100], v[101:102]
	v_cmp_lt_f64_e32 vcc, v[91:92], v[99:100]
	v_mov_b32_e32 v91, s0
	s_add_i32 s0, s0, 1
	s_cmp_lg_u32 s3, s0
	v_cndmask_b32_e32 v118, v118, v96, vcc
	v_cndmask_b32_e32 v117, v117, v95, vcc
	;; [unrolled: 1-line block ×5, first 2 shown]
	s_cbranch_scc1 .LBB104_967
.LBB104_968:
	s_waitcnt lgkmcnt(0)
	v_cmp_eq_f64_e32 vcc, 0, v[117:118]
	v_cmp_eq_f64_e64 s[0:1], 0, v[119:120]
	s_and_b64 s[0:1], vcc, s[0:1]
	s_and_saveexec_b64 s[18:19], s[0:1]
	s_xor_b64 s[0:1], exec, s[18:19]
; %bb.969:
	v_cmp_ne_u32_e32 vcc, 0, v94
	v_cndmask_b32_e32 v94, 47, v94, vcc
; %bb.970:
	s_andn2_saveexec_b64 s[0:1], s[0:1]
	s_cbranch_execz .LBB104_976
; %bb.971:
	v_cmp_ngt_f64_e64 s[18:19], |v[117:118]|, |v[119:120]|
	s_and_saveexec_b64 s[20:21], s[18:19]
	s_xor_b64 s[18:19], exec, s[20:21]
	s_cbranch_execz .LBB104_973
; %bb.972:
	v_div_scale_f64 v[90:91], s[20:21], v[119:120], v[119:120], v[117:118]
	v_rcp_f64_e32 v[95:96], v[90:91]
	v_fma_f64 v[97:98], -v[90:91], v[95:96], 1.0
	v_fma_f64 v[95:96], v[95:96], v[97:98], v[95:96]
	v_div_scale_f64 v[97:98], vcc, v[117:118], v[119:120], v[117:118]
	v_fma_f64 v[99:100], -v[90:91], v[95:96], 1.0
	v_fma_f64 v[95:96], v[95:96], v[99:100], v[95:96]
	v_mul_f64 v[99:100], v[97:98], v[95:96]
	v_fma_f64 v[90:91], -v[90:91], v[99:100], v[97:98]
	v_div_fmas_f64 v[90:91], v[90:91], v[95:96], v[99:100]
	v_div_fixup_f64 v[90:91], v[90:91], v[119:120], v[117:118]
	v_fma_f64 v[95:96], v[117:118], v[90:91], v[119:120]
	v_div_scale_f64 v[97:98], s[20:21], v[95:96], v[95:96], 1.0
	v_div_scale_f64 v[103:104], vcc, 1.0, v[95:96], 1.0
	v_rcp_f64_e32 v[99:100], v[97:98]
	v_fma_f64 v[101:102], -v[97:98], v[99:100], 1.0
	v_fma_f64 v[99:100], v[99:100], v[101:102], v[99:100]
	v_fma_f64 v[101:102], -v[97:98], v[99:100], 1.0
	v_fma_f64 v[99:100], v[99:100], v[101:102], v[99:100]
	v_mul_f64 v[101:102], v[103:104], v[99:100]
	v_fma_f64 v[97:98], -v[97:98], v[101:102], v[103:104]
	v_div_fmas_f64 v[97:98], v[97:98], v[99:100], v[101:102]
	v_div_fixup_f64 v[119:120], v[97:98], v[95:96], 1.0
	v_mul_f64 v[117:118], v[90:91], v[119:120]
	v_xor_b32_e32 v120, 0x80000000, v120
.LBB104_973:
	s_andn2_saveexec_b64 s[18:19], s[18:19]
	s_cbranch_execz .LBB104_975
; %bb.974:
	v_div_scale_f64 v[90:91], s[20:21], v[117:118], v[117:118], v[119:120]
	v_rcp_f64_e32 v[95:96], v[90:91]
	v_fma_f64 v[97:98], -v[90:91], v[95:96], 1.0
	v_fma_f64 v[95:96], v[95:96], v[97:98], v[95:96]
	v_div_scale_f64 v[97:98], vcc, v[119:120], v[117:118], v[119:120]
	v_fma_f64 v[99:100], -v[90:91], v[95:96], 1.0
	v_fma_f64 v[95:96], v[95:96], v[99:100], v[95:96]
	v_mul_f64 v[99:100], v[97:98], v[95:96]
	v_fma_f64 v[90:91], -v[90:91], v[99:100], v[97:98]
	v_div_fmas_f64 v[90:91], v[90:91], v[95:96], v[99:100]
	v_div_fixup_f64 v[90:91], v[90:91], v[117:118], v[119:120]
	v_fma_f64 v[95:96], v[119:120], v[90:91], v[117:118]
	v_div_scale_f64 v[97:98], s[20:21], v[95:96], v[95:96], 1.0
	v_div_scale_f64 v[103:104], vcc, 1.0, v[95:96], 1.0
	v_rcp_f64_e32 v[99:100], v[97:98]
	v_fma_f64 v[101:102], -v[97:98], v[99:100], 1.0
	v_fma_f64 v[99:100], v[99:100], v[101:102], v[99:100]
	v_fma_f64 v[101:102], -v[97:98], v[99:100], 1.0
	v_fma_f64 v[99:100], v[99:100], v[101:102], v[99:100]
	v_mul_f64 v[101:102], v[103:104], v[99:100]
	v_fma_f64 v[97:98], -v[97:98], v[101:102], v[103:104]
	v_div_fmas_f64 v[97:98], v[97:98], v[99:100], v[101:102]
	v_div_fixup_f64 v[117:118], v[97:98], v[95:96], 1.0
	v_mul_f64 v[119:120], v[90:91], -v[117:118]
.LBB104_975:
	s_or_b64 exec, exec, s[18:19]
.LBB104_976:
	s_or_b64 exec, exec, s[0:1]
	v_cmp_ne_u32_e32 vcc, v93, v89
	s_and_saveexec_b64 s[0:1], vcc
	s_xor_b64 s[0:1], exec, s[0:1]
	s_cbranch_execz .LBB104_982
; %bb.977:
	v_cmp_eq_u32_e32 vcc, 46, v93
	s_and_saveexec_b64 s[18:19], vcc
	s_cbranch_execz .LBB104_981
; %bb.978:
	v_cmp_ne_u32_e32 vcc, 46, v89
	s_xor_b64 s[20:21], s[6:7], -1
	s_and_b64 s[22:23], s[20:21], vcc
	s_and_saveexec_b64 s[20:21], s[22:23]
	s_cbranch_execz .LBB104_980
; %bb.979:
	buffer_load_dword v81, off, s[24:27], 0 offset:420 ; 4-byte Folded Reload
	buffer_load_dword v82, off, s[24:27], 0 offset:424 ; 4-byte Folded Reload
	v_ashrrev_i32_e32 v90, 31, v89
	v_lshlrev_b64 v[90:91], 2, v[89:90]
	s_waitcnt vmcnt(1)
	v_add_co_u32_e32 v90, vcc, v81, v90
	s_waitcnt vmcnt(0)
	v_addc_co_u32_e32 v91, vcc, v82, v91, vcc
	global_load_dword v92, v[90:91], off
	global_load_dword v93, v[81:82], off offset:184
	s_waitcnt vmcnt(1)
	global_store_dword v[81:82], v92, off offset:184
	v_mov_b32_e32 v81, v105
	v_mov_b32_e32 v82, v106
	;; [unrolled: 1-line block ×4, first 2 shown]
	s_waitcnt vmcnt(1)
	global_store_dword v[90:91], v93, off
.LBB104_980:
	s_or_b64 exec, exec, s[20:21]
	v_mov_b32_e32 v93, v89
	v_mov_b32_e32 v69, v89
	buffer_store_dword v69, off, s[24:27], 0 offset:352 ; 4-byte Folded Spill
.LBB104_981:
	s_or_b64 exec, exec, s[18:19]
.LBB104_982:
	s_andn2_saveexec_b64 s[0:1], s[0:1]
	s_cbranch_execz .LBB104_984
; %bb.983:
	v_mov_b32_e32 v93, 46
	ds_write2_b64 v0, v[17:18], v[19:20] offset0:94 offset1:95
	ds_write2_b64 v0, v[13:14], v[15:16] offset0:96 offset1:97
	;; [unrolled: 1-line block ×6, first 2 shown]
.LBB104_984:
	s_or_b64 exec, exec, s[0:1]
	v_cmp_lt_i32_e32 vcc, 46, v93
	s_waitcnt vmcnt(0) lgkmcnt(0)
	s_barrier
	s_and_saveexec_b64 s[0:1], vcc
	s_cbranch_execz .LBB104_986
; %bb.985:
	v_mul_f64 v[89:90], v[117:118], v[23:24]
	v_mul_f64 v[23:24], v[119:120], v[23:24]
	ds_read2_b64 v[95:98], v0 offset0:94 offset1:95
	v_fma_f64 v[89:90], v[119:120], v[21:22], v[89:90]
	v_fma_f64 v[21:22], v[117:118], v[21:22], -v[23:24]
	s_waitcnt lgkmcnt(0)
	v_mul_f64 v[23:24], v[97:98], v[89:90]
	v_mul_f64 v[91:92], v[95:96], v[89:90]
	v_fma_f64 v[23:24], v[95:96], v[21:22], -v[23:24]
	v_fma_f64 v[91:92], v[97:98], v[21:22], v[91:92]
	ds_read2_b64 v[95:98], v0 offset0:96 offset1:97
	v_add_f64 v[17:18], v[17:18], -v[23:24]
	v_add_f64 v[19:20], v[19:20], -v[91:92]
	s_waitcnt lgkmcnt(0)
	v_mul_f64 v[23:24], v[97:98], v[89:90]
	v_mul_f64 v[91:92], v[95:96], v[89:90]
	v_fma_f64 v[23:24], v[95:96], v[21:22], -v[23:24]
	v_fma_f64 v[91:92], v[97:98], v[21:22], v[91:92]
	ds_read2_b64 v[95:98], v0 offset0:98 offset1:99
	v_add_f64 v[13:14], v[13:14], -v[23:24]
	v_add_f64 v[15:16], v[15:16], -v[91:92]
	;; [unrolled: 8-line block ×5, first 2 shown]
	s_waitcnt lgkmcnt(0)
	v_mul_f64 v[23:24], v[97:98], v[89:90]
	v_mul_f64 v[91:92], v[95:96], v[89:90]
	v_fma_f64 v[23:24], v[95:96], v[21:22], -v[23:24]
	v_fma_f64 v[91:92], v[97:98], v[21:22], v[91:92]
	v_add_f64 v[121:122], v[121:122], -v[23:24]
	v_add_f64 v[123:124], v[123:124], -v[91:92]
	v_mov_b32_e32 v23, v89
	v_mov_b32_e32 v24, v90
.LBB104_986:
	s_or_b64 exec, exec, s[0:1]
	v_lshl_add_u32 v89, v93, 4, v0
	s_barrier
	ds_write2_b64 v89, v[17:18], v[19:20] offset1:1
	s_waitcnt lgkmcnt(0)
	s_barrier
	ds_read2_b64 v[117:120], v0 offset0:94 offset1:95
	s_cmp_lt_i32 s3, 49
	v_mov_b32_e32 v89, 47
	s_cbranch_scc1 .LBB104_989
; %bb.987:
	v_add_u32_e32 v90, 0x300, v0
	s_mov_b32 s0, 48
	v_mov_b32_e32 v89, 47
.LBB104_988:                            ; =>This Inner Loop Header: Depth=1
	s_waitcnt lgkmcnt(0)
	v_cmp_gt_f64_e32 vcc, 0, v[117:118]
	v_xor_b32_e32 v91, 0x80000000, v118
	ds_read2_b64 v[95:98], v90 offset1:1
	v_xor_b32_e32 v99, 0x80000000, v120
	v_add_u32_e32 v90, 16, v90
	s_waitcnt lgkmcnt(0)
	v_xor_b32_e32 v101, 0x80000000, v98
	v_cndmask_b32_e32 v92, v118, v91, vcc
	v_cmp_gt_f64_e32 vcc, 0, v[119:120]
	v_mov_b32_e32 v91, v117
	v_cndmask_b32_e32 v100, v120, v99, vcc
	v_cmp_gt_f64_e32 vcc, 0, v[95:96]
	v_mov_b32_e32 v99, v119
	v_add_f64 v[91:92], v[91:92], v[99:100]
	v_xor_b32_e32 v99, 0x80000000, v96
	v_cndmask_b32_e32 v100, v96, v99, vcc
	v_cmp_gt_f64_e32 vcc, 0, v[97:98]
	v_mov_b32_e32 v99, v95
	v_cndmask_b32_e32 v102, v98, v101, vcc
	v_mov_b32_e32 v101, v97
	v_add_f64 v[99:100], v[99:100], v[101:102]
	v_cmp_lt_f64_e32 vcc, v[91:92], v[99:100]
	v_mov_b32_e32 v91, s0
	s_add_i32 s0, s0, 1
	s_cmp_lg_u32 s3, s0
	v_cndmask_b32_e32 v118, v118, v96, vcc
	v_cndmask_b32_e32 v117, v117, v95, vcc
	;; [unrolled: 1-line block ×5, first 2 shown]
	s_cbranch_scc1 .LBB104_988
.LBB104_989:
	s_waitcnt lgkmcnt(0)
	v_cmp_eq_f64_e32 vcc, 0, v[117:118]
	v_cmp_eq_f64_e64 s[0:1], 0, v[119:120]
	s_and_b64 s[0:1], vcc, s[0:1]
	s_and_saveexec_b64 s[18:19], s[0:1]
	s_xor_b64 s[0:1], exec, s[18:19]
; %bb.990:
	v_cmp_ne_u32_e32 vcc, 0, v94
	v_cndmask_b32_e32 v94, 48, v94, vcc
; %bb.991:
	s_andn2_saveexec_b64 s[0:1], s[0:1]
	s_cbranch_execz .LBB104_997
; %bb.992:
	v_cmp_ngt_f64_e64 s[18:19], |v[117:118]|, |v[119:120]|
	s_and_saveexec_b64 s[20:21], s[18:19]
	s_xor_b64 s[18:19], exec, s[20:21]
	s_cbranch_execz .LBB104_994
; %bb.993:
	v_div_scale_f64 v[90:91], s[20:21], v[119:120], v[119:120], v[117:118]
	v_rcp_f64_e32 v[95:96], v[90:91]
	v_fma_f64 v[97:98], -v[90:91], v[95:96], 1.0
	v_fma_f64 v[95:96], v[95:96], v[97:98], v[95:96]
	v_div_scale_f64 v[97:98], vcc, v[117:118], v[119:120], v[117:118]
	v_fma_f64 v[99:100], -v[90:91], v[95:96], 1.0
	v_fma_f64 v[95:96], v[95:96], v[99:100], v[95:96]
	v_mul_f64 v[99:100], v[97:98], v[95:96]
	v_fma_f64 v[90:91], -v[90:91], v[99:100], v[97:98]
	v_div_fmas_f64 v[90:91], v[90:91], v[95:96], v[99:100]
	v_div_fixup_f64 v[90:91], v[90:91], v[119:120], v[117:118]
	v_fma_f64 v[95:96], v[117:118], v[90:91], v[119:120]
	v_div_scale_f64 v[97:98], s[20:21], v[95:96], v[95:96], 1.0
	v_div_scale_f64 v[103:104], vcc, 1.0, v[95:96], 1.0
	v_rcp_f64_e32 v[99:100], v[97:98]
	v_fma_f64 v[101:102], -v[97:98], v[99:100], 1.0
	v_fma_f64 v[99:100], v[99:100], v[101:102], v[99:100]
	v_fma_f64 v[101:102], -v[97:98], v[99:100], 1.0
	v_fma_f64 v[99:100], v[99:100], v[101:102], v[99:100]
	v_mul_f64 v[101:102], v[103:104], v[99:100]
	v_fma_f64 v[97:98], -v[97:98], v[101:102], v[103:104]
	v_div_fmas_f64 v[97:98], v[97:98], v[99:100], v[101:102]
	v_div_fixup_f64 v[119:120], v[97:98], v[95:96], 1.0
	v_mul_f64 v[117:118], v[90:91], v[119:120]
	v_xor_b32_e32 v120, 0x80000000, v120
.LBB104_994:
	s_andn2_saveexec_b64 s[18:19], s[18:19]
	s_cbranch_execz .LBB104_996
; %bb.995:
	v_div_scale_f64 v[90:91], s[20:21], v[117:118], v[117:118], v[119:120]
	v_rcp_f64_e32 v[95:96], v[90:91]
	v_fma_f64 v[97:98], -v[90:91], v[95:96], 1.0
	v_fma_f64 v[95:96], v[95:96], v[97:98], v[95:96]
	v_div_scale_f64 v[97:98], vcc, v[119:120], v[117:118], v[119:120]
	v_fma_f64 v[99:100], -v[90:91], v[95:96], 1.0
	v_fma_f64 v[95:96], v[95:96], v[99:100], v[95:96]
	v_mul_f64 v[99:100], v[97:98], v[95:96]
	v_fma_f64 v[90:91], -v[90:91], v[99:100], v[97:98]
	v_div_fmas_f64 v[90:91], v[90:91], v[95:96], v[99:100]
	v_div_fixup_f64 v[90:91], v[90:91], v[117:118], v[119:120]
	v_fma_f64 v[95:96], v[119:120], v[90:91], v[117:118]
	v_div_scale_f64 v[97:98], s[20:21], v[95:96], v[95:96], 1.0
	v_div_scale_f64 v[103:104], vcc, 1.0, v[95:96], 1.0
	v_rcp_f64_e32 v[99:100], v[97:98]
	v_fma_f64 v[101:102], -v[97:98], v[99:100], 1.0
	v_fma_f64 v[99:100], v[99:100], v[101:102], v[99:100]
	v_fma_f64 v[101:102], -v[97:98], v[99:100], 1.0
	v_fma_f64 v[99:100], v[99:100], v[101:102], v[99:100]
	v_mul_f64 v[101:102], v[103:104], v[99:100]
	v_fma_f64 v[97:98], -v[97:98], v[101:102], v[103:104]
	v_div_fmas_f64 v[97:98], v[97:98], v[99:100], v[101:102]
	v_div_fixup_f64 v[117:118], v[97:98], v[95:96], 1.0
	v_mul_f64 v[119:120], v[90:91], -v[117:118]
.LBB104_996:
	s_or_b64 exec, exec, s[18:19]
.LBB104_997:
	s_or_b64 exec, exec, s[0:1]
	v_cmp_ne_u32_e32 vcc, v93, v89
	s_and_saveexec_b64 s[0:1], vcc
	s_xor_b64 s[0:1], exec, s[0:1]
	s_cbranch_execz .LBB104_1003
; %bb.998:
	v_cmp_eq_u32_e32 vcc, 47, v93
	s_and_saveexec_b64 s[18:19], vcc
	s_cbranch_execz .LBB104_1002
; %bb.999:
	v_cmp_ne_u32_e32 vcc, 47, v89
	s_xor_b64 s[20:21], s[6:7], -1
	s_and_b64 s[22:23], s[20:21], vcc
	s_and_saveexec_b64 s[20:21], s[22:23]
	s_cbranch_execz .LBB104_1001
; %bb.1000:
	buffer_load_dword v81, off, s[24:27], 0 offset:420 ; 4-byte Folded Reload
	buffer_load_dword v82, off, s[24:27], 0 offset:424 ; 4-byte Folded Reload
	v_ashrrev_i32_e32 v90, 31, v89
	v_lshlrev_b64 v[90:91], 2, v[89:90]
	s_waitcnt vmcnt(1)
	v_add_co_u32_e32 v90, vcc, v81, v90
	s_waitcnt vmcnt(0)
	v_addc_co_u32_e32 v91, vcc, v82, v91, vcc
	global_load_dword v92, v[90:91], off
	global_load_dword v93, v[81:82], off offset:188
	s_waitcnt vmcnt(1)
	global_store_dword v[81:82], v92, off offset:188
	v_mov_b32_e32 v81, v105
	v_mov_b32_e32 v82, v106
	;; [unrolled: 1-line block ×4, first 2 shown]
	s_waitcnt vmcnt(1)
	global_store_dword v[90:91], v93, off
.LBB104_1001:
	s_or_b64 exec, exec, s[20:21]
	v_mov_b32_e32 v93, v89
	v_mov_b32_e32 v69, v89
	buffer_store_dword v69, off, s[24:27], 0 offset:352 ; 4-byte Folded Spill
.LBB104_1002:
	s_or_b64 exec, exec, s[18:19]
.LBB104_1003:
	s_andn2_saveexec_b64 s[0:1], s[0:1]
	s_cbranch_execz .LBB104_1005
; %bb.1004:
	v_mov_b32_e32 v93, 47
	ds_write2_b64 v0, v[13:14], v[15:16] offset0:96 offset1:97
	ds_write2_b64 v0, v[9:10], v[11:12] offset0:98 offset1:99
	;; [unrolled: 1-line block ×5, first 2 shown]
.LBB104_1005:
	s_or_b64 exec, exec, s[0:1]
	v_cmp_lt_i32_e32 vcc, 47, v93
	s_waitcnt vmcnt(0) lgkmcnt(0)
	s_barrier
	s_and_saveexec_b64 s[0:1], vcc
	s_cbranch_execz .LBB104_1007
; %bb.1006:
	v_mul_f64 v[89:90], v[117:118], v[19:20]
	v_mul_f64 v[19:20], v[119:120], v[19:20]
	v_fma_f64 v[95:96], v[119:120], v[17:18], v[89:90]
	ds_read2_b64 v[89:92], v0 offset0:96 offset1:97
	v_fma_f64 v[17:18], v[117:118], v[17:18], -v[19:20]
	s_waitcnt lgkmcnt(0)
	v_mul_f64 v[19:20], v[91:92], v[95:96]
	v_fma_f64 v[19:20], v[89:90], v[17:18], -v[19:20]
	v_mul_f64 v[89:90], v[89:90], v[95:96]
	v_add_f64 v[13:14], v[13:14], -v[19:20]
	v_fma_f64 v[89:90], v[91:92], v[17:18], v[89:90]
	v_add_f64 v[15:16], v[15:16], -v[89:90]
	ds_read2_b64 v[89:92], v0 offset0:98 offset1:99
	s_waitcnt lgkmcnt(0)
	v_mul_f64 v[19:20], v[91:92], v[95:96]
	v_fma_f64 v[19:20], v[89:90], v[17:18], -v[19:20]
	v_mul_f64 v[89:90], v[89:90], v[95:96]
	v_add_f64 v[9:10], v[9:10], -v[19:20]
	v_fma_f64 v[89:90], v[91:92], v[17:18], v[89:90]
	v_add_f64 v[11:12], v[11:12], -v[89:90]
	ds_read2_b64 v[89:92], v0 offset0:100 offset1:101
	;; [unrolled: 8-line block ×4, first 2 shown]
	s_waitcnt lgkmcnt(0)
	v_mul_f64 v[19:20], v[91:92], v[95:96]
	v_fma_f64 v[19:20], v[89:90], v[17:18], -v[19:20]
	v_mul_f64 v[89:90], v[89:90], v[95:96]
	v_add_f64 v[121:122], v[121:122], -v[19:20]
	v_fma_f64 v[89:90], v[91:92], v[17:18], v[89:90]
	v_mov_b32_e32 v19, v95
	v_mov_b32_e32 v20, v96
	v_add_f64 v[123:124], v[123:124], -v[89:90]
.LBB104_1007:
	s_or_b64 exec, exec, s[0:1]
	v_lshl_add_u32 v89, v93, 4, v0
	s_barrier
	ds_write2_b64 v89, v[13:14], v[15:16] offset1:1
	s_waitcnt lgkmcnt(0)
	s_barrier
	ds_read2_b64 v[117:120], v0 offset0:96 offset1:97
	s_cmp_lt_i32 s3, 50
	v_mov_b32_e32 v89, 48
	s_cbranch_scc1 .LBB104_1010
; %bb.1008:
	v_add_u32_e32 v90, 0x310, v0
	s_mov_b32 s0, 49
	v_mov_b32_e32 v89, 48
.LBB104_1009:                           ; =>This Inner Loop Header: Depth=1
	s_waitcnt lgkmcnt(0)
	v_cmp_gt_f64_e32 vcc, 0, v[117:118]
	v_xor_b32_e32 v91, 0x80000000, v118
	ds_read2_b64 v[95:98], v90 offset1:1
	v_xor_b32_e32 v99, 0x80000000, v120
	v_add_u32_e32 v90, 16, v90
	s_waitcnt lgkmcnt(0)
	v_xor_b32_e32 v101, 0x80000000, v98
	v_cndmask_b32_e32 v92, v118, v91, vcc
	v_cmp_gt_f64_e32 vcc, 0, v[119:120]
	v_mov_b32_e32 v91, v117
	v_cndmask_b32_e32 v100, v120, v99, vcc
	v_cmp_gt_f64_e32 vcc, 0, v[95:96]
	v_mov_b32_e32 v99, v119
	v_add_f64 v[91:92], v[91:92], v[99:100]
	v_xor_b32_e32 v99, 0x80000000, v96
	v_cndmask_b32_e32 v100, v96, v99, vcc
	v_cmp_gt_f64_e32 vcc, 0, v[97:98]
	v_mov_b32_e32 v99, v95
	v_cndmask_b32_e32 v102, v98, v101, vcc
	v_mov_b32_e32 v101, v97
	v_add_f64 v[99:100], v[99:100], v[101:102]
	v_cmp_lt_f64_e32 vcc, v[91:92], v[99:100]
	v_mov_b32_e32 v91, s0
	s_add_i32 s0, s0, 1
	s_cmp_lg_u32 s3, s0
	v_cndmask_b32_e32 v118, v118, v96, vcc
	v_cndmask_b32_e32 v117, v117, v95, vcc
	;; [unrolled: 1-line block ×5, first 2 shown]
	s_cbranch_scc1 .LBB104_1009
.LBB104_1010:
	s_waitcnt lgkmcnt(0)
	v_cmp_eq_f64_e32 vcc, 0, v[117:118]
	v_cmp_eq_f64_e64 s[0:1], 0, v[119:120]
	s_and_b64 s[0:1], vcc, s[0:1]
	s_and_saveexec_b64 s[18:19], s[0:1]
	s_xor_b64 s[0:1], exec, s[18:19]
; %bb.1011:
	v_cmp_ne_u32_e32 vcc, 0, v94
	v_cndmask_b32_e32 v94, 49, v94, vcc
; %bb.1012:
	s_andn2_saveexec_b64 s[0:1], s[0:1]
	s_cbranch_execz .LBB104_1018
; %bb.1013:
	v_cmp_ngt_f64_e64 s[18:19], |v[117:118]|, |v[119:120]|
	s_and_saveexec_b64 s[20:21], s[18:19]
	s_xor_b64 s[18:19], exec, s[20:21]
	s_cbranch_execz .LBB104_1015
; %bb.1014:
	v_div_scale_f64 v[90:91], s[20:21], v[119:120], v[119:120], v[117:118]
	v_rcp_f64_e32 v[95:96], v[90:91]
	v_fma_f64 v[97:98], -v[90:91], v[95:96], 1.0
	v_fma_f64 v[95:96], v[95:96], v[97:98], v[95:96]
	v_div_scale_f64 v[97:98], vcc, v[117:118], v[119:120], v[117:118]
	v_fma_f64 v[99:100], -v[90:91], v[95:96], 1.0
	v_fma_f64 v[95:96], v[95:96], v[99:100], v[95:96]
	v_mul_f64 v[99:100], v[97:98], v[95:96]
	v_fma_f64 v[90:91], -v[90:91], v[99:100], v[97:98]
	v_div_fmas_f64 v[90:91], v[90:91], v[95:96], v[99:100]
	v_div_fixup_f64 v[90:91], v[90:91], v[119:120], v[117:118]
	v_fma_f64 v[95:96], v[117:118], v[90:91], v[119:120]
	v_div_scale_f64 v[97:98], s[20:21], v[95:96], v[95:96], 1.0
	v_div_scale_f64 v[103:104], vcc, 1.0, v[95:96], 1.0
	v_rcp_f64_e32 v[99:100], v[97:98]
	v_fma_f64 v[101:102], -v[97:98], v[99:100], 1.0
	v_fma_f64 v[99:100], v[99:100], v[101:102], v[99:100]
	v_fma_f64 v[101:102], -v[97:98], v[99:100], 1.0
	v_fma_f64 v[99:100], v[99:100], v[101:102], v[99:100]
	v_mul_f64 v[101:102], v[103:104], v[99:100]
	v_fma_f64 v[97:98], -v[97:98], v[101:102], v[103:104]
	v_div_fmas_f64 v[97:98], v[97:98], v[99:100], v[101:102]
	v_div_fixup_f64 v[119:120], v[97:98], v[95:96], 1.0
	v_mul_f64 v[117:118], v[90:91], v[119:120]
	v_xor_b32_e32 v120, 0x80000000, v120
.LBB104_1015:
	s_andn2_saveexec_b64 s[18:19], s[18:19]
	s_cbranch_execz .LBB104_1017
; %bb.1016:
	v_div_scale_f64 v[90:91], s[20:21], v[117:118], v[117:118], v[119:120]
	v_rcp_f64_e32 v[95:96], v[90:91]
	v_fma_f64 v[97:98], -v[90:91], v[95:96], 1.0
	v_fma_f64 v[95:96], v[95:96], v[97:98], v[95:96]
	v_div_scale_f64 v[97:98], vcc, v[119:120], v[117:118], v[119:120]
	v_fma_f64 v[99:100], -v[90:91], v[95:96], 1.0
	v_fma_f64 v[95:96], v[95:96], v[99:100], v[95:96]
	v_mul_f64 v[99:100], v[97:98], v[95:96]
	v_fma_f64 v[90:91], -v[90:91], v[99:100], v[97:98]
	v_div_fmas_f64 v[90:91], v[90:91], v[95:96], v[99:100]
	v_div_fixup_f64 v[90:91], v[90:91], v[117:118], v[119:120]
	v_fma_f64 v[95:96], v[119:120], v[90:91], v[117:118]
	v_div_scale_f64 v[97:98], s[20:21], v[95:96], v[95:96], 1.0
	v_div_scale_f64 v[103:104], vcc, 1.0, v[95:96], 1.0
	v_rcp_f64_e32 v[99:100], v[97:98]
	v_fma_f64 v[101:102], -v[97:98], v[99:100], 1.0
	v_fma_f64 v[99:100], v[99:100], v[101:102], v[99:100]
	v_fma_f64 v[101:102], -v[97:98], v[99:100], 1.0
	v_fma_f64 v[99:100], v[99:100], v[101:102], v[99:100]
	v_mul_f64 v[101:102], v[103:104], v[99:100]
	v_fma_f64 v[97:98], -v[97:98], v[101:102], v[103:104]
	v_div_fmas_f64 v[97:98], v[97:98], v[99:100], v[101:102]
	v_div_fixup_f64 v[117:118], v[97:98], v[95:96], 1.0
	v_mul_f64 v[119:120], v[90:91], -v[117:118]
.LBB104_1017:
	s_or_b64 exec, exec, s[18:19]
.LBB104_1018:
	s_or_b64 exec, exec, s[0:1]
	v_cmp_ne_u32_e32 vcc, v93, v89
	s_and_saveexec_b64 s[0:1], vcc
	s_xor_b64 s[0:1], exec, s[0:1]
	s_cbranch_execz .LBB104_1024
; %bb.1019:
	v_cmp_eq_u32_e32 vcc, 48, v93
	s_and_saveexec_b64 s[18:19], vcc
	s_cbranch_execz .LBB104_1023
; %bb.1020:
	v_cmp_ne_u32_e32 vcc, 48, v89
	s_xor_b64 s[20:21], s[6:7], -1
	s_and_b64 s[22:23], s[20:21], vcc
	s_and_saveexec_b64 s[20:21], s[22:23]
	s_cbranch_execz .LBB104_1022
; %bb.1021:
	buffer_load_dword v81, off, s[24:27], 0 offset:420 ; 4-byte Folded Reload
	buffer_load_dword v82, off, s[24:27], 0 offset:424 ; 4-byte Folded Reload
	v_ashrrev_i32_e32 v90, 31, v89
	v_lshlrev_b64 v[90:91], 2, v[89:90]
	s_waitcnt vmcnt(1)
	v_add_co_u32_e32 v90, vcc, v81, v90
	s_waitcnt vmcnt(0)
	v_addc_co_u32_e32 v91, vcc, v82, v91, vcc
	global_load_dword v92, v[90:91], off
	global_load_dword v93, v[81:82], off offset:192
	s_waitcnt vmcnt(1)
	global_store_dword v[81:82], v92, off offset:192
	v_mov_b32_e32 v81, v105
	v_mov_b32_e32 v82, v106
	;; [unrolled: 1-line block ×4, first 2 shown]
	s_waitcnt vmcnt(1)
	global_store_dword v[90:91], v93, off
.LBB104_1022:
	s_or_b64 exec, exec, s[20:21]
	v_mov_b32_e32 v93, v89
	v_mov_b32_e32 v69, v89
	buffer_store_dword v69, off, s[24:27], 0 offset:352 ; 4-byte Folded Spill
.LBB104_1023:
	s_or_b64 exec, exec, s[18:19]
.LBB104_1024:
	s_andn2_saveexec_b64 s[0:1], s[0:1]
	s_cbranch_execz .LBB104_1026
; %bb.1025:
	v_mov_b32_e32 v93, 48
	ds_write2_b64 v0, v[9:10], v[11:12] offset0:98 offset1:99
	ds_write2_b64 v0, v[5:6], v[7:8] offset0:100 offset1:101
	ds_write2_b64 v0, v[1:2], v[3:4] offset0:102 offset1:103
	ds_write2_b64 v0, v[121:122], v[123:124] offset0:104 offset1:105
.LBB104_1026:
	s_or_b64 exec, exec, s[0:1]
	v_cmp_lt_i32_e32 vcc, 48, v93
	s_waitcnt vmcnt(0) lgkmcnt(0)
	s_barrier
	s_and_saveexec_b64 s[0:1], vcc
	s_cbranch_execz .LBB104_1028
; %bb.1027:
	v_mul_f64 v[89:90], v[117:118], v[15:16]
	v_mul_f64 v[15:16], v[119:120], v[15:16]
	v_fma_f64 v[95:96], v[119:120], v[13:14], v[89:90]
	ds_read2_b64 v[89:92], v0 offset0:98 offset1:99
	v_fma_f64 v[13:14], v[117:118], v[13:14], -v[15:16]
	s_waitcnt lgkmcnt(0)
	v_mul_f64 v[15:16], v[91:92], v[95:96]
	v_fma_f64 v[15:16], v[89:90], v[13:14], -v[15:16]
	v_mul_f64 v[89:90], v[89:90], v[95:96]
	v_add_f64 v[9:10], v[9:10], -v[15:16]
	v_fma_f64 v[89:90], v[91:92], v[13:14], v[89:90]
	v_add_f64 v[11:12], v[11:12], -v[89:90]
	ds_read2_b64 v[89:92], v0 offset0:100 offset1:101
	s_waitcnt lgkmcnt(0)
	v_mul_f64 v[15:16], v[91:92], v[95:96]
	v_fma_f64 v[15:16], v[89:90], v[13:14], -v[15:16]
	v_mul_f64 v[89:90], v[89:90], v[95:96]
	v_add_f64 v[5:6], v[5:6], -v[15:16]
	v_fma_f64 v[89:90], v[91:92], v[13:14], v[89:90]
	v_add_f64 v[7:8], v[7:8], -v[89:90]
	ds_read2_b64 v[89:92], v0 offset0:102 offset1:103
	;; [unrolled: 8-line block ×3, first 2 shown]
	s_waitcnt lgkmcnt(0)
	v_mul_f64 v[15:16], v[91:92], v[95:96]
	v_fma_f64 v[15:16], v[89:90], v[13:14], -v[15:16]
	v_mul_f64 v[89:90], v[89:90], v[95:96]
	v_add_f64 v[121:122], v[121:122], -v[15:16]
	v_fma_f64 v[89:90], v[91:92], v[13:14], v[89:90]
	v_mov_b32_e32 v15, v95
	v_mov_b32_e32 v16, v96
	v_add_f64 v[123:124], v[123:124], -v[89:90]
.LBB104_1028:
	s_or_b64 exec, exec, s[0:1]
	v_lshl_add_u32 v89, v93, 4, v0
	s_barrier
	ds_write2_b64 v89, v[9:10], v[11:12] offset1:1
	s_waitcnt lgkmcnt(0)
	s_barrier
	ds_read2_b64 v[117:120], v0 offset0:98 offset1:99
	s_cmp_lt_i32 s3, 51
	v_mov_b32_e32 v89, 49
	s_cbranch_scc1 .LBB104_1031
; %bb.1029:
	v_add_u32_e32 v90, 0x320, v0
	s_mov_b32 s0, 50
	v_mov_b32_e32 v89, 49
.LBB104_1030:                           ; =>This Inner Loop Header: Depth=1
	s_waitcnt lgkmcnt(0)
	v_cmp_gt_f64_e32 vcc, 0, v[117:118]
	v_xor_b32_e32 v91, 0x80000000, v118
	ds_read2_b64 v[95:98], v90 offset1:1
	v_xor_b32_e32 v99, 0x80000000, v120
	v_add_u32_e32 v90, 16, v90
	s_waitcnt lgkmcnt(0)
	v_xor_b32_e32 v101, 0x80000000, v98
	v_cndmask_b32_e32 v92, v118, v91, vcc
	v_cmp_gt_f64_e32 vcc, 0, v[119:120]
	v_mov_b32_e32 v91, v117
	v_cndmask_b32_e32 v100, v120, v99, vcc
	v_cmp_gt_f64_e32 vcc, 0, v[95:96]
	v_mov_b32_e32 v99, v119
	v_add_f64 v[91:92], v[91:92], v[99:100]
	v_xor_b32_e32 v99, 0x80000000, v96
	v_cndmask_b32_e32 v100, v96, v99, vcc
	v_cmp_gt_f64_e32 vcc, 0, v[97:98]
	v_mov_b32_e32 v99, v95
	v_cndmask_b32_e32 v102, v98, v101, vcc
	v_mov_b32_e32 v101, v97
	v_add_f64 v[99:100], v[99:100], v[101:102]
	v_cmp_lt_f64_e32 vcc, v[91:92], v[99:100]
	v_mov_b32_e32 v91, s0
	s_add_i32 s0, s0, 1
	s_cmp_lg_u32 s3, s0
	v_cndmask_b32_e32 v118, v118, v96, vcc
	v_cndmask_b32_e32 v117, v117, v95, vcc
	;; [unrolled: 1-line block ×5, first 2 shown]
	s_cbranch_scc1 .LBB104_1030
.LBB104_1031:
	s_waitcnt lgkmcnt(0)
	v_cmp_eq_f64_e32 vcc, 0, v[117:118]
	v_cmp_eq_f64_e64 s[0:1], 0, v[119:120]
	s_and_b64 s[0:1], vcc, s[0:1]
	s_and_saveexec_b64 s[18:19], s[0:1]
	s_xor_b64 s[0:1], exec, s[18:19]
; %bb.1032:
	v_cmp_ne_u32_e32 vcc, 0, v94
	v_cndmask_b32_e32 v94, 50, v94, vcc
; %bb.1033:
	s_andn2_saveexec_b64 s[0:1], s[0:1]
	s_cbranch_execz .LBB104_1039
; %bb.1034:
	v_cmp_ngt_f64_e64 s[18:19], |v[117:118]|, |v[119:120]|
	s_and_saveexec_b64 s[20:21], s[18:19]
	s_xor_b64 s[18:19], exec, s[20:21]
	s_cbranch_execz .LBB104_1036
; %bb.1035:
	v_div_scale_f64 v[90:91], s[20:21], v[119:120], v[119:120], v[117:118]
	v_rcp_f64_e32 v[95:96], v[90:91]
	v_fma_f64 v[97:98], -v[90:91], v[95:96], 1.0
	v_fma_f64 v[95:96], v[95:96], v[97:98], v[95:96]
	v_div_scale_f64 v[97:98], vcc, v[117:118], v[119:120], v[117:118]
	v_fma_f64 v[99:100], -v[90:91], v[95:96], 1.0
	v_fma_f64 v[95:96], v[95:96], v[99:100], v[95:96]
	v_mul_f64 v[99:100], v[97:98], v[95:96]
	v_fma_f64 v[90:91], -v[90:91], v[99:100], v[97:98]
	v_div_fmas_f64 v[90:91], v[90:91], v[95:96], v[99:100]
	v_div_fixup_f64 v[90:91], v[90:91], v[119:120], v[117:118]
	v_fma_f64 v[95:96], v[117:118], v[90:91], v[119:120]
	v_div_scale_f64 v[97:98], s[20:21], v[95:96], v[95:96], 1.0
	v_div_scale_f64 v[103:104], vcc, 1.0, v[95:96], 1.0
	v_rcp_f64_e32 v[99:100], v[97:98]
	v_fma_f64 v[101:102], -v[97:98], v[99:100], 1.0
	v_fma_f64 v[99:100], v[99:100], v[101:102], v[99:100]
	v_fma_f64 v[101:102], -v[97:98], v[99:100], 1.0
	v_fma_f64 v[99:100], v[99:100], v[101:102], v[99:100]
	v_mul_f64 v[101:102], v[103:104], v[99:100]
	v_fma_f64 v[97:98], -v[97:98], v[101:102], v[103:104]
	v_div_fmas_f64 v[97:98], v[97:98], v[99:100], v[101:102]
	v_div_fixup_f64 v[119:120], v[97:98], v[95:96], 1.0
	v_mul_f64 v[117:118], v[90:91], v[119:120]
	v_xor_b32_e32 v120, 0x80000000, v120
.LBB104_1036:
	s_andn2_saveexec_b64 s[18:19], s[18:19]
	s_cbranch_execz .LBB104_1038
; %bb.1037:
	v_div_scale_f64 v[90:91], s[20:21], v[117:118], v[117:118], v[119:120]
	v_rcp_f64_e32 v[95:96], v[90:91]
	v_fma_f64 v[97:98], -v[90:91], v[95:96], 1.0
	v_fma_f64 v[95:96], v[95:96], v[97:98], v[95:96]
	v_div_scale_f64 v[97:98], vcc, v[119:120], v[117:118], v[119:120]
	v_fma_f64 v[99:100], -v[90:91], v[95:96], 1.0
	v_fma_f64 v[95:96], v[95:96], v[99:100], v[95:96]
	v_mul_f64 v[99:100], v[97:98], v[95:96]
	v_fma_f64 v[90:91], -v[90:91], v[99:100], v[97:98]
	v_div_fmas_f64 v[90:91], v[90:91], v[95:96], v[99:100]
	v_div_fixup_f64 v[90:91], v[90:91], v[117:118], v[119:120]
	v_fma_f64 v[95:96], v[119:120], v[90:91], v[117:118]
	v_div_scale_f64 v[97:98], s[20:21], v[95:96], v[95:96], 1.0
	v_div_scale_f64 v[103:104], vcc, 1.0, v[95:96], 1.0
	v_rcp_f64_e32 v[99:100], v[97:98]
	v_fma_f64 v[101:102], -v[97:98], v[99:100], 1.0
	v_fma_f64 v[99:100], v[99:100], v[101:102], v[99:100]
	v_fma_f64 v[101:102], -v[97:98], v[99:100], 1.0
	v_fma_f64 v[99:100], v[99:100], v[101:102], v[99:100]
	v_mul_f64 v[101:102], v[103:104], v[99:100]
	v_fma_f64 v[97:98], -v[97:98], v[101:102], v[103:104]
	v_div_fmas_f64 v[97:98], v[97:98], v[99:100], v[101:102]
	v_div_fixup_f64 v[117:118], v[97:98], v[95:96], 1.0
	v_mul_f64 v[119:120], v[90:91], -v[117:118]
.LBB104_1038:
	s_or_b64 exec, exec, s[18:19]
.LBB104_1039:
	s_or_b64 exec, exec, s[0:1]
	v_cmp_ne_u32_e32 vcc, v93, v89
	s_and_saveexec_b64 s[0:1], vcc
	s_xor_b64 s[0:1], exec, s[0:1]
	s_cbranch_execz .LBB104_1045
; %bb.1040:
	v_cmp_eq_u32_e32 vcc, 49, v93
	s_and_saveexec_b64 s[18:19], vcc
	s_cbranch_execz .LBB104_1044
; %bb.1041:
	v_cmp_ne_u32_e32 vcc, 49, v89
	s_xor_b64 s[20:21], s[6:7], -1
	s_and_b64 s[22:23], s[20:21], vcc
	s_and_saveexec_b64 s[20:21], s[22:23]
	s_cbranch_execz .LBB104_1043
; %bb.1042:
	buffer_load_dword v81, off, s[24:27], 0 offset:420 ; 4-byte Folded Reload
	buffer_load_dword v82, off, s[24:27], 0 offset:424 ; 4-byte Folded Reload
	v_ashrrev_i32_e32 v90, 31, v89
	v_lshlrev_b64 v[90:91], 2, v[89:90]
	s_waitcnt vmcnt(1)
	v_add_co_u32_e32 v90, vcc, v81, v90
	s_waitcnt vmcnt(0)
	v_addc_co_u32_e32 v91, vcc, v82, v91, vcc
	global_load_dword v92, v[90:91], off
	global_load_dword v93, v[81:82], off offset:196
	s_waitcnt vmcnt(1)
	global_store_dword v[81:82], v92, off offset:196
	v_mov_b32_e32 v81, v105
	v_mov_b32_e32 v82, v106
	;; [unrolled: 1-line block ×4, first 2 shown]
	s_waitcnt vmcnt(1)
	global_store_dword v[90:91], v93, off
.LBB104_1043:
	s_or_b64 exec, exec, s[20:21]
	v_mov_b32_e32 v93, v89
	v_mov_b32_e32 v69, v89
	buffer_store_dword v69, off, s[24:27], 0 offset:352 ; 4-byte Folded Spill
.LBB104_1044:
	s_or_b64 exec, exec, s[18:19]
.LBB104_1045:
	s_andn2_saveexec_b64 s[0:1], s[0:1]
	s_cbranch_execz .LBB104_1047
; %bb.1046:
	v_mov_b32_e32 v93, 49
	ds_write2_b64 v0, v[5:6], v[7:8] offset0:100 offset1:101
	ds_write2_b64 v0, v[1:2], v[3:4] offset0:102 offset1:103
	;; [unrolled: 1-line block ×3, first 2 shown]
.LBB104_1047:
	s_or_b64 exec, exec, s[0:1]
	v_cmp_lt_i32_e32 vcc, 49, v93
	s_waitcnt vmcnt(0) lgkmcnt(0)
	s_barrier
	s_and_saveexec_b64 s[0:1], vcc
	s_cbranch_execz .LBB104_1049
; %bb.1048:
	v_mul_f64 v[89:90], v[117:118], v[11:12]
	v_mul_f64 v[11:12], v[119:120], v[11:12]
	v_fma_f64 v[95:96], v[119:120], v[9:10], v[89:90]
	ds_read2_b64 v[89:92], v0 offset0:100 offset1:101
	v_fma_f64 v[9:10], v[117:118], v[9:10], -v[11:12]
	s_waitcnt lgkmcnt(0)
	v_mul_f64 v[11:12], v[91:92], v[95:96]
	v_fma_f64 v[11:12], v[89:90], v[9:10], -v[11:12]
	v_mul_f64 v[89:90], v[89:90], v[95:96]
	v_add_f64 v[5:6], v[5:6], -v[11:12]
	v_fma_f64 v[89:90], v[91:92], v[9:10], v[89:90]
	v_add_f64 v[7:8], v[7:8], -v[89:90]
	ds_read2_b64 v[89:92], v0 offset0:102 offset1:103
	s_waitcnt lgkmcnt(0)
	v_mul_f64 v[11:12], v[91:92], v[95:96]
	v_fma_f64 v[11:12], v[89:90], v[9:10], -v[11:12]
	v_mul_f64 v[89:90], v[89:90], v[95:96]
	v_add_f64 v[1:2], v[1:2], -v[11:12]
	v_fma_f64 v[89:90], v[91:92], v[9:10], v[89:90]
	v_add_f64 v[3:4], v[3:4], -v[89:90]
	ds_read2_b64 v[89:92], v0 offset0:104 offset1:105
	s_waitcnt lgkmcnt(0)
	v_mul_f64 v[11:12], v[91:92], v[95:96]
	v_fma_f64 v[11:12], v[89:90], v[9:10], -v[11:12]
	v_mul_f64 v[89:90], v[89:90], v[95:96]
	v_add_f64 v[121:122], v[121:122], -v[11:12]
	v_fma_f64 v[89:90], v[91:92], v[9:10], v[89:90]
	v_mov_b32_e32 v11, v95
	v_mov_b32_e32 v12, v96
	v_add_f64 v[123:124], v[123:124], -v[89:90]
.LBB104_1049:
	s_or_b64 exec, exec, s[0:1]
	v_lshl_add_u32 v89, v93, 4, v0
	s_barrier
	ds_write2_b64 v89, v[5:6], v[7:8] offset1:1
	s_waitcnt lgkmcnt(0)
	s_barrier
	ds_read2_b64 v[117:120], v0 offset0:100 offset1:101
	s_cmp_lt_i32 s3, 52
	v_mov_b32_e32 v89, 50
	s_cbranch_scc1 .LBB104_1052
; %bb.1050:
	v_add_u32_e32 v90, 0x330, v0
	s_mov_b32 s0, 51
	v_mov_b32_e32 v89, 50
.LBB104_1051:                           ; =>This Inner Loop Header: Depth=1
	s_waitcnt lgkmcnt(0)
	v_cmp_gt_f64_e32 vcc, 0, v[117:118]
	v_xor_b32_e32 v91, 0x80000000, v118
	ds_read2_b64 v[95:98], v90 offset1:1
	v_xor_b32_e32 v99, 0x80000000, v120
	v_add_u32_e32 v90, 16, v90
	s_waitcnt lgkmcnt(0)
	v_xor_b32_e32 v101, 0x80000000, v98
	v_cndmask_b32_e32 v92, v118, v91, vcc
	v_cmp_gt_f64_e32 vcc, 0, v[119:120]
	v_mov_b32_e32 v91, v117
	v_cndmask_b32_e32 v100, v120, v99, vcc
	v_cmp_gt_f64_e32 vcc, 0, v[95:96]
	v_mov_b32_e32 v99, v119
	v_add_f64 v[91:92], v[91:92], v[99:100]
	v_xor_b32_e32 v99, 0x80000000, v96
	v_cndmask_b32_e32 v100, v96, v99, vcc
	v_cmp_gt_f64_e32 vcc, 0, v[97:98]
	v_mov_b32_e32 v99, v95
	v_cndmask_b32_e32 v102, v98, v101, vcc
	v_mov_b32_e32 v101, v97
	v_add_f64 v[99:100], v[99:100], v[101:102]
	v_cmp_lt_f64_e32 vcc, v[91:92], v[99:100]
	v_mov_b32_e32 v91, s0
	s_add_i32 s0, s0, 1
	s_cmp_lg_u32 s3, s0
	v_cndmask_b32_e32 v118, v118, v96, vcc
	v_cndmask_b32_e32 v117, v117, v95, vcc
	v_cndmask_b32_e32 v120, v120, v98, vcc
	v_cndmask_b32_e32 v119, v119, v97, vcc
	v_cndmask_b32_e32 v89, v89, v91, vcc
	s_cbranch_scc1 .LBB104_1051
.LBB104_1052:
	s_waitcnt lgkmcnt(0)
	v_cmp_eq_f64_e32 vcc, 0, v[117:118]
	v_cmp_eq_f64_e64 s[0:1], 0, v[119:120]
	s_and_b64 s[0:1], vcc, s[0:1]
	s_and_saveexec_b64 s[18:19], s[0:1]
	s_xor_b64 s[0:1], exec, s[18:19]
; %bb.1053:
	v_cmp_ne_u32_e32 vcc, 0, v94
	v_cndmask_b32_e32 v94, 51, v94, vcc
; %bb.1054:
	s_andn2_saveexec_b64 s[0:1], s[0:1]
	s_cbranch_execz .LBB104_1060
; %bb.1055:
	v_cmp_ngt_f64_e64 s[18:19], |v[117:118]|, |v[119:120]|
	s_and_saveexec_b64 s[20:21], s[18:19]
	s_xor_b64 s[18:19], exec, s[20:21]
	s_cbranch_execz .LBB104_1057
; %bb.1056:
	v_div_scale_f64 v[90:91], s[20:21], v[119:120], v[119:120], v[117:118]
	v_rcp_f64_e32 v[95:96], v[90:91]
	v_fma_f64 v[97:98], -v[90:91], v[95:96], 1.0
	v_fma_f64 v[95:96], v[95:96], v[97:98], v[95:96]
	v_div_scale_f64 v[97:98], vcc, v[117:118], v[119:120], v[117:118]
	v_fma_f64 v[99:100], -v[90:91], v[95:96], 1.0
	v_fma_f64 v[95:96], v[95:96], v[99:100], v[95:96]
	v_mul_f64 v[99:100], v[97:98], v[95:96]
	v_fma_f64 v[90:91], -v[90:91], v[99:100], v[97:98]
	v_div_fmas_f64 v[90:91], v[90:91], v[95:96], v[99:100]
	v_div_fixup_f64 v[90:91], v[90:91], v[119:120], v[117:118]
	v_fma_f64 v[95:96], v[117:118], v[90:91], v[119:120]
	v_div_scale_f64 v[97:98], s[20:21], v[95:96], v[95:96], 1.0
	v_div_scale_f64 v[103:104], vcc, 1.0, v[95:96], 1.0
	v_rcp_f64_e32 v[99:100], v[97:98]
	v_fma_f64 v[101:102], -v[97:98], v[99:100], 1.0
	v_fma_f64 v[99:100], v[99:100], v[101:102], v[99:100]
	v_fma_f64 v[101:102], -v[97:98], v[99:100], 1.0
	v_fma_f64 v[99:100], v[99:100], v[101:102], v[99:100]
	v_mul_f64 v[101:102], v[103:104], v[99:100]
	v_fma_f64 v[97:98], -v[97:98], v[101:102], v[103:104]
	v_div_fmas_f64 v[97:98], v[97:98], v[99:100], v[101:102]
	v_div_fixup_f64 v[119:120], v[97:98], v[95:96], 1.0
	v_mul_f64 v[117:118], v[90:91], v[119:120]
	v_xor_b32_e32 v120, 0x80000000, v120
.LBB104_1057:
	s_andn2_saveexec_b64 s[18:19], s[18:19]
	s_cbranch_execz .LBB104_1059
; %bb.1058:
	v_div_scale_f64 v[90:91], s[20:21], v[117:118], v[117:118], v[119:120]
	v_rcp_f64_e32 v[95:96], v[90:91]
	v_fma_f64 v[97:98], -v[90:91], v[95:96], 1.0
	v_fma_f64 v[95:96], v[95:96], v[97:98], v[95:96]
	v_div_scale_f64 v[97:98], vcc, v[119:120], v[117:118], v[119:120]
	v_fma_f64 v[99:100], -v[90:91], v[95:96], 1.0
	v_fma_f64 v[95:96], v[95:96], v[99:100], v[95:96]
	v_mul_f64 v[99:100], v[97:98], v[95:96]
	v_fma_f64 v[90:91], -v[90:91], v[99:100], v[97:98]
	v_div_fmas_f64 v[90:91], v[90:91], v[95:96], v[99:100]
	v_div_fixup_f64 v[90:91], v[90:91], v[117:118], v[119:120]
	v_fma_f64 v[95:96], v[119:120], v[90:91], v[117:118]
	v_div_scale_f64 v[97:98], s[20:21], v[95:96], v[95:96], 1.0
	v_div_scale_f64 v[103:104], vcc, 1.0, v[95:96], 1.0
	v_rcp_f64_e32 v[99:100], v[97:98]
	v_fma_f64 v[101:102], -v[97:98], v[99:100], 1.0
	v_fma_f64 v[99:100], v[99:100], v[101:102], v[99:100]
	v_fma_f64 v[101:102], -v[97:98], v[99:100], 1.0
	v_fma_f64 v[99:100], v[99:100], v[101:102], v[99:100]
	v_mul_f64 v[101:102], v[103:104], v[99:100]
	v_fma_f64 v[97:98], -v[97:98], v[101:102], v[103:104]
	v_div_fmas_f64 v[97:98], v[97:98], v[99:100], v[101:102]
	v_div_fixup_f64 v[117:118], v[97:98], v[95:96], 1.0
	v_mul_f64 v[119:120], v[90:91], -v[117:118]
.LBB104_1059:
	s_or_b64 exec, exec, s[18:19]
.LBB104_1060:
	s_or_b64 exec, exec, s[0:1]
	v_cmp_ne_u32_e32 vcc, v93, v89
	s_and_saveexec_b64 s[0:1], vcc
	s_xor_b64 s[0:1], exec, s[0:1]
	s_cbranch_execz .LBB104_1066
; %bb.1061:
	v_cmp_eq_u32_e32 vcc, 50, v93
	s_and_saveexec_b64 s[18:19], vcc
	s_cbranch_execz .LBB104_1065
; %bb.1062:
	v_cmp_ne_u32_e32 vcc, 50, v89
	s_xor_b64 s[20:21], s[6:7], -1
	s_and_b64 s[22:23], s[20:21], vcc
	s_and_saveexec_b64 s[20:21], s[22:23]
	s_cbranch_execz .LBB104_1064
; %bb.1063:
	buffer_load_dword v81, off, s[24:27], 0 offset:420 ; 4-byte Folded Reload
	buffer_load_dword v82, off, s[24:27], 0 offset:424 ; 4-byte Folded Reload
	v_ashrrev_i32_e32 v90, 31, v89
	v_lshlrev_b64 v[90:91], 2, v[89:90]
	s_waitcnt vmcnt(1)
	v_add_co_u32_e32 v90, vcc, v81, v90
	s_waitcnt vmcnt(0)
	v_addc_co_u32_e32 v91, vcc, v82, v91, vcc
	global_load_dword v92, v[90:91], off
	global_load_dword v93, v[81:82], off offset:200
	s_waitcnt vmcnt(1)
	global_store_dword v[81:82], v92, off offset:200
	v_mov_b32_e32 v81, v105
	v_mov_b32_e32 v82, v106
	;; [unrolled: 1-line block ×4, first 2 shown]
	s_waitcnt vmcnt(1)
	global_store_dword v[90:91], v93, off
.LBB104_1064:
	s_or_b64 exec, exec, s[20:21]
	v_mov_b32_e32 v93, v89
	v_mov_b32_e32 v69, v89
	buffer_store_dword v69, off, s[24:27], 0 offset:352 ; 4-byte Folded Spill
.LBB104_1065:
	s_or_b64 exec, exec, s[18:19]
.LBB104_1066:
	s_andn2_saveexec_b64 s[0:1], s[0:1]
	s_cbranch_execz .LBB104_1068
; %bb.1067:
	v_mov_b32_e32 v93, 50
	ds_write2_b64 v0, v[1:2], v[3:4] offset0:102 offset1:103
	ds_write2_b64 v0, v[121:122], v[123:124] offset0:104 offset1:105
.LBB104_1068:
	s_or_b64 exec, exec, s[0:1]
	v_cmp_lt_i32_e32 vcc, 50, v93
	s_waitcnt vmcnt(0) lgkmcnt(0)
	s_barrier
	s_and_saveexec_b64 s[0:1], vcc
	s_cbranch_execz .LBB104_1070
; %bb.1069:
	v_mul_f64 v[89:90], v[117:118], v[7:8]
	v_mul_f64 v[7:8], v[119:120], v[7:8]
	v_fma_f64 v[95:96], v[119:120], v[5:6], v[89:90]
	ds_read2_b64 v[89:92], v0 offset0:102 offset1:103
	v_fma_f64 v[5:6], v[117:118], v[5:6], -v[7:8]
	s_waitcnt lgkmcnt(0)
	v_mul_f64 v[7:8], v[91:92], v[95:96]
	v_fma_f64 v[7:8], v[89:90], v[5:6], -v[7:8]
	v_mul_f64 v[89:90], v[89:90], v[95:96]
	v_add_f64 v[1:2], v[1:2], -v[7:8]
	v_fma_f64 v[89:90], v[91:92], v[5:6], v[89:90]
	v_add_f64 v[3:4], v[3:4], -v[89:90]
	ds_read2_b64 v[89:92], v0 offset0:104 offset1:105
	s_waitcnt lgkmcnt(0)
	v_mul_f64 v[7:8], v[91:92], v[95:96]
	v_fma_f64 v[7:8], v[89:90], v[5:6], -v[7:8]
	v_mul_f64 v[89:90], v[89:90], v[95:96]
	v_add_f64 v[121:122], v[121:122], -v[7:8]
	v_fma_f64 v[89:90], v[91:92], v[5:6], v[89:90]
	v_mov_b32_e32 v7, v95
	v_mov_b32_e32 v8, v96
	v_add_f64 v[123:124], v[123:124], -v[89:90]
.LBB104_1070:
	s_or_b64 exec, exec, s[0:1]
	v_lshl_add_u32 v89, v93, 4, v0
	s_barrier
	ds_write2_b64 v89, v[1:2], v[3:4] offset1:1
	s_waitcnt lgkmcnt(0)
	s_barrier
	ds_read2_b64 v[117:120], v0 offset0:102 offset1:103
	s_cmp_lt_i32 s3, 53
	v_mov_b32_e32 v89, 51
	s_cbranch_scc1 .LBB104_1073
; %bb.1071:
	v_add_u32_e32 v90, 0x340, v0
	s_mov_b32 s0, 52
	v_mov_b32_e32 v89, 51
.LBB104_1072:                           ; =>This Inner Loop Header: Depth=1
	s_waitcnt lgkmcnt(0)
	v_cmp_gt_f64_e32 vcc, 0, v[117:118]
	v_xor_b32_e32 v91, 0x80000000, v118
	ds_read2_b64 v[95:98], v90 offset1:1
	v_xor_b32_e32 v99, 0x80000000, v120
	v_add_u32_e32 v90, 16, v90
	s_waitcnt lgkmcnt(0)
	v_xor_b32_e32 v101, 0x80000000, v98
	v_cndmask_b32_e32 v92, v118, v91, vcc
	v_cmp_gt_f64_e32 vcc, 0, v[119:120]
	v_mov_b32_e32 v91, v117
	v_cndmask_b32_e32 v100, v120, v99, vcc
	v_cmp_gt_f64_e32 vcc, 0, v[95:96]
	v_mov_b32_e32 v99, v119
	v_add_f64 v[91:92], v[91:92], v[99:100]
	v_xor_b32_e32 v99, 0x80000000, v96
	v_cndmask_b32_e32 v100, v96, v99, vcc
	v_cmp_gt_f64_e32 vcc, 0, v[97:98]
	v_mov_b32_e32 v99, v95
	v_cndmask_b32_e32 v102, v98, v101, vcc
	v_mov_b32_e32 v101, v97
	v_add_f64 v[99:100], v[99:100], v[101:102]
	v_cmp_lt_f64_e32 vcc, v[91:92], v[99:100]
	v_mov_b32_e32 v91, s0
	s_add_i32 s0, s0, 1
	s_cmp_lg_u32 s3, s0
	v_cndmask_b32_e32 v118, v118, v96, vcc
	v_cndmask_b32_e32 v117, v117, v95, vcc
	;; [unrolled: 1-line block ×5, first 2 shown]
	s_cbranch_scc1 .LBB104_1072
.LBB104_1073:
	s_waitcnt lgkmcnt(0)
	v_cmp_eq_f64_e32 vcc, 0, v[117:118]
	v_cmp_eq_f64_e64 s[0:1], 0, v[119:120]
	s_and_b64 s[0:1], vcc, s[0:1]
	s_and_saveexec_b64 s[18:19], s[0:1]
	s_xor_b64 s[0:1], exec, s[18:19]
; %bb.1074:
	v_cmp_ne_u32_e32 vcc, 0, v94
	v_cndmask_b32_e32 v94, 52, v94, vcc
; %bb.1075:
	s_andn2_saveexec_b64 s[0:1], s[0:1]
	s_cbranch_execz .LBB104_1081
; %bb.1076:
	v_cmp_ngt_f64_e64 s[18:19], |v[117:118]|, |v[119:120]|
	s_and_saveexec_b64 s[20:21], s[18:19]
	s_xor_b64 s[18:19], exec, s[20:21]
	s_cbranch_execz .LBB104_1078
; %bb.1077:
	v_div_scale_f64 v[90:91], s[20:21], v[119:120], v[119:120], v[117:118]
	v_rcp_f64_e32 v[95:96], v[90:91]
	v_fma_f64 v[97:98], -v[90:91], v[95:96], 1.0
	v_fma_f64 v[95:96], v[95:96], v[97:98], v[95:96]
	v_div_scale_f64 v[97:98], vcc, v[117:118], v[119:120], v[117:118]
	v_fma_f64 v[99:100], -v[90:91], v[95:96], 1.0
	v_fma_f64 v[95:96], v[95:96], v[99:100], v[95:96]
	v_mul_f64 v[99:100], v[97:98], v[95:96]
	v_fma_f64 v[90:91], -v[90:91], v[99:100], v[97:98]
	v_div_fmas_f64 v[90:91], v[90:91], v[95:96], v[99:100]
	v_div_fixup_f64 v[90:91], v[90:91], v[119:120], v[117:118]
	v_fma_f64 v[95:96], v[117:118], v[90:91], v[119:120]
	v_div_scale_f64 v[97:98], s[20:21], v[95:96], v[95:96], 1.0
	v_div_scale_f64 v[103:104], vcc, 1.0, v[95:96], 1.0
	v_rcp_f64_e32 v[99:100], v[97:98]
	v_fma_f64 v[101:102], -v[97:98], v[99:100], 1.0
	v_fma_f64 v[99:100], v[99:100], v[101:102], v[99:100]
	v_fma_f64 v[101:102], -v[97:98], v[99:100], 1.0
	v_fma_f64 v[99:100], v[99:100], v[101:102], v[99:100]
	v_mul_f64 v[101:102], v[103:104], v[99:100]
	v_fma_f64 v[97:98], -v[97:98], v[101:102], v[103:104]
	v_div_fmas_f64 v[97:98], v[97:98], v[99:100], v[101:102]
	v_div_fixup_f64 v[119:120], v[97:98], v[95:96], 1.0
	v_mul_f64 v[117:118], v[90:91], v[119:120]
	v_xor_b32_e32 v120, 0x80000000, v120
.LBB104_1078:
	s_andn2_saveexec_b64 s[18:19], s[18:19]
	s_cbranch_execz .LBB104_1080
; %bb.1079:
	v_div_scale_f64 v[90:91], s[20:21], v[117:118], v[117:118], v[119:120]
	v_rcp_f64_e32 v[95:96], v[90:91]
	v_fma_f64 v[97:98], -v[90:91], v[95:96], 1.0
	v_fma_f64 v[95:96], v[95:96], v[97:98], v[95:96]
	v_div_scale_f64 v[97:98], vcc, v[119:120], v[117:118], v[119:120]
	v_fma_f64 v[99:100], -v[90:91], v[95:96], 1.0
	v_fma_f64 v[95:96], v[95:96], v[99:100], v[95:96]
	v_mul_f64 v[99:100], v[97:98], v[95:96]
	v_fma_f64 v[90:91], -v[90:91], v[99:100], v[97:98]
	v_div_fmas_f64 v[90:91], v[90:91], v[95:96], v[99:100]
	v_div_fixup_f64 v[90:91], v[90:91], v[117:118], v[119:120]
	v_fma_f64 v[95:96], v[119:120], v[90:91], v[117:118]
	v_div_scale_f64 v[97:98], s[20:21], v[95:96], v[95:96], 1.0
	v_div_scale_f64 v[103:104], vcc, 1.0, v[95:96], 1.0
	v_rcp_f64_e32 v[99:100], v[97:98]
	v_fma_f64 v[101:102], -v[97:98], v[99:100], 1.0
	v_fma_f64 v[99:100], v[99:100], v[101:102], v[99:100]
	v_fma_f64 v[101:102], -v[97:98], v[99:100], 1.0
	v_fma_f64 v[99:100], v[99:100], v[101:102], v[99:100]
	v_mul_f64 v[101:102], v[103:104], v[99:100]
	v_fma_f64 v[97:98], -v[97:98], v[101:102], v[103:104]
	v_div_fmas_f64 v[97:98], v[97:98], v[99:100], v[101:102]
	v_div_fixup_f64 v[117:118], v[97:98], v[95:96], 1.0
	v_mul_f64 v[119:120], v[90:91], -v[117:118]
.LBB104_1080:
	s_or_b64 exec, exec, s[18:19]
.LBB104_1081:
	s_or_b64 exec, exec, s[0:1]
	v_cmp_ne_u32_e32 vcc, v93, v89
	s_and_saveexec_b64 s[0:1], vcc
	s_xor_b64 s[0:1], exec, s[0:1]
	s_cbranch_execz .LBB104_1087
; %bb.1082:
	v_cmp_eq_u32_e32 vcc, 51, v93
	s_and_saveexec_b64 s[18:19], vcc
	s_cbranch_execz .LBB104_1086
; %bb.1083:
	v_cmp_ne_u32_e32 vcc, 51, v89
	s_xor_b64 s[20:21], s[6:7], -1
	s_and_b64 s[22:23], s[20:21], vcc
	s_and_saveexec_b64 s[20:21], s[22:23]
	s_cbranch_execz .LBB104_1085
; %bb.1084:
	buffer_load_dword v81, off, s[24:27], 0 offset:420 ; 4-byte Folded Reload
	buffer_load_dword v82, off, s[24:27], 0 offset:424 ; 4-byte Folded Reload
	v_ashrrev_i32_e32 v90, 31, v89
	v_lshlrev_b64 v[90:91], 2, v[89:90]
	s_waitcnt vmcnt(1)
	v_add_co_u32_e32 v90, vcc, v81, v90
	s_waitcnt vmcnt(0)
	v_addc_co_u32_e32 v91, vcc, v82, v91, vcc
	global_load_dword v92, v[90:91], off
	global_load_dword v93, v[81:82], off offset:204
	s_waitcnt vmcnt(1)
	global_store_dword v[81:82], v92, off offset:204
	v_mov_b32_e32 v81, v105
	v_mov_b32_e32 v82, v106
	v_mov_b32_e32 v83, v107
	v_mov_b32_e32 v84, v108
	s_waitcnt vmcnt(1)
	global_store_dword v[90:91], v93, off
.LBB104_1085:
	s_or_b64 exec, exec, s[20:21]
	v_mov_b32_e32 v93, v89
	v_mov_b32_e32 v69, v89
	buffer_store_dword v69, off, s[24:27], 0 offset:352 ; 4-byte Folded Spill
.LBB104_1086:
	s_or_b64 exec, exec, s[18:19]
.LBB104_1087:
	s_andn2_saveexec_b64 s[0:1], s[0:1]
; %bb.1088:
	v_mov_b32_e32 v93, 51
	ds_write2_b64 v0, v[121:122], v[123:124] offset0:104 offset1:105
; %bb.1089:
	s_or_b64 exec, exec, s[0:1]
	v_cmp_lt_i32_e32 vcc, 51, v93
	s_waitcnt vmcnt(0) lgkmcnt(0)
	s_barrier
	s_and_saveexec_b64 s[0:1], vcc
	s_cbranch_execz .LBB104_1091
; %bb.1090:
	v_mul_f64 v[89:90], v[117:118], v[3:4]
	v_mul_f64 v[3:4], v[119:120], v[3:4]
	v_fma_f64 v[95:96], v[119:120], v[1:2], v[89:90]
	ds_read2_b64 v[89:92], v0 offset0:104 offset1:105
	v_fma_f64 v[1:2], v[117:118], v[1:2], -v[3:4]
	s_waitcnt lgkmcnt(0)
	v_mul_f64 v[3:4], v[91:92], v[95:96]
	v_fma_f64 v[3:4], v[89:90], v[1:2], -v[3:4]
	v_mul_f64 v[89:90], v[89:90], v[95:96]
	v_add_f64 v[121:122], v[121:122], -v[3:4]
	v_fma_f64 v[89:90], v[91:92], v[1:2], v[89:90]
	v_mov_b32_e32 v3, v95
	v_mov_b32_e32 v4, v96
	v_add_f64 v[123:124], v[123:124], -v[89:90]
.LBB104_1091:
	s_or_b64 exec, exec, s[0:1]
	v_lshl_add_u32 v89, v93, 4, v0
	s_barrier
	ds_write2_b64 v89, v[121:122], v[123:124] offset1:1
	s_waitcnt lgkmcnt(0)
	s_barrier
	ds_read2_b64 v[117:120], v0 offset0:104 offset1:105
	s_cmp_lt_i32 s3, 54
	v_mov_b32_e32 v89, 52
	s_cbranch_scc1 .LBB104_1094
; %bb.1092:
	v_add_u32_e32 v0, 0x350, v0
	s_mov_b32 s0, 53
	v_mov_b32_e32 v89, 52
.LBB104_1093:                           ; =>This Inner Loop Header: Depth=1
	s_waitcnt lgkmcnt(0)
	v_cmp_gt_f64_e32 vcc, 0, v[117:118]
	v_xor_b32_e32 v90, 0x80000000, v118
	ds_read2_b64 v[95:98], v0 offset1:1
	v_xor_b32_e32 v92, 0x80000000, v120
	v_mov_b32_e32 v99, v119
	v_add_u32_e32 v0, 16, v0
	s_waitcnt lgkmcnt(0)
	v_mov_b32_e32 v101, v97
	v_cndmask_b32_e32 v91, v118, v90, vcc
	v_cmp_gt_f64_e32 vcc, 0, v[119:120]
	v_mov_b32_e32 v90, v117
	v_cndmask_b32_e32 v100, v120, v92, vcc
	v_cmp_gt_f64_e32 vcc, 0, v[95:96]
	v_xor_b32_e32 v92, 0x80000000, v96
	v_add_f64 v[90:91], v[90:91], v[99:100]
	v_mov_b32_e32 v99, v95
	v_cndmask_b32_e32 v100, v96, v92, vcc
	v_cmp_gt_f64_e32 vcc, 0, v[97:98]
	v_xor_b32_e32 v92, 0x80000000, v98
	v_cndmask_b32_e32 v102, v98, v92, vcc
	v_add_f64 v[99:100], v[99:100], v[101:102]
	v_cmp_lt_f64_e32 vcc, v[90:91], v[99:100]
	v_mov_b32_e32 v90, s0
	s_add_i32 s0, s0, 1
	s_cmp_lg_u32 s3, s0
	v_cndmask_b32_e32 v118, v118, v96, vcc
	v_cndmask_b32_e32 v117, v117, v95, vcc
	;; [unrolled: 1-line block ×5, first 2 shown]
	s_cbranch_scc1 .LBB104_1093
.LBB104_1094:
	s_waitcnt lgkmcnt(0)
	v_cmp_eq_f64_e32 vcc, 0, v[117:118]
	v_cmp_eq_f64_e64 s[0:1], 0, v[119:120]
	s_and_b64 s[0:1], vcc, s[0:1]
	s_and_saveexec_b64 s[18:19], s[0:1]
	s_xor_b64 s[0:1], exec, s[18:19]
; %bb.1095:
	v_cmp_ne_u32_e32 vcc, 0, v94
	v_cndmask_b32_e32 v94, 53, v94, vcc
; %bb.1096:
	s_andn2_saveexec_b64 s[0:1], s[0:1]
	s_cbranch_execz .LBB104_1102
; %bb.1097:
	v_cmp_ngt_f64_e64 s[18:19], |v[117:118]|, |v[119:120]|
	s_and_saveexec_b64 s[20:21], s[18:19]
	s_xor_b64 s[18:19], exec, s[20:21]
	s_cbranch_execz .LBB104_1099
; %bb.1098:
	v_div_scale_f64 v[90:91], s[20:21], v[119:120], v[119:120], v[117:118]
	v_rcp_f64_e32 v[95:96], v[90:91]
	v_fma_f64 v[97:98], -v[90:91], v[95:96], 1.0
	v_fma_f64 v[95:96], v[95:96], v[97:98], v[95:96]
	v_div_scale_f64 v[97:98], vcc, v[117:118], v[119:120], v[117:118]
	v_fma_f64 v[99:100], -v[90:91], v[95:96], 1.0
	v_fma_f64 v[95:96], v[95:96], v[99:100], v[95:96]
	v_mul_f64 v[99:100], v[97:98], v[95:96]
	v_fma_f64 v[90:91], -v[90:91], v[99:100], v[97:98]
	v_div_fmas_f64 v[90:91], v[90:91], v[95:96], v[99:100]
	v_div_fixup_f64 v[90:91], v[90:91], v[119:120], v[117:118]
	v_fma_f64 v[95:96], v[117:118], v[90:91], v[119:120]
	v_div_scale_f64 v[97:98], s[20:21], v[95:96], v[95:96], 1.0
	v_div_scale_f64 v[103:104], vcc, 1.0, v[95:96], 1.0
	v_rcp_f64_e32 v[99:100], v[97:98]
	v_fma_f64 v[101:102], -v[97:98], v[99:100], 1.0
	v_fma_f64 v[99:100], v[99:100], v[101:102], v[99:100]
	v_fma_f64 v[101:102], -v[97:98], v[99:100], 1.0
	v_fma_f64 v[99:100], v[99:100], v[101:102], v[99:100]
	v_mul_f64 v[101:102], v[103:104], v[99:100]
	v_fma_f64 v[97:98], -v[97:98], v[101:102], v[103:104]
	v_div_fmas_f64 v[97:98], v[97:98], v[99:100], v[101:102]
	v_div_fixup_f64 v[119:120], v[97:98], v[95:96], 1.0
	v_mul_f64 v[117:118], v[90:91], v[119:120]
	v_xor_b32_e32 v120, 0x80000000, v120
.LBB104_1099:
	s_andn2_saveexec_b64 s[18:19], s[18:19]
	s_cbranch_execz .LBB104_1101
; %bb.1100:
	v_div_scale_f64 v[90:91], s[20:21], v[117:118], v[117:118], v[119:120]
	v_rcp_f64_e32 v[95:96], v[90:91]
	v_fma_f64 v[97:98], -v[90:91], v[95:96], 1.0
	v_fma_f64 v[95:96], v[95:96], v[97:98], v[95:96]
	v_div_scale_f64 v[97:98], vcc, v[119:120], v[117:118], v[119:120]
	v_fma_f64 v[99:100], -v[90:91], v[95:96], 1.0
	v_fma_f64 v[95:96], v[95:96], v[99:100], v[95:96]
	v_mul_f64 v[99:100], v[97:98], v[95:96]
	v_fma_f64 v[90:91], -v[90:91], v[99:100], v[97:98]
	v_div_fmas_f64 v[90:91], v[90:91], v[95:96], v[99:100]
	v_div_fixup_f64 v[90:91], v[90:91], v[117:118], v[119:120]
	v_fma_f64 v[95:96], v[119:120], v[90:91], v[117:118]
	v_div_scale_f64 v[97:98], s[20:21], v[95:96], v[95:96], 1.0
	v_div_scale_f64 v[103:104], vcc, 1.0, v[95:96], 1.0
	v_rcp_f64_e32 v[99:100], v[97:98]
	v_fma_f64 v[101:102], -v[97:98], v[99:100], 1.0
	v_fma_f64 v[99:100], v[99:100], v[101:102], v[99:100]
	v_fma_f64 v[101:102], -v[97:98], v[99:100], 1.0
	v_fma_f64 v[99:100], v[99:100], v[101:102], v[99:100]
	v_mul_f64 v[101:102], v[103:104], v[99:100]
	v_fma_f64 v[97:98], -v[97:98], v[101:102], v[103:104]
	v_div_fmas_f64 v[97:98], v[97:98], v[99:100], v[101:102]
	v_div_fixup_f64 v[117:118], v[97:98], v[95:96], 1.0
	v_mul_f64 v[119:120], v[90:91], -v[117:118]
.LBB104_1101:
	s_or_b64 exec, exec, s[18:19]
.LBB104_1102:
	s_or_b64 exec, exec, s[0:1]
	v_cmp_ne_u32_e32 vcc, v93, v89
	v_mov_b32_e32 v90, 52
	s_and_saveexec_b64 s[0:1], vcc
	s_cbranch_execz .LBB104_1108
; %bb.1103:
	v_cmp_eq_u32_e32 vcc, 52, v93
	s_and_saveexec_b64 s[18:19], vcc
	s_cbranch_execz .LBB104_1107
; %bb.1104:
	v_cmp_ne_u32_e32 vcc, 52, v89
	s_xor_b64 s[6:7], s[6:7], -1
	s_and_b64 s[20:21], s[6:7], vcc
	s_and_saveexec_b64 s[6:7], s[20:21]
	s_cbranch_execz .LBB104_1106
; %bb.1105:
	buffer_load_dword v81, off, s[24:27], 0 offset:420 ; 4-byte Folded Reload
	buffer_load_dword v82, off, s[24:27], 0 offset:424 ; 4-byte Folded Reload
	v_ashrrev_i32_e32 v90, 31, v89
	v_lshlrev_b64 v[90:91], 2, v[89:90]
	s_waitcnt vmcnt(1)
	v_add_co_u32_e32 v90, vcc, v81, v90
	s_waitcnt vmcnt(0)
	v_addc_co_u32_e32 v91, vcc, v82, v91, vcc
	global_load_dword v0, v[90:91], off
	global_load_dword v92, v[81:82], off offset:208
	s_waitcnt vmcnt(1)
	global_store_dword v[81:82], v0, off offset:208
	v_mov_b32_e32 v81, v105
	v_mov_b32_e32 v82, v106
	;; [unrolled: 1-line block ×4, first 2 shown]
	s_waitcnt vmcnt(1)
	global_store_dword v[90:91], v92, off
.LBB104_1106:
	s_or_b64 exec, exec, s[6:7]
	v_mov_b32_e32 v93, v89
	v_mov_b32_e32 v0, v89
	buffer_store_dword v0, off, s[24:27], 0 offset:352 ; 4-byte Folded Spill
.LBB104_1107:
	s_or_b64 exec, exec, s[18:19]
	v_mov_b32_e32 v90, v93
.LBB104_1108:
	s_or_b64 exec, exec, s[0:1]
	v_cmp_gt_i32_e32 vcc, 53, v90
	v_ashrrev_i32_e32 v91, 31, v90
	s_waitcnt vmcnt(0)
	s_barrier
	s_barrier
	s_and_saveexec_b64 s[0:1], vcc
	s_cbranch_execz .LBB104_1110
; %bb.1109:
	buffer_load_dword v69, off, s[24:27], 0 offset:480 ; 4-byte Folded Reload
	buffer_load_dword v70, off, s[24:27], 0 offset:484 ; 4-byte Folded Reload
	s_waitcnt vmcnt(1)
	v_mul_lo_u32 v0, s15, v69
	s_waitcnt vmcnt(0)
	v_mul_lo_u32 v89, s14, v70
	v_mad_u64_u32 v[92:93], s[6:7], s14, v69, 0
	s_lshl_b64 s[6:7], s[12:13], 2
	v_add3_u32 v93, v93, v89, v0
	v_lshlrev_b64 v[92:93], 2, v[92:93]
	v_mov_b32_e32 v0, s11
	v_add_co_u32_e32 v89, vcc, s10, v92
	v_addc_co_u32_e32 v0, vcc, v0, v93, vcc
	v_mov_b32_e32 v92, s7
	v_add_co_u32_e32 v89, vcc, s6, v89
	v_addc_co_u32_e32 v0, vcc, v0, v92, vcc
	v_lshlrev_b64 v[92:93], 2, v[90:91]
	v_add_co_u32_e32 v92, vcc, v89, v92
	v_addc_co_u32_e32 v93, vcc, v0, v93, vcc
	buffer_load_dword v0, off, s[24:27], 0 offset:352 ; 4-byte Folded Reload
	s_waitcnt vmcnt(0)
	v_add3_u32 v0, v0, s17, 1
	global_store_dword v[92:93], v0, off
.LBB104_1110:
	s_or_b64 exec, exec, s[0:1]
	v_cmp_eq_u32_e32 vcc, 0, v90
	s_and_saveexec_b64 s[6:7], vcc
	s_cbranch_execz .LBB104_1113
; %bb.1111:
	buffer_load_dword v69, off, s[24:27], 0 offset:480 ; 4-byte Folded Reload
	buffer_load_dword v70, off, s[24:27], 0 offset:484 ; 4-byte Folded Reload
	v_mov_b32_e32 v0, s5
	v_cmp_ne_u32_e64 s[0:1], 0, v94
	s_waitcnt vmcnt(0)
	v_lshlrev_b64 v[92:93], 2, v[69:70]
	v_add_co_u32_e32 v92, vcc, s4, v92
	v_addc_co_u32_e32 v93, vcc, v0, v93, vcc
	global_load_dword v0, v[92:93], off
	s_waitcnt vmcnt(0)
	v_cmp_eq_u32_e32 vcc, 0, v0
	s_and_b64 s[0:1], vcc, s[0:1]
	s_and_b64 exec, exec, s[0:1]
	s_cbranch_execz .LBB104_1113
; %bb.1112:
	v_add_u32_e32 v0, s17, v94
	global_store_dword v[92:93], v0, off
.LBB104_1113:
	s_or_b64 exec, exec, s[6:7]
	v_mul_f64 v[94:95], v[119:120], v[123:124]
	v_mul_f64 v[92:93], v[117:118], v[123:124]
	v_cmp_lt_i32_e32 vcc, 52, v90
	v_mov_b32_e32 v0, s9
	v_add_u32_e32 v89, s16, v90
	v_fma_f64 v[94:95], v[117:118], v[121:122], -v[94:95]
	v_fma_f64 v[92:93], v[119:120], v[121:122], v[92:93]
	v_cndmask_b32_e32 v117, v121, v94, vcc
	buffer_load_dword v94, off, s[24:27], 0 offset:488 ; 4-byte Folded Reload
	v_cndmask_b32_e32 v120, v124, v93, vcc
	buffer_load_dword v93, off, s[24:27], 0 offset:476 ; 4-byte Folded Reload
	buffer_load_dword v69, off, s[24:27], 0 offset:460 ; 4-byte Folded Reload
	;; [unrolled: 1-line block ×5, first 2 shown]
	v_cndmask_b32_e32 v119, v123, v92, vcc
	v_lshlrev_b64 v[91:92], 4, v[90:91]
	v_cndmask_b32_e32 v118, v122, v95, vcc
	v_ashrrev_i32_e32 v90, 31, v89
	s_waitcnt vmcnt(5)
	v_add_co_u32_e32 v91, vcc, v94, v91
	s_waitcnt vmcnt(4)
	v_addc_co_u32_e32 v92, vcc, v93, v92, vcc
	s_waitcnt vmcnt(0)
	global_store_dwordx4 v[91:92], v[69:72], off
	buffer_load_dword v69, off, s[24:27], 0 offset:444 ; 4-byte Folded Reload
	s_nop 0
	buffer_load_dword v70, off, s[24:27], 0 offset:448 ; 4-byte Folded Reload
	buffer_load_dword v71, off, s[24:27], 0 offset:452 ; 4-byte Folded Reload
	;; [unrolled: 1-line block ×3, first 2 shown]
	v_add_co_u32_e32 v91, vcc, s8, v91
	v_addc_co_u32_e32 v92, vcc, v92, v0, vcc
	s_waitcnt vmcnt(0)
	global_store_dwordx4 v[91:92], v[69:72], off
	buffer_load_dword v69, off, s[24:27], 0 offset:428 ; 4-byte Folded Reload
	s_nop 0
	buffer_load_dword v70, off, s[24:27], 0 offset:432 ; 4-byte Folded Reload
	buffer_load_dword v71, off, s[24:27], 0 offset:436 ; 4-byte Folded Reload
	;; [unrolled: 1-line block ×3, first 2 shown]
	v_lshlrev_b64 v[90:91], 4, v[89:90]
	v_add_u32_e32 v89, s2, v89
	v_add_co_u32_e32 v90, vcc, v94, v90
	v_addc_co_u32_e32 v91, vcc, v93, v91, vcc
	s_waitcnt vmcnt(0)
	global_store_dwordx4 v[90:91], v[69:72], off
	buffer_load_dword v69, off, s[24:27], 0 offset:404 ; 4-byte Folded Reload
	s_nop 0
	buffer_load_dword v70, off, s[24:27], 0 offset:408 ; 4-byte Folded Reload
	buffer_load_dword v71, off, s[24:27], 0 offset:412 ; 4-byte Folded Reload
	buffer_load_dword v72, off, s[24:27], 0 offset:416 ; 4-byte Folded Reload
	v_ashrrev_i32_e32 v90, 31, v89
	v_lshlrev_b64 v[90:91], 4, v[89:90]
	v_add_u32_e32 v89, s2, v89
	v_add_co_u32_e32 v90, vcc, v94, v90
	v_addc_co_u32_e32 v91, vcc, v93, v91, vcc
	s_waitcnt vmcnt(0)
	global_store_dwordx4 v[90:91], v[69:72], off
	buffer_load_dword v69, off, s[24:27], 0 offset:388 ; 4-byte Folded Reload
	s_nop 0
	buffer_load_dword v70, off, s[24:27], 0 offset:392 ; 4-byte Folded Reload
	buffer_load_dword v71, off, s[24:27], 0 offset:396 ; 4-byte Folded Reload
	buffer_load_dword v72, off, s[24:27], 0 offset:400 ; 4-byte Folded Reload
	v_ashrrev_i32_e32 v90, 31, v89
	;; [unrolled: 12-line block ×25, first 2 shown]
	v_lshlrev_b64 v[90:91], 4, v[89:90]
	v_add_u32_e32 v89, s2, v89
	v_add_co_u32_e32 v90, vcc, v94, v90
	v_addc_co_u32_e32 v91, vcc, v93, v91, vcc
	s_waitcnt vmcnt(0)
	global_store_dwordx4 v[90:91], v[69:72], off
	v_ashrrev_i32_e32 v90, 31, v89
	v_lshlrev_b64 v[90:91], 4, v[89:90]
	v_add_u32_e32 v89, s2, v89
	v_add_co_u32_e32 v90, vcc, v94, v90
	v_addc_co_u32_e32 v91, vcc, v93, v91, vcc
	global_store_dwordx4 v[90:91], v[81:84], off
	v_ashrrev_i32_e32 v90, 31, v89
	v_lshlrev_b64 v[90:91], 4, v[89:90]
	v_add_u32_e32 v89, s2, v89
	v_add_co_u32_e32 v90, vcc, v94, v90
	v_addc_co_u32_e32 v91, vcc, v93, v91, vcc
	global_store_dwordx4 v[90:91], v[85:88], off
	v_ashrrev_i32_e32 v90, 31, v89
	v_lshlrev_b64 v[90:91], 4, v[89:90]
	v_add_u32_e32 v85, s2, v89
	v_ashrrev_i32_e32 v86, 31, v85
	v_add_co_u32_e32 v90, vcc, v94, v90
	v_lshlrev_b64 v[86:87], 4, v[85:86]
	v_add_u32_e32 v81, s2, v85
	v_addc_co_u32_e32 v91, vcc, v93, v91, vcc
	v_ashrrev_i32_e32 v82, 31, v81
	v_add_co_u32_e32 v86, vcc, v94, v86
	v_lshlrev_b64 v[82:83], 4, v[81:82]
	v_addc_co_u32_e32 v87, vcc, v93, v87, vcc
	v_add_co_u32_e32 v82, vcc, v94, v82
	v_addc_co_u32_e32 v83, vcc, v93, v83, vcc
	global_store_dwordx4 v[90:91], v[109:112], off
	global_store_dwordx4 v[86:87], v[113:116], off
	;; [unrolled: 1-line block ×3, first 2 shown]
	s_nop 0
	v_add_u32_e32 v77, s2, v81
	v_ashrrev_i32_e32 v78, 31, v77
	v_lshlrev_b64 v[78:79], 4, v[77:78]
	v_add_co_u32_e32 v78, vcc, v94, v78
	v_addc_co_u32_e32 v79, vcc, v93, v79, vcc
	global_store_dwordx4 v[78:79], v[73:76], off
	buffer_load_dword v69, off, s[24:27], 0 ; 4-byte Folded Reload
	buffer_load_dword v70, off, s[24:27], 0 offset:4 ; 4-byte Folded Reload
	buffer_load_dword v71, off, s[24:27], 0 offset:8 ; 4-byte Folded Reload
	;; [unrolled: 1-line block ×3, first 2 shown]
	v_add_u32_e32 v73, s2, v77
	v_ashrrev_i32_e32 v74, 31, v73
	v_lshlrev_b64 v[74:75], 4, v[73:74]
	v_add_co_u32_e32 v74, vcc, v94, v74
	v_addc_co_u32_e32 v75, vcc, v93, v75, vcc
	s_waitcnt vmcnt(0)
	global_store_dwordx4 v[74:75], v[69:72], off
	s_nop 0
	v_add_u32_e32 v69, s2, v73
	v_ashrrev_i32_e32 v70, 31, v69
	v_lshlrev_b64 v[70:71], 4, v[69:70]
	v_add_co_u32_e32 v70, vcc, v94, v70
	v_addc_co_u32_e32 v71, vcc, v93, v71, vcc
	global_store_dwordx4 v[70:71], v[65:68], off
	s_nop 0
	v_add_u32_e32 v65, s2, v69
	v_ashrrev_i32_e32 v66, 31, v65
	v_lshlrev_b64 v[66:67], 4, v[65:66]
	v_add_co_u32_e32 v66, vcc, v94, v66
	v_addc_co_u32_e32 v67, vcc, v93, v67, vcc
	;; [unrolled: 7-line block ×16, first 2 shown]
	global_store_dwordx4 v[10:11], v[5:8], off
	s_nop 0
	v_add_u32_e32 v5, s2, v9
	v_ashrrev_i32_e32 v6, 31, v5
	v_lshlrev_b64 v[6:7], 4, v[5:6]
	v_add_u32_e32 v0, s2, v5
	v_add_co_u32_e32 v6, vcc, v94, v6
	v_addc_co_u32_e32 v7, vcc, v93, v7, vcc
	global_store_dwordx4 v[6:7], v[1:4], off
	s_nop 0
	v_ashrrev_i32_e32 v1, 31, v0
	v_lshlrev_b64 v[0:1], 4, v[0:1]
	v_add_co_u32_e32 v0, vcc, v94, v0
	v_addc_co_u32_e32 v1, vcc, v93, v1, vcc
	global_store_dwordx4 v[0:1], v[117:120], off
.LBB104_1114:
	s_endpgm
	.section	.rodata,"a",@progbits
	.p2align	6, 0x0
	.amdhsa_kernel _ZN9rocsolver6v33100L18getf2_small_kernelILi53E19rocblas_complex_numIdEiiPS3_EEvT1_T3_lS5_lPS5_llPT2_S5_S5_S7_l
		.amdhsa_group_segment_fixed_size 0
		.amdhsa_private_segment_fixed_size 496
		.amdhsa_kernarg_size 352
		.amdhsa_user_sgpr_count 6
		.amdhsa_user_sgpr_private_segment_buffer 1
		.amdhsa_user_sgpr_dispatch_ptr 0
		.amdhsa_user_sgpr_queue_ptr 0
		.amdhsa_user_sgpr_kernarg_segment_ptr 1
		.amdhsa_user_sgpr_dispatch_id 0
		.amdhsa_user_sgpr_flat_scratch_init 0
		.amdhsa_user_sgpr_private_segment_size 0
		.amdhsa_uses_dynamic_stack 0
		.amdhsa_system_sgpr_private_segment_wavefront_offset 1
		.amdhsa_system_sgpr_workgroup_id_x 1
		.amdhsa_system_sgpr_workgroup_id_y 1
		.amdhsa_system_sgpr_workgroup_id_z 0
		.amdhsa_system_sgpr_workgroup_info 0
		.amdhsa_system_vgpr_workitem_id 1
		.amdhsa_next_free_vgpr 128
		.amdhsa_next_free_sgpr 30
		.amdhsa_reserve_vcc 1
		.amdhsa_reserve_flat_scratch 0
		.amdhsa_float_round_mode_32 0
		.amdhsa_float_round_mode_16_64 0
		.amdhsa_float_denorm_mode_32 3
		.amdhsa_float_denorm_mode_16_64 3
		.amdhsa_dx10_clamp 1
		.amdhsa_ieee_mode 1
		.amdhsa_fp16_overflow 0
		.amdhsa_exception_fp_ieee_invalid_op 0
		.amdhsa_exception_fp_denorm_src 0
		.amdhsa_exception_fp_ieee_div_zero 0
		.amdhsa_exception_fp_ieee_overflow 0
		.amdhsa_exception_fp_ieee_underflow 0
		.amdhsa_exception_fp_ieee_inexact 0
		.amdhsa_exception_int_div_zero 0
	.end_amdhsa_kernel
	.section	.text._ZN9rocsolver6v33100L18getf2_small_kernelILi53E19rocblas_complex_numIdEiiPS3_EEvT1_T3_lS5_lPS5_llPT2_S5_S5_S7_l,"axG",@progbits,_ZN9rocsolver6v33100L18getf2_small_kernelILi53E19rocblas_complex_numIdEiiPS3_EEvT1_T3_lS5_lPS5_llPT2_S5_S5_S7_l,comdat
.Lfunc_end104:
	.size	_ZN9rocsolver6v33100L18getf2_small_kernelILi53E19rocblas_complex_numIdEiiPS3_EEvT1_T3_lS5_lPS5_llPT2_S5_S5_S7_l, .Lfunc_end104-_ZN9rocsolver6v33100L18getf2_small_kernelILi53E19rocblas_complex_numIdEiiPS3_EEvT1_T3_lS5_lPS5_llPT2_S5_S5_S7_l
                                        ; -- End function
	.set _ZN9rocsolver6v33100L18getf2_small_kernelILi53E19rocblas_complex_numIdEiiPS3_EEvT1_T3_lS5_lPS5_llPT2_S5_S5_S7_l.num_vgpr, 128
	.set _ZN9rocsolver6v33100L18getf2_small_kernelILi53E19rocblas_complex_numIdEiiPS3_EEvT1_T3_lS5_lPS5_llPT2_S5_S5_S7_l.num_agpr, 0
	.set _ZN9rocsolver6v33100L18getf2_small_kernelILi53E19rocblas_complex_numIdEiiPS3_EEvT1_T3_lS5_lPS5_llPT2_S5_S5_S7_l.numbered_sgpr, 30
	.set _ZN9rocsolver6v33100L18getf2_small_kernelILi53E19rocblas_complex_numIdEiiPS3_EEvT1_T3_lS5_lPS5_llPT2_S5_S5_S7_l.num_named_barrier, 0
	.set _ZN9rocsolver6v33100L18getf2_small_kernelILi53E19rocblas_complex_numIdEiiPS3_EEvT1_T3_lS5_lPS5_llPT2_S5_S5_S7_l.private_seg_size, 496
	.set _ZN9rocsolver6v33100L18getf2_small_kernelILi53E19rocblas_complex_numIdEiiPS3_EEvT1_T3_lS5_lPS5_llPT2_S5_S5_S7_l.uses_vcc, 1
	.set _ZN9rocsolver6v33100L18getf2_small_kernelILi53E19rocblas_complex_numIdEiiPS3_EEvT1_T3_lS5_lPS5_llPT2_S5_S5_S7_l.uses_flat_scratch, 0
	.set _ZN9rocsolver6v33100L18getf2_small_kernelILi53E19rocblas_complex_numIdEiiPS3_EEvT1_T3_lS5_lPS5_llPT2_S5_S5_S7_l.has_dyn_sized_stack, 0
	.set _ZN9rocsolver6v33100L18getf2_small_kernelILi53E19rocblas_complex_numIdEiiPS3_EEvT1_T3_lS5_lPS5_llPT2_S5_S5_S7_l.has_recursion, 0
	.set _ZN9rocsolver6v33100L18getf2_small_kernelILi53E19rocblas_complex_numIdEiiPS3_EEvT1_T3_lS5_lPS5_llPT2_S5_S5_S7_l.has_indirect_call, 0
	.section	.AMDGPU.csdata,"",@progbits
; Kernel info:
; codeLenInByte = 199232
; TotalNumSgprs: 34
; NumVgprs: 128
; ScratchSize: 496
; MemoryBound: 0
; FloatMode: 240
; IeeeMode: 1
; LDSByteSize: 0 bytes/workgroup (compile time only)
; SGPRBlocks: 4
; VGPRBlocks: 31
; NumSGPRsForWavesPerEU: 34
; NumVGPRsForWavesPerEU: 128
; Occupancy: 2
; WaveLimiterHint : 0
; COMPUTE_PGM_RSRC2:SCRATCH_EN: 1
; COMPUTE_PGM_RSRC2:USER_SGPR: 6
; COMPUTE_PGM_RSRC2:TRAP_HANDLER: 0
; COMPUTE_PGM_RSRC2:TGID_X_EN: 1
; COMPUTE_PGM_RSRC2:TGID_Y_EN: 1
; COMPUTE_PGM_RSRC2:TGID_Z_EN: 0
; COMPUTE_PGM_RSRC2:TIDIG_COMP_CNT: 1
	.section	.text._ZN9rocsolver6v33100L23getf2_npvt_small_kernelILi53E19rocblas_complex_numIdEiiPS3_EEvT1_T3_lS5_lPT2_S5_S5_,"axG",@progbits,_ZN9rocsolver6v33100L23getf2_npvt_small_kernelILi53E19rocblas_complex_numIdEiiPS3_EEvT1_T3_lS5_lPT2_S5_S5_,comdat
	.globl	_ZN9rocsolver6v33100L23getf2_npvt_small_kernelILi53E19rocblas_complex_numIdEiiPS3_EEvT1_T3_lS5_lPT2_S5_S5_ ; -- Begin function _ZN9rocsolver6v33100L23getf2_npvt_small_kernelILi53E19rocblas_complex_numIdEiiPS3_EEvT1_T3_lS5_lPT2_S5_S5_
	.p2align	8
	.type	_ZN9rocsolver6v33100L23getf2_npvt_small_kernelILi53E19rocblas_complex_numIdEiiPS3_EEvT1_T3_lS5_lPT2_S5_S5_,@function
_ZN9rocsolver6v33100L23getf2_npvt_small_kernelILi53E19rocblas_complex_numIdEiiPS3_EEvT1_T3_lS5_lPT2_S5_S5_: ; @_ZN9rocsolver6v33100L23getf2_npvt_small_kernelILi53E19rocblas_complex_numIdEiiPS3_EEvT1_T3_lS5_lPT2_S5_S5_
; %bb.0:
	s_mov_b64 s[22:23], s[2:3]
	s_mov_b64 s[20:21], s[0:1]
	s_load_dword s0, s[4:5], 0x44
	s_load_dwordx2 s[12:13], s[4:5], 0x30
	s_add_u32 s20, s20, s8
	s_addc_u32 s21, s21, 0
	s_waitcnt lgkmcnt(0)
	s_lshr_b32 s2, s0, 16
	s_mul_i32 s7, s7, s2
	v_add_u32_e32 v87, s7, v1
	v_cmp_gt_i32_e32 vcc, s12, v87
	s_and_saveexec_b64 s[0:1], vcc
	s_cbranch_execnz .LBB105_1
; %bb.481:
	s_getpc_b64 s[14:15]
.Lpost_getpc19:
	s_add_u32 s14, s14, (.LBB105_480-.Lpost_getpc19)&4294967295
	s_addc_u32 s15, s15, (.LBB105_480-.Lpost_getpc19)>>32
	s_setpc_b64 s[14:15]
.LBB105_1:
	s_load_dwordx4 s[8:11], s[4:5], 0x20
	s_load_dwordx4 s[16:19], s[4:5], 0x8
	v_ashrrev_i32_e32 v88, 31, v87
	s_mulk_i32 s2, 0x350
	s_waitcnt lgkmcnt(0)
	v_mul_lo_u32 v4, s9, v87
	v_mul_lo_u32 v5, s8, v88
	v_mad_u64_u32 v[2:3], s[0:1], s8, v87, 0
	s_load_dword s0, s[4:5], 0x18
	v_mov_b32_e32 v6, s17
	v_add3_u32 v3, v3, v5, v4
	v_lshlrev_b64 v[2:3], 4, v[2:3]
	s_lshl_b64 s[4:5], s[18:19], 4
	v_add_co_u32_e32 v2, vcc, s16, v2
	v_addc_co_u32_e32 v3, vcc, v6, v3, vcc
	v_mov_b32_e32 v4, s5
	v_add_co_u32_e32 v2, vcc, s4, v2
	s_waitcnt lgkmcnt(0)
	s_add_i32 s1, s0, s0
	v_addc_co_u32_e32 v3, vcc, v3, v4, vcc
	v_add_u32_e32 v4, s1, v0
	v_ashrrev_i32_e32 v5, 31, v4
	v_lshlrev_b64 v[5:6], 4, v[4:5]
	v_add_u32_e32 v4, s0, v4
	v_add_co_u32_e32 v91, vcc, v2, v5
	v_ashrrev_i32_e32 v5, 31, v4
	v_addc_co_u32_e32 v92, vcc, v3, v6, vcc
	v_lshlrev_b64 v[5:6], 4, v[4:5]
	v_add_u32_e32 v4, s0, v4
	v_add_co_u32_e32 v65, vcc, v2, v5
	v_ashrrev_i32_e32 v5, 31, v4
	v_addc_co_u32_e32 v66, vcc, v3, v6, vcc
	;; [unrolled: 5-line block ×49, first 2 shown]
	v_lshlrev_b64 v[5:6], 4, v[4:5]
	v_add_u32_e32 v4, s0, v4
	v_add_co_u32_e32 v123, vcc, v2, v5
	v_ashrrev_i32_e32 v5, 31, v4
	v_lshlrev_b64 v[4:5], 4, v[4:5]
	v_addc_co_u32_e32 v124, vcc, v3, v6, vcc
	v_add_co_u32_e32 v119, vcc, v2, v4
	v_addc_co_u32_e32 v120, vcc, v3, v5, vcc
	v_lshlrev_b32_e32 v4, 4, v0
	v_add_co_u32_e32 v4, vcc, v2, v4
	s_ashr_i32 s1, s0, 31
	v_addc_co_u32_e32 v5, vcc, 0, v3, vcc
	s_lshl_b64 s[0:1], s[0:1], 4
	v_mov_b32_e32 v2, s1
	v_add_co_u32_e32 v69, vcc, s0, v4
	v_addc_co_u32_e32 v70, vcc, v5, v2, vcc
	buffer_store_dword v4, off, s[20:23], 0 offset:880 ; 4-byte Folded Spill
	s_nop 0
	buffer_store_dword v5, off, s[20:23], 0 offset:884 ; 4-byte Folded Spill
	s_movk_i32 s0, 0x350
	s_add_i32 s1, s2, 0
	v_mad_u32_u24 v125, v1, s0, 0
	v_lshl_add_u32 v127, v1, 4, s1
	v_cmp_ne_u32_e64 s[2:3], 0, v0
	v_cmp_eq_u32_e64 s[0:1], 0, v0
	global_load_dwordx4 v[1:4], v[4:5], off
	s_waitcnt vmcnt(0)
	buffer_store_dword v1, off, s[20:23], 0 offset:464 ; 4-byte Folded Spill
	s_nop 0
	buffer_store_dword v2, off, s[20:23], 0 offset:468 ; 4-byte Folded Spill
	buffer_store_dword v3, off, s[20:23], 0 offset:472 ; 4-byte Folded Spill
	;; [unrolled: 1-line block ×4, first 2 shown]
	s_nop 0
	buffer_store_dword v70, off, s[20:23], 0 offset:892 ; 4-byte Folded Spill
	global_load_dwordx4 v[1:4], v[69:70], off
	s_waitcnt vmcnt(0)
	buffer_store_dword v1, off, s[20:23], 0 offset:448 ; 4-byte Folded Spill
	s_nop 0
	buffer_store_dword v2, off, s[20:23], 0 offset:452 ; 4-byte Folded Spill
	buffer_store_dword v3, off, s[20:23], 0 offset:456 ; 4-byte Folded Spill
	;; [unrolled: 1-line block ×3, first 2 shown]
	global_load_dwordx4 v[1:4], v[91:92], off
	s_waitcnt vmcnt(0)
	buffer_store_dword v1, off, s[20:23], 0 offset:432 ; 4-byte Folded Spill
	s_nop 0
	buffer_store_dword v2, off, s[20:23], 0 offset:436 ; 4-byte Folded Spill
	buffer_store_dword v3, off, s[20:23], 0 offset:440 ; 4-byte Folded Spill
	buffer_store_dword v4, off, s[20:23], 0 offset:444 ; 4-byte Folded Spill
	buffer_store_dword v65, off, s[20:23], 0 offset:864 ; 4-byte Folded Spill
	s_nop 0
	buffer_store_dword v66, off, s[20:23], 0 offset:868 ; 4-byte Folded Spill
	global_load_dwordx4 v[1:4], v[65:66], off
	s_waitcnt vmcnt(0)
	buffer_store_dword v1, off, s[20:23], 0 offset:416 ; 4-byte Folded Spill
	s_nop 0
	buffer_store_dword v2, off, s[20:23], 0 offset:420 ; 4-byte Folded Spill
	buffer_store_dword v3, off, s[20:23], 0 offset:424 ; 4-byte Folded Spill
	buffer_store_dword v4, off, s[20:23], 0 offset:428 ; 4-byte Folded Spill
	buffer_store_dword v67, off, s[20:23], 0 offset:872 ; 4-byte Folded Spill
	s_nop 0
	buffer_store_dword v68, off, s[20:23], 0 offset:876 ; 4-byte Folded Spill
	;; [unrolled: 10-line block ×3, first 2 shown]
	global_load_dwordx4 v[1:4], v[7:8], off
	s_waitcnt vmcnt(0)
	buffer_store_dword v1, off, s[20:23], 0 offset:384 ; 4-byte Folded Spill
	s_nop 0
	buffer_store_dword v2, off, s[20:23], 0 offset:388 ; 4-byte Folded Spill
	buffer_store_dword v3, off, s[20:23], 0 offset:392 ; 4-byte Folded Spill
	;; [unrolled: 1-line block ×3, first 2 shown]
	global_load_dwordx4 v[1:4], v[85:86], off
	s_waitcnt vmcnt(0)
	buffer_store_dword v1, off, s[20:23], 0 offset:368 ; 4-byte Folded Spill
	s_nop 0
	buffer_store_dword v2, off, s[20:23], 0 offset:372 ; 4-byte Folded Spill
	buffer_store_dword v3, off, s[20:23], 0 offset:376 ; 4-byte Folded Spill
	buffer_store_dword v4, off, s[20:23], 0 offset:380 ; 4-byte Folded Spill
	buffer_store_dword v9, off, s[20:23], 0 offset:504 ; 4-byte Folded Spill
	s_nop 0
	buffer_store_dword v10, off, s[20:23], 0 offset:508 ; 4-byte Folded Spill
	global_load_dwordx4 v[1:4], v[9:10], off
	s_waitcnt vmcnt(0)
	buffer_store_dword v1, off, s[20:23], 0 offset:352 ; 4-byte Folded Spill
	s_nop 0
	buffer_store_dword v2, off, s[20:23], 0 offset:356 ; 4-byte Folded Spill
	buffer_store_dword v3, off, s[20:23], 0 offset:360 ; 4-byte Folded Spill
	buffer_store_dword v4, off, s[20:23], 0 offset:364 ; 4-byte Folded Spill
	buffer_store_dword v11, off, s[20:23], 0 offset:512 ; 4-byte Folded Spill
	s_nop 0
	buffer_store_dword v12, off, s[20:23], 0 offset:516 ; 4-byte Folded Spill
	;; [unrolled: 10-line block ×17, first 2 shown]
	global_load_dwordx4 v[1:4], v[41:42], off
	s_waitcnt vmcnt(0)
	buffer_store_dword v1, off, s[20:23], 0 offset:96 ; 4-byte Folded Spill
	s_nop 0
	buffer_store_dword v2, off, s[20:23], 0 offset:100 ; 4-byte Folded Spill
	buffer_store_dword v3, off, s[20:23], 0 offset:104 ; 4-byte Folded Spill
	;; [unrolled: 1-line block ×3, first 2 shown]
	global_load_dwordx4 v[1:4], v[81:82], off
	s_waitcnt vmcnt(0)
	buffer_store_dword v1, off, s[20:23], 0 offset:80 ; 4-byte Folded Spill
	s_nop 0
	buffer_store_dword v2, off, s[20:23], 0 offset:84 ; 4-byte Folded Spill
	buffer_store_dword v3, off, s[20:23], 0 offset:88 ; 4-byte Folded Spill
	buffer_store_dword v4, off, s[20:23], 0 offset:92 ; 4-byte Folded Spill
	buffer_store_dword v43, off, s[20:23], 0 offset:640 ; 4-byte Folded Spill
	s_nop 0
	buffer_store_dword v44, off, s[20:23], 0 offset:644 ; 4-byte Folded Spill
	global_load_dwordx4 v[1:4], v[43:44], off
	s_waitcnt vmcnt(0)
	buffer_store_dword v1, off, s[20:23], 0 offset:64 ; 4-byte Folded Spill
	s_nop 0
	buffer_store_dword v2, off, s[20:23], 0 offset:68 ; 4-byte Folded Spill
	buffer_store_dword v3, off, s[20:23], 0 offset:72 ; 4-byte Folded Spill
	buffer_store_dword v4, off, s[20:23], 0 offset:76 ; 4-byte Folded Spill
	buffer_store_dword v45, off, s[20:23], 0 offset:648 ; 4-byte Folded Spill
	s_nop 0
	buffer_store_dword v46, off, s[20:23], 0 offset:652 ; 4-byte Folded Spill
	;; [unrolled: 10-line block ×3, first 2 shown]
	global_load_dwordx4 v[65:68], v[47:48], off
	s_nop 0
	buffer_store_dword v49, off, s[20:23], 0 offset:664 ; 4-byte Folded Spill
	s_nop 0
	buffer_store_dword v50, off, s[20:23], 0 offset:668 ; 4-byte Folded Spill
	global_load_dwordx4 v[69:72], v[49:50], off
	s_nop 0
	buffer_store_dword v51, off, s[20:23], 0 offset:672 ; 4-byte Folded Spill
	s_nop 0
	buffer_store_dword v52, off, s[20:23], 0 offset:676 ; 4-byte Folded Spill
	;; [unrolled: 5-line block ×5, first 2 shown]
	global_load_dwordx4 v[9:12], v[57:58], off
	s_waitcnt vmcnt(0)
	buffer_store_dword v9, off, s[20:23], 0 offset:32 ; 4-byte Folded Spill
	s_nop 0
	buffer_store_dword v10, off, s[20:23], 0 offset:36 ; 4-byte Folded Spill
	buffer_store_dword v11, off, s[20:23], 0 offset:40 ; 4-byte Folded Spill
	;; [unrolled: 1-line block ×4, first 2 shown]
	s_nop 0
	buffer_store_dword v60, off, s[20:23], 0 offset:708 ; 4-byte Folded Spill
	global_load_dwordx4 v[9:12], v[59:60], off
	s_waitcnt vmcnt(0)
	buffer_store_dword v9, off, s[20:23], 0 offset:16 ; 4-byte Folded Spill
	s_nop 0
	buffer_store_dword v10, off, s[20:23], 0 offset:20 ; 4-byte Folded Spill
	buffer_store_dword v11, off, s[20:23], 0 offset:24 ; 4-byte Folded Spill
	;; [unrolled: 1-line block ×4, first 2 shown]
	s_nop 0
	buffer_store_dword v62, off, s[20:23], 0 offset:716 ; 4-byte Folded Spill
	global_load_dwordx4 v[9:12], v[61:62], off
	s_waitcnt vmcnt(0)
	buffer_store_dword v9, off, s[20:23], 0 ; 4-byte Folded Spill
	s_nop 0
	buffer_store_dword v10, off, s[20:23], 0 offset:4 ; 4-byte Folded Spill
	buffer_store_dword v11, off, s[20:23], 0 offset:8 ; 4-byte Folded Spill
	;; [unrolled: 1-line block ×4, first 2 shown]
	s_nop 0
	buffer_store_dword v64, off, s[20:23], 0 offset:724 ; 4-byte Folded Spill
	global_load_dwordx4 v[61:64], v[63:64], off
	s_nop 0
	buffer_store_dword v83, off, s[20:23], 0 offset:728 ; 4-byte Folded Spill
	s_nop 0
	buffer_store_dword v84, off, s[20:23], 0 offset:732 ; 4-byte Folded Spill
	global_load_dwordx4 v[57:60], v[83:84], off
	s_nop 0
	buffer_store_dword v89, off, s[20:23], 0 offset:736 ; 4-byte Folded Spill
	;; [unrolled: 5-line block ×5, first 2 shown]
	s_nop 0
	buffer_store_dword v98, off, s[20:23], 0 offset:764 ; 4-byte Folded Spill
	v_mov_b32_e32 v96, v4
	v_mov_b32_e32 v95, v3
	;; [unrolled: 1-line block ×4, first 2 shown]
	global_load_dwordx4 v[41:44], v[97:98], off
	s_nop 0
	buffer_store_dword v99, off, s[20:23], 0 offset:768 ; 4-byte Folded Spill
	s_nop 0
	buffer_store_dword v100, off, s[20:23], 0 offset:772 ; 4-byte Folded Spill
	global_load_dwordx4 v[77:80], v[99:100], off
	s_nop 0
	buffer_store_dword v101, off, s[20:23], 0 offset:776 ; 4-byte Folded Spill
	s_nop 0
	buffer_store_dword v102, off, s[20:23], 0 offset:780 ; 4-byte Folded Spill
	;; [unrolled: 5-line block ×8, first 2 shown]
	v_mov_b32_e32 v112, v16
	v_mov_b32_e32 v111, v15
	;; [unrolled: 1-line block ×4, first 2 shown]
	global_load_dwordx4 v[13:16], v[113:114], off
	s_nop 0
	buffer_store_dword v115, off, s[20:23], 0 offset:832 ; 4-byte Folded Spill
	s_nop 0
	buffer_store_dword v116, off, s[20:23], 0 offset:836 ; 4-byte Folded Spill
	global_load_dwordx4 v[9:12], v[115:116], off
	s_nop 0
	buffer_store_dword v121, off, s[20:23], 0 offset:840 ; 4-byte Folded Spill
	s_nop 0
	buffer_store_dword v122, off, s[20:23], 0 offset:844 ; 4-byte Folded Spill
	v_mov_b32_e32 v116, v8
	v_mov_b32_e32 v115, v7
	;; [unrolled: 1-line block ×4, first 2 shown]
	global_load_dwordx4 v[5:8], v[121:122], off
	s_nop 0
	buffer_store_dword v123, off, s[20:23], 0 offset:848 ; 4-byte Folded Spill
	s_nop 0
	buffer_store_dword v124, off, s[20:23], 0 offset:852 ; 4-byte Folded Spill
	global_load_dwordx4 v[1:4], v[123:124], off
	s_nop 0
	buffer_store_dword v119, off, s[20:23], 0 offset:856 ; 4-byte Folded Spill
	s_nop 0
	buffer_store_dword v120, off, s[20:23], 0 offset:860 ; 4-byte Folded Spill
	v_mov_b32_e32 v124, v72
	v_mov_b32_e32 v123, v71
	v_mov_b32_e32 v122, v70
	v_mov_b32_e32 v121, v69
	global_load_dwordx4 v[73:76], v[119:120], off
	v_mov_b32_e32 v120, v68
	v_mov_b32_e32 v119, v67
	v_mov_b32_e32 v118, v66
	v_mov_b32_e32 v117, v65
	s_waitcnt vmcnt(51)
	v_mov_b32_e32 v68, v64
	v_mov_b32_e32 v67, v63
	v_mov_b32_e32 v66, v62
	v_mov_b32_e32 v65, v61
	s_waitcnt vmcnt(48)
	;; [unrolled: 5-line block ×7, first 2 shown]
	v_mov_b32_e32 v41, v77
	v_mov_b32_e32 v42, v78
	;; [unrolled: 1-line block ×4, first 2 shown]
	s_and_saveexec_b64 s[6:7], s[0:1]
	s_cbranch_execz .LBB105_8
; %bb.2:
	buffer_load_dword v69, off, s[20:23], 0 offset:464 ; 4-byte Folded Reload
	buffer_load_dword v70, off, s[20:23], 0 offset:468 ; 4-byte Folded Reload
	buffer_load_dword v71, off, s[20:23], 0 offset:472 ; 4-byte Folded Reload
	buffer_load_dword v72, off, s[20:23], 0 offset:476 ; 4-byte Folded Reload
	s_waitcnt vmcnt(0)
	ds_write2_b64 v127, v[69:70], v[71:72] offset1:1
	buffer_load_dword v69, off, s[20:23], 0 offset:448 ; 4-byte Folded Reload
	buffer_load_dword v70, off, s[20:23], 0 offset:452 ; 4-byte Folded Reload
	buffer_load_dword v71, off, s[20:23], 0 offset:456 ; 4-byte Folded Reload
	buffer_load_dword v72, off, s[20:23], 0 offset:460 ; 4-byte Folded Reload
	s_waitcnt vmcnt(0)
	ds_write2_b64 v125, v[69:70], v[71:72] offset0:2 offset1:3
	buffer_load_dword v69, off, s[20:23], 0 offset:432 ; 4-byte Folded Reload
	buffer_load_dword v70, off, s[20:23], 0 offset:436 ; 4-byte Folded Reload
	buffer_load_dword v71, off, s[20:23], 0 offset:440 ; 4-byte Folded Reload
	buffer_load_dword v72, off, s[20:23], 0 offset:444 ; 4-byte Folded Reload
	s_waitcnt vmcnt(0)
	ds_write2_b64 v125, v[69:70], v[71:72] offset0:4 offset1:5
	;; [unrolled: 6-line block ×26, first 2 shown]
	ds_write2_b64 v125, v[117:118], v[119:120] offset0:54 offset1:55
	ds_write2_b64 v125, v[121:122], v[123:124] offset0:56 offset1:57
	;; [unrolled: 1-line block ×5, first 2 shown]
	buffer_load_dword v77, off, s[20:23], 0 offset:32 ; 4-byte Folded Reload
	buffer_load_dword v78, off, s[20:23], 0 offset:36 ; 4-byte Folded Reload
	;; [unrolled: 1-line block ×4, first 2 shown]
	v_mov_b32_e32 v69, v73
	v_mov_b32_e32 v70, v74
	;; [unrolled: 1-line block ×4, first 2 shown]
	s_waitcnt vmcnt(0)
	ds_write2_b64 v125, v[77:78], v[79:80] offset0:64 offset1:65
	buffer_load_dword v73, off, s[20:23], 0 offset:16 ; 4-byte Folded Reload
	buffer_load_dword v74, off, s[20:23], 0 offset:20 ; 4-byte Folded Reload
	;; [unrolled: 1-line block ×4, first 2 shown]
	s_waitcnt vmcnt(0)
	ds_write2_b64 v125, v[73:74], v[75:76] offset0:66 offset1:67
	v_mov_b32_e32 v76, v72
	v_mov_b32_e32 v75, v71
	v_mov_b32_e32 v74, v70
	v_mov_b32_e32 v73, v69
	buffer_load_dword v69, off, s[20:23], 0 ; 4-byte Folded Reload
	buffer_load_dword v70, off, s[20:23], 0 offset:4 ; 4-byte Folded Reload
	buffer_load_dword v71, off, s[20:23], 0 offset:8 ; 4-byte Folded Reload
	;; [unrolled: 1-line block ×3, first 2 shown]
	s_waitcnt vmcnt(0)
	ds_write2_b64 v125, v[69:70], v[71:72] offset0:68 offset1:69
	ds_write2_b64 v125, v[65:66], v[67:68] offset0:70 offset1:71
	;; [unrolled: 1-line block ×19, first 2 shown]
	ds_read2_b64 v[97:100], v127 offset1:1
	s_waitcnt lgkmcnt(0)
	v_cmp_neq_f64_e32 vcc, 0, v[97:98]
	v_cmp_neq_f64_e64 s[4:5], 0, v[99:100]
	s_or_b64 s[4:5], vcc, s[4:5]
	s_and_b64 exec, exec, s[4:5]
	s_cbranch_execz .LBB105_8
; %bb.3:
	v_cmp_ngt_f64_e64 s[4:5], |v[97:98]|, |v[99:100]|
                                        ; implicit-def: $vgpr101_vgpr102
	s_and_saveexec_b64 s[8:9], s[4:5]
	s_xor_b64 s[4:5], exec, s[8:9]
                                        ; implicit-def: $vgpr103_vgpr104
	s_cbranch_execz .LBB105_5
; %bb.4:
	v_div_scale_f64 v[101:102], s[8:9], v[99:100], v[99:100], v[97:98]
	v_rcp_f64_e32 v[103:104], v[101:102]
	v_fma_f64 v[105:106], -v[101:102], v[103:104], 1.0
	v_fma_f64 v[103:104], v[103:104], v[105:106], v[103:104]
	v_div_scale_f64 v[105:106], vcc, v[97:98], v[99:100], v[97:98]
	v_fma_f64 v[107:108], -v[101:102], v[103:104], 1.0
	v_fma_f64 v[103:104], v[103:104], v[107:108], v[103:104]
	v_mul_f64 v[107:108], v[105:106], v[103:104]
	v_fma_f64 v[101:102], -v[101:102], v[107:108], v[105:106]
	v_div_fmas_f64 v[101:102], v[101:102], v[103:104], v[107:108]
	v_div_fixup_f64 v[101:102], v[101:102], v[99:100], v[97:98]
	v_fma_f64 v[97:98], v[97:98], v[101:102], v[99:100]
	v_div_scale_f64 v[99:100], s[8:9], v[97:98], v[97:98], 1.0
	v_div_scale_f64 v[107:108], vcc, 1.0, v[97:98], 1.0
	v_rcp_f64_e32 v[103:104], v[99:100]
	v_fma_f64 v[105:106], -v[99:100], v[103:104], 1.0
	v_fma_f64 v[103:104], v[103:104], v[105:106], v[103:104]
	v_fma_f64 v[105:106], -v[99:100], v[103:104], 1.0
	v_fma_f64 v[103:104], v[103:104], v[105:106], v[103:104]
	v_mul_f64 v[105:106], v[107:108], v[103:104]
	v_fma_f64 v[99:100], -v[99:100], v[105:106], v[107:108]
	v_div_fmas_f64 v[99:100], v[99:100], v[103:104], v[105:106]
	v_div_fixup_f64 v[103:104], v[99:100], v[97:98], 1.0
                                        ; implicit-def: $vgpr97_vgpr98
	v_mul_f64 v[101:102], v[101:102], v[103:104]
	v_xor_b32_e32 v104, 0x80000000, v104
.LBB105_5:
	s_andn2_saveexec_b64 s[4:5], s[4:5]
	s_cbranch_execz .LBB105_7
; %bb.6:
	v_div_scale_f64 v[101:102], s[8:9], v[97:98], v[97:98], v[99:100]
	v_rcp_f64_e32 v[103:104], v[101:102]
	v_fma_f64 v[105:106], -v[101:102], v[103:104], 1.0
	v_fma_f64 v[103:104], v[103:104], v[105:106], v[103:104]
	v_div_scale_f64 v[105:106], vcc, v[99:100], v[97:98], v[99:100]
	v_fma_f64 v[107:108], -v[101:102], v[103:104], 1.0
	v_fma_f64 v[103:104], v[103:104], v[107:108], v[103:104]
	v_mul_f64 v[107:108], v[105:106], v[103:104]
	v_fma_f64 v[101:102], -v[101:102], v[107:108], v[105:106]
	v_div_fmas_f64 v[101:102], v[101:102], v[103:104], v[107:108]
	v_div_fixup_f64 v[103:104], v[101:102], v[97:98], v[99:100]
	v_fma_f64 v[97:98], v[99:100], v[103:104], v[97:98]
	v_div_scale_f64 v[99:100], s[8:9], v[97:98], v[97:98], 1.0
	v_div_scale_f64 v[107:108], vcc, 1.0, v[97:98], 1.0
	v_rcp_f64_e32 v[101:102], v[99:100]
	v_fma_f64 v[105:106], -v[99:100], v[101:102], 1.0
	v_fma_f64 v[101:102], v[101:102], v[105:106], v[101:102]
	v_fma_f64 v[105:106], -v[99:100], v[101:102], 1.0
	v_fma_f64 v[101:102], v[101:102], v[105:106], v[101:102]
	v_mul_f64 v[105:106], v[107:108], v[101:102]
	v_fma_f64 v[99:100], -v[99:100], v[105:106], v[107:108]
	v_div_fmas_f64 v[99:100], v[99:100], v[101:102], v[105:106]
	v_div_fixup_f64 v[101:102], v[99:100], v[97:98], 1.0
	v_mul_f64 v[103:104], v[103:104], -v[101:102]
.LBB105_7:
	s_or_b64 exec, exec, s[4:5]
	ds_write2_b64 v127, v[101:102], v[103:104] offset1:1
.LBB105_8:
	s_or_b64 exec, exec, s[6:7]
	s_waitcnt vmcnt(0) lgkmcnt(0)
	s_barrier
	ds_read2_b64 v[69:72], v127 offset1:1
	s_waitcnt lgkmcnt(0)
	buffer_store_dword v69, off, s[20:23], 0 offset:896 ; 4-byte Folded Spill
	s_nop 0
	buffer_store_dword v70, off, s[20:23], 0 offset:900 ; 4-byte Folded Spill
	buffer_store_dword v71, off, s[20:23], 0 offset:904 ; 4-byte Folded Spill
	;; [unrolled: 1-line block ×3, first 2 shown]
	s_and_saveexec_b64 s[4:5], s[2:3]
	s_cbranch_execz .LBB105_10
; %bb.9:
	buffer_load_dword v103, off, s[20:23], 0 offset:464 ; 4-byte Folded Reload
	buffer_load_dword v104, off, s[20:23], 0 offset:468 ; 4-byte Folded Reload
	;; [unrolled: 1-line block ×8, first 2 shown]
	s_waitcnt vmcnt(2)
	v_mul_f64 v[99:100], v[69:70], v[105:106]
	s_waitcnt vmcnt(0)
	v_mul_f64 v[97:98], v[71:72], v[105:106]
	v_fma_f64 v[105:106], v[71:72], v[103:104], v[99:100]
	ds_read2_b64 v[99:102], v125 offset0:2 offset1:3
	v_fma_f64 v[97:98], v[69:70], v[103:104], -v[97:98]
	buffer_load_dword v69, off, s[20:23], 0 offset:448 ; 4-byte Folded Reload
	buffer_load_dword v70, off, s[20:23], 0 offset:452 ; 4-byte Folded Reload
	buffer_load_dword v71, off, s[20:23], 0 offset:456 ; 4-byte Folded Reload
	buffer_load_dword v72, off, s[20:23], 0 offset:460 ; 4-byte Folded Reload
	s_waitcnt lgkmcnt(0)
	v_mul_f64 v[103:104], v[101:102], v[105:106]
	v_fma_f64 v[103:104], v[99:100], v[97:98], -v[103:104]
	v_mul_f64 v[99:100], v[99:100], v[105:106]
	v_fma_f64 v[99:100], v[101:102], v[97:98], v[99:100]
	s_waitcnt vmcnt(2)
	v_add_f64 v[69:70], v[69:70], -v[103:104]
	s_waitcnt vmcnt(0)
	v_add_f64 v[71:72], v[71:72], -v[99:100]
	buffer_store_dword v69, off, s[20:23], 0 offset:448 ; 4-byte Folded Spill
	s_nop 0
	buffer_store_dword v70, off, s[20:23], 0 offset:452 ; 4-byte Folded Spill
	buffer_store_dword v71, off, s[20:23], 0 offset:456 ; 4-byte Folded Spill
	buffer_store_dword v72, off, s[20:23], 0 offset:460 ; 4-byte Folded Spill
	ds_read2_b64 v[99:102], v125 offset0:4 offset1:5
	buffer_load_dword v69, off, s[20:23], 0 offset:432 ; 4-byte Folded Reload
	buffer_load_dword v70, off, s[20:23], 0 offset:436 ; 4-byte Folded Reload
	buffer_load_dword v71, off, s[20:23], 0 offset:440 ; 4-byte Folded Reload
	buffer_load_dword v72, off, s[20:23], 0 offset:444 ; 4-byte Folded Reload
	s_waitcnt lgkmcnt(0)
	v_mul_f64 v[103:104], v[101:102], v[105:106]
	v_fma_f64 v[103:104], v[99:100], v[97:98], -v[103:104]
	v_mul_f64 v[99:100], v[99:100], v[105:106]
	v_fma_f64 v[99:100], v[101:102], v[97:98], v[99:100]
	s_waitcnt vmcnt(2)
	v_add_f64 v[69:70], v[69:70], -v[103:104]
	s_waitcnt vmcnt(0)
	v_add_f64 v[71:72], v[71:72], -v[99:100]
	buffer_store_dword v69, off, s[20:23], 0 offset:432 ; 4-byte Folded Spill
	s_nop 0
	buffer_store_dword v70, off, s[20:23], 0 offset:436 ; 4-byte Folded Spill
	buffer_store_dword v71, off, s[20:23], 0 offset:440 ; 4-byte Folded Spill
	buffer_store_dword v72, off, s[20:23], 0 offset:444 ; 4-byte Folded Spill
	ds_read2_b64 v[99:102], v125 offset0:6 offset1:7
	;; [unrolled: 19-line block ×26, first 2 shown]
	v_mov_b32_e32 v69, v73
	v_mov_b32_e32 v70, v74
	;; [unrolled: 1-line block ×4, first 2 shown]
	s_waitcnt lgkmcnt(0)
	v_mul_f64 v[103:104], v[101:102], v[105:106]
	v_fma_f64 v[103:104], v[99:100], v[97:98], -v[103:104]
	v_mul_f64 v[99:100], v[99:100], v[105:106]
	v_add_f64 v[117:118], v[117:118], -v[103:104]
	v_fma_f64 v[99:100], v[101:102], v[97:98], v[99:100]
	v_add_f64 v[119:120], v[119:120], -v[99:100]
	ds_read2_b64 v[99:102], v125 offset0:56 offset1:57
	s_waitcnt lgkmcnt(0)
	v_mul_f64 v[103:104], v[101:102], v[105:106]
	v_fma_f64 v[103:104], v[99:100], v[97:98], -v[103:104]
	v_mul_f64 v[99:100], v[99:100], v[105:106]
	v_add_f64 v[121:122], v[121:122], -v[103:104]
	v_fma_f64 v[99:100], v[101:102], v[97:98], v[99:100]
	v_add_f64 v[123:124], v[123:124], -v[99:100]
	ds_read2_b64 v[99:102], v125 offset0:58 offset1:59
	;; [unrolled: 8-line block ×5, first 2 shown]
	buffer_load_dword v77, off, s[20:23], 0 offset:32 ; 4-byte Folded Reload
	buffer_load_dword v78, off, s[20:23], 0 offset:36 ; 4-byte Folded Reload
	;; [unrolled: 1-line block ×4, first 2 shown]
	s_waitcnt lgkmcnt(0)
	v_mul_f64 v[103:104], v[101:102], v[105:106]
	v_fma_f64 v[103:104], v[99:100], v[97:98], -v[103:104]
	v_mul_f64 v[99:100], v[99:100], v[105:106]
	v_fma_f64 v[99:100], v[101:102], v[97:98], v[99:100]
	s_waitcnt vmcnt(2)
	v_add_f64 v[77:78], v[77:78], -v[103:104]
	s_waitcnt vmcnt(0)
	v_add_f64 v[79:80], v[79:80], -v[99:100]
	buffer_store_dword v77, off, s[20:23], 0 offset:32 ; 4-byte Folded Spill
	s_nop 0
	buffer_store_dword v78, off, s[20:23], 0 offset:36 ; 4-byte Folded Spill
	buffer_store_dword v79, off, s[20:23], 0 offset:40 ; 4-byte Folded Spill
	;; [unrolled: 1-line block ×3, first 2 shown]
	ds_read2_b64 v[99:102], v125 offset0:66 offset1:67
	buffer_load_dword v73, off, s[20:23], 0 offset:16 ; 4-byte Folded Reload
	buffer_load_dword v74, off, s[20:23], 0 offset:20 ; 4-byte Folded Reload
	;; [unrolled: 1-line block ×4, first 2 shown]
	s_waitcnt lgkmcnt(0)
	v_mul_f64 v[103:104], v[101:102], v[105:106]
	v_fma_f64 v[103:104], v[99:100], v[97:98], -v[103:104]
	v_mul_f64 v[99:100], v[99:100], v[105:106]
	v_fma_f64 v[99:100], v[101:102], v[97:98], v[99:100]
	s_waitcnt vmcnt(2)
	v_add_f64 v[73:74], v[73:74], -v[103:104]
	s_waitcnt vmcnt(0)
	v_add_f64 v[75:76], v[75:76], -v[99:100]
	buffer_store_dword v73, off, s[20:23], 0 offset:16 ; 4-byte Folded Spill
	s_nop 0
	buffer_store_dword v74, off, s[20:23], 0 offset:20 ; 4-byte Folded Spill
	buffer_store_dword v75, off, s[20:23], 0 offset:24 ; 4-byte Folded Spill
	;; [unrolled: 1-line block ×3, first 2 shown]
	v_mov_b32_e32 v76, v72
	v_mov_b32_e32 v75, v71
	;; [unrolled: 1-line block ×4, first 2 shown]
	ds_read2_b64 v[99:102], v125 offset0:68 offset1:69
	buffer_load_dword v69, off, s[20:23], 0 ; 4-byte Folded Reload
	buffer_load_dword v70, off, s[20:23], 0 offset:4 ; 4-byte Folded Reload
	buffer_load_dword v71, off, s[20:23], 0 offset:8 ; 4-byte Folded Reload
	buffer_load_dword v72, off, s[20:23], 0 offset:12 ; 4-byte Folded Reload
	s_waitcnt lgkmcnt(0)
	v_mul_f64 v[103:104], v[101:102], v[105:106]
	v_fma_f64 v[103:104], v[99:100], v[97:98], -v[103:104]
	v_mul_f64 v[99:100], v[99:100], v[105:106]
	v_fma_f64 v[99:100], v[101:102], v[97:98], v[99:100]
	s_waitcnt vmcnt(2)
	v_add_f64 v[69:70], v[69:70], -v[103:104]
	s_waitcnt vmcnt(0)
	v_add_f64 v[71:72], v[71:72], -v[99:100]
	buffer_store_dword v69, off, s[20:23], 0 ; 4-byte Folded Spill
	s_nop 0
	buffer_store_dword v70, off, s[20:23], 0 offset:4 ; 4-byte Folded Spill
	buffer_store_dword v71, off, s[20:23], 0 offset:8 ; 4-byte Folded Spill
	;; [unrolled: 1-line block ×3, first 2 shown]
	ds_read2_b64 v[99:102], v125 offset0:70 offset1:71
	s_waitcnt lgkmcnt(0)
	v_mul_f64 v[103:104], v[101:102], v[105:106]
	v_fma_f64 v[103:104], v[99:100], v[97:98], -v[103:104]
	v_mul_f64 v[99:100], v[99:100], v[105:106]
	v_add_f64 v[65:66], v[65:66], -v[103:104]
	v_fma_f64 v[99:100], v[101:102], v[97:98], v[99:100]
	v_add_f64 v[67:68], v[67:68], -v[99:100]
	ds_read2_b64 v[99:102], v125 offset0:72 offset1:73
	s_waitcnt lgkmcnt(0)
	v_mul_f64 v[103:104], v[101:102], v[105:106]
	v_fma_f64 v[103:104], v[99:100], v[97:98], -v[103:104]
	v_mul_f64 v[99:100], v[99:100], v[105:106]
	v_add_f64 v[61:62], v[61:62], -v[103:104]
	v_fma_f64 v[99:100], v[101:102], v[97:98], v[99:100]
	v_add_f64 v[63:64], v[63:64], -v[99:100]
	;; [unrolled: 8-line block ×16, first 2 shown]
	ds_read2_b64 v[99:102], v125 offset0:102 offset1:103
	s_waitcnt lgkmcnt(0)
	v_mul_f64 v[103:104], v[101:102], v[105:106]
	v_fma_f64 v[103:104], v[99:100], v[97:98], -v[103:104]
	v_mul_f64 v[99:100], v[99:100], v[105:106]
	v_add_f64 v[1:2], v[1:2], -v[103:104]
	v_fma_f64 v[99:100], v[101:102], v[97:98], v[99:100]
	ds_read2_b64 v[101:104], v125 offset0:104 offset1:105
	v_add_f64 v[3:4], v[3:4], -v[99:100]
	s_waitcnt lgkmcnt(0)
	v_mul_f64 v[99:100], v[103:104], v[105:106]
	v_fma_f64 v[99:100], v[101:102], v[97:98], -v[99:100]
	v_mul_f64 v[101:102], v[101:102], v[105:106]
	v_add_f64 v[73:74], v[73:74], -v[99:100]
	v_fma_f64 v[101:102], v[103:104], v[97:98], v[101:102]
	v_mov_b32_e32 v104, v98
	v_mov_b32_e32 v103, v97
	buffer_store_dword v103, off, s[20:23], 0 offset:464 ; 4-byte Folded Spill
	s_nop 0
	buffer_store_dword v104, off, s[20:23], 0 offset:468 ; 4-byte Folded Spill
	buffer_store_dword v105, off, s[20:23], 0 offset:472 ; 4-byte Folded Spill
	;; [unrolled: 1-line block ×3, first 2 shown]
	v_add_f64 v[75:76], v[75:76], -v[101:102]
.LBB105_10:
	s_or_b64 exec, exec, s[4:5]
	v_cmp_eq_u32_e32 vcc, 1, v0
	s_waitcnt vmcnt(0)
	s_barrier
	s_and_saveexec_b64 s[4:5], vcc
	s_cbranch_execz .LBB105_17
; %bb.11:
	buffer_load_dword v69, off, s[20:23], 0 offset:448 ; 4-byte Folded Reload
	buffer_load_dword v70, off, s[20:23], 0 offset:452 ; 4-byte Folded Reload
	;; [unrolled: 1-line block ×4, first 2 shown]
	s_waitcnt vmcnt(0)
	ds_write2_b64 v127, v[69:70], v[71:72] offset1:1
	buffer_load_dword v69, off, s[20:23], 0 offset:432 ; 4-byte Folded Reload
	buffer_load_dword v70, off, s[20:23], 0 offset:436 ; 4-byte Folded Reload
	buffer_load_dword v71, off, s[20:23], 0 offset:440 ; 4-byte Folded Reload
	buffer_load_dword v72, off, s[20:23], 0 offset:444 ; 4-byte Folded Reload
	s_waitcnt vmcnt(0)
	ds_write2_b64 v125, v[69:70], v[71:72] offset0:4 offset1:5
	buffer_load_dword v69, off, s[20:23], 0 offset:416 ; 4-byte Folded Reload
	buffer_load_dword v70, off, s[20:23], 0 offset:420 ; 4-byte Folded Reload
	buffer_load_dword v71, off, s[20:23], 0 offset:424 ; 4-byte Folded Reload
	buffer_load_dword v72, off, s[20:23], 0 offset:428 ; 4-byte Folded Reload
	s_waitcnt vmcnt(0)
	ds_write2_b64 v125, v[69:70], v[71:72] offset0:6 offset1:7
	;; [unrolled: 6-line block ×25, first 2 shown]
	ds_write2_b64 v125, v[117:118], v[119:120] offset0:54 offset1:55
	ds_write2_b64 v125, v[121:122], v[123:124] offset0:56 offset1:57
	;; [unrolled: 1-line block ×5, first 2 shown]
	buffer_load_dword v77, off, s[20:23], 0 offset:32 ; 4-byte Folded Reload
	buffer_load_dword v78, off, s[20:23], 0 offset:36 ; 4-byte Folded Reload
	;; [unrolled: 1-line block ×4, first 2 shown]
	v_mov_b32_e32 v69, v73
	v_mov_b32_e32 v70, v74
	;; [unrolled: 1-line block ×4, first 2 shown]
	s_waitcnt vmcnt(0)
	ds_write2_b64 v125, v[77:78], v[79:80] offset0:64 offset1:65
	buffer_load_dword v73, off, s[20:23], 0 offset:16 ; 4-byte Folded Reload
	buffer_load_dword v74, off, s[20:23], 0 offset:20 ; 4-byte Folded Reload
	;; [unrolled: 1-line block ×4, first 2 shown]
	s_waitcnt vmcnt(0)
	ds_write2_b64 v125, v[73:74], v[75:76] offset0:66 offset1:67
	v_mov_b32_e32 v76, v72
	v_mov_b32_e32 v75, v71
	;; [unrolled: 1-line block ×4, first 2 shown]
	buffer_load_dword v69, off, s[20:23], 0 ; 4-byte Folded Reload
	buffer_load_dword v70, off, s[20:23], 0 offset:4 ; 4-byte Folded Reload
	buffer_load_dword v71, off, s[20:23], 0 offset:8 ; 4-byte Folded Reload
	buffer_load_dword v72, off, s[20:23], 0 offset:12 ; 4-byte Folded Reload
	s_waitcnt vmcnt(0)
	ds_write2_b64 v125, v[69:70], v[71:72] offset0:68 offset1:69
	ds_write2_b64 v125, v[65:66], v[67:68] offset0:70 offset1:71
	;; [unrolled: 1-line block ×19, first 2 shown]
	ds_read2_b64 v[97:100], v127 offset1:1
	s_waitcnt lgkmcnt(0)
	v_cmp_neq_f64_e32 vcc, 0, v[97:98]
	v_cmp_neq_f64_e64 s[2:3], 0, v[99:100]
	s_or_b64 s[2:3], vcc, s[2:3]
	s_and_b64 exec, exec, s[2:3]
	s_cbranch_execz .LBB105_17
; %bb.12:
	v_cmp_ngt_f64_e64 s[2:3], |v[97:98]|, |v[99:100]|
                                        ; implicit-def: $vgpr101_vgpr102
	s_and_saveexec_b64 s[6:7], s[2:3]
	s_xor_b64 s[2:3], exec, s[6:7]
                                        ; implicit-def: $vgpr103_vgpr104
	s_cbranch_execz .LBB105_14
; %bb.13:
	v_div_scale_f64 v[101:102], s[6:7], v[99:100], v[99:100], v[97:98]
	v_rcp_f64_e32 v[103:104], v[101:102]
	v_fma_f64 v[105:106], -v[101:102], v[103:104], 1.0
	v_fma_f64 v[103:104], v[103:104], v[105:106], v[103:104]
	v_div_scale_f64 v[105:106], vcc, v[97:98], v[99:100], v[97:98]
	v_fma_f64 v[107:108], -v[101:102], v[103:104], 1.0
	v_fma_f64 v[103:104], v[103:104], v[107:108], v[103:104]
	v_mul_f64 v[107:108], v[105:106], v[103:104]
	v_fma_f64 v[101:102], -v[101:102], v[107:108], v[105:106]
	v_div_fmas_f64 v[101:102], v[101:102], v[103:104], v[107:108]
	v_div_fixup_f64 v[101:102], v[101:102], v[99:100], v[97:98]
	v_fma_f64 v[97:98], v[97:98], v[101:102], v[99:100]
	v_div_scale_f64 v[99:100], s[6:7], v[97:98], v[97:98], 1.0
	v_div_scale_f64 v[107:108], vcc, 1.0, v[97:98], 1.0
	v_rcp_f64_e32 v[103:104], v[99:100]
	v_fma_f64 v[105:106], -v[99:100], v[103:104], 1.0
	v_fma_f64 v[103:104], v[103:104], v[105:106], v[103:104]
	v_fma_f64 v[105:106], -v[99:100], v[103:104], 1.0
	v_fma_f64 v[103:104], v[103:104], v[105:106], v[103:104]
	v_mul_f64 v[105:106], v[107:108], v[103:104]
	v_fma_f64 v[99:100], -v[99:100], v[105:106], v[107:108]
	v_div_fmas_f64 v[99:100], v[99:100], v[103:104], v[105:106]
	v_div_fixup_f64 v[103:104], v[99:100], v[97:98], 1.0
                                        ; implicit-def: $vgpr97_vgpr98
	v_mul_f64 v[101:102], v[101:102], v[103:104]
	v_xor_b32_e32 v104, 0x80000000, v104
.LBB105_14:
	s_andn2_saveexec_b64 s[2:3], s[2:3]
	s_cbranch_execz .LBB105_16
; %bb.15:
	v_div_scale_f64 v[101:102], s[6:7], v[97:98], v[97:98], v[99:100]
	v_rcp_f64_e32 v[103:104], v[101:102]
	v_fma_f64 v[105:106], -v[101:102], v[103:104], 1.0
	v_fma_f64 v[103:104], v[103:104], v[105:106], v[103:104]
	v_div_scale_f64 v[105:106], vcc, v[99:100], v[97:98], v[99:100]
	v_fma_f64 v[107:108], -v[101:102], v[103:104], 1.0
	v_fma_f64 v[103:104], v[103:104], v[107:108], v[103:104]
	v_mul_f64 v[107:108], v[105:106], v[103:104]
	v_fma_f64 v[101:102], -v[101:102], v[107:108], v[105:106]
	v_div_fmas_f64 v[101:102], v[101:102], v[103:104], v[107:108]
	v_div_fixup_f64 v[103:104], v[101:102], v[97:98], v[99:100]
	v_fma_f64 v[97:98], v[99:100], v[103:104], v[97:98]
	v_div_scale_f64 v[99:100], s[6:7], v[97:98], v[97:98], 1.0
	v_div_scale_f64 v[107:108], vcc, 1.0, v[97:98], 1.0
	v_rcp_f64_e32 v[101:102], v[99:100]
	v_fma_f64 v[105:106], -v[99:100], v[101:102], 1.0
	v_fma_f64 v[101:102], v[101:102], v[105:106], v[101:102]
	v_fma_f64 v[105:106], -v[99:100], v[101:102], 1.0
	v_fma_f64 v[101:102], v[101:102], v[105:106], v[101:102]
	v_mul_f64 v[105:106], v[107:108], v[101:102]
	v_fma_f64 v[99:100], -v[99:100], v[105:106], v[107:108]
	v_div_fmas_f64 v[99:100], v[99:100], v[101:102], v[105:106]
	v_div_fixup_f64 v[101:102], v[99:100], v[97:98], 1.0
	v_mul_f64 v[103:104], v[103:104], -v[101:102]
.LBB105_16:
	s_or_b64 exec, exec, s[2:3]
	ds_write2_b64 v127, v[101:102], v[103:104] offset1:1
.LBB105_17:
	s_or_b64 exec, exec, s[4:5]
	s_waitcnt lgkmcnt(0)
	s_barrier
	ds_read2_b64 v[69:72], v127 offset1:1
	v_cmp_lt_u32_e32 vcc, 1, v0
	s_waitcnt lgkmcnt(0)
	buffer_store_dword v69, off, s[20:23], 0 offset:912 ; 4-byte Folded Spill
	s_nop 0
	buffer_store_dword v70, off, s[20:23], 0 offset:916 ; 4-byte Folded Spill
	buffer_store_dword v71, off, s[20:23], 0 offset:920 ; 4-byte Folded Spill
	;; [unrolled: 1-line block ×3, first 2 shown]
	s_and_saveexec_b64 s[2:3], vcc
	s_cbranch_execz .LBB105_19
; %bb.18:
	buffer_load_dword v103, off, s[20:23], 0 offset:448 ; 4-byte Folded Reload
	buffer_load_dword v104, off, s[20:23], 0 offset:452 ; 4-byte Folded Reload
	;; [unrolled: 1-line block ×8, first 2 shown]
	s_waitcnt vmcnt(2)
	v_mul_f64 v[99:100], v[69:70], v[105:106]
	s_waitcnt vmcnt(0)
	v_mul_f64 v[97:98], v[71:72], v[105:106]
	v_fma_f64 v[105:106], v[71:72], v[103:104], v[99:100]
	ds_read2_b64 v[99:102], v125 offset0:4 offset1:5
	v_fma_f64 v[97:98], v[69:70], v[103:104], -v[97:98]
	buffer_load_dword v69, off, s[20:23], 0 offset:432 ; 4-byte Folded Reload
	buffer_load_dword v70, off, s[20:23], 0 offset:436 ; 4-byte Folded Reload
	buffer_load_dword v71, off, s[20:23], 0 offset:440 ; 4-byte Folded Reload
	buffer_load_dword v72, off, s[20:23], 0 offset:444 ; 4-byte Folded Reload
	s_waitcnt lgkmcnt(0)
	v_mul_f64 v[103:104], v[101:102], v[105:106]
	v_fma_f64 v[103:104], v[99:100], v[97:98], -v[103:104]
	v_mul_f64 v[99:100], v[99:100], v[105:106]
	v_fma_f64 v[99:100], v[101:102], v[97:98], v[99:100]
	s_waitcnt vmcnt(2)
	v_add_f64 v[69:70], v[69:70], -v[103:104]
	s_waitcnt vmcnt(0)
	v_add_f64 v[71:72], v[71:72], -v[99:100]
	buffer_store_dword v69, off, s[20:23], 0 offset:432 ; 4-byte Folded Spill
	s_nop 0
	buffer_store_dword v70, off, s[20:23], 0 offset:436 ; 4-byte Folded Spill
	buffer_store_dword v71, off, s[20:23], 0 offset:440 ; 4-byte Folded Spill
	buffer_store_dword v72, off, s[20:23], 0 offset:444 ; 4-byte Folded Spill
	ds_read2_b64 v[99:102], v125 offset0:6 offset1:7
	buffer_load_dword v69, off, s[20:23], 0 offset:416 ; 4-byte Folded Reload
	buffer_load_dword v70, off, s[20:23], 0 offset:420 ; 4-byte Folded Reload
	buffer_load_dword v71, off, s[20:23], 0 offset:424 ; 4-byte Folded Reload
	buffer_load_dword v72, off, s[20:23], 0 offset:428 ; 4-byte Folded Reload
	s_waitcnt lgkmcnt(0)
	v_mul_f64 v[103:104], v[101:102], v[105:106]
	v_fma_f64 v[103:104], v[99:100], v[97:98], -v[103:104]
	v_mul_f64 v[99:100], v[99:100], v[105:106]
	v_fma_f64 v[99:100], v[101:102], v[97:98], v[99:100]
	s_waitcnt vmcnt(2)
	v_add_f64 v[69:70], v[69:70], -v[103:104]
	s_waitcnt vmcnt(0)
	v_add_f64 v[71:72], v[71:72], -v[99:100]
	buffer_store_dword v69, off, s[20:23], 0 offset:416 ; 4-byte Folded Spill
	s_nop 0
	buffer_store_dword v70, off, s[20:23], 0 offset:420 ; 4-byte Folded Spill
	buffer_store_dword v71, off, s[20:23], 0 offset:424 ; 4-byte Folded Spill
	buffer_store_dword v72, off, s[20:23], 0 offset:428 ; 4-byte Folded Spill
	ds_read2_b64 v[99:102], v125 offset0:8 offset1:9
	;; [unrolled: 19-line block ×25, first 2 shown]
	v_mov_b32_e32 v69, v73
	v_mov_b32_e32 v70, v74
	;; [unrolled: 1-line block ×4, first 2 shown]
	s_waitcnt lgkmcnt(0)
	v_mul_f64 v[103:104], v[101:102], v[105:106]
	v_fma_f64 v[103:104], v[99:100], v[97:98], -v[103:104]
	v_mul_f64 v[99:100], v[99:100], v[105:106]
	v_add_f64 v[117:118], v[117:118], -v[103:104]
	v_fma_f64 v[99:100], v[101:102], v[97:98], v[99:100]
	v_add_f64 v[119:120], v[119:120], -v[99:100]
	ds_read2_b64 v[99:102], v125 offset0:56 offset1:57
	s_waitcnt lgkmcnt(0)
	v_mul_f64 v[103:104], v[101:102], v[105:106]
	v_fma_f64 v[103:104], v[99:100], v[97:98], -v[103:104]
	v_mul_f64 v[99:100], v[99:100], v[105:106]
	v_add_f64 v[121:122], v[121:122], -v[103:104]
	v_fma_f64 v[99:100], v[101:102], v[97:98], v[99:100]
	v_add_f64 v[123:124], v[123:124], -v[99:100]
	ds_read2_b64 v[99:102], v125 offset0:58 offset1:59
	;; [unrolled: 8-line block ×5, first 2 shown]
	buffer_load_dword v77, off, s[20:23], 0 offset:32 ; 4-byte Folded Reload
	buffer_load_dword v78, off, s[20:23], 0 offset:36 ; 4-byte Folded Reload
	buffer_load_dword v79, off, s[20:23], 0 offset:40 ; 4-byte Folded Reload
	buffer_load_dword v80, off, s[20:23], 0 offset:44 ; 4-byte Folded Reload
	s_waitcnt lgkmcnt(0)
	v_mul_f64 v[103:104], v[101:102], v[105:106]
	v_fma_f64 v[103:104], v[99:100], v[97:98], -v[103:104]
	v_mul_f64 v[99:100], v[99:100], v[105:106]
	v_fma_f64 v[99:100], v[101:102], v[97:98], v[99:100]
	s_waitcnt vmcnt(2)
	v_add_f64 v[77:78], v[77:78], -v[103:104]
	s_waitcnt vmcnt(0)
	v_add_f64 v[79:80], v[79:80], -v[99:100]
	buffer_store_dword v77, off, s[20:23], 0 offset:32 ; 4-byte Folded Spill
	s_nop 0
	buffer_store_dword v78, off, s[20:23], 0 offset:36 ; 4-byte Folded Spill
	buffer_store_dword v79, off, s[20:23], 0 offset:40 ; 4-byte Folded Spill
	;; [unrolled: 1-line block ×3, first 2 shown]
	ds_read2_b64 v[99:102], v125 offset0:66 offset1:67
	buffer_load_dword v73, off, s[20:23], 0 offset:16 ; 4-byte Folded Reload
	buffer_load_dword v74, off, s[20:23], 0 offset:20 ; 4-byte Folded Reload
	;; [unrolled: 1-line block ×4, first 2 shown]
	s_waitcnt lgkmcnt(0)
	v_mul_f64 v[103:104], v[101:102], v[105:106]
	v_fma_f64 v[103:104], v[99:100], v[97:98], -v[103:104]
	v_mul_f64 v[99:100], v[99:100], v[105:106]
	v_fma_f64 v[99:100], v[101:102], v[97:98], v[99:100]
	s_waitcnt vmcnt(2)
	v_add_f64 v[73:74], v[73:74], -v[103:104]
	s_waitcnt vmcnt(0)
	v_add_f64 v[75:76], v[75:76], -v[99:100]
	buffer_store_dword v73, off, s[20:23], 0 offset:16 ; 4-byte Folded Spill
	s_nop 0
	buffer_store_dword v74, off, s[20:23], 0 offset:20 ; 4-byte Folded Spill
	buffer_store_dword v75, off, s[20:23], 0 offset:24 ; 4-byte Folded Spill
	;; [unrolled: 1-line block ×3, first 2 shown]
	v_mov_b32_e32 v76, v72
	v_mov_b32_e32 v75, v71
	;; [unrolled: 1-line block ×4, first 2 shown]
	ds_read2_b64 v[99:102], v125 offset0:68 offset1:69
	buffer_load_dword v69, off, s[20:23], 0 ; 4-byte Folded Reload
	buffer_load_dword v70, off, s[20:23], 0 offset:4 ; 4-byte Folded Reload
	buffer_load_dword v71, off, s[20:23], 0 offset:8 ; 4-byte Folded Reload
	;; [unrolled: 1-line block ×3, first 2 shown]
	s_waitcnt lgkmcnt(0)
	v_mul_f64 v[103:104], v[101:102], v[105:106]
	v_fma_f64 v[103:104], v[99:100], v[97:98], -v[103:104]
	v_mul_f64 v[99:100], v[99:100], v[105:106]
	v_fma_f64 v[99:100], v[101:102], v[97:98], v[99:100]
	s_waitcnt vmcnt(2)
	v_add_f64 v[69:70], v[69:70], -v[103:104]
	s_waitcnt vmcnt(0)
	v_add_f64 v[71:72], v[71:72], -v[99:100]
	buffer_store_dword v69, off, s[20:23], 0 ; 4-byte Folded Spill
	s_nop 0
	buffer_store_dword v70, off, s[20:23], 0 offset:4 ; 4-byte Folded Spill
	buffer_store_dword v71, off, s[20:23], 0 offset:8 ; 4-byte Folded Spill
	buffer_store_dword v72, off, s[20:23], 0 offset:12 ; 4-byte Folded Spill
	ds_read2_b64 v[99:102], v125 offset0:70 offset1:71
	s_waitcnt lgkmcnt(0)
	v_mul_f64 v[103:104], v[101:102], v[105:106]
	v_fma_f64 v[103:104], v[99:100], v[97:98], -v[103:104]
	v_mul_f64 v[99:100], v[99:100], v[105:106]
	v_add_f64 v[65:66], v[65:66], -v[103:104]
	v_fma_f64 v[99:100], v[101:102], v[97:98], v[99:100]
	v_add_f64 v[67:68], v[67:68], -v[99:100]
	ds_read2_b64 v[99:102], v125 offset0:72 offset1:73
	s_waitcnt lgkmcnt(0)
	v_mul_f64 v[103:104], v[101:102], v[105:106]
	v_fma_f64 v[103:104], v[99:100], v[97:98], -v[103:104]
	v_mul_f64 v[99:100], v[99:100], v[105:106]
	v_add_f64 v[61:62], v[61:62], -v[103:104]
	v_fma_f64 v[99:100], v[101:102], v[97:98], v[99:100]
	v_add_f64 v[63:64], v[63:64], -v[99:100]
	;; [unrolled: 8-line block ×16, first 2 shown]
	ds_read2_b64 v[99:102], v125 offset0:102 offset1:103
	s_waitcnt lgkmcnt(0)
	v_mul_f64 v[103:104], v[101:102], v[105:106]
	v_fma_f64 v[103:104], v[99:100], v[97:98], -v[103:104]
	v_mul_f64 v[99:100], v[99:100], v[105:106]
	v_add_f64 v[1:2], v[1:2], -v[103:104]
	v_fma_f64 v[99:100], v[101:102], v[97:98], v[99:100]
	ds_read2_b64 v[101:104], v125 offset0:104 offset1:105
	v_add_f64 v[3:4], v[3:4], -v[99:100]
	s_waitcnt lgkmcnt(0)
	v_mul_f64 v[99:100], v[103:104], v[105:106]
	v_fma_f64 v[99:100], v[101:102], v[97:98], -v[99:100]
	v_mul_f64 v[101:102], v[101:102], v[105:106]
	v_add_f64 v[73:74], v[73:74], -v[99:100]
	v_fma_f64 v[101:102], v[103:104], v[97:98], v[101:102]
	v_mov_b32_e32 v104, v98
	v_mov_b32_e32 v103, v97
	buffer_store_dword v103, off, s[20:23], 0 offset:448 ; 4-byte Folded Spill
	s_nop 0
	buffer_store_dword v104, off, s[20:23], 0 offset:452 ; 4-byte Folded Spill
	buffer_store_dword v105, off, s[20:23], 0 offset:456 ; 4-byte Folded Spill
	;; [unrolled: 1-line block ×3, first 2 shown]
	v_add_f64 v[75:76], v[75:76], -v[101:102]
.LBB105_19:
	s_or_b64 exec, exec, s[2:3]
	v_cmp_eq_u32_e32 vcc, 2, v0
	s_waitcnt vmcnt(0)
	s_barrier
	s_and_saveexec_b64 s[4:5], vcc
	s_cbranch_execz .LBB105_26
; %bb.20:
	buffer_load_dword v69, off, s[20:23], 0 offset:432 ; 4-byte Folded Reload
	buffer_load_dword v70, off, s[20:23], 0 offset:436 ; 4-byte Folded Reload
	buffer_load_dword v71, off, s[20:23], 0 offset:440 ; 4-byte Folded Reload
	buffer_load_dword v72, off, s[20:23], 0 offset:444 ; 4-byte Folded Reload
	s_waitcnt vmcnt(0)
	ds_write2_b64 v127, v[69:70], v[71:72] offset1:1
	buffer_load_dword v69, off, s[20:23], 0 offset:416 ; 4-byte Folded Reload
	buffer_load_dword v70, off, s[20:23], 0 offset:420 ; 4-byte Folded Reload
	buffer_load_dword v71, off, s[20:23], 0 offset:424 ; 4-byte Folded Reload
	buffer_load_dword v72, off, s[20:23], 0 offset:428 ; 4-byte Folded Reload
	s_waitcnt vmcnt(0)
	ds_write2_b64 v125, v[69:70], v[71:72] offset0:6 offset1:7
	buffer_load_dword v69, off, s[20:23], 0 offset:400 ; 4-byte Folded Reload
	buffer_load_dword v70, off, s[20:23], 0 offset:404 ; 4-byte Folded Reload
	buffer_load_dword v71, off, s[20:23], 0 offset:408 ; 4-byte Folded Reload
	buffer_load_dword v72, off, s[20:23], 0 offset:412 ; 4-byte Folded Reload
	s_waitcnt vmcnt(0)
	ds_write2_b64 v125, v[69:70], v[71:72] offset0:8 offset1:9
	;; [unrolled: 6-line block ×24, first 2 shown]
	ds_write2_b64 v125, v[117:118], v[119:120] offset0:54 offset1:55
	ds_write2_b64 v125, v[121:122], v[123:124] offset0:56 offset1:57
	;; [unrolled: 1-line block ×5, first 2 shown]
	buffer_load_dword v77, off, s[20:23], 0 offset:32 ; 4-byte Folded Reload
	buffer_load_dword v78, off, s[20:23], 0 offset:36 ; 4-byte Folded Reload
	;; [unrolled: 1-line block ×4, first 2 shown]
	v_mov_b32_e32 v69, v73
	v_mov_b32_e32 v70, v74
	;; [unrolled: 1-line block ×4, first 2 shown]
	s_waitcnt vmcnt(0)
	ds_write2_b64 v125, v[77:78], v[79:80] offset0:64 offset1:65
	buffer_load_dword v73, off, s[20:23], 0 offset:16 ; 4-byte Folded Reload
	buffer_load_dword v74, off, s[20:23], 0 offset:20 ; 4-byte Folded Reload
	;; [unrolled: 1-line block ×4, first 2 shown]
	s_waitcnt vmcnt(0)
	ds_write2_b64 v125, v[73:74], v[75:76] offset0:66 offset1:67
	v_mov_b32_e32 v76, v72
	v_mov_b32_e32 v75, v71
	;; [unrolled: 1-line block ×4, first 2 shown]
	buffer_load_dword v69, off, s[20:23], 0 ; 4-byte Folded Reload
	buffer_load_dword v70, off, s[20:23], 0 offset:4 ; 4-byte Folded Reload
	buffer_load_dword v71, off, s[20:23], 0 offset:8 ; 4-byte Folded Reload
	;; [unrolled: 1-line block ×3, first 2 shown]
	s_waitcnt vmcnt(0)
	ds_write2_b64 v125, v[69:70], v[71:72] offset0:68 offset1:69
	ds_write2_b64 v125, v[65:66], v[67:68] offset0:70 offset1:71
	;; [unrolled: 1-line block ×19, first 2 shown]
	ds_read2_b64 v[97:100], v127 offset1:1
	s_waitcnt lgkmcnt(0)
	v_cmp_neq_f64_e32 vcc, 0, v[97:98]
	v_cmp_neq_f64_e64 s[2:3], 0, v[99:100]
	s_or_b64 s[2:3], vcc, s[2:3]
	s_and_b64 exec, exec, s[2:3]
	s_cbranch_execz .LBB105_26
; %bb.21:
	v_cmp_ngt_f64_e64 s[2:3], |v[97:98]|, |v[99:100]|
                                        ; implicit-def: $vgpr101_vgpr102
	s_and_saveexec_b64 s[6:7], s[2:3]
	s_xor_b64 s[2:3], exec, s[6:7]
                                        ; implicit-def: $vgpr103_vgpr104
	s_cbranch_execz .LBB105_23
; %bb.22:
	v_div_scale_f64 v[101:102], s[6:7], v[99:100], v[99:100], v[97:98]
	v_rcp_f64_e32 v[103:104], v[101:102]
	v_fma_f64 v[105:106], -v[101:102], v[103:104], 1.0
	v_fma_f64 v[103:104], v[103:104], v[105:106], v[103:104]
	v_div_scale_f64 v[105:106], vcc, v[97:98], v[99:100], v[97:98]
	v_fma_f64 v[107:108], -v[101:102], v[103:104], 1.0
	v_fma_f64 v[103:104], v[103:104], v[107:108], v[103:104]
	v_mul_f64 v[107:108], v[105:106], v[103:104]
	v_fma_f64 v[101:102], -v[101:102], v[107:108], v[105:106]
	v_div_fmas_f64 v[101:102], v[101:102], v[103:104], v[107:108]
	v_div_fixup_f64 v[101:102], v[101:102], v[99:100], v[97:98]
	v_fma_f64 v[97:98], v[97:98], v[101:102], v[99:100]
	v_div_scale_f64 v[99:100], s[6:7], v[97:98], v[97:98], 1.0
	v_div_scale_f64 v[107:108], vcc, 1.0, v[97:98], 1.0
	v_rcp_f64_e32 v[103:104], v[99:100]
	v_fma_f64 v[105:106], -v[99:100], v[103:104], 1.0
	v_fma_f64 v[103:104], v[103:104], v[105:106], v[103:104]
	v_fma_f64 v[105:106], -v[99:100], v[103:104], 1.0
	v_fma_f64 v[103:104], v[103:104], v[105:106], v[103:104]
	v_mul_f64 v[105:106], v[107:108], v[103:104]
	v_fma_f64 v[99:100], -v[99:100], v[105:106], v[107:108]
	v_div_fmas_f64 v[99:100], v[99:100], v[103:104], v[105:106]
	v_div_fixup_f64 v[103:104], v[99:100], v[97:98], 1.0
                                        ; implicit-def: $vgpr97_vgpr98
	v_mul_f64 v[101:102], v[101:102], v[103:104]
	v_xor_b32_e32 v104, 0x80000000, v104
.LBB105_23:
	s_andn2_saveexec_b64 s[2:3], s[2:3]
	s_cbranch_execz .LBB105_25
; %bb.24:
	v_div_scale_f64 v[101:102], s[6:7], v[97:98], v[97:98], v[99:100]
	v_rcp_f64_e32 v[103:104], v[101:102]
	v_fma_f64 v[105:106], -v[101:102], v[103:104], 1.0
	v_fma_f64 v[103:104], v[103:104], v[105:106], v[103:104]
	v_div_scale_f64 v[105:106], vcc, v[99:100], v[97:98], v[99:100]
	v_fma_f64 v[107:108], -v[101:102], v[103:104], 1.0
	v_fma_f64 v[103:104], v[103:104], v[107:108], v[103:104]
	v_mul_f64 v[107:108], v[105:106], v[103:104]
	v_fma_f64 v[101:102], -v[101:102], v[107:108], v[105:106]
	v_div_fmas_f64 v[101:102], v[101:102], v[103:104], v[107:108]
	v_div_fixup_f64 v[103:104], v[101:102], v[97:98], v[99:100]
	v_fma_f64 v[97:98], v[99:100], v[103:104], v[97:98]
	v_div_scale_f64 v[99:100], s[6:7], v[97:98], v[97:98], 1.0
	v_div_scale_f64 v[107:108], vcc, 1.0, v[97:98], 1.0
	v_rcp_f64_e32 v[101:102], v[99:100]
	v_fma_f64 v[105:106], -v[99:100], v[101:102], 1.0
	v_fma_f64 v[101:102], v[101:102], v[105:106], v[101:102]
	v_fma_f64 v[105:106], -v[99:100], v[101:102], 1.0
	v_fma_f64 v[101:102], v[101:102], v[105:106], v[101:102]
	v_mul_f64 v[105:106], v[107:108], v[101:102]
	v_fma_f64 v[99:100], -v[99:100], v[105:106], v[107:108]
	v_div_fmas_f64 v[99:100], v[99:100], v[101:102], v[105:106]
	v_div_fixup_f64 v[101:102], v[99:100], v[97:98], 1.0
	v_mul_f64 v[103:104], v[103:104], -v[101:102]
.LBB105_25:
	s_or_b64 exec, exec, s[2:3]
	ds_write2_b64 v127, v[101:102], v[103:104] offset1:1
.LBB105_26:
	s_or_b64 exec, exec, s[4:5]
	s_waitcnt lgkmcnt(0)
	s_barrier
	ds_read2_b64 v[69:72], v127 offset1:1
	v_cmp_lt_u32_e32 vcc, 2, v0
	s_waitcnt lgkmcnt(0)
	buffer_store_dword v69, off, s[20:23], 0 offset:928 ; 4-byte Folded Spill
	s_nop 0
	buffer_store_dword v70, off, s[20:23], 0 offset:932 ; 4-byte Folded Spill
	buffer_store_dword v71, off, s[20:23], 0 offset:936 ; 4-byte Folded Spill
	;; [unrolled: 1-line block ×3, first 2 shown]
	s_and_saveexec_b64 s[2:3], vcc
	s_cbranch_execz .LBB105_28
; %bb.27:
	buffer_load_dword v103, off, s[20:23], 0 offset:432 ; 4-byte Folded Reload
	buffer_load_dword v104, off, s[20:23], 0 offset:436 ; 4-byte Folded Reload
	;; [unrolled: 1-line block ×8, first 2 shown]
	s_waitcnt vmcnt(2)
	v_mul_f64 v[99:100], v[69:70], v[105:106]
	s_waitcnt vmcnt(0)
	v_mul_f64 v[97:98], v[71:72], v[105:106]
	v_fma_f64 v[105:106], v[71:72], v[103:104], v[99:100]
	ds_read2_b64 v[99:102], v125 offset0:6 offset1:7
	v_fma_f64 v[97:98], v[69:70], v[103:104], -v[97:98]
	buffer_load_dword v69, off, s[20:23], 0 offset:416 ; 4-byte Folded Reload
	buffer_load_dword v70, off, s[20:23], 0 offset:420 ; 4-byte Folded Reload
	buffer_load_dword v71, off, s[20:23], 0 offset:424 ; 4-byte Folded Reload
	buffer_load_dword v72, off, s[20:23], 0 offset:428 ; 4-byte Folded Reload
	s_waitcnt lgkmcnt(0)
	v_mul_f64 v[103:104], v[101:102], v[105:106]
	v_fma_f64 v[103:104], v[99:100], v[97:98], -v[103:104]
	v_mul_f64 v[99:100], v[99:100], v[105:106]
	v_fma_f64 v[99:100], v[101:102], v[97:98], v[99:100]
	s_waitcnt vmcnt(2)
	v_add_f64 v[69:70], v[69:70], -v[103:104]
	s_waitcnt vmcnt(0)
	v_add_f64 v[71:72], v[71:72], -v[99:100]
	buffer_store_dword v69, off, s[20:23], 0 offset:416 ; 4-byte Folded Spill
	s_nop 0
	buffer_store_dword v70, off, s[20:23], 0 offset:420 ; 4-byte Folded Spill
	buffer_store_dword v71, off, s[20:23], 0 offset:424 ; 4-byte Folded Spill
	buffer_store_dword v72, off, s[20:23], 0 offset:428 ; 4-byte Folded Spill
	ds_read2_b64 v[99:102], v125 offset0:8 offset1:9
	buffer_load_dword v69, off, s[20:23], 0 offset:400 ; 4-byte Folded Reload
	buffer_load_dword v70, off, s[20:23], 0 offset:404 ; 4-byte Folded Reload
	buffer_load_dword v71, off, s[20:23], 0 offset:408 ; 4-byte Folded Reload
	buffer_load_dword v72, off, s[20:23], 0 offset:412 ; 4-byte Folded Reload
	s_waitcnt lgkmcnt(0)
	v_mul_f64 v[103:104], v[101:102], v[105:106]
	v_fma_f64 v[103:104], v[99:100], v[97:98], -v[103:104]
	v_mul_f64 v[99:100], v[99:100], v[105:106]
	v_fma_f64 v[99:100], v[101:102], v[97:98], v[99:100]
	s_waitcnt vmcnt(2)
	v_add_f64 v[69:70], v[69:70], -v[103:104]
	s_waitcnt vmcnt(0)
	v_add_f64 v[71:72], v[71:72], -v[99:100]
	buffer_store_dword v69, off, s[20:23], 0 offset:400 ; 4-byte Folded Spill
	s_nop 0
	buffer_store_dword v70, off, s[20:23], 0 offset:404 ; 4-byte Folded Spill
	buffer_store_dword v71, off, s[20:23], 0 offset:408 ; 4-byte Folded Spill
	buffer_store_dword v72, off, s[20:23], 0 offset:412 ; 4-byte Folded Spill
	ds_read2_b64 v[99:102], v125 offset0:10 offset1:11
	;; [unrolled: 19-line block ×24, first 2 shown]
	v_mov_b32_e32 v69, v73
	v_mov_b32_e32 v70, v74
	v_mov_b32_e32 v71, v75
	v_mov_b32_e32 v72, v76
	s_waitcnt lgkmcnt(0)
	v_mul_f64 v[103:104], v[101:102], v[105:106]
	v_fma_f64 v[103:104], v[99:100], v[97:98], -v[103:104]
	v_mul_f64 v[99:100], v[99:100], v[105:106]
	v_add_f64 v[117:118], v[117:118], -v[103:104]
	v_fma_f64 v[99:100], v[101:102], v[97:98], v[99:100]
	v_add_f64 v[119:120], v[119:120], -v[99:100]
	ds_read2_b64 v[99:102], v125 offset0:56 offset1:57
	s_waitcnt lgkmcnt(0)
	v_mul_f64 v[103:104], v[101:102], v[105:106]
	v_fma_f64 v[103:104], v[99:100], v[97:98], -v[103:104]
	v_mul_f64 v[99:100], v[99:100], v[105:106]
	v_add_f64 v[121:122], v[121:122], -v[103:104]
	v_fma_f64 v[99:100], v[101:102], v[97:98], v[99:100]
	v_add_f64 v[123:124], v[123:124], -v[99:100]
	ds_read2_b64 v[99:102], v125 offset0:58 offset1:59
	;; [unrolled: 8-line block ×5, first 2 shown]
	buffer_load_dword v77, off, s[20:23], 0 offset:32 ; 4-byte Folded Reload
	buffer_load_dword v78, off, s[20:23], 0 offset:36 ; 4-byte Folded Reload
	;; [unrolled: 1-line block ×4, first 2 shown]
	s_waitcnt lgkmcnt(0)
	v_mul_f64 v[103:104], v[101:102], v[105:106]
	v_fma_f64 v[103:104], v[99:100], v[97:98], -v[103:104]
	v_mul_f64 v[99:100], v[99:100], v[105:106]
	v_fma_f64 v[99:100], v[101:102], v[97:98], v[99:100]
	s_waitcnt vmcnt(2)
	v_add_f64 v[77:78], v[77:78], -v[103:104]
	s_waitcnt vmcnt(0)
	v_add_f64 v[79:80], v[79:80], -v[99:100]
	buffer_store_dword v77, off, s[20:23], 0 offset:32 ; 4-byte Folded Spill
	s_nop 0
	buffer_store_dword v78, off, s[20:23], 0 offset:36 ; 4-byte Folded Spill
	buffer_store_dword v79, off, s[20:23], 0 offset:40 ; 4-byte Folded Spill
	;; [unrolled: 1-line block ×3, first 2 shown]
	ds_read2_b64 v[99:102], v125 offset0:66 offset1:67
	buffer_load_dword v73, off, s[20:23], 0 offset:16 ; 4-byte Folded Reload
	buffer_load_dword v74, off, s[20:23], 0 offset:20 ; 4-byte Folded Reload
	;; [unrolled: 1-line block ×4, first 2 shown]
	s_waitcnt lgkmcnt(0)
	v_mul_f64 v[103:104], v[101:102], v[105:106]
	v_fma_f64 v[103:104], v[99:100], v[97:98], -v[103:104]
	v_mul_f64 v[99:100], v[99:100], v[105:106]
	v_fma_f64 v[99:100], v[101:102], v[97:98], v[99:100]
	s_waitcnt vmcnt(2)
	v_add_f64 v[73:74], v[73:74], -v[103:104]
	s_waitcnt vmcnt(0)
	v_add_f64 v[75:76], v[75:76], -v[99:100]
	buffer_store_dword v73, off, s[20:23], 0 offset:16 ; 4-byte Folded Spill
	s_nop 0
	buffer_store_dword v74, off, s[20:23], 0 offset:20 ; 4-byte Folded Spill
	buffer_store_dword v75, off, s[20:23], 0 offset:24 ; 4-byte Folded Spill
	;; [unrolled: 1-line block ×3, first 2 shown]
	v_mov_b32_e32 v76, v72
	v_mov_b32_e32 v75, v71
	;; [unrolled: 1-line block ×4, first 2 shown]
	ds_read2_b64 v[99:102], v125 offset0:68 offset1:69
	buffer_load_dword v69, off, s[20:23], 0 ; 4-byte Folded Reload
	buffer_load_dword v70, off, s[20:23], 0 offset:4 ; 4-byte Folded Reload
	buffer_load_dword v71, off, s[20:23], 0 offset:8 ; 4-byte Folded Reload
	;; [unrolled: 1-line block ×3, first 2 shown]
	s_waitcnt lgkmcnt(0)
	v_mul_f64 v[103:104], v[101:102], v[105:106]
	v_fma_f64 v[103:104], v[99:100], v[97:98], -v[103:104]
	v_mul_f64 v[99:100], v[99:100], v[105:106]
	v_fma_f64 v[99:100], v[101:102], v[97:98], v[99:100]
	s_waitcnt vmcnt(2)
	v_add_f64 v[69:70], v[69:70], -v[103:104]
	s_waitcnt vmcnt(0)
	v_add_f64 v[71:72], v[71:72], -v[99:100]
	buffer_store_dword v69, off, s[20:23], 0 ; 4-byte Folded Spill
	s_nop 0
	buffer_store_dword v70, off, s[20:23], 0 offset:4 ; 4-byte Folded Spill
	buffer_store_dword v71, off, s[20:23], 0 offset:8 ; 4-byte Folded Spill
	;; [unrolled: 1-line block ×3, first 2 shown]
	ds_read2_b64 v[99:102], v125 offset0:70 offset1:71
	s_waitcnt lgkmcnt(0)
	v_mul_f64 v[103:104], v[101:102], v[105:106]
	v_fma_f64 v[103:104], v[99:100], v[97:98], -v[103:104]
	v_mul_f64 v[99:100], v[99:100], v[105:106]
	v_add_f64 v[65:66], v[65:66], -v[103:104]
	v_fma_f64 v[99:100], v[101:102], v[97:98], v[99:100]
	v_add_f64 v[67:68], v[67:68], -v[99:100]
	ds_read2_b64 v[99:102], v125 offset0:72 offset1:73
	s_waitcnt lgkmcnt(0)
	v_mul_f64 v[103:104], v[101:102], v[105:106]
	v_fma_f64 v[103:104], v[99:100], v[97:98], -v[103:104]
	v_mul_f64 v[99:100], v[99:100], v[105:106]
	v_add_f64 v[61:62], v[61:62], -v[103:104]
	v_fma_f64 v[99:100], v[101:102], v[97:98], v[99:100]
	v_add_f64 v[63:64], v[63:64], -v[99:100]
	;; [unrolled: 8-line block ×16, first 2 shown]
	ds_read2_b64 v[99:102], v125 offset0:102 offset1:103
	s_waitcnt lgkmcnt(0)
	v_mul_f64 v[103:104], v[101:102], v[105:106]
	v_fma_f64 v[103:104], v[99:100], v[97:98], -v[103:104]
	v_mul_f64 v[99:100], v[99:100], v[105:106]
	v_add_f64 v[1:2], v[1:2], -v[103:104]
	v_fma_f64 v[99:100], v[101:102], v[97:98], v[99:100]
	ds_read2_b64 v[101:104], v125 offset0:104 offset1:105
	v_add_f64 v[3:4], v[3:4], -v[99:100]
	s_waitcnt lgkmcnt(0)
	v_mul_f64 v[99:100], v[103:104], v[105:106]
	v_fma_f64 v[99:100], v[101:102], v[97:98], -v[99:100]
	v_mul_f64 v[101:102], v[101:102], v[105:106]
	v_add_f64 v[73:74], v[73:74], -v[99:100]
	v_fma_f64 v[101:102], v[103:104], v[97:98], v[101:102]
	v_mov_b32_e32 v104, v98
	v_mov_b32_e32 v103, v97
	buffer_store_dword v103, off, s[20:23], 0 offset:432 ; 4-byte Folded Spill
	s_nop 0
	buffer_store_dword v104, off, s[20:23], 0 offset:436 ; 4-byte Folded Spill
	buffer_store_dword v105, off, s[20:23], 0 offset:440 ; 4-byte Folded Spill
	;; [unrolled: 1-line block ×3, first 2 shown]
	v_add_f64 v[75:76], v[75:76], -v[101:102]
.LBB105_28:
	s_or_b64 exec, exec, s[2:3]
	v_cmp_eq_u32_e32 vcc, 3, v0
	s_waitcnt vmcnt(0)
	s_barrier
	s_and_saveexec_b64 s[4:5], vcc
	s_cbranch_execz .LBB105_35
; %bb.29:
	buffer_load_dword v69, off, s[20:23], 0 offset:416 ; 4-byte Folded Reload
	buffer_load_dword v70, off, s[20:23], 0 offset:420 ; 4-byte Folded Reload
	;; [unrolled: 1-line block ×4, first 2 shown]
	s_waitcnt vmcnt(0)
	ds_write2_b64 v127, v[69:70], v[71:72] offset1:1
	buffer_load_dword v69, off, s[20:23], 0 offset:400 ; 4-byte Folded Reload
	buffer_load_dword v70, off, s[20:23], 0 offset:404 ; 4-byte Folded Reload
	buffer_load_dword v71, off, s[20:23], 0 offset:408 ; 4-byte Folded Reload
	buffer_load_dword v72, off, s[20:23], 0 offset:412 ; 4-byte Folded Reload
	s_waitcnt vmcnt(0)
	ds_write2_b64 v125, v[69:70], v[71:72] offset0:8 offset1:9
	buffer_load_dword v69, off, s[20:23], 0 offset:384 ; 4-byte Folded Reload
	buffer_load_dword v70, off, s[20:23], 0 offset:388 ; 4-byte Folded Reload
	buffer_load_dword v71, off, s[20:23], 0 offset:392 ; 4-byte Folded Reload
	buffer_load_dword v72, off, s[20:23], 0 offset:396 ; 4-byte Folded Reload
	s_waitcnt vmcnt(0)
	ds_write2_b64 v125, v[69:70], v[71:72] offset0:10 offset1:11
	;; [unrolled: 6-line block ×23, first 2 shown]
	ds_write2_b64 v125, v[117:118], v[119:120] offset0:54 offset1:55
	ds_write2_b64 v125, v[121:122], v[123:124] offset0:56 offset1:57
	;; [unrolled: 1-line block ×5, first 2 shown]
	buffer_load_dword v77, off, s[20:23], 0 offset:32 ; 4-byte Folded Reload
	buffer_load_dword v78, off, s[20:23], 0 offset:36 ; 4-byte Folded Reload
	;; [unrolled: 1-line block ×4, first 2 shown]
	v_mov_b32_e32 v69, v73
	v_mov_b32_e32 v70, v74
	;; [unrolled: 1-line block ×4, first 2 shown]
	s_waitcnt vmcnt(0)
	ds_write2_b64 v125, v[77:78], v[79:80] offset0:64 offset1:65
	buffer_load_dword v73, off, s[20:23], 0 offset:16 ; 4-byte Folded Reload
	buffer_load_dword v74, off, s[20:23], 0 offset:20 ; 4-byte Folded Reload
	;; [unrolled: 1-line block ×4, first 2 shown]
	s_waitcnt vmcnt(0)
	ds_write2_b64 v125, v[73:74], v[75:76] offset0:66 offset1:67
	v_mov_b32_e32 v76, v72
	v_mov_b32_e32 v75, v71
	;; [unrolled: 1-line block ×4, first 2 shown]
	buffer_load_dword v69, off, s[20:23], 0 ; 4-byte Folded Reload
	buffer_load_dword v70, off, s[20:23], 0 offset:4 ; 4-byte Folded Reload
	buffer_load_dword v71, off, s[20:23], 0 offset:8 ; 4-byte Folded Reload
	;; [unrolled: 1-line block ×3, first 2 shown]
	s_waitcnt vmcnt(0)
	ds_write2_b64 v125, v[69:70], v[71:72] offset0:68 offset1:69
	ds_write2_b64 v125, v[65:66], v[67:68] offset0:70 offset1:71
	;; [unrolled: 1-line block ×19, first 2 shown]
	ds_read2_b64 v[97:100], v127 offset1:1
	s_waitcnt lgkmcnt(0)
	v_cmp_neq_f64_e32 vcc, 0, v[97:98]
	v_cmp_neq_f64_e64 s[2:3], 0, v[99:100]
	s_or_b64 s[2:3], vcc, s[2:3]
	s_and_b64 exec, exec, s[2:3]
	s_cbranch_execz .LBB105_35
; %bb.30:
	v_cmp_ngt_f64_e64 s[2:3], |v[97:98]|, |v[99:100]|
                                        ; implicit-def: $vgpr101_vgpr102
	s_and_saveexec_b64 s[6:7], s[2:3]
	s_xor_b64 s[2:3], exec, s[6:7]
                                        ; implicit-def: $vgpr103_vgpr104
	s_cbranch_execz .LBB105_32
; %bb.31:
	v_div_scale_f64 v[101:102], s[6:7], v[99:100], v[99:100], v[97:98]
	v_rcp_f64_e32 v[103:104], v[101:102]
	v_fma_f64 v[105:106], -v[101:102], v[103:104], 1.0
	v_fma_f64 v[103:104], v[103:104], v[105:106], v[103:104]
	v_div_scale_f64 v[105:106], vcc, v[97:98], v[99:100], v[97:98]
	v_fma_f64 v[107:108], -v[101:102], v[103:104], 1.0
	v_fma_f64 v[103:104], v[103:104], v[107:108], v[103:104]
	v_mul_f64 v[107:108], v[105:106], v[103:104]
	v_fma_f64 v[101:102], -v[101:102], v[107:108], v[105:106]
	v_div_fmas_f64 v[101:102], v[101:102], v[103:104], v[107:108]
	v_div_fixup_f64 v[101:102], v[101:102], v[99:100], v[97:98]
	v_fma_f64 v[97:98], v[97:98], v[101:102], v[99:100]
	v_div_scale_f64 v[99:100], s[6:7], v[97:98], v[97:98], 1.0
	v_div_scale_f64 v[107:108], vcc, 1.0, v[97:98], 1.0
	v_rcp_f64_e32 v[103:104], v[99:100]
	v_fma_f64 v[105:106], -v[99:100], v[103:104], 1.0
	v_fma_f64 v[103:104], v[103:104], v[105:106], v[103:104]
	v_fma_f64 v[105:106], -v[99:100], v[103:104], 1.0
	v_fma_f64 v[103:104], v[103:104], v[105:106], v[103:104]
	v_mul_f64 v[105:106], v[107:108], v[103:104]
	v_fma_f64 v[99:100], -v[99:100], v[105:106], v[107:108]
	v_div_fmas_f64 v[99:100], v[99:100], v[103:104], v[105:106]
	v_div_fixup_f64 v[103:104], v[99:100], v[97:98], 1.0
                                        ; implicit-def: $vgpr97_vgpr98
	v_mul_f64 v[101:102], v[101:102], v[103:104]
	v_xor_b32_e32 v104, 0x80000000, v104
.LBB105_32:
	s_andn2_saveexec_b64 s[2:3], s[2:3]
	s_cbranch_execz .LBB105_34
; %bb.33:
	v_div_scale_f64 v[101:102], s[6:7], v[97:98], v[97:98], v[99:100]
	v_rcp_f64_e32 v[103:104], v[101:102]
	v_fma_f64 v[105:106], -v[101:102], v[103:104], 1.0
	v_fma_f64 v[103:104], v[103:104], v[105:106], v[103:104]
	v_div_scale_f64 v[105:106], vcc, v[99:100], v[97:98], v[99:100]
	v_fma_f64 v[107:108], -v[101:102], v[103:104], 1.0
	v_fma_f64 v[103:104], v[103:104], v[107:108], v[103:104]
	v_mul_f64 v[107:108], v[105:106], v[103:104]
	v_fma_f64 v[101:102], -v[101:102], v[107:108], v[105:106]
	v_div_fmas_f64 v[101:102], v[101:102], v[103:104], v[107:108]
	v_div_fixup_f64 v[103:104], v[101:102], v[97:98], v[99:100]
	v_fma_f64 v[97:98], v[99:100], v[103:104], v[97:98]
	v_div_scale_f64 v[99:100], s[6:7], v[97:98], v[97:98], 1.0
	v_div_scale_f64 v[107:108], vcc, 1.0, v[97:98], 1.0
	v_rcp_f64_e32 v[101:102], v[99:100]
	v_fma_f64 v[105:106], -v[99:100], v[101:102], 1.0
	v_fma_f64 v[101:102], v[101:102], v[105:106], v[101:102]
	v_fma_f64 v[105:106], -v[99:100], v[101:102], 1.0
	v_fma_f64 v[101:102], v[101:102], v[105:106], v[101:102]
	v_mul_f64 v[105:106], v[107:108], v[101:102]
	v_fma_f64 v[99:100], -v[99:100], v[105:106], v[107:108]
	v_div_fmas_f64 v[99:100], v[99:100], v[101:102], v[105:106]
	v_div_fixup_f64 v[101:102], v[99:100], v[97:98], 1.0
	v_mul_f64 v[103:104], v[103:104], -v[101:102]
.LBB105_34:
	s_or_b64 exec, exec, s[2:3]
	ds_write2_b64 v127, v[101:102], v[103:104] offset1:1
.LBB105_35:
	s_or_b64 exec, exec, s[4:5]
	s_waitcnt lgkmcnt(0)
	s_barrier
	ds_read2_b64 v[69:72], v127 offset1:1
	v_cmp_lt_u32_e32 vcc, 3, v0
	s_waitcnt lgkmcnt(0)
	buffer_store_dword v69, off, s[20:23], 0 offset:944 ; 4-byte Folded Spill
	s_nop 0
	buffer_store_dword v70, off, s[20:23], 0 offset:948 ; 4-byte Folded Spill
	buffer_store_dword v71, off, s[20:23], 0 offset:952 ; 4-byte Folded Spill
	;; [unrolled: 1-line block ×3, first 2 shown]
	s_and_saveexec_b64 s[2:3], vcc
	s_cbranch_execz .LBB105_37
; %bb.36:
	buffer_load_dword v103, off, s[20:23], 0 offset:416 ; 4-byte Folded Reload
	buffer_load_dword v104, off, s[20:23], 0 offset:420 ; 4-byte Folded Reload
	;; [unrolled: 1-line block ×8, first 2 shown]
	s_waitcnt vmcnt(2)
	v_mul_f64 v[99:100], v[69:70], v[105:106]
	s_waitcnt vmcnt(0)
	v_mul_f64 v[97:98], v[71:72], v[105:106]
	v_fma_f64 v[105:106], v[71:72], v[103:104], v[99:100]
	ds_read2_b64 v[99:102], v125 offset0:8 offset1:9
	v_fma_f64 v[97:98], v[69:70], v[103:104], -v[97:98]
	buffer_load_dword v69, off, s[20:23], 0 offset:400 ; 4-byte Folded Reload
	buffer_load_dword v70, off, s[20:23], 0 offset:404 ; 4-byte Folded Reload
	buffer_load_dword v71, off, s[20:23], 0 offset:408 ; 4-byte Folded Reload
	buffer_load_dword v72, off, s[20:23], 0 offset:412 ; 4-byte Folded Reload
	s_waitcnt lgkmcnt(0)
	v_mul_f64 v[103:104], v[101:102], v[105:106]
	v_fma_f64 v[103:104], v[99:100], v[97:98], -v[103:104]
	v_mul_f64 v[99:100], v[99:100], v[105:106]
	v_fma_f64 v[99:100], v[101:102], v[97:98], v[99:100]
	s_waitcnt vmcnt(2)
	v_add_f64 v[69:70], v[69:70], -v[103:104]
	s_waitcnt vmcnt(0)
	v_add_f64 v[71:72], v[71:72], -v[99:100]
	buffer_store_dword v69, off, s[20:23], 0 offset:400 ; 4-byte Folded Spill
	s_nop 0
	buffer_store_dword v70, off, s[20:23], 0 offset:404 ; 4-byte Folded Spill
	buffer_store_dword v71, off, s[20:23], 0 offset:408 ; 4-byte Folded Spill
	buffer_store_dword v72, off, s[20:23], 0 offset:412 ; 4-byte Folded Spill
	ds_read2_b64 v[99:102], v125 offset0:10 offset1:11
	buffer_load_dword v69, off, s[20:23], 0 offset:384 ; 4-byte Folded Reload
	buffer_load_dword v70, off, s[20:23], 0 offset:388 ; 4-byte Folded Reload
	buffer_load_dword v71, off, s[20:23], 0 offset:392 ; 4-byte Folded Reload
	buffer_load_dword v72, off, s[20:23], 0 offset:396 ; 4-byte Folded Reload
	s_waitcnt lgkmcnt(0)
	v_mul_f64 v[103:104], v[101:102], v[105:106]
	v_fma_f64 v[103:104], v[99:100], v[97:98], -v[103:104]
	v_mul_f64 v[99:100], v[99:100], v[105:106]
	v_fma_f64 v[99:100], v[101:102], v[97:98], v[99:100]
	s_waitcnt vmcnt(2)
	v_add_f64 v[69:70], v[69:70], -v[103:104]
	s_waitcnt vmcnt(0)
	v_add_f64 v[71:72], v[71:72], -v[99:100]
	buffer_store_dword v69, off, s[20:23], 0 offset:384 ; 4-byte Folded Spill
	s_nop 0
	buffer_store_dword v70, off, s[20:23], 0 offset:388 ; 4-byte Folded Spill
	buffer_store_dword v71, off, s[20:23], 0 offset:392 ; 4-byte Folded Spill
	buffer_store_dword v72, off, s[20:23], 0 offset:396 ; 4-byte Folded Spill
	ds_read2_b64 v[99:102], v125 offset0:12 offset1:13
	;; [unrolled: 19-line block ×23, first 2 shown]
	v_mov_b32_e32 v69, v73
	v_mov_b32_e32 v70, v74
	;; [unrolled: 1-line block ×4, first 2 shown]
	s_waitcnt lgkmcnt(0)
	v_mul_f64 v[103:104], v[101:102], v[105:106]
	v_fma_f64 v[103:104], v[99:100], v[97:98], -v[103:104]
	v_mul_f64 v[99:100], v[99:100], v[105:106]
	v_add_f64 v[117:118], v[117:118], -v[103:104]
	v_fma_f64 v[99:100], v[101:102], v[97:98], v[99:100]
	v_add_f64 v[119:120], v[119:120], -v[99:100]
	ds_read2_b64 v[99:102], v125 offset0:56 offset1:57
	s_waitcnt lgkmcnt(0)
	v_mul_f64 v[103:104], v[101:102], v[105:106]
	v_fma_f64 v[103:104], v[99:100], v[97:98], -v[103:104]
	v_mul_f64 v[99:100], v[99:100], v[105:106]
	v_add_f64 v[121:122], v[121:122], -v[103:104]
	v_fma_f64 v[99:100], v[101:102], v[97:98], v[99:100]
	v_add_f64 v[123:124], v[123:124], -v[99:100]
	ds_read2_b64 v[99:102], v125 offset0:58 offset1:59
	;; [unrolled: 8-line block ×5, first 2 shown]
	buffer_load_dword v77, off, s[20:23], 0 offset:32 ; 4-byte Folded Reload
	buffer_load_dword v78, off, s[20:23], 0 offset:36 ; 4-byte Folded Reload
	;; [unrolled: 1-line block ×4, first 2 shown]
	s_waitcnt lgkmcnt(0)
	v_mul_f64 v[103:104], v[101:102], v[105:106]
	v_fma_f64 v[103:104], v[99:100], v[97:98], -v[103:104]
	v_mul_f64 v[99:100], v[99:100], v[105:106]
	v_fma_f64 v[99:100], v[101:102], v[97:98], v[99:100]
	s_waitcnt vmcnt(2)
	v_add_f64 v[77:78], v[77:78], -v[103:104]
	s_waitcnt vmcnt(0)
	v_add_f64 v[79:80], v[79:80], -v[99:100]
	buffer_store_dword v77, off, s[20:23], 0 offset:32 ; 4-byte Folded Spill
	s_nop 0
	buffer_store_dword v78, off, s[20:23], 0 offset:36 ; 4-byte Folded Spill
	buffer_store_dword v79, off, s[20:23], 0 offset:40 ; 4-byte Folded Spill
	;; [unrolled: 1-line block ×3, first 2 shown]
	ds_read2_b64 v[99:102], v125 offset0:66 offset1:67
	buffer_load_dword v73, off, s[20:23], 0 offset:16 ; 4-byte Folded Reload
	buffer_load_dword v74, off, s[20:23], 0 offset:20 ; 4-byte Folded Reload
	;; [unrolled: 1-line block ×4, first 2 shown]
	s_waitcnt lgkmcnt(0)
	v_mul_f64 v[103:104], v[101:102], v[105:106]
	v_fma_f64 v[103:104], v[99:100], v[97:98], -v[103:104]
	v_mul_f64 v[99:100], v[99:100], v[105:106]
	v_fma_f64 v[99:100], v[101:102], v[97:98], v[99:100]
	s_waitcnt vmcnt(2)
	v_add_f64 v[73:74], v[73:74], -v[103:104]
	s_waitcnt vmcnt(0)
	v_add_f64 v[75:76], v[75:76], -v[99:100]
	buffer_store_dword v73, off, s[20:23], 0 offset:16 ; 4-byte Folded Spill
	s_nop 0
	buffer_store_dword v74, off, s[20:23], 0 offset:20 ; 4-byte Folded Spill
	buffer_store_dword v75, off, s[20:23], 0 offset:24 ; 4-byte Folded Spill
	;; [unrolled: 1-line block ×3, first 2 shown]
	v_mov_b32_e32 v76, v72
	v_mov_b32_e32 v75, v71
	;; [unrolled: 1-line block ×4, first 2 shown]
	ds_read2_b64 v[99:102], v125 offset0:68 offset1:69
	buffer_load_dword v69, off, s[20:23], 0 ; 4-byte Folded Reload
	buffer_load_dword v70, off, s[20:23], 0 offset:4 ; 4-byte Folded Reload
	buffer_load_dword v71, off, s[20:23], 0 offset:8 ; 4-byte Folded Reload
	;; [unrolled: 1-line block ×3, first 2 shown]
	s_waitcnt lgkmcnt(0)
	v_mul_f64 v[103:104], v[101:102], v[105:106]
	v_fma_f64 v[103:104], v[99:100], v[97:98], -v[103:104]
	v_mul_f64 v[99:100], v[99:100], v[105:106]
	v_fma_f64 v[99:100], v[101:102], v[97:98], v[99:100]
	s_waitcnt vmcnt(2)
	v_add_f64 v[69:70], v[69:70], -v[103:104]
	s_waitcnt vmcnt(0)
	v_add_f64 v[71:72], v[71:72], -v[99:100]
	buffer_store_dword v69, off, s[20:23], 0 ; 4-byte Folded Spill
	s_nop 0
	buffer_store_dword v70, off, s[20:23], 0 offset:4 ; 4-byte Folded Spill
	buffer_store_dword v71, off, s[20:23], 0 offset:8 ; 4-byte Folded Spill
	;; [unrolled: 1-line block ×3, first 2 shown]
	ds_read2_b64 v[99:102], v125 offset0:70 offset1:71
	s_waitcnt lgkmcnt(0)
	v_mul_f64 v[103:104], v[101:102], v[105:106]
	v_fma_f64 v[103:104], v[99:100], v[97:98], -v[103:104]
	v_mul_f64 v[99:100], v[99:100], v[105:106]
	v_add_f64 v[65:66], v[65:66], -v[103:104]
	v_fma_f64 v[99:100], v[101:102], v[97:98], v[99:100]
	v_add_f64 v[67:68], v[67:68], -v[99:100]
	ds_read2_b64 v[99:102], v125 offset0:72 offset1:73
	s_waitcnt lgkmcnt(0)
	v_mul_f64 v[103:104], v[101:102], v[105:106]
	v_fma_f64 v[103:104], v[99:100], v[97:98], -v[103:104]
	v_mul_f64 v[99:100], v[99:100], v[105:106]
	v_add_f64 v[61:62], v[61:62], -v[103:104]
	v_fma_f64 v[99:100], v[101:102], v[97:98], v[99:100]
	v_add_f64 v[63:64], v[63:64], -v[99:100]
	;; [unrolled: 8-line block ×16, first 2 shown]
	ds_read2_b64 v[99:102], v125 offset0:102 offset1:103
	s_waitcnt lgkmcnt(0)
	v_mul_f64 v[103:104], v[101:102], v[105:106]
	v_fma_f64 v[103:104], v[99:100], v[97:98], -v[103:104]
	v_mul_f64 v[99:100], v[99:100], v[105:106]
	v_add_f64 v[1:2], v[1:2], -v[103:104]
	v_fma_f64 v[99:100], v[101:102], v[97:98], v[99:100]
	ds_read2_b64 v[101:104], v125 offset0:104 offset1:105
	v_add_f64 v[3:4], v[3:4], -v[99:100]
	s_waitcnt lgkmcnt(0)
	v_mul_f64 v[99:100], v[103:104], v[105:106]
	v_fma_f64 v[99:100], v[101:102], v[97:98], -v[99:100]
	v_mul_f64 v[101:102], v[101:102], v[105:106]
	v_add_f64 v[73:74], v[73:74], -v[99:100]
	v_fma_f64 v[101:102], v[103:104], v[97:98], v[101:102]
	v_mov_b32_e32 v104, v98
	v_mov_b32_e32 v103, v97
	buffer_store_dword v103, off, s[20:23], 0 offset:416 ; 4-byte Folded Spill
	s_nop 0
	buffer_store_dword v104, off, s[20:23], 0 offset:420 ; 4-byte Folded Spill
	buffer_store_dword v105, off, s[20:23], 0 offset:424 ; 4-byte Folded Spill
	;; [unrolled: 1-line block ×3, first 2 shown]
	v_add_f64 v[75:76], v[75:76], -v[101:102]
.LBB105_37:
	s_or_b64 exec, exec, s[2:3]
	v_cmp_eq_u32_e32 vcc, 4, v0
	s_waitcnt vmcnt(0)
	s_barrier
	s_and_saveexec_b64 s[4:5], vcc
	s_cbranch_execz .LBB105_44
; %bb.38:
	buffer_load_dword v69, off, s[20:23], 0 offset:400 ; 4-byte Folded Reload
	buffer_load_dword v70, off, s[20:23], 0 offset:404 ; 4-byte Folded Reload
	;; [unrolled: 1-line block ×4, first 2 shown]
	s_waitcnt vmcnt(0)
	ds_write2_b64 v127, v[69:70], v[71:72] offset1:1
	buffer_load_dword v69, off, s[20:23], 0 offset:384 ; 4-byte Folded Reload
	buffer_load_dword v70, off, s[20:23], 0 offset:388 ; 4-byte Folded Reload
	buffer_load_dword v71, off, s[20:23], 0 offset:392 ; 4-byte Folded Reload
	buffer_load_dword v72, off, s[20:23], 0 offset:396 ; 4-byte Folded Reload
	s_waitcnt vmcnt(0)
	ds_write2_b64 v125, v[69:70], v[71:72] offset0:10 offset1:11
	buffer_load_dword v69, off, s[20:23], 0 offset:368 ; 4-byte Folded Reload
	buffer_load_dword v70, off, s[20:23], 0 offset:372 ; 4-byte Folded Reload
	buffer_load_dword v71, off, s[20:23], 0 offset:376 ; 4-byte Folded Reload
	buffer_load_dword v72, off, s[20:23], 0 offset:380 ; 4-byte Folded Reload
	s_waitcnt vmcnt(0)
	ds_write2_b64 v125, v[69:70], v[71:72] offset0:12 offset1:13
	;; [unrolled: 6-line block ×22, first 2 shown]
	ds_write2_b64 v125, v[117:118], v[119:120] offset0:54 offset1:55
	ds_write2_b64 v125, v[121:122], v[123:124] offset0:56 offset1:57
	ds_write2_b64 v125, v[109:110], v[111:112] offset0:58 offset1:59
	ds_write2_b64 v125, v[113:114], v[115:116] offset0:60 offset1:61
	ds_write2_b64 v125, v[93:94], v[95:96] offset0:62 offset1:63
	buffer_load_dword v77, off, s[20:23], 0 offset:32 ; 4-byte Folded Reload
	buffer_load_dword v78, off, s[20:23], 0 offset:36 ; 4-byte Folded Reload
	;; [unrolled: 1-line block ×4, first 2 shown]
	v_mov_b32_e32 v69, v73
	v_mov_b32_e32 v70, v74
	;; [unrolled: 1-line block ×4, first 2 shown]
	s_waitcnt vmcnt(0)
	ds_write2_b64 v125, v[77:78], v[79:80] offset0:64 offset1:65
	buffer_load_dword v73, off, s[20:23], 0 offset:16 ; 4-byte Folded Reload
	buffer_load_dword v74, off, s[20:23], 0 offset:20 ; 4-byte Folded Reload
	;; [unrolled: 1-line block ×4, first 2 shown]
	s_waitcnt vmcnt(0)
	ds_write2_b64 v125, v[73:74], v[75:76] offset0:66 offset1:67
	v_mov_b32_e32 v76, v72
	v_mov_b32_e32 v75, v71
	;; [unrolled: 1-line block ×4, first 2 shown]
	buffer_load_dword v69, off, s[20:23], 0 ; 4-byte Folded Reload
	buffer_load_dword v70, off, s[20:23], 0 offset:4 ; 4-byte Folded Reload
	buffer_load_dword v71, off, s[20:23], 0 offset:8 ; 4-byte Folded Reload
	;; [unrolled: 1-line block ×3, first 2 shown]
	s_waitcnt vmcnt(0)
	ds_write2_b64 v125, v[69:70], v[71:72] offset0:68 offset1:69
	ds_write2_b64 v125, v[65:66], v[67:68] offset0:70 offset1:71
	;; [unrolled: 1-line block ×19, first 2 shown]
	ds_read2_b64 v[97:100], v127 offset1:1
	s_waitcnt lgkmcnt(0)
	v_cmp_neq_f64_e32 vcc, 0, v[97:98]
	v_cmp_neq_f64_e64 s[2:3], 0, v[99:100]
	s_or_b64 s[2:3], vcc, s[2:3]
	s_and_b64 exec, exec, s[2:3]
	s_cbranch_execz .LBB105_44
; %bb.39:
	v_cmp_ngt_f64_e64 s[2:3], |v[97:98]|, |v[99:100]|
                                        ; implicit-def: $vgpr101_vgpr102
	s_and_saveexec_b64 s[6:7], s[2:3]
	s_xor_b64 s[2:3], exec, s[6:7]
                                        ; implicit-def: $vgpr103_vgpr104
	s_cbranch_execz .LBB105_41
; %bb.40:
	v_div_scale_f64 v[101:102], s[6:7], v[99:100], v[99:100], v[97:98]
	v_rcp_f64_e32 v[103:104], v[101:102]
	v_fma_f64 v[105:106], -v[101:102], v[103:104], 1.0
	v_fma_f64 v[103:104], v[103:104], v[105:106], v[103:104]
	v_div_scale_f64 v[105:106], vcc, v[97:98], v[99:100], v[97:98]
	v_fma_f64 v[107:108], -v[101:102], v[103:104], 1.0
	v_fma_f64 v[103:104], v[103:104], v[107:108], v[103:104]
	v_mul_f64 v[107:108], v[105:106], v[103:104]
	v_fma_f64 v[101:102], -v[101:102], v[107:108], v[105:106]
	v_div_fmas_f64 v[101:102], v[101:102], v[103:104], v[107:108]
	v_div_fixup_f64 v[101:102], v[101:102], v[99:100], v[97:98]
	v_fma_f64 v[97:98], v[97:98], v[101:102], v[99:100]
	v_div_scale_f64 v[99:100], s[6:7], v[97:98], v[97:98], 1.0
	v_div_scale_f64 v[107:108], vcc, 1.0, v[97:98], 1.0
	v_rcp_f64_e32 v[103:104], v[99:100]
	v_fma_f64 v[105:106], -v[99:100], v[103:104], 1.0
	v_fma_f64 v[103:104], v[103:104], v[105:106], v[103:104]
	v_fma_f64 v[105:106], -v[99:100], v[103:104], 1.0
	v_fma_f64 v[103:104], v[103:104], v[105:106], v[103:104]
	v_mul_f64 v[105:106], v[107:108], v[103:104]
	v_fma_f64 v[99:100], -v[99:100], v[105:106], v[107:108]
	v_div_fmas_f64 v[99:100], v[99:100], v[103:104], v[105:106]
	v_div_fixup_f64 v[103:104], v[99:100], v[97:98], 1.0
                                        ; implicit-def: $vgpr97_vgpr98
	v_mul_f64 v[101:102], v[101:102], v[103:104]
	v_xor_b32_e32 v104, 0x80000000, v104
.LBB105_41:
	s_andn2_saveexec_b64 s[2:3], s[2:3]
	s_cbranch_execz .LBB105_43
; %bb.42:
	v_div_scale_f64 v[101:102], s[6:7], v[97:98], v[97:98], v[99:100]
	v_rcp_f64_e32 v[103:104], v[101:102]
	v_fma_f64 v[105:106], -v[101:102], v[103:104], 1.0
	v_fma_f64 v[103:104], v[103:104], v[105:106], v[103:104]
	v_div_scale_f64 v[105:106], vcc, v[99:100], v[97:98], v[99:100]
	v_fma_f64 v[107:108], -v[101:102], v[103:104], 1.0
	v_fma_f64 v[103:104], v[103:104], v[107:108], v[103:104]
	v_mul_f64 v[107:108], v[105:106], v[103:104]
	v_fma_f64 v[101:102], -v[101:102], v[107:108], v[105:106]
	v_div_fmas_f64 v[101:102], v[101:102], v[103:104], v[107:108]
	v_div_fixup_f64 v[103:104], v[101:102], v[97:98], v[99:100]
	v_fma_f64 v[97:98], v[99:100], v[103:104], v[97:98]
	v_div_scale_f64 v[99:100], s[6:7], v[97:98], v[97:98], 1.0
	v_div_scale_f64 v[107:108], vcc, 1.0, v[97:98], 1.0
	v_rcp_f64_e32 v[101:102], v[99:100]
	v_fma_f64 v[105:106], -v[99:100], v[101:102], 1.0
	v_fma_f64 v[101:102], v[101:102], v[105:106], v[101:102]
	v_fma_f64 v[105:106], -v[99:100], v[101:102], 1.0
	v_fma_f64 v[101:102], v[101:102], v[105:106], v[101:102]
	v_mul_f64 v[105:106], v[107:108], v[101:102]
	v_fma_f64 v[99:100], -v[99:100], v[105:106], v[107:108]
	v_div_fmas_f64 v[99:100], v[99:100], v[101:102], v[105:106]
	v_div_fixup_f64 v[101:102], v[99:100], v[97:98], 1.0
	v_mul_f64 v[103:104], v[103:104], -v[101:102]
.LBB105_43:
	s_or_b64 exec, exec, s[2:3]
	ds_write2_b64 v127, v[101:102], v[103:104] offset1:1
.LBB105_44:
	s_or_b64 exec, exec, s[4:5]
	s_waitcnt lgkmcnt(0)
	s_barrier
	ds_read2_b64 v[69:72], v127 offset1:1
	v_cmp_lt_u32_e32 vcc, 4, v0
	s_waitcnt lgkmcnt(0)
	buffer_store_dword v69, off, s[20:23], 0 offset:960 ; 4-byte Folded Spill
	s_nop 0
	buffer_store_dword v70, off, s[20:23], 0 offset:964 ; 4-byte Folded Spill
	buffer_store_dword v71, off, s[20:23], 0 offset:968 ; 4-byte Folded Spill
	;; [unrolled: 1-line block ×3, first 2 shown]
	s_and_saveexec_b64 s[2:3], vcc
	s_cbranch_execz .LBB105_46
; %bb.45:
	buffer_load_dword v103, off, s[20:23], 0 offset:400 ; 4-byte Folded Reload
	buffer_load_dword v104, off, s[20:23], 0 offset:404 ; 4-byte Folded Reload
	;; [unrolled: 1-line block ×8, first 2 shown]
	s_waitcnt vmcnt(2)
	v_mul_f64 v[99:100], v[69:70], v[105:106]
	s_waitcnt vmcnt(0)
	v_mul_f64 v[97:98], v[71:72], v[105:106]
	v_fma_f64 v[105:106], v[71:72], v[103:104], v[99:100]
	ds_read2_b64 v[99:102], v125 offset0:10 offset1:11
	v_fma_f64 v[97:98], v[69:70], v[103:104], -v[97:98]
	buffer_load_dword v69, off, s[20:23], 0 offset:384 ; 4-byte Folded Reload
	buffer_load_dword v70, off, s[20:23], 0 offset:388 ; 4-byte Folded Reload
	buffer_load_dword v71, off, s[20:23], 0 offset:392 ; 4-byte Folded Reload
	buffer_load_dword v72, off, s[20:23], 0 offset:396 ; 4-byte Folded Reload
	s_waitcnt lgkmcnt(0)
	v_mul_f64 v[103:104], v[101:102], v[105:106]
	v_fma_f64 v[103:104], v[99:100], v[97:98], -v[103:104]
	v_mul_f64 v[99:100], v[99:100], v[105:106]
	v_fma_f64 v[99:100], v[101:102], v[97:98], v[99:100]
	s_waitcnt vmcnt(2)
	v_add_f64 v[69:70], v[69:70], -v[103:104]
	s_waitcnt vmcnt(0)
	v_add_f64 v[71:72], v[71:72], -v[99:100]
	buffer_store_dword v69, off, s[20:23], 0 offset:384 ; 4-byte Folded Spill
	s_nop 0
	buffer_store_dword v70, off, s[20:23], 0 offset:388 ; 4-byte Folded Spill
	buffer_store_dword v71, off, s[20:23], 0 offset:392 ; 4-byte Folded Spill
	buffer_store_dword v72, off, s[20:23], 0 offset:396 ; 4-byte Folded Spill
	ds_read2_b64 v[99:102], v125 offset0:12 offset1:13
	buffer_load_dword v69, off, s[20:23], 0 offset:368 ; 4-byte Folded Reload
	buffer_load_dword v70, off, s[20:23], 0 offset:372 ; 4-byte Folded Reload
	buffer_load_dword v71, off, s[20:23], 0 offset:376 ; 4-byte Folded Reload
	buffer_load_dword v72, off, s[20:23], 0 offset:380 ; 4-byte Folded Reload
	s_waitcnt lgkmcnt(0)
	v_mul_f64 v[103:104], v[101:102], v[105:106]
	v_fma_f64 v[103:104], v[99:100], v[97:98], -v[103:104]
	v_mul_f64 v[99:100], v[99:100], v[105:106]
	v_fma_f64 v[99:100], v[101:102], v[97:98], v[99:100]
	s_waitcnt vmcnt(2)
	v_add_f64 v[69:70], v[69:70], -v[103:104]
	s_waitcnt vmcnt(0)
	v_add_f64 v[71:72], v[71:72], -v[99:100]
	buffer_store_dword v69, off, s[20:23], 0 offset:368 ; 4-byte Folded Spill
	s_nop 0
	buffer_store_dword v70, off, s[20:23], 0 offset:372 ; 4-byte Folded Spill
	buffer_store_dword v71, off, s[20:23], 0 offset:376 ; 4-byte Folded Spill
	buffer_store_dword v72, off, s[20:23], 0 offset:380 ; 4-byte Folded Spill
	ds_read2_b64 v[99:102], v125 offset0:14 offset1:15
	;; [unrolled: 19-line block ×22, first 2 shown]
	v_mov_b32_e32 v69, v73
	v_mov_b32_e32 v70, v74
	;; [unrolled: 1-line block ×4, first 2 shown]
	s_waitcnt lgkmcnt(0)
	v_mul_f64 v[103:104], v[101:102], v[105:106]
	v_fma_f64 v[103:104], v[99:100], v[97:98], -v[103:104]
	v_mul_f64 v[99:100], v[99:100], v[105:106]
	v_add_f64 v[117:118], v[117:118], -v[103:104]
	v_fma_f64 v[99:100], v[101:102], v[97:98], v[99:100]
	v_add_f64 v[119:120], v[119:120], -v[99:100]
	ds_read2_b64 v[99:102], v125 offset0:56 offset1:57
	s_waitcnt lgkmcnt(0)
	v_mul_f64 v[103:104], v[101:102], v[105:106]
	v_fma_f64 v[103:104], v[99:100], v[97:98], -v[103:104]
	v_mul_f64 v[99:100], v[99:100], v[105:106]
	v_add_f64 v[121:122], v[121:122], -v[103:104]
	v_fma_f64 v[99:100], v[101:102], v[97:98], v[99:100]
	v_add_f64 v[123:124], v[123:124], -v[99:100]
	ds_read2_b64 v[99:102], v125 offset0:58 offset1:59
	;; [unrolled: 8-line block ×5, first 2 shown]
	buffer_load_dword v77, off, s[20:23], 0 offset:32 ; 4-byte Folded Reload
	buffer_load_dword v78, off, s[20:23], 0 offset:36 ; 4-byte Folded Reload
	;; [unrolled: 1-line block ×4, first 2 shown]
	s_waitcnt lgkmcnt(0)
	v_mul_f64 v[103:104], v[101:102], v[105:106]
	v_fma_f64 v[103:104], v[99:100], v[97:98], -v[103:104]
	v_mul_f64 v[99:100], v[99:100], v[105:106]
	v_fma_f64 v[99:100], v[101:102], v[97:98], v[99:100]
	s_waitcnt vmcnt(2)
	v_add_f64 v[77:78], v[77:78], -v[103:104]
	s_waitcnt vmcnt(0)
	v_add_f64 v[79:80], v[79:80], -v[99:100]
	buffer_store_dword v77, off, s[20:23], 0 offset:32 ; 4-byte Folded Spill
	s_nop 0
	buffer_store_dword v78, off, s[20:23], 0 offset:36 ; 4-byte Folded Spill
	buffer_store_dword v79, off, s[20:23], 0 offset:40 ; 4-byte Folded Spill
	buffer_store_dword v80, off, s[20:23], 0 offset:44 ; 4-byte Folded Spill
	ds_read2_b64 v[99:102], v125 offset0:66 offset1:67
	buffer_load_dword v73, off, s[20:23], 0 offset:16 ; 4-byte Folded Reload
	buffer_load_dword v74, off, s[20:23], 0 offset:20 ; 4-byte Folded Reload
	buffer_load_dword v75, off, s[20:23], 0 offset:24 ; 4-byte Folded Reload
	buffer_load_dword v76, off, s[20:23], 0 offset:28 ; 4-byte Folded Reload
	s_waitcnt lgkmcnt(0)
	v_mul_f64 v[103:104], v[101:102], v[105:106]
	v_fma_f64 v[103:104], v[99:100], v[97:98], -v[103:104]
	v_mul_f64 v[99:100], v[99:100], v[105:106]
	v_fma_f64 v[99:100], v[101:102], v[97:98], v[99:100]
	s_waitcnt vmcnt(2)
	v_add_f64 v[73:74], v[73:74], -v[103:104]
	s_waitcnt vmcnt(0)
	v_add_f64 v[75:76], v[75:76], -v[99:100]
	buffer_store_dword v73, off, s[20:23], 0 offset:16 ; 4-byte Folded Spill
	s_nop 0
	buffer_store_dword v74, off, s[20:23], 0 offset:20 ; 4-byte Folded Spill
	buffer_store_dword v75, off, s[20:23], 0 offset:24 ; 4-byte Folded Spill
	;; [unrolled: 1-line block ×3, first 2 shown]
	v_mov_b32_e32 v76, v72
	v_mov_b32_e32 v75, v71
	;; [unrolled: 1-line block ×4, first 2 shown]
	ds_read2_b64 v[99:102], v125 offset0:68 offset1:69
	buffer_load_dword v69, off, s[20:23], 0 ; 4-byte Folded Reload
	buffer_load_dword v70, off, s[20:23], 0 offset:4 ; 4-byte Folded Reload
	buffer_load_dword v71, off, s[20:23], 0 offset:8 ; 4-byte Folded Reload
	;; [unrolled: 1-line block ×3, first 2 shown]
	s_waitcnt lgkmcnt(0)
	v_mul_f64 v[103:104], v[101:102], v[105:106]
	v_fma_f64 v[103:104], v[99:100], v[97:98], -v[103:104]
	v_mul_f64 v[99:100], v[99:100], v[105:106]
	v_fma_f64 v[99:100], v[101:102], v[97:98], v[99:100]
	s_waitcnt vmcnt(2)
	v_add_f64 v[69:70], v[69:70], -v[103:104]
	s_waitcnt vmcnt(0)
	v_add_f64 v[71:72], v[71:72], -v[99:100]
	buffer_store_dword v69, off, s[20:23], 0 ; 4-byte Folded Spill
	s_nop 0
	buffer_store_dword v70, off, s[20:23], 0 offset:4 ; 4-byte Folded Spill
	buffer_store_dword v71, off, s[20:23], 0 offset:8 ; 4-byte Folded Spill
	;; [unrolled: 1-line block ×3, first 2 shown]
	ds_read2_b64 v[99:102], v125 offset0:70 offset1:71
	s_waitcnt lgkmcnt(0)
	v_mul_f64 v[103:104], v[101:102], v[105:106]
	v_fma_f64 v[103:104], v[99:100], v[97:98], -v[103:104]
	v_mul_f64 v[99:100], v[99:100], v[105:106]
	v_add_f64 v[65:66], v[65:66], -v[103:104]
	v_fma_f64 v[99:100], v[101:102], v[97:98], v[99:100]
	v_add_f64 v[67:68], v[67:68], -v[99:100]
	ds_read2_b64 v[99:102], v125 offset0:72 offset1:73
	s_waitcnt lgkmcnt(0)
	v_mul_f64 v[103:104], v[101:102], v[105:106]
	v_fma_f64 v[103:104], v[99:100], v[97:98], -v[103:104]
	v_mul_f64 v[99:100], v[99:100], v[105:106]
	v_add_f64 v[61:62], v[61:62], -v[103:104]
	v_fma_f64 v[99:100], v[101:102], v[97:98], v[99:100]
	v_add_f64 v[63:64], v[63:64], -v[99:100]
	;; [unrolled: 8-line block ×16, first 2 shown]
	ds_read2_b64 v[99:102], v125 offset0:102 offset1:103
	s_waitcnt lgkmcnt(0)
	v_mul_f64 v[103:104], v[101:102], v[105:106]
	v_fma_f64 v[103:104], v[99:100], v[97:98], -v[103:104]
	v_mul_f64 v[99:100], v[99:100], v[105:106]
	v_add_f64 v[1:2], v[1:2], -v[103:104]
	v_fma_f64 v[99:100], v[101:102], v[97:98], v[99:100]
	ds_read2_b64 v[101:104], v125 offset0:104 offset1:105
	v_add_f64 v[3:4], v[3:4], -v[99:100]
	s_waitcnt lgkmcnt(0)
	v_mul_f64 v[99:100], v[103:104], v[105:106]
	v_fma_f64 v[99:100], v[101:102], v[97:98], -v[99:100]
	v_mul_f64 v[101:102], v[101:102], v[105:106]
	v_add_f64 v[73:74], v[73:74], -v[99:100]
	v_fma_f64 v[101:102], v[103:104], v[97:98], v[101:102]
	v_mov_b32_e32 v104, v98
	v_mov_b32_e32 v103, v97
	buffer_store_dword v103, off, s[20:23], 0 offset:400 ; 4-byte Folded Spill
	s_nop 0
	buffer_store_dword v104, off, s[20:23], 0 offset:404 ; 4-byte Folded Spill
	buffer_store_dword v105, off, s[20:23], 0 offset:408 ; 4-byte Folded Spill
	;; [unrolled: 1-line block ×3, first 2 shown]
	v_add_f64 v[75:76], v[75:76], -v[101:102]
.LBB105_46:
	s_or_b64 exec, exec, s[2:3]
	v_cmp_eq_u32_e32 vcc, 5, v0
	s_waitcnt vmcnt(0)
	s_barrier
	s_and_saveexec_b64 s[4:5], vcc
	s_cbranch_execz .LBB105_53
; %bb.47:
	buffer_load_dword v69, off, s[20:23], 0 offset:384 ; 4-byte Folded Reload
	buffer_load_dword v70, off, s[20:23], 0 offset:388 ; 4-byte Folded Reload
	buffer_load_dword v71, off, s[20:23], 0 offset:392 ; 4-byte Folded Reload
	buffer_load_dword v72, off, s[20:23], 0 offset:396 ; 4-byte Folded Reload
	s_waitcnt vmcnt(0)
	ds_write2_b64 v127, v[69:70], v[71:72] offset1:1
	buffer_load_dword v69, off, s[20:23], 0 offset:368 ; 4-byte Folded Reload
	buffer_load_dword v70, off, s[20:23], 0 offset:372 ; 4-byte Folded Reload
	buffer_load_dword v71, off, s[20:23], 0 offset:376 ; 4-byte Folded Reload
	buffer_load_dword v72, off, s[20:23], 0 offset:380 ; 4-byte Folded Reload
	s_waitcnt vmcnt(0)
	ds_write2_b64 v125, v[69:70], v[71:72] offset0:12 offset1:13
	buffer_load_dword v69, off, s[20:23], 0 offset:352 ; 4-byte Folded Reload
	buffer_load_dword v70, off, s[20:23], 0 offset:356 ; 4-byte Folded Reload
	buffer_load_dword v71, off, s[20:23], 0 offset:360 ; 4-byte Folded Reload
	buffer_load_dword v72, off, s[20:23], 0 offset:364 ; 4-byte Folded Reload
	s_waitcnt vmcnt(0)
	ds_write2_b64 v125, v[69:70], v[71:72] offset0:14 offset1:15
	;; [unrolled: 6-line block ×21, first 2 shown]
	ds_write2_b64 v125, v[117:118], v[119:120] offset0:54 offset1:55
	ds_write2_b64 v125, v[121:122], v[123:124] offset0:56 offset1:57
	;; [unrolled: 1-line block ×5, first 2 shown]
	buffer_load_dword v77, off, s[20:23], 0 offset:32 ; 4-byte Folded Reload
	buffer_load_dword v78, off, s[20:23], 0 offset:36 ; 4-byte Folded Reload
	;; [unrolled: 1-line block ×4, first 2 shown]
	v_mov_b32_e32 v69, v73
	v_mov_b32_e32 v70, v74
	v_mov_b32_e32 v71, v75
	v_mov_b32_e32 v72, v76
	s_waitcnt vmcnt(0)
	ds_write2_b64 v125, v[77:78], v[79:80] offset0:64 offset1:65
	buffer_load_dword v73, off, s[20:23], 0 offset:16 ; 4-byte Folded Reload
	buffer_load_dword v74, off, s[20:23], 0 offset:20 ; 4-byte Folded Reload
	;; [unrolled: 1-line block ×4, first 2 shown]
	s_waitcnt vmcnt(0)
	ds_write2_b64 v125, v[73:74], v[75:76] offset0:66 offset1:67
	v_mov_b32_e32 v76, v72
	v_mov_b32_e32 v75, v71
	;; [unrolled: 1-line block ×4, first 2 shown]
	buffer_load_dword v69, off, s[20:23], 0 ; 4-byte Folded Reload
	buffer_load_dword v70, off, s[20:23], 0 offset:4 ; 4-byte Folded Reload
	buffer_load_dword v71, off, s[20:23], 0 offset:8 ; 4-byte Folded Reload
	;; [unrolled: 1-line block ×3, first 2 shown]
	s_waitcnt vmcnt(0)
	ds_write2_b64 v125, v[69:70], v[71:72] offset0:68 offset1:69
	ds_write2_b64 v125, v[65:66], v[67:68] offset0:70 offset1:71
	;; [unrolled: 1-line block ×19, first 2 shown]
	ds_read2_b64 v[97:100], v127 offset1:1
	s_waitcnt lgkmcnt(0)
	v_cmp_neq_f64_e32 vcc, 0, v[97:98]
	v_cmp_neq_f64_e64 s[2:3], 0, v[99:100]
	s_or_b64 s[2:3], vcc, s[2:3]
	s_and_b64 exec, exec, s[2:3]
	s_cbranch_execz .LBB105_53
; %bb.48:
	v_cmp_ngt_f64_e64 s[2:3], |v[97:98]|, |v[99:100]|
                                        ; implicit-def: $vgpr101_vgpr102
	s_and_saveexec_b64 s[6:7], s[2:3]
	s_xor_b64 s[2:3], exec, s[6:7]
                                        ; implicit-def: $vgpr103_vgpr104
	s_cbranch_execz .LBB105_50
; %bb.49:
	v_div_scale_f64 v[101:102], s[6:7], v[99:100], v[99:100], v[97:98]
	v_rcp_f64_e32 v[103:104], v[101:102]
	v_fma_f64 v[105:106], -v[101:102], v[103:104], 1.0
	v_fma_f64 v[103:104], v[103:104], v[105:106], v[103:104]
	v_div_scale_f64 v[105:106], vcc, v[97:98], v[99:100], v[97:98]
	v_fma_f64 v[107:108], -v[101:102], v[103:104], 1.0
	v_fma_f64 v[103:104], v[103:104], v[107:108], v[103:104]
	v_mul_f64 v[107:108], v[105:106], v[103:104]
	v_fma_f64 v[101:102], -v[101:102], v[107:108], v[105:106]
	v_div_fmas_f64 v[101:102], v[101:102], v[103:104], v[107:108]
	v_div_fixup_f64 v[101:102], v[101:102], v[99:100], v[97:98]
	v_fma_f64 v[97:98], v[97:98], v[101:102], v[99:100]
	v_div_scale_f64 v[99:100], s[6:7], v[97:98], v[97:98], 1.0
	v_div_scale_f64 v[107:108], vcc, 1.0, v[97:98], 1.0
	v_rcp_f64_e32 v[103:104], v[99:100]
	v_fma_f64 v[105:106], -v[99:100], v[103:104], 1.0
	v_fma_f64 v[103:104], v[103:104], v[105:106], v[103:104]
	v_fma_f64 v[105:106], -v[99:100], v[103:104], 1.0
	v_fma_f64 v[103:104], v[103:104], v[105:106], v[103:104]
	v_mul_f64 v[105:106], v[107:108], v[103:104]
	v_fma_f64 v[99:100], -v[99:100], v[105:106], v[107:108]
	v_div_fmas_f64 v[99:100], v[99:100], v[103:104], v[105:106]
	v_div_fixup_f64 v[103:104], v[99:100], v[97:98], 1.0
                                        ; implicit-def: $vgpr97_vgpr98
	v_mul_f64 v[101:102], v[101:102], v[103:104]
	v_xor_b32_e32 v104, 0x80000000, v104
.LBB105_50:
	s_andn2_saveexec_b64 s[2:3], s[2:3]
	s_cbranch_execz .LBB105_52
; %bb.51:
	v_div_scale_f64 v[101:102], s[6:7], v[97:98], v[97:98], v[99:100]
	v_rcp_f64_e32 v[103:104], v[101:102]
	v_fma_f64 v[105:106], -v[101:102], v[103:104], 1.0
	v_fma_f64 v[103:104], v[103:104], v[105:106], v[103:104]
	v_div_scale_f64 v[105:106], vcc, v[99:100], v[97:98], v[99:100]
	v_fma_f64 v[107:108], -v[101:102], v[103:104], 1.0
	v_fma_f64 v[103:104], v[103:104], v[107:108], v[103:104]
	v_mul_f64 v[107:108], v[105:106], v[103:104]
	v_fma_f64 v[101:102], -v[101:102], v[107:108], v[105:106]
	v_div_fmas_f64 v[101:102], v[101:102], v[103:104], v[107:108]
	v_div_fixup_f64 v[103:104], v[101:102], v[97:98], v[99:100]
	v_fma_f64 v[97:98], v[99:100], v[103:104], v[97:98]
	v_div_scale_f64 v[99:100], s[6:7], v[97:98], v[97:98], 1.0
	v_div_scale_f64 v[107:108], vcc, 1.0, v[97:98], 1.0
	v_rcp_f64_e32 v[101:102], v[99:100]
	v_fma_f64 v[105:106], -v[99:100], v[101:102], 1.0
	v_fma_f64 v[101:102], v[101:102], v[105:106], v[101:102]
	v_fma_f64 v[105:106], -v[99:100], v[101:102], 1.0
	v_fma_f64 v[101:102], v[101:102], v[105:106], v[101:102]
	v_mul_f64 v[105:106], v[107:108], v[101:102]
	v_fma_f64 v[99:100], -v[99:100], v[105:106], v[107:108]
	v_div_fmas_f64 v[99:100], v[99:100], v[101:102], v[105:106]
	v_div_fixup_f64 v[101:102], v[99:100], v[97:98], 1.0
	v_mul_f64 v[103:104], v[103:104], -v[101:102]
.LBB105_52:
	s_or_b64 exec, exec, s[2:3]
	ds_write2_b64 v127, v[101:102], v[103:104] offset1:1
.LBB105_53:
	s_or_b64 exec, exec, s[4:5]
	s_waitcnt lgkmcnt(0)
	s_barrier
	ds_read2_b64 v[69:72], v127 offset1:1
	v_cmp_lt_u32_e32 vcc, 5, v0
	s_waitcnt lgkmcnt(0)
	buffer_store_dword v69, off, s[20:23], 0 offset:976 ; 4-byte Folded Spill
	s_nop 0
	buffer_store_dword v70, off, s[20:23], 0 offset:980 ; 4-byte Folded Spill
	buffer_store_dword v71, off, s[20:23], 0 offset:984 ; 4-byte Folded Spill
	;; [unrolled: 1-line block ×3, first 2 shown]
	s_and_saveexec_b64 s[2:3], vcc
	s_cbranch_execz .LBB105_55
; %bb.54:
	buffer_load_dword v103, off, s[20:23], 0 offset:384 ; 4-byte Folded Reload
	buffer_load_dword v104, off, s[20:23], 0 offset:388 ; 4-byte Folded Reload
	;; [unrolled: 1-line block ×8, first 2 shown]
	s_waitcnt vmcnt(2)
	v_mul_f64 v[99:100], v[69:70], v[105:106]
	s_waitcnt vmcnt(0)
	v_mul_f64 v[97:98], v[71:72], v[105:106]
	v_fma_f64 v[105:106], v[71:72], v[103:104], v[99:100]
	ds_read2_b64 v[99:102], v125 offset0:12 offset1:13
	v_fma_f64 v[97:98], v[69:70], v[103:104], -v[97:98]
	buffer_load_dword v69, off, s[20:23], 0 offset:368 ; 4-byte Folded Reload
	buffer_load_dword v70, off, s[20:23], 0 offset:372 ; 4-byte Folded Reload
	buffer_load_dword v71, off, s[20:23], 0 offset:376 ; 4-byte Folded Reload
	buffer_load_dword v72, off, s[20:23], 0 offset:380 ; 4-byte Folded Reload
	s_waitcnt lgkmcnt(0)
	v_mul_f64 v[103:104], v[101:102], v[105:106]
	v_fma_f64 v[103:104], v[99:100], v[97:98], -v[103:104]
	v_mul_f64 v[99:100], v[99:100], v[105:106]
	v_fma_f64 v[99:100], v[101:102], v[97:98], v[99:100]
	s_waitcnt vmcnt(2)
	v_add_f64 v[69:70], v[69:70], -v[103:104]
	s_waitcnt vmcnt(0)
	v_add_f64 v[71:72], v[71:72], -v[99:100]
	buffer_store_dword v69, off, s[20:23], 0 offset:368 ; 4-byte Folded Spill
	s_nop 0
	buffer_store_dword v70, off, s[20:23], 0 offset:372 ; 4-byte Folded Spill
	buffer_store_dword v71, off, s[20:23], 0 offset:376 ; 4-byte Folded Spill
	buffer_store_dword v72, off, s[20:23], 0 offset:380 ; 4-byte Folded Spill
	ds_read2_b64 v[99:102], v125 offset0:14 offset1:15
	buffer_load_dword v69, off, s[20:23], 0 offset:352 ; 4-byte Folded Reload
	buffer_load_dword v70, off, s[20:23], 0 offset:356 ; 4-byte Folded Reload
	buffer_load_dword v71, off, s[20:23], 0 offset:360 ; 4-byte Folded Reload
	buffer_load_dword v72, off, s[20:23], 0 offset:364 ; 4-byte Folded Reload
	s_waitcnt lgkmcnt(0)
	v_mul_f64 v[103:104], v[101:102], v[105:106]
	v_fma_f64 v[103:104], v[99:100], v[97:98], -v[103:104]
	v_mul_f64 v[99:100], v[99:100], v[105:106]
	v_fma_f64 v[99:100], v[101:102], v[97:98], v[99:100]
	s_waitcnt vmcnt(2)
	v_add_f64 v[69:70], v[69:70], -v[103:104]
	s_waitcnt vmcnt(0)
	v_add_f64 v[71:72], v[71:72], -v[99:100]
	buffer_store_dword v69, off, s[20:23], 0 offset:352 ; 4-byte Folded Spill
	s_nop 0
	buffer_store_dword v70, off, s[20:23], 0 offset:356 ; 4-byte Folded Spill
	buffer_store_dword v71, off, s[20:23], 0 offset:360 ; 4-byte Folded Spill
	buffer_store_dword v72, off, s[20:23], 0 offset:364 ; 4-byte Folded Spill
	ds_read2_b64 v[99:102], v125 offset0:16 offset1:17
	;; [unrolled: 19-line block ×21, first 2 shown]
	v_mov_b32_e32 v69, v73
	v_mov_b32_e32 v70, v74
	;; [unrolled: 1-line block ×4, first 2 shown]
	s_waitcnt lgkmcnt(0)
	v_mul_f64 v[103:104], v[101:102], v[105:106]
	v_fma_f64 v[103:104], v[99:100], v[97:98], -v[103:104]
	v_mul_f64 v[99:100], v[99:100], v[105:106]
	v_add_f64 v[117:118], v[117:118], -v[103:104]
	v_fma_f64 v[99:100], v[101:102], v[97:98], v[99:100]
	v_add_f64 v[119:120], v[119:120], -v[99:100]
	ds_read2_b64 v[99:102], v125 offset0:56 offset1:57
	s_waitcnt lgkmcnt(0)
	v_mul_f64 v[103:104], v[101:102], v[105:106]
	v_fma_f64 v[103:104], v[99:100], v[97:98], -v[103:104]
	v_mul_f64 v[99:100], v[99:100], v[105:106]
	v_add_f64 v[121:122], v[121:122], -v[103:104]
	v_fma_f64 v[99:100], v[101:102], v[97:98], v[99:100]
	v_add_f64 v[123:124], v[123:124], -v[99:100]
	ds_read2_b64 v[99:102], v125 offset0:58 offset1:59
	;; [unrolled: 8-line block ×5, first 2 shown]
	buffer_load_dword v77, off, s[20:23], 0 offset:32 ; 4-byte Folded Reload
	buffer_load_dword v78, off, s[20:23], 0 offset:36 ; 4-byte Folded Reload
	;; [unrolled: 1-line block ×4, first 2 shown]
	s_waitcnt lgkmcnt(0)
	v_mul_f64 v[103:104], v[101:102], v[105:106]
	v_fma_f64 v[103:104], v[99:100], v[97:98], -v[103:104]
	v_mul_f64 v[99:100], v[99:100], v[105:106]
	v_fma_f64 v[99:100], v[101:102], v[97:98], v[99:100]
	s_waitcnt vmcnt(2)
	v_add_f64 v[77:78], v[77:78], -v[103:104]
	s_waitcnt vmcnt(0)
	v_add_f64 v[79:80], v[79:80], -v[99:100]
	buffer_store_dword v77, off, s[20:23], 0 offset:32 ; 4-byte Folded Spill
	s_nop 0
	buffer_store_dword v78, off, s[20:23], 0 offset:36 ; 4-byte Folded Spill
	buffer_store_dword v79, off, s[20:23], 0 offset:40 ; 4-byte Folded Spill
	;; [unrolled: 1-line block ×3, first 2 shown]
	ds_read2_b64 v[99:102], v125 offset0:66 offset1:67
	buffer_load_dword v73, off, s[20:23], 0 offset:16 ; 4-byte Folded Reload
	buffer_load_dword v74, off, s[20:23], 0 offset:20 ; 4-byte Folded Reload
	;; [unrolled: 1-line block ×4, first 2 shown]
	s_waitcnt lgkmcnt(0)
	v_mul_f64 v[103:104], v[101:102], v[105:106]
	v_fma_f64 v[103:104], v[99:100], v[97:98], -v[103:104]
	v_mul_f64 v[99:100], v[99:100], v[105:106]
	v_fma_f64 v[99:100], v[101:102], v[97:98], v[99:100]
	s_waitcnt vmcnt(2)
	v_add_f64 v[73:74], v[73:74], -v[103:104]
	s_waitcnt vmcnt(0)
	v_add_f64 v[75:76], v[75:76], -v[99:100]
	buffer_store_dword v73, off, s[20:23], 0 offset:16 ; 4-byte Folded Spill
	s_nop 0
	buffer_store_dword v74, off, s[20:23], 0 offset:20 ; 4-byte Folded Spill
	buffer_store_dword v75, off, s[20:23], 0 offset:24 ; 4-byte Folded Spill
	buffer_store_dword v76, off, s[20:23], 0 offset:28 ; 4-byte Folded Spill
	v_mov_b32_e32 v76, v72
	v_mov_b32_e32 v75, v71
	;; [unrolled: 1-line block ×4, first 2 shown]
	ds_read2_b64 v[99:102], v125 offset0:68 offset1:69
	buffer_load_dword v69, off, s[20:23], 0 ; 4-byte Folded Reload
	buffer_load_dword v70, off, s[20:23], 0 offset:4 ; 4-byte Folded Reload
	buffer_load_dword v71, off, s[20:23], 0 offset:8 ; 4-byte Folded Reload
	;; [unrolled: 1-line block ×3, first 2 shown]
	s_waitcnt lgkmcnt(0)
	v_mul_f64 v[103:104], v[101:102], v[105:106]
	v_fma_f64 v[103:104], v[99:100], v[97:98], -v[103:104]
	v_mul_f64 v[99:100], v[99:100], v[105:106]
	v_fma_f64 v[99:100], v[101:102], v[97:98], v[99:100]
	s_waitcnt vmcnt(2)
	v_add_f64 v[69:70], v[69:70], -v[103:104]
	s_waitcnt vmcnt(0)
	v_add_f64 v[71:72], v[71:72], -v[99:100]
	buffer_store_dword v69, off, s[20:23], 0 ; 4-byte Folded Spill
	s_nop 0
	buffer_store_dword v70, off, s[20:23], 0 offset:4 ; 4-byte Folded Spill
	buffer_store_dword v71, off, s[20:23], 0 offset:8 ; 4-byte Folded Spill
	;; [unrolled: 1-line block ×3, first 2 shown]
	ds_read2_b64 v[99:102], v125 offset0:70 offset1:71
	s_waitcnt lgkmcnt(0)
	v_mul_f64 v[103:104], v[101:102], v[105:106]
	v_fma_f64 v[103:104], v[99:100], v[97:98], -v[103:104]
	v_mul_f64 v[99:100], v[99:100], v[105:106]
	v_add_f64 v[65:66], v[65:66], -v[103:104]
	v_fma_f64 v[99:100], v[101:102], v[97:98], v[99:100]
	v_add_f64 v[67:68], v[67:68], -v[99:100]
	ds_read2_b64 v[99:102], v125 offset0:72 offset1:73
	s_waitcnt lgkmcnt(0)
	v_mul_f64 v[103:104], v[101:102], v[105:106]
	v_fma_f64 v[103:104], v[99:100], v[97:98], -v[103:104]
	v_mul_f64 v[99:100], v[99:100], v[105:106]
	v_add_f64 v[61:62], v[61:62], -v[103:104]
	v_fma_f64 v[99:100], v[101:102], v[97:98], v[99:100]
	v_add_f64 v[63:64], v[63:64], -v[99:100]
	;; [unrolled: 8-line block ×16, first 2 shown]
	ds_read2_b64 v[99:102], v125 offset0:102 offset1:103
	s_waitcnt lgkmcnt(0)
	v_mul_f64 v[103:104], v[101:102], v[105:106]
	v_fma_f64 v[103:104], v[99:100], v[97:98], -v[103:104]
	v_mul_f64 v[99:100], v[99:100], v[105:106]
	v_add_f64 v[1:2], v[1:2], -v[103:104]
	v_fma_f64 v[99:100], v[101:102], v[97:98], v[99:100]
	ds_read2_b64 v[101:104], v125 offset0:104 offset1:105
	v_add_f64 v[3:4], v[3:4], -v[99:100]
	s_waitcnt lgkmcnt(0)
	v_mul_f64 v[99:100], v[103:104], v[105:106]
	v_fma_f64 v[99:100], v[101:102], v[97:98], -v[99:100]
	v_mul_f64 v[101:102], v[101:102], v[105:106]
	v_add_f64 v[73:74], v[73:74], -v[99:100]
	v_fma_f64 v[101:102], v[103:104], v[97:98], v[101:102]
	v_mov_b32_e32 v104, v98
	v_mov_b32_e32 v103, v97
	buffer_store_dword v103, off, s[20:23], 0 offset:384 ; 4-byte Folded Spill
	s_nop 0
	buffer_store_dword v104, off, s[20:23], 0 offset:388 ; 4-byte Folded Spill
	buffer_store_dword v105, off, s[20:23], 0 offset:392 ; 4-byte Folded Spill
	;; [unrolled: 1-line block ×3, first 2 shown]
	v_add_f64 v[75:76], v[75:76], -v[101:102]
.LBB105_55:
	s_or_b64 exec, exec, s[2:3]
	v_cmp_eq_u32_e32 vcc, 6, v0
	s_waitcnt vmcnt(0)
	s_barrier
	s_and_saveexec_b64 s[4:5], vcc
	s_cbranch_execz .LBB105_62
; %bb.56:
	buffer_load_dword v69, off, s[20:23], 0 offset:368 ; 4-byte Folded Reload
	buffer_load_dword v70, off, s[20:23], 0 offset:372 ; 4-byte Folded Reload
	;; [unrolled: 1-line block ×4, first 2 shown]
	s_waitcnt vmcnt(0)
	ds_write2_b64 v127, v[69:70], v[71:72] offset1:1
	buffer_load_dword v69, off, s[20:23], 0 offset:352 ; 4-byte Folded Reload
	buffer_load_dword v70, off, s[20:23], 0 offset:356 ; 4-byte Folded Reload
	buffer_load_dword v71, off, s[20:23], 0 offset:360 ; 4-byte Folded Reload
	buffer_load_dword v72, off, s[20:23], 0 offset:364 ; 4-byte Folded Reload
	s_waitcnt vmcnt(0)
	ds_write2_b64 v125, v[69:70], v[71:72] offset0:14 offset1:15
	buffer_load_dword v69, off, s[20:23], 0 offset:336 ; 4-byte Folded Reload
	buffer_load_dword v70, off, s[20:23], 0 offset:340 ; 4-byte Folded Reload
	buffer_load_dword v71, off, s[20:23], 0 offset:344 ; 4-byte Folded Reload
	buffer_load_dword v72, off, s[20:23], 0 offset:348 ; 4-byte Folded Reload
	s_waitcnt vmcnt(0)
	ds_write2_b64 v125, v[69:70], v[71:72] offset0:16 offset1:17
	;; [unrolled: 6-line block ×20, first 2 shown]
	ds_write2_b64 v125, v[117:118], v[119:120] offset0:54 offset1:55
	ds_write2_b64 v125, v[121:122], v[123:124] offset0:56 offset1:57
	;; [unrolled: 1-line block ×5, first 2 shown]
	buffer_load_dword v77, off, s[20:23], 0 offset:32 ; 4-byte Folded Reload
	buffer_load_dword v78, off, s[20:23], 0 offset:36 ; 4-byte Folded Reload
	;; [unrolled: 1-line block ×4, first 2 shown]
	v_mov_b32_e32 v69, v73
	v_mov_b32_e32 v70, v74
	;; [unrolled: 1-line block ×4, first 2 shown]
	s_waitcnt vmcnt(0)
	ds_write2_b64 v125, v[77:78], v[79:80] offset0:64 offset1:65
	buffer_load_dword v73, off, s[20:23], 0 offset:16 ; 4-byte Folded Reload
	buffer_load_dword v74, off, s[20:23], 0 offset:20 ; 4-byte Folded Reload
	;; [unrolled: 1-line block ×4, first 2 shown]
	s_waitcnt vmcnt(0)
	ds_write2_b64 v125, v[73:74], v[75:76] offset0:66 offset1:67
	v_mov_b32_e32 v76, v72
	v_mov_b32_e32 v75, v71
	v_mov_b32_e32 v74, v70
	v_mov_b32_e32 v73, v69
	buffer_load_dword v69, off, s[20:23], 0 ; 4-byte Folded Reload
	buffer_load_dword v70, off, s[20:23], 0 offset:4 ; 4-byte Folded Reload
	buffer_load_dword v71, off, s[20:23], 0 offset:8 ; 4-byte Folded Reload
	;; [unrolled: 1-line block ×3, first 2 shown]
	s_waitcnt vmcnt(0)
	ds_write2_b64 v125, v[69:70], v[71:72] offset0:68 offset1:69
	ds_write2_b64 v125, v[65:66], v[67:68] offset0:70 offset1:71
	;; [unrolled: 1-line block ×19, first 2 shown]
	ds_read2_b64 v[97:100], v127 offset1:1
	s_waitcnt lgkmcnt(0)
	v_cmp_neq_f64_e32 vcc, 0, v[97:98]
	v_cmp_neq_f64_e64 s[2:3], 0, v[99:100]
	s_or_b64 s[2:3], vcc, s[2:3]
	s_and_b64 exec, exec, s[2:3]
	s_cbranch_execz .LBB105_62
; %bb.57:
	v_cmp_ngt_f64_e64 s[2:3], |v[97:98]|, |v[99:100]|
                                        ; implicit-def: $vgpr101_vgpr102
	s_and_saveexec_b64 s[6:7], s[2:3]
	s_xor_b64 s[2:3], exec, s[6:7]
                                        ; implicit-def: $vgpr103_vgpr104
	s_cbranch_execz .LBB105_59
; %bb.58:
	v_div_scale_f64 v[101:102], s[6:7], v[99:100], v[99:100], v[97:98]
	v_rcp_f64_e32 v[103:104], v[101:102]
	v_fma_f64 v[105:106], -v[101:102], v[103:104], 1.0
	v_fma_f64 v[103:104], v[103:104], v[105:106], v[103:104]
	v_div_scale_f64 v[105:106], vcc, v[97:98], v[99:100], v[97:98]
	v_fma_f64 v[107:108], -v[101:102], v[103:104], 1.0
	v_fma_f64 v[103:104], v[103:104], v[107:108], v[103:104]
	v_mul_f64 v[107:108], v[105:106], v[103:104]
	v_fma_f64 v[101:102], -v[101:102], v[107:108], v[105:106]
	v_div_fmas_f64 v[101:102], v[101:102], v[103:104], v[107:108]
	v_div_fixup_f64 v[101:102], v[101:102], v[99:100], v[97:98]
	v_fma_f64 v[97:98], v[97:98], v[101:102], v[99:100]
	v_div_scale_f64 v[99:100], s[6:7], v[97:98], v[97:98], 1.0
	v_div_scale_f64 v[107:108], vcc, 1.0, v[97:98], 1.0
	v_rcp_f64_e32 v[103:104], v[99:100]
	v_fma_f64 v[105:106], -v[99:100], v[103:104], 1.0
	v_fma_f64 v[103:104], v[103:104], v[105:106], v[103:104]
	v_fma_f64 v[105:106], -v[99:100], v[103:104], 1.0
	v_fma_f64 v[103:104], v[103:104], v[105:106], v[103:104]
	v_mul_f64 v[105:106], v[107:108], v[103:104]
	v_fma_f64 v[99:100], -v[99:100], v[105:106], v[107:108]
	v_div_fmas_f64 v[99:100], v[99:100], v[103:104], v[105:106]
	v_div_fixup_f64 v[103:104], v[99:100], v[97:98], 1.0
                                        ; implicit-def: $vgpr97_vgpr98
	v_mul_f64 v[101:102], v[101:102], v[103:104]
	v_xor_b32_e32 v104, 0x80000000, v104
.LBB105_59:
	s_andn2_saveexec_b64 s[2:3], s[2:3]
	s_cbranch_execz .LBB105_61
; %bb.60:
	v_div_scale_f64 v[101:102], s[6:7], v[97:98], v[97:98], v[99:100]
	v_rcp_f64_e32 v[103:104], v[101:102]
	v_fma_f64 v[105:106], -v[101:102], v[103:104], 1.0
	v_fma_f64 v[103:104], v[103:104], v[105:106], v[103:104]
	v_div_scale_f64 v[105:106], vcc, v[99:100], v[97:98], v[99:100]
	v_fma_f64 v[107:108], -v[101:102], v[103:104], 1.0
	v_fma_f64 v[103:104], v[103:104], v[107:108], v[103:104]
	v_mul_f64 v[107:108], v[105:106], v[103:104]
	v_fma_f64 v[101:102], -v[101:102], v[107:108], v[105:106]
	v_div_fmas_f64 v[101:102], v[101:102], v[103:104], v[107:108]
	v_div_fixup_f64 v[103:104], v[101:102], v[97:98], v[99:100]
	v_fma_f64 v[97:98], v[99:100], v[103:104], v[97:98]
	v_div_scale_f64 v[99:100], s[6:7], v[97:98], v[97:98], 1.0
	v_div_scale_f64 v[107:108], vcc, 1.0, v[97:98], 1.0
	v_rcp_f64_e32 v[101:102], v[99:100]
	v_fma_f64 v[105:106], -v[99:100], v[101:102], 1.0
	v_fma_f64 v[101:102], v[101:102], v[105:106], v[101:102]
	v_fma_f64 v[105:106], -v[99:100], v[101:102], 1.0
	v_fma_f64 v[101:102], v[101:102], v[105:106], v[101:102]
	v_mul_f64 v[105:106], v[107:108], v[101:102]
	v_fma_f64 v[99:100], -v[99:100], v[105:106], v[107:108]
	v_div_fmas_f64 v[99:100], v[99:100], v[101:102], v[105:106]
	v_div_fixup_f64 v[101:102], v[99:100], v[97:98], 1.0
	v_mul_f64 v[103:104], v[103:104], -v[101:102]
.LBB105_61:
	s_or_b64 exec, exec, s[2:3]
	ds_write2_b64 v127, v[101:102], v[103:104] offset1:1
.LBB105_62:
	s_or_b64 exec, exec, s[4:5]
	s_waitcnt lgkmcnt(0)
	s_barrier
	ds_read2_b64 v[69:72], v127 offset1:1
	v_cmp_lt_u32_e32 vcc, 6, v0
	s_waitcnt lgkmcnt(0)
	buffer_store_dword v69, off, s[20:23], 0 offset:992 ; 4-byte Folded Spill
	s_nop 0
	buffer_store_dword v70, off, s[20:23], 0 offset:996 ; 4-byte Folded Spill
	buffer_store_dword v71, off, s[20:23], 0 offset:1000 ; 4-byte Folded Spill
	;; [unrolled: 1-line block ×3, first 2 shown]
	s_and_saveexec_b64 s[2:3], vcc
	s_cbranch_execz .LBB105_64
; %bb.63:
	buffer_load_dword v103, off, s[20:23], 0 offset:368 ; 4-byte Folded Reload
	buffer_load_dword v104, off, s[20:23], 0 offset:372 ; 4-byte Folded Reload
	;; [unrolled: 1-line block ×8, first 2 shown]
	s_waitcnt vmcnt(2)
	v_mul_f64 v[99:100], v[69:70], v[105:106]
	s_waitcnt vmcnt(0)
	v_mul_f64 v[97:98], v[71:72], v[105:106]
	v_fma_f64 v[105:106], v[71:72], v[103:104], v[99:100]
	ds_read2_b64 v[99:102], v125 offset0:14 offset1:15
	v_fma_f64 v[97:98], v[69:70], v[103:104], -v[97:98]
	buffer_load_dword v69, off, s[20:23], 0 offset:352 ; 4-byte Folded Reload
	buffer_load_dword v70, off, s[20:23], 0 offset:356 ; 4-byte Folded Reload
	buffer_load_dword v71, off, s[20:23], 0 offset:360 ; 4-byte Folded Reload
	buffer_load_dword v72, off, s[20:23], 0 offset:364 ; 4-byte Folded Reload
	s_waitcnt lgkmcnt(0)
	v_mul_f64 v[103:104], v[101:102], v[105:106]
	v_fma_f64 v[103:104], v[99:100], v[97:98], -v[103:104]
	v_mul_f64 v[99:100], v[99:100], v[105:106]
	v_fma_f64 v[99:100], v[101:102], v[97:98], v[99:100]
	s_waitcnt vmcnt(2)
	v_add_f64 v[69:70], v[69:70], -v[103:104]
	s_waitcnt vmcnt(0)
	v_add_f64 v[71:72], v[71:72], -v[99:100]
	buffer_store_dword v69, off, s[20:23], 0 offset:352 ; 4-byte Folded Spill
	s_nop 0
	buffer_store_dword v70, off, s[20:23], 0 offset:356 ; 4-byte Folded Spill
	buffer_store_dword v71, off, s[20:23], 0 offset:360 ; 4-byte Folded Spill
	buffer_store_dword v72, off, s[20:23], 0 offset:364 ; 4-byte Folded Spill
	ds_read2_b64 v[99:102], v125 offset0:16 offset1:17
	buffer_load_dword v69, off, s[20:23], 0 offset:336 ; 4-byte Folded Reload
	buffer_load_dword v70, off, s[20:23], 0 offset:340 ; 4-byte Folded Reload
	buffer_load_dword v71, off, s[20:23], 0 offset:344 ; 4-byte Folded Reload
	buffer_load_dword v72, off, s[20:23], 0 offset:348 ; 4-byte Folded Reload
	s_waitcnt lgkmcnt(0)
	v_mul_f64 v[103:104], v[101:102], v[105:106]
	v_fma_f64 v[103:104], v[99:100], v[97:98], -v[103:104]
	v_mul_f64 v[99:100], v[99:100], v[105:106]
	v_fma_f64 v[99:100], v[101:102], v[97:98], v[99:100]
	s_waitcnt vmcnt(2)
	v_add_f64 v[69:70], v[69:70], -v[103:104]
	s_waitcnt vmcnt(0)
	v_add_f64 v[71:72], v[71:72], -v[99:100]
	buffer_store_dword v69, off, s[20:23], 0 offset:336 ; 4-byte Folded Spill
	s_nop 0
	buffer_store_dword v70, off, s[20:23], 0 offset:340 ; 4-byte Folded Spill
	buffer_store_dword v71, off, s[20:23], 0 offset:344 ; 4-byte Folded Spill
	buffer_store_dword v72, off, s[20:23], 0 offset:348 ; 4-byte Folded Spill
	ds_read2_b64 v[99:102], v125 offset0:18 offset1:19
	;; [unrolled: 19-line block ×20, first 2 shown]
	v_mov_b32_e32 v69, v73
	v_mov_b32_e32 v70, v74
	;; [unrolled: 1-line block ×4, first 2 shown]
	s_waitcnt lgkmcnt(0)
	v_mul_f64 v[103:104], v[101:102], v[105:106]
	v_fma_f64 v[103:104], v[99:100], v[97:98], -v[103:104]
	v_mul_f64 v[99:100], v[99:100], v[105:106]
	v_add_f64 v[117:118], v[117:118], -v[103:104]
	v_fma_f64 v[99:100], v[101:102], v[97:98], v[99:100]
	v_add_f64 v[119:120], v[119:120], -v[99:100]
	ds_read2_b64 v[99:102], v125 offset0:56 offset1:57
	s_waitcnt lgkmcnt(0)
	v_mul_f64 v[103:104], v[101:102], v[105:106]
	v_fma_f64 v[103:104], v[99:100], v[97:98], -v[103:104]
	v_mul_f64 v[99:100], v[99:100], v[105:106]
	v_add_f64 v[121:122], v[121:122], -v[103:104]
	v_fma_f64 v[99:100], v[101:102], v[97:98], v[99:100]
	v_add_f64 v[123:124], v[123:124], -v[99:100]
	ds_read2_b64 v[99:102], v125 offset0:58 offset1:59
	;; [unrolled: 8-line block ×5, first 2 shown]
	buffer_load_dword v77, off, s[20:23], 0 offset:32 ; 4-byte Folded Reload
	buffer_load_dword v78, off, s[20:23], 0 offset:36 ; 4-byte Folded Reload
	;; [unrolled: 1-line block ×4, first 2 shown]
	s_waitcnt lgkmcnt(0)
	v_mul_f64 v[103:104], v[101:102], v[105:106]
	v_fma_f64 v[103:104], v[99:100], v[97:98], -v[103:104]
	v_mul_f64 v[99:100], v[99:100], v[105:106]
	v_fma_f64 v[99:100], v[101:102], v[97:98], v[99:100]
	s_waitcnt vmcnt(2)
	v_add_f64 v[77:78], v[77:78], -v[103:104]
	s_waitcnt vmcnt(0)
	v_add_f64 v[79:80], v[79:80], -v[99:100]
	buffer_store_dword v77, off, s[20:23], 0 offset:32 ; 4-byte Folded Spill
	s_nop 0
	buffer_store_dword v78, off, s[20:23], 0 offset:36 ; 4-byte Folded Spill
	buffer_store_dword v79, off, s[20:23], 0 offset:40 ; 4-byte Folded Spill
	;; [unrolled: 1-line block ×3, first 2 shown]
	ds_read2_b64 v[99:102], v125 offset0:66 offset1:67
	buffer_load_dword v73, off, s[20:23], 0 offset:16 ; 4-byte Folded Reload
	buffer_load_dword v74, off, s[20:23], 0 offset:20 ; 4-byte Folded Reload
	;; [unrolled: 1-line block ×4, first 2 shown]
	s_waitcnt lgkmcnt(0)
	v_mul_f64 v[103:104], v[101:102], v[105:106]
	v_fma_f64 v[103:104], v[99:100], v[97:98], -v[103:104]
	v_mul_f64 v[99:100], v[99:100], v[105:106]
	v_fma_f64 v[99:100], v[101:102], v[97:98], v[99:100]
	s_waitcnt vmcnt(2)
	v_add_f64 v[73:74], v[73:74], -v[103:104]
	s_waitcnt vmcnt(0)
	v_add_f64 v[75:76], v[75:76], -v[99:100]
	buffer_store_dword v73, off, s[20:23], 0 offset:16 ; 4-byte Folded Spill
	s_nop 0
	buffer_store_dword v74, off, s[20:23], 0 offset:20 ; 4-byte Folded Spill
	buffer_store_dword v75, off, s[20:23], 0 offset:24 ; 4-byte Folded Spill
	;; [unrolled: 1-line block ×3, first 2 shown]
	v_mov_b32_e32 v76, v72
	v_mov_b32_e32 v75, v71
	;; [unrolled: 1-line block ×4, first 2 shown]
	ds_read2_b64 v[99:102], v125 offset0:68 offset1:69
	buffer_load_dword v69, off, s[20:23], 0 ; 4-byte Folded Reload
	buffer_load_dword v70, off, s[20:23], 0 offset:4 ; 4-byte Folded Reload
	buffer_load_dword v71, off, s[20:23], 0 offset:8 ; 4-byte Folded Reload
	;; [unrolled: 1-line block ×3, first 2 shown]
	s_waitcnt lgkmcnt(0)
	v_mul_f64 v[103:104], v[101:102], v[105:106]
	v_fma_f64 v[103:104], v[99:100], v[97:98], -v[103:104]
	v_mul_f64 v[99:100], v[99:100], v[105:106]
	v_fma_f64 v[99:100], v[101:102], v[97:98], v[99:100]
	s_waitcnt vmcnt(2)
	v_add_f64 v[69:70], v[69:70], -v[103:104]
	s_waitcnt vmcnt(0)
	v_add_f64 v[71:72], v[71:72], -v[99:100]
	buffer_store_dword v69, off, s[20:23], 0 ; 4-byte Folded Spill
	s_nop 0
	buffer_store_dword v70, off, s[20:23], 0 offset:4 ; 4-byte Folded Spill
	buffer_store_dword v71, off, s[20:23], 0 offset:8 ; 4-byte Folded Spill
	;; [unrolled: 1-line block ×3, first 2 shown]
	ds_read2_b64 v[99:102], v125 offset0:70 offset1:71
	s_waitcnt lgkmcnt(0)
	v_mul_f64 v[103:104], v[101:102], v[105:106]
	v_fma_f64 v[103:104], v[99:100], v[97:98], -v[103:104]
	v_mul_f64 v[99:100], v[99:100], v[105:106]
	v_add_f64 v[65:66], v[65:66], -v[103:104]
	v_fma_f64 v[99:100], v[101:102], v[97:98], v[99:100]
	v_add_f64 v[67:68], v[67:68], -v[99:100]
	ds_read2_b64 v[99:102], v125 offset0:72 offset1:73
	s_waitcnt lgkmcnt(0)
	v_mul_f64 v[103:104], v[101:102], v[105:106]
	v_fma_f64 v[103:104], v[99:100], v[97:98], -v[103:104]
	v_mul_f64 v[99:100], v[99:100], v[105:106]
	v_add_f64 v[61:62], v[61:62], -v[103:104]
	v_fma_f64 v[99:100], v[101:102], v[97:98], v[99:100]
	v_add_f64 v[63:64], v[63:64], -v[99:100]
	;; [unrolled: 8-line block ×16, first 2 shown]
	ds_read2_b64 v[99:102], v125 offset0:102 offset1:103
	s_waitcnt lgkmcnt(0)
	v_mul_f64 v[103:104], v[101:102], v[105:106]
	v_fma_f64 v[103:104], v[99:100], v[97:98], -v[103:104]
	v_mul_f64 v[99:100], v[99:100], v[105:106]
	v_add_f64 v[1:2], v[1:2], -v[103:104]
	v_fma_f64 v[99:100], v[101:102], v[97:98], v[99:100]
	ds_read2_b64 v[101:104], v125 offset0:104 offset1:105
	v_add_f64 v[3:4], v[3:4], -v[99:100]
	s_waitcnt lgkmcnt(0)
	v_mul_f64 v[99:100], v[103:104], v[105:106]
	v_fma_f64 v[99:100], v[101:102], v[97:98], -v[99:100]
	v_mul_f64 v[101:102], v[101:102], v[105:106]
	v_add_f64 v[73:74], v[73:74], -v[99:100]
	v_fma_f64 v[101:102], v[103:104], v[97:98], v[101:102]
	v_mov_b32_e32 v104, v98
	v_mov_b32_e32 v103, v97
	buffer_store_dword v103, off, s[20:23], 0 offset:368 ; 4-byte Folded Spill
	s_nop 0
	buffer_store_dword v104, off, s[20:23], 0 offset:372 ; 4-byte Folded Spill
	buffer_store_dword v105, off, s[20:23], 0 offset:376 ; 4-byte Folded Spill
	;; [unrolled: 1-line block ×3, first 2 shown]
	v_add_f64 v[75:76], v[75:76], -v[101:102]
.LBB105_64:
	s_or_b64 exec, exec, s[2:3]
	v_cmp_eq_u32_e32 vcc, 7, v0
	s_waitcnt vmcnt(0)
	s_barrier
	s_and_saveexec_b64 s[4:5], vcc
	s_cbranch_execz .LBB105_71
; %bb.65:
	buffer_load_dword v69, off, s[20:23], 0 offset:352 ; 4-byte Folded Reload
	buffer_load_dword v70, off, s[20:23], 0 offset:356 ; 4-byte Folded Reload
	buffer_load_dword v71, off, s[20:23], 0 offset:360 ; 4-byte Folded Reload
	buffer_load_dword v72, off, s[20:23], 0 offset:364 ; 4-byte Folded Reload
	s_waitcnt vmcnt(0)
	ds_write2_b64 v127, v[69:70], v[71:72] offset1:1
	buffer_load_dword v69, off, s[20:23], 0 offset:336 ; 4-byte Folded Reload
	buffer_load_dword v70, off, s[20:23], 0 offset:340 ; 4-byte Folded Reload
	buffer_load_dword v71, off, s[20:23], 0 offset:344 ; 4-byte Folded Reload
	buffer_load_dword v72, off, s[20:23], 0 offset:348 ; 4-byte Folded Reload
	s_waitcnt vmcnt(0)
	ds_write2_b64 v125, v[69:70], v[71:72] offset0:16 offset1:17
	buffer_load_dword v69, off, s[20:23], 0 offset:320 ; 4-byte Folded Reload
	buffer_load_dword v70, off, s[20:23], 0 offset:324 ; 4-byte Folded Reload
	buffer_load_dword v71, off, s[20:23], 0 offset:328 ; 4-byte Folded Reload
	buffer_load_dword v72, off, s[20:23], 0 offset:332 ; 4-byte Folded Reload
	s_waitcnt vmcnt(0)
	ds_write2_b64 v125, v[69:70], v[71:72] offset0:18 offset1:19
	;; [unrolled: 6-line block ×19, first 2 shown]
	ds_write2_b64 v125, v[117:118], v[119:120] offset0:54 offset1:55
	ds_write2_b64 v125, v[121:122], v[123:124] offset0:56 offset1:57
	;; [unrolled: 1-line block ×5, first 2 shown]
	buffer_load_dword v77, off, s[20:23], 0 offset:32 ; 4-byte Folded Reload
	buffer_load_dword v78, off, s[20:23], 0 offset:36 ; 4-byte Folded Reload
	;; [unrolled: 1-line block ×4, first 2 shown]
	v_mov_b32_e32 v69, v73
	v_mov_b32_e32 v70, v74
	;; [unrolled: 1-line block ×4, first 2 shown]
	s_waitcnt vmcnt(0)
	ds_write2_b64 v125, v[77:78], v[79:80] offset0:64 offset1:65
	buffer_load_dword v73, off, s[20:23], 0 offset:16 ; 4-byte Folded Reload
	buffer_load_dword v74, off, s[20:23], 0 offset:20 ; 4-byte Folded Reload
	;; [unrolled: 1-line block ×4, first 2 shown]
	s_waitcnt vmcnt(0)
	ds_write2_b64 v125, v[73:74], v[75:76] offset0:66 offset1:67
	v_mov_b32_e32 v76, v72
	v_mov_b32_e32 v75, v71
	;; [unrolled: 1-line block ×4, first 2 shown]
	buffer_load_dword v69, off, s[20:23], 0 ; 4-byte Folded Reload
	buffer_load_dword v70, off, s[20:23], 0 offset:4 ; 4-byte Folded Reload
	buffer_load_dword v71, off, s[20:23], 0 offset:8 ; 4-byte Folded Reload
	;; [unrolled: 1-line block ×3, first 2 shown]
	s_waitcnt vmcnt(0)
	ds_write2_b64 v125, v[69:70], v[71:72] offset0:68 offset1:69
	ds_write2_b64 v125, v[65:66], v[67:68] offset0:70 offset1:71
	;; [unrolled: 1-line block ×19, first 2 shown]
	ds_read2_b64 v[97:100], v127 offset1:1
	s_waitcnt lgkmcnt(0)
	v_cmp_neq_f64_e32 vcc, 0, v[97:98]
	v_cmp_neq_f64_e64 s[2:3], 0, v[99:100]
	s_or_b64 s[2:3], vcc, s[2:3]
	s_and_b64 exec, exec, s[2:3]
	s_cbranch_execz .LBB105_71
; %bb.66:
	v_cmp_ngt_f64_e64 s[2:3], |v[97:98]|, |v[99:100]|
                                        ; implicit-def: $vgpr101_vgpr102
	s_and_saveexec_b64 s[6:7], s[2:3]
	s_xor_b64 s[2:3], exec, s[6:7]
                                        ; implicit-def: $vgpr103_vgpr104
	s_cbranch_execz .LBB105_68
; %bb.67:
	v_div_scale_f64 v[101:102], s[6:7], v[99:100], v[99:100], v[97:98]
	v_rcp_f64_e32 v[103:104], v[101:102]
	v_fma_f64 v[105:106], -v[101:102], v[103:104], 1.0
	v_fma_f64 v[103:104], v[103:104], v[105:106], v[103:104]
	v_div_scale_f64 v[105:106], vcc, v[97:98], v[99:100], v[97:98]
	v_fma_f64 v[107:108], -v[101:102], v[103:104], 1.0
	v_fma_f64 v[103:104], v[103:104], v[107:108], v[103:104]
	v_mul_f64 v[107:108], v[105:106], v[103:104]
	v_fma_f64 v[101:102], -v[101:102], v[107:108], v[105:106]
	v_div_fmas_f64 v[101:102], v[101:102], v[103:104], v[107:108]
	v_div_fixup_f64 v[101:102], v[101:102], v[99:100], v[97:98]
	v_fma_f64 v[97:98], v[97:98], v[101:102], v[99:100]
	v_div_scale_f64 v[99:100], s[6:7], v[97:98], v[97:98], 1.0
	v_div_scale_f64 v[107:108], vcc, 1.0, v[97:98], 1.0
	v_rcp_f64_e32 v[103:104], v[99:100]
	v_fma_f64 v[105:106], -v[99:100], v[103:104], 1.0
	v_fma_f64 v[103:104], v[103:104], v[105:106], v[103:104]
	v_fma_f64 v[105:106], -v[99:100], v[103:104], 1.0
	v_fma_f64 v[103:104], v[103:104], v[105:106], v[103:104]
	v_mul_f64 v[105:106], v[107:108], v[103:104]
	v_fma_f64 v[99:100], -v[99:100], v[105:106], v[107:108]
	v_div_fmas_f64 v[99:100], v[99:100], v[103:104], v[105:106]
	v_div_fixup_f64 v[103:104], v[99:100], v[97:98], 1.0
                                        ; implicit-def: $vgpr97_vgpr98
	v_mul_f64 v[101:102], v[101:102], v[103:104]
	v_xor_b32_e32 v104, 0x80000000, v104
.LBB105_68:
	s_andn2_saveexec_b64 s[2:3], s[2:3]
	s_cbranch_execz .LBB105_70
; %bb.69:
	v_div_scale_f64 v[101:102], s[6:7], v[97:98], v[97:98], v[99:100]
	v_rcp_f64_e32 v[103:104], v[101:102]
	v_fma_f64 v[105:106], -v[101:102], v[103:104], 1.0
	v_fma_f64 v[103:104], v[103:104], v[105:106], v[103:104]
	v_div_scale_f64 v[105:106], vcc, v[99:100], v[97:98], v[99:100]
	v_fma_f64 v[107:108], -v[101:102], v[103:104], 1.0
	v_fma_f64 v[103:104], v[103:104], v[107:108], v[103:104]
	v_mul_f64 v[107:108], v[105:106], v[103:104]
	v_fma_f64 v[101:102], -v[101:102], v[107:108], v[105:106]
	v_div_fmas_f64 v[101:102], v[101:102], v[103:104], v[107:108]
	v_div_fixup_f64 v[103:104], v[101:102], v[97:98], v[99:100]
	v_fma_f64 v[97:98], v[99:100], v[103:104], v[97:98]
	v_div_scale_f64 v[99:100], s[6:7], v[97:98], v[97:98], 1.0
	v_div_scale_f64 v[107:108], vcc, 1.0, v[97:98], 1.0
	v_rcp_f64_e32 v[101:102], v[99:100]
	v_fma_f64 v[105:106], -v[99:100], v[101:102], 1.0
	v_fma_f64 v[101:102], v[101:102], v[105:106], v[101:102]
	v_fma_f64 v[105:106], -v[99:100], v[101:102], 1.0
	v_fma_f64 v[101:102], v[101:102], v[105:106], v[101:102]
	v_mul_f64 v[105:106], v[107:108], v[101:102]
	v_fma_f64 v[99:100], -v[99:100], v[105:106], v[107:108]
	v_div_fmas_f64 v[99:100], v[99:100], v[101:102], v[105:106]
	v_div_fixup_f64 v[101:102], v[99:100], v[97:98], 1.0
	v_mul_f64 v[103:104], v[103:104], -v[101:102]
.LBB105_70:
	s_or_b64 exec, exec, s[2:3]
	ds_write2_b64 v127, v[101:102], v[103:104] offset1:1
.LBB105_71:
	s_or_b64 exec, exec, s[4:5]
	s_waitcnt lgkmcnt(0)
	s_barrier
	ds_read2_b64 v[69:72], v127 offset1:1
	v_cmp_lt_u32_e32 vcc, 7, v0
	s_waitcnt lgkmcnt(0)
	buffer_store_dword v69, off, s[20:23], 0 offset:1008 ; 4-byte Folded Spill
	s_nop 0
	buffer_store_dword v70, off, s[20:23], 0 offset:1012 ; 4-byte Folded Spill
	buffer_store_dword v71, off, s[20:23], 0 offset:1016 ; 4-byte Folded Spill
	;; [unrolled: 1-line block ×3, first 2 shown]
	s_and_saveexec_b64 s[2:3], vcc
	s_cbranch_execz .LBB105_73
; %bb.72:
	buffer_load_dword v103, off, s[20:23], 0 offset:352 ; 4-byte Folded Reload
	buffer_load_dword v104, off, s[20:23], 0 offset:356 ; 4-byte Folded Reload
	;; [unrolled: 1-line block ×8, first 2 shown]
	s_waitcnt vmcnt(2)
	v_mul_f64 v[99:100], v[69:70], v[105:106]
	s_waitcnt vmcnt(0)
	v_mul_f64 v[97:98], v[71:72], v[105:106]
	v_fma_f64 v[105:106], v[71:72], v[103:104], v[99:100]
	ds_read2_b64 v[99:102], v125 offset0:16 offset1:17
	v_fma_f64 v[97:98], v[69:70], v[103:104], -v[97:98]
	buffer_load_dword v69, off, s[20:23], 0 offset:336 ; 4-byte Folded Reload
	buffer_load_dword v70, off, s[20:23], 0 offset:340 ; 4-byte Folded Reload
	buffer_load_dword v71, off, s[20:23], 0 offset:344 ; 4-byte Folded Reload
	buffer_load_dword v72, off, s[20:23], 0 offset:348 ; 4-byte Folded Reload
	s_waitcnt lgkmcnt(0)
	v_mul_f64 v[103:104], v[101:102], v[105:106]
	v_fma_f64 v[103:104], v[99:100], v[97:98], -v[103:104]
	v_mul_f64 v[99:100], v[99:100], v[105:106]
	v_fma_f64 v[99:100], v[101:102], v[97:98], v[99:100]
	s_waitcnt vmcnt(2)
	v_add_f64 v[69:70], v[69:70], -v[103:104]
	s_waitcnt vmcnt(0)
	v_add_f64 v[71:72], v[71:72], -v[99:100]
	buffer_store_dword v69, off, s[20:23], 0 offset:336 ; 4-byte Folded Spill
	s_nop 0
	buffer_store_dword v70, off, s[20:23], 0 offset:340 ; 4-byte Folded Spill
	buffer_store_dword v71, off, s[20:23], 0 offset:344 ; 4-byte Folded Spill
	buffer_store_dword v72, off, s[20:23], 0 offset:348 ; 4-byte Folded Spill
	ds_read2_b64 v[99:102], v125 offset0:18 offset1:19
	buffer_load_dword v69, off, s[20:23], 0 offset:320 ; 4-byte Folded Reload
	buffer_load_dword v70, off, s[20:23], 0 offset:324 ; 4-byte Folded Reload
	buffer_load_dword v71, off, s[20:23], 0 offset:328 ; 4-byte Folded Reload
	buffer_load_dword v72, off, s[20:23], 0 offset:332 ; 4-byte Folded Reload
	s_waitcnt lgkmcnt(0)
	v_mul_f64 v[103:104], v[101:102], v[105:106]
	v_fma_f64 v[103:104], v[99:100], v[97:98], -v[103:104]
	v_mul_f64 v[99:100], v[99:100], v[105:106]
	v_fma_f64 v[99:100], v[101:102], v[97:98], v[99:100]
	s_waitcnt vmcnt(2)
	v_add_f64 v[69:70], v[69:70], -v[103:104]
	s_waitcnt vmcnt(0)
	v_add_f64 v[71:72], v[71:72], -v[99:100]
	buffer_store_dword v69, off, s[20:23], 0 offset:320 ; 4-byte Folded Spill
	s_nop 0
	buffer_store_dword v70, off, s[20:23], 0 offset:324 ; 4-byte Folded Spill
	buffer_store_dword v71, off, s[20:23], 0 offset:328 ; 4-byte Folded Spill
	buffer_store_dword v72, off, s[20:23], 0 offset:332 ; 4-byte Folded Spill
	ds_read2_b64 v[99:102], v125 offset0:20 offset1:21
	buffer_load_dword v69, off, s[20:23], 0 offset:304 ; 4-byte Folded Reload
	buffer_load_dword v70, off, s[20:23], 0 offset:308 ; 4-byte Folded Reload
	buffer_load_dword v71, off, s[20:23], 0 offset:312 ; 4-byte Folded Reload
	buffer_load_dword v72, off, s[20:23], 0 offset:316 ; 4-byte Folded Reload
	s_waitcnt lgkmcnt(0)
	v_mul_f64 v[103:104], v[101:102], v[105:106]
	v_fma_f64 v[103:104], v[99:100], v[97:98], -v[103:104]
	v_mul_f64 v[99:100], v[99:100], v[105:106]
	v_fma_f64 v[99:100], v[101:102], v[97:98], v[99:100]
	s_waitcnt vmcnt(2)
	v_add_f64 v[69:70], v[69:70], -v[103:104]
	s_waitcnt vmcnt(0)
	v_add_f64 v[71:72], v[71:72], -v[99:100]
	buffer_store_dword v69, off, s[20:23], 0 offset:304 ; 4-byte Folded Spill
	s_nop 0
	buffer_store_dword v70, off, s[20:23], 0 offset:308 ; 4-byte Folded Spill
	buffer_store_dword v71, off, s[20:23], 0 offset:312 ; 4-byte Folded Spill
	buffer_store_dword v72, off, s[20:23], 0 offset:316 ; 4-byte Folded Spill
	ds_read2_b64 v[99:102], v125 offset0:22 offset1:23
	buffer_load_dword v69, off, s[20:23], 0 offset:288 ; 4-byte Folded Reload
	buffer_load_dword v70, off, s[20:23], 0 offset:292 ; 4-byte Folded Reload
	buffer_load_dword v71, off, s[20:23], 0 offset:296 ; 4-byte Folded Reload
	buffer_load_dword v72, off, s[20:23], 0 offset:300 ; 4-byte Folded Reload
	s_waitcnt lgkmcnt(0)
	v_mul_f64 v[103:104], v[101:102], v[105:106]
	v_fma_f64 v[103:104], v[99:100], v[97:98], -v[103:104]
	v_mul_f64 v[99:100], v[99:100], v[105:106]
	v_fma_f64 v[99:100], v[101:102], v[97:98], v[99:100]
	s_waitcnt vmcnt(2)
	v_add_f64 v[69:70], v[69:70], -v[103:104]
	s_waitcnt vmcnt(0)
	v_add_f64 v[71:72], v[71:72], -v[99:100]
	buffer_store_dword v69, off, s[20:23], 0 offset:288 ; 4-byte Folded Spill
	s_nop 0
	buffer_store_dword v70, off, s[20:23], 0 offset:292 ; 4-byte Folded Spill
	buffer_store_dword v71, off, s[20:23], 0 offset:296 ; 4-byte Folded Spill
	buffer_store_dword v72, off, s[20:23], 0 offset:300 ; 4-byte Folded Spill
	ds_read2_b64 v[99:102], v125 offset0:24 offset1:25
	buffer_load_dword v69, off, s[20:23], 0 offset:272 ; 4-byte Folded Reload
	buffer_load_dword v70, off, s[20:23], 0 offset:276 ; 4-byte Folded Reload
	buffer_load_dword v71, off, s[20:23], 0 offset:280 ; 4-byte Folded Reload
	buffer_load_dword v72, off, s[20:23], 0 offset:284 ; 4-byte Folded Reload
	s_waitcnt lgkmcnt(0)
	v_mul_f64 v[103:104], v[101:102], v[105:106]
	v_fma_f64 v[103:104], v[99:100], v[97:98], -v[103:104]
	v_mul_f64 v[99:100], v[99:100], v[105:106]
	v_fma_f64 v[99:100], v[101:102], v[97:98], v[99:100]
	s_waitcnt vmcnt(2)
	v_add_f64 v[69:70], v[69:70], -v[103:104]
	s_waitcnt vmcnt(0)
	v_add_f64 v[71:72], v[71:72], -v[99:100]
	buffer_store_dword v69, off, s[20:23], 0 offset:272 ; 4-byte Folded Spill
	s_nop 0
	buffer_store_dword v70, off, s[20:23], 0 offset:276 ; 4-byte Folded Spill
	buffer_store_dword v71, off, s[20:23], 0 offset:280 ; 4-byte Folded Spill
	buffer_store_dword v72, off, s[20:23], 0 offset:284 ; 4-byte Folded Spill
	ds_read2_b64 v[99:102], v125 offset0:26 offset1:27
	buffer_load_dword v69, off, s[20:23], 0 offset:256 ; 4-byte Folded Reload
	buffer_load_dword v70, off, s[20:23], 0 offset:260 ; 4-byte Folded Reload
	buffer_load_dword v71, off, s[20:23], 0 offset:264 ; 4-byte Folded Reload
	buffer_load_dword v72, off, s[20:23], 0 offset:268 ; 4-byte Folded Reload
	s_waitcnt lgkmcnt(0)
	v_mul_f64 v[103:104], v[101:102], v[105:106]
	v_fma_f64 v[103:104], v[99:100], v[97:98], -v[103:104]
	v_mul_f64 v[99:100], v[99:100], v[105:106]
	v_fma_f64 v[99:100], v[101:102], v[97:98], v[99:100]
	s_waitcnt vmcnt(2)
	v_add_f64 v[69:70], v[69:70], -v[103:104]
	s_waitcnt vmcnt(0)
	v_add_f64 v[71:72], v[71:72], -v[99:100]
	buffer_store_dword v69, off, s[20:23], 0 offset:256 ; 4-byte Folded Spill
	s_nop 0
	buffer_store_dword v70, off, s[20:23], 0 offset:260 ; 4-byte Folded Spill
	buffer_store_dword v71, off, s[20:23], 0 offset:264 ; 4-byte Folded Spill
	buffer_store_dword v72, off, s[20:23], 0 offset:268 ; 4-byte Folded Spill
	ds_read2_b64 v[99:102], v125 offset0:28 offset1:29
	buffer_load_dword v69, off, s[20:23], 0 offset:240 ; 4-byte Folded Reload
	buffer_load_dword v70, off, s[20:23], 0 offset:244 ; 4-byte Folded Reload
	buffer_load_dword v71, off, s[20:23], 0 offset:248 ; 4-byte Folded Reload
	buffer_load_dword v72, off, s[20:23], 0 offset:252 ; 4-byte Folded Reload
	s_waitcnt lgkmcnt(0)
	v_mul_f64 v[103:104], v[101:102], v[105:106]
	v_fma_f64 v[103:104], v[99:100], v[97:98], -v[103:104]
	v_mul_f64 v[99:100], v[99:100], v[105:106]
	v_fma_f64 v[99:100], v[101:102], v[97:98], v[99:100]
	s_waitcnt vmcnt(2)
	v_add_f64 v[69:70], v[69:70], -v[103:104]
	s_waitcnt vmcnt(0)
	v_add_f64 v[71:72], v[71:72], -v[99:100]
	buffer_store_dword v69, off, s[20:23], 0 offset:240 ; 4-byte Folded Spill
	s_nop 0
	buffer_store_dword v70, off, s[20:23], 0 offset:244 ; 4-byte Folded Spill
	buffer_store_dword v71, off, s[20:23], 0 offset:248 ; 4-byte Folded Spill
	buffer_store_dword v72, off, s[20:23], 0 offset:252 ; 4-byte Folded Spill
	ds_read2_b64 v[99:102], v125 offset0:30 offset1:31
	buffer_load_dword v69, off, s[20:23], 0 offset:224 ; 4-byte Folded Reload
	buffer_load_dword v70, off, s[20:23], 0 offset:228 ; 4-byte Folded Reload
	buffer_load_dword v71, off, s[20:23], 0 offset:232 ; 4-byte Folded Reload
	buffer_load_dword v72, off, s[20:23], 0 offset:236 ; 4-byte Folded Reload
	s_waitcnt lgkmcnt(0)
	v_mul_f64 v[103:104], v[101:102], v[105:106]
	v_fma_f64 v[103:104], v[99:100], v[97:98], -v[103:104]
	v_mul_f64 v[99:100], v[99:100], v[105:106]
	v_fma_f64 v[99:100], v[101:102], v[97:98], v[99:100]
	s_waitcnt vmcnt(2)
	v_add_f64 v[69:70], v[69:70], -v[103:104]
	s_waitcnt vmcnt(0)
	v_add_f64 v[71:72], v[71:72], -v[99:100]
	buffer_store_dword v69, off, s[20:23], 0 offset:224 ; 4-byte Folded Spill
	s_nop 0
	buffer_store_dword v70, off, s[20:23], 0 offset:228 ; 4-byte Folded Spill
	buffer_store_dword v71, off, s[20:23], 0 offset:232 ; 4-byte Folded Spill
	buffer_store_dword v72, off, s[20:23], 0 offset:236 ; 4-byte Folded Spill
	ds_read2_b64 v[99:102], v125 offset0:32 offset1:33
	buffer_load_dword v69, off, s[20:23], 0 offset:208 ; 4-byte Folded Reload
	buffer_load_dword v70, off, s[20:23], 0 offset:212 ; 4-byte Folded Reload
	buffer_load_dword v71, off, s[20:23], 0 offset:216 ; 4-byte Folded Reload
	buffer_load_dword v72, off, s[20:23], 0 offset:220 ; 4-byte Folded Reload
	s_waitcnt lgkmcnt(0)
	v_mul_f64 v[103:104], v[101:102], v[105:106]
	v_fma_f64 v[103:104], v[99:100], v[97:98], -v[103:104]
	v_mul_f64 v[99:100], v[99:100], v[105:106]
	v_fma_f64 v[99:100], v[101:102], v[97:98], v[99:100]
	s_waitcnt vmcnt(2)
	v_add_f64 v[69:70], v[69:70], -v[103:104]
	s_waitcnt vmcnt(0)
	v_add_f64 v[71:72], v[71:72], -v[99:100]
	buffer_store_dword v69, off, s[20:23], 0 offset:208 ; 4-byte Folded Spill
	s_nop 0
	buffer_store_dword v70, off, s[20:23], 0 offset:212 ; 4-byte Folded Spill
	buffer_store_dword v71, off, s[20:23], 0 offset:216 ; 4-byte Folded Spill
	buffer_store_dword v72, off, s[20:23], 0 offset:220 ; 4-byte Folded Spill
	ds_read2_b64 v[99:102], v125 offset0:34 offset1:35
	buffer_load_dword v69, off, s[20:23], 0 offset:192 ; 4-byte Folded Reload
	buffer_load_dword v70, off, s[20:23], 0 offset:196 ; 4-byte Folded Reload
	buffer_load_dword v71, off, s[20:23], 0 offset:200 ; 4-byte Folded Reload
	buffer_load_dword v72, off, s[20:23], 0 offset:204 ; 4-byte Folded Reload
	s_waitcnt lgkmcnt(0)
	v_mul_f64 v[103:104], v[101:102], v[105:106]
	v_fma_f64 v[103:104], v[99:100], v[97:98], -v[103:104]
	v_mul_f64 v[99:100], v[99:100], v[105:106]
	v_fma_f64 v[99:100], v[101:102], v[97:98], v[99:100]
	s_waitcnt vmcnt(2)
	v_add_f64 v[69:70], v[69:70], -v[103:104]
	s_waitcnt vmcnt(0)
	v_add_f64 v[71:72], v[71:72], -v[99:100]
	buffer_store_dword v69, off, s[20:23], 0 offset:192 ; 4-byte Folded Spill
	s_nop 0
	buffer_store_dword v70, off, s[20:23], 0 offset:196 ; 4-byte Folded Spill
	buffer_store_dword v71, off, s[20:23], 0 offset:200 ; 4-byte Folded Spill
	buffer_store_dword v72, off, s[20:23], 0 offset:204 ; 4-byte Folded Spill
	ds_read2_b64 v[99:102], v125 offset0:36 offset1:37
	buffer_load_dword v69, off, s[20:23], 0 offset:176 ; 4-byte Folded Reload
	buffer_load_dword v70, off, s[20:23], 0 offset:180 ; 4-byte Folded Reload
	buffer_load_dword v71, off, s[20:23], 0 offset:184 ; 4-byte Folded Reload
	buffer_load_dword v72, off, s[20:23], 0 offset:188 ; 4-byte Folded Reload
	s_waitcnt lgkmcnt(0)
	v_mul_f64 v[103:104], v[101:102], v[105:106]
	v_fma_f64 v[103:104], v[99:100], v[97:98], -v[103:104]
	v_mul_f64 v[99:100], v[99:100], v[105:106]
	v_fma_f64 v[99:100], v[101:102], v[97:98], v[99:100]
	s_waitcnt vmcnt(2)
	v_add_f64 v[69:70], v[69:70], -v[103:104]
	s_waitcnt vmcnt(0)
	v_add_f64 v[71:72], v[71:72], -v[99:100]
	buffer_store_dword v69, off, s[20:23], 0 offset:176 ; 4-byte Folded Spill
	s_nop 0
	buffer_store_dword v70, off, s[20:23], 0 offset:180 ; 4-byte Folded Spill
	buffer_store_dword v71, off, s[20:23], 0 offset:184 ; 4-byte Folded Spill
	buffer_store_dword v72, off, s[20:23], 0 offset:188 ; 4-byte Folded Spill
	ds_read2_b64 v[99:102], v125 offset0:38 offset1:39
	buffer_load_dword v69, off, s[20:23], 0 offset:160 ; 4-byte Folded Reload
	buffer_load_dword v70, off, s[20:23], 0 offset:164 ; 4-byte Folded Reload
	buffer_load_dword v71, off, s[20:23], 0 offset:168 ; 4-byte Folded Reload
	buffer_load_dword v72, off, s[20:23], 0 offset:172 ; 4-byte Folded Reload
	s_waitcnt lgkmcnt(0)
	v_mul_f64 v[103:104], v[101:102], v[105:106]
	v_fma_f64 v[103:104], v[99:100], v[97:98], -v[103:104]
	v_mul_f64 v[99:100], v[99:100], v[105:106]
	v_fma_f64 v[99:100], v[101:102], v[97:98], v[99:100]
	s_waitcnt vmcnt(2)
	v_add_f64 v[69:70], v[69:70], -v[103:104]
	s_waitcnt vmcnt(0)
	v_add_f64 v[71:72], v[71:72], -v[99:100]
	buffer_store_dword v69, off, s[20:23], 0 offset:160 ; 4-byte Folded Spill
	s_nop 0
	buffer_store_dword v70, off, s[20:23], 0 offset:164 ; 4-byte Folded Spill
	buffer_store_dword v71, off, s[20:23], 0 offset:168 ; 4-byte Folded Spill
	buffer_store_dword v72, off, s[20:23], 0 offset:172 ; 4-byte Folded Spill
	ds_read2_b64 v[99:102], v125 offset0:40 offset1:41
	buffer_load_dword v69, off, s[20:23], 0 offset:144 ; 4-byte Folded Reload
	buffer_load_dword v70, off, s[20:23], 0 offset:148 ; 4-byte Folded Reload
	buffer_load_dword v71, off, s[20:23], 0 offset:152 ; 4-byte Folded Reload
	buffer_load_dword v72, off, s[20:23], 0 offset:156 ; 4-byte Folded Reload
	s_waitcnt lgkmcnt(0)
	v_mul_f64 v[103:104], v[101:102], v[105:106]
	v_fma_f64 v[103:104], v[99:100], v[97:98], -v[103:104]
	v_mul_f64 v[99:100], v[99:100], v[105:106]
	v_fma_f64 v[99:100], v[101:102], v[97:98], v[99:100]
	s_waitcnt vmcnt(2)
	v_add_f64 v[69:70], v[69:70], -v[103:104]
	s_waitcnt vmcnt(0)
	v_add_f64 v[71:72], v[71:72], -v[99:100]
	buffer_store_dword v69, off, s[20:23], 0 offset:144 ; 4-byte Folded Spill
	s_nop 0
	buffer_store_dword v70, off, s[20:23], 0 offset:148 ; 4-byte Folded Spill
	buffer_store_dword v71, off, s[20:23], 0 offset:152 ; 4-byte Folded Spill
	buffer_store_dword v72, off, s[20:23], 0 offset:156 ; 4-byte Folded Spill
	ds_read2_b64 v[99:102], v125 offset0:42 offset1:43
	buffer_load_dword v69, off, s[20:23], 0 offset:128 ; 4-byte Folded Reload
	buffer_load_dword v70, off, s[20:23], 0 offset:132 ; 4-byte Folded Reload
	buffer_load_dword v71, off, s[20:23], 0 offset:136 ; 4-byte Folded Reload
	buffer_load_dword v72, off, s[20:23], 0 offset:140 ; 4-byte Folded Reload
	s_waitcnt lgkmcnt(0)
	v_mul_f64 v[103:104], v[101:102], v[105:106]
	v_fma_f64 v[103:104], v[99:100], v[97:98], -v[103:104]
	v_mul_f64 v[99:100], v[99:100], v[105:106]
	v_fma_f64 v[99:100], v[101:102], v[97:98], v[99:100]
	s_waitcnt vmcnt(2)
	v_add_f64 v[69:70], v[69:70], -v[103:104]
	s_waitcnt vmcnt(0)
	v_add_f64 v[71:72], v[71:72], -v[99:100]
	buffer_store_dword v69, off, s[20:23], 0 offset:128 ; 4-byte Folded Spill
	s_nop 0
	buffer_store_dword v70, off, s[20:23], 0 offset:132 ; 4-byte Folded Spill
	buffer_store_dword v71, off, s[20:23], 0 offset:136 ; 4-byte Folded Spill
	buffer_store_dword v72, off, s[20:23], 0 offset:140 ; 4-byte Folded Spill
	ds_read2_b64 v[99:102], v125 offset0:44 offset1:45
	buffer_load_dword v69, off, s[20:23], 0 offset:112 ; 4-byte Folded Reload
	buffer_load_dword v70, off, s[20:23], 0 offset:116 ; 4-byte Folded Reload
	buffer_load_dword v71, off, s[20:23], 0 offset:120 ; 4-byte Folded Reload
	buffer_load_dword v72, off, s[20:23], 0 offset:124 ; 4-byte Folded Reload
	s_waitcnt lgkmcnt(0)
	v_mul_f64 v[103:104], v[101:102], v[105:106]
	v_fma_f64 v[103:104], v[99:100], v[97:98], -v[103:104]
	v_mul_f64 v[99:100], v[99:100], v[105:106]
	v_fma_f64 v[99:100], v[101:102], v[97:98], v[99:100]
	s_waitcnt vmcnt(2)
	v_add_f64 v[69:70], v[69:70], -v[103:104]
	s_waitcnt vmcnt(0)
	v_add_f64 v[71:72], v[71:72], -v[99:100]
	buffer_store_dword v69, off, s[20:23], 0 offset:112 ; 4-byte Folded Spill
	s_nop 0
	buffer_store_dword v70, off, s[20:23], 0 offset:116 ; 4-byte Folded Spill
	buffer_store_dword v71, off, s[20:23], 0 offset:120 ; 4-byte Folded Spill
	buffer_store_dword v72, off, s[20:23], 0 offset:124 ; 4-byte Folded Spill
	ds_read2_b64 v[99:102], v125 offset0:46 offset1:47
	buffer_load_dword v69, off, s[20:23], 0 offset:96 ; 4-byte Folded Reload
	buffer_load_dword v70, off, s[20:23], 0 offset:100 ; 4-byte Folded Reload
	buffer_load_dword v71, off, s[20:23], 0 offset:104 ; 4-byte Folded Reload
	buffer_load_dword v72, off, s[20:23], 0 offset:108 ; 4-byte Folded Reload
	s_waitcnt lgkmcnt(0)
	v_mul_f64 v[103:104], v[101:102], v[105:106]
	v_fma_f64 v[103:104], v[99:100], v[97:98], -v[103:104]
	v_mul_f64 v[99:100], v[99:100], v[105:106]
	v_fma_f64 v[99:100], v[101:102], v[97:98], v[99:100]
	s_waitcnt vmcnt(2)
	v_add_f64 v[69:70], v[69:70], -v[103:104]
	s_waitcnt vmcnt(0)
	v_add_f64 v[71:72], v[71:72], -v[99:100]
	buffer_store_dword v69, off, s[20:23], 0 offset:96 ; 4-byte Folded Spill
	s_nop 0
	buffer_store_dword v70, off, s[20:23], 0 offset:100 ; 4-byte Folded Spill
	buffer_store_dword v71, off, s[20:23], 0 offset:104 ; 4-byte Folded Spill
	buffer_store_dword v72, off, s[20:23], 0 offset:108 ; 4-byte Folded Spill
	ds_read2_b64 v[99:102], v125 offset0:48 offset1:49
	buffer_load_dword v69, off, s[20:23], 0 offset:80 ; 4-byte Folded Reload
	buffer_load_dword v70, off, s[20:23], 0 offset:84 ; 4-byte Folded Reload
	buffer_load_dword v71, off, s[20:23], 0 offset:88 ; 4-byte Folded Reload
	buffer_load_dword v72, off, s[20:23], 0 offset:92 ; 4-byte Folded Reload
	s_waitcnt lgkmcnt(0)
	v_mul_f64 v[103:104], v[101:102], v[105:106]
	v_fma_f64 v[103:104], v[99:100], v[97:98], -v[103:104]
	v_mul_f64 v[99:100], v[99:100], v[105:106]
	v_fma_f64 v[99:100], v[101:102], v[97:98], v[99:100]
	s_waitcnt vmcnt(2)
	v_add_f64 v[69:70], v[69:70], -v[103:104]
	s_waitcnt vmcnt(0)
	v_add_f64 v[71:72], v[71:72], -v[99:100]
	buffer_store_dword v69, off, s[20:23], 0 offset:80 ; 4-byte Folded Spill
	s_nop 0
	buffer_store_dword v70, off, s[20:23], 0 offset:84 ; 4-byte Folded Spill
	buffer_store_dword v71, off, s[20:23], 0 offset:88 ; 4-byte Folded Spill
	buffer_store_dword v72, off, s[20:23], 0 offset:92 ; 4-byte Folded Spill
	ds_read2_b64 v[99:102], v125 offset0:50 offset1:51
	buffer_load_dword v69, off, s[20:23], 0 offset:64 ; 4-byte Folded Reload
	buffer_load_dword v70, off, s[20:23], 0 offset:68 ; 4-byte Folded Reload
	buffer_load_dword v71, off, s[20:23], 0 offset:72 ; 4-byte Folded Reload
	buffer_load_dword v72, off, s[20:23], 0 offset:76 ; 4-byte Folded Reload
	s_waitcnt lgkmcnt(0)
	v_mul_f64 v[103:104], v[101:102], v[105:106]
	v_fma_f64 v[103:104], v[99:100], v[97:98], -v[103:104]
	v_mul_f64 v[99:100], v[99:100], v[105:106]
	v_fma_f64 v[99:100], v[101:102], v[97:98], v[99:100]
	s_waitcnt vmcnt(2)
	v_add_f64 v[69:70], v[69:70], -v[103:104]
	s_waitcnt vmcnt(0)
	v_add_f64 v[71:72], v[71:72], -v[99:100]
	buffer_store_dword v69, off, s[20:23], 0 offset:64 ; 4-byte Folded Spill
	s_nop 0
	buffer_store_dword v70, off, s[20:23], 0 offset:68 ; 4-byte Folded Spill
	buffer_store_dword v71, off, s[20:23], 0 offset:72 ; 4-byte Folded Spill
	buffer_store_dword v72, off, s[20:23], 0 offset:76 ; 4-byte Folded Spill
	ds_read2_b64 v[99:102], v125 offset0:52 offset1:53
	buffer_load_dword v69, off, s[20:23], 0 offset:48 ; 4-byte Folded Reload
	buffer_load_dword v70, off, s[20:23], 0 offset:52 ; 4-byte Folded Reload
	buffer_load_dword v71, off, s[20:23], 0 offset:56 ; 4-byte Folded Reload
	buffer_load_dword v72, off, s[20:23], 0 offset:60 ; 4-byte Folded Reload
	s_waitcnt lgkmcnt(0)
	v_mul_f64 v[103:104], v[101:102], v[105:106]
	v_fma_f64 v[103:104], v[99:100], v[97:98], -v[103:104]
	v_mul_f64 v[99:100], v[99:100], v[105:106]
	v_fma_f64 v[99:100], v[101:102], v[97:98], v[99:100]
	s_waitcnt vmcnt(2)
	v_add_f64 v[69:70], v[69:70], -v[103:104]
	s_waitcnt vmcnt(0)
	v_add_f64 v[71:72], v[71:72], -v[99:100]
	buffer_store_dword v69, off, s[20:23], 0 offset:48 ; 4-byte Folded Spill
	s_nop 0
	buffer_store_dword v70, off, s[20:23], 0 offset:52 ; 4-byte Folded Spill
	buffer_store_dword v71, off, s[20:23], 0 offset:56 ; 4-byte Folded Spill
	buffer_store_dword v72, off, s[20:23], 0 offset:60 ; 4-byte Folded Spill
	ds_read2_b64 v[99:102], v125 offset0:54 offset1:55
	v_mov_b32_e32 v69, v73
	v_mov_b32_e32 v70, v74
	;; [unrolled: 1-line block ×4, first 2 shown]
	s_waitcnt lgkmcnt(0)
	v_mul_f64 v[103:104], v[101:102], v[105:106]
	v_fma_f64 v[103:104], v[99:100], v[97:98], -v[103:104]
	v_mul_f64 v[99:100], v[99:100], v[105:106]
	v_add_f64 v[117:118], v[117:118], -v[103:104]
	v_fma_f64 v[99:100], v[101:102], v[97:98], v[99:100]
	v_add_f64 v[119:120], v[119:120], -v[99:100]
	ds_read2_b64 v[99:102], v125 offset0:56 offset1:57
	s_waitcnt lgkmcnt(0)
	v_mul_f64 v[103:104], v[101:102], v[105:106]
	v_fma_f64 v[103:104], v[99:100], v[97:98], -v[103:104]
	v_mul_f64 v[99:100], v[99:100], v[105:106]
	v_add_f64 v[121:122], v[121:122], -v[103:104]
	v_fma_f64 v[99:100], v[101:102], v[97:98], v[99:100]
	v_add_f64 v[123:124], v[123:124], -v[99:100]
	ds_read2_b64 v[99:102], v125 offset0:58 offset1:59
	s_waitcnt lgkmcnt(0)
	v_mul_f64 v[103:104], v[101:102], v[105:106]
	v_fma_f64 v[103:104], v[99:100], v[97:98], -v[103:104]
	v_mul_f64 v[99:100], v[99:100], v[105:106]
	v_add_f64 v[109:110], v[109:110], -v[103:104]
	v_fma_f64 v[99:100], v[101:102], v[97:98], v[99:100]
	v_add_f64 v[111:112], v[111:112], -v[99:100]
	ds_read2_b64 v[99:102], v125 offset0:60 offset1:61
	s_waitcnt lgkmcnt(0)
	v_mul_f64 v[103:104], v[101:102], v[105:106]
	v_fma_f64 v[103:104], v[99:100], v[97:98], -v[103:104]
	v_mul_f64 v[99:100], v[99:100], v[105:106]
	v_add_f64 v[113:114], v[113:114], -v[103:104]
	v_fma_f64 v[99:100], v[101:102], v[97:98], v[99:100]
	v_add_f64 v[115:116], v[115:116], -v[99:100]
	ds_read2_b64 v[99:102], v125 offset0:62 offset1:63
	s_waitcnt lgkmcnt(0)
	v_mul_f64 v[103:104], v[101:102], v[105:106]
	v_fma_f64 v[103:104], v[99:100], v[97:98], -v[103:104]
	v_mul_f64 v[99:100], v[99:100], v[105:106]
	v_add_f64 v[93:94], v[93:94], -v[103:104]
	v_fma_f64 v[99:100], v[101:102], v[97:98], v[99:100]
	v_add_f64 v[95:96], v[95:96], -v[99:100]
	ds_read2_b64 v[99:102], v125 offset0:64 offset1:65
	buffer_load_dword v77, off, s[20:23], 0 offset:32 ; 4-byte Folded Reload
	buffer_load_dword v78, off, s[20:23], 0 offset:36 ; 4-byte Folded Reload
	buffer_load_dword v79, off, s[20:23], 0 offset:40 ; 4-byte Folded Reload
	buffer_load_dword v80, off, s[20:23], 0 offset:44 ; 4-byte Folded Reload
	s_waitcnt lgkmcnt(0)
	v_mul_f64 v[103:104], v[101:102], v[105:106]
	v_fma_f64 v[103:104], v[99:100], v[97:98], -v[103:104]
	v_mul_f64 v[99:100], v[99:100], v[105:106]
	v_fma_f64 v[99:100], v[101:102], v[97:98], v[99:100]
	s_waitcnt vmcnt(2)
	v_add_f64 v[77:78], v[77:78], -v[103:104]
	s_waitcnt vmcnt(0)
	v_add_f64 v[79:80], v[79:80], -v[99:100]
	buffer_store_dword v77, off, s[20:23], 0 offset:32 ; 4-byte Folded Spill
	s_nop 0
	buffer_store_dword v78, off, s[20:23], 0 offset:36 ; 4-byte Folded Spill
	buffer_store_dword v79, off, s[20:23], 0 offset:40 ; 4-byte Folded Spill
	;; [unrolled: 1-line block ×3, first 2 shown]
	ds_read2_b64 v[99:102], v125 offset0:66 offset1:67
	buffer_load_dword v73, off, s[20:23], 0 offset:16 ; 4-byte Folded Reload
	buffer_load_dword v74, off, s[20:23], 0 offset:20 ; 4-byte Folded Reload
	;; [unrolled: 1-line block ×4, first 2 shown]
	s_waitcnt lgkmcnt(0)
	v_mul_f64 v[103:104], v[101:102], v[105:106]
	v_fma_f64 v[103:104], v[99:100], v[97:98], -v[103:104]
	v_mul_f64 v[99:100], v[99:100], v[105:106]
	v_fma_f64 v[99:100], v[101:102], v[97:98], v[99:100]
	s_waitcnt vmcnt(2)
	v_add_f64 v[73:74], v[73:74], -v[103:104]
	s_waitcnt vmcnt(0)
	v_add_f64 v[75:76], v[75:76], -v[99:100]
	buffer_store_dword v73, off, s[20:23], 0 offset:16 ; 4-byte Folded Spill
	s_nop 0
	buffer_store_dword v74, off, s[20:23], 0 offset:20 ; 4-byte Folded Spill
	buffer_store_dword v75, off, s[20:23], 0 offset:24 ; 4-byte Folded Spill
	buffer_store_dword v76, off, s[20:23], 0 offset:28 ; 4-byte Folded Spill
	v_mov_b32_e32 v76, v72
	v_mov_b32_e32 v75, v71
	;; [unrolled: 1-line block ×4, first 2 shown]
	ds_read2_b64 v[99:102], v125 offset0:68 offset1:69
	buffer_load_dword v69, off, s[20:23], 0 ; 4-byte Folded Reload
	buffer_load_dword v70, off, s[20:23], 0 offset:4 ; 4-byte Folded Reload
	buffer_load_dword v71, off, s[20:23], 0 offset:8 ; 4-byte Folded Reload
	buffer_load_dword v72, off, s[20:23], 0 offset:12 ; 4-byte Folded Reload
	s_waitcnt lgkmcnt(0)
	v_mul_f64 v[103:104], v[101:102], v[105:106]
	v_fma_f64 v[103:104], v[99:100], v[97:98], -v[103:104]
	v_mul_f64 v[99:100], v[99:100], v[105:106]
	v_fma_f64 v[99:100], v[101:102], v[97:98], v[99:100]
	s_waitcnt vmcnt(2)
	v_add_f64 v[69:70], v[69:70], -v[103:104]
	s_waitcnt vmcnt(0)
	v_add_f64 v[71:72], v[71:72], -v[99:100]
	buffer_store_dword v69, off, s[20:23], 0 ; 4-byte Folded Spill
	s_nop 0
	buffer_store_dword v70, off, s[20:23], 0 offset:4 ; 4-byte Folded Spill
	buffer_store_dword v71, off, s[20:23], 0 offset:8 ; 4-byte Folded Spill
	;; [unrolled: 1-line block ×3, first 2 shown]
	ds_read2_b64 v[99:102], v125 offset0:70 offset1:71
	s_waitcnt lgkmcnt(0)
	v_mul_f64 v[103:104], v[101:102], v[105:106]
	v_fma_f64 v[103:104], v[99:100], v[97:98], -v[103:104]
	v_mul_f64 v[99:100], v[99:100], v[105:106]
	v_add_f64 v[65:66], v[65:66], -v[103:104]
	v_fma_f64 v[99:100], v[101:102], v[97:98], v[99:100]
	v_add_f64 v[67:68], v[67:68], -v[99:100]
	ds_read2_b64 v[99:102], v125 offset0:72 offset1:73
	s_waitcnt lgkmcnt(0)
	v_mul_f64 v[103:104], v[101:102], v[105:106]
	v_fma_f64 v[103:104], v[99:100], v[97:98], -v[103:104]
	v_mul_f64 v[99:100], v[99:100], v[105:106]
	v_add_f64 v[61:62], v[61:62], -v[103:104]
	v_fma_f64 v[99:100], v[101:102], v[97:98], v[99:100]
	v_add_f64 v[63:64], v[63:64], -v[99:100]
	;; [unrolled: 8-line block ×16, first 2 shown]
	ds_read2_b64 v[99:102], v125 offset0:102 offset1:103
	s_waitcnt lgkmcnt(0)
	v_mul_f64 v[103:104], v[101:102], v[105:106]
	v_fma_f64 v[103:104], v[99:100], v[97:98], -v[103:104]
	v_mul_f64 v[99:100], v[99:100], v[105:106]
	v_add_f64 v[1:2], v[1:2], -v[103:104]
	v_fma_f64 v[99:100], v[101:102], v[97:98], v[99:100]
	ds_read2_b64 v[101:104], v125 offset0:104 offset1:105
	v_add_f64 v[3:4], v[3:4], -v[99:100]
	s_waitcnt lgkmcnt(0)
	v_mul_f64 v[99:100], v[103:104], v[105:106]
	v_fma_f64 v[99:100], v[101:102], v[97:98], -v[99:100]
	v_mul_f64 v[101:102], v[101:102], v[105:106]
	v_add_f64 v[73:74], v[73:74], -v[99:100]
	v_fma_f64 v[101:102], v[103:104], v[97:98], v[101:102]
	v_mov_b32_e32 v104, v98
	v_mov_b32_e32 v103, v97
	buffer_store_dword v103, off, s[20:23], 0 offset:352 ; 4-byte Folded Spill
	s_nop 0
	buffer_store_dword v104, off, s[20:23], 0 offset:356 ; 4-byte Folded Spill
	buffer_store_dword v105, off, s[20:23], 0 offset:360 ; 4-byte Folded Spill
	buffer_store_dword v106, off, s[20:23], 0 offset:364 ; 4-byte Folded Spill
	v_add_f64 v[75:76], v[75:76], -v[101:102]
.LBB105_73:
	s_or_b64 exec, exec, s[2:3]
	v_cmp_eq_u32_e32 vcc, 8, v0
	s_waitcnt vmcnt(0)
	s_barrier
	s_and_saveexec_b64 s[4:5], vcc
	s_cbranch_execz .LBB105_80
; %bb.74:
	buffer_load_dword v69, off, s[20:23], 0 offset:336 ; 4-byte Folded Reload
	buffer_load_dword v70, off, s[20:23], 0 offset:340 ; 4-byte Folded Reload
	;; [unrolled: 1-line block ×4, first 2 shown]
	s_waitcnt vmcnt(0)
	ds_write2_b64 v127, v[69:70], v[71:72] offset1:1
	buffer_load_dword v69, off, s[20:23], 0 offset:320 ; 4-byte Folded Reload
	buffer_load_dword v70, off, s[20:23], 0 offset:324 ; 4-byte Folded Reload
	buffer_load_dword v71, off, s[20:23], 0 offset:328 ; 4-byte Folded Reload
	buffer_load_dword v72, off, s[20:23], 0 offset:332 ; 4-byte Folded Reload
	s_waitcnt vmcnt(0)
	ds_write2_b64 v125, v[69:70], v[71:72] offset0:18 offset1:19
	buffer_load_dword v69, off, s[20:23], 0 offset:304 ; 4-byte Folded Reload
	buffer_load_dword v70, off, s[20:23], 0 offset:308 ; 4-byte Folded Reload
	buffer_load_dword v71, off, s[20:23], 0 offset:312 ; 4-byte Folded Reload
	buffer_load_dword v72, off, s[20:23], 0 offset:316 ; 4-byte Folded Reload
	s_waitcnt vmcnt(0)
	ds_write2_b64 v125, v[69:70], v[71:72] offset0:20 offset1:21
	;; [unrolled: 6-line block ×18, first 2 shown]
	ds_write2_b64 v125, v[117:118], v[119:120] offset0:54 offset1:55
	ds_write2_b64 v125, v[121:122], v[123:124] offset0:56 offset1:57
	;; [unrolled: 1-line block ×5, first 2 shown]
	buffer_load_dword v77, off, s[20:23], 0 offset:32 ; 4-byte Folded Reload
	buffer_load_dword v78, off, s[20:23], 0 offset:36 ; 4-byte Folded Reload
	;; [unrolled: 1-line block ×4, first 2 shown]
	v_mov_b32_e32 v69, v73
	v_mov_b32_e32 v70, v74
	v_mov_b32_e32 v71, v75
	v_mov_b32_e32 v72, v76
	s_waitcnt vmcnt(0)
	ds_write2_b64 v125, v[77:78], v[79:80] offset0:64 offset1:65
	buffer_load_dword v73, off, s[20:23], 0 offset:16 ; 4-byte Folded Reload
	buffer_load_dword v74, off, s[20:23], 0 offset:20 ; 4-byte Folded Reload
	;; [unrolled: 1-line block ×4, first 2 shown]
	s_waitcnt vmcnt(0)
	ds_write2_b64 v125, v[73:74], v[75:76] offset0:66 offset1:67
	v_mov_b32_e32 v76, v72
	v_mov_b32_e32 v75, v71
	;; [unrolled: 1-line block ×4, first 2 shown]
	buffer_load_dword v69, off, s[20:23], 0 ; 4-byte Folded Reload
	buffer_load_dword v70, off, s[20:23], 0 offset:4 ; 4-byte Folded Reload
	buffer_load_dword v71, off, s[20:23], 0 offset:8 ; 4-byte Folded Reload
	;; [unrolled: 1-line block ×3, first 2 shown]
	s_waitcnt vmcnt(0)
	ds_write2_b64 v125, v[69:70], v[71:72] offset0:68 offset1:69
	ds_write2_b64 v125, v[65:66], v[67:68] offset0:70 offset1:71
	;; [unrolled: 1-line block ×19, first 2 shown]
	ds_read2_b64 v[97:100], v127 offset1:1
	s_waitcnt lgkmcnt(0)
	v_cmp_neq_f64_e32 vcc, 0, v[97:98]
	v_cmp_neq_f64_e64 s[2:3], 0, v[99:100]
	s_or_b64 s[2:3], vcc, s[2:3]
	s_and_b64 exec, exec, s[2:3]
	s_cbranch_execz .LBB105_80
; %bb.75:
	v_cmp_ngt_f64_e64 s[2:3], |v[97:98]|, |v[99:100]|
                                        ; implicit-def: $vgpr101_vgpr102
	s_and_saveexec_b64 s[6:7], s[2:3]
	s_xor_b64 s[2:3], exec, s[6:7]
                                        ; implicit-def: $vgpr103_vgpr104
	s_cbranch_execz .LBB105_77
; %bb.76:
	v_div_scale_f64 v[101:102], s[6:7], v[99:100], v[99:100], v[97:98]
	v_rcp_f64_e32 v[103:104], v[101:102]
	v_fma_f64 v[105:106], -v[101:102], v[103:104], 1.0
	v_fma_f64 v[103:104], v[103:104], v[105:106], v[103:104]
	v_div_scale_f64 v[105:106], vcc, v[97:98], v[99:100], v[97:98]
	v_fma_f64 v[107:108], -v[101:102], v[103:104], 1.0
	v_fma_f64 v[103:104], v[103:104], v[107:108], v[103:104]
	v_mul_f64 v[107:108], v[105:106], v[103:104]
	v_fma_f64 v[101:102], -v[101:102], v[107:108], v[105:106]
	v_div_fmas_f64 v[101:102], v[101:102], v[103:104], v[107:108]
	v_div_fixup_f64 v[101:102], v[101:102], v[99:100], v[97:98]
	v_fma_f64 v[97:98], v[97:98], v[101:102], v[99:100]
	v_div_scale_f64 v[99:100], s[6:7], v[97:98], v[97:98], 1.0
	v_div_scale_f64 v[107:108], vcc, 1.0, v[97:98], 1.0
	v_rcp_f64_e32 v[103:104], v[99:100]
	v_fma_f64 v[105:106], -v[99:100], v[103:104], 1.0
	v_fma_f64 v[103:104], v[103:104], v[105:106], v[103:104]
	v_fma_f64 v[105:106], -v[99:100], v[103:104], 1.0
	v_fma_f64 v[103:104], v[103:104], v[105:106], v[103:104]
	v_mul_f64 v[105:106], v[107:108], v[103:104]
	v_fma_f64 v[99:100], -v[99:100], v[105:106], v[107:108]
	v_div_fmas_f64 v[99:100], v[99:100], v[103:104], v[105:106]
	v_div_fixup_f64 v[103:104], v[99:100], v[97:98], 1.0
                                        ; implicit-def: $vgpr97_vgpr98
	v_mul_f64 v[101:102], v[101:102], v[103:104]
	v_xor_b32_e32 v104, 0x80000000, v104
.LBB105_77:
	s_andn2_saveexec_b64 s[2:3], s[2:3]
	s_cbranch_execz .LBB105_79
; %bb.78:
	v_div_scale_f64 v[101:102], s[6:7], v[97:98], v[97:98], v[99:100]
	v_rcp_f64_e32 v[103:104], v[101:102]
	v_fma_f64 v[105:106], -v[101:102], v[103:104], 1.0
	v_fma_f64 v[103:104], v[103:104], v[105:106], v[103:104]
	v_div_scale_f64 v[105:106], vcc, v[99:100], v[97:98], v[99:100]
	v_fma_f64 v[107:108], -v[101:102], v[103:104], 1.0
	v_fma_f64 v[103:104], v[103:104], v[107:108], v[103:104]
	v_mul_f64 v[107:108], v[105:106], v[103:104]
	v_fma_f64 v[101:102], -v[101:102], v[107:108], v[105:106]
	v_div_fmas_f64 v[101:102], v[101:102], v[103:104], v[107:108]
	v_div_fixup_f64 v[103:104], v[101:102], v[97:98], v[99:100]
	v_fma_f64 v[97:98], v[99:100], v[103:104], v[97:98]
	v_div_scale_f64 v[99:100], s[6:7], v[97:98], v[97:98], 1.0
	v_div_scale_f64 v[107:108], vcc, 1.0, v[97:98], 1.0
	v_rcp_f64_e32 v[101:102], v[99:100]
	v_fma_f64 v[105:106], -v[99:100], v[101:102], 1.0
	v_fma_f64 v[101:102], v[101:102], v[105:106], v[101:102]
	v_fma_f64 v[105:106], -v[99:100], v[101:102], 1.0
	v_fma_f64 v[101:102], v[101:102], v[105:106], v[101:102]
	v_mul_f64 v[105:106], v[107:108], v[101:102]
	v_fma_f64 v[99:100], -v[99:100], v[105:106], v[107:108]
	v_div_fmas_f64 v[99:100], v[99:100], v[101:102], v[105:106]
	v_div_fixup_f64 v[101:102], v[99:100], v[97:98], 1.0
	v_mul_f64 v[103:104], v[103:104], -v[101:102]
.LBB105_79:
	s_or_b64 exec, exec, s[2:3]
	ds_write2_b64 v127, v[101:102], v[103:104] offset1:1
.LBB105_80:
	s_or_b64 exec, exec, s[4:5]
	s_waitcnt lgkmcnt(0)
	s_barrier
	ds_read2_b64 v[69:72], v127 offset1:1
	v_cmp_lt_u32_e32 vcc, 8, v0
	s_waitcnt lgkmcnt(0)
	buffer_store_dword v69, off, s[20:23], 0 offset:1024 ; 4-byte Folded Spill
	s_nop 0
	buffer_store_dword v70, off, s[20:23], 0 offset:1028 ; 4-byte Folded Spill
	buffer_store_dword v71, off, s[20:23], 0 offset:1032 ; 4-byte Folded Spill
	;; [unrolled: 1-line block ×3, first 2 shown]
	s_and_saveexec_b64 s[2:3], vcc
	s_cbranch_execz .LBB105_82
; %bb.81:
	buffer_load_dword v103, off, s[20:23], 0 offset:336 ; 4-byte Folded Reload
	buffer_load_dword v104, off, s[20:23], 0 offset:340 ; 4-byte Folded Reload
	;; [unrolled: 1-line block ×8, first 2 shown]
	s_waitcnt vmcnt(2)
	v_mul_f64 v[99:100], v[69:70], v[105:106]
	s_waitcnt vmcnt(0)
	v_mul_f64 v[97:98], v[71:72], v[105:106]
	v_fma_f64 v[105:106], v[71:72], v[103:104], v[99:100]
	ds_read2_b64 v[99:102], v125 offset0:18 offset1:19
	v_fma_f64 v[97:98], v[69:70], v[103:104], -v[97:98]
	buffer_load_dword v69, off, s[20:23], 0 offset:320 ; 4-byte Folded Reload
	buffer_load_dword v70, off, s[20:23], 0 offset:324 ; 4-byte Folded Reload
	buffer_load_dword v71, off, s[20:23], 0 offset:328 ; 4-byte Folded Reload
	buffer_load_dword v72, off, s[20:23], 0 offset:332 ; 4-byte Folded Reload
	s_waitcnt lgkmcnt(0)
	v_mul_f64 v[103:104], v[101:102], v[105:106]
	v_fma_f64 v[103:104], v[99:100], v[97:98], -v[103:104]
	v_mul_f64 v[99:100], v[99:100], v[105:106]
	v_fma_f64 v[99:100], v[101:102], v[97:98], v[99:100]
	s_waitcnt vmcnt(2)
	v_add_f64 v[69:70], v[69:70], -v[103:104]
	s_waitcnt vmcnt(0)
	v_add_f64 v[71:72], v[71:72], -v[99:100]
	buffer_store_dword v69, off, s[20:23], 0 offset:320 ; 4-byte Folded Spill
	s_nop 0
	buffer_store_dword v70, off, s[20:23], 0 offset:324 ; 4-byte Folded Spill
	buffer_store_dword v71, off, s[20:23], 0 offset:328 ; 4-byte Folded Spill
	buffer_store_dword v72, off, s[20:23], 0 offset:332 ; 4-byte Folded Spill
	ds_read2_b64 v[99:102], v125 offset0:20 offset1:21
	buffer_load_dword v69, off, s[20:23], 0 offset:304 ; 4-byte Folded Reload
	buffer_load_dword v70, off, s[20:23], 0 offset:308 ; 4-byte Folded Reload
	buffer_load_dword v71, off, s[20:23], 0 offset:312 ; 4-byte Folded Reload
	buffer_load_dword v72, off, s[20:23], 0 offset:316 ; 4-byte Folded Reload
	s_waitcnt lgkmcnt(0)
	v_mul_f64 v[103:104], v[101:102], v[105:106]
	v_fma_f64 v[103:104], v[99:100], v[97:98], -v[103:104]
	v_mul_f64 v[99:100], v[99:100], v[105:106]
	v_fma_f64 v[99:100], v[101:102], v[97:98], v[99:100]
	s_waitcnt vmcnt(2)
	v_add_f64 v[69:70], v[69:70], -v[103:104]
	s_waitcnt vmcnt(0)
	v_add_f64 v[71:72], v[71:72], -v[99:100]
	buffer_store_dword v69, off, s[20:23], 0 offset:304 ; 4-byte Folded Spill
	s_nop 0
	buffer_store_dword v70, off, s[20:23], 0 offset:308 ; 4-byte Folded Spill
	buffer_store_dword v71, off, s[20:23], 0 offset:312 ; 4-byte Folded Spill
	buffer_store_dword v72, off, s[20:23], 0 offset:316 ; 4-byte Folded Spill
	ds_read2_b64 v[99:102], v125 offset0:22 offset1:23
	;; [unrolled: 19-line block ×18, first 2 shown]
	v_mov_b32_e32 v69, v73
	v_mov_b32_e32 v70, v74
	;; [unrolled: 1-line block ×4, first 2 shown]
	s_waitcnt lgkmcnt(0)
	v_mul_f64 v[103:104], v[101:102], v[105:106]
	v_fma_f64 v[103:104], v[99:100], v[97:98], -v[103:104]
	v_mul_f64 v[99:100], v[99:100], v[105:106]
	v_add_f64 v[117:118], v[117:118], -v[103:104]
	v_fma_f64 v[99:100], v[101:102], v[97:98], v[99:100]
	v_add_f64 v[119:120], v[119:120], -v[99:100]
	ds_read2_b64 v[99:102], v125 offset0:56 offset1:57
	s_waitcnt lgkmcnt(0)
	v_mul_f64 v[103:104], v[101:102], v[105:106]
	v_fma_f64 v[103:104], v[99:100], v[97:98], -v[103:104]
	v_mul_f64 v[99:100], v[99:100], v[105:106]
	v_add_f64 v[121:122], v[121:122], -v[103:104]
	v_fma_f64 v[99:100], v[101:102], v[97:98], v[99:100]
	v_add_f64 v[123:124], v[123:124], -v[99:100]
	ds_read2_b64 v[99:102], v125 offset0:58 offset1:59
	;; [unrolled: 8-line block ×5, first 2 shown]
	buffer_load_dword v77, off, s[20:23], 0 offset:32 ; 4-byte Folded Reload
	buffer_load_dword v78, off, s[20:23], 0 offset:36 ; 4-byte Folded Reload
	;; [unrolled: 1-line block ×4, first 2 shown]
	s_waitcnt lgkmcnt(0)
	v_mul_f64 v[103:104], v[101:102], v[105:106]
	v_fma_f64 v[103:104], v[99:100], v[97:98], -v[103:104]
	v_mul_f64 v[99:100], v[99:100], v[105:106]
	v_fma_f64 v[99:100], v[101:102], v[97:98], v[99:100]
	s_waitcnt vmcnt(2)
	v_add_f64 v[77:78], v[77:78], -v[103:104]
	s_waitcnt vmcnt(0)
	v_add_f64 v[79:80], v[79:80], -v[99:100]
	buffer_store_dword v77, off, s[20:23], 0 offset:32 ; 4-byte Folded Spill
	s_nop 0
	buffer_store_dword v78, off, s[20:23], 0 offset:36 ; 4-byte Folded Spill
	buffer_store_dword v79, off, s[20:23], 0 offset:40 ; 4-byte Folded Spill
	;; [unrolled: 1-line block ×3, first 2 shown]
	ds_read2_b64 v[99:102], v125 offset0:66 offset1:67
	buffer_load_dword v73, off, s[20:23], 0 offset:16 ; 4-byte Folded Reload
	buffer_load_dword v74, off, s[20:23], 0 offset:20 ; 4-byte Folded Reload
	;; [unrolled: 1-line block ×4, first 2 shown]
	s_waitcnt lgkmcnt(0)
	v_mul_f64 v[103:104], v[101:102], v[105:106]
	v_fma_f64 v[103:104], v[99:100], v[97:98], -v[103:104]
	v_mul_f64 v[99:100], v[99:100], v[105:106]
	v_fma_f64 v[99:100], v[101:102], v[97:98], v[99:100]
	s_waitcnt vmcnt(2)
	v_add_f64 v[73:74], v[73:74], -v[103:104]
	s_waitcnt vmcnt(0)
	v_add_f64 v[75:76], v[75:76], -v[99:100]
	buffer_store_dword v73, off, s[20:23], 0 offset:16 ; 4-byte Folded Spill
	s_nop 0
	buffer_store_dword v74, off, s[20:23], 0 offset:20 ; 4-byte Folded Spill
	buffer_store_dword v75, off, s[20:23], 0 offset:24 ; 4-byte Folded Spill
	buffer_store_dword v76, off, s[20:23], 0 offset:28 ; 4-byte Folded Spill
	v_mov_b32_e32 v76, v72
	v_mov_b32_e32 v75, v71
	;; [unrolled: 1-line block ×4, first 2 shown]
	ds_read2_b64 v[99:102], v125 offset0:68 offset1:69
	buffer_load_dword v69, off, s[20:23], 0 ; 4-byte Folded Reload
	buffer_load_dword v70, off, s[20:23], 0 offset:4 ; 4-byte Folded Reload
	buffer_load_dword v71, off, s[20:23], 0 offset:8 ; 4-byte Folded Reload
	;; [unrolled: 1-line block ×3, first 2 shown]
	s_waitcnt lgkmcnt(0)
	v_mul_f64 v[103:104], v[101:102], v[105:106]
	v_fma_f64 v[103:104], v[99:100], v[97:98], -v[103:104]
	v_mul_f64 v[99:100], v[99:100], v[105:106]
	v_fma_f64 v[99:100], v[101:102], v[97:98], v[99:100]
	s_waitcnt vmcnt(2)
	v_add_f64 v[69:70], v[69:70], -v[103:104]
	s_waitcnt vmcnt(0)
	v_add_f64 v[71:72], v[71:72], -v[99:100]
	buffer_store_dword v69, off, s[20:23], 0 ; 4-byte Folded Spill
	s_nop 0
	buffer_store_dword v70, off, s[20:23], 0 offset:4 ; 4-byte Folded Spill
	buffer_store_dword v71, off, s[20:23], 0 offset:8 ; 4-byte Folded Spill
	;; [unrolled: 1-line block ×3, first 2 shown]
	ds_read2_b64 v[99:102], v125 offset0:70 offset1:71
	s_waitcnt lgkmcnt(0)
	v_mul_f64 v[103:104], v[101:102], v[105:106]
	v_fma_f64 v[103:104], v[99:100], v[97:98], -v[103:104]
	v_mul_f64 v[99:100], v[99:100], v[105:106]
	v_add_f64 v[65:66], v[65:66], -v[103:104]
	v_fma_f64 v[99:100], v[101:102], v[97:98], v[99:100]
	v_add_f64 v[67:68], v[67:68], -v[99:100]
	ds_read2_b64 v[99:102], v125 offset0:72 offset1:73
	s_waitcnt lgkmcnt(0)
	v_mul_f64 v[103:104], v[101:102], v[105:106]
	v_fma_f64 v[103:104], v[99:100], v[97:98], -v[103:104]
	v_mul_f64 v[99:100], v[99:100], v[105:106]
	v_add_f64 v[61:62], v[61:62], -v[103:104]
	v_fma_f64 v[99:100], v[101:102], v[97:98], v[99:100]
	v_add_f64 v[63:64], v[63:64], -v[99:100]
	;; [unrolled: 8-line block ×16, first 2 shown]
	ds_read2_b64 v[99:102], v125 offset0:102 offset1:103
	s_waitcnt lgkmcnt(0)
	v_mul_f64 v[103:104], v[101:102], v[105:106]
	v_fma_f64 v[103:104], v[99:100], v[97:98], -v[103:104]
	v_mul_f64 v[99:100], v[99:100], v[105:106]
	v_add_f64 v[1:2], v[1:2], -v[103:104]
	v_fma_f64 v[99:100], v[101:102], v[97:98], v[99:100]
	ds_read2_b64 v[101:104], v125 offset0:104 offset1:105
	v_add_f64 v[3:4], v[3:4], -v[99:100]
	s_waitcnt lgkmcnt(0)
	v_mul_f64 v[99:100], v[103:104], v[105:106]
	v_fma_f64 v[99:100], v[101:102], v[97:98], -v[99:100]
	v_mul_f64 v[101:102], v[101:102], v[105:106]
	v_add_f64 v[73:74], v[73:74], -v[99:100]
	v_fma_f64 v[101:102], v[103:104], v[97:98], v[101:102]
	v_mov_b32_e32 v104, v98
	v_mov_b32_e32 v103, v97
	buffer_store_dword v103, off, s[20:23], 0 offset:336 ; 4-byte Folded Spill
	s_nop 0
	buffer_store_dword v104, off, s[20:23], 0 offset:340 ; 4-byte Folded Spill
	buffer_store_dword v105, off, s[20:23], 0 offset:344 ; 4-byte Folded Spill
	;; [unrolled: 1-line block ×3, first 2 shown]
	v_add_f64 v[75:76], v[75:76], -v[101:102]
.LBB105_82:
	s_or_b64 exec, exec, s[2:3]
	v_cmp_eq_u32_e32 vcc, 9, v0
	s_waitcnt vmcnt(0)
	s_barrier
	s_and_saveexec_b64 s[4:5], vcc
	s_cbranch_execz .LBB105_89
; %bb.83:
	buffer_load_dword v69, off, s[20:23], 0 offset:320 ; 4-byte Folded Reload
	buffer_load_dword v70, off, s[20:23], 0 offset:324 ; 4-byte Folded Reload
	;; [unrolled: 1-line block ×4, first 2 shown]
	s_waitcnt vmcnt(0)
	ds_write2_b64 v127, v[69:70], v[71:72] offset1:1
	buffer_load_dword v69, off, s[20:23], 0 offset:304 ; 4-byte Folded Reload
	buffer_load_dword v70, off, s[20:23], 0 offset:308 ; 4-byte Folded Reload
	buffer_load_dword v71, off, s[20:23], 0 offset:312 ; 4-byte Folded Reload
	buffer_load_dword v72, off, s[20:23], 0 offset:316 ; 4-byte Folded Reload
	s_waitcnt vmcnt(0)
	ds_write2_b64 v125, v[69:70], v[71:72] offset0:20 offset1:21
	buffer_load_dword v69, off, s[20:23], 0 offset:288 ; 4-byte Folded Reload
	buffer_load_dword v70, off, s[20:23], 0 offset:292 ; 4-byte Folded Reload
	buffer_load_dword v71, off, s[20:23], 0 offset:296 ; 4-byte Folded Reload
	buffer_load_dword v72, off, s[20:23], 0 offset:300 ; 4-byte Folded Reload
	s_waitcnt vmcnt(0)
	ds_write2_b64 v125, v[69:70], v[71:72] offset0:22 offset1:23
	;; [unrolled: 6-line block ×17, first 2 shown]
	ds_write2_b64 v125, v[117:118], v[119:120] offset0:54 offset1:55
	ds_write2_b64 v125, v[121:122], v[123:124] offset0:56 offset1:57
	;; [unrolled: 1-line block ×5, first 2 shown]
	buffer_load_dword v77, off, s[20:23], 0 offset:32 ; 4-byte Folded Reload
	buffer_load_dword v78, off, s[20:23], 0 offset:36 ; 4-byte Folded Reload
	;; [unrolled: 1-line block ×4, first 2 shown]
	v_mov_b32_e32 v69, v73
	v_mov_b32_e32 v70, v74
	;; [unrolled: 1-line block ×4, first 2 shown]
	s_waitcnt vmcnt(0)
	ds_write2_b64 v125, v[77:78], v[79:80] offset0:64 offset1:65
	buffer_load_dword v73, off, s[20:23], 0 offset:16 ; 4-byte Folded Reload
	buffer_load_dword v74, off, s[20:23], 0 offset:20 ; 4-byte Folded Reload
	buffer_load_dword v75, off, s[20:23], 0 offset:24 ; 4-byte Folded Reload
	buffer_load_dword v76, off, s[20:23], 0 offset:28 ; 4-byte Folded Reload
	s_waitcnt vmcnt(0)
	ds_write2_b64 v125, v[73:74], v[75:76] offset0:66 offset1:67
	v_mov_b32_e32 v76, v72
	v_mov_b32_e32 v75, v71
	;; [unrolled: 1-line block ×4, first 2 shown]
	buffer_load_dword v69, off, s[20:23], 0 ; 4-byte Folded Reload
	buffer_load_dword v70, off, s[20:23], 0 offset:4 ; 4-byte Folded Reload
	buffer_load_dword v71, off, s[20:23], 0 offset:8 ; 4-byte Folded Reload
	;; [unrolled: 1-line block ×3, first 2 shown]
	s_waitcnt vmcnt(0)
	ds_write2_b64 v125, v[69:70], v[71:72] offset0:68 offset1:69
	ds_write2_b64 v125, v[65:66], v[67:68] offset0:70 offset1:71
	;; [unrolled: 1-line block ×19, first 2 shown]
	ds_read2_b64 v[97:100], v127 offset1:1
	s_waitcnt lgkmcnt(0)
	v_cmp_neq_f64_e32 vcc, 0, v[97:98]
	v_cmp_neq_f64_e64 s[2:3], 0, v[99:100]
	s_or_b64 s[2:3], vcc, s[2:3]
	s_and_b64 exec, exec, s[2:3]
	s_cbranch_execz .LBB105_89
; %bb.84:
	v_cmp_ngt_f64_e64 s[2:3], |v[97:98]|, |v[99:100]|
                                        ; implicit-def: $vgpr101_vgpr102
	s_and_saveexec_b64 s[6:7], s[2:3]
	s_xor_b64 s[2:3], exec, s[6:7]
                                        ; implicit-def: $vgpr103_vgpr104
	s_cbranch_execz .LBB105_86
; %bb.85:
	v_div_scale_f64 v[101:102], s[6:7], v[99:100], v[99:100], v[97:98]
	v_rcp_f64_e32 v[103:104], v[101:102]
	v_fma_f64 v[105:106], -v[101:102], v[103:104], 1.0
	v_fma_f64 v[103:104], v[103:104], v[105:106], v[103:104]
	v_div_scale_f64 v[105:106], vcc, v[97:98], v[99:100], v[97:98]
	v_fma_f64 v[107:108], -v[101:102], v[103:104], 1.0
	v_fma_f64 v[103:104], v[103:104], v[107:108], v[103:104]
	v_mul_f64 v[107:108], v[105:106], v[103:104]
	v_fma_f64 v[101:102], -v[101:102], v[107:108], v[105:106]
	v_div_fmas_f64 v[101:102], v[101:102], v[103:104], v[107:108]
	v_div_fixup_f64 v[101:102], v[101:102], v[99:100], v[97:98]
	v_fma_f64 v[97:98], v[97:98], v[101:102], v[99:100]
	v_div_scale_f64 v[99:100], s[6:7], v[97:98], v[97:98], 1.0
	v_div_scale_f64 v[107:108], vcc, 1.0, v[97:98], 1.0
	v_rcp_f64_e32 v[103:104], v[99:100]
	v_fma_f64 v[105:106], -v[99:100], v[103:104], 1.0
	v_fma_f64 v[103:104], v[103:104], v[105:106], v[103:104]
	v_fma_f64 v[105:106], -v[99:100], v[103:104], 1.0
	v_fma_f64 v[103:104], v[103:104], v[105:106], v[103:104]
	v_mul_f64 v[105:106], v[107:108], v[103:104]
	v_fma_f64 v[99:100], -v[99:100], v[105:106], v[107:108]
	v_div_fmas_f64 v[99:100], v[99:100], v[103:104], v[105:106]
	v_div_fixup_f64 v[103:104], v[99:100], v[97:98], 1.0
                                        ; implicit-def: $vgpr97_vgpr98
	v_mul_f64 v[101:102], v[101:102], v[103:104]
	v_xor_b32_e32 v104, 0x80000000, v104
.LBB105_86:
	s_andn2_saveexec_b64 s[2:3], s[2:3]
	s_cbranch_execz .LBB105_88
; %bb.87:
	v_div_scale_f64 v[101:102], s[6:7], v[97:98], v[97:98], v[99:100]
	v_rcp_f64_e32 v[103:104], v[101:102]
	v_fma_f64 v[105:106], -v[101:102], v[103:104], 1.0
	v_fma_f64 v[103:104], v[103:104], v[105:106], v[103:104]
	v_div_scale_f64 v[105:106], vcc, v[99:100], v[97:98], v[99:100]
	v_fma_f64 v[107:108], -v[101:102], v[103:104], 1.0
	v_fma_f64 v[103:104], v[103:104], v[107:108], v[103:104]
	v_mul_f64 v[107:108], v[105:106], v[103:104]
	v_fma_f64 v[101:102], -v[101:102], v[107:108], v[105:106]
	v_div_fmas_f64 v[101:102], v[101:102], v[103:104], v[107:108]
	v_div_fixup_f64 v[103:104], v[101:102], v[97:98], v[99:100]
	v_fma_f64 v[97:98], v[99:100], v[103:104], v[97:98]
	v_div_scale_f64 v[99:100], s[6:7], v[97:98], v[97:98], 1.0
	v_div_scale_f64 v[107:108], vcc, 1.0, v[97:98], 1.0
	v_rcp_f64_e32 v[101:102], v[99:100]
	v_fma_f64 v[105:106], -v[99:100], v[101:102], 1.0
	v_fma_f64 v[101:102], v[101:102], v[105:106], v[101:102]
	v_fma_f64 v[105:106], -v[99:100], v[101:102], 1.0
	v_fma_f64 v[101:102], v[101:102], v[105:106], v[101:102]
	v_mul_f64 v[105:106], v[107:108], v[101:102]
	v_fma_f64 v[99:100], -v[99:100], v[105:106], v[107:108]
	v_div_fmas_f64 v[99:100], v[99:100], v[101:102], v[105:106]
	v_div_fixup_f64 v[101:102], v[99:100], v[97:98], 1.0
	v_mul_f64 v[103:104], v[103:104], -v[101:102]
.LBB105_88:
	s_or_b64 exec, exec, s[2:3]
	ds_write2_b64 v127, v[101:102], v[103:104] offset1:1
.LBB105_89:
	s_or_b64 exec, exec, s[4:5]
	s_waitcnt lgkmcnt(0)
	s_barrier
	ds_read2_b64 v[69:72], v127 offset1:1
	v_cmp_lt_u32_e32 vcc, 9, v0
	s_waitcnt lgkmcnt(0)
	buffer_store_dword v69, off, s[20:23], 0 offset:1040 ; 4-byte Folded Spill
	s_nop 0
	buffer_store_dword v70, off, s[20:23], 0 offset:1044 ; 4-byte Folded Spill
	buffer_store_dword v71, off, s[20:23], 0 offset:1048 ; 4-byte Folded Spill
	buffer_store_dword v72, off, s[20:23], 0 offset:1052 ; 4-byte Folded Spill
	s_and_saveexec_b64 s[2:3], vcc
	s_cbranch_execz .LBB105_91
; %bb.90:
	buffer_load_dword v103, off, s[20:23], 0 offset:320 ; 4-byte Folded Reload
	buffer_load_dword v104, off, s[20:23], 0 offset:324 ; 4-byte Folded Reload
	;; [unrolled: 1-line block ×8, first 2 shown]
	s_waitcnt vmcnt(2)
	v_mul_f64 v[99:100], v[69:70], v[105:106]
	s_waitcnt vmcnt(0)
	v_mul_f64 v[97:98], v[71:72], v[105:106]
	v_fma_f64 v[105:106], v[71:72], v[103:104], v[99:100]
	ds_read2_b64 v[99:102], v125 offset0:20 offset1:21
	v_fma_f64 v[97:98], v[69:70], v[103:104], -v[97:98]
	buffer_load_dword v69, off, s[20:23], 0 offset:304 ; 4-byte Folded Reload
	buffer_load_dword v70, off, s[20:23], 0 offset:308 ; 4-byte Folded Reload
	buffer_load_dword v71, off, s[20:23], 0 offset:312 ; 4-byte Folded Reload
	buffer_load_dword v72, off, s[20:23], 0 offset:316 ; 4-byte Folded Reload
	s_waitcnt lgkmcnt(0)
	v_mul_f64 v[103:104], v[101:102], v[105:106]
	v_fma_f64 v[103:104], v[99:100], v[97:98], -v[103:104]
	v_mul_f64 v[99:100], v[99:100], v[105:106]
	v_fma_f64 v[99:100], v[101:102], v[97:98], v[99:100]
	s_waitcnt vmcnt(2)
	v_add_f64 v[69:70], v[69:70], -v[103:104]
	s_waitcnt vmcnt(0)
	v_add_f64 v[71:72], v[71:72], -v[99:100]
	buffer_store_dword v69, off, s[20:23], 0 offset:304 ; 4-byte Folded Spill
	s_nop 0
	buffer_store_dword v70, off, s[20:23], 0 offset:308 ; 4-byte Folded Spill
	buffer_store_dword v71, off, s[20:23], 0 offset:312 ; 4-byte Folded Spill
	buffer_store_dword v72, off, s[20:23], 0 offset:316 ; 4-byte Folded Spill
	ds_read2_b64 v[99:102], v125 offset0:22 offset1:23
	buffer_load_dword v69, off, s[20:23], 0 offset:288 ; 4-byte Folded Reload
	buffer_load_dword v70, off, s[20:23], 0 offset:292 ; 4-byte Folded Reload
	buffer_load_dword v71, off, s[20:23], 0 offset:296 ; 4-byte Folded Reload
	buffer_load_dword v72, off, s[20:23], 0 offset:300 ; 4-byte Folded Reload
	s_waitcnt lgkmcnt(0)
	v_mul_f64 v[103:104], v[101:102], v[105:106]
	v_fma_f64 v[103:104], v[99:100], v[97:98], -v[103:104]
	v_mul_f64 v[99:100], v[99:100], v[105:106]
	v_fma_f64 v[99:100], v[101:102], v[97:98], v[99:100]
	s_waitcnt vmcnt(2)
	v_add_f64 v[69:70], v[69:70], -v[103:104]
	s_waitcnt vmcnt(0)
	v_add_f64 v[71:72], v[71:72], -v[99:100]
	buffer_store_dword v69, off, s[20:23], 0 offset:288 ; 4-byte Folded Spill
	s_nop 0
	buffer_store_dword v70, off, s[20:23], 0 offset:292 ; 4-byte Folded Spill
	buffer_store_dword v71, off, s[20:23], 0 offset:296 ; 4-byte Folded Spill
	buffer_store_dword v72, off, s[20:23], 0 offset:300 ; 4-byte Folded Spill
	ds_read2_b64 v[99:102], v125 offset0:24 offset1:25
	;; [unrolled: 19-line block ×17, first 2 shown]
	v_mov_b32_e32 v69, v73
	v_mov_b32_e32 v70, v74
	;; [unrolled: 1-line block ×4, first 2 shown]
	s_waitcnt lgkmcnt(0)
	v_mul_f64 v[103:104], v[101:102], v[105:106]
	v_fma_f64 v[103:104], v[99:100], v[97:98], -v[103:104]
	v_mul_f64 v[99:100], v[99:100], v[105:106]
	v_add_f64 v[117:118], v[117:118], -v[103:104]
	v_fma_f64 v[99:100], v[101:102], v[97:98], v[99:100]
	v_add_f64 v[119:120], v[119:120], -v[99:100]
	ds_read2_b64 v[99:102], v125 offset0:56 offset1:57
	s_waitcnt lgkmcnt(0)
	v_mul_f64 v[103:104], v[101:102], v[105:106]
	v_fma_f64 v[103:104], v[99:100], v[97:98], -v[103:104]
	v_mul_f64 v[99:100], v[99:100], v[105:106]
	v_add_f64 v[121:122], v[121:122], -v[103:104]
	v_fma_f64 v[99:100], v[101:102], v[97:98], v[99:100]
	v_add_f64 v[123:124], v[123:124], -v[99:100]
	ds_read2_b64 v[99:102], v125 offset0:58 offset1:59
	s_waitcnt lgkmcnt(0)
	v_mul_f64 v[103:104], v[101:102], v[105:106]
	v_fma_f64 v[103:104], v[99:100], v[97:98], -v[103:104]
	v_mul_f64 v[99:100], v[99:100], v[105:106]
	v_add_f64 v[109:110], v[109:110], -v[103:104]
	v_fma_f64 v[99:100], v[101:102], v[97:98], v[99:100]
	v_add_f64 v[111:112], v[111:112], -v[99:100]
	ds_read2_b64 v[99:102], v125 offset0:60 offset1:61
	s_waitcnt lgkmcnt(0)
	v_mul_f64 v[103:104], v[101:102], v[105:106]
	v_fma_f64 v[103:104], v[99:100], v[97:98], -v[103:104]
	v_mul_f64 v[99:100], v[99:100], v[105:106]
	v_add_f64 v[113:114], v[113:114], -v[103:104]
	v_fma_f64 v[99:100], v[101:102], v[97:98], v[99:100]
	v_add_f64 v[115:116], v[115:116], -v[99:100]
	ds_read2_b64 v[99:102], v125 offset0:62 offset1:63
	s_waitcnt lgkmcnt(0)
	v_mul_f64 v[103:104], v[101:102], v[105:106]
	v_fma_f64 v[103:104], v[99:100], v[97:98], -v[103:104]
	v_mul_f64 v[99:100], v[99:100], v[105:106]
	v_add_f64 v[93:94], v[93:94], -v[103:104]
	v_fma_f64 v[99:100], v[101:102], v[97:98], v[99:100]
	v_add_f64 v[95:96], v[95:96], -v[99:100]
	ds_read2_b64 v[99:102], v125 offset0:64 offset1:65
	buffer_load_dword v77, off, s[20:23], 0 offset:32 ; 4-byte Folded Reload
	buffer_load_dword v78, off, s[20:23], 0 offset:36 ; 4-byte Folded Reload
	;; [unrolled: 1-line block ×4, first 2 shown]
	s_waitcnt lgkmcnt(0)
	v_mul_f64 v[103:104], v[101:102], v[105:106]
	v_fma_f64 v[103:104], v[99:100], v[97:98], -v[103:104]
	v_mul_f64 v[99:100], v[99:100], v[105:106]
	v_fma_f64 v[99:100], v[101:102], v[97:98], v[99:100]
	s_waitcnt vmcnt(2)
	v_add_f64 v[77:78], v[77:78], -v[103:104]
	s_waitcnt vmcnt(0)
	v_add_f64 v[79:80], v[79:80], -v[99:100]
	buffer_store_dword v77, off, s[20:23], 0 offset:32 ; 4-byte Folded Spill
	s_nop 0
	buffer_store_dword v78, off, s[20:23], 0 offset:36 ; 4-byte Folded Spill
	buffer_store_dword v79, off, s[20:23], 0 offset:40 ; 4-byte Folded Spill
	;; [unrolled: 1-line block ×3, first 2 shown]
	ds_read2_b64 v[99:102], v125 offset0:66 offset1:67
	buffer_load_dword v73, off, s[20:23], 0 offset:16 ; 4-byte Folded Reload
	buffer_load_dword v74, off, s[20:23], 0 offset:20 ; 4-byte Folded Reload
	;; [unrolled: 1-line block ×4, first 2 shown]
	s_waitcnt lgkmcnt(0)
	v_mul_f64 v[103:104], v[101:102], v[105:106]
	v_fma_f64 v[103:104], v[99:100], v[97:98], -v[103:104]
	v_mul_f64 v[99:100], v[99:100], v[105:106]
	v_fma_f64 v[99:100], v[101:102], v[97:98], v[99:100]
	s_waitcnt vmcnt(2)
	v_add_f64 v[73:74], v[73:74], -v[103:104]
	s_waitcnt vmcnt(0)
	v_add_f64 v[75:76], v[75:76], -v[99:100]
	buffer_store_dword v73, off, s[20:23], 0 offset:16 ; 4-byte Folded Spill
	s_nop 0
	buffer_store_dword v74, off, s[20:23], 0 offset:20 ; 4-byte Folded Spill
	buffer_store_dword v75, off, s[20:23], 0 offset:24 ; 4-byte Folded Spill
	;; [unrolled: 1-line block ×3, first 2 shown]
	v_mov_b32_e32 v76, v72
	v_mov_b32_e32 v75, v71
	;; [unrolled: 1-line block ×4, first 2 shown]
	ds_read2_b64 v[99:102], v125 offset0:68 offset1:69
	buffer_load_dword v69, off, s[20:23], 0 ; 4-byte Folded Reload
	buffer_load_dword v70, off, s[20:23], 0 offset:4 ; 4-byte Folded Reload
	buffer_load_dword v71, off, s[20:23], 0 offset:8 ; 4-byte Folded Reload
	;; [unrolled: 1-line block ×3, first 2 shown]
	s_waitcnt lgkmcnt(0)
	v_mul_f64 v[103:104], v[101:102], v[105:106]
	v_fma_f64 v[103:104], v[99:100], v[97:98], -v[103:104]
	v_mul_f64 v[99:100], v[99:100], v[105:106]
	v_fma_f64 v[99:100], v[101:102], v[97:98], v[99:100]
	s_waitcnt vmcnt(2)
	v_add_f64 v[69:70], v[69:70], -v[103:104]
	s_waitcnt vmcnt(0)
	v_add_f64 v[71:72], v[71:72], -v[99:100]
	buffer_store_dword v69, off, s[20:23], 0 ; 4-byte Folded Spill
	s_nop 0
	buffer_store_dword v70, off, s[20:23], 0 offset:4 ; 4-byte Folded Spill
	buffer_store_dword v71, off, s[20:23], 0 offset:8 ; 4-byte Folded Spill
	buffer_store_dword v72, off, s[20:23], 0 offset:12 ; 4-byte Folded Spill
	ds_read2_b64 v[99:102], v125 offset0:70 offset1:71
	s_waitcnt lgkmcnt(0)
	v_mul_f64 v[103:104], v[101:102], v[105:106]
	v_fma_f64 v[103:104], v[99:100], v[97:98], -v[103:104]
	v_mul_f64 v[99:100], v[99:100], v[105:106]
	v_add_f64 v[65:66], v[65:66], -v[103:104]
	v_fma_f64 v[99:100], v[101:102], v[97:98], v[99:100]
	v_add_f64 v[67:68], v[67:68], -v[99:100]
	ds_read2_b64 v[99:102], v125 offset0:72 offset1:73
	s_waitcnt lgkmcnt(0)
	v_mul_f64 v[103:104], v[101:102], v[105:106]
	v_fma_f64 v[103:104], v[99:100], v[97:98], -v[103:104]
	v_mul_f64 v[99:100], v[99:100], v[105:106]
	v_add_f64 v[61:62], v[61:62], -v[103:104]
	v_fma_f64 v[99:100], v[101:102], v[97:98], v[99:100]
	v_add_f64 v[63:64], v[63:64], -v[99:100]
	;; [unrolled: 8-line block ×16, first 2 shown]
	ds_read2_b64 v[99:102], v125 offset0:102 offset1:103
	s_waitcnt lgkmcnt(0)
	v_mul_f64 v[103:104], v[101:102], v[105:106]
	v_fma_f64 v[103:104], v[99:100], v[97:98], -v[103:104]
	v_mul_f64 v[99:100], v[99:100], v[105:106]
	v_add_f64 v[1:2], v[1:2], -v[103:104]
	v_fma_f64 v[99:100], v[101:102], v[97:98], v[99:100]
	ds_read2_b64 v[101:104], v125 offset0:104 offset1:105
	v_add_f64 v[3:4], v[3:4], -v[99:100]
	s_waitcnt lgkmcnt(0)
	v_mul_f64 v[99:100], v[103:104], v[105:106]
	v_fma_f64 v[99:100], v[101:102], v[97:98], -v[99:100]
	v_mul_f64 v[101:102], v[101:102], v[105:106]
	v_add_f64 v[73:74], v[73:74], -v[99:100]
	v_fma_f64 v[101:102], v[103:104], v[97:98], v[101:102]
	v_mov_b32_e32 v104, v98
	v_mov_b32_e32 v103, v97
	buffer_store_dword v103, off, s[20:23], 0 offset:320 ; 4-byte Folded Spill
	s_nop 0
	buffer_store_dword v104, off, s[20:23], 0 offset:324 ; 4-byte Folded Spill
	buffer_store_dword v105, off, s[20:23], 0 offset:328 ; 4-byte Folded Spill
	;; [unrolled: 1-line block ×3, first 2 shown]
	v_add_f64 v[75:76], v[75:76], -v[101:102]
.LBB105_91:
	s_or_b64 exec, exec, s[2:3]
	v_cmp_eq_u32_e32 vcc, 10, v0
	s_waitcnt vmcnt(0)
	s_barrier
	s_and_saveexec_b64 s[4:5], vcc
	s_cbranch_execz .LBB105_98
; %bb.92:
	buffer_load_dword v69, off, s[20:23], 0 offset:304 ; 4-byte Folded Reload
	buffer_load_dword v70, off, s[20:23], 0 offset:308 ; 4-byte Folded Reload
	;; [unrolled: 1-line block ×4, first 2 shown]
	s_waitcnt vmcnt(0)
	ds_write2_b64 v127, v[69:70], v[71:72] offset1:1
	buffer_load_dword v69, off, s[20:23], 0 offset:288 ; 4-byte Folded Reload
	buffer_load_dword v70, off, s[20:23], 0 offset:292 ; 4-byte Folded Reload
	buffer_load_dword v71, off, s[20:23], 0 offset:296 ; 4-byte Folded Reload
	buffer_load_dword v72, off, s[20:23], 0 offset:300 ; 4-byte Folded Reload
	s_waitcnt vmcnt(0)
	ds_write2_b64 v125, v[69:70], v[71:72] offset0:22 offset1:23
	buffer_load_dword v69, off, s[20:23], 0 offset:272 ; 4-byte Folded Reload
	buffer_load_dword v70, off, s[20:23], 0 offset:276 ; 4-byte Folded Reload
	buffer_load_dword v71, off, s[20:23], 0 offset:280 ; 4-byte Folded Reload
	buffer_load_dword v72, off, s[20:23], 0 offset:284 ; 4-byte Folded Reload
	s_waitcnt vmcnt(0)
	ds_write2_b64 v125, v[69:70], v[71:72] offset0:24 offset1:25
	;; [unrolled: 6-line block ×16, first 2 shown]
	ds_write2_b64 v125, v[117:118], v[119:120] offset0:54 offset1:55
	ds_write2_b64 v125, v[121:122], v[123:124] offset0:56 offset1:57
	;; [unrolled: 1-line block ×5, first 2 shown]
	buffer_load_dword v77, off, s[20:23], 0 offset:32 ; 4-byte Folded Reload
	buffer_load_dword v78, off, s[20:23], 0 offset:36 ; 4-byte Folded Reload
	buffer_load_dword v79, off, s[20:23], 0 offset:40 ; 4-byte Folded Reload
	buffer_load_dword v80, off, s[20:23], 0 offset:44 ; 4-byte Folded Reload
	v_mov_b32_e32 v69, v73
	v_mov_b32_e32 v70, v74
	;; [unrolled: 1-line block ×4, first 2 shown]
	s_waitcnt vmcnt(0)
	ds_write2_b64 v125, v[77:78], v[79:80] offset0:64 offset1:65
	buffer_load_dword v73, off, s[20:23], 0 offset:16 ; 4-byte Folded Reload
	buffer_load_dword v74, off, s[20:23], 0 offset:20 ; 4-byte Folded Reload
	buffer_load_dword v75, off, s[20:23], 0 offset:24 ; 4-byte Folded Reload
	buffer_load_dword v76, off, s[20:23], 0 offset:28 ; 4-byte Folded Reload
	s_waitcnt vmcnt(0)
	ds_write2_b64 v125, v[73:74], v[75:76] offset0:66 offset1:67
	v_mov_b32_e32 v76, v72
	v_mov_b32_e32 v75, v71
	;; [unrolled: 1-line block ×4, first 2 shown]
	buffer_load_dword v69, off, s[20:23], 0 ; 4-byte Folded Reload
	buffer_load_dword v70, off, s[20:23], 0 offset:4 ; 4-byte Folded Reload
	buffer_load_dword v71, off, s[20:23], 0 offset:8 ; 4-byte Folded Reload
	;; [unrolled: 1-line block ×3, first 2 shown]
	s_waitcnt vmcnt(0)
	ds_write2_b64 v125, v[69:70], v[71:72] offset0:68 offset1:69
	ds_write2_b64 v125, v[65:66], v[67:68] offset0:70 offset1:71
	;; [unrolled: 1-line block ×19, first 2 shown]
	ds_read2_b64 v[97:100], v127 offset1:1
	s_waitcnt lgkmcnt(0)
	v_cmp_neq_f64_e32 vcc, 0, v[97:98]
	v_cmp_neq_f64_e64 s[2:3], 0, v[99:100]
	s_or_b64 s[2:3], vcc, s[2:3]
	s_and_b64 exec, exec, s[2:3]
	s_cbranch_execz .LBB105_98
; %bb.93:
	v_cmp_ngt_f64_e64 s[2:3], |v[97:98]|, |v[99:100]|
                                        ; implicit-def: $vgpr101_vgpr102
	s_and_saveexec_b64 s[6:7], s[2:3]
	s_xor_b64 s[2:3], exec, s[6:7]
                                        ; implicit-def: $vgpr103_vgpr104
	s_cbranch_execz .LBB105_95
; %bb.94:
	v_div_scale_f64 v[101:102], s[6:7], v[99:100], v[99:100], v[97:98]
	v_rcp_f64_e32 v[103:104], v[101:102]
	v_fma_f64 v[105:106], -v[101:102], v[103:104], 1.0
	v_fma_f64 v[103:104], v[103:104], v[105:106], v[103:104]
	v_div_scale_f64 v[105:106], vcc, v[97:98], v[99:100], v[97:98]
	v_fma_f64 v[107:108], -v[101:102], v[103:104], 1.0
	v_fma_f64 v[103:104], v[103:104], v[107:108], v[103:104]
	v_mul_f64 v[107:108], v[105:106], v[103:104]
	v_fma_f64 v[101:102], -v[101:102], v[107:108], v[105:106]
	v_div_fmas_f64 v[101:102], v[101:102], v[103:104], v[107:108]
	v_div_fixup_f64 v[101:102], v[101:102], v[99:100], v[97:98]
	v_fma_f64 v[97:98], v[97:98], v[101:102], v[99:100]
	v_div_scale_f64 v[99:100], s[6:7], v[97:98], v[97:98], 1.0
	v_div_scale_f64 v[107:108], vcc, 1.0, v[97:98], 1.0
	v_rcp_f64_e32 v[103:104], v[99:100]
	v_fma_f64 v[105:106], -v[99:100], v[103:104], 1.0
	v_fma_f64 v[103:104], v[103:104], v[105:106], v[103:104]
	v_fma_f64 v[105:106], -v[99:100], v[103:104], 1.0
	v_fma_f64 v[103:104], v[103:104], v[105:106], v[103:104]
	v_mul_f64 v[105:106], v[107:108], v[103:104]
	v_fma_f64 v[99:100], -v[99:100], v[105:106], v[107:108]
	v_div_fmas_f64 v[99:100], v[99:100], v[103:104], v[105:106]
	v_div_fixup_f64 v[103:104], v[99:100], v[97:98], 1.0
                                        ; implicit-def: $vgpr97_vgpr98
	v_mul_f64 v[101:102], v[101:102], v[103:104]
	v_xor_b32_e32 v104, 0x80000000, v104
.LBB105_95:
	s_andn2_saveexec_b64 s[2:3], s[2:3]
	s_cbranch_execz .LBB105_97
; %bb.96:
	v_div_scale_f64 v[101:102], s[6:7], v[97:98], v[97:98], v[99:100]
	v_rcp_f64_e32 v[103:104], v[101:102]
	v_fma_f64 v[105:106], -v[101:102], v[103:104], 1.0
	v_fma_f64 v[103:104], v[103:104], v[105:106], v[103:104]
	v_div_scale_f64 v[105:106], vcc, v[99:100], v[97:98], v[99:100]
	v_fma_f64 v[107:108], -v[101:102], v[103:104], 1.0
	v_fma_f64 v[103:104], v[103:104], v[107:108], v[103:104]
	v_mul_f64 v[107:108], v[105:106], v[103:104]
	v_fma_f64 v[101:102], -v[101:102], v[107:108], v[105:106]
	v_div_fmas_f64 v[101:102], v[101:102], v[103:104], v[107:108]
	v_div_fixup_f64 v[103:104], v[101:102], v[97:98], v[99:100]
	v_fma_f64 v[97:98], v[99:100], v[103:104], v[97:98]
	v_div_scale_f64 v[99:100], s[6:7], v[97:98], v[97:98], 1.0
	v_div_scale_f64 v[107:108], vcc, 1.0, v[97:98], 1.0
	v_rcp_f64_e32 v[101:102], v[99:100]
	v_fma_f64 v[105:106], -v[99:100], v[101:102], 1.0
	v_fma_f64 v[101:102], v[101:102], v[105:106], v[101:102]
	v_fma_f64 v[105:106], -v[99:100], v[101:102], 1.0
	v_fma_f64 v[101:102], v[101:102], v[105:106], v[101:102]
	v_mul_f64 v[105:106], v[107:108], v[101:102]
	v_fma_f64 v[99:100], -v[99:100], v[105:106], v[107:108]
	v_div_fmas_f64 v[99:100], v[99:100], v[101:102], v[105:106]
	v_div_fixup_f64 v[101:102], v[99:100], v[97:98], 1.0
	v_mul_f64 v[103:104], v[103:104], -v[101:102]
.LBB105_97:
	s_or_b64 exec, exec, s[2:3]
	ds_write2_b64 v127, v[101:102], v[103:104] offset1:1
.LBB105_98:
	s_or_b64 exec, exec, s[4:5]
	s_waitcnt lgkmcnt(0)
	s_barrier
	ds_read2_b64 v[69:72], v127 offset1:1
	v_cmp_lt_u32_e32 vcc, 10, v0
	s_waitcnt lgkmcnt(0)
	buffer_store_dword v69, off, s[20:23], 0 offset:1056 ; 4-byte Folded Spill
	s_nop 0
	buffer_store_dword v70, off, s[20:23], 0 offset:1060 ; 4-byte Folded Spill
	buffer_store_dword v71, off, s[20:23], 0 offset:1064 ; 4-byte Folded Spill
	;; [unrolled: 1-line block ×3, first 2 shown]
	s_and_saveexec_b64 s[2:3], vcc
	s_cbranch_execz .LBB105_100
; %bb.99:
	buffer_load_dword v103, off, s[20:23], 0 offset:304 ; 4-byte Folded Reload
	buffer_load_dword v104, off, s[20:23], 0 offset:308 ; 4-byte Folded Reload
	;; [unrolled: 1-line block ×8, first 2 shown]
	s_waitcnt vmcnt(2)
	v_mul_f64 v[99:100], v[69:70], v[105:106]
	s_waitcnt vmcnt(0)
	v_mul_f64 v[97:98], v[71:72], v[105:106]
	v_fma_f64 v[105:106], v[71:72], v[103:104], v[99:100]
	ds_read2_b64 v[99:102], v125 offset0:22 offset1:23
	v_fma_f64 v[97:98], v[69:70], v[103:104], -v[97:98]
	buffer_load_dword v69, off, s[20:23], 0 offset:288 ; 4-byte Folded Reload
	buffer_load_dword v70, off, s[20:23], 0 offset:292 ; 4-byte Folded Reload
	buffer_load_dword v71, off, s[20:23], 0 offset:296 ; 4-byte Folded Reload
	buffer_load_dword v72, off, s[20:23], 0 offset:300 ; 4-byte Folded Reload
	s_waitcnt lgkmcnt(0)
	v_mul_f64 v[103:104], v[101:102], v[105:106]
	v_fma_f64 v[103:104], v[99:100], v[97:98], -v[103:104]
	v_mul_f64 v[99:100], v[99:100], v[105:106]
	v_fma_f64 v[99:100], v[101:102], v[97:98], v[99:100]
	s_waitcnt vmcnt(2)
	v_add_f64 v[69:70], v[69:70], -v[103:104]
	s_waitcnt vmcnt(0)
	v_add_f64 v[71:72], v[71:72], -v[99:100]
	buffer_store_dword v69, off, s[20:23], 0 offset:288 ; 4-byte Folded Spill
	s_nop 0
	buffer_store_dword v70, off, s[20:23], 0 offset:292 ; 4-byte Folded Spill
	buffer_store_dword v71, off, s[20:23], 0 offset:296 ; 4-byte Folded Spill
	buffer_store_dword v72, off, s[20:23], 0 offset:300 ; 4-byte Folded Spill
	ds_read2_b64 v[99:102], v125 offset0:24 offset1:25
	buffer_load_dword v69, off, s[20:23], 0 offset:272 ; 4-byte Folded Reload
	buffer_load_dword v70, off, s[20:23], 0 offset:276 ; 4-byte Folded Reload
	buffer_load_dword v71, off, s[20:23], 0 offset:280 ; 4-byte Folded Reload
	buffer_load_dword v72, off, s[20:23], 0 offset:284 ; 4-byte Folded Reload
	s_waitcnt lgkmcnt(0)
	v_mul_f64 v[103:104], v[101:102], v[105:106]
	v_fma_f64 v[103:104], v[99:100], v[97:98], -v[103:104]
	v_mul_f64 v[99:100], v[99:100], v[105:106]
	v_fma_f64 v[99:100], v[101:102], v[97:98], v[99:100]
	s_waitcnt vmcnt(2)
	v_add_f64 v[69:70], v[69:70], -v[103:104]
	s_waitcnt vmcnt(0)
	v_add_f64 v[71:72], v[71:72], -v[99:100]
	buffer_store_dword v69, off, s[20:23], 0 offset:272 ; 4-byte Folded Spill
	s_nop 0
	buffer_store_dword v70, off, s[20:23], 0 offset:276 ; 4-byte Folded Spill
	buffer_store_dword v71, off, s[20:23], 0 offset:280 ; 4-byte Folded Spill
	buffer_store_dword v72, off, s[20:23], 0 offset:284 ; 4-byte Folded Spill
	ds_read2_b64 v[99:102], v125 offset0:26 offset1:27
	;; [unrolled: 19-line block ×16, first 2 shown]
	v_mov_b32_e32 v69, v73
	v_mov_b32_e32 v70, v74
	;; [unrolled: 1-line block ×4, first 2 shown]
	s_waitcnt lgkmcnt(0)
	v_mul_f64 v[103:104], v[101:102], v[105:106]
	v_fma_f64 v[103:104], v[99:100], v[97:98], -v[103:104]
	v_mul_f64 v[99:100], v[99:100], v[105:106]
	v_add_f64 v[117:118], v[117:118], -v[103:104]
	v_fma_f64 v[99:100], v[101:102], v[97:98], v[99:100]
	v_add_f64 v[119:120], v[119:120], -v[99:100]
	ds_read2_b64 v[99:102], v125 offset0:56 offset1:57
	s_waitcnt lgkmcnt(0)
	v_mul_f64 v[103:104], v[101:102], v[105:106]
	v_fma_f64 v[103:104], v[99:100], v[97:98], -v[103:104]
	v_mul_f64 v[99:100], v[99:100], v[105:106]
	v_add_f64 v[121:122], v[121:122], -v[103:104]
	v_fma_f64 v[99:100], v[101:102], v[97:98], v[99:100]
	v_add_f64 v[123:124], v[123:124], -v[99:100]
	ds_read2_b64 v[99:102], v125 offset0:58 offset1:59
	;; [unrolled: 8-line block ×5, first 2 shown]
	buffer_load_dword v77, off, s[20:23], 0 offset:32 ; 4-byte Folded Reload
	buffer_load_dword v78, off, s[20:23], 0 offset:36 ; 4-byte Folded Reload
	;; [unrolled: 1-line block ×4, first 2 shown]
	s_waitcnt lgkmcnt(0)
	v_mul_f64 v[103:104], v[101:102], v[105:106]
	v_fma_f64 v[103:104], v[99:100], v[97:98], -v[103:104]
	v_mul_f64 v[99:100], v[99:100], v[105:106]
	v_fma_f64 v[99:100], v[101:102], v[97:98], v[99:100]
	s_waitcnt vmcnt(2)
	v_add_f64 v[77:78], v[77:78], -v[103:104]
	s_waitcnt vmcnt(0)
	v_add_f64 v[79:80], v[79:80], -v[99:100]
	buffer_store_dword v77, off, s[20:23], 0 offset:32 ; 4-byte Folded Spill
	s_nop 0
	buffer_store_dword v78, off, s[20:23], 0 offset:36 ; 4-byte Folded Spill
	buffer_store_dword v79, off, s[20:23], 0 offset:40 ; 4-byte Folded Spill
	;; [unrolled: 1-line block ×3, first 2 shown]
	ds_read2_b64 v[99:102], v125 offset0:66 offset1:67
	buffer_load_dword v73, off, s[20:23], 0 offset:16 ; 4-byte Folded Reload
	buffer_load_dword v74, off, s[20:23], 0 offset:20 ; 4-byte Folded Reload
	buffer_load_dword v75, off, s[20:23], 0 offset:24 ; 4-byte Folded Reload
	buffer_load_dword v76, off, s[20:23], 0 offset:28 ; 4-byte Folded Reload
	s_waitcnt lgkmcnt(0)
	v_mul_f64 v[103:104], v[101:102], v[105:106]
	v_fma_f64 v[103:104], v[99:100], v[97:98], -v[103:104]
	v_mul_f64 v[99:100], v[99:100], v[105:106]
	v_fma_f64 v[99:100], v[101:102], v[97:98], v[99:100]
	s_waitcnt vmcnt(2)
	v_add_f64 v[73:74], v[73:74], -v[103:104]
	s_waitcnt vmcnt(0)
	v_add_f64 v[75:76], v[75:76], -v[99:100]
	buffer_store_dword v73, off, s[20:23], 0 offset:16 ; 4-byte Folded Spill
	s_nop 0
	buffer_store_dword v74, off, s[20:23], 0 offset:20 ; 4-byte Folded Spill
	buffer_store_dword v75, off, s[20:23], 0 offset:24 ; 4-byte Folded Spill
	;; [unrolled: 1-line block ×3, first 2 shown]
	v_mov_b32_e32 v76, v72
	v_mov_b32_e32 v75, v71
	;; [unrolled: 1-line block ×4, first 2 shown]
	ds_read2_b64 v[99:102], v125 offset0:68 offset1:69
	buffer_load_dword v69, off, s[20:23], 0 ; 4-byte Folded Reload
	buffer_load_dword v70, off, s[20:23], 0 offset:4 ; 4-byte Folded Reload
	buffer_load_dword v71, off, s[20:23], 0 offset:8 ; 4-byte Folded Reload
	;; [unrolled: 1-line block ×3, first 2 shown]
	s_waitcnt lgkmcnt(0)
	v_mul_f64 v[103:104], v[101:102], v[105:106]
	v_fma_f64 v[103:104], v[99:100], v[97:98], -v[103:104]
	v_mul_f64 v[99:100], v[99:100], v[105:106]
	v_fma_f64 v[99:100], v[101:102], v[97:98], v[99:100]
	s_waitcnt vmcnt(2)
	v_add_f64 v[69:70], v[69:70], -v[103:104]
	s_waitcnt vmcnt(0)
	v_add_f64 v[71:72], v[71:72], -v[99:100]
	buffer_store_dword v69, off, s[20:23], 0 ; 4-byte Folded Spill
	s_nop 0
	buffer_store_dword v70, off, s[20:23], 0 offset:4 ; 4-byte Folded Spill
	buffer_store_dword v71, off, s[20:23], 0 offset:8 ; 4-byte Folded Spill
	;; [unrolled: 1-line block ×3, first 2 shown]
	ds_read2_b64 v[99:102], v125 offset0:70 offset1:71
	s_waitcnt lgkmcnt(0)
	v_mul_f64 v[103:104], v[101:102], v[105:106]
	v_fma_f64 v[103:104], v[99:100], v[97:98], -v[103:104]
	v_mul_f64 v[99:100], v[99:100], v[105:106]
	v_add_f64 v[65:66], v[65:66], -v[103:104]
	v_fma_f64 v[99:100], v[101:102], v[97:98], v[99:100]
	v_add_f64 v[67:68], v[67:68], -v[99:100]
	ds_read2_b64 v[99:102], v125 offset0:72 offset1:73
	s_waitcnt lgkmcnt(0)
	v_mul_f64 v[103:104], v[101:102], v[105:106]
	v_fma_f64 v[103:104], v[99:100], v[97:98], -v[103:104]
	v_mul_f64 v[99:100], v[99:100], v[105:106]
	v_add_f64 v[61:62], v[61:62], -v[103:104]
	v_fma_f64 v[99:100], v[101:102], v[97:98], v[99:100]
	v_add_f64 v[63:64], v[63:64], -v[99:100]
	;; [unrolled: 8-line block ×17, first 2 shown]
	ds_read2_b64 v[99:102], v125 offset0:104 offset1:105
	s_waitcnt lgkmcnt(0)
	v_mul_f64 v[103:104], v[101:102], v[105:106]
	v_fma_f64 v[103:104], v[99:100], v[97:98], -v[103:104]
	v_mul_f64 v[99:100], v[99:100], v[105:106]
	v_add_f64 v[73:74], v[73:74], -v[103:104]
	v_fma_f64 v[99:100], v[101:102], v[97:98], v[99:100]
	v_mov_b32_e32 v104, v98
	v_mov_b32_e32 v103, v97
	buffer_store_dword v103, off, s[20:23], 0 offset:304 ; 4-byte Folded Spill
	s_nop 0
	buffer_store_dword v104, off, s[20:23], 0 offset:308 ; 4-byte Folded Spill
	buffer_store_dword v105, off, s[20:23], 0 offset:312 ; 4-byte Folded Spill
	;; [unrolled: 1-line block ×3, first 2 shown]
	v_add_f64 v[75:76], v[75:76], -v[99:100]
.LBB105_100:
	s_or_b64 exec, exec, s[2:3]
	v_cmp_eq_u32_e32 vcc, 11, v0
	s_waitcnt vmcnt(0)
	s_barrier
	s_and_saveexec_b64 s[4:5], vcc
	s_cbranch_execz .LBB105_107
; %bb.101:
	buffer_load_dword v69, off, s[20:23], 0 offset:288 ; 4-byte Folded Reload
	buffer_load_dword v70, off, s[20:23], 0 offset:292 ; 4-byte Folded Reload
	;; [unrolled: 1-line block ×4, first 2 shown]
	s_waitcnt vmcnt(0)
	ds_write2_b64 v127, v[69:70], v[71:72] offset1:1
	buffer_load_dword v69, off, s[20:23], 0 offset:272 ; 4-byte Folded Reload
	buffer_load_dword v70, off, s[20:23], 0 offset:276 ; 4-byte Folded Reload
	buffer_load_dword v71, off, s[20:23], 0 offset:280 ; 4-byte Folded Reload
	buffer_load_dword v72, off, s[20:23], 0 offset:284 ; 4-byte Folded Reload
	s_waitcnt vmcnt(0)
	ds_write2_b64 v125, v[69:70], v[71:72] offset0:24 offset1:25
	buffer_load_dword v69, off, s[20:23], 0 offset:256 ; 4-byte Folded Reload
	buffer_load_dword v70, off, s[20:23], 0 offset:260 ; 4-byte Folded Reload
	buffer_load_dword v71, off, s[20:23], 0 offset:264 ; 4-byte Folded Reload
	buffer_load_dword v72, off, s[20:23], 0 offset:268 ; 4-byte Folded Reload
	s_waitcnt vmcnt(0)
	ds_write2_b64 v125, v[69:70], v[71:72] offset0:26 offset1:27
	;; [unrolled: 6-line block ×15, first 2 shown]
	ds_write2_b64 v125, v[117:118], v[119:120] offset0:54 offset1:55
	ds_write2_b64 v125, v[121:122], v[123:124] offset0:56 offset1:57
	;; [unrolled: 1-line block ×5, first 2 shown]
	buffer_load_dword v77, off, s[20:23], 0 offset:32 ; 4-byte Folded Reload
	buffer_load_dword v78, off, s[20:23], 0 offset:36 ; 4-byte Folded Reload
	;; [unrolled: 1-line block ×4, first 2 shown]
	v_mov_b32_e32 v69, v73
	v_mov_b32_e32 v70, v74
	;; [unrolled: 1-line block ×4, first 2 shown]
	s_waitcnt vmcnt(0)
	ds_write2_b64 v125, v[77:78], v[79:80] offset0:64 offset1:65
	buffer_load_dword v73, off, s[20:23], 0 offset:16 ; 4-byte Folded Reload
	buffer_load_dword v74, off, s[20:23], 0 offset:20 ; 4-byte Folded Reload
	;; [unrolled: 1-line block ×4, first 2 shown]
	s_waitcnt vmcnt(0)
	ds_write2_b64 v125, v[73:74], v[75:76] offset0:66 offset1:67
	v_mov_b32_e32 v76, v72
	v_mov_b32_e32 v75, v71
	;; [unrolled: 1-line block ×4, first 2 shown]
	buffer_load_dword v69, off, s[20:23], 0 ; 4-byte Folded Reload
	buffer_load_dword v70, off, s[20:23], 0 offset:4 ; 4-byte Folded Reload
	buffer_load_dword v71, off, s[20:23], 0 offset:8 ; 4-byte Folded Reload
	;; [unrolled: 1-line block ×3, first 2 shown]
	s_waitcnt vmcnt(0)
	ds_write2_b64 v125, v[69:70], v[71:72] offset0:68 offset1:69
	ds_write2_b64 v125, v[65:66], v[67:68] offset0:70 offset1:71
	;; [unrolled: 1-line block ×19, first 2 shown]
	ds_read2_b64 v[97:100], v127 offset1:1
	s_waitcnt lgkmcnt(0)
	v_cmp_neq_f64_e32 vcc, 0, v[97:98]
	v_cmp_neq_f64_e64 s[2:3], 0, v[99:100]
	s_or_b64 s[2:3], vcc, s[2:3]
	s_and_b64 exec, exec, s[2:3]
	s_cbranch_execz .LBB105_107
; %bb.102:
	v_cmp_ngt_f64_e64 s[2:3], |v[97:98]|, |v[99:100]|
                                        ; implicit-def: $vgpr101_vgpr102
	s_and_saveexec_b64 s[6:7], s[2:3]
	s_xor_b64 s[2:3], exec, s[6:7]
                                        ; implicit-def: $vgpr103_vgpr104
	s_cbranch_execz .LBB105_104
; %bb.103:
	v_div_scale_f64 v[101:102], s[6:7], v[99:100], v[99:100], v[97:98]
	v_rcp_f64_e32 v[103:104], v[101:102]
	v_fma_f64 v[105:106], -v[101:102], v[103:104], 1.0
	v_fma_f64 v[103:104], v[103:104], v[105:106], v[103:104]
	v_div_scale_f64 v[105:106], vcc, v[97:98], v[99:100], v[97:98]
	v_fma_f64 v[107:108], -v[101:102], v[103:104], 1.0
	v_fma_f64 v[103:104], v[103:104], v[107:108], v[103:104]
	v_mul_f64 v[107:108], v[105:106], v[103:104]
	v_fma_f64 v[101:102], -v[101:102], v[107:108], v[105:106]
	v_div_fmas_f64 v[101:102], v[101:102], v[103:104], v[107:108]
	v_div_fixup_f64 v[101:102], v[101:102], v[99:100], v[97:98]
	v_fma_f64 v[97:98], v[97:98], v[101:102], v[99:100]
	v_div_scale_f64 v[99:100], s[6:7], v[97:98], v[97:98], 1.0
	v_div_scale_f64 v[107:108], vcc, 1.0, v[97:98], 1.0
	v_rcp_f64_e32 v[103:104], v[99:100]
	v_fma_f64 v[105:106], -v[99:100], v[103:104], 1.0
	v_fma_f64 v[103:104], v[103:104], v[105:106], v[103:104]
	v_fma_f64 v[105:106], -v[99:100], v[103:104], 1.0
	v_fma_f64 v[103:104], v[103:104], v[105:106], v[103:104]
	v_mul_f64 v[105:106], v[107:108], v[103:104]
	v_fma_f64 v[99:100], -v[99:100], v[105:106], v[107:108]
	v_div_fmas_f64 v[99:100], v[99:100], v[103:104], v[105:106]
	v_div_fixup_f64 v[103:104], v[99:100], v[97:98], 1.0
                                        ; implicit-def: $vgpr97_vgpr98
	v_mul_f64 v[101:102], v[101:102], v[103:104]
	v_xor_b32_e32 v104, 0x80000000, v104
.LBB105_104:
	s_andn2_saveexec_b64 s[2:3], s[2:3]
	s_cbranch_execz .LBB105_106
; %bb.105:
	v_div_scale_f64 v[101:102], s[6:7], v[97:98], v[97:98], v[99:100]
	v_rcp_f64_e32 v[103:104], v[101:102]
	v_fma_f64 v[105:106], -v[101:102], v[103:104], 1.0
	v_fma_f64 v[103:104], v[103:104], v[105:106], v[103:104]
	v_div_scale_f64 v[105:106], vcc, v[99:100], v[97:98], v[99:100]
	v_fma_f64 v[107:108], -v[101:102], v[103:104], 1.0
	v_fma_f64 v[103:104], v[103:104], v[107:108], v[103:104]
	v_mul_f64 v[107:108], v[105:106], v[103:104]
	v_fma_f64 v[101:102], -v[101:102], v[107:108], v[105:106]
	v_div_fmas_f64 v[101:102], v[101:102], v[103:104], v[107:108]
	v_div_fixup_f64 v[103:104], v[101:102], v[97:98], v[99:100]
	v_fma_f64 v[97:98], v[99:100], v[103:104], v[97:98]
	v_div_scale_f64 v[99:100], s[6:7], v[97:98], v[97:98], 1.0
	v_div_scale_f64 v[107:108], vcc, 1.0, v[97:98], 1.0
	v_rcp_f64_e32 v[101:102], v[99:100]
	v_fma_f64 v[105:106], -v[99:100], v[101:102], 1.0
	v_fma_f64 v[101:102], v[101:102], v[105:106], v[101:102]
	v_fma_f64 v[105:106], -v[99:100], v[101:102], 1.0
	v_fma_f64 v[101:102], v[101:102], v[105:106], v[101:102]
	v_mul_f64 v[105:106], v[107:108], v[101:102]
	v_fma_f64 v[99:100], -v[99:100], v[105:106], v[107:108]
	v_div_fmas_f64 v[99:100], v[99:100], v[101:102], v[105:106]
	v_div_fixup_f64 v[101:102], v[99:100], v[97:98], 1.0
	v_mul_f64 v[103:104], v[103:104], -v[101:102]
.LBB105_106:
	s_or_b64 exec, exec, s[2:3]
	ds_write2_b64 v127, v[101:102], v[103:104] offset1:1
.LBB105_107:
	s_or_b64 exec, exec, s[4:5]
	s_waitcnt lgkmcnt(0)
	s_barrier
	ds_read2_b64 v[69:72], v127 offset1:1
	v_cmp_lt_u32_e32 vcc, 11, v0
	s_waitcnt lgkmcnt(0)
	buffer_store_dword v69, off, s[20:23], 0 offset:1072 ; 4-byte Folded Spill
	s_nop 0
	buffer_store_dword v70, off, s[20:23], 0 offset:1076 ; 4-byte Folded Spill
	buffer_store_dword v71, off, s[20:23], 0 offset:1080 ; 4-byte Folded Spill
	;; [unrolled: 1-line block ×3, first 2 shown]
	s_and_saveexec_b64 s[2:3], vcc
	s_cbranch_execz .LBB105_109
; %bb.108:
	buffer_load_dword v103, off, s[20:23], 0 offset:288 ; 4-byte Folded Reload
	buffer_load_dword v104, off, s[20:23], 0 offset:292 ; 4-byte Folded Reload
	;; [unrolled: 1-line block ×8, first 2 shown]
	s_waitcnt vmcnt(2)
	v_mul_f64 v[99:100], v[69:70], v[105:106]
	s_waitcnt vmcnt(0)
	v_mul_f64 v[97:98], v[71:72], v[105:106]
	v_fma_f64 v[105:106], v[71:72], v[103:104], v[99:100]
	ds_read2_b64 v[99:102], v125 offset0:24 offset1:25
	v_fma_f64 v[97:98], v[69:70], v[103:104], -v[97:98]
	buffer_load_dword v69, off, s[20:23], 0 offset:272 ; 4-byte Folded Reload
	buffer_load_dword v70, off, s[20:23], 0 offset:276 ; 4-byte Folded Reload
	buffer_load_dword v71, off, s[20:23], 0 offset:280 ; 4-byte Folded Reload
	buffer_load_dword v72, off, s[20:23], 0 offset:284 ; 4-byte Folded Reload
	s_waitcnt lgkmcnt(0)
	v_mul_f64 v[103:104], v[101:102], v[105:106]
	v_fma_f64 v[103:104], v[99:100], v[97:98], -v[103:104]
	v_mul_f64 v[99:100], v[99:100], v[105:106]
	v_fma_f64 v[99:100], v[101:102], v[97:98], v[99:100]
	s_waitcnt vmcnt(2)
	v_add_f64 v[69:70], v[69:70], -v[103:104]
	s_waitcnt vmcnt(0)
	v_add_f64 v[71:72], v[71:72], -v[99:100]
	buffer_store_dword v69, off, s[20:23], 0 offset:272 ; 4-byte Folded Spill
	s_nop 0
	buffer_store_dword v70, off, s[20:23], 0 offset:276 ; 4-byte Folded Spill
	buffer_store_dword v71, off, s[20:23], 0 offset:280 ; 4-byte Folded Spill
	buffer_store_dword v72, off, s[20:23], 0 offset:284 ; 4-byte Folded Spill
	ds_read2_b64 v[99:102], v125 offset0:26 offset1:27
	buffer_load_dword v69, off, s[20:23], 0 offset:256 ; 4-byte Folded Reload
	buffer_load_dword v70, off, s[20:23], 0 offset:260 ; 4-byte Folded Reload
	buffer_load_dword v71, off, s[20:23], 0 offset:264 ; 4-byte Folded Reload
	buffer_load_dword v72, off, s[20:23], 0 offset:268 ; 4-byte Folded Reload
	s_waitcnt lgkmcnt(0)
	v_mul_f64 v[103:104], v[101:102], v[105:106]
	v_fma_f64 v[103:104], v[99:100], v[97:98], -v[103:104]
	v_mul_f64 v[99:100], v[99:100], v[105:106]
	v_fma_f64 v[99:100], v[101:102], v[97:98], v[99:100]
	s_waitcnt vmcnt(2)
	v_add_f64 v[69:70], v[69:70], -v[103:104]
	s_waitcnt vmcnt(0)
	v_add_f64 v[71:72], v[71:72], -v[99:100]
	buffer_store_dword v69, off, s[20:23], 0 offset:256 ; 4-byte Folded Spill
	s_nop 0
	buffer_store_dword v70, off, s[20:23], 0 offset:260 ; 4-byte Folded Spill
	buffer_store_dword v71, off, s[20:23], 0 offset:264 ; 4-byte Folded Spill
	buffer_store_dword v72, off, s[20:23], 0 offset:268 ; 4-byte Folded Spill
	ds_read2_b64 v[99:102], v125 offset0:28 offset1:29
	;; [unrolled: 19-line block ×15, first 2 shown]
	v_mov_b32_e32 v69, v73
	v_mov_b32_e32 v70, v74
	;; [unrolled: 1-line block ×4, first 2 shown]
	s_waitcnt lgkmcnt(0)
	v_mul_f64 v[103:104], v[101:102], v[105:106]
	v_fma_f64 v[103:104], v[99:100], v[97:98], -v[103:104]
	v_mul_f64 v[99:100], v[99:100], v[105:106]
	v_add_f64 v[117:118], v[117:118], -v[103:104]
	v_fma_f64 v[99:100], v[101:102], v[97:98], v[99:100]
	v_add_f64 v[119:120], v[119:120], -v[99:100]
	ds_read2_b64 v[99:102], v125 offset0:56 offset1:57
	s_waitcnt lgkmcnt(0)
	v_mul_f64 v[103:104], v[101:102], v[105:106]
	v_fma_f64 v[103:104], v[99:100], v[97:98], -v[103:104]
	v_mul_f64 v[99:100], v[99:100], v[105:106]
	v_add_f64 v[121:122], v[121:122], -v[103:104]
	v_fma_f64 v[99:100], v[101:102], v[97:98], v[99:100]
	v_add_f64 v[123:124], v[123:124], -v[99:100]
	ds_read2_b64 v[99:102], v125 offset0:58 offset1:59
	;; [unrolled: 8-line block ×5, first 2 shown]
	buffer_load_dword v77, off, s[20:23], 0 offset:32 ; 4-byte Folded Reload
	buffer_load_dword v78, off, s[20:23], 0 offset:36 ; 4-byte Folded Reload
	;; [unrolled: 1-line block ×4, first 2 shown]
	s_waitcnt lgkmcnt(0)
	v_mul_f64 v[103:104], v[101:102], v[105:106]
	v_fma_f64 v[103:104], v[99:100], v[97:98], -v[103:104]
	v_mul_f64 v[99:100], v[99:100], v[105:106]
	v_fma_f64 v[99:100], v[101:102], v[97:98], v[99:100]
	s_waitcnt vmcnt(2)
	v_add_f64 v[77:78], v[77:78], -v[103:104]
	s_waitcnt vmcnt(0)
	v_add_f64 v[79:80], v[79:80], -v[99:100]
	buffer_store_dword v77, off, s[20:23], 0 offset:32 ; 4-byte Folded Spill
	s_nop 0
	buffer_store_dword v78, off, s[20:23], 0 offset:36 ; 4-byte Folded Spill
	buffer_store_dword v79, off, s[20:23], 0 offset:40 ; 4-byte Folded Spill
	;; [unrolled: 1-line block ×3, first 2 shown]
	ds_read2_b64 v[99:102], v125 offset0:66 offset1:67
	buffer_load_dword v73, off, s[20:23], 0 offset:16 ; 4-byte Folded Reload
	buffer_load_dword v74, off, s[20:23], 0 offset:20 ; 4-byte Folded Reload
	;; [unrolled: 1-line block ×4, first 2 shown]
	s_waitcnt lgkmcnt(0)
	v_mul_f64 v[103:104], v[101:102], v[105:106]
	v_fma_f64 v[103:104], v[99:100], v[97:98], -v[103:104]
	v_mul_f64 v[99:100], v[99:100], v[105:106]
	v_fma_f64 v[99:100], v[101:102], v[97:98], v[99:100]
	s_waitcnt vmcnt(2)
	v_add_f64 v[73:74], v[73:74], -v[103:104]
	s_waitcnt vmcnt(0)
	v_add_f64 v[75:76], v[75:76], -v[99:100]
	buffer_store_dword v73, off, s[20:23], 0 offset:16 ; 4-byte Folded Spill
	s_nop 0
	buffer_store_dword v74, off, s[20:23], 0 offset:20 ; 4-byte Folded Spill
	buffer_store_dword v75, off, s[20:23], 0 offset:24 ; 4-byte Folded Spill
	;; [unrolled: 1-line block ×3, first 2 shown]
	v_mov_b32_e32 v76, v72
	v_mov_b32_e32 v75, v71
	v_mov_b32_e32 v74, v70
	v_mov_b32_e32 v73, v69
	ds_read2_b64 v[99:102], v125 offset0:68 offset1:69
	buffer_load_dword v69, off, s[20:23], 0 ; 4-byte Folded Reload
	buffer_load_dword v70, off, s[20:23], 0 offset:4 ; 4-byte Folded Reload
	buffer_load_dword v71, off, s[20:23], 0 offset:8 ; 4-byte Folded Reload
	;; [unrolled: 1-line block ×3, first 2 shown]
	s_waitcnt lgkmcnt(0)
	v_mul_f64 v[103:104], v[101:102], v[105:106]
	v_fma_f64 v[103:104], v[99:100], v[97:98], -v[103:104]
	v_mul_f64 v[99:100], v[99:100], v[105:106]
	v_fma_f64 v[99:100], v[101:102], v[97:98], v[99:100]
	s_waitcnt vmcnt(2)
	v_add_f64 v[69:70], v[69:70], -v[103:104]
	s_waitcnt vmcnt(0)
	v_add_f64 v[71:72], v[71:72], -v[99:100]
	buffer_store_dword v69, off, s[20:23], 0 ; 4-byte Folded Spill
	s_nop 0
	buffer_store_dword v70, off, s[20:23], 0 offset:4 ; 4-byte Folded Spill
	buffer_store_dword v71, off, s[20:23], 0 offset:8 ; 4-byte Folded Spill
	;; [unrolled: 1-line block ×3, first 2 shown]
	ds_read2_b64 v[99:102], v125 offset0:70 offset1:71
	s_waitcnt lgkmcnt(0)
	v_mul_f64 v[103:104], v[101:102], v[105:106]
	v_fma_f64 v[103:104], v[99:100], v[97:98], -v[103:104]
	v_mul_f64 v[99:100], v[99:100], v[105:106]
	v_add_f64 v[65:66], v[65:66], -v[103:104]
	v_fma_f64 v[99:100], v[101:102], v[97:98], v[99:100]
	v_add_f64 v[67:68], v[67:68], -v[99:100]
	ds_read2_b64 v[99:102], v125 offset0:72 offset1:73
	s_waitcnt lgkmcnt(0)
	v_mul_f64 v[103:104], v[101:102], v[105:106]
	v_fma_f64 v[103:104], v[99:100], v[97:98], -v[103:104]
	v_mul_f64 v[99:100], v[99:100], v[105:106]
	v_add_f64 v[61:62], v[61:62], -v[103:104]
	v_fma_f64 v[99:100], v[101:102], v[97:98], v[99:100]
	v_add_f64 v[63:64], v[63:64], -v[99:100]
	;; [unrolled: 8-line block ×17, first 2 shown]
	ds_read2_b64 v[99:102], v125 offset0:104 offset1:105
	s_waitcnt lgkmcnt(0)
	v_mul_f64 v[103:104], v[101:102], v[105:106]
	v_fma_f64 v[103:104], v[99:100], v[97:98], -v[103:104]
	v_mul_f64 v[99:100], v[99:100], v[105:106]
	v_add_f64 v[73:74], v[73:74], -v[103:104]
	v_fma_f64 v[99:100], v[101:102], v[97:98], v[99:100]
	v_mov_b32_e32 v104, v98
	v_mov_b32_e32 v103, v97
	buffer_store_dword v103, off, s[20:23], 0 offset:288 ; 4-byte Folded Spill
	s_nop 0
	buffer_store_dword v104, off, s[20:23], 0 offset:292 ; 4-byte Folded Spill
	buffer_store_dword v105, off, s[20:23], 0 offset:296 ; 4-byte Folded Spill
	;; [unrolled: 1-line block ×3, first 2 shown]
	v_add_f64 v[75:76], v[75:76], -v[99:100]
.LBB105_109:
	s_or_b64 exec, exec, s[2:3]
	v_cmp_eq_u32_e32 vcc, 12, v0
	s_waitcnt vmcnt(0)
	s_barrier
	s_and_saveexec_b64 s[4:5], vcc
	s_cbranch_execz .LBB105_116
; %bb.110:
	buffer_load_dword v69, off, s[20:23], 0 offset:272 ; 4-byte Folded Reload
	buffer_load_dword v70, off, s[20:23], 0 offset:276 ; 4-byte Folded Reload
	;; [unrolled: 1-line block ×4, first 2 shown]
	s_waitcnt vmcnt(0)
	ds_write2_b64 v127, v[69:70], v[71:72] offset1:1
	buffer_load_dword v69, off, s[20:23], 0 offset:256 ; 4-byte Folded Reload
	buffer_load_dword v70, off, s[20:23], 0 offset:260 ; 4-byte Folded Reload
	buffer_load_dword v71, off, s[20:23], 0 offset:264 ; 4-byte Folded Reload
	buffer_load_dword v72, off, s[20:23], 0 offset:268 ; 4-byte Folded Reload
	s_waitcnt vmcnt(0)
	ds_write2_b64 v125, v[69:70], v[71:72] offset0:26 offset1:27
	buffer_load_dword v69, off, s[20:23], 0 offset:240 ; 4-byte Folded Reload
	buffer_load_dword v70, off, s[20:23], 0 offset:244 ; 4-byte Folded Reload
	buffer_load_dword v71, off, s[20:23], 0 offset:248 ; 4-byte Folded Reload
	buffer_load_dword v72, off, s[20:23], 0 offset:252 ; 4-byte Folded Reload
	s_waitcnt vmcnt(0)
	ds_write2_b64 v125, v[69:70], v[71:72] offset0:28 offset1:29
	;; [unrolled: 6-line block ×14, first 2 shown]
	ds_write2_b64 v125, v[117:118], v[119:120] offset0:54 offset1:55
	ds_write2_b64 v125, v[121:122], v[123:124] offset0:56 offset1:57
	;; [unrolled: 1-line block ×5, first 2 shown]
	buffer_load_dword v77, off, s[20:23], 0 offset:32 ; 4-byte Folded Reload
	buffer_load_dword v78, off, s[20:23], 0 offset:36 ; 4-byte Folded Reload
	;; [unrolled: 1-line block ×4, first 2 shown]
	v_mov_b32_e32 v69, v73
	v_mov_b32_e32 v70, v74
	v_mov_b32_e32 v71, v75
	v_mov_b32_e32 v72, v76
	s_waitcnt vmcnt(0)
	ds_write2_b64 v125, v[77:78], v[79:80] offset0:64 offset1:65
	buffer_load_dword v73, off, s[20:23], 0 offset:16 ; 4-byte Folded Reload
	buffer_load_dword v74, off, s[20:23], 0 offset:20 ; 4-byte Folded Reload
	;; [unrolled: 1-line block ×4, first 2 shown]
	s_waitcnt vmcnt(0)
	ds_write2_b64 v125, v[73:74], v[75:76] offset0:66 offset1:67
	v_mov_b32_e32 v76, v72
	v_mov_b32_e32 v75, v71
	;; [unrolled: 1-line block ×4, first 2 shown]
	buffer_load_dword v69, off, s[20:23], 0 ; 4-byte Folded Reload
	buffer_load_dword v70, off, s[20:23], 0 offset:4 ; 4-byte Folded Reload
	buffer_load_dword v71, off, s[20:23], 0 offset:8 ; 4-byte Folded Reload
	;; [unrolled: 1-line block ×3, first 2 shown]
	s_waitcnt vmcnt(0)
	ds_write2_b64 v125, v[69:70], v[71:72] offset0:68 offset1:69
	ds_write2_b64 v125, v[65:66], v[67:68] offset0:70 offset1:71
	;; [unrolled: 1-line block ×19, first 2 shown]
	ds_read2_b64 v[97:100], v127 offset1:1
	s_waitcnt lgkmcnt(0)
	v_cmp_neq_f64_e32 vcc, 0, v[97:98]
	v_cmp_neq_f64_e64 s[2:3], 0, v[99:100]
	s_or_b64 s[2:3], vcc, s[2:3]
	s_and_b64 exec, exec, s[2:3]
	s_cbranch_execz .LBB105_116
; %bb.111:
	v_cmp_ngt_f64_e64 s[2:3], |v[97:98]|, |v[99:100]|
                                        ; implicit-def: $vgpr101_vgpr102
	s_and_saveexec_b64 s[6:7], s[2:3]
	s_xor_b64 s[2:3], exec, s[6:7]
                                        ; implicit-def: $vgpr103_vgpr104
	s_cbranch_execz .LBB105_113
; %bb.112:
	v_div_scale_f64 v[101:102], s[6:7], v[99:100], v[99:100], v[97:98]
	v_rcp_f64_e32 v[103:104], v[101:102]
	v_fma_f64 v[105:106], -v[101:102], v[103:104], 1.0
	v_fma_f64 v[103:104], v[103:104], v[105:106], v[103:104]
	v_div_scale_f64 v[105:106], vcc, v[97:98], v[99:100], v[97:98]
	v_fma_f64 v[107:108], -v[101:102], v[103:104], 1.0
	v_fma_f64 v[103:104], v[103:104], v[107:108], v[103:104]
	v_mul_f64 v[107:108], v[105:106], v[103:104]
	v_fma_f64 v[101:102], -v[101:102], v[107:108], v[105:106]
	v_div_fmas_f64 v[101:102], v[101:102], v[103:104], v[107:108]
	v_div_fixup_f64 v[101:102], v[101:102], v[99:100], v[97:98]
	v_fma_f64 v[97:98], v[97:98], v[101:102], v[99:100]
	v_div_scale_f64 v[99:100], s[6:7], v[97:98], v[97:98], 1.0
	v_div_scale_f64 v[107:108], vcc, 1.0, v[97:98], 1.0
	v_rcp_f64_e32 v[103:104], v[99:100]
	v_fma_f64 v[105:106], -v[99:100], v[103:104], 1.0
	v_fma_f64 v[103:104], v[103:104], v[105:106], v[103:104]
	v_fma_f64 v[105:106], -v[99:100], v[103:104], 1.0
	v_fma_f64 v[103:104], v[103:104], v[105:106], v[103:104]
	v_mul_f64 v[105:106], v[107:108], v[103:104]
	v_fma_f64 v[99:100], -v[99:100], v[105:106], v[107:108]
	v_div_fmas_f64 v[99:100], v[99:100], v[103:104], v[105:106]
	v_div_fixup_f64 v[103:104], v[99:100], v[97:98], 1.0
                                        ; implicit-def: $vgpr97_vgpr98
	v_mul_f64 v[101:102], v[101:102], v[103:104]
	v_xor_b32_e32 v104, 0x80000000, v104
.LBB105_113:
	s_andn2_saveexec_b64 s[2:3], s[2:3]
	s_cbranch_execz .LBB105_115
; %bb.114:
	v_div_scale_f64 v[101:102], s[6:7], v[97:98], v[97:98], v[99:100]
	v_rcp_f64_e32 v[103:104], v[101:102]
	v_fma_f64 v[105:106], -v[101:102], v[103:104], 1.0
	v_fma_f64 v[103:104], v[103:104], v[105:106], v[103:104]
	v_div_scale_f64 v[105:106], vcc, v[99:100], v[97:98], v[99:100]
	v_fma_f64 v[107:108], -v[101:102], v[103:104], 1.0
	v_fma_f64 v[103:104], v[103:104], v[107:108], v[103:104]
	v_mul_f64 v[107:108], v[105:106], v[103:104]
	v_fma_f64 v[101:102], -v[101:102], v[107:108], v[105:106]
	v_div_fmas_f64 v[101:102], v[101:102], v[103:104], v[107:108]
	v_div_fixup_f64 v[103:104], v[101:102], v[97:98], v[99:100]
	v_fma_f64 v[97:98], v[99:100], v[103:104], v[97:98]
	v_div_scale_f64 v[99:100], s[6:7], v[97:98], v[97:98], 1.0
	v_div_scale_f64 v[107:108], vcc, 1.0, v[97:98], 1.0
	v_rcp_f64_e32 v[101:102], v[99:100]
	v_fma_f64 v[105:106], -v[99:100], v[101:102], 1.0
	v_fma_f64 v[101:102], v[101:102], v[105:106], v[101:102]
	v_fma_f64 v[105:106], -v[99:100], v[101:102], 1.0
	v_fma_f64 v[101:102], v[101:102], v[105:106], v[101:102]
	v_mul_f64 v[105:106], v[107:108], v[101:102]
	v_fma_f64 v[99:100], -v[99:100], v[105:106], v[107:108]
	v_div_fmas_f64 v[99:100], v[99:100], v[101:102], v[105:106]
	v_div_fixup_f64 v[101:102], v[99:100], v[97:98], 1.0
	v_mul_f64 v[103:104], v[103:104], -v[101:102]
.LBB105_115:
	s_or_b64 exec, exec, s[2:3]
	ds_write2_b64 v127, v[101:102], v[103:104] offset1:1
.LBB105_116:
	s_or_b64 exec, exec, s[4:5]
	s_waitcnt lgkmcnt(0)
	s_barrier
	ds_read2_b64 v[69:72], v127 offset1:1
	v_cmp_lt_u32_e32 vcc, 12, v0
	s_waitcnt lgkmcnt(0)
	buffer_store_dword v69, off, s[20:23], 0 offset:1088 ; 4-byte Folded Spill
	s_nop 0
	buffer_store_dword v70, off, s[20:23], 0 offset:1092 ; 4-byte Folded Spill
	buffer_store_dword v71, off, s[20:23], 0 offset:1096 ; 4-byte Folded Spill
	;; [unrolled: 1-line block ×3, first 2 shown]
	s_and_saveexec_b64 s[2:3], vcc
	s_cbranch_execz .LBB105_118
; %bb.117:
	buffer_load_dword v103, off, s[20:23], 0 offset:272 ; 4-byte Folded Reload
	buffer_load_dword v104, off, s[20:23], 0 offset:276 ; 4-byte Folded Reload
	;; [unrolled: 1-line block ×8, first 2 shown]
	s_waitcnt vmcnt(2)
	v_mul_f64 v[99:100], v[69:70], v[105:106]
	s_waitcnt vmcnt(0)
	v_mul_f64 v[97:98], v[71:72], v[105:106]
	v_fma_f64 v[105:106], v[71:72], v[103:104], v[99:100]
	ds_read2_b64 v[99:102], v125 offset0:26 offset1:27
	v_fma_f64 v[97:98], v[69:70], v[103:104], -v[97:98]
	buffer_load_dword v69, off, s[20:23], 0 offset:256 ; 4-byte Folded Reload
	buffer_load_dword v70, off, s[20:23], 0 offset:260 ; 4-byte Folded Reload
	buffer_load_dword v71, off, s[20:23], 0 offset:264 ; 4-byte Folded Reload
	buffer_load_dword v72, off, s[20:23], 0 offset:268 ; 4-byte Folded Reload
	s_waitcnt lgkmcnt(0)
	v_mul_f64 v[103:104], v[101:102], v[105:106]
	v_fma_f64 v[103:104], v[99:100], v[97:98], -v[103:104]
	v_mul_f64 v[99:100], v[99:100], v[105:106]
	v_fma_f64 v[99:100], v[101:102], v[97:98], v[99:100]
	s_waitcnt vmcnt(2)
	v_add_f64 v[69:70], v[69:70], -v[103:104]
	s_waitcnt vmcnt(0)
	v_add_f64 v[71:72], v[71:72], -v[99:100]
	buffer_store_dword v69, off, s[20:23], 0 offset:256 ; 4-byte Folded Spill
	s_nop 0
	buffer_store_dword v70, off, s[20:23], 0 offset:260 ; 4-byte Folded Spill
	buffer_store_dword v71, off, s[20:23], 0 offset:264 ; 4-byte Folded Spill
	buffer_store_dword v72, off, s[20:23], 0 offset:268 ; 4-byte Folded Spill
	ds_read2_b64 v[99:102], v125 offset0:28 offset1:29
	buffer_load_dword v69, off, s[20:23], 0 offset:240 ; 4-byte Folded Reload
	buffer_load_dword v70, off, s[20:23], 0 offset:244 ; 4-byte Folded Reload
	buffer_load_dword v71, off, s[20:23], 0 offset:248 ; 4-byte Folded Reload
	buffer_load_dword v72, off, s[20:23], 0 offset:252 ; 4-byte Folded Reload
	s_waitcnt lgkmcnt(0)
	v_mul_f64 v[103:104], v[101:102], v[105:106]
	v_fma_f64 v[103:104], v[99:100], v[97:98], -v[103:104]
	v_mul_f64 v[99:100], v[99:100], v[105:106]
	v_fma_f64 v[99:100], v[101:102], v[97:98], v[99:100]
	s_waitcnt vmcnt(2)
	v_add_f64 v[69:70], v[69:70], -v[103:104]
	s_waitcnt vmcnt(0)
	v_add_f64 v[71:72], v[71:72], -v[99:100]
	buffer_store_dword v69, off, s[20:23], 0 offset:240 ; 4-byte Folded Spill
	s_nop 0
	buffer_store_dword v70, off, s[20:23], 0 offset:244 ; 4-byte Folded Spill
	buffer_store_dword v71, off, s[20:23], 0 offset:248 ; 4-byte Folded Spill
	buffer_store_dword v72, off, s[20:23], 0 offset:252 ; 4-byte Folded Spill
	ds_read2_b64 v[99:102], v125 offset0:30 offset1:31
	;; [unrolled: 19-line block ×14, first 2 shown]
	v_mov_b32_e32 v69, v73
	v_mov_b32_e32 v70, v74
	;; [unrolled: 1-line block ×4, first 2 shown]
	s_waitcnt lgkmcnt(0)
	v_mul_f64 v[103:104], v[101:102], v[105:106]
	v_fma_f64 v[103:104], v[99:100], v[97:98], -v[103:104]
	v_mul_f64 v[99:100], v[99:100], v[105:106]
	v_add_f64 v[117:118], v[117:118], -v[103:104]
	v_fma_f64 v[99:100], v[101:102], v[97:98], v[99:100]
	v_add_f64 v[119:120], v[119:120], -v[99:100]
	ds_read2_b64 v[99:102], v125 offset0:56 offset1:57
	s_waitcnt lgkmcnt(0)
	v_mul_f64 v[103:104], v[101:102], v[105:106]
	v_fma_f64 v[103:104], v[99:100], v[97:98], -v[103:104]
	v_mul_f64 v[99:100], v[99:100], v[105:106]
	v_add_f64 v[121:122], v[121:122], -v[103:104]
	v_fma_f64 v[99:100], v[101:102], v[97:98], v[99:100]
	v_add_f64 v[123:124], v[123:124], -v[99:100]
	ds_read2_b64 v[99:102], v125 offset0:58 offset1:59
	;; [unrolled: 8-line block ×5, first 2 shown]
	buffer_load_dword v77, off, s[20:23], 0 offset:32 ; 4-byte Folded Reload
	buffer_load_dword v78, off, s[20:23], 0 offset:36 ; 4-byte Folded Reload
	;; [unrolled: 1-line block ×4, first 2 shown]
	s_waitcnt lgkmcnt(0)
	v_mul_f64 v[103:104], v[101:102], v[105:106]
	v_fma_f64 v[103:104], v[99:100], v[97:98], -v[103:104]
	v_mul_f64 v[99:100], v[99:100], v[105:106]
	v_fma_f64 v[99:100], v[101:102], v[97:98], v[99:100]
	s_waitcnt vmcnt(2)
	v_add_f64 v[77:78], v[77:78], -v[103:104]
	s_waitcnt vmcnt(0)
	v_add_f64 v[79:80], v[79:80], -v[99:100]
	buffer_store_dword v77, off, s[20:23], 0 offset:32 ; 4-byte Folded Spill
	s_nop 0
	buffer_store_dword v78, off, s[20:23], 0 offset:36 ; 4-byte Folded Spill
	buffer_store_dword v79, off, s[20:23], 0 offset:40 ; 4-byte Folded Spill
	;; [unrolled: 1-line block ×3, first 2 shown]
	ds_read2_b64 v[99:102], v125 offset0:66 offset1:67
	buffer_load_dword v73, off, s[20:23], 0 offset:16 ; 4-byte Folded Reload
	buffer_load_dword v74, off, s[20:23], 0 offset:20 ; 4-byte Folded Reload
	;; [unrolled: 1-line block ×4, first 2 shown]
	s_waitcnt lgkmcnt(0)
	v_mul_f64 v[103:104], v[101:102], v[105:106]
	v_fma_f64 v[103:104], v[99:100], v[97:98], -v[103:104]
	v_mul_f64 v[99:100], v[99:100], v[105:106]
	v_fma_f64 v[99:100], v[101:102], v[97:98], v[99:100]
	s_waitcnt vmcnt(2)
	v_add_f64 v[73:74], v[73:74], -v[103:104]
	s_waitcnt vmcnt(0)
	v_add_f64 v[75:76], v[75:76], -v[99:100]
	buffer_store_dword v73, off, s[20:23], 0 offset:16 ; 4-byte Folded Spill
	s_nop 0
	buffer_store_dword v74, off, s[20:23], 0 offset:20 ; 4-byte Folded Spill
	buffer_store_dword v75, off, s[20:23], 0 offset:24 ; 4-byte Folded Spill
	;; [unrolled: 1-line block ×3, first 2 shown]
	v_mov_b32_e32 v76, v72
	v_mov_b32_e32 v75, v71
	;; [unrolled: 1-line block ×4, first 2 shown]
	ds_read2_b64 v[99:102], v125 offset0:68 offset1:69
	buffer_load_dword v69, off, s[20:23], 0 ; 4-byte Folded Reload
	buffer_load_dword v70, off, s[20:23], 0 offset:4 ; 4-byte Folded Reload
	buffer_load_dword v71, off, s[20:23], 0 offset:8 ; 4-byte Folded Reload
	;; [unrolled: 1-line block ×3, first 2 shown]
	s_waitcnt lgkmcnt(0)
	v_mul_f64 v[103:104], v[101:102], v[105:106]
	v_fma_f64 v[103:104], v[99:100], v[97:98], -v[103:104]
	v_mul_f64 v[99:100], v[99:100], v[105:106]
	v_fma_f64 v[99:100], v[101:102], v[97:98], v[99:100]
	s_waitcnt vmcnt(2)
	v_add_f64 v[69:70], v[69:70], -v[103:104]
	s_waitcnt vmcnt(0)
	v_add_f64 v[71:72], v[71:72], -v[99:100]
	buffer_store_dword v69, off, s[20:23], 0 ; 4-byte Folded Spill
	s_nop 0
	buffer_store_dword v70, off, s[20:23], 0 offset:4 ; 4-byte Folded Spill
	buffer_store_dword v71, off, s[20:23], 0 offset:8 ; 4-byte Folded Spill
	buffer_store_dword v72, off, s[20:23], 0 offset:12 ; 4-byte Folded Spill
	ds_read2_b64 v[99:102], v125 offset0:70 offset1:71
	s_waitcnt lgkmcnt(0)
	v_mul_f64 v[103:104], v[101:102], v[105:106]
	v_fma_f64 v[103:104], v[99:100], v[97:98], -v[103:104]
	v_mul_f64 v[99:100], v[99:100], v[105:106]
	v_add_f64 v[65:66], v[65:66], -v[103:104]
	v_fma_f64 v[99:100], v[101:102], v[97:98], v[99:100]
	v_add_f64 v[67:68], v[67:68], -v[99:100]
	ds_read2_b64 v[99:102], v125 offset0:72 offset1:73
	s_waitcnt lgkmcnt(0)
	v_mul_f64 v[103:104], v[101:102], v[105:106]
	v_fma_f64 v[103:104], v[99:100], v[97:98], -v[103:104]
	v_mul_f64 v[99:100], v[99:100], v[105:106]
	v_add_f64 v[61:62], v[61:62], -v[103:104]
	v_fma_f64 v[99:100], v[101:102], v[97:98], v[99:100]
	v_add_f64 v[63:64], v[63:64], -v[99:100]
	;; [unrolled: 8-line block ×17, first 2 shown]
	ds_read2_b64 v[99:102], v125 offset0:104 offset1:105
	s_waitcnt lgkmcnt(0)
	v_mul_f64 v[103:104], v[101:102], v[105:106]
	v_fma_f64 v[103:104], v[99:100], v[97:98], -v[103:104]
	v_mul_f64 v[99:100], v[99:100], v[105:106]
	v_add_f64 v[73:74], v[73:74], -v[103:104]
	v_fma_f64 v[99:100], v[101:102], v[97:98], v[99:100]
	v_mov_b32_e32 v104, v98
	v_mov_b32_e32 v103, v97
	buffer_store_dword v103, off, s[20:23], 0 offset:272 ; 4-byte Folded Spill
	s_nop 0
	buffer_store_dword v104, off, s[20:23], 0 offset:276 ; 4-byte Folded Spill
	buffer_store_dword v105, off, s[20:23], 0 offset:280 ; 4-byte Folded Spill
	buffer_store_dword v106, off, s[20:23], 0 offset:284 ; 4-byte Folded Spill
	v_add_f64 v[75:76], v[75:76], -v[99:100]
.LBB105_118:
	s_or_b64 exec, exec, s[2:3]
	v_cmp_eq_u32_e32 vcc, 13, v0
	s_waitcnt vmcnt(0)
	s_barrier
	s_and_saveexec_b64 s[4:5], vcc
	s_cbranch_execz .LBB105_125
; %bb.119:
	buffer_load_dword v69, off, s[20:23], 0 offset:256 ; 4-byte Folded Reload
	buffer_load_dword v70, off, s[20:23], 0 offset:260 ; 4-byte Folded Reload
	;; [unrolled: 1-line block ×4, first 2 shown]
	s_waitcnt vmcnt(0)
	ds_write2_b64 v127, v[69:70], v[71:72] offset1:1
	buffer_load_dword v69, off, s[20:23], 0 offset:240 ; 4-byte Folded Reload
	buffer_load_dword v70, off, s[20:23], 0 offset:244 ; 4-byte Folded Reload
	buffer_load_dword v71, off, s[20:23], 0 offset:248 ; 4-byte Folded Reload
	buffer_load_dword v72, off, s[20:23], 0 offset:252 ; 4-byte Folded Reload
	s_waitcnt vmcnt(0)
	ds_write2_b64 v125, v[69:70], v[71:72] offset0:28 offset1:29
	buffer_load_dword v69, off, s[20:23], 0 offset:224 ; 4-byte Folded Reload
	buffer_load_dword v70, off, s[20:23], 0 offset:228 ; 4-byte Folded Reload
	buffer_load_dword v71, off, s[20:23], 0 offset:232 ; 4-byte Folded Reload
	buffer_load_dword v72, off, s[20:23], 0 offset:236 ; 4-byte Folded Reload
	s_waitcnt vmcnt(0)
	ds_write2_b64 v125, v[69:70], v[71:72] offset0:30 offset1:31
	;; [unrolled: 6-line block ×13, first 2 shown]
	ds_write2_b64 v125, v[117:118], v[119:120] offset0:54 offset1:55
	ds_write2_b64 v125, v[121:122], v[123:124] offset0:56 offset1:57
	;; [unrolled: 1-line block ×5, first 2 shown]
	buffer_load_dword v77, off, s[20:23], 0 offset:32 ; 4-byte Folded Reload
	buffer_load_dword v78, off, s[20:23], 0 offset:36 ; 4-byte Folded Reload
	buffer_load_dword v79, off, s[20:23], 0 offset:40 ; 4-byte Folded Reload
	buffer_load_dword v80, off, s[20:23], 0 offset:44 ; 4-byte Folded Reload
	v_mov_b32_e32 v69, v73
	v_mov_b32_e32 v70, v74
	;; [unrolled: 1-line block ×4, first 2 shown]
	s_waitcnt vmcnt(0)
	ds_write2_b64 v125, v[77:78], v[79:80] offset0:64 offset1:65
	buffer_load_dword v73, off, s[20:23], 0 offset:16 ; 4-byte Folded Reload
	buffer_load_dword v74, off, s[20:23], 0 offset:20 ; 4-byte Folded Reload
	;; [unrolled: 1-line block ×4, first 2 shown]
	s_waitcnt vmcnt(0)
	ds_write2_b64 v125, v[73:74], v[75:76] offset0:66 offset1:67
	v_mov_b32_e32 v76, v72
	v_mov_b32_e32 v75, v71
	;; [unrolled: 1-line block ×4, first 2 shown]
	buffer_load_dword v69, off, s[20:23], 0 ; 4-byte Folded Reload
	buffer_load_dword v70, off, s[20:23], 0 offset:4 ; 4-byte Folded Reload
	buffer_load_dword v71, off, s[20:23], 0 offset:8 ; 4-byte Folded Reload
	;; [unrolled: 1-line block ×3, first 2 shown]
	s_waitcnt vmcnt(0)
	ds_write2_b64 v125, v[69:70], v[71:72] offset0:68 offset1:69
	ds_write2_b64 v125, v[65:66], v[67:68] offset0:70 offset1:71
	;; [unrolled: 1-line block ×19, first 2 shown]
	ds_read2_b64 v[97:100], v127 offset1:1
	s_waitcnt lgkmcnt(0)
	v_cmp_neq_f64_e32 vcc, 0, v[97:98]
	v_cmp_neq_f64_e64 s[2:3], 0, v[99:100]
	s_or_b64 s[2:3], vcc, s[2:3]
	s_and_b64 exec, exec, s[2:3]
	s_cbranch_execz .LBB105_125
; %bb.120:
	v_cmp_ngt_f64_e64 s[2:3], |v[97:98]|, |v[99:100]|
                                        ; implicit-def: $vgpr101_vgpr102
	s_and_saveexec_b64 s[6:7], s[2:3]
	s_xor_b64 s[2:3], exec, s[6:7]
                                        ; implicit-def: $vgpr103_vgpr104
	s_cbranch_execz .LBB105_122
; %bb.121:
	v_div_scale_f64 v[101:102], s[6:7], v[99:100], v[99:100], v[97:98]
	v_rcp_f64_e32 v[103:104], v[101:102]
	v_fma_f64 v[105:106], -v[101:102], v[103:104], 1.0
	v_fma_f64 v[103:104], v[103:104], v[105:106], v[103:104]
	v_div_scale_f64 v[105:106], vcc, v[97:98], v[99:100], v[97:98]
	v_fma_f64 v[107:108], -v[101:102], v[103:104], 1.0
	v_fma_f64 v[103:104], v[103:104], v[107:108], v[103:104]
	v_mul_f64 v[107:108], v[105:106], v[103:104]
	v_fma_f64 v[101:102], -v[101:102], v[107:108], v[105:106]
	v_div_fmas_f64 v[101:102], v[101:102], v[103:104], v[107:108]
	v_div_fixup_f64 v[101:102], v[101:102], v[99:100], v[97:98]
	v_fma_f64 v[97:98], v[97:98], v[101:102], v[99:100]
	v_div_scale_f64 v[99:100], s[6:7], v[97:98], v[97:98], 1.0
	v_div_scale_f64 v[107:108], vcc, 1.0, v[97:98], 1.0
	v_rcp_f64_e32 v[103:104], v[99:100]
	v_fma_f64 v[105:106], -v[99:100], v[103:104], 1.0
	v_fma_f64 v[103:104], v[103:104], v[105:106], v[103:104]
	v_fma_f64 v[105:106], -v[99:100], v[103:104], 1.0
	v_fma_f64 v[103:104], v[103:104], v[105:106], v[103:104]
	v_mul_f64 v[105:106], v[107:108], v[103:104]
	v_fma_f64 v[99:100], -v[99:100], v[105:106], v[107:108]
	v_div_fmas_f64 v[99:100], v[99:100], v[103:104], v[105:106]
	v_div_fixup_f64 v[103:104], v[99:100], v[97:98], 1.0
                                        ; implicit-def: $vgpr97_vgpr98
	v_mul_f64 v[101:102], v[101:102], v[103:104]
	v_xor_b32_e32 v104, 0x80000000, v104
.LBB105_122:
	s_andn2_saveexec_b64 s[2:3], s[2:3]
	s_cbranch_execz .LBB105_124
; %bb.123:
	v_div_scale_f64 v[101:102], s[6:7], v[97:98], v[97:98], v[99:100]
	v_rcp_f64_e32 v[103:104], v[101:102]
	v_fma_f64 v[105:106], -v[101:102], v[103:104], 1.0
	v_fma_f64 v[103:104], v[103:104], v[105:106], v[103:104]
	v_div_scale_f64 v[105:106], vcc, v[99:100], v[97:98], v[99:100]
	v_fma_f64 v[107:108], -v[101:102], v[103:104], 1.0
	v_fma_f64 v[103:104], v[103:104], v[107:108], v[103:104]
	v_mul_f64 v[107:108], v[105:106], v[103:104]
	v_fma_f64 v[101:102], -v[101:102], v[107:108], v[105:106]
	v_div_fmas_f64 v[101:102], v[101:102], v[103:104], v[107:108]
	v_div_fixup_f64 v[103:104], v[101:102], v[97:98], v[99:100]
	v_fma_f64 v[97:98], v[99:100], v[103:104], v[97:98]
	v_div_scale_f64 v[99:100], s[6:7], v[97:98], v[97:98], 1.0
	v_div_scale_f64 v[107:108], vcc, 1.0, v[97:98], 1.0
	v_rcp_f64_e32 v[101:102], v[99:100]
	v_fma_f64 v[105:106], -v[99:100], v[101:102], 1.0
	v_fma_f64 v[101:102], v[101:102], v[105:106], v[101:102]
	v_fma_f64 v[105:106], -v[99:100], v[101:102], 1.0
	v_fma_f64 v[101:102], v[101:102], v[105:106], v[101:102]
	v_mul_f64 v[105:106], v[107:108], v[101:102]
	v_fma_f64 v[99:100], -v[99:100], v[105:106], v[107:108]
	v_div_fmas_f64 v[99:100], v[99:100], v[101:102], v[105:106]
	v_div_fixup_f64 v[101:102], v[99:100], v[97:98], 1.0
	v_mul_f64 v[103:104], v[103:104], -v[101:102]
.LBB105_124:
	s_or_b64 exec, exec, s[2:3]
	ds_write2_b64 v127, v[101:102], v[103:104] offset1:1
.LBB105_125:
	s_or_b64 exec, exec, s[4:5]
	s_waitcnt lgkmcnt(0)
	s_barrier
	ds_read2_b64 v[69:72], v127 offset1:1
	v_cmp_lt_u32_e32 vcc, 13, v0
	s_waitcnt lgkmcnt(0)
	buffer_store_dword v69, off, s[20:23], 0 offset:1104 ; 4-byte Folded Spill
	s_nop 0
	buffer_store_dword v70, off, s[20:23], 0 offset:1108 ; 4-byte Folded Spill
	buffer_store_dword v71, off, s[20:23], 0 offset:1112 ; 4-byte Folded Spill
	;; [unrolled: 1-line block ×3, first 2 shown]
	s_and_saveexec_b64 s[2:3], vcc
	s_cbranch_execz .LBB105_127
; %bb.126:
	buffer_load_dword v103, off, s[20:23], 0 offset:256 ; 4-byte Folded Reload
	buffer_load_dword v104, off, s[20:23], 0 offset:260 ; 4-byte Folded Reload
	;; [unrolled: 1-line block ×8, first 2 shown]
	s_waitcnt vmcnt(2)
	v_mul_f64 v[99:100], v[69:70], v[105:106]
	s_waitcnt vmcnt(0)
	v_mul_f64 v[97:98], v[71:72], v[105:106]
	v_fma_f64 v[105:106], v[71:72], v[103:104], v[99:100]
	ds_read2_b64 v[99:102], v125 offset0:28 offset1:29
	v_fma_f64 v[97:98], v[69:70], v[103:104], -v[97:98]
	buffer_load_dword v69, off, s[20:23], 0 offset:240 ; 4-byte Folded Reload
	buffer_load_dword v70, off, s[20:23], 0 offset:244 ; 4-byte Folded Reload
	buffer_load_dword v71, off, s[20:23], 0 offset:248 ; 4-byte Folded Reload
	buffer_load_dword v72, off, s[20:23], 0 offset:252 ; 4-byte Folded Reload
	s_waitcnt lgkmcnt(0)
	v_mul_f64 v[103:104], v[101:102], v[105:106]
	v_fma_f64 v[103:104], v[99:100], v[97:98], -v[103:104]
	v_mul_f64 v[99:100], v[99:100], v[105:106]
	v_fma_f64 v[99:100], v[101:102], v[97:98], v[99:100]
	s_waitcnt vmcnt(2)
	v_add_f64 v[69:70], v[69:70], -v[103:104]
	s_waitcnt vmcnt(0)
	v_add_f64 v[71:72], v[71:72], -v[99:100]
	buffer_store_dword v69, off, s[20:23], 0 offset:240 ; 4-byte Folded Spill
	s_nop 0
	buffer_store_dword v70, off, s[20:23], 0 offset:244 ; 4-byte Folded Spill
	buffer_store_dword v71, off, s[20:23], 0 offset:248 ; 4-byte Folded Spill
	buffer_store_dword v72, off, s[20:23], 0 offset:252 ; 4-byte Folded Spill
	ds_read2_b64 v[99:102], v125 offset0:30 offset1:31
	buffer_load_dword v69, off, s[20:23], 0 offset:224 ; 4-byte Folded Reload
	buffer_load_dword v70, off, s[20:23], 0 offset:228 ; 4-byte Folded Reload
	buffer_load_dword v71, off, s[20:23], 0 offset:232 ; 4-byte Folded Reload
	buffer_load_dword v72, off, s[20:23], 0 offset:236 ; 4-byte Folded Reload
	s_waitcnt lgkmcnt(0)
	v_mul_f64 v[103:104], v[101:102], v[105:106]
	v_fma_f64 v[103:104], v[99:100], v[97:98], -v[103:104]
	v_mul_f64 v[99:100], v[99:100], v[105:106]
	v_fma_f64 v[99:100], v[101:102], v[97:98], v[99:100]
	s_waitcnt vmcnt(2)
	v_add_f64 v[69:70], v[69:70], -v[103:104]
	s_waitcnt vmcnt(0)
	v_add_f64 v[71:72], v[71:72], -v[99:100]
	buffer_store_dword v69, off, s[20:23], 0 offset:224 ; 4-byte Folded Spill
	s_nop 0
	buffer_store_dword v70, off, s[20:23], 0 offset:228 ; 4-byte Folded Spill
	buffer_store_dword v71, off, s[20:23], 0 offset:232 ; 4-byte Folded Spill
	buffer_store_dword v72, off, s[20:23], 0 offset:236 ; 4-byte Folded Spill
	ds_read2_b64 v[99:102], v125 offset0:32 offset1:33
	;; [unrolled: 19-line block ×13, first 2 shown]
	v_mov_b32_e32 v69, v73
	v_mov_b32_e32 v70, v74
	;; [unrolled: 1-line block ×4, first 2 shown]
	s_waitcnt lgkmcnt(0)
	v_mul_f64 v[103:104], v[101:102], v[105:106]
	v_fma_f64 v[103:104], v[99:100], v[97:98], -v[103:104]
	v_mul_f64 v[99:100], v[99:100], v[105:106]
	v_add_f64 v[117:118], v[117:118], -v[103:104]
	v_fma_f64 v[99:100], v[101:102], v[97:98], v[99:100]
	v_add_f64 v[119:120], v[119:120], -v[99:100]
	ds_read2_b64 v[99:102], v125 offset0:56 offset1:57
	s_waitcnt lgkmcnt(0)
	v_mul_f64 v[103:104], v[101:102], v[105:106]
	v_fma_f64 v[103:104], v[99:100], v[97:98], -v[103:104]
	v_mul_f64 v[99:100], v[99:100], v[105:106]
	v_add_f64 v[121:122], v[121:122], -v[103:104]
	v_fma_f64 v[99:100], v[101:102], v[97:98], v[99:100]
	v_add_f64 v[123:124], v[123:124], -v[99:100]
	ds_read2_b64 v[99:102], v125 offset0:58 offset1:59
	;; [unrolled: 8-line block ×5, first 2 shown]
	buffer_load_dword v77, off, s[20:23], 0 offset:32 ; 4-byte Folded Reload
	buffer_load_dword v78, off, s[20:23], 0 offset:36 ; 4-byte Folded Reload
	;; [unrolled: 1-line block ×4, first 2 shown]
	s_waitcnt lgkmcnt(0)
	v_mul_f64 v[103:104], v[101:102], v[105:106]
	v_fma_f64 v[103:104], v[99:100], v[97:98], -v[103:104]
	v_mul_f64 v[99:100], v[99:100], v[105:106]
	v_fma_f64 v[99:100], v[101:102], v[97:98], v[99:100]
	s_waitcnt vmcnt(2)
	v_add_f64 v[77:78], v[77:78], -v[103:104]
	s_waitcnt vmcnt(0)
	v_add_f64 v[79:80], v[79:80], -v[99:100]
	buffer_store_dword v77, off, s[20:23], 0 offset:32 ; 4-byte Folded Spill
	s_nop 0
	buffer_store_dword v78, off, s[20:23], 0 offset:36 ; 4-byte Folded Spill
	buffer_store_dword v79, off, s[20:23], 0 offset:40 ; 4-byte Folded Spill
	;; [unrolled: 1-line block ×3, first 2 shown]
	ds_read2_b64 v[99:102], v125 offset0:66 offset1:67
	buffer_load_dword v73, off, s[20:23], 0 offset:16 ; 4-byte Folded Reload
	buffer_load_dword v74, off, s[20:23], 0 offset:20 ; 4-byte Folded Reload
	;; [unrolled: 1-line block ×4, first 2 shown]
	s_waitcnt lgkmcnt(0)
	v_mul_f64 v[103:104], v[101:102], v[105:106]
	v_fma_f64 v[103:104], v[99:100], v[97:98], -v[103:104]
	v_mul_f64 v[99:100], v[99:100], v[105:106]
	v_fma_f64 v[99:100], v[101:102], v[97:98], v[99:100]
	s_waitcnt vmcnt(2)
	v_add_f64 v[73:74], v[73:74], -v[103:104]
	s_waitcnt vmcnt(0)
	v_add_f64 v[75:76], v[75:76], -v[99:100]
	buffer_store_dword v73, off, s[20:23], 0 offset:16 ; 4-byte Folded Spill
	s_nop 0
	buffer_store_dword v74, off, s[20:23], 0 offset:20 ; 4-byte Folded Spill
	buffer_store_dword v75, off, s[20:23], 0 offset:24 ; 4-byte Folded Spill
	;; [unrolled: 1-line block ×3, first 2 shown]
	v_mov_b32_e32 v76, v72
	v_mov_b32_e32 v75, v71
	;; [unrolled: 1-line block ×4, first 2 shown]
	ds_read2_b64 v[99:102], v125 offset0:68 offset1:69
	buffer_load_dword v69, off, s[20:23], 0 ; 4-byte Folded Reload
	buffer_load_dword v70, off, s[20:23], 0 offset:4 ; 4-byte Folded Reload
	buffer_load_dword v71, off, s[20:23], 0 offset:8 ; 4-byte Folded Reload
	;; [unrolled: 1-line block ×3, first 2 shown]
	s_waitcnt lgkmcnt(0)
	v_mul_f64 v[103:104], v[101:102], v[105:106]
	v_fma_f64 v[103:104], v[99:100], v[97:98], -v[103:104]
	v_mul_f64 v[99:100], v[99:100], v[105:106]
	v_fma_f64 v[99:100], v[101:102], v[97:98], v[99:100]
	s_waitcnt vmcnt(2)
	v_add_f64 v[69:70], v[69:70], -v[103:104]
	s_waitcnt vmcnt(0)
	v_add_f64 v[71:72], v[71:72], -v[99:100]
	buffer_store_dword v69, off, s[20:23], 0 ; 4-byte Folded Spill
	s_nop 0
	buffer_store_dword v70, off, s[20:23], 0 offset:4 ; 4-byte Folded Spill
	buffer_store_dword v71, off, s[20:23], 0 offset:8 ; 4-byte Folded Spill
	;; [unrolled: 1-line block ×3, first 2 shown]
	ds_read2_b64 v[99:102], v125 offset0:70 offset1:71
	s_waitcnt lgkmcnt(0)
	v_mul_f64 v[103:104], v[101:102], v[105:106]
	v_fma_f64 v[103:104], v[99:100], v[97:98], -v[103:104]
	v_mul_f64 v[99:100], v[99:100], v[105:106]
	v_add_f64 v[65:66], v[65:66], -v[103:104]
	v_fma_f64 v[99:100], v[101:102], v[97:98], v[99:100]
	v_add_f64 v[67:68], v[67:68], -v[99:100]
	ds_read2_b64 v[99:102], v125 offset0:72 offset1:73
	s_waitcnt lgkmcnt(0)
	v_mul_f64 v[103:104], v[101:102], v[105:106]
	v_fma_f64 v[103:104], v[99:100], v[97:98], -v[103:104]
	v_mul_f64 v[99:100], v[99:100], v[105:106]
	v_add_f64 v[61:62], v[61:62], -v[103:104]
	v_fma_f64 v[99:100], v[101:102], v[97:98], v[99:100]
	v_add_f64 v[63:64], v[63:64], -v[99:100]
	;; [unrolled: 8-line block ×17, first 2 shown]
	ds_read2_b64 v[99:102], v125 offset0:104 offset1:105
	s_waitcnt lgkmcnt(0)
	v_mul_f64 v[103:104], v[101:102], v[105:106]
	v_fma_f64 v[103:104], v[99:100], v[97:98], -v[103:104]
	v_mul_f64 v[99:100], v[99:100], v[105:106]
	v_add_f64 v[73:74], v[73:74], -v[103:104]
	v_fma_f64 v[99:100], v[101:102], v[97:98], v[99:100]
	v_mov_b32_e32 v104, v98
	v_mov_b32_e32 v103, v97
	buffer_store_dword v103, off, s[20:23], 0 offset:256 ; 4-byte Folded Spill
	s_nop 0
	buffer_store_dword v104, off, s[20:23], 0 offset:260 ; 4-byte Folded Spill
	buffer_store_dword v105, off, s[20:23], 0 offset:264 ; 4-byte Folded Spill
	;; [unrolled: 1-line block ×3, first 2 shown]
	v_add_f64 v[75:76], v[75:76], -v[99:100]
.LBB105_127:
	s_or_b64 exec, exec, s[2:3]
	v_cmp_eq_u32_e32 vcc, 14, v0
	s_waitcnt vmcnt(0)
	s_barrier
	s_and_saveexec_b64 s[4:5], vcc
	s_cbranch_execz .LBB105_134
; %bb.128:
	buffer_load_dword v69, off, s[20:23], 0 offset:240 ; 4-byte Folded Reload
	buffer_load_dword v70, off, s[20:23], 0 offset:244 ; 4-byte Folded Reload
	;; [unrolled: 1-line block ×4, first 2 shown]
	s_waitcnt vmcnt(0)
	ds_write2_b64 v127, v[69:70], v[71:72] offset1:1
	buffer_load_dword v69, off, s[20:23], 0 offset:224 ; 4-byte Folded Reload
	buffer_load_dword v70, off, s[20:23], 0 offset:228 ; 4-byte Folded Reload
	buffer_load_dword v71, off, s[20:23], 0 offset:232 ; 4-byte Folded Reload
	buffer_load_dword v72, off, s[20:23], 0 offset:236 ; 4-byte Folded Reload
	s_waitcnt vmcnt(0)
	ds_write2_b64 v125, v[69:70], v[71:72] offset0:30 offset1:31
	buffer_load_dword v69, off, s[20:23], 0 offset:208 ; 4-byte Folded Reload
	buffer_load_dword v70, off, s[20:23], 0 offset:212 ; 4-byte Folded Reload
	buffer_load_dword v71, off, s[20:23], 0 offset:216 ; 4-byte Folded Reload
	buffer_load_dword v72, off, s[20:23], 0 offset:220 ; 4-byte Folded Reload
	s_waitcnt vmcnt(0)
	ds_write2_b64 v125, v[69:70], v[71:72] offset0:32 offset1:33
	;; [unrolled: 6-line block ×12, first 2 shown]
	ds_write2_b64 v125, v[117:118], v[119:120] offset0:54 offset1:55
	ds_write2_b64 v125, v[121:122], v[123:124] offset0:56 offset1:57
	;; [unrolled: 1-line block ×5, first 2 shown]
	buffer_load_dword v77, off, s[20:23], 0 offset:32 ; 4-byte Folded Reload
	buffer_load_dword v78, off, s[20:23], 0 offset:36 ; 4-byte Folded Reload
	;; [unrolled: 1-line block ×4, first 2 shown]
	v_mov_b32_e32 v69, v73
	v_mov_b32_e32 v70, v74
	;; [unrolled: 1-line block ×4, first 2 shown]
	s_waitcnt vmcnt(0)
	ds_write2_b64 v125, v[77:78], v[79:80] offset0:64 offset1:65
	buffer_load_dword v73, off, s[20:23], 0 offset:16 ; 4-byte Folded Reload
	buffer_load_dword v74, off, s[20:23], 0 offset:20 ; 4-byte Folded Reload
	;; [unrolled: 1-line block ×4, first 2 shown]
	s_waitcnt vmcnt(0)
	ds_write2_b64 v125, v[73:74], v[75:76] offset0:66 offset1:67
	v_mov_b32_e32 v76, v72
	v_mov_b32_e32 v75, v71
	;; [unrolled: 1-line block ×4, first 2 shown]
	buffer_load_dword v69, off, s[20:23], 0 ; 4-byte Folded Reload
	buffer_load_dword v70, off, s[20:23], 0 offset:4 ; 4-byte Folded Reload
	buffer_load_dword v71, off, s[20:23], 0 offset:8 ; 4-byte Folded Reload
	buffer_load_dword v72, off, s[20:23], 0 offset:12 ; 4-byte Folded Reload
	s_waitcnt vmcnt(0)
	ds_write2_b64 v125, v[69:70], v[71:72] offset0:68 offset1:69
	ds_write2_b64 v125, v[65:66], v[67:68] offset0:70 offset1:71
	;; [unrolled: 1-line block ×19, first 2 shown]
	ds_read2_b64 v[97:100], v127 offset1:1
	s_waitcnt lgkmcnt(0)
	v_cmp_neq_f64_e32 vcc, 0, v[97:98]
	v_cmp_neq_f64_e64 s[2:3], 0, v[99:100]
	s_or_b64 s[2:3], vcc, s[2:3]
	s_and_b64 exec, exec, s[2:3]
	s_cbranch_execz .LBB105_134
; %bb.129:
	v_cmp_ngt_f64_e64 s[2:3], |v[97:98]|, |v[99:100]|
                                        ; implicit-def: $vgpr101_vgpr102
	s_and_saveexec_b64 s[6:7], s[2:3]
	s_xor_b64 s[2:3], exec, s[6:7]
                                        ; implicit-def: $vgpr103_vgpr104
	s_cbranch_execz .LBB105_131
; %bb.130:
	v_div_scale_f64 v[101:102], s[6:7], v[99:100], v[99:100], v[97:98]
	v_rcp_f64_e32 v[103:104], v[101:102]
	v_fma_f64 v[105:106], -v[101:102], v[103:104], 1.0
	v_fma_f64 v[103:104], v[103:104], v[105:106], v[103:104]
	v_div_scale_f64 v[105:106], vcc, v[97:98], v[99:100], v[97:98]
	v_fma_f64 v[107:108], -v[101:102], v[103:104], 1.0
	v_fma_f64 v[103:104], v[103:104], v[107:108], v[103:104]
	v_mul_f64 v[107:108], v[105:106], v[103:104]
	v_fma_f64 v[101:102], -v[101:102], v[107:108], v[105:106]
	v_div_fmas_f64 v[101:102], v[101:102], v[103:104], v[107:108]
	v_div_fixup_f64 v[101:102], v[101:102], v[99:100], v[97:98]
	v_fma_f64 v[97:98], v[97:98], v[101:102], v[99:100]
	v_div_scale_f64 v[99:100], s[6:7], v[97:98], v[97:98], 1.0
	v_div_scale_f64 v[107:108], vcc, 1.0, v[97:98], 1.0
	v_rcp_f64_e32 v[103:104], v[99:100]
	v_fma_f64 v[105:106], -v[99:100], v[103:104], 1.0
	v_fma_f64 v[103:104], v[103:104], v[105:106], v[103:104]
	v_fma_f64 v[105:106], -v[99:100], v[103:104], 1.0
	v_fma_f64 v[103:104], v[103:104], v[105:106], v[103:104]
	v_mul_f64 v[105:106], v[107:108], v[103:104]
	v_fma_f64 v[99:100], -v[99:100], v[105:106], v[107:108]
	v_div_fmas_f64 v[99:100], v[99:100], v[103:104], v[105:106]
	v_div_fixup_f64 v[103:104], v[99:100], v[97:98], 1.0
                                        ; implicit-def: $vgpr97_vgpr98
	v_mul_f64 v[101:102], v[101:102], v[103:104]
	v_xor_b32_e32 v104, 0x80000000, v104
.LBB105_131:
	s_andn2_saveexec_b64 s[2:3], s[2:3]
	s_cbranch_execz .LBB105_133
; %bb.132:
	v_div_scale_f64 v[101:102], s[6:7], v[97:98], v[97:98], v[99:100]
	v_rcp_f64_e32 v[103:104], v[101:102]
	v_fma_f64 v[105:106], -v[101:102], v[103:104], 1.0
	v_fma_f64 v[103:104], v[103:104], v[105:106], v[103:104]
	v_div_scale_f64 v[105:106], vcc, v[99:100], v[97:98], v[99:100]
	v_fma_f64 v[107:108], -v[101:102], v[103:104], 1.0
	v_fma_f64 v[103:104], v[103:104], v[107:108], v[103:104]
	v_mul_f64 v[107:108], v[105:106], v[103:104]
	v_fma_f64 v[101:102], -v[101:102], v[107:108], v[105:106]
	v_div_fmas_f64 v[101:102], v[101:102], v[103:104], v[107:108]
	v_div_fixup_f64 v[103:104], v[101:102], v[97:98], v[99:100]
	v_fma_f64 v[97:98], v[99:100], v[103:104], v[97:98]
	v_div_scale_f64 v[99:100], s[6:7], v[97:98], v[97:98], 1.0
	v_div_scale_f64 v[107:108], vcc, 1.0, v[97:98], 1.0
	v_rcp_f64_e32 v[101:102], v[99:100]
	v_fma_f64 v[105:106], -v[99:100], v[101:102], 1.0
	v_fma_f64 v[101:102], v[101:102], v[105:106], v[101:102]
	v_fma_f64 v[105:106], -v[99:100], v[101:102], 1.0
	v_fma_f64 v[101:102], v[101:102], v[105:106], v[101:102]
	v_mul_f64 v[105:106], v[107:108], v[101:102]
	v_fma_f64 v[99:100], -v[99:100], v[105:106], v[107:108]
	v_div_fmas_f64 v[99:100], v[99:100], v[101:102], v[105:106]
	v_div_fixup_f64 v[101:102], v[99:100], v[97:98], 1.0
	v_mul_f64 v[103:104], v[103:104], -v[101:102]
.LBB105_133:
	s_or_b64 exec, exec, s[2:3]
	ds_write2_b64 v127, v[101:102], v[103:104] offset1:1
.LBB105_134:
	s_or_b64 exec, exec, s[4:5]
	s_waitcnt lgkmcnt(0)
	s_barrier
	ds_read2_b64 v[69:72], v127 offset1:1
	v_cmp_lt_u32_e32 vcc, 14, v0
	s_waitcnt lgkmcnt(0)
	buffer_store_dword v69, off, s[20:23], 0 offset:1120 ; 4-byte Folded Spill
	s_nop 0
	buffer_store_dword v70, off, s[20:23], 0 offset:1124 ; 4-byte Folded Spill
	buffer_store_dword v71, off, s[20:23], 0 offset:1128 ; 4-byte Folded Spill
	;; [unrolled: 1-line block ×3, first 2 shown]
	s_and_saveexec_b64 s[2:3], vcc
	s_cbranch_execz .LBB105_136
; %bb.135:
	buffer_load_dword v103, off, s[20:23], 0 offset:240 ; 4-byte Folded Reload
	buffer_load_dword v104, off, s[20:23], 0 offset:244 ; 4-byte Folded Reload
	;; [unrolled: 1-line block ×8, first 2 shown]
	s_waitcnt vmcnt(2)
	v_mul_f64 v[99:100], v[69:70], v[105:106]
	s_waitcnt vmcnt(0)
	v_mul_f64 v[97:98], v[71:72], v[105:106]
	v_fma_f64 v[105:106], v[71:72], v[103:104], v[99:100]
	ds_read2_b64 v[99:102], v125 offset0:30 offset1:31
	v_fma_f64 v[97:98], v[69:70], v[103:104], -v[97:98]
	buffer_load_dword v69, off, s[20:23], 0 offset:224 ; 4-byte Folded Reload
	buffer_load_dword v70, off, s[20:23], 0 offset:228 ; 4-byte Folded Reload
	buffer_load_dword v71, off, s[20:23], 0 offset:232 ; 4-byte Folded Reload
	buffer_load_dword v72, off, s[20:23], 0 offset:236 ; 4-byte Folded Reload
	s_waitcnt lgkmcnt(0)
	v_mul_f64 v[103:104], v[101:102], v[105:106]
	v_fma_f64 v[103:104], v[99:100], v[97:98], -v[103:104]
	v_mul_f64 v[99:100], v[99:100], v[105:106]
	v_fma_f64 v[99:100], v[101:102], v[97:98], v[99:100]
	s_waitcnt vmcnt(2)
	v_add_f64 v[69:70], v[69:70], -v[103:104]
	s_waitcnt vmcnt(0)
	v_add_f64 v[71:72], v[71:72], -v[99:100]
	buffer_store_dword v69, off, s[20:23], 0 offset:224 ; 4-byte Folded Spill
	s_nop 0
	buffer_store_dword v70, off, s[20:23], 0 offset:228 ; 4-byte Folded Spill
	buffer_store_dword v71, off, s[20:23], 0 offset:232 ; 4-byte Folded Spill
	buffer_store_dword v72, off, s[20:23], 0 offset:236 ; 4-byte Folded Spill
	ds_read2_b64 v[99:102], v125 offset0:32 offset1:33
	buffer_load_dword v69, off, s[20:23], 0 offset:208 ; 4-byte Folded Reload
	buffer_load_dword v70, off, s[20:23], 0 offset:212 ; 4-byte Folded Reload
	buffer_load_dword v71, off, s[20:23], 0 offset:216 ; 4-byte Folded Reload
	buffer_load_dword v72, off, s[20:23], 0 offset:220 ; 4-byte Folded Reload
	s_waitcnt lgkmcnt(0)
	v_mul_f64 v[103:104], v[101:102], v[105:106]
	v_fma_f64 v[103:104], v[99:100], v[97:98], -v[103:104]
	v_mul_f64 v[99:100], v[99:100], v[105:106]
	v_fma_f64 v[99:100], v[101:102], v[97:98], v[99:100]
	s_waitcnt vmcnt(2)
	v_add_f64 v[69:70], v[69:70], -v[103:104]
	s_waitcnt vmcnt(0)
	v_add_f64 v[71:72], v[71:72], -v[99:100]
	buffer_store_dword v69, off, s[20:23], 0 offset:208 ; 4-byte Folded Spill
	s_nop 0
	buffer_store_dword v70, off, s[20:23], 0 offset:212 ; 4-byte Folded Spill
	buffer_store_dword v71, off, s[20:23], 0 offset:216 ; 4-byte Folded Spill
	buffer_store_dword v72, off, s[20:23], 0 offset:220 ; 4-byte Folded Spill
	ds_read2_b64 v[99:102], v125 offset0:34 offset1:35
	buffer_load_dword v69, off, s[20:23], 0 offset:192 ; 4-byte Folded Reload
	buffer_load_dword v70, off, s[20:23], 0 offset:196 ; 4-byte Folded Reload
	buffer_load_dword v71, off, s[20:23], 0 offset:200 ; 4-byte Folded Reload
	buffer_load_dword v72, off, s[20:23], 0 offset:204 ; 4-byte Folded Reload
	s_waitcnt lgkmcnt(0)
	v_mul_f64 v[103:104], v[101:102], v[105:106]
	v_fma_f64 v[103:104], v[99:100], v[97:98], -v[103:104]
	v_mul_f64 v[99:100], v[99:100], v[105:106]
	v_fma_f64 v[99:100], v[101:102], v[97:98], v[99:100]
	s_waitcnt vmcnt(2)
	v_add_f64 v[69:70], v[69:70], -v[103:104]
	s_waitcnt vmcnt(0)
	v_add_f64 v[71:72], v[71:72], -v[99:100]
	buffer_store_dword v69, off, s[20:23], 0 offset:192 ; 4-byte Folded Spill
	s_nop 0
	buffer_store_dword v70, off, s[20:23], 0 offset:196 ; 4-byte Folded Spill
	buffer_store_dword v71, off, s[20:23], 0 offset:200 ; 4-byte Folded Spill
	buffer_store_dword v72, off, s[20:23], 0 offset:204 ; 4-byte Folded Spill
	ds_read2_b64 v[99:102], v125 offset0:36 offset1:37
	buffer_load_dword v69, off, s[20:23], 0 offset:176 ; 4-byte Folded Reload
	buffer_load_dword v70, off, s[20:23], 0 offset:180 ; 4-byte Folded Reload
	buffer_load_dword v71, off, s[20:23], 0 offset:184 ; 4-byte Folded Reload
	buffer_load_dword v72, off, s[20:23], 0 offset:188 ; 4-byte Folded Reload
	s_waitcnt lgkmcnt(0)
	v_mul_f64 v[103:104], v[101:102], v[105:106]
	v_fma_f64 v[103:104], v[99:100], v[97:98], -v[103:104]
	v_mul_f64 v[99:100], v[99:100], v[105:106]
	v_fma_f64 v[99:100], v[101:102], v[97:98], v[99:100]
	s_waitcnt vmcnt(2)
	v_add_f64 v[69:70], v[69:70], -v[103:104]
	s_waitcnt vmcnt(0)
	v_add_f64 v[71:72], v[71:72], -v[99:100]
	buffer_store_dword v69, off, s[20:23], 0 offset:176 ; 4-byte Folded Spill
	s_nop 0
	buffer_store_dword v70, off, s[20:23], 0 offset:180 ; 4-byte Folded Spill
	buffer_store_dword v71, off, s[20:23], 0 offset:184 ; 4-byte Folded Spill
	buffer_store_dword v72, off, s[20:23], 0 offset:188 ; 4-byte Folded Spill
	ds_read2_b64 v[99:102], v125 offset0:38 offset1:39
	buffer_load_dword v69, off, s[20:23], 0 offset:160 ; 4-byte Folded Reload
	buffer_load_dword v70, off, s[20:23], 0 offset:164 ; 4-byte Folded Reload
	buffer_load_dword v71, off, s[20:23], 0 offset:168 ; 4-byte Folded Reload
	buffer_load_dword v72, off, s[20:23], 0 offset:172 ; 4-byte Folded Reload
	s_waitcnt lgkmcnt(0)
	v_mul_f64 v[103:104], v[101:102], v[105:106]
	v_fma_f64 v[103:104], v[99:100], v[97:98], -v[103:104]
	v_mul_f64 v[99:100], v[99:100], v[105:106]
	v_fma_f64 v[99:100], v[101:102], v[97:98], v[99:100]
	s_waitcnt vmcnt(2)
	v_add_f64 v[69:70], v[69:70], -v[103:104]
	s_waitcnt vmcnt(0)
	v_add_f64 v[71:72], v[71:72], -v[99:100]
	buffer_store_dword v69, off, s[20:23], 0 offset:160 ; 4-byte Folded Spill
	s_nop 0
	buffer_store_dword v70, off, s[20:23], 0 offset:164 ; 4-byte Folded Spill
	buffer_store_dword v71, off, s[20:23], 0 offset:168 ; 4-byte Folded Spill
	buffer_store_dword v72, off, s[20:23], 0 offset:172 ; 4-byte Folded Spill
	ds_read2_b64 v[99:102], v125 offset0:40 offset1:41
	buffer_load_dword v69, off, s[20:23], 0 offset:144 ; 4-byte Folded Reload
	buffer_load_dword v70, off, s[20:23], 0 offset:148 ; 4-byte Folded Reload
	buffer_load_dword v71, off, s[20:23], 0 offset:152 ; 4-byte Folded Reload
	buffer_load_dword v72, off, s[20:23], 0 offset:156 ; 4-byte Folded Reload
	s_waitcnt lgkmcnt(0)
	v_mul_f64 v[103:104], v[101:102], v[105:106]
	v_fma_f64 v[103:104], v[99:100], v[97:98], -v[103:104]
	v_mul_f64 v[99:100], v[99:100], v[105:106]
	v_fma_f64 v[99:100], v[101:102], v[97:98], v[99:100]
	s_waitcnt vmcnt(2)
	v_add_f64 v[69:70], v[69:70], -v[103:104]
	s_waitcnt vmcnt(0)
	v_add_f64 v[71:72], v[71:72], -v[99:100]
	buffer_store_dword v69, off, s[20:23], 0 offset:144 ; 4-byte Folded Spill
	s_nop 0
	buffer_store_dword v70, off, s[20:23], 0 offset:148 ; 4-byte Folded Spill
	buffer_store_dword v71, off, s[20:23], 0 offset:152 ; 4-byte Folded Spill
	buffer_store_dword v72, off, s[20:23], 0 offset:156 ; 4-byte Folded Spill
	ds_read2_b64 v[99:102], v125 offset0:42 offset1:43
	buffer_load_dword v69, off, s[20:23], 0 offset:128 ; 4-byte Folded Reload
	buffer_load_dword v70, off, s[20:23], 0 offset:132 ; 4-byte Folded Reload
	buffer_load_dword v71, off, s[20:23], 0 offset:136 ; 4-byte Folded Reload
	buffer_load_dword v72, off, s[20:23], 0 offset:140 ; 4-byte Folded Reload
	s_waitcnt lgkmcnt(0)
	v_mul_f64 v[103:104], v[101:102], v[105:106]
	v_fma_f64 v[103:104], v[99:100], v[97:98], -v[103:104]
	v_mul_f64 v[99:100], v[99:100], v[105:106]
	v_fma_f64 v[99:100], v[101:102], v[97:98], v[99:100]
	s_waitcnt vmcnt(2)
	v_add_f64 v[69:70], v[69:70], -v[103:104]
	s_waitcnt vmcnt(0)
	v_add_f64 v[71:72], v[71:72], -v[99:100]
	buffer_store_dword v69, off, s[20:23], 0 offset:128 ; 4-byte Folded Spill
	s_nop 0
	buffer_store_dword v70, off, s[20:23], 0 offset:132 ; 4-byte Folded Spill
	buffer_store_dword v71, off, s[20:23], 0 offset:136 ; 4-byte Folded Spill
	buffer_store_dword v72, off, s[20:23], 0 offset:140 ; 4-byte Folded Spill
	ds_read2_b64 v[99:102], v125 offset0:44 offset1:45
	buffer_load_dword v69, off, s[20:23], 0 offset:112 ; 4-byte Folded Reload
	buffer_load_dword v70, off, s[20:23], 0 offset:116 ; 4-byte Folded Reload
	buffer_load_dword v71, off, s[20:23], 0 offset:120 ; 4-byte Folded Reload
	buffer_load_dword v72, off, s[20:23], 0 offset:124 ; 4-byte Folded Reload
	s_waitcnt lgkmcnt(0)
	v_mul_f64 v[103:104], v[101:102], v[105:106]
	v_fma_f64 v[103:104], v[99:100], v[97:98], -v[103:104]
	v_mul_f64 v[99:100], v[99:100], v[105:106]
	v_fma_f64 v[99:100], v[101:102], v[97:98], v[99:100]
	s_waitcnt vmcnt(2)
	v_add_f64 v[69:70], v[69:70], -v[103:104]
	s_waitcnt vmcnt(0)
	v_add_f64 v[71:72], v[71:72], -v[99:100]
	buffer_store_dword v69, off, s[20:23], 0 offset:112 ; 4-byte Folded Spill
	s_nop 0
	buffer_store_dword v70, off, s[20:23], 0 offset:116 ; 4-byte Folded Spill
	buffer_store_dword v71, off, s[20:23], 0 offset:120 ; 4-byte Folded Spill
	buffer_store_dword v72, off, s[20:23], 0 offset:124 ; 4-byte Folded Spill
	ds_read2_b64 v[99:102], v125 offset0:46 offset1:47
	buffer_load_dword v69, off, s[20:23], 0 offset:96 ; 4-byte Folded Reload
	buffer_load_dword v70, off, s[20:23], 0 offset:100 ; 4-byte Folded Reload
	buffer_load_dword v71, off, s[20:23], 0 offset:104 ; 4-byte Folded Reload
	buffer_load_dword v72, off, s[20:23], 0 offset:108 ; 4-byte Folded Reload
	s_waitcnt lgkmcnt(0)
	v_mul_f64 v[103:104], v[101:102], v[105:106]
	v_fma_f64 v[103:104], v[99:100], v[97:98], -v[103:104]
	v_mul_f64 v[99:100], v[99:100], v[105:106]
	v_fma_f64 v[99:100], v[101:102], v[97:98], v[99:100]
	s_waitcnt vmcnt(2)
	v_add_f64 v[69:70], v[69:70], -v[103:104]
	s_waitcnt vmcnt(0)
	v_add_f64 v[71:72], v[71:72], -v[99:100]
	buffer_store_dword v69, off, s[20:23], 0 offset:96 ; 4-byte Folded Spill
	s_nop 0
	buffer_store_dword v70, off, s[20:23], 0 offset:100 ; 4-byte Folded Spill
	buffer_store_dword v71, off, s[20:23], 0 offset:104 ; 4-byte Folded Spill
	buffer_store_dword v72, off, s[20:23], 0 offset:108 ; 4-byte Folded Spill
	ds_read2_b64 v[99:102], v125 offset0:48 offset1:49
	buffer_load_dword v69, off, s[20:23], 0 offset:80 ; 4-byte Folded Reload
	buffer_load_dword v70, off, s[20:23], 0 offset:84 ; 4-byte Folded Reload
	buffer_load_dword v71, off, s[20:23], 0 offset:88 ; 4-byte Folded Reload
	buffer_load_dword v72, off, s[20:23], 0 offset:92 ; 4-byte Folded Reload
	s_waitcnt lgkmcnt(0)
	v_mul_f64 v[103:104], v[101:102], v[105:106]
	v_fma_f64 v[103:104], v[99:100], v[97:98], -v[103:104]
	v_mul_f64 v[99:100], v[99:100], v[105:106]
	v_fma_f64 v[99:100], v[101:102], v[97:98], v[99:100]
	s_waitcnt vmcnt(2)
	v_add_f64 v[69:70], v[69:70], -v[103:104]
	s_waitcnt vmcnt(0)
	v_add_f64 v[71:72], v[71:72], -v[99:100]
	buffer_store_dword v69, off, s[20:23], 0 offset:80 ; 4-byte Folded Spill
	s_nop 0
	buffer_store_dword v70, off, s[20:23], 0 offset:84 ; 4-byte Folded Spill
	buffer_store_dword v71, off, s[20:23], 0 offset:88 ; 4-byte Folded Spill
	buffer_store_dword v72, off, s[20:23], 0 offset:92 ; 4-byte Folded Spill
	ds_read2_b64 v[99:102], v125 offset0:50 offset1:51
	buffer_load_dword v69, off, s[20:23], 0 offset:64 ; 4-byte Folded Reload
	buffer_load_dword v70, off, s[20:23], 0 offset:68 ; 4-byte Folded Reload
	buffer_load_dword v71, off, s[20:23], 0 offset:72 ; 4-byte Folded Reload
	buffer_load_dword v72, off, s[20:23], 0 offset:76 ; 4-byte Folded Reload
	s_waitcnt lgkmcnt(0)
	v_mul_f64 v[103:104], v[101:102], v[105:106]
	v_fma_f64 v[103:104], v[99:100], v[97:98], -v[103:104]
	v_mul_f64 v[99:100], v[99:100], v[105:106]
	v_fma_f64 v[99:100], v[101:102], v[97:98], v[99:100]
	s_waitcnt vmcnt(2)
	v_add_f64 v[69:70], v[69:70], -v[103:104]
	s_waitcnt vmcnt(0)
	v_add_f64 v[71:72], v[71:72], -v[99:100]
	buffer_store_dword v69, off, s[20:23], 0 offset:64 ; 4-byte Folded Spill
	s_nop 0
	buffer_store_dword v70, off, s[20:23], 0 offset:68 ; 4-byte Folded Spill
	buffer_store_dword v71, off, s[20:23], 0 offset:72 ; 4-byte Folded Spill
	buffer_store_dword v72, off, s[20:23], 0 offset:76 ; 4-byte Folded Spill
	ds_read2_b64 v[99:102], v125 offset0:52 offset1:53
	buffer_load_dword v69, off, s[20:23], 0 offset:48 ; 4-byte Folded Reload
	buffer_load_dword v70, off, s[20:23], 0 offset:52 ; 4-byte Folded Reload
	buffer_load_dword v71, off, s[20:23], 0 offset:56 ; 4-byte Folded Reload
	buffer_load_dword v72, off, s[20:23], 0 offset:60 ; 4-byte Folded Reload
	s_waitcnt lgkmcnt(0)
	v_mul_f64 v[103:104], v[101:102], v[105:106]
	v_fma_f64 v[103:104], v[99:100], v[97:98], -v[103:104]
	v_mul_f64 v[99:100], v[99:100], v[105:106]
	v_fma_f64 v[99:100], v[101:102], v[97:98], v[99:100]
	s_waitcnt vmcnt(2)
	v_add_f64 v[69:70], v[69:70], -v[103:104]
	s_waitcnt vmcnt(0)
	v_add_f64 v[71:72], v[71:72], -v[99:100]
	buffer_store_dword v69, off, s[20:23], 0 offset:48 ; 4-byte Folded Spill
	s_nop 0
	buffer_store_dword v70, off, s[20:23], 0 offset:52 ; 4-byte Folded Spill
	buffer_store_dword v71, off, s[20:23], 0 offset:56 ; 4-byte Folded Spill
	buffer_store_dword v72, off, s[20:23], 0 offset:60 ; 4-byte Folded Spill
	ds_read2_b64 v[99:102], v125 offset0:54 offset1:55
	v_mov_b32_e32 v69, v73
	v_mov_b32_e32 v70, v74
	;; [unrolled: 1-line block ×4, first 2 shown]
	s_waitcnt lgkmcnt(0)
	v_mul_f64 v[103:104], v[101:102], v[105:106]
	v_fma_f64 v[103:104], v[99:100], v[97:98], -v[103:104]
	v_mul_f64 v[99:100], v[99:100], v[105:106]
	v_add_f64 v[117:118], v[117:118], -v[103:104]
	v_fma_f64 v[99:100], v[101:102], v[97:98], v[99:100]
	v_add_f64 v[119:120], v[119:120], -v[99:100]
	ds_read2_b64 v[99:102], v125 offset0:56 offset1:57
	s_waitcnt lgkmcnt(0)
	v_mul_f64 v[103:104], v[101:102], v[105:106]
	v_fma_f64 v[103:104], v[99:100], v[97:98], -v[103:104]
	v_mul_f64 v[99:100], v[99:100], v[105:106]
	v_add_f64 v[121:122], v[121:122], -v[103:104]
	v_fma_f64 v[99:100], v[101:102], v[97:98], v[99:100]
	v_add_f64 v[123:124], v[123:124], -v[99:100]
	ds_read2_b64 v[99:102], v125 offset0:58 offset1:59
	;; [unrolled: 8-line block ×5, first 2 shown]
	buffer_load_dword v77, off, s[20:23], 0 offset:32 ; 4-byte Folded Reload
	buffer_load_dword v78, off, s[20:23], 0 offset:36 ; 4-byte Folded Reload
	;; [unrolled: 1-line block ×4, first 2 shown]
	s_waitcnt lgkmcnt(0)
	v_mul_f64 v[103:104], v[101:102], v[105:106]
	v_fma_f64 v[103:104], v[99:100], v[97:98], -v[103:104]
	v_mul_f64 v[99:100], v[99:100], v[105:106]
	v_fma_f64 v[99:100], v[101:102], v[97:98], v[99:100]
	s_waitcnt vmcnt(2)
	v_add_f64 v[77:78], v[77:78], -v[103:104]
	s_waitcnt vmcnt(0)
	v_add_f64 v[79:80], v[79:80], -v[99:100]
	buffer_store_dword v77, off, s[20:23], 0 offset:32 ; 4-byte Folded Spill
	s_nop 0
	buffer_store_dword v78, off, s[20:23], 0 offset:36 ; 4-byte Folded Spill
	buffer_store_dword v79, off, s[20:23], 0 offset:40 ; 4-byte Folded Spill
	;; [unrolled: 1-line block ×3, first 2 shown]
	ds_read2_b64 v[99:102], v125 offset0:66 offset1:67
	buffer_load_dword v73, off, s[20:23], 0 offset:16 ; 4-byte Folded Reload
	buffer_load_dword v74, off, s[20:23], 0 offset:20 ; 4-byte Folded Reload
	;; [unrolled: 1-line block ×4, first 2 shown]
	s_waitcnt lgkmcnt(0)
	v_mul_f64 v[103:104], v[101:102], v[105:106]
	v_fma_f64 v[103:104], v[99:100], v[97:98], -v[103:104]
	v_mul_f64 v[99:100], v[99:100], v[105:106]
	v_fma_f64 v[99:100], v[101:102], v[97:98], v[99:100]
	s_waitcnt vmcnt(2)
	v_add_f64 v[73:74], v[73:74], -v[103:104]
	s_waitcnt vmcnt(0)
	v_add_f64 v[75:76], v[75:76], -v[99:100]
	buffer_store_dword v73, off, s[20:23], 0 offset:16 ; 4-byte Folded Spill
	s_nop 0
	buffer_store_dword v74, off, s[20:23], 0 offset:20 ; 4-byte Folded Spill
	buffer_store_dword v75, off, s[20:23], 0 offset:24 ; 4-byte Folded Spill
	;; [unrolled: 1-line block ×3, first 2 shown]
	v_mov_b32_e32 v76, v72
	v_mov_b32_e32 v75, v71
	;; [unrolled: 1-line block ×4, first 2 shown]
	ds_read2_b64 v[99:102], v125 offset0:68 offset1:69
	buffer_load_dword v69, off, s[20:23], 0 ; 4-byte Folded Reload
	buffer_load_dword v70, off, s[20:23], 0 offset:4 ; 4-byte Folded Reload
	buffer_load_dword v71, off, s[20:23], 0 offset:8 ; 4-byte Folded Reload
	;; [unrolled: 1-line block ×3, first 2 shown]
	s_waitcnt lgkmcnt(0)
	v_mul_f64 v[103:104], v[101:102], v[105:106]
	v_fma_f64 v[103:104], v[99:100], v[97:98], -v[103:104]
	v_mul_f64 v[99:100], v[99:100], v[105:106]
	v_fma_f64 v[99:100], v[101:102], v[97:98], v[99:100]
	s_waitcnt vmcnt(2)
	v_add_f64 v[69:70], v[69:70], -v[103:104]
	s_waitcnt vmcnt(0)
	v_add_f64 v[71:72], v[71:72], -v[99:100]
	buffer_store_dword v69, off, s[20:23], 0 ; 4-byte Folded Spill
	s_nop 0
	buffer_store_dword v70, off, s[20:23], 0 offset:4 ; 4-byte Folded Spill
	buffer_store_dword v71, off, s[20:23], 0 offset:8 ; 4-byte Folded Spill
	;; [unrolled: 1-line block ×3, first 2 shown]
	ds_read2_b64 v[99:102], v125 offset0:70 offset1:71
	s_waitcnt lgkmcnt(0)
	v_mul_f64 v[103:104], v[101:102], v[105:106]
	v_fma_f64 v[103:104], v[99:100], v[97:98], -v[103:104]
	v_mul_f64 v[99:100], v[99:100], v[105:106]
	v_add_f64 v[65:66], v[65:66], -v[103:104]
	v_fma_f64 v[99:100], v[101:102], v[97:98], v[99:100]
	v_add_f64 v[67:68], v[67:68], -v[99:100]
	ds_read2_b64 v[99:102], v125 offset0:72 offset1:73
	s_waitcnt lgkmcnt(0)
	v_mul_f64 v[103:104], v[101:102], v[105:106]
	v_fma_f64 v[103:104], v[99:100], v[97:98], -v[103:104]
	v_mul_f64 v[99:100], v[99:100], v[105:106]
	v_add_f64 v[61:62], v[61:62], -v[103:104]
	v_fma_f64 v[99:100], v[101:102], v[97:98], v[99:100]
	v_add_f64 v[63:64], v[63:64], -v[99:100]
	;; [unrolled: 8-line block ×17, first 2 shown]
	ds_read2_b64 v[99:102], v125 offset0:104 offset1:105
	s_waitcnt lgkmcnt(0)
	v_mul_f64 v[103:104], v[101:102], v[105:106]
	v_fma_f64 v[103:104], v[99:100], v[97:98], -v[103:104]
	v_mul_f64 v[99:100], v[99:100], v[105:106]
	v_add_f64 v[73:74], v[73:74], -v[103:104]
	v_fma_f64 v[99:100], v[101:102], v[97:98], v[99:100]
	v_mov_b32_e32 v104, v98
	v_mov_b32_e32 v103, v97
	buffer_store_dword v103, off, s[20:23], 0 offset:240 ; 4-byte Folded Spill
	s_nop 0
	buffer_store_dword v104, off, s[20:23], 0 offset:244 ; 4-byte Folded Spill
	buffer_store_dword v105, off, s[20:23], 0 offset:248 ; 4-byte Folded Spill
	;; [unrolled: 1-line block ×3, first 2 shown]
	v_add_f64 v[75:76], v[75:76], -v[99:100]
.LBB105_136:
	s_or_b64 exec, exec, s[2:3]
	v_cmp_eq_u32_e32 vcc, 15, v0
	s_waitcnt vmcnt(0)
	s_barrier
	s_and_saveexec_b64 s[4:5], vcc
	s_cbranch_execz .LBB105_143
; %bb.137:
	buffer_load_dword v69, off, s[20:23], 0 offset:224 ; 4-byte Folded Reload
	buffer_load_dword v70, off, s[20:23], 0 offset:228 ; 4-byte Folded Reload
	;; [unrolled: 1-line block ×4, first 2 shown]
	s_waitcnt vmcnt(0)
	ds_write2_b64 v127, v[69:70], v[71:72] offset1:1
	buffer_load_dword v69, off, s[20:23], 0 offset:208 ; 4-byte Folded Reload
	buffer_load_dword v70, off, s[20:23], 0 offset:212 ; 4-byte Folded Reload
	buffer_load_dword v71, off, s[20:23], 0 offset:216 ; 4-byte Folded Reload
	buffer_load_dword v72, off, s[20:23], 0 offset:220 ; 4-byte Folded Reload
	s_waitcnt vmcnt(0)
	ds_write2_b64 v125, v[69:70], v[71:72] offset0:32 offset1:33
	buffer_load_dword v69, off, s[20:23], 0 offset:192 ; 4-byte Folded Reload
	buffer_load_dword v70, off, s[20:23], 0 offset:196 ; 4-byte Folded Reload
	buffer_load_dword v71, off, s[20:23], 0 offset:200 ; 4-byte Folded Reload
	buffer_load_dword v72, off, s[20:23], 0 offset:204 ; 4-byte Folded Reload
	s_waitcnt vmcnt(0)
	ds_write2_b64 v125, v[69:70], v[71:72] offset0:34 offset1:35
	;; [unrolled: 6-line block ×11, first 2 shown]
	ds_write2_b64 v125, v[117:118], v[119:120] offset0:54 offset1:55
	ds_write2_b64 v125, v[121:122], v[123:124] offset0:56 offset1:57
	;; [unrolled: 1-line block ×5, first 2 shown]
	buffer_load_dword v77, off, s[20:23], 0 offset:32 ; 4-byte Folded Reload
	buffer_load_dword v78, off, s[20:23], 0 offset:36 ; 4-byte Folded Reload
	;; [unrolled: 1-line block ×4, first 2 shown]
	v_mov_b32_e32 v69, v73
	v_mov_b32_e32 v70, v74
	;; [unrolled: 1-line block ×4, first 2 shown]
	s_waitcnt vmcnt(0)
	ds_write2_b64 v125, v[77:78], v[79:80] offset0:64 offset1:65
	buffer_load_dword v73, off, s[20:23], 0 offset:16 ; 4-byte Folded Reload
	buffer_load_dword v74, off, s[20:23], 0 offset:20 ; 4-byte Folded Reload
	;; [unrolled: 1-line block ×4, first 2 shown]
	s_waitcnt vmcnt(0)
	ds_write2_b64 v125, v[73:74], v[75:76] offset0:66 offset1:67
	v_mov_b32_e32 v76, v72
	v_mov_b32_e32 v75, v71
	;; [unrolled: 1-line block ×4, first 2 shown]
	buffer_load_dword v69, off, s[20:23], 0 ; 4-byte Folded Reload
	buffer_load_dword v70, off, s[20:23], 0 offset:4 ; 4-byte Folded Reload
	buffer_load_dword v71, off, s[20:23], 0 offset:8 ; 4-byte Folded Reload
	;; [unrolled: 1-line block ×3, first 2 shown]
	s_waitcnt vmcnt(0)
	ds_write2_b64 v125, v[69:70], v[71:72] offset0:68 offset1:69
	ds_write2_b64 v125, v[65:66], v[67:68] offset0:70 offset1:71
	;; [unrolled: 1-line block ×19, first 2 shown]
	ds_read2_b64 v[97:100], v127 offset1:1
	s_waitcnt lgkmcnt(0)
	v_cmp_neq_f64_e32 vcc, 0, v[97:98]
	v_cmp_neq_f64_e64 s[2:3], 0, v[99:100]
	s_or_b64 s[2:3], vcc, s[2:3]
	s_and_b64 exec, exec, s[2:3]
	s_cbranch_execz .LBB105_143
; %bb.138:
	v_cmp_ngt_f64_e64 s[2:3], |v[97:98]|, |v[99:100]|
                                        ; implicit-def: $vgpr101_vgpr102
	s_and_saveexec_b64 s[6:7], s[2:3]
	s_xor_b64 s[2:3], exec, s[6:7]
                                        ; implicit-def: $vgpr103_vgpr104
	s_cbranch_execz .LBB105_140
; %bb.139:
	v_div_scale_f64 v[101:102], s[6:7], v[99:100], v[99:100], v[97:98]
	v_rcp_f64_e32 v[103:104], v[101:102]
	v_fma_f64 v[105:106], -v[101:102], v[103:104], 1.0
	v_fma_f64 v[103:104], v[103:104], v[105:106], v[103:104]
	v_div_scale_f64 v[105:106], vcc, v[97:98], v[99:100], v[97:98]
	v_fma_f64 v[107:108], -v[101:102], v[103:104], 1.0
	v_fma_f64 v[103:104], v[103:104], v[107:108], v[103:104]
	v_mul_f64 v[107:108], v[105:106], v[103:104]
	v_fma_f64 v[101:102], -v[101:102], v[107:108], v[105:106]
	v_div_fmas_f64 v[101:102], v[101:102], v[103:104], v[107:108]
	v_div_fixup_f64 v[101:102], v[101:102], v[99:100], v[97:98]
	v_fma_f64 v[97:98], v[97:98], v[101:102], v[99:100]
	v_div_scale_f64 v[99:100], s[6:7], v[97:98], v[97:98], 1.0
	v_div_scale_f64 v[107:108], vcc, 1.0, v[97:98], 1.0
	v_rcp_f64_e32 v[103:104], v[99:100]
	v_fma_f64 v[105:106], -v[99:100], v[103:104], 1.0
	v_fma_f64 v[103:104], v[103:104], v[105:106], v[103:104]
	v_fma_f64 v[105:106], -v[99:100], v[103:104], 1.0
	v_fma_f64 v[103:104], v[103:104], v[105:106], v[103:104]
	v_mul_f64 v[105:106], v[107:108], v[103:104]
	v_fma_f64 v[99:100], -v[99:100], v[105:106], v[107:108]
	v_div_fmas_f64 v[99:100], v[99:100], v[103:104], v[105:106]
	v_div_fixup_f64 v[103:104], v[99:100], v[97:98], 1.0
                                        ; implicit-def: $vgpr97_vgpr98
	v_mul_f64 v[101:102], v[101:102], v[103:104]
	v_xor_b32_e32 v104, 0x80000000, v104
.LBB105_140:
	s_andn2_saveexec_b64 s[2:3], s[2:3]
	s_cbranch_execz .LBB105_142
; %bb.141:
	v_div_scale_f64 v[101:102], s[6:7], v[97:98], v[97:98], v[99:100]
	v_rcp_f64_e32 v[103:104], v[101:102]
	v_fma_f64 v[105:106], -v[101:102], v[103:104], 1.0
	v_fma_f64 v[103:104], v[103:104], v[105:106], v[103:104]
	v_div_scale_f64 v[105:106], vcc, v[99:100], v[97:98], v[99:100]
	v_fma_f64 v[107:108], -v[101:102], v[103:104], 1.0
	v_fma_f64 v[103:104], v[103:104], v[107:108], v[103:104]
	v_mul_f64 v[107:108], v[105:106], v[103:104]
	v_fma_f64 v[101:102], -v[101:102], v[107:108], v[105:106]
	v_div_fmas_f64 v[101:102], v[101:102], v[103:104], v[107:108]
	v_div_fixup_f64 v[103:104], v[101:102], v[97:98], v[99:100]
	v_fma_f64 v[97:98], v[99:100], v[103:104], v[97:98]
	v_div_scale_f64 v[99:100], s[6:7], v[97:98], v[97:98], 1.0
	v_div_scale_f64 v[107:108], vcc, 1.0, v[97:98], 1.0
	v_rcp_f64_e32 v[101:102], v[99:100]
	v_fma_f64 v[105:106], -v[99:100], v[101:102], 1.0
	v_fma_f64 v[101:102], v[101:102], v[105:106], v[101:102]
	v_fma_f64 v[105:106], -v[99:100], v[101:102], 1.0
	v_fma_f64 v[101:102], v[101:102], v[105:106], v[101:102]
	v_mul_f64 v[105:106], v[107:108], v[101:102]
	v_fma_f64 v[99:100], -v[99:100], v[105:106], v[107:108]
	v_div_fmas_f64 v[99:100], v[99:100], v[101:102], v[105:106]
	v_div_fixup_f64 v[101:102], v[99:100], v[97:98], 1.0
	v_mul_f64 v[103:104], v[103:104], -v[101:102]
.LBB105_142:
	s_or_b64 exec, exec, s[2:3]
	ds_write2_b64 v127, v[101:102], v[103:104] offset1:1
.LBB105_143:
	s_or_b64 exec, exec, s[4:5]
	s_waitcnt lgkmcnt(0)
	s_barrier
	ds_read2_b64 v[69:72], v127 offset1:1
	v_cmp_lt_u32_e32 vcc, 15, v0
	s_waitcnt lgkmcnt(0)
	buffer_store_dword v69, off, s[20:23], 0 offset:1136 ; 4-byte Folded Spill
	s_nop 0
	buffer_store_dword v70, off, s[20:23], 0 offset:1140 ; 4-byte Folded Spill
	buffer_store_dword v71, off, s[20:23], 0 offset:1144 ; 4-byte Folded Spill
	;; [unrolled: 1-line block ×3, first 2 shown]
	s_and_saveexec_b64 s[2:3], vcc
	s_cbranch_execz .LBB105_145
; %bb.144:
	buffer_load_dword v103, off, s[20:23], 0 offset:224 ; 4-byte Folded Reload
	buffer_load_dword v104, off, s[20:23], 0 offset:228 ; 4-byte Folded Reload
	;; [unrolled: 1-line block ×8, first 2 shown]
	s_waitcnt vmcnt(2)
	v_mul_f64 v[99:100], v[69:70], v[105:106]
	s_waitcnt vmcnt(0)
	v_mul_f64 v[97:98], v[71:72], v[105:106]
	v_fma_f64 v[105:106], v[71:72], v[103:104], v[99:100]
	ds_read2_b64 v[99:102], v125 offset0:32 offset1:33
	v_fma_f64 v[97:98], v[69:70], v[103:104], -v[97:98]
	buffer_load_dword v69, off, s[20:23], 0 offset:208 ; 4-byte Folded Reload
	buffer_load_dword v70, off, s[20:23], 0 offset:212 ; 4-byte Folded Reload
	buffer_load_dword v71, off, s[20:23], 0 offset:216 ; 4-byte Folded Reload
	buffer_load_dword v72, off, s[20:23], 0 offset:220 ; 4-byte Folded Reload
	s_waitcnt lgkmcnt(0)
	v_mul_f64 v[103:104], v[101:102], v[105:106]
	v_fma_f64 v[103:104], v[99:100], v[97:98], -v[103:104]
	v_mul_f64 v[99:100], v[99:100], v[105:106]
	v_fma_f64 v[99:100], v[101:102], v[97:98], v[99:100]
	s_waitcnt vmcnt(2)
	v_add_f64 v[69:70], v[69:70], -v[103:104]
	s_waitcnt vmcnt(0)
	v_add_f64 v[71:72], v[71:72], -v[99:100]
	buffer_store_dword v69, off, s[20:23], 0 offset:208 ; 4-byte Folded Spill
	s_nop 0
	buffer_store_dword v70, off, s[20:23], 0 offset:212 ; 4-byte Folded Spill
	buffer_store_dword v71, off, s[20:23], 0 offset:216 ; 4-byte Folded Spill
	buffer_store_dword v72, off, s[20:23], 0 offset:220 ; 4-byte Folded Spill
	ds_read2_b64 v[99:102], v125 offset0:34 offset1:35
	buffer_load_dword v69, off, s[20:23], 0 offset:192 ; 4-byte Folded Reload
	buffer_load_dword v70, off, s[20:23], 0 offset:196 ; 4-byte Folded Reload
	buffer_load_dword v71, off, s[20:23], 0 offset:200 ; 4-byte Folded Reload
	buffer_load_dword v72, off, s[20:23], 0 offset:204 ; 4-byte Folded Reload
	s_waitcnt lgkmcnt(0)
	v_mul_f64 v[103:104], v[101:102], v[105:106]
	v_fma_f64 v[103:104], v[99:100], v[97:98], -v[103:104]
	v_mul_f64 v[99:100], v[99:100], v[105:106]
	v_fma_f64 v[99:100], v[101:102], v[97:98], v[99:100]
	s_waitcnt vmcnt(2)
	v_add_f64 v[69:70], v[69:70], -v[103:104]
	s_waitcnt vmcnt(0)
	v_add_f64 v[71:72], v[71:72], -v[99:100]
	buffer_store_dword v69, off, s[20:23], 0 offset:192 ; 4-byte Folded Spill
	s_nop 0
	buffer_store_dword v70, off, s[20:23], 0 offset:196 ; 4-byte Folded Spill
	buffer_store_dword v71, off, s[20:23], 0 offset:200 ; 4-byte Folded Spill
	buffer_store_dword v72, off, s[20:23], 0 offset:204 ; 4-byte Folded Spill
	ds_read2_b64 v[99:102], v125 offset0:36 offset1:37
	;; [unrolled: 19-line block ×11, first 2 shown]
	v_mov_b32_e32 v69, v73
	v_mov_b32_e32 v70, v74
	v_mov_b32_e32 v71, v75
	v_mov_b32_e32 v72, v76
	s_waitcnt lgkmcnt(0)
	v_mul_f64 v[103:104], v[101:102], v[105:106]
	v_fma_f64 v[103:104], v[99:100], v[97:98], -v[103:104]
	v_mul_f64 v[99:100], v[99:100], v[105:106]
	v_add_f64 v[117:118], v[117:118], -v[103:104]
	v_fma_f64 v[99:100], v[101:102], v[97:98], v[99:100]
	v_add_f64 v[119:120], v[119:120], -v[99:100]
	ds_read2_b64 v[99:102], v125 offset0:56 offset1:57
	s_waitcnt lgkmcnt(0)
	v_mul_f64 v[103:104], v[101:102], v[105:106]
	v_fma_f64 v[103:104], v[99:100], v[97:98], -v[103:104]
	v_mul_f64 v[99:100], v[99:100], v[105:106]
	v_add_f64 v[121:122], v[121:122], -v[103:104]
	v_fma_f64 v[99:100], v[101:102], v[97:98], v[99:100]
	v_add_f64 v[123:124], v[123:124], -v[99:100]
	ds_read2_b64 v[99:102], v125 offset0:58 offset1:59
	;; [unrolled: 8-line block ×5, first 2 shown]
	buffer_load_dword v77, off, s[20:23], 0 offset:32 ; 4-byte Folded Reload
	buffer_load_dword v78, off, s[20:23], 0 offset:36 ; 4-byte Folded Reload
	;; [unrolled: 1-line block ×4, first 2 shown]
	s_waitcnt lgkmcnt(0)
	v_mul_f64 v[103:104], v[101:102], v[105:106]
	v_fma_f64 v[103:104], v[99:100], v[97:98], -v[103:104]
	v_mul_f64 v[99:100], v[99:100], v[105:106]
	v_fma_f64 v[99:100], v[101:102], v[97:98], v[99:100]
	s_waitcnt vmcnt(2)
	v_add_f64 v[77:78], v[77:78], -v[103:104]
	s_waitcnt vmcnt(0)
	v_add_f64 v[79:80], v[79:80], -v[99:100]
	buffer_store_dword v77, off, s[20:23], 0 offset:32 ; 4-byte Folded Spill
	s_nop 0
	buffer_store_dword v78, off, s[20:23], 0 offset:36 ; 4-byte Folded Spill
	buffer_store_dword v79, off, s[20:23], 0 offset:40 ; 4-byte Folded Spill
	;; [unrolled: 1-line block ×3, first 2 shown]
	ds_read2_b64 v[99:102], v125 offset0:66 offset1:67
	buffer_load_dword v73, off, s[20:23], 0 offset:16 ; 4-byte Folded Reload
	buffer_load_dword v74, off, s[20:23], 0 offset:20 ; 4-byte Folded Reload
	;; [unrolled: 1-line block ×4, first 2 shown]
	s_waitcnt lgkmcnt(0)
	v_mul_f64 v[103:104], v[101:102], v[105:106]
	v_fma_f64 v[103:104], v[99:100], v[97:98], -v[103:104]
	v_mul_f64 v[99:100], v[99:100], v[105:106]
	v_fma_f64 v[99:100], v[101:102], v[97:98], v[99:100]
	s_waitcnt vmcnt(2)
	v_add_f64 v[73:74], v[73:74], -v[103:104]
	s_waitcnt vmcnt(0)
	v_add_f64 v[75:76], v[75:76], -v[99:100]
	buffer_store_dword v73, off, s[20:23], 0 offset:16 ; 4-byte Folded Spill
	s_nop 0
	buffer_store_dword v74, off, s[20:23], 0 offset:20 ; 4-byte Folded Spill
	buffer_store_dword v75, off, s[20:23], 0 offset:24 ; 4-byte Folded Spill
	;; [unrolled: 1-line block ×3, first 2 shown]
	v_mov_b32_e32 v76, v72
	v_mov_b32_e32 v75, v71
	;; [unrolled: 1-line block ×4, first 2 shown]
	ds_read2_b64 v[99:102], v125 offset0:68 offset1:69
	buffer_load_dword v69, off, s[20:23], 0 ; 4-byte Folded Reload
	buffer_load_dword v70, off, s[20:23], 0 offset:4 ; 4-byte Folded Reload
	buffer_load_dword v71, off, s[20:23], 0 offset:8 ; 4-byte Folded Reload
	;; [unrolled: 1-line block ×3, first 2 shown]
	s_waitcnt lgkmcnt(0)
	v_mul_f64 v[103:104], v[101:102], v[105:106]
	v_fma_f64 v[103:104], v[99:100], v[97:98], -v[103:104]
	v_mul_f64 v[99:100], v[99:100], v[105:106]
	v_fma_f64 v[99:100], v[101:102], v[97:98], v[99:100]
	s_waitcnt vmcnt(2)
	v_add_f64 v[69:70], v[69:70], -v[103:104]
	s_waitcnt vmcnt(0)
	v_add_f64 v[71:72], v[71:72], -v[99:100]
	buffer_store_dword v69, off, s[20:23], 0 ; 4-byte Folded Spill
	s_nop 0
	buffer_store_dword v70, off, s[20:23], 0 offset:4 ; 4-byte Folded Spill
	buffer_store_dword v71, off, s[20:23], 0 offset:8 ; 4-byte Folded Spill
	;; [unrolled: 1-line block ×3, first 2 shown]
	ds_read2_b64 v[99:102], v125 offset0:70 offset1:71
	s_waitcnt lgkmcnt(0)
	v_mul_f64 v[103:104], v[101:102], v[105:106]
	v_fma_f64 v[103:104], v[99:100], v[97:98], -v[103:104]
	v_mul_f64 v[99:100], v[99:100], v[105:106]
	v_add_f64 v[65:66], v[65:66], -v[103:104]
	v_fma_f64 v[99:100], v[101:102], v[97:98], v[99:100]
	v_add_f64 v[67:68], v[67:68], -v[99:100]
	ds_read2_b64 v[99:102], v125 offset0:72 offset1:73
	s_waitcnt lgkmcnt(0)
	v_mul_f64 v[103:104], v[101:102], v[105:106]
	v_fma_f64 v[103:104], v[99:100], v[97:98], -v[103:104]
	v_mul_f64 v[99:100], v[99:100], v[105:106]
	v_add_f64 v[61:62], v[61:62], -v[103:104]
	v_fma_f64 v[99:100], v[101:102], v[97:98], v[99:100]
	v_add_f64 v[63:64], v[63:64], -v[99:100]
	;; [unrolled: 8-line block ×17, first 2 shown]
	ds_read2_b64 v[99:102], v125 offset0:104 offset1:105
	s_waitcnt lgkmcnt(0)
	v_mul_f64 v[103:104], v[101:102], v[105:106]
	v_fma_f64 v[103:104], v[99:100], v[97:98], -v[103:104]
	v_mul_f64 v[99:100], v[99:100], v[105:106]
	v_add_f64 v[73:74], v[73:74], -v[103:104]
	v_fma_f64 v[99:100], v[101:102], v[97:98], v[99:100]
	v_mov_b32_e32 v104, v98
	v_mov_b32_e32 v103, v97
	buffer_store_dword v103, off, s[20:23], 0 offset:224 ; 4-byte Folded Spill
	s_nop 0
	buffer_store_dword v104, off, s[20:23], 0 offset:228 ; 4-byte Folded Spill
	buffer_store_dword v105, off, s[20:23], 0 offset:232 ; 4-byte Folded Spill
	;; [unrolled: 1-line block ×3, first 2 shown]
	v_add_f64 v[75:76], v[75:76], -v[99:100]
.LBB105_145:
	s_or_b64 exec, exec, s[2:3]
	v_cmp_eq_u32_e32 vcc, 16, v0
	s_waitcnt vmcnt(0)
	s_barrier
	s_and_saveexec_b64 s[4:5], vcc
	s_cbranch_execz .LBB105_152
; %bb.146:
	buffer_load_dword v69, off, s[20:23], 0 offset:208 ; 4-byte Folded Reload
	buffer_load_dword v70, off, s[20:23], 0 offset:212 ; 4-byte Folded Reload
	;; [unrolled: 1-line block ×4, first 2 shown]
	s_waitcnt vmcnt(0)
	ds_write2_b64 v127, v[69:70], v[71:72] offset1:1
	buffer_load_dword v69, off, s[20:23], 0 offset:192 ; 4-byte Folded Reload
	buffer_load_dword v70, off, s[20:23], 0 offset:196 ; 4-byte Folded Reload
	buffer_load_dword v71, off, s[20:23], 0 offset:200 ; 4-byte Folded Reload
	buffer_load_dword v72, off, s[20:23], 0 offset:204 ; 4-byte Folded Reload
	s_waitcnt vmcnt(0)
	ds_write2_b64 v125, v[69:70], v[71:72] offset0:34 offset1:35
	buffer_load_dword v69, off, s[20:23], 0 offset:176 ; 4-byte Folded Reload
	buffer_load_dword v70, off, s[20:23], 0 offset:180 ; 4-byte Folded Reload
	buffer_load_dword v71, off, s[20:23], 0 offset:184 ; 4-byte Folded Reload
	buffer_load_dword v72, off, s[20:23], 0 offset:188 ; 4-byte Folded Reload
	s_waitcnt vmcnt(0)
	ds_write2_b64 v125, v[69:70], v[71:72] offset0:36 offset1:37
	;; [unrolled: 6-line block ×10, first 2 shown]
	ds_write2_b64 v125, v[117:118], v[119:120] offset0:54 offset1:55
	ds_write2_b64 v125, v[121:122], v[123:124] offset0:56 offset1:57
	;; [unrolled: 1-line block ×5, first 2 shown]
	buffer_load_dword v77, off, s[20:23], 0 offset:32 ; 4-byte Folded Reload
	buffer_load_dword v78, off, s[20:23], 0 offset:36 ; 4-byte Folded Reload
	buffer_load_dword v79, off, s[20:23], 0 offset:40 ; 4-byte Folded Reload
	buffer_load_dword v80, off, s[20:23], 0 offset:44 ; 4-byte Folded Reload
	v_mov_b32_e32 v69, v73
	v_mov_b32_e32 v70, v74
	;; [unrolled: 1-line block ×4, first 2 shown]
	s_waitcnt vmcnt(0)
	ds_write2_b64 v125, v[77:78], v[79:80] offset0:64 offset1:65
	buffer_load_dword v73, off, s[20:23], 0 offset:16 ; 4-byte Folded Reload
	buffer_load_dword v74, off, s[20:23], 0 offset:20 ; 4-byte Folded Reload
	buffer_load_dword v75, off, s[20:23], 0 offset:24 ; 4-byte Folded Reload
	buffer_load_dword v76, off, s[20:23], 0 offset:28 ; 4-byte Folded Reload
	s_waitcnt vmcnt(0)
	ds_write2_b64 v125, v[73:74], v[75:76] offset0:66 offset1:67
	v_mov_b32_e32 v76, v72
	v_mov_b32_e32 v75, v71
	;; [unrolled: 1-line block ×4, first 2 shown]
	buffer_load_dword v69, off, s[20:23], 0 ; 4-byte Folded Reload
	buffer_load_dword v70, off, s[20:23], 0 offset:4 ; 4-byte Folded Reload
	buffer_load_dword v71, off, s[20:23], 0 offset:8 ; 4-byte Folded Reload
	;; [unrolled: 1-line block ×3, first 2 shown]
	s_waitcnt vmcnt(0)
	ds_write2_b64 v125, v[69:70], v[71:72] offset0:68 offset1:69
	ds_write2_b64 v125, v[65:66], v[67:68] offset0:70 offset1:71
	;; [unrolled: 1-line block ×19, first 2 shown]
	ds_read2_b64 v[97:100], v127 offset1:1
	s_waitcnt lgkmcnt(0)
	v_cmp_neq_f64_e32 vcc, 0, v[97:98]
	v_cmp_neq_f64_e64 s[2:3], 0, v[99:100]
	s_or_b64 s[2:3], vcc, s[2:3]
	s_and_b64 exec, exec, s[2:3]
	s_cbranch_execz .LBB105_152
; %bb.147:
	v_cmp_ngt_f64_e64 s[2:3], |v[97:98]|, |v[99:100]|
                                        ; implicit-def: $vgpr101_vgpr102
	s_and_saveexec_b64 s[6:7], s[2:3]
	s_xor_b64 s[2:3], exec, s[6:7]
                                        ; implicit-def: $vgpr103_vgpr104
	s_cbranch_execz .LBB105_149
; %bb.148:
	v_div_scale_f64 v[101:102], s[6:7], v[99:100], v[99:100], v[97:98]
	v_rcp_f64_e32 v[103:104], v[101:102]
	v_fma_f64 v[105:106], -v[101:102], v[103:104], 1.0
	v_fma_f64 v[103:104], v[103:104], v[105:106], v[103:104]
	v_div_scale_f64 v[105:106], vcc, v[97:98], v[99:100], v[97:98]
	v_fma_f64 v[107:108], -v[101:102], v[103:104], 1.0
	v_fma_f64 v[103:104], v[103:104], v[107:108], v[103:104]
	v_mul_f64 v[107:108], v[105:106], v[103:104]
	v_fma_f64 v[101:102], -v[101:102], v[107:108], v[105:106]
	v_div_fmas_f64 v[101:102], v[101:102], v[103:104], v[107:108]
	v_div_fixup_f64 v[101:102], v[101:102], v[99:100], v[97:98]
	v_fma_f64 v[97:98], v[97:98], v[101:102], v[99:100]
	v_div_scale_f64 v[99:100], s[6:7], v[97:98], v[97:98], 1.0
	v_div_scale_f64 v[107:108], vcc, 1.0, v[97:98], 1.0
	v_rcp_f64_e32 v[103:104], v[99:100]
	v_fma_f64 v[105:106], -v[99:100], v[103:104], 1.0
	v_fma_f64 v[103:104], v[103:104], v[105:106], v[103:104]
	v_fma_f64 v[105:106], -v[99:100], v[103:104], 1.0
	v_fma_f64 v[103:104], v[103:104], v[105:106], v[103:104]
	v_mul_f64 v[105:106], v[107:108], v[103:104]
	v_fma_f64 v[99:100], -v[99:100], v[105:106], v[107:108]
	v_div_fmas_f64 v[99:100], v[99:100], v[103:104], v[105:106]
	v_div_fixup_f64 v[103:104], v[99:100], v[97:98], 1.0
                                        ; implicit-def: $vgpr97_vgpr98
	v_mul_f64 v[101:102], v[101:102], v[103:104]
	v_xor_b32_e32 v104, 0x80000000, v104
.LBB105_149:
	s_andn2_saveexec_b64 s[2:3], s[2:3]
	s_cbranch_execz .LBB105_151
; %bb.150:
	v_div_scale_f64 v[101:102], s[6:7], v[97:98], v[97:98], v[99:100]
	v_rcp_f64_e32 v[103:104], v[101:102]
	v_fma_f64 v[105:106], -v[101:102], v[103:104], 1.0
	v_fma_f64 v[103:104], v[103:104], v[105:106], v[103:104]
	v_div_scale_f64 v[105:106], vcc, v[99:100], v[97:98], v[99:100]
	v_fma_f64 v[107:108], -v[101:102], v[103:104], 1.0
	v_fma_f64 v[103:104], v[103:104], v[107:108], v[103:104]
	v_mul_f64 v[107:108], v[105:106], v[103:104]
	v_fma_f64 v[101:102], -v[101:102], v[107:108], v[105:106]
	v_div_fmas_f64 v[101:102], v[101:102], v[103:104], v[107:108]
	v_div_fixup_f64 v[103:104], v[101:102], v[97:98], v[99:100]
	v_fma_f64 v[97:98], v[99:100], v[103:104], v[97:98]
	v_div_scale_f64 v[99:100], s[6:7], v[97:98], v[97:98], 1.0
	v_div_scale_f64 v[107:108], vcc, 1.0, v[97:98], 1.0
	v_rcp_f64_e32 v[101:102], v[99:100]
	v_fma_f64 v[105:106], -v[99:100], v[101:102], 1.0
	v_fma_f64 v[101:102], v[101:102], v[105:106], v[101:102]
	v_fma_f64 v[105:106], -v[99:100], v[101:102], 1.0
	v_fma_f64 v[101:102], v[101:102], v[105:106], v[101:102]
	v_mul_f64 v[105:106], v[107:108], v[101:102]
	v_fma_f64 v[99:100], -v[99:100], v[105:106], v[107:108]
	v_div_fmas_f64 v[99:100], v[99:100], v[101:102], v[105:106]
	v_div_fixup_f64 v[101:102], v[99:100], v[97:98], 1.0
	v_mul_f64 v[103:104], v[103:104], -v[101:102]
.LBB105_151:
	s_or_b64 exec, exec, s[2:3]
	ds_write2_b64 v127, v[101:102], v[103:104] offset1:1
.LBB105_152:
	s_or_b64 exec, exec, s[4:5]
	s_waitcnt lgkmcnt(0)
	s_barrier
	ds_read2_b64 v[69:72], v127 offset1:1
	v_cmp_lt_u32_e32 vcc, 16, v0
	s_waitcnt lgkmcnt(0)
	buffer_store_dword v69, off, s[20:23], 0 offset:1152 ; 4-byte Folded Spill
	s_nop 0
	buffer_store_dword v70, off, s[20:23], 0 offset:1156 ; 4-byte Folded Spill
	buffer_store_dword v71, off, s[20:23], 0 offset:1160 ; 4-byte Folded Spill
	;; [unrolled: 1-line block ×3, first 2 shown]
	s_and_saveexec_b64 s[2:3], vcc
	s_cbranch_execz .LBB105_154
; %bb.153:
	buffer_load_dword v103, off, s[20:23], 0 offset:208 ; 4-byte Folded Reload
	buffer_load_dword v104, off, s[20:23], 0 offset:212 ; 4-byte Folded Reload
	;; [unrolled: 1-line block ×8, first 2 shown]
	s_waitcnt vmcnt(2)
	v_mul_f64 v[99:100], v[69:70], v[105:106]
	s_waitcnt vmcnt(0)
	v_mul_f64 v[97:98], v[71:72], v[105:106]
	v_fma_f64 v[105:106], v[71:72], v[103:104], v[99:100]
	ds_read2_b64 v[99:102], v125 offset0:34 offset1:35
	v_fma_f64 v[97:98], v[69:70], v[103:104], -v[97:98]
	buffer_load_dword v69, off, s[20:23], 0 offset:192 ; 4-byte Folded Reload
	buffer_load_dword v70, off, s[20:23], 0 offset:196 ; 4-byte Folded Reload
	buffer_load_dword v71, off, s[20:23], 0 offset:200 ; 4-byte Folded Reload
	buffer_load_dword v72, off, s[20:23], 0 offset:204 ; 4-byte Folded Reload
	s_waitcnt lgkmcnt(0)
	v_mul_f64 v[103:104], v[101:102], v[105:106]
	v_fma_f64 v[103:104], v[99:100], v[97:98], -v[103:104]
	v_mul_f64 v[99:100], v[99:100], v[105:106]
	v_fma_f64 v[99:100], v[101:102], v[97:98], v[99:100]
	s_waitcnt vmcnt(2)
	v_add_f64 v[69:70], v[69:70], -v[103:104]
	s_waitcnt vmcnt(0)
	v_add_f64 v[71:72], v[71:72], -v[99:100]
	buffer_store_dword v69, off, s[20:23], 0 offset:192 ; 4-byte Folded Spill
	s_nop 0
	buffer_store_dword v70, off, s[20:23], 0 offset:196 ; 4-byte Folded Spill
	buffer_store_dword v71, off, s[20:23], 0 offset:200 ; 4-byte Folded Spill
	buffer_store_dword v72, off, s[20:23], 0 offset:204 ; 4-byte Folded Spill
	ds_read2_b64 v[99:102], v125 offset0:36 offset1:37
	buffer_load_dword v69, off, s[20:23], 0 offset:176 ; 4-byte Folded Reload
	buffer_load_dword v70, off, s[20:23], 0 offset:180 ; 4-byte Folded Reload
	buffer_load_dword v71, off, s[20:23], 0 offset:184 ; 4-byte Folded Reload
	buffer_load_dword v72, off, s[20:23], 0 offset:188 ; 4-byte Folded Reload
	s_waitcnt lgkmcnt(0)
	v_mul_f64 v[103:104], v[101:102], v[105:106]
	v_fma_f64 v[103:104], v[99:100], v[97:98], -v[103:104]
	v_mul_f64 v[99:100], v[99:100], v[105:106]
	v_fma_f64 v[99:100], v[101:102], v[97:98], v[99:100]
	s_waitcnt vmcnt(2)
	v_add_f64 v[69:70], v[69:70], -v[103:104]
	s_waitcnt vmcnt(0)
	v_add_f64 v[71:72], v[71:72], -v[99:100]
	buffer_store_dword v69, off, s[20:23], 0 offset:176 ; 4-byte Folded Spill
	s_nop 0
	buffer_store_dword v70, off, s[20:23], 0 offset:180 ; 4-byte Folded Spill
	buffer_store_dword v71, off, s[20:23], 0 offset:184 ; 4-byte Folded Spill
	buffer_store_dword v72, off, s[20:23], 0 offset:188 ; 4-byte Folded Spill
	ds_read2_b64 v[99:102], v125 offset0:38 offset1:39
	;; [unrolled: 19-line block ×10, first 2 shown]
	v_mov_b32_e32 v69, v73
	v_mov_b32_e32 v70, v74
	v_mov_b32_e32 v71, v75
	v_mov_b32_e32 v72, v76
	s_waitcnt lgkmcnt(0)
	v_mul_f64 v[103:104], v[101:102], v[105:106]
	v_fma_f64 v[103:104], v[99:100], v[97:98], -v[103:104]
	v_mul_f64 v[99:100], v[99:100], v[105:106]
	v_add_f64 v[117:118], v[117:118], -v[103:104]
	v_fma_f64 v[99:100], v[101:102], v[97:98], v[99:100]
	v_add_f64 v[119:120], v[119:120], -v[99:100]
	ds_read2_b64 v[99:102], v125 offset0:56 offset1:57
	s_waitcnt lgkmcnt(0)
	v_mul_f64 v[103:104], v[101:102], v[105:106]
	v_fma_f64 v[103:104], v[99:100], v[97:98], -v[103:104]
	v_mul_f64 v[99:100], v[99:100], v[105:106]
	v_add_f64 v[121:122], v[121:122], -v[103:104]
	v_fma_f64 v[99:100], v[101:102], v[97:98], v[99:100]
	v_add_f64 v[123:124], v[123:124], -v[99:100]
	ds_read2_b64 v[99:102], v125 offset0:58 offset1:59
	;; [unrolled: 8-line block ×5, first 2 shown]
	buffer_load_dword v77, off, s[20:23], 0 offset:32 ; 4-byte Folded Reload
	buffer_load_dword v78, off, s[20:23], 0 offset:36 ; 4-byte Folded Reload
	;; [unrolled: 1-line block ×4, first 2 shown]
	s_waitcnt lgkmcnt(0)
	v_mul_f64 v[103:104], v[101:102], v[105:106]
	v_fma_f64 v[103:104], v[99:100], v[97:98], -v[103:104]
	v_mul_f64 v[99:100], v[99:100], v[105:106]
	v_fma_f64 v[99:100], v[101:102], v[97:98], v[99:100]
	s_waitcnt vmcnt(2)
	v_add_f64 v[77:78], v[77:78], -v[103:104]
	s_waitcnt vmcnt(0)
	v_add_f64 v[79:80], v[79:80], -v[99:100]
	buffer_store_dword v77, off, s[20:23], 0 offset:32 ; 4-byte Folded Spill
	s_nop 0
	buffer_store_dword v78, off, s[20:23], 0 offset:36 ; 4-byte Folded Spill
	buffer_store_dword v79, off, s[20:23], 0 offset:40 ; 4-byte Folded Spill
	buffer_store_dword v80, off, s[20:23], 0 offset:44 ; 4-byte Folded Spill
	ds_read2_b64 v[99:102], v125 offset0:66 offset1:67
	buffer_load_dword v73, off, s[20:23], 0 offset:16 ; 4-byte Folded Reload
	buffer_load_dword v74, off, s[20:23], 0 offset:20 ; 4-byte Folded Reload
	;; [unrolled: 1-line block ×4, first 2 shown]
	s_waitcnt lgkmcnt(0)
	v_mul_f64 v[103:104], v[101:102], v[105:106]
	v_fma_f64 v[103:104], v[99:100], v[97:98], -v[103:104]
	v_mul_f64 v[99:100], v[99:100], v[105:106]
	v_fma_f64 v[99:100], v[101:102], v[97:98], v[99:100]
	s_waitcnt vmcnt(2)
	v_add_f64 v[73:74], v[73:74], -v[103:104]
	s_waitcnt vmcnt(0)
	v_add_f64 v[75:76], v[75:76], -v[99:100]
	buffer_store_dword v73, off, s[20:23], 0 offset:16 ; 4-byte Folded Spill
	s_nop 0
	buffer_store_dword v74, off, s[20:23], 0 offset:20 ; 4-byte Folded Spill
	buffer_store_dword v75, off, s[20:23], 0 offset:24 ; 4-byte Folded Spill
	;; [unrolled: 1-line block ×3, first 2 shown]
	v_mov_b32_e32 v76, v72
	v_mov_b32_e32 v75, v71
	;; [unrolled: 1-line block ×4, first 2 shown]
	ds_read2_b64 v[99:102], v125 offset0:68 offset1:69
	buffer_load_dword v69, off, s[20:23], 0 ; 4-byte Folded Reload
	buffer_load_dword v70, off, s[20:23], 0 offset:4 ; 4-byte Folded Reload
	buffer_load_dword v71, off, s[20:23], 0 offset:8 ; 4-byte Folded Reload
	;; [unrolled: 1-line block ×3, first 2 shown]
	s_waitcnt lgkmcnt(0)
	v_mul_f64 v[103:104], v[101:102], v[105:106]
	v_fma_f64 v[103:104], v[99:100], v[97:98], -v[103:104]
	v_mul_f64 v[99:100], v[99:100], v[105:106]
	v_fma_f64 v[99:100], v[101:102], v[97:98], v[99:100]
	s_waitcnt vmcnt(2)
	v_add_f64 v[69:70], v[69:70], -v[103:104]
	s_waitcnt vmcnt(0)
	v_add_f64 v[71:72], v[71:72], -v[99:100]
	buffer_store_dword v69, off, s[20:23], 0 ; 4-byte Folded Spill
	s_nop 0
	buffer_store_dword v70, off, s[20:23], 0 offset:4 ; 4-byte Folded Spill
	buffer_store_dword v71, off, s[20:23], 0 offset:8 ; 4-byte Folded Spill
	;; [unrolled: 1-line block ×3, first 2 shown]
	ds_read2_b64 v[99:102], v125 offset0:70 offset1:71
	s_waitcnt lgkmcnt(0)
	v_mul_f64 v[103:104], v[101:102], v[105:106]
	v_fma_f64 v[103:104], v[99:100], v[97:98], -v[103:104]
	v_mul_f64 v[99:100], v[99:100], v[105:106]
	v_add_f64 v[65:66], v[65:66], -v[103:104]
	v_fma_f64 v[99:100], v[101:102], v[97:98], v[99:100]
	v_add_f64 v[67:68], v[67:68], -v[99:100]
	ds_read2_b64 v[99:102], v125 offset0:72 offset1:73
	s_waitcnt lgkmcnt(0)
	v_mul_f64 v[103:104], v[101:102], v[105:106]
	v_fma_f64 v[103:104], v[99:100], v[97:98], -v[103:104]
	v_mul_f64 v[99:100], v[99:100], v[105:106]
	v_add_f64 v[61:62], v[61:62], -v[103:104]
	v_fma_f64 v[99:100], v[101:102], v[97:98], v[99:100]
	v_add_f64 v[63:64], v[63:64], -v[99:100]
	;; [unrolled: 8-line block ×17, first 2 shown]
	ds_read2_b64 v[99:102], v125 offset0:104 offset1:105
	s_waitcnt lgkmcnt(0)
	v_mul_f64 v[103:104], v[101:102], v[105:106]
	v_fma_f64 v[103:104], v[99:100], v[97:98], -v[103:104]
	v_mul_f64 v[99:100], v[99:100], v[105:106]
	v_add_f64 v[73:74], v[73:74], -v[103:104]
	v_fma_f64 v[99:100], v[101:102], v[97:98], v[99:100]
	v_mov_b32_e32 v104, v98
	v_mov_b32_e32 v103, v97
	buffer_store_dword v103, off, s[20:23], 0 offset:208 ; 4-byte Folded Spill
	s_nop 0
	buffer_store_dword v104, off, s[20:23], 0 offset:212 ; 4-byte Folded Spill
	buffer_store_dword v105, off, s[20:23], 0 offset:216 ; 4-byte Folded Spill
	;; [unrolled: 1-line block ×3, first 2 shown]
	v_add_f64 v[75:76], v[75:76], -v[99:100]
.LBB105_154:
	s_or_b64 exec, exec, s[2:3]
	v_cmp_eq_u32_e32 vcc, 17, v0
	s_waitcnt vmcnt(0)
	s_barrier
	s_and_saveexec_b64 s[4:5], vcc
	s_cbranch_execz .LBB105_161
; %bb.155:
	buffer_load_dword v69, off, s[20:23], 0 offset:192 ; 4-byte Folded Reload
	buffer_load_dword v70, off, s[20:23], 0 offset:196 ; 4-byte Folded Reload
	;; [unrolled: 1-line block ×4, first 2 shown]
	s_waitcnt vmcnt(0)
	ds_write2_b64 v127, v[69:70], v[71:72] offset1:1
	buffer_load_dword v69, off, s[20:23], 0 offset:176 ; 4-byte Folded Reload
	buffer_load_dword v70, off, s[20:23], 0 offset:180 ; 4-byte Folded Reload
	buffer_load_dword v71, off, s[20:23], 0 offset:184 ; 4-byte Folded Reload
	buffer_load_dword v72, off, s[20:23], 0 offset:188 ; 4-byte Folded Reload
	s_waitcnt vmcnt(0)
	ds_write2_b64 v125, v[69:70], v[71:72] offset0:36 offset1:37
	buffer_load_dword v69, off, s[20:23], 0 offset:160 ; 4-byte Folded Reload
	buffer_load_dword v70, off, s[20:23], 0 offset:164 ; 4-byte Folded Reload
	buffer_load_dword v71, off, s[20:23], 0 offset:168 ; 4-byte Folded Reload
	buffer_load_dword v72, off, s[20:23], 0 offset:172 ; 4-byte Folded Reload
	s_waitcnt vmcnt(0)
	ds_write2_b64 v125, v[69:70], v[71:72] offset0:38 offset1:39
	;; [unrolled: 6-line block ×9, first 2 shown]
	ds_write2_b64 v125, v[117:118], v[119:120] offset0:54 offset1:55
	ds_write2_b64 v125, v[121:122], v[123:124] offset0:56 offset1:57
	;; [unrolled: 1-line block ×5, first 2 shown]
	buffer_load_dword v77, off, s[20:23], 0 offset:32 ; 4-byte Folded Reload
	buffer_load_dword v78, off, s[20:23], 0 offset:36 ; 4-byte Folded Reload
	;; [unrolled: 1-line block ×4, first 2 shown]
	v_mov_b32_e32 v69, v73
	v_mov_b32_e32 v70, v74
	;; [unrolled: 1-line block ×4, first 2 shown]
	s_waitcnt vmcnt(0)
	ds_write2_b64 v125, v[77:78], v[79:80] offset0:64 offset1:65
	buffer_load_dword v73, off, s[20:23], 0 offset:16 ; 4-byte Folded Reload
	buffer_load_dword v74, off, s[20:23], 0 offset:20 ; 4-byte Folded Reload
	;; [unrolled: 1-line block ×4, first 2 shown]
	s_waitcnt vmcnt(0)
	ds_write2_b64 v125, v[73:74], v[75:76] offset0:66 offset1:67
	v_mov_b32_e32 v76, v72
	v_mov_b32_e32 v75, v71
	v_mov_b32_e32 v74, v70
	v_mov_b32_e32 v73, v69
	buffer_load_dword v69, off, s[20:23], 0 ; 4-byte Folded Reload
	buffer_load_dword v70, off, s[20:23], 0 offset:4 ; 4-byte Folded Reload
	buffer_load_dword v71, off, s[20:23], 0 offset:8 ; 4-byte Folded Reload
	;; [unrolled: 1-line block ×3, first 2 shown]
	s_waitcnt vmcnt(0)
	ds_write2_b64 v125, v[69:70], v[71:72] offset0:68 offset1:69
	ds_write2_b64 v125, v[65:66], v[67:68] offset0:70 offset1:71
	;; [unrolled: 1-line block ×19, first 2 shown]
	ds_read2_b64 v[97:100], v127 offset1:1
	s_waitcnt lgkmcnt(0)
	v_cmp_neq_f64_e32 vcc, 0, v[97:98]
	v_cmp_neq_f64_e64 s[2:3], 0, v[99:100]
	s_or_b64 s[2:3], vcc, s[2:3]
	s_and_b64 exec, exec, s[2:3]
	s_cbranch_execz .LBB105_161
; %bb.156:
	v_cmp_ngt_f64_e64 s[2:3], |v[97:98]|, |v[99:100]|
                                        ; implicit-def: $vgpr101_vgpr102
	s_and_saveexec_b64 s[6:7], s[2:3]
	s_xor_b64 s[2:3], exec, s[6:7]
                                        ; implicit-def: $vgpr103_vgpr104
	s_cbranch_execz .LBB105_158
; %bb.157:
	v_div_scale_f64 v[101:102], s[6:7], v[99:100], v[99:100], v[97:98]
	v_rcp_f64_e32 v[103:104], v[101:102]
	v_fma_f64 v[105:106], -v[101:102], v[103:104], 1.0
	v_fma_f64 v[103:104], v[103:104], v[105:106], v[103:104]
	v_div_scale_f64 v[105:106], vcc, v[97:98], v[99:100], v[97:98]
	v_fma_f64 v[107:108], -v[101:102], v[103:104], 1.0
	v_fma_f64 v[103:104], v[103:104], v[107:108], v[103:104]
	v_mul_f64 v[107:108], v[105:106], v[103:104]
	v_fma_f64 v[101:102], -v[101:102], v[107:108], v[105:106]
	v_div_fmas_f64 v[101:102], v[101:102], v[103:104], v[107:108]
	v_div_fixup_f64 v[101:102], v[101:102], v[99:100], v[97:98]
	v_fma_f64 v[97:98], v[97:98], v[101:102], v[99:100]
	v_div_scale_f64 v[99:100], s[6:7], v[97:98], v[97:98], 1.0
	v_div_scale_f64 v[107:108], vcc, 1.0, v[97:98], 1.0
	v_rcp_f64_e32 v[103:104], v[99:100]
	v_fma_f64 v[105:106], -v[99:100], v[103:104], 1.0
	v_fma_f64 v[103:104], v[103:104], v[105:106], v[103:104]
	v_fma_f64 v[105:106], -v[99:100], v[103:104], 1.0
	v_fma_f64 v[103:104], v[103:104], v[105:106], v[103:104]
	v_mul_f64 v[105:106], v[107:108], v[103:104]
	v_fma_f64 v[99:100], -v[99:100], v[105:106], v[107:108]
	v_div_fmas_f64 v[99:100], v[99:100], v[103:104], v[105:106]
	v_div_fixup_f64 v[103:104], v[99:100], v[97:98], 1.0
                                        ; implicit-def: $vgpr97_vgpr98
	v_mul_f64 v[101:102], v[101:102], v[103:104]
	v_xor_b32_e32 v104, 0x80000000, v104
.LBB105_158:
	s_andn2_saveexec_b64 s[2:3], s[2:3]
	s_cbranch_execz .LBB105_160
; %bb.159:
	v_div_scale_f64 v[101:102], s[6:7], v[97:98], v[97:98], v[99:100]
	v_rcp_f64_e32 v[103:104], v[101:102]
	v_fma_f64 v[105:106], -v[101:102], v[103:104], 1.0
	v_fma_f64 v[103:104], v[103:104], v[105:106], v[103:104]
	v_div_scale_f64 v[105:106], vcc, v[99:100], v[97:98], v[99:100]
	v_fma_f64 v[107:108], -v[101:102], v[103:104], 1.0
	v_fma_f64 v[103:104], v[103:104], v[107:108], v[103:104]
	v_mul_f64 v[107:108], v[105:106], v[103:104]
	v_fma_f64 v[101:102], -v[101:102], v[107:108], v[105:106]
	v_div_fmas_f64 v[101:102], v[101:102], v[103:104], v[107:108]
	v_div_fixup_f64 v[103:104], v[101:102], v[97:98], v[99:100]
	v_fma_f64 v[97:98], v[99:100], v[103:104], v[97:98]
	v_div_scale_f64 v[99:100], s[6:7], v[97:98], v[97:98], 1.0
	v_div_scale_f64 v[107:108], vcc, 1.0, v[97:98], 1.0
	v_rcp_f64_e32 v[101:102], v[99:100]
	v_fma_f64 v[105:106], -v[99:100], v[101:102], 1.0
	v_fma_f64 v[101:102], v[101:102], v[105:106], v[101:102]
	v_fma_f64 v[105:106], -v[99:100], v[101:102], 1.0
	v_fma_f64 v[101:102], v[101:102], v[105:106], v[101:102]
	v_mul_f64 v[105:106], v[107:108], v[101:102]
	v_fma_f64 v[99:100], -v[99:100], v[105:106], v[107:108]
	v_div_fmas_f64 v[99:100], v[99:100], v[101:102], v[105:106]
	v_div_fixup_f64 v[101:102], v[99:100], v[97:98], 1.0
	v_mul_f64 v[103:104], v[103:104], -v[101:102]
.LBB105_160:
	s_or_b64 exec, exec, s[2:3]
	ds_write2_b64 v127, v[101:102], v[103:104] offset1:1
.LBB105_161:
	s_or_b64 exec, exec, s[4:5]
	s_waitcnt lgkmcnt(0)
	s_barrier
	ds_read2_b64 v[69:72], v127 offset1:1
	v_cmp_lt_u32_e32 vcc, 17, v0
	s_waitcnt lgkmcnt(0)
	buffer_store_dword v69, off, s[20:23], 0 offset:1168 ; 4-byte Folded Spill
	s_nop 0
	buffer_store_dword v70, off, s[20:23], 0 offset:1172 ; 4-byte Folded Spill
	buffer_store_dword v71, off, s[20:23], 0 offset:1176 ; 4-byte Folded Spill
	;; [unrolled: 1-line block ×3, first 2 shown]
	s_and_saveexec_b64 s[2:3], vcc
	s_cbranch_execz .LBB105_163
; %bb.162:
	buffer_load_dword v103, off, s[20:23], 0 offset:192 ; 4-byte Folded Reload
	buffer_load_dword v104, off, s[20:23], 0 offset:196 ; 4-byte Folded Reload
	;; [unrolled: 1-line block ×8, first 2 shown]
	s_waitcnt vmcnt(2)
	v_mul_f64 v[99:100], v[69:70], v[105:106]
	s_waitcnt vmcnt(0)
	v_mul_f64 v[97:98], v[71:72], v[105:106]
	v_fma_f64 v[105:106], v[71:72], v[103:104], v[99:100]
	ds_read2_b64 v[99:102], v125 offset0:36 offset1:37
	v_fma_f64 v[97:98], v[69:70], v[103:104], -v[97:98]
	buffer_load_dword v69, off, s[20:23], 0 offset:176 ; 4-byte Folded Reload
	buffer_load_dword v70, off, s[20:23], 0 offset:180 ; 4-byte Folded Reload
	buffer_load_dword v71, off, s[20:23], 0 offset:184 ; 4-byte Folded Reload
	buffer_load_dword v72, off, s[20:23], 0 offset:188 ; 4-byte Folded Reload
	s_waitcnt lgkmcnt(0)
	v_mul_f64 v[103:104], v[101:102], v[105:106]
	v_fma_f64 v[103:104], v[99:100], v[97:98], -v[103:104]
	v_mul_f64 v[99:100], v[99:100], v[105:106]
	v_fma_f64 v[99:100], v[101:102], v[97:98], v[99:100]
	s_waitcnt vmcnt(2)
	v_add_f64 v[69:70], v[69:70], -v[103:104]
	s_waitcnt vmcnt(0)
	v_add_f64 v[71:72], v[71:72], -v[99:100]
	buffer_store_dword v69, off, s[20:23], 0 offset:176 ; 4-byte Folded Spill
	s_nop 0
	buffer_store_dword v70, off, s[20:23], 0 offset:180 ; 4-byte Folded Spill
	buffer_store_dword v71, off, s[20:23], 0 offset:184 ; 4-byte Folded Spill
	buffer_store_dword v72, off, s[20:23], 0 offset:188 ; 4-byte Folded Spill
	ds_read2_b64 v[99:102], v125 offset0:38 offset1:39
	buffer_load_dword v69, off, s[20:23], 0 offset:160 ; 4-byte Folded Reload
	buffer_load_dword v70, off, s[20:23], 0 offset:164 ; 4-byte Folded Reload
	buffer_load_dword v71, off, s[20:23], 0 offset:168 ; 4-byte Folded Reload
	buffer_load_dword v72, off, s[20:23], 0 offset:172 ; 4-byte Folded Reload
	s_waitcnt lgkmcnt(0)
	v_mul_f64 v[103:104], v[101:102], v[105:106]
	v_fma_f64 v[103:104], v[99:100], v[97:98], -v[103:104]
	v_mul_f64 v[99:100], v[99:100], v[105:106]
	v_fma_f64 v[99:100], v[101:102], v[97:98], v[99:100]
	s_waitcnt vmcnt(2)
	v_add_f64 v[69:70], v[69:70], -v[103:104]
	s_waitcnt vmcnt(0)
	v_add_f64 v[71:72], v[71:72], -v[99:100]
	buffer_store_dword v69, off, s[20:23], 0 offset:160 ; 4-byte Folded Spill
	s_nop 0
	buffer_store_dword v70, off, s[20:23], 0 offset:164 ; 4-byte Folded Spill
	buffer_store_dword v71, off, s[20:23], 0 offset:168 ; 4-byte Folded Spill
	buffer_store_dword v72, off, s[20:23], 0 offset:172 ; 4-byte Folded Spill
	ds_read2_b64 v[99:102], v125 offset0:40 offset1:41
	;; [unrolled: 19-line block ×9, first 2 shown]
	v_mov_b32_e32 v69, v73
	v_mov_b32_e32 v70, v74
	v_mov_b32_e32 v71, v75
	v_mov_b32_e32 v72, v76
	s_waitcnt lgkmcnt(0)
	v_mul_f64 v[103:104], v[101:102], v[105:106]
	v_fma_f64 v[103:104], v[99:100], v[97:98], -v[103:104]
	v_mul_f64 v[99:100], v[99:100], v[105:106]
	v_add_f64 v[117:118], v[117:118], -v[103:104]
	v_fma_f64 v[99:100], v[101:102], v[97:98], v[99:100]
	v_add_f64 v[119:120], v[119:120], -v[99:100]
	ds_read2_b64 v[99:102], v125 offset0:56 offset1:57
	s_waitcnt lgkmcnt(0)
	v_mul_f64 v[103:104], v[101:102], v[105:106]
	v_fma_f64 v[103:104], v[99:100], v[97:98], -v[103:104]
	v_mul_f64 v[99:100], v[99:100], v[105:106]
	v_add_f64 v[121:122], v[121:122], -v[103:104]
	v_fma_f64 v[99:100], v[101:102], v[97:98], v[99:100]
	v_add_f64 v[123:124], v[123:124], -v[99:100]
	ds_read2_b64 v[99:102], v125 offset0:58 offset1:59
	;; [unrolled: 8-line block ×5, first 2 shown]
	buffer_load_dword v77, off, s[20:23], 0 offset:32 ; 4-byte Folded Reload
	buffer_load_dword v78, off, s[20:23], 0 offset:36 ; 4-byte Folded Reload
	;; [unrolled: 1-line block ×4, first 2 shown]
	s_waitcnt lgkmcnt(0)
	v_mul_f64 v[103:104], v[101:102], v[105:106]
	v_fma_f64 v[103:104], v[99:100], v[97:98], -v[103:104]
	v_mul_f64 v[99:100], v[99:100], v[105:106]
	v_fma_f64 v[99:100], v[101:102], v[97:98], v[99:100]
	s_waitcnt vmcnt(2)
	v_add_f64 v[77:78], v[77:78], -v[103:104]
	s_waitcnt vmcnt(0)
	v_add_f64 v[79:80], v[79:80], -v[99:100]
	buffer_store_dword v77, off, s[20:23], 0 offset:32 ; 4-byte Folded Spill
	s_nop 0
	buffer_store_dword v78, off, s[20:23], 0 offset:36 ; 4-byte Folded Spill
	buffer_store_dword v79, off, s[20:23], 0 offset:40 ; 4-byte Folded Spill
	;; [unrolled: 1-line block ×3, first 2 shown]
	ds_read2_b64 v[99:102], v125 offset0:66 offset1:67
	buffer_load_dword v73, off, s[20:23], 0 offset:16 ; 4-byte Folded Reload
	buffer_load_dword v74, off, s[20:23], 0 offset:20 ; 4-byte Folded Reload
	;; [unrolled: 1-line block ×4, first 2 shown]
	s_waitcnt lgkmcnt(0)
	v_mul_f64 v[103:104], v[101:102], v[105:106]
	v_fma_f64 v[103:104], v[99:100], v[97:98], -v[103:104]
	v_mul_f64 v[99:100], v[99:100], v[105:106]
	v_fma_f64 v[99:100], v[101:102], v[97:98], v[99:100]
	s_waitcnt vmcnt(2)
	v_add_f64 v[73:74], v[73:74], -v[103:104]
	s_waitcnt vmcnt(0)
	v_add_f64 v[75:76], v[75:76], -v[99:100]
	buffer_store_dword v73, off, s[20:23], 0 offset:16 ; 4-byte Folded Spill
	s_nop 0
	buffer_store_dword v74, off, s[20:23], 0 offset:20 ; 4-byte Folded Spill
	buffer_store_dword v75, off, s[20:23], 0 offset:24 ; 4-byte Folded Spill
	buffer_store_dword v76, off, s[20:23], 0 offset:28 ; 4-byte Folded Spill
	v_mov_b32_e32 v76, v72
	v_mov_b32_e32 v75, v71
	;; [unrolled: 1-line block ×4, first 2 shown]
	ds_read2_b64 v[99:102], v125 offset0:68 offset1:69
	buffer_load_dword v69, off, s[20:23], 0 ; 4-byte Folded Reload
	buffer_load_dword v70, off, s[20:23], 0 offset:4 ; 4-byte Folded Reload
	buffer_load_dword v71, off, s[20:23], 0 offset:8 ; 4-byte Folded Reload
	;; [unrolled: 1-line block ×3, first 2 shown]
	s_waitcnt lgkmcnt(0)
	v_mul_f64 v[103:104], v[101:102], v[105:106]
	v_fma_f64 v[103:104], v[99:100], v[97:98], -v[103:104]
	v_mul_f64 v[99:100], v[99:100], v[105:106]
	v_fma_f64 v[99:100], v[101:102], v[97:98], v[99:100]
	s_waitcnt vmcnt(2)
	v_add_f64 v[69:70], v[69:70], -v[103:104]
	s_waitcnt vmcnt(0)
	v_add_f64 v[71:72], v[71:72], -v[99:100]
	buffer_store_dword v69, off, s[20:23], 0 ; 4-byte Folded Spill
	s_nop 0
	buffer_store_dword v70, off, s[20:23], 0 offset:4 ; 4-byte Folded Spill
	buffer_store_dword v71, off, s[20:23], 0 offset:8 ; 4-byte Folded Spill
	;; [unrolled: 1-line block ×3, first 2 shown]
	ds_read2_b64 v[99:102], v125 offset0:70 offset1:71
	s_waitcnt lgkmcnt(0)
	v_mul_f64 v[103:104], v[101:102], v[105:106]
	v_fma_f64 v[103:104], v[99:100], v[97:98], -v[103:104]
	v_mul_f64 v[99:100], v[99:100], v[105:106]
	v_add_f64 v[65:66], v[65:66], -v[103:104]
	v_fma_f64 v[99:100], v[101:102], v[97:98], v[99:100]
	v_add_f64 v[67:68], v[67:68], -v[99:100]
	ds_read2_b64 v[99:102], v125 offset0:72 offset1:73
	s_waitcnt lgkmcnt(0)
	v_mul_f64 v[103:104], v[101:102], v[105:106]
	v_fma_f64 v[103:104], v[99:100], v[97:98], -v[103:104]
	v_mul_f64 v[99:100], v[99:100], v[105:106]
	v_add_f64 v[61:62], v[61:62], -v[103:104]
	v_fma_f64 v[99:100], v[101:102], v[97:98], v[99:100]
	v_add_f64 v[63:64], v[63:64], -v[99:100]
	;; [unrolled: 8-line block ×17, first 2 shown]
	ds_read2_b64 v[99:102], v125 offset0:104 offset1:105
	s_waitcnt lgkmcnt(0)
	v_mul_f64 v[103:104], v[101:102], v[105:106]
	v_fma_f64 v[103:104], v[99:100], v[97:98], -v[103:104]
	v_mul_f64 v[99:100], v[99:100], v[105:106]
	v_add_f64 v[73:74], v[73:74], -v[103:104]
	v_fma_f64 v[99:100], v[101:102], v[97:98], v[99:100]
	v_mov_b32_e32 v104, v98
	v_mov_b32_e32 v103, v97
	buffer_store_dword v103, off, s[20:23], 0 offset:192 ; 4-byte Folded Spill
	s_nop 0
	buffer_store_dword v104, off, s[20:23], 0 offset:196 ; 4-byte Folded Spill
	buffer_store_dword v105, off, s[20:23], 0 offset:200 ; 4-byte Folded Spill
	;; [unrolled: 1-line block ×3, first 2 shown]
	v_add_f64 v[75:76], v[75:76], -v[99:100]
.LBB105_163:
	s_or_b64 exec, exec, s[2:3]
	v_cmp_eq_u32_e32 vcc, 18, v0
	s_waitcnt vmcnt(0)
	s_barrier
	s_and_saveexec_b64 s[4:5], vcc
	s_cbranch_execz .LBB105_170
; %bb.164:
	buffer_load_dword v69, off, s[20:23], 0 offset:176 ; 4-byte Folded Reload
	buffer_load_dword v70, off, s[20:23], 0 offset:180 ; 4-byte Folded Reload
	;; [unrolled: 1-line block ×4, first 2 shown]
	s_waitcnt vmcnt(0)
	ds_write2_b64 v127, v[69:70], v[71:72] offset1:1
	buffer_load_dword v69, off, s[20:23], 0 offset:160 ; 4-byte Folded Reload
	buffer_load_dword v70, off, s[20:23], 0 offset:164 ; 4-byte Folded Reload
	buffer_load_dword v71, off, s[20:23], 0 offset:168 ; 4-byte Folded Reload
	buffer_load_dword v72, off, s[20:23], 0 offset:172 ; 4-byte Folded Reload
	s_waitcnt vmcnt(0)
	ds_write2_b64 v125, v[69:70], v[71:72] offset0:38 offset1:39
	buffer_load_dword v69, off, s[20:23], 0 offset:144 ; 4-byte Folded Reload
	buffer_load_dword v70, off, s[20:23], 0 offset:148 ; 4-byte Folded Reload
	buffer_load_dword v71, off, s[20:23], 0 offset:152 ; 4-byte Folded Reload
	buffer_load_dword v72, off, s[20:23], 0 offset:156 ; 4-byte Folded Reload
	s_waitcnt vmcnt(0)
	ds_write2_b64 v125, v[69:70], v[71:72] offset0:40 offset1:41
	;; [unrolled: 6-line block ×8, first 2 shown]
	ds_write2_b64 v125, v[117:118], v[119:120] offset0:54 offset1:55
	ds_write2_b64 v125, v[121:122], v[123:124] offset0:56 offset1:57
	;; [unrolled: 1-line block ×5, first 2 shown]
	buffer_load_dword v77, off, s[20:23], 0 offset:32 ; 4-byte Folded Reload
	buffer_load_dword v78, off, s[20:23], 0 offset:36 ; 4-byte Folded Reload
	;; [unrolled: 1-line block ×4, first 2 shown]
	v_mov_b32_e32 v69, v73
	v_mov_b32_e32 v70, v74
	;; [unrolled: 1-line block ×4, first 2 shown]
	s_waitcnt vmcnt(0)
	ds_write2_b64 v125, v[77:78], v[79:80] offset0:64 offset1:65
	buffer_load_dword v73, off, s[20:23], 0 offset:16 ; 4-byte Folded Reload
	buffer_load_dword v74, off, s[20:23], 0 offset:20 ; 4-byte Folded Reload
	buffer_load_dword v75, off, s[20:23], 0 offset:24 ; 4-byte Folded Reload
	buffer_load_dword v76, off, s[20:23], 0 offset:28 ; 4-byte Folded Reload
	s_waitcnt vmcnt(0)
	ds_write2_b64 v125, v[73:74], v[75:76] offset0:66 offset1:67
	v_mov_b32_e32 v76, v72
	v_mov_b32_e32 v75, v71
	;; [unrolled: 1-line block ×4, first 2 shown]
	buffer_load_dword v69, off, s[20:23], 0 ; 4-byte Folded Reload
	buffer_load_dword v70, off, s[20:23], 0 offset:4 ; 4-byte Folded Reload
	buffer_load_dword v71, off, s[20:23], 0 offset:8 ; 4-byte Folded Reload
	;; [unrolled: 1-line block ×3, first 2 shown]
	s_waitcnt vmcnt(0)
	ds_write2_b64 v125, v[69:70], v[71:72] offset0:68 offset1:69
	ds_write2_b64 v125, v[65:66], v[67:68] offset0:70 offset1:71
	;; [unrolled: 1-line block ×19, first 2 shown]
	ds_read2_b64 v[97:100], v127 offset1:1
	s_waitcnt lgkmcnt(0)
	v_cmp_neq_f64_e32 vcc, 0, v[97:98]
	v_cmp_neq_f64_e64 s[2:3], 0, v[99:100]
	s_or_b64 s[2:3], vcc, s[2:3]
	s_and_b64 exec, exec, s[2:3]
	s_cbranch_execz .LBB105_170
; %bb.165:
	v_cmp_ngt_f64_e64 s[2:3], |v[97:98]|, |v[99:100]|
                                        ; implicit-def: $vgpr101_vgpr102
	s_and_saveexec_b64 s[6:7], s[2:3]
	s_xor_b64 s[2:3], exec, s[6:7]
                                        ; implicit-def: $vgpr103_vgpr104
	s_cbranch_execz .LBB105_167
; %bb.166:
	v_div_scale_f64 v[101:102], s[6:7], v[99:100], v[99:100], v[97:98]
	v_rcp_f64_e32 v[103:104], v[101:102]
	v_fma_f64 v[105:106], -v[101:102], v[103:104], 1.0
	v_fma_f64 v[103:104], v[103:104], v[105:106], v[103:104]
	v_div_scale_f64 v[105:106], vcc, v[97:98], v[99:100], v[97:98]
	v_fma_f64 v[107:108], -v[101:102], v[103:104], 1.0
	v_fma_f64 v[103:104], v[103:104], v[107:108], v[103:104]
	v_mul_f64 v[107:108], v[105:106], v[103:104]
	v_fma_f64 v[101:102], -v[101:102], v[107:108], v[105:106]
	v_div_fmas_f64 v[101:102], v[101:102], v[103:104], v[107:108]
	v_div_fixup_f64 v[101:102], v[101:102], v[99:100], v[97:98]
	v_fma_f64 v[97:98], v[97:98], v[101:102], v[99:100]
	v_div_scale_f64 v[99:100], s[6:7], v[97:98], v[97:98], 1.0
	v_div_scale_f64 v[107:108], vcc, 1.0, v[97:98], 1.0
	v_rcp_f64_e32 v[103:104], v[99:100]
	v_fma_f64 v[105:106], -v[99:100], v[103:104], 1.0
	v_fma_f64 v[103:104], v[103:104], v[105:106], v[103:104]
	v_fma_f64 v[105:106], -v[99:100], v[103:104], 1.0
	v_fma_f64 v[103:104], v[103:104], v[105:106], v[103:104]
	v_mul_f64 v[105:106], v[107:108], v[103:104]
	v_fma_f64 v[99:100], -v[99:100], v[105:106], v[107:108]
	v_div_fmas_f64 v[99:100], v[99:100], v[103:104], v[105:106]
	v_div_fixup_f64 v[103:104], v[99:100], v[97:98], 1.0
                                        ; implicit-def: $vgpr97_vgpr98
	v_mul_f64 v[101:102], v[101:102], v[103:104]
	v_xor_b32_e32 v104, 0x80000000, v104
.LBB105_167:
	s_andn2_saveexec_b64 s[2:3], s[2:3]
	s_cbranch_execz .LBB105_169
; %bb.168:
	v_div_scale_f64 v[101:102], s[6:7], v[97:98], v[97:98], v[99:100]
	v_rcp_f64_e32 v[103:104], v[101:102]
	v_fma_f64 v[105:106], -v[101:102], v[103:104], 1.0
	v_fma_f64 v[103:104], v[103:104], v[105:106], v[103:104]
	v_div_scale_f64 v[105:106], vcc, v[99:100], v[97:98], v[99:100]
	v_fma_f64 v[107:108], -v[101:102], v[103:104], 1.0
	v_fma_f64 v[103:104], v[103:104], v[107:108], v[103:104]
	v_mul_f64 v[107:108], v[105:106], v[103:104]
	v_fma_f64 v[101:102], -v[101:102], v[107:108], v[105:106]
	v_div_fmas_f64 v[101:102], v[101:102], v[103:104], v[107:108]
	v_div_fixup_f64 v[103:104], v[101:102], v[97:98], v[99:100]
	v_fma_f64 v[97:98], v[99:100], v[103:104], v[97:98]
	v_div_scale_f64 v[99:100], s[6:7], v[97:98], v[97:98], 1.0
	v_div_scale_f64 v[107:108], vcc, 1.0, v[97:98], 1.0
	v_rcp_f64_e32 v[101:102], v[99:100]
	v_fma_f64 v[105:106], -v[99:100], v[101:102], 1.0
	v_fma_f64 v[101:102], v[101:102], v[105:106], v[101:102]
	v_fma_f64 v[105:106], -v[99:100], v[101:102], 1.0
	v_fma_f64 v[101:102], v[101:102], v[105:106], v[101:102]
	v_mul_f64 v[105:106], v[107:108], v[101:102]
	v_fma_f64 v[99:100], -v[99:100], v[105:106], v[107:108]
	v_div_fmas_f64 v[99:100], v[99:100], v[101:102], v[105:106]
	v_div_fixup_f64 v[101:102], v[99:100], v[97:98], 1.0
	v_mul_f64 v[103:104], v[103:104], -v[101:102]
.LBB105_169:
	s_or_b64 exec, exec, s[2:3]
	ds_write2_b64 v127, v[101:102], v[103:104] offset1:1
.LBB105_170:
	s_or_b64 exec, exec, s[4:5]
	s_waitcnt lgkmcnt(0)
	s_barrier
	ds_read2_b64 v[69:72], v127 offset1:1
	v_cmp_lt_u32_e32 vcc, 18, v0
	s_waitcnt lgkmcnt(0)
	buffer_store_dword v69, off, s[20:23], 0 offset:1184 ; 4-byte Folded Spill
	s_nop 0
	buffer_store_dword v70, off, s[20:23], 0 offset:1188 ; 4-byte Folded Spill
	buffer_store_dword v71, off, s[20:23], 0 offset:1192 ; 4-byte Folded Spill
	;; [unrolled: 1-line block ×3, first 2 shown]
	s_and_saveexec_b64 s[2:3], vcc
	s_cbranch_execz .LBB105_172
; %bb.171:
	buffer_load_dword v103, off, s[20:23], 0 offset:176 ; 4-byte Folded Reload
	buffer_load_dword v104, off, s[20:23], 0 offset:180 ; 4-byte Folded Reload
	;; [unrolled: 1-line block ×8, first 2 shown]
	s_waitcnt vmcnt(2)
	v_mul_f64 v[99:100], v[69:70], v[105:106]
	s_waitcnt vmcnt(0)
	v_mul_f64 v[97:98], v[71:72], v[105:106]
	v_fma_f64 v[105:106], v[71:72], v[103:104], v[99:100]
	ds_read2_b64 v[99:102], v125 offset0:38 offset1:39
	v_fma_f64 v[97:98], v[69:70], v[103:104], -v[97:98]
	buffer_load_dword v69, off, s[20:23], 0 offset:160 ; 4-byte Folded Reload
	buffer_load_dword v70, off, s[20:23], 0 offset:164 ; 4-byte Folded Reload
	buffer_load_dword v71, off, s[20:23], 0 offset:168 ; 4-byte Folded Reload
	buffer_load_dword v72, off, s[20:23], 0 offset:172 ; 4-byte Folded Reload
	s_waitcnt lgkmcnt(0)
	v_mul_f64 v[103:104], v[101:102], v[105:106]
	v_fma_f64 v[103:104], v[99:100], v[97:98], -v[103:104]
	v_mul_f64 v[99:100], v[99:100], v[105:106]
	v_fma_f64 v[99:100], v[101:102], v[97:98], v[99:100]
	s_waitcnt vmcnt(2)
	v_add_f64 v[69:70], v[69:70], -v[103:104]
	s_waitcnt vmcnt(0)
	v_add_f64 v[71:72], v[71:72], -v[99:100]
	buffer_store_dword v69, off, s[20:23], 0 offset:160 ; 4-byte Folded Spill
	s_nop 0
	buffer_store_dword v70, off, s[20:23], 0 offset:164 ; 4-byte Folded Spill
	buffer_store_dword v71, off, s[20:23], 0 offset:168 ; 4-byte Folded Spill
	buffer_store_dword v72, off, s[20:23], 0 offset:172 ; 4-byte Folded Spill
	ds_read2_b64 v[99:102], v125 offset0:40 offset1:41
	buffer_load_dword v69, off, s[20:23], 0 offset:144 ; 4-byte Folded Reload
	buffer_load_dword v70, off, s[20:23], 0 offset:148 ; 4-byte Folded Reload
	buffer_load_dword v71, off, s[20:23], 0 offset:152 ; 4-byte Folded Reload
	buffer_load_dword v72, off, s[20:23], 0 offset:156 ; 4-byte Folded Reload
	s_waitcnt lgkmcnt(0)
	v_mul_f64 v[103:104], v[101:102], v[105:106]
	v_fma_f64 v[103:104], v[99:100], v[97:98], -v[103:104]
	v_mul_f64 v[99:100], v[99:100], v[105:106]
	v_fma_f64 v[99:100], v[101:102], v[97:98], v[99:100]
	s_waitcnt vmcnt(2)
	v_add_f64 v[69:70], v[69:70], -v[103:104]
	s_waitcnt vmcnt(0)
	v_add_f64 v[71:72], v[71:72], -v[99:100]
	buffer_store_dword v69, off, s[20:23], 0 offset:144 ; 4-byte Folded Spill
	s_nop 0
	buffer_store_dword v70, off, s[20:23], 0 offset:148 ; 4-byte Folded Spill
	buffer_store_dword v71, off, s[20:23], 0 offset:152 ; 4-byte Folded Spill
	buffer_store_dword v72, off, s[20:23], 0 offset:156 ; 4-byte Folded Spill
	ds_read2_b64 v[99:102], v125 offset0:42 offset1:43
	;; [unrolled: 19-line block ×8, first 2 shown]
	v_mov_b32_e32 v69, v73
	v_mov_b32_e32 v70, v74
	;; [unrolled: 1-line block ×4, first 2 shown]
	s_waitcnt lgkmcnt(0)
	v_mul_f64 v[103:104], v[101:102], v[105:106]
	v_fma_f64 v[103:104], v[99:100], v[97:98], -v[103:104]
	v_mul_f64 v[99:100], v[99:100], v[105:106]
	v_add_f64 v[117:118], v[117:118], -v[103:104]
	v_fma_f64 v[99:100], v[101:102], v[97:98], v[99:100]
	v_add_f64 v[119:120], v[119:120], -v[99:100]
	ds_read2_b64 v[99:102], v125 offset0:56 offset1:57
	s_waitcnt lgkmcnt(0)
	v_mul_f64 v[103:104], v[101:102], v[105:106]
	v_fma_f64 v[103:104], v[99:100], v[97:98], -v[103:104]
	v_mul_f64 v[99:100], v[99:100], v[105:106]
	v_add_f64 v[121:122], v[121:122], -v[103:104]
	v_fma_f64 v[99:100], v[101:102], v[97:98], v[99:100]
	v_add_f64 v[123:124], v[123:124], -v[99:100]
	ds_read2_b64 v[99:102], v125 offset0:58 offset1:59
	s_waitcnt lgkmcnt(0)
	v_mul_f64 v[103:104], v[101:102], v[105:106]
	v_fma_f64 v[103:104], v[99:100], v[97:98], -v[103:104]
	v_mul_f64 v[99:100], v[99:100], v[105:106]
	v_add_f64 v[109:110], v[109:110], -v[103:104]
	v_fma_f64 v[99:100], v[101:102], v[97:98], v[99:100]
	v_add_f64 v[111:112], v[111:112], -v[99:100]
	ds_read2_b64 v[99:102], v125 offset0:60 offset1:61
	s_waitcnt lgkmcnt(0)
	v_mul_f64 v[103:104], v[101:102], v[105:106]
	v_fma_f64 v[103:104], v[99:100], v[97:98], -v[103:104]
	v_mul_f64 v[99:100], v[99:100], v[105:106]
	v_add_f64 v[113:114], v[113:114], -v[103:104]
	v_fma_f64 v[99:100], v[101:102], v[97:98], v[99:100]
	v_add_f64 v[115:116], v[115:116], -v[99:100]
	ds_read2_b64 v[99:102], v125 offset0:62 offset1:63
	s_waitcnt lgkmcnt(0)
	v_mul_f64 v[103:104], v[101:102], v[105:106]
	v_fma_f64 v[103:104], v[99:100], v[97:98], -v[103:104]
	v_mul_f64 v[99:100], v[99:100], v[105:106]
	v_add_f64 v[93:94], v[93:94], -v[103:104]
	v_fma_f64 v[99:100], v[101:102], v[97:98], v[99:100]
	v_add_f64 v[95:96], v[95:96], -v[99:100]
	ds_read2_b64 v[99:102], v125 offset0:64 offset1:65
	buffer_load_dword v77, off, s[20:23], 0 offset:32 ; 4-byte Folded Reload
	buffer_load_dword v78, off, s[20:23], 0 offset:36 ; 4-byte Folded Reload
	;; [unrolled: 1-line block ×4, first 2 shown]
	s_waitcnt lgkmcnt(0)
	v_mul_f64 v[103:104], v[101:102], v[105:106]
	v_fma_f64 v[103:104], v[99:100], v[97:98], -v[103:104]
	v_mul_f64 v[99:100], v[99:100], v[105:106]
	v_fma_f64 v[99:100], v[101:102], v[97:98], v[99:100]
	s_waitcnt vmcnt(2)
	v_add_f64 v[77:78], v[77:78], -v[103:104]
	s_waitcnt vmcnt(0)
	v_add_f64 v[79:80], v[79:80], -v[99:100]
	buffer_store_dword v77, off, s[20:23], 0 offset:32 ; 4-byte Folded Spill
	s_nop 0
	buffer_store_dword v78, off, s[20:23], 0 offset:36 ; 4-byte Folded Spill
	buffer_store_dword v79, off, s[20:23], 0 offset:40 ; 4-byte Folded Spill
	;; [unrolled: 1-line block ×3, first 2 shown]
	ds_read2_b64 v[99:102], v125 offset0:66 offset1:67
	buffer_load_dword v73, off, s[20:23], 0 offset:16 ; 4-byte Folded Reload
	buffer_load_dword v74, off, s[20:23], 0 offset:20 ; 4-byte Folded Reload
	;; [unrolled: 1-line block ×4, first 2 shown]
	s_waitcnt lgkmcnt(0)
	v_mul_f64 v[103:104], v[101:102], v[105:106]
	v_fma_f64 v[103:104], v[99:100], v[97:98], -v[103:104]
	v_mul_f64 v[99:100], v[99:100], v[105:106]
	v_fma_f64 v[99:100], v[101:102], v[97:98], v[99:100]
	s_waitcnt vmcnt(2)
	v_add_f64 v[73:74], v[73:74], -v[103:104]
	s_waitcnt vmcnt(0)
	v_add_f64 v[75:76], v[75:76], -v[99:100]
	buffer_store_dword v73, off, s[20:23], 0 offset:16 ; 4-byte Folded Spill
	s_nop 0
	buffer_store_dword v74, off, s[20:23], 0 offset:20 ; 4-byte Folded Spill
	buffer_store_dword v75, off, s[20:23], 0 offset:24 ; 4-byte Folded Spill
	;; [unrolled: 1-line block ×3, first 2 shown]
	v_mov_b32_e32 v76, v72
	v_mov_b32_e32 v75, v71
	;; [unrolled: 1-line block ×4, first 2 shown]
	ds_read2_b64 v[99:102], v125 offset0:68 offset1:69
	buffer_load_dword v69, off, s[20:23], 0 ; 4-byte Folded Reload
	buffer_load_dword v70, off, s[20:23], 0 offset:4 ; 4-byte Folded Reload
	buffer_load_dword v71, off, s[20:23], 0 offset:8 ; 4-byte Folded Reload
	;; [unrolled: 1-line block ×3, first 2 shown]
	s_waitcnt lgkmcnt(0)
	v_mul_f64 v[103:104], v[101:102], v[105:106]
	v_fma_f64 v[103:104], v[99:100], v[97:98], -v[103:104]
	v_mul_f64 v[99:100], v[99:100], v[105:106]
	v_fma_f64 v[99:100], v[101:102], v[97:98], v[99:100]
	s_waitcnt vmcnt(2)
	v_add_f64 v[69:70], v[69:70], -v[103:104]
	s_waitcnt vmcnt(0)
	v_add_f64 v[71:72], v[71:72], -v[99:100]
	buffer_store_dword v69, off, s[20:23], 0 ; 4-byte Folded Spill
	s_nop 0
	buffer_store_dword v70, off, s[20:23], 0 offset:4 ; 4-byte Folded Spill
	buffer_store_dword v71, off, s[20:23], 0 offset:8 ; 4-byte Folded Spill
	;; [unrolled: 1-line block ×3, first 2 shown]
	ds_read2_b64 v[99:102], v125 offset0:70 offset1:71
	s_waitcnt lgkmcnt(0)
	v_mul_f64 v[103:104], v[101:102], v[105:106]
	v_fma_f64 v[103:104], v[99:100], v[97:98], -v[103:104]
	v_mul_f64 v[99:100], v[99:100], v[105:106]
	v_add_f64 v[65:66], v[65:66], -v[103:104]
	v_fma_f64 v[99:100], v[101:102], v[97:98], v[99:100]
	v_add_f64 v[67:68], v[67:68], -v[99:100]
	ds_read2_b64 v[99:102], v125 offset0:72 offset1:73
	s_waitcnt lgkmcnt(0)
	v_mul_f64 v[103:104], v[101:102], v[105:106]
	v_fma_f64 v[103:104], v[99:100], v[97:98], -v[103:104]
	v_mul_f64 v[99:100], v[99:100], v[105:106]
	v_add_f64 v[61:62], v[61:62], -v[103:104]
	v_fma_f64 v[99:100], v[101:102], v[97:98], v[99:100]
	v_add_f64 v[63:64], v[63:64], -v[99:100]
	;; [unrolled: 8-line block ×17, first 2 shown]
	ds_read2_b64 v[99:102], v125 offset0:104 offset1:105
	s_waitcnt lgkmcnt(0)
	v_mul_f64 v[103:104], v[101:102], v[105:106]
	v_fma_f64 v[103:104], v[99:100], v[97:98], -v[103:104]
	v_mul_f64 v[99:100], v[99:100], v[105:106]
	v_add_f64 v[73:74], v[73:74], -v[103:104]
	v_fma_f64 v[99:100], v[101:102], v[97:98], v[99:100]
	v_mov_b32_e32 v104, v98
	v_mov_b32_e32 v103, v97
	buffer_store_dword v103, off, s[20:23], 0 offset:176 ; 4-byte Folded Spill
	s_nop 0
	buffer_store_dword v104, off, s[20:23], 0 offset:180 ; 4-byte Folded Spill
	buffer_store_dword v105, off, s[20:23], 0 offset:184 ; 4-byte Folded Spill
	;; [unrolled: 1-line block ×3, first 2 shown]
	v_add_f64 v[75:76], v[75:76], -v[99:100]
.LBB105_172:
	s_or_b64 exec, exec, s[2:3]
	v_cmp_eq_u32_e32 vcc, 19, v0
	s_waitcnt vmcnt(0)
	s_barrier
	s_and_saveexec_b64 s[4:5], vcc
	s_cbranch_execz .LBB105_179
; %bb.173:
	buffer_load_dword v69, off, s[20:23], 0 offset:160 ; 4-byte Folded Reload
	buffer_load_dword v70, off, s[20:23], 0 offset:164 ; 4-byte Folded Reload
	buffer_load_dword v71, off, s[20:23], 0 offset:168 ; 4-byte Folded Reload
	buffer_load_dword v72, off, s[20:23], 0 offset:172 ; 4-byte Folded Reload
	s_waitcnt vmcnt(0)
	ds_write2_b64 v127, v[69:70], v[71:72] offset1:1
	buffer_load_dword v69, off, s[20:23], 0 offset:144 ; 4-byte Folded Reload
	buffer_load_dword v70, off, s[20:23], 0 offset:148 ; 4-byte Folded Reload
	buffer_load_dword v71, off, s[20:23], 0 offset:152 ; 4-byte Folded Reload
	buffer_load_dword v72, off, s[20:23], 0 offset:156 ; 4-byte Folded Reload
	s_waitcnt vmcnt(0)
	ds_write2_b64 v125, v[69:70], v[71:72] offset0:40 offset1:41
	buffer_load_dword v69, off, s[20:23], 0 offset:128 ; 4-byte Folded Reload
	buffer_load_dword v70, off, s[20:23], 0 offset:132 ; 4-byte Folded Reload
	buffer_load_dword v71, off, s[20:23], 0 offset:136 ; 4-byte Folded Reload
	buffer_load_dword v72, off, s[20:23], 0 offset:140 ; 4-byte Folded Reload
	s_waitcnt vmcnt(0)
	ds_write2_b64 v125, v[69:70], v[71:72] offset0:42 offset1:43
	;; [unrolled: 6-line block ×7, first 2 shown]
	ds_write2_b64 v125, v[117:118], v[119:120] offset0:54 offset1:55
	ds_write2_b64 v125, v[121:122], v[123:124] offset0:56 offset1:57
	;; [unrolled: 1-line block ×5, first 2 shown]
	buffer_load_dword v77, off, s[20:23], 0 offset:32 ; 4-byte Folded Reload
	buffer_load_dword v78, off, s[20:23], 0 offset:36 ; 4-byte Folded Reload
	;; [unrolled: 1-line block ×4, first 2 shown]
	v_mov_b32_e32 v69, v73
	v_mov_b32_e32 v70, v74
	;; [unrolled: 1-line block ×4, first 2 shown]
	s_waitcnt vmcnt(0)
	ds_write2_b64 v125, v[77:78], v[79:80] offset0:64 offset1:65
	buffer_load_dword v73, off, s[20:23], 0 offset:16 ; 4-byte Folded Reload
	buffer_load_dword v74, off, s[20:23], 0 offset:20 ; 4-byte Folded Reload
	;; [unrolled: 1-line block ×4, first 2 shown]
	s_waitcnt vmcnt(0)
	ds_write2_b64 v125, v[73:74], v[75:76] offset0:66 offset1:67
	v_mov_b32_e32 v76, v72
	v_mov_b32_e32 v75, v71
	v_mov_b32_e32 v74, v70
	v_mov_b32_e32 v73, v69
	buffer_load_dword v69, off, s[20:23], 0 ; 4-byte Folded Reload
	buffer_load_dword v70, off, s[20:23], 0 offset:4 ; 4-byte Folded Reload
	buffer_load_dword v71, off, s[20:23], 0 offset:8 ; 4-byte Folded Reload
	buffer_load_dword v72, off, s[20:23], 0 offset:12 ; 4-byte Folded Reload
	s_waitcnt vmcnt(0)
	ds_write2_b64 v125, v[69:70], v[71:72] offset0:68 offset1:69
	ds_write2_b64 v125, v[65:66], v[67:68] offset0:70 offset1:71
	;; [unrolled: 1-line block ×19, first 2 shown]
	ds_read2_b64 v[97:100], v127 offset1:1
	s_waitcnt lgkmcnt(0)
	v_cmp_neq_f64_e32 vcc, 0, v[97:98]
	v_cmp_neq_f64_e64 s[2:3], 0, v[99:100]
	s_or_b64 s[2:3], vcc, s[2:3]
	s_and_b64 exec, exec, s[2:3]
	s_cbranch_execz .LBB105_179
; %bb.174:
	v_cmp_ngt_f64_e64 s[2:3], |v[97:98]|, |v[99:100]|
                                        ; implicit-def: $vgpr101_vgpr102
	s_and_saveexec_b64 s[6:7], s[2:3]
	s_xor_b64 s[2:3], exec, s[6:7]
                                        ; implicit-def: $vgpr103_vgpr104
	s_cbranch_execz .LBB105_176
; %bb.175:
	v_div_scale_f64 v[101:102], s[6:7], v[99:100], v[99:100], v[97:98]
	v_rcp_f64_e32 v[103:104], v[101:102]
	v_fma_f64 v[105:106], -v[101:102], v[103:104], 1.0
	v_fma_f64 v[103:104], v[103:104], v[105:106], v[103:104]
	v_div_scale_f64 v[105:106], vcc, v[97:98], v[99:100], v[97:98]
	v_fma_f64 v[107:108], -v[101:102], v[103:104], 1.0
	v_fma_f64 v[103:104], v[103:104], v[107:108], v[103:104]
	v_mul_f64 v[107:108], v[105:106], v[103:104]
	v_fma_f64 v[101:102], -v[101:102], v[107:108], v[105:106]
	v_div_fmas_f64 v[101:102], v[101:102], v[103:104], v[107:108]
	v_div_fixup_f64 v[101:102], v[101:102], v[99:100], v[97:98]
	v_fma_f64 v[97:98], v[97:98], v[101:102], v[99:100]
	v_div_scale_f64 v[99:100], s[6:7], v[97:98], v[97:98], 1.0
	v_div_scale_f64 v[107:108], vcc, 1.0, v[97:98], 1.0
	v_rcp_f64_e32 v[103:104], v[99:100]
	v_fma_f64 v[105:106], -v[99:100], v[103:104], 1.0
	v_fma_f64 v[103:104], v[103:104], v[105:106], v[103:104]
	v_fma_f64 v[105:106], -v[99:100], v[103:104], 1.0
	v_fma_f64 v[103:104], v[103:104], v[105:106], v[103:104]
	v_mul_f64 v[105:106], v[107:108], v[103:104]
	v_fma_f64 v[99:100], -v[99:100], v[105:106], v[107:108]
	v_div_fmas_f64 v[99:100], v[99:100], v[103:104], v[105:106]
	v_div_fixup_f64 v[103:104], v[99:100], v[97:98], 1.0
                                        ; implicit-def: $vgpr97_vgpr98
	v_mul_f64 v[101:102], v[101:102], v[103:104]
	v_xor_b32_e32 v104, 0x80000000, v104
.LBB105_176:
	s_andn2_saveexec_b64 s[2:3], s[2:3]
	s_cbranch_execz .LBB105_178
; %bb.177:
	v_div_scale_f64 v[101:102], s[6:7], v[97:98], v[97:98], v[99:100]
	v_rcp_f64_e32 v[103:104], v[101:102]
	v_fma_f64 v[105:106], -v[101:102], v[103:104], 1.0
	v_fma_f64 v[103:104], v[103:104], v[105:106], v[103:104]
	v_div_scale_f64 v[105:106], vcc, v[99:100], v[97:98], v[99:100]
	v_fma_f64 v[107:108], -v[101:102], v[103:104], 1.0
	v_fma_f64 v[103:104], v[103:104], v[107:108], v[103:104]
	v_mul_f64 v[107:108], v[105:106], v[103:104]
	v_fma_f64 v[101:102], -v[101:102], v[107:108], v[105:106]
	v_div_fmas_f64 v[101:102], v[101:102], v[103:104], v[107:108]
	v_div_fixup_f64 v[103:104], v[101:102], v[97:98], v[99:100]
	v_fma_f64 v[97:98], v[99:100], v[103:104], v[97:98]
	v_div_scale_f64 v[99:100], s[6:7], v[97:98], v[97:98], 1.0
	v_div_scale_f64 v[107:108], vcc, 1.0, v[97:98], 1.0
	v_rcp_f64_e32 v[101:102], v[99:100]
	v_fma_f64 v[105:106], -v[99:100], v[101:102], 1.0
	v_fma_f64 v[101:102], v[101:102], v[105:106], v[101:102]
	v_fma_f64 v[105:106], -v[99:100], v[101:102], 1.0
	v_fma_f64 v[101:102], v[101:102], v[105:106], v[101:102]
	v_mul_f64 v[105:106], v[107:108], v[101:102]
	v_fma_f64 v[99:100], -v[99:100], v[105:106], v[107:108]
	v_div_fmas_f64 v[99:100], v[99:100], v[101:102], v[105:106]
	v_div_fixup_f64 v[101:102], v[99:100], v[97:98], 1.0
	v_mul_f64 v[103:104], v[103:104], -v[101:102]
.LBB105_178:
	s_or_b64 exec, exec, s[2:3]
	ds_write2_b64 v127, v[101:102], v[103:104] offset1:1
.LBB105_179:
	s_or_b64 exec, exec, s[4:5]
	s_waitcnt lgkmcnt(0)
	s_barrier
	ds_read2_b64 v[69:72], v127 offset1:1
	v_cmp_lt_u32_e32 vcc, 19, v0
	s_waitcnt lgkmcnt(0)
	buffer_store_dword v69, off, s[20:23], 0 offset:1200 ; 4-byte Folded Spill
	s_nop 0
	buffer_store_dword v70, off, s[20:23], 0 offset:1204 ; 4-byte Folded Spill
	buffer_store_dword v71, off, s[20:23], 0 offset:1208 ; 4-byte Folded Spill
	;; [unrolled: 1-line block ×3, first 2 shown]
	s_and_saveexec_b64 s[2:3], vcc
	s_cbranch_execz .LBB105_181
; %bb.180:
	buffer_load_dword v103, off, s[20:23], 0 offset:160 ; 4-byte Folded Reload
	buffer_load_dword v104, off, s[20:23], 0 offset:164 ; 4-byte Folded Reload
	;; [unrolled: 1-line block ×8, first 2 shown]
	s_waitcnt vmcnt(2)
	v_mul_f64 v[99:100], v[69:70], v[105:106]
	s_waitcnt vmcnt(0)
	v_mul_f64 v[97:98], v[71:72], v[105:106]
	v_fma_f64 v[105:106], v[71:72], v[103:104], v[99:100]
	ds_read2_b64 v[99:102], v125 offset0:40 offset1:41
	v_fma_f64 v[97:98], v[69:70], v[103:104], -v[97:98]
	buffer_load_dword v69, off, s[20:23], 0 offset:144 ; 4-byte Folded Reload
	buffer_load_dword v70, off, s[20:23], 0 offset:148 ; 4-byte Folded Reload
	buffer_load_dword v71, off, s[20:23], 0 offset:152 ; 4-byte Folded Reload
	buffer_load_dword v72, off, s[20:23], 0 offset:156 ; 4-byte Folded Reload
	s_waitcnt lgkmcnt(0)
	v_mul_f64 v[103:104], v[101:102], v[105:106]
	v_fma_f64 v[103:104], v[99:100], v[97:98], -v[103:104]
	v_mul_f64 v[99:100], v[99:100], v[105:106]
	v_fma_f64 v[99:100], v[101:102], v[97:98], v[99:100]
	s_waitcnt vmcnt(2)
	v_add_f64 v[69:70], v[69:70], -v[103:104]
	s_waitcnt vmcnt(0)
	v_add_f64 v[71:72], v[71:72], -v[99:100]
	buffer_store_dword v69, off, s[20:23], 0 offset:144 ; 4-byte Folded Spill
	s_nop 0
	buffer_store_dword v70, off, s[20:23], 0 offset:148 ; 4-byte Folded Spill
	buffer_store_dword v71, off, s[20:23], 0 offset:152 ; 4-byte Folded Spill
	buffer_store_dword v72, off, s[20:23], 0 offset:156 ; 4-byte Folded Spill
	ds_read2_b64 v[99:102], v125 offset0:42 offset1:43
	buffer_load_dword v69, off, s[20:23], 0 offset:128 ; 4-byte Folded Reload
	buffer_load_dword v70, off, s[20:23], 0 offset:132 ; 4-byte Folded Reload
	buffer_load_dword v71, off, s[20:23], 0 offset:136 ; 4-byte Folded Reload
	buffer_load_dword v72, off, s[20:23], 0 offset:140 ; 4-byte Folded Reload
	s_waitcnt lgkmcnt(0)
	v_mul_f64 v[103:104], v[101:102], v[105:106]
	v_fma_f64 v[103:104], v[99:100], v[97:98], -v[103:104]
	v_mul_f64 v[99:100], v[99:100], v[105:106]
	v_fma_f64 v[99:100], v[101:102], v[97:98], v[99:100]
	s_waitcnt vmcnt(2)
	v_add_f64 v[69:70], v[69:70], -v[103:104]
	s_waitcnt vmcnt(0)
	v_add_f64 v[71:72], v[71:72], -v[99:100]
	buffer_store_dword v69, off, s[20:23], 0 offset:128 ; 4-byte Folded Spill
	s_nop 0
	buffer_store_dword v70, off, s[20:23], 0 offset:132 ; 4-byte Folded Spill
	buffer_store_dword v71, off, s[20:23], 0 offset:136 ; 4-byte Folded Spill
	buffer_store_dword v72, off, s[20:23], 0 offset:140 ; 4-byte Folded Spill
	ds_read2_b64 v[99:102], v125 offset0:44 offset1:45
	;; [unrolled: 19-line block ×7, first 2 shown]
	v_mov_b32_e32 v69, v73
	v_mov_b32_e32 v70, v74
	;; [unrolled: 1-line block ×4, first 2 shown]
	s_waitcnt lgkmcnt(0)
	v_mul_f64 v[103:104], v[101:102], v[105:106]
	v_fma_f64 v[103:104], v[99:100], v[97:98], -v[103:104]
	v_mul_f64 v[99:100], v[99:100], v[105:106]
	v_add_f64 v[117:118], v[117:118], -v[103:104]
	v_fma_f64 v[99:100], v[101:102], v[97:98], v[99:100]
	v_add_f64 v[119:120], v[119:120], -v[99:100]
	ds_read2_b64 v[99:102], v125 offset0:56 offset1:57
	s_waitcnt lgkmcnt(0)
	v_mul_f64 v[103:104], v[101:102], v[105:106]
	v_fma_f64 v[103:104], v[99:100], v[97:98], -v[103:104]
	v_mul_f64 v[99:100], v[99:100], v[105:106]
	v_add_f64 v[121:122], v[121:122], -v[103:104]
	v_fma_f64 v[99:100], v[101:102], v[97:98], v[99:100]
	v_add_f64 v[123:124], v[123:124], -v[99:100]
	ds_read2_b64 v[99:102], v125 offset0:58 offset1:59
	;; [unrolled: 8-line block ×5, first 2 shown]
	buffer_load_dword v77, off, s[20:23], 0 offset:32 ; 4-byte Folded Reload
	buffer_load_dword v78, off, s[20:23], 0 offset:36 ; 4-byte Folded Reload
	buffer_load_dword v79, off, s[20:23], 0 offset:40 ; 4-byte Folded Reload
	buffer_load_dword v80, off, s[20:23], 0 offset:44 ; 4-byte Folded Reload
	s_waitcnt lgkmcnt(0)
	v_mul_f64 v[103:104], v[101:102], v[105:106]
	v_fma_f64 v[103:104], v[99:100], v[97:98], -v[103:104]
	v_mul_f64 v[99:100], v[99:100], v[105:106]
	v_fma_f64 v[99:100], v[101:102], v[97:98], v[99:100]
	s_waitcnt vmcnt(2)
	v_add_f64 v[77:78], v[77:78], -v[103:104]
	s_waitcnt vmcnt(0)
	v_add_f64 v[79:80], v[79:80], -v[99:100]
	buffer_store_dword v77, off, s[20:23], 0 offset:32 ; 4-byte Folded Spill
	s_nop 0
	buffer_store_dword v78, off, s[20:23], 0 offset:36 ; 4-byte Folded Spill
	buffer_store_dword v79, off, s[20:23], 0 offset:40 ; 4-byte Folded Spill
	;; [unrolled: 1-line block ×3, first 2 shown]
	ds_read2_b64 v[99:102], v125 offset0:66 offset1:67
	buffer_load_dword v73, off, s[20:23], 0 offset:16 ; 4-byte Folded Reload
	buffer_load_dword v74, off, s[20:23], 0 offset:20 ; 4-byte Folded Reload
	;; [unrolled: 1-line block ×4, first 2 shown]
	s_waitcnt lgkmcnt(0)
	v_mul_f64 v[103:104], v[101:102], v[105:106]
	v_fma_f64 v[103:104], v[99:100], v[97:98], -v[103:104]
	v_mul_f64 v[99:100], v[99:100], v[105:106]
	v_fma_f64 v[99:100], v[101:102], v[97:98], v[99:100]
	s_waitcnt vmcnt(2)
	v_add_f64 v[73:74], v[73:74], -v[103:104]
	s_waitcnt vmcnt(0)
	v_add_f64 v[75:76], v[75:76], -v[99:100]
	buffer_store_dword v73, off, s[20:23], 0 offset:16 ; 4-byte Folded Spill
	s_nop 0
	buffer_store_dword v74, off, s[20:23], 0 offset:20 ; 4-byte Folded Spill
	buffer_store_dword v75, off, s[20:23], 0 offset:24 ; 4-byte Folded Spill
	;; [unrolled: 1-line block ×3, first 2 shown]
	v_mov_b32_e32 v76, v72
	v_mov_b32_e32 v75, v71
	;; [unrolled: 1-line block ×4, first 2 shown]
	ds_read2_b64 v[99:102], v125 offset0:68 offset1:69
	buffer_load_dword v69, off, s[20:23], 0 ; 4-byte Folded Reload
	buffer_load_dword v70, off, s[20:23], 0 offset:4 ; 4-byte Folded Reload
	buffer_load_dword v71, off, s[20:23], 0 offset:8 ; 4-byte Folded Reload
	;; [unrolled: 1-line block ×3, first 2 shown]
	s_waitcnt lgkmcnt(0)
	v_mul_f64 v[103:104], v[101:102], v[105:106]
	v_fma_f64 v[103:104], v[99:100], v[97:98], -v[103:104]
	v_mul_f64 v[99:100], v[99:100], v[105:106]
	v_fma_f64 v[99:100], v[101:102], v[97:98], v[99:100]
	s_waitcnt vmcnt(2)
	v_add_f64 v[69:70], v[69:70], -v[103:104]
	s_waitcnt vmcnt(0)
	v_add_f64 v[71:72], v[71:72], -v[99:100]
	buffer_store_dword v69, off, s[20:23], 0 ; 4-byte Folded Spill
	s_nop 0
	buffer_store_dword v70, off, s[20:23], 0 offset:4 ; 4-byte Folded Spill
	buffer_store_dword v71, off, s[20:23], 0 offset:8 ; 4-byte Folded Spill
	buffer_store_dword v72, off, s[20:23], 0 offset:12 ; 4-byte Folded Spill
	ds_read2_b64 v[99:102], v125 offset0:70 offset1:71
	s_waitcnt lgkmcnt(0)
	v_mul_f64 v[103:104], v[101:102], v[105:106]
	v_fma_f64 v[103:104], v[99:100], v[97:98], -v[103:104]
	v_mul_f64 v[99:100], v[99:100], v[105:106]
	v_add_f64 v[65:66], v[65:66], -v[103:104]
	v_fma_f64 v[99:100], v[101:102], v[97:98], v[99:100]
	v_add_f64 v[67:68], v[67:68], -v[99:100]
	ds_read2_b64 v[99:102], v125 offset0:72 offset1:73
	s_waitcnt lgkmcnt(0)
	v_mul_f64 v[103:104], v[101:102], v[105:106]
	v_fma_f64 v[103:104], v[99:100], v[97:98], -v[103:104]
	v_mul_f64 v[99:100], v[99:100], v[105:106]
	v_add_f64 v[61:62], v[61:62], -v[103:104]
	v_fma_f64 v[99:100], v[101:102], v[97:98], v[99:100]
	v_add_f64 v[63:64], v[63:64], -v[99:100]
	;; [unrolled: 8-line block ×17, first 2 shown]
	ds_read2_b64 v[99:102], v125 offset0:104 offset1:105
	s_waitcnt lgkmcnt(0)
	v_mul_f64 v[103:104], v[101:102], v[105:106]
	v_fma_f64 v[103:104], v[99:100], v[97:98], -v[103:104]
	v_mul_f64 v[99:100], v[99:100], v[105:106]
	v_add_f64 v[73:74], v[73:74], -v[103:104]
	v_fma_f64 v[99:100], v[101:102], v[97:98], v[99:100]
	v_mov_b32_e32 v104, v98
	v_mov_b32_e32 v103, v97
	buffer_store_dword v103, off, s[20:23], 0 offset:160 ; 4-byte Folded Spill
	s_nop 0
	buffer_store_dword v104, off, s[20:23], 0 offset:164 ; 4-byte Folded Spill
	buffer_store_dword v105, off, s[20:23], 0 offset:168 ; 4-byte Folded Spill
	;; [unrolled: 1-line block ×3, first 2 shown]
	v_add_f64 v[75:76], v[75:76], -v[99:100]
.LBB105_181:
	s_or_b64 exec, exec, s[2:3]
	v_cmp_eq_u32_e32 vcc, 20, v0
	s_waitcnt vmcnt(0)
	s_barrier
	s_and_saveexec_b64 s[4:5], vcc
	s_cbranch_execz .LBB105_188
; %bb.182:
	buffer_load_dword v69, off, s[20:23], 0 offset:144 ; 4-byte Folded Reload
	buffer_load_dword v70, off, s[20:23], 0 offset:148 ; 4-byte Folded Reload
	;; [unrolled: 1-line block ×4, first 2 shown]
	s_waitcnt vmcnt(0)
	ds_write2_b64 v127, v[69:70], v[71:72] offset1:1
	buffer_load_dword v69, off, s[20:23], 0 offset:128 ; 4-byte Folded Reload
	buffer_load_dword v70, off, s[20:23], 0 offset:132 ; 4-byte Folded Reload
	buffer_load_dword v71, off, s[20:23], 0 offset:136 ; 4-byte Folded Reload
	buffer_load_dword v72, off, s[20:23], 0 offset:140 ; 4-byte Folded Reload
	s_waitcnt vmcnt(0)
	ds_write2_b64 v125, v[69:70], v[71:72] offset0:42 offset1:43
	buffer_load_dword v69, off, s[20:23], 0 offset:112 ; 4-byte Folded Reload
	buffer_load_dword v70, off, s[20:23], 0 offset:116 ; 4-byte Folded Reload
	buffer_load_dword v71, off, s[20:23], 0 offset:120 ; 4-byte Folded Reload
	buffer_load_dword v72, off, s[20:23], 0 offset:124 ; 4-byte Folded Reload
	s_waitcnt vmcnt(0)
	ds_write2_b64 v125, v[69:70], v[71:72] offset0:44 offset1:45
	;; [unrolled: 6-line block ×6, first 2 shown]
	ds_write2_b64 v125, v[117:118], v[119:120] offset0:54 offset1:55
	ds_write2_b64 v125, v[121:122], v[123:124] offset0:56 offset1:57
	;; [unrolled: 1-line block ×5, first 2 shown]
	buffer_load_dword v77, off, s[20:23], 0 offset:32 ; 4-byte Folded Reload
	buffer_load_dword v78, off, s[20:23], 0 offset:36 ; 4-byte Folded Reload
	;; [unrolled: 1-line block ×4, first 2 shown]
	v_mov_b32_e32 v69, v73
	v_mov_b32_e32 v70, v74
	;; [unrolled: 1-line block ×4, first 2 shown]
	s_waitcnt vmcnt(0)
	ds_write2_b64 v125, v[77:78], v[79:80] offset0:64 offset1:65
	buffer_load_dword v73, off, s[20:23], 0 offset:16 ; 4-byte Folded Reload
	buffer_load_dword v74, off, s[20:23], 0 offset:20 ; 4-byte Folded Reload
	;; [unrolled: 1-line block ×4, first 2 shown]
	s_waitcnt vmcnt(0)
	ds_write2_b64 v125, v[73:74], v[75:76] offset0:66 offset1:67
	v_mov_b32_e32 v76, v72
	v_mov_b32_e32 v75, v71
	;; [unrolled: 1-line block ×4, first 2 shown]
	buffer_load_dword v69, off, s[20:23], 0 ; 4-byte Folded Reload
	buffer_load_dword v70, off, s[20:23], 0 offset:4 ; 4-byte Folded Reload
	buffer_load_dword v71, off, s[20:23], 0 offset:8 ; 4-byte Folded Reload
	;; [unrolled: 1-line block ×3, first 2 shown]
	s_waitcnt vmcnt(0)
	ds_write2_b64 v125, v[69:70], v[71:72] offset0:68 offset1:69
	ds_write2_b64 v125, v[65:66], v[67:68] offset0:70 offset1:71
	;; [unrolled: 1-line block ×19, first 2 shown]
	ds_read2_b64 v[97:100], v127 offset1:1
	s_waitcnt lgkmcnt(0)
	v_cmp_neq_f64_e32 vcc, 0, v[97:98]
	v_cmp_neq_f64_e64 s[2:3], 0, v[99:100]
	s_or_b64 s[2:3], vcc, s[2:3]
	s_and_b64 exec, exec, s[2:3]
	s_cbranch_execz .LBB105_188
; %bb.183:
	v_cmp_ngt_f64_e64 s[2:3], |v[97:98]|, |v[99:100]|
                                        ; implicit-def: $vgpr101_vgpr102
	s_and_saveexec_b64 s[6:7], s[2:3]
	s_xor_b64 s[2:3], exec, s[6:7]
                                        ; implicit-def: $vgpr103_vgpr104
	s_cbranch_execz .LBB105_185
; %bb.184:
	v_div_scale_f64 v[101:102], s[6:7], v[99:100], v[99:100], v[97:98]
	v_rcp_f64_e32 v[103:104], v[101:102]
	v_fma_f64 v[105:106], -v[101:102], v[103:104], 1.0
	v_fma_f64 v[103:104], v[103:104], v[105:106], v[103:104]
	v_div_scale_f64 v[105:106], vcc, v[97:98], v[99:100], v[97:98]
	v_fma_f64 v[107:108], -v[101:102], v[103:104], 1.0
	v_fma_f64 v[103:104], v[103:104], v[107:108], v[103:104]
	v_mul_f64 v[107:108], v[105:106], v[103:104]
	v_fma_f64 v[101:102], -v[101:102], v[107:108], v[105:106]
	v_div_fmas_f64 v[101:102], v[101:102], v[103:104], v[107:108]
	v_div_fixup_f64 v[101:102], v[101:102], v[99:100], v[97:98]
	v_fma_f64 v[97:98], v[97:98], v[101:102], v[99:100]
	v_div_scale_f64 v[99:100], s[6:7], v[97:98], v[97:98], 1.0
	v_div_scale_f64 v[107:108], vcc, 1.0, v[97:98], 1.0
	v_rcp_f64_e32 v[103:104], v[99:100]
	v_fma_f64 v[105:106], -v[99:100], v[103:104], 1.0
	v_fma_f64 v[103:104], v[103:104], v[105:106], v[103:104]
	v_fma_f64 v[105:106], -v[99:100], v[103:104], 1.0
	v_fma_f64 v[103:104], v[103:104], v[105:106], v[103:104]
	v_mul_f64 v[105:106], v[107:108], v[103:104]
	v_fma_f64 v[99:100], -v[99:100], v[105:106], v[107:108]
	v_div_fmas_f64 v[99:100], v[99:100], v[103:104], v[105:106]
	v_div_fixup_f64 v[103:104], v[99:100], v[97:98], 1.0
                                        ; implicit-def: $vgpr97_vgpr98
	v_mul_f64 v[101:102], v[101:102], v[103:104]
	v_xor_b32_e32 v104, 0x80000000, v104
.LBB105_185:
	s_andn2_saveexec_b64 s[2:3], s[2:3]
	s_cbranch_execz .LBB105_187
; %bb.186:
	v_div_scale_f64 v[101:102], s[6:7], v[97:98], v[97:98], v[99:100]
	v_rcp_f64_e32 v[103:104], v[101:102]
	v_fma_f64 v[105:106], -v[101:102], v[103:104], 1.0
	v_fma_f64 v[103:104], v[103:104], v[105:106], v[103:104]
	v_div_scale_f64 v[105:106], vcc, v[99:100], v[97:98], v[99:100]
	v_fma_f64 v[107:108], -v[101:102], v[103:104], 1.0
	v_fma_f64 v[103:104], v[103:104], v[107:108], v[103:104]
	v_mul_f64 v[107:108], v[105:106], v[103:104]
	v_fma_f64 v[101:102], -v[101:102], v[107:108], v[105:106]
	v_div_fmas_f64 v[101:102], v[101:102], v[103:104], v[107:108]
	v_div_fixup_f64 v[103:104], v[101:102], v[97:98], v[99:100]
	v_fma_f64 v[97:98], v[99:100], v[103:104], v[97:98]
	v_div_scale_f64 v[99:100], s[6:7], v[97:98], v[97:98], 1.0
	v_div_scale_f64 v[107:108], vcc, 1.0, v[97:98], 1.0
	v_rcp_f64_e32 v[101:102], v[99:100]
	v_fma_f64 v[105:106], -v[99:100], v[101:102], 1.0
	v_fma_f64 v[101:102], v[101:102], v[105:106], v[101:102]
	v_fma_f64 v[105:106], -v[99:100], v[101:102], 1.0
	v_fma_f64 v[101:102], v[101:102], v[105:106], v[101:102]
	v_mul_f64 v[105:106], v[107:108], v[101:102]
	v_fma_f64 v[99:100], -v[99:100], v[105:106], v[107:108]
	v_div_fmas_f64 v[99:100], v[99:100], v[101:102], v[105:106]
	v_div_fixup_f64 v[101:102], v[99:100], v[97:98], 1.0
	v_mul_f64 v[103:104], v[103:104], -v[101:102]
.LBB105_187:
	s_or_b64 exec, exec, s[2:3]
	ds_write2_b64 v127, v[101:102], v[103:104] offset1:1
.LBB105_188:
	s_or_b64 exec, exec, s[4:5]
	s_waitcnt lgkmcnt(0)
	s_barrier
	ds_read2_b64 v[69:72], v127 offset1:1
	v_cmp_lt_u32_e32 vcc, 20, v0
	s_waitcnt lgkmcnt(0)
	buffer_store_dword v69, off, s[20:23], 0 offset:1216 ; 4-byte Folded Spill
	s_nop 0
	buffer_store_dword v70, off, s[20:23], 0 offset:1220 ; 4-byte Folded Spill
	buffer_store_dword v71, off, s[20:23], 0 offset:1224 ; 4-byte Folded Spill
	;; [unrolled: 1-line block ×3, first 2 shown]
	s_and_saveexec_b64 s[2:3], vcc
	s_cbranch_execz .LBB105_190
; %bb.189:
	buffer_load_dword v103, off, s[20:23], 0 offset:144 ; 4-byte Folded Reload
	buffer_load_dword v104, off, s[20:23], 0 offset:148 ; 4-byte Folded Reload
	;; [unrolled: 1-line block ×8, first 2 shown]
	s_waitcnt vmcnt(2)
	v_mul_f64 v[99:100], v[69:70], v[105:106]
	s_waitcnt vmcnt(0)
	v_mul_f64 v[97:98], v[71:72], v[105:106]
	v_fma_f64 v[105:106], v[71:72], v[103:104], v[99:100]
	ds_read2_b64 v[99:102], v125 offset0:42 offset1:43
	v_fma_f64 v[97:98], v[69:70], v[103:104], -v[97:98]
	buffer_load_dword v69, off, s[20:23], 0 offset:128 ; 4-byte Folded Reload
	buffer_load_dword v70, off, s[20:23], 0 offset:132 ; 4-byte Folded Reload
	buffer_load_dword v71, off, s[20:23], 0 offset:136 ; 4-byte Folded Reload
	buffer_load_dword v72, off, s[20:23], 0 offset:140 ; 4-byte Folded Reload
	s_waitcnt lgkmcnt(0)
	v_mul_f64 v[103:104], v[101:102], v[105:106]
	v_fma_f64 v[103:104], v[99:100], v[97:98], -v[103:104]
	v_mul_f64 v[99:100], v[99:100], v[105:106]
	v_fma_f64 v[99:100], v[101:102], v[97:98], v[99:100]
	s_waitcnt vmcnt(2)
	v_add_f64 v[69:70], v[69:70], -v[103:104]
	s_waitcnt vmcnt(0)
	v_add_f64 v[71:72], v[71:72], -v[99:100]
	buffer_store_dword v69, off, s[20:23], 0 offset:128 ; 4-byte Folded Spill
	s_nop 0
	buffer_store_dword v70, off, s[20:23], 0 offset:132 ; 4-byte Folded Spill
	buffer_store_dword v71, off, s[20:23], 0 offset:136 ; 4-byte Folded Spill
	buffer_store_dword v72, off, s[20:23], 0 offset:140 ; 4-byte Folded Spill
	ds_read2_b64 v[99:102], v125 offset0:44 offset1:45
	buffer_load_dword v69, off, s[20:23], 0 offset:112 ; 4-byte Folded Reload
	buffer_load_dword v70, off, s[20:23], 0 offset:116 ; 4-byte Folded Reload
	buffer_load_dword v71, off, s[20:23], 0 offset:120 ; 4-byte Folded Reload
	buffer_load_dword v72, off, s[20:23], 0 offset:124 ; 4-byte Folded Reload
	s_waitcnt lgkmcnt(0)
	v_mul_f64 v[103:104], v[101:102], v[105:106]
	v_fma_f64 v[103:104], v[99:100], v[97:98], -v[103:104]
	v_mul_f64 v[99:100], v[99:100], v[105:106]
	v_fma_f64 v[99:100], v[101:102], v[97:98], v[99:100]
	s_waitcnt vmcnt(2)
	v_add_f64 v[69:70], v[69:70], -v[103:104]
	s_waitcnt vmcnt(0)
	v_add_f64 v[71:72], v[71:72], -v[99:100]
	buffer_store_dword v69, off, s[20:23], 0 offset:112 ; 4-byte Folded Spill
	s_nop 0
	buffer_store_dword v70, off, s[20:23], 0 offset:116 ; 4-byte Folded Spill
	buffer_store_dword v71, off, s[20:23], 0 offset:120 ; 4-byte Folded Spill
	buffer_store_dword v72, off, s[20:23], 0 offset:124 ; 4-byte Folded Spill
	ds_read2_b64 v[99:102], v125 offset0:46 offset1:47
	;; [unrolled: 19-line block ×6, first 2 shown]
	v_mov_b32_e32 v69, v73
	v_mov_b32_e32 v70, v74
	;; [unrolled: 1-line block ×4, first 2 shown]
	s_waitcnt lgkmcnt(0)
	v_mul_f64 v[103:104], v[101:102], v[105:106]
	v_fma_f64 v[103:104], v[99:100], v[97:98], -v[103:104]
	v_mul_f64 v[99:100], v[99:100], v[105:106]
	v_add_f64 v[117:118], v[117:118], -v[103:104]
	v_fma_f64 v[99:100], v[101:102], v[97:98], v[99:100]
	v_add_f64 v[119:120], v[119:120], -v[99:100]
	ds_read2_b64 v[99:102], v125 offset0:56 offset1:57
	s_waitcnt lgkmcnt(0)
	v_mul_f64 v[103:104], v[101:102], v[105:106]
	v_fma_f64 v[103:104], v[99:100], v[97:98], -v[103:104]
	v_mul_f64 v[99:100], v[99:100], v[105:106]
	v_add_f64 v[121:122], v[121:122], -v[103:104]
	v_fma_f64 v[99:100], v[101:102], v[97:98], v[99:100]
	v_add_f64 v[123:124], v[123:124], -v[99:100]
	ds_read2_b64 v[99:102], v125 offset0:58 offset1:59
	;; [unrolled: 8-line block ×5, first 2 shown]
	buffer_load_dword v77, off, s[20:23], 0 offset:32 ; 4-byte Folded Reload
	buffer_load_dword v78, off, s[20:23], 0 offset:36 ; 4-byte Folded Reload
	;; [unrolled: 1-line block ×4, first 2 shown]
	s_waitcnt lgkmcnt(0)
	v_mul_f64 v[103:104], v[101:102], v[105:106]
	v_fma_f64 v[103:104], v[99:100], v[97:98], -v[103:104]
	v_mul_f64 v[99:100], v[99:100], v[105:106]
	v_fma_f64 v[99:100], v[101:102], v[97:98], v[99:100]
	s_waitcnt vmcnt(2)
	v_add_f64 v[77:78], v[77:78], -v[103:104]
	s_waitcnt vmcnt(0)
	v_add_f64 v[79:80], v[79:80], -v[99:100]
	buffer_store_dword v77, off, s[20:23], 0 offset:32 ; 4-byte Folded Spill
	s_nop 0
	buffer_store_dword v78, off, s[20:23], 0 offset:36 ; 4-byte Folded Spill
	buffer_store_dword v79, off, s[20:23], 0 offset:40 ; 4-byte Folded Spill
	buffer_store_dword v80, off, s[20:23], 0 offset:44 ; 4-byte Folded Spill
	ds_read2_b64 v[99:102], v125 offset0:66 offset1:67
	buffer_load_dword v73, off, s[20:23], 0 offset:16 ; 4-byte Folded Reload
	buffer_load_dword v74, off, s[20:23], 0 offset:20 ; 4-byte Folded Reload
	;; [unrolled: 1-line block ×4, first 2 shown]
	s_waitcnt lgkmcnt(0)
	v_mul_f64 v[103:104], v[101:102], v[105:106]
	v_fma_f64 v[103:104], v[99:100], v[97:98], -v[103:104]
	v_mul_f64 v[99:100], v[99:100], v[105:106]
	v_fma_f64 v[99:100], v[101:102], v[97:98], v[99:100]
	s_waitcnt vmcnt(2)
	v_add_f64 v[73:74], v[73:74], -v[103:104]
	s_waitcnt vmcnt(0)
	v_add_f64 v[75:76], v[75:76], -v[99:100]
	buffer_store_dword v73, off, s[20:23], 0 offset:16 ; 4-byte Folded Spill
	s_nop 0
	buffer_store_dword v74, off, s[20:23], 0 offset:20 ; 4-byte Folded Spill
	buffer_store_dword v75, off, s[20:23], 0 offset:24 ; 4-byte Folded Spill
	;; [unrolled: 1-line block ×3, first 2 shown]
	v_mov_b32_e32 v76, v72
	v_mov_b32_e32 v75, v71
	;; [unrolled: 1-line block ×4, first 2 shown]
	ds_read2_b64 v[99:102], v125 offset0:68 offset1:69
	buffer_load_dword v69, off, s[20:23], 0 ; 4-byte Folded Reload
	buffer_load_dword v70, off, s[20:23], 0 offset:4 ; 4-byte Folded Reload
	buffer_load_dword v71, off, s[20:23], 0 offset:8 ; 4-byte Folded Reload
	;; [unrolled: 1-line block ×3, first 2 shown]
	s_waitcnt lgkmcnt(0)
	v_mul_f64 v[103:104], v[101:102], v[105:106]
	v_fma_f64 v[103:104], v[99:100], v[97:98], -v[103:104]
	v_mul_f64 v[99:100], v[99:100], v[105:106]
	v_fma_f64 v[99:100], v[101:102], v[97:98], v[99:100]
	s_waitcnt vmcnt(2)
	v_add_f64 v[69:70], v[69:70], -v[103:104]
	s_waitcnt vmcnt(0)
	v_add_f64 v[71:72], v[71:72], -v[99:100]
	buffer_store_dword v69, off, s[20:23], 0 ; 4-byte Folded Spill
	s_nop 0
	buffer_store_dword v70, off, s[20:23], 0 offset:4 ; 4-byte Folded Spill
	buffer_store_dword v71, off, s[20:23], 0 offset:8 ; 4-byte Folded Spill
	;; [unrolled: 1-line block ×3, first 2 shown]
	ds_read2_b64 v[99:102], v125 offset0:70 offset1:71
	s_waitcnt lgkmcnt(0)
	v_mul_f64 v[103:104], v[101:102], v[105:106]
	v_fma_f64 v[103:104], v[99:100], v[97:98], -v[103:104]
	v_mul_f64 v[99:100], v[99:100], v[105:106]
	v_add_f64 v[65:66], v[65:66], -v[103:104]
	v_fma_f64 v[99:100], v[101:102], v[97:98], v[99:100]
	v_add_f64 v[67:68], v[67:68], -v[99:100]
	ds_read2_b64 v[99:102], v125 offset0:72 offset1:73
	s_waitcnt lgkmcnt(0)
	v_mul_f64 v[103:104], v[101:102], v[105:106]
	v_fma_f64 v[103:104], v[99:100], v[97:98], -v[103:104]
	v_mul_f64 v[99:100], v[99:100], v[105:106]
	v_add_f64 v[61:62], v[61:62], -v[103:104]
	v_fma_f64 v[99:100], v[101:102], v[97:98], v[99:100]
	v_add_f64 v[63:64], v[63:64], -v[99:100]
	;; [unrolled: 8-line block ×17, first 2 shown]
	ds_read2_b64 v[99:102], v125 offset0:104 offset1:105
	s_waitcnt lgkmcnt(0)
	v_mul_f64 v[103:104], v[101:102], v[105:106]
	v_fma_f64 v[103:104], v[99:100], v[97:98], -v[103:104]
	v_mul_f64 v[99:100], v[99:100], v[105:106]
	v_add_f64 v[73:74], v[73:74], -v[103:104]
	v_fma_f64 v[99:100], v[101:102], v[97:98], v[99:100]
	v_mov_b32_e32 v104, v98
	v_mov_b32_e32 v103, v97
	buffer_store_dword v103, off, s[20:23], 0 offset:144 ; 4-byte Folded Spill
	s_nop 0
	buffer_store_dword v104, off, s[20:23], 0 offset:148 ; 4-byte Folded Spill
	buffer_store_dword v105, off, s[20:23], 0 offset:152 ; 4-byte Folded Spill
	;; [unrolled: 1-line block ×3, first 2 shown]
	v_add_f64 v[75:76], v[75:76], -v[99:100]
.LBB105_190:
	s_or_b64 exec, exec, s[2:3]
	v_cmp_eq_u32_e32 vcc, 21, v0
	s_waitcnt vmcnt(0)
	s_barrier
	s_and_saveexec_b64 s[4:5], vcc
	s_cbranch_execz .LBB105_197
; %bb.191:
	buffer_load_dword v69, off, s[20:23], 0 offset:128 ; 4-byte Folded Reload
	buffer_load_dword v70, off, s[20:23], 0 offset:132 ; 4-byte Folded Reload
	;; [unrolled: 1-line block ×4, first 2 shown]
	s_waitcnt vmcnt(0)
	ds_write2_b64 v127, v[69:70], v[71:72] offset1:1
	buffer_load_dword v69, off, s[20:23], 0 offset:112 ; 4-byte Folded Reload
	buffer_load_dword v70, off, s[20:23], 0 offset:116 ; 4-byte Folded Reload
	buffer_load_dword v71, off, s[20:23], 0 offset:120 ; 4-byte Folded Reload
	buffer_load_dword v72, off, s[20:23], 0 offset:124 ; 4-byte Folded Reload
	s_waitcnt vmcnt(0)
	ds_write2_b64 v125, v[69:70], v[71:72] offset0:44 offset1:45
	buffer_load_dword v69, off, s[20:23], 0 offset:96 ; 4-byte Folded Reload
	buffer_load_dword v70, off, s[20:23], 0 offset:100 ; 4-byte Folded Reload
	buffer_load_dword v71, off, s[20:23], 0 offset:104 ; 4-byte Folded Reload
	buffer_load_dword v72, off, s[20:23], 0 offset:108 ; 4-byte Folded Reload
	s_waitcnt vmcnt(0)
	ds_write2_b64 v125, v[69:70], v[71:72] offset0:46 offset1:47
	;; [unrolled: 6-line block ×5, first 2 shown]
	ds_write2_b64 v125, v[117:118], v[119:120] offset0:54 offset1:55
	ds_write2_b64 v125, v[121:122], v[123:124] offset0:56 offset1:57
	;; [unrolled: 1-line block ×5, first 2 shown]
	buffer_load_dword v77, off, s[20:23], 0 offset:32 ; 4-byte Folded Reload
	buffer_load_dword v78, off, s[20:23], 0 offset:36 ; 4-byte Folded Reload
	;; [unrolled: 1-line block ×4, first 2 shown]
	v_mov_b32_e32 v69, v73
	v_mov_b32_e32 v70, v74
	;; [unrolled: 1-line block ×4, first 2 shown]
	s_waitcnt vmcnt(0)
	ds_write2_b64 v125, v[77:78], v[79:80] offset0:64 offset1:65
	buffer_load_dword v73, off, s[20:23], 0 offset:16 ; 4-byte Folded Reload
	buffer_load_dword v74, off, s[20:23], 0 offset:20 ; 4-byte Folded Reload
	;; [unrolled: 1-line block ×4, first 2 shown]
	s_waitcnt vmcnt(0)
	ds_write2_b64 v125, v[73:74], v[75:76] offset0:66 offset1:67
	v_mov_b32_e32 v76, v72
	v_mov_b32_e32 v75, v71
	;; [unrolled: 1-line block ×4, first 2 shown]
	buffer_load_dword v69, off, s[20:23], 0 ; 4-byte Folded Reload
	buffer_load_dword v70, off, s[20:23], 0 offset:4 ; 4-byte Folded Reload
	buffer_load_dword v71, off, s[20:23], 0 offset:8 ; 4-byte Folded Reload
	;; [unrolled: 1-line block ×3, first 2 shown]
	s_waitcnt vmcnt(0)
	ds_write2_b64 v125, v[69:70], v[71:72] offset0:68 offset1:69
	ds_write2_b64 v125, v[65:66], v[67:68] offset0:70 offset1:71
	;; [unrolled: 1-line block ×19, first 2 shown]
	ds_read2_b64 v[97:100], v127 offset1:1
	s_waitcnt lgkmcnt(0)
	v_cmp_neq_f64_e32 vcc, 0, v[97:98]
	v_cmp_neq_f64_e64 s[2:3], 0, v[99:100]
	s_or_b64 s[2:3], vcc, s[2:3]
	s_and_b64 exec, exec, s[2:3]
	s_cbranch_execz .LBB105_197
; %bb.192:
	v_cmp_ngt_f64_e64 s[2:3], |v[97:98]|, |v[99:100]|
                                        ; implicit-def: $vgpr101_vgpr102
	s_and_saveexec_b64 s[6:7], s[2:3]
	s_xor_b64 s[2:3], exec, s[6:7]
                                        ; implicit-def: $vgpr103_vgpr104
	s_cbranch_execz .LBB105_194
; %bb.193:
	v_div_scale_f64 v[101:102], s[6:7], v[99:100], v[99:100], v[97:98]
	v_rcp_f64_e32 v[103:104], v[101:102]
	v_fma_f64 v[105:106], -v[101:102], v[103:104], 1.0
	v_fma_f64 v[103:104], v[103:104], v[105:106], v[103:104]
	v_div_scale_f64 v[105:106], vcc, v[97:98], v[99:100], v[97:98]
	v_fma_f64 v[107:108], -v[101:102], v[103:104], 1.0
	v_fma_f64 v[103:104], v[103:104], v[107:108], v[103:104]
	v_mul_f64 v[107:108], v[105:106], v[103:104]
	v_fma_f64 v[101:102], -v[101:102], v[107:108], v[105:106]
	v_div_fmas_f64 v[101:102], v[101:102], v[103:104], v[107:108]
	v_div_fixup_f64 v[101:102], v[101:102], v[99:100], v[97:98]
	v_fma_f64 v[97:98], v[97:98], v[101:102], v[99:100]
	v_div_scale_f64 v[99:100], s[6:7], v[97:98], v[97:98], 1.0
	v_div_scale_f64 v[107:108], vcc, 1.0, v[97:98], 1.0
	v_rcp_f64_e32 v[103:104], v[99:100]
	v_fma_f64 v[105:106], -v[99:100], v[103:104], 1.0
	v_fma_f64 v[103:104], v[103:104], v[105:106], v[103:104]
	v_fma_f64 v[105:106], -v[99:100], v[103:104], 1.0
	v_fma_f64 v[103:104], v[103:104], v[105:106], v[103:104]
	v_mul_f64 v[105:106], v[107:108], v[103:104]
	v_fma_f64 v[99:100], -v[99:100], v[105:106], v[107:108]
	v_div_fmas_f64 v[99:100], v[99:100], v[103:104], v[105:106]
	v_div_fixup_f64 v[103:104], v[99:100], v[97:98], 1.0
                                        ; implicit-def: $vgpr97_vgpr98
	v_mul_f64 v[101:102], v[101:102], v[103:104]
	v_xor_b32_e32 v104, 0x80000000, v104
.LBB105_194:
	s_andn2_saveexec_b64 s[2:3], s[2:3]
	s_cbranch_execz .LBB105_196
; %bb.195:
	v_div_scale_f64 v[101:102], s[6:7], v[97:98], v[97:98], v[99:100]
	v_rcp_f64_e32 v[103:104], v[101:102]
	v_fma_f64 v[105:106], -v[101:102], v[103:104], 1.0
	v_fma_f64 v[103:104], v[103:104], v[105:106], v[103:104]
	v_div_scale_f64 v[105:106], vcc, v[99:100], v[97:98], v[99:100]
	v_fma_f64 v[107:108], -v[101:102], v[103:104], 1.0
	v_fma_f64 v[103:104], v[103:104], v[107:108], v[103:104]
	v_mul_f64 v[107:108], v[105:106], v[103:104]
	v_fma_f64 v[101:102], -v[101:102], v[107:108], v[105:106]
	v_div_fmas_f64 v[101:102], v[101:102], v[103:104], v[107:108]
	v_div_fixup_f64 v[103:104], v[101:102], v[97:98], v[99:100]
	v_fma_f64 v[97:98], v[99:100], v[103:104], v[97:98]
	v_div_scale_f64 v[99:100], s[6:7], v[97:98], v[97:98], 1.0
	v_div_scale_f64 v[107:108], vcc, 1.0, v[97:98], 1.0
	v_rcp_f64_e32 v[101:102], v[99:100]
	v_fma_f64 v[105:106], -v[99:100], v[101:102], 1.0
	v_fma_f64 v[101:102], v[101:102], v[105:106], v[101:102]
	v_fma_f64 v[105:106], -v[99:100], v[101:102], 1.0
	v_fma_f64 v[101:102], v[101:102], v[105:106], v[101:102]
	v_mul_f64 v[105:106], v[107:108], v[101:102]
	v_fma_f64 v[99:100], -v[99:100], v[105:106], v[107:108]
	v_div_fmas_f64 v[99:100], v[99:100], v[101:102], v[105:106]
	v_div_fixup_f64 v[101:102], v[99:100], v[97:98], 1.0
	v_mul_f64 v[103:104], v[103:104], -v[101:102]
.LBB105_196:
	s_or_b64 exec, exec, s[2:3]
	ds_write2_b64 v127, v[101:102], v[103:104] offset1:1
.LBB105_197:
	s_or_b64 exec, exec, s[4:5]
	s_waitcnt lgkmcnt(0)
	s_barrier
	ds_read2_b64 v[69:72], v127 offset1:1
	v_cmp_lt_u32_e32 vcc, 21, v0
	s_waitcnt lgkmcnt(0)
	buffer_store_dword v69, off, s[20:23], 0 offset:1232 ; 4-byte Folded Spill
	s_nop 0
	buffer_store_dword v70, off, s[20:23], 0 offset:1236 ; 4-byte Folded Spill
	buffer_store_dword v71, off, s[20:23], 0 offset:1240 ; 4-byte Folded Spill
	buffer_store_dword v72, off, s[20:23], 0 offset:1244 ; 4-byte Folded Spill
	s_and_saveexec_b64 s[2:3], vcc
	s_cbranch_execz .LBB105_199
; %bb.198:
	buffer_load_dword v103, off, s[20:23], 0 offset:128 ; 4-byte Folded Reload
	buffer_load_dword v104, off, s[20:23], 0 offset:132 ; 4-byte Folded Reload
	;; [unrolled: 1-line block ×8, first 2 shown]
	s_waitcnt vmcnt(2)
	v_mul_f64 v[99:100], v[69:70], v[105:106]
	s_waitcnt vmcnt(0)
	v_mul_f64 v[97:98], v[71:72], v[105:106]
	v_fma_f64 v[105:106], v[71:72], v[103:104], v[99:100]
	ds_read2_b64 v[99:102], v125 offset0:44 offset1:45
	v_fma_f64 v[97:98], v[69:70], v[103:104], -v[97:98]
	buffer_load_dword v69, off, s[20:23], 0 offset:112 ; 4-byte Folded Reload
	buffer_load_dword v70, off, s[20:23], 0 offset:116 ; 4-byte Folded Reload
	buffer_load_dword v71, off, s[20:23], 0 offset:120 ; 4-byte Folded Reload
	buffer_load_dword v72, off, s[20:23], 0 offset:124 ; 4-byte Folded Reload
	s_waitcnt lgkmcnt(0)
	v_mul_f64 v[103:104], v[101:102], v[105:106]
	v_fma_f64 v[103:104], v[99:100], v[97:98], -v[103:104]
	v_mul_f64 v[99:100], v[99:100], v[105:106]
	v_fma_f64 v[99:100], v[101:102], v[97:98], v[99:100]
	s_waitcnt vmcnt(2)
	v_add_f64 v[69:70], v[69:70], -v[103:104]
	s_waitcnt vmcnt(0)
	v_add_f64 v[71:72], v[71:72], -v[99:100]
	buffer_store_dword v69, off, s[20:23], 0 offset:112 ; 4-byte Folded Spill
	s_nop 0
	buffer_store_dword v70, off, s[20:23], 0 offset:116 ; 4-byte Folded Spill
	buffer_store_dword v71, off, s[20:23], 0 offset:120 ; 4-byte Folded Spill
	buffer_store_dword v72, off, s[20:23], 0 offset:124 ; 4-byte Folded Spill
	ds_read2_b64 v[99:102], v125 offset0:46 offset1:47
	buffer_load_dword v69, off, s[20:23], 0 offset:96 ; 4-byte Folded Reload
	buffer_load_dword v70, off, s[20:23], 0 offset:100 ; 4-byte Folded Reload
	buffer_load_dword v71, off, s[20:23], 0 offset:104 ; 4-byte Folded Reload
	buffer_load_dword v72, off, s[20:23], 0 offset:108 ; 4-byte Folded Reload
	s_waitcnt lgkmcnt(0)
	v_mul_f64 v[103:104], v[101:102], v[105:106]
	v_fma_f64 v[103:104], v[99:100], v[97:98], -v[103:104]
	v_mul_f64 v[99:100], v[99:100], v[105:106]
	v_fma_f64 v[99:100], v[101:102], v[97:98], v[99:100]
	s_waitcnt vmcnt(2)
	v_add_f64 v[69:70], v[69:70], -v[103:104]
	s_waitcnt vmcnt(0)
	v_add_f64 v[71:72], v[71:72], -v[99:100]
	buffer_store_dword v69, off, s[20:23], 0 offset:96 ; 4-byte Folded Spill
	s_nop 0
	buffer_store_dword v70, off, s[20:23], 0 offset:100 ; 4-byte Folded Spill
	buffer_store_dword v71, off, s[20:23], 0 offset:104 ; 4-byte Folded Spill
	buffer_store_dword v72, off, s[20:23], 0 offset:108 ; 4-byte Folded Spill
	ds_read2_b64 v[99:102], v125 offset0:48 offset1:49
	;; [unrolled: 19-line block ×5, first 2 shown]
	v_mov_b32_e32 v69, v73
	v_mov_b32_e32 v70, v74
	;; [unrolled: 1-line block ×4, first 2 shown]
	s_waitcnt lgkmcnt(0)
	v_mul_f64 v[103:104], v[101:102], v[105:106]
	v_fma_f64 v[103:104], v[99:100], v[97:98], -v[103:104]
	v_mul_f64 v[99:100], v[99:100], v[105:106]
	v_add_f64 v[117:118], v[117:118], -v[103:104]
	v_fma_f64 v[99:100], v[101:102], v[97:98], v[99:100]
	v_add_f64 v[119:120], v[119:120], -v[99:100]
	ds_read2_b64 v[99:102], v125 offset0:56 offset1:57
	s_waitcnt lgkmcnt(0)
	v_mul_f64 v[103:104], v[101:102], v[105:106]
	v_fma_f64 v[103:104], v[99:100], v[97:98], -v[103:104]
	v_mul_f64 v[99:100], v[99:100], v[105:106]
	v_add_f64 v[121:122], v[121:122], -v[103:104]
	v_fma_f64 v[99:100], v[101:102], v[97:98], v[99:100]
	v_add_f64 v[123:124], v[123:124], -v[99:100]
	ds_read2_b64 v[99:102], v125 offset0:58 offset1:59
	;; [unrolled: 8-line block ×5, first 2 shown]
	buffer_load_dword v77, off, s[20:23], 0 offset:32 ; 4-byte Folded Reload
	buffer_load_dword v78, off, s[20:23], 0 offset:36 ; 4-byte Folded Reload
	;; [unrolled: 1-line block ×4, first 2 shown]
	s_waitcnt lgkmcnt(0)
	v_mul_f64 v[103:104], v[101:102], v[105:106]
	v_fma_f64 v[103:104], v[99:100], v[97:98], -v[103:104]
	v_mul_f64 v[99:100], v[99:100], v[105:106]
	v_fma_f64 v[99:100], v[101:102], v[97:98], v[99:100]
	s_waitcnt vmcnt(2)
	v_add_f64 v[77:78], v[77:78], -v[103:104]
	s_waitcnt vmcnt(0)
	v_add_f64 v[79:80], v[79:80], -v[99:100]
	buffer_store_dword v77, off, s[20:23], 0 offset:32 ; 4-byte Folded Spill
	s_nop 0
	buffer_store_dword v78, off, s[20:23], 0 offset:36 ; 4-byte Folded Spill
	buffer_store_dword v79, off, s[20:23], 0 offset:40 ; 4-byte Folded Spill
	;; [unrolled: 1-line block ×3, first 2 shown]
	ds_read2_b64 v[99:102], v125 offset0:66 offset1:67
	buffer_load_dword v73, off, s[20:23], 0 offset:16 ; 4-byte Folded Reload
	buffer_load_dword v74, off, s[20:23], 0 offset:20 ; 4-byte Folded Reload
	;; [unrolled: 1-line block ×4, first 2 shown]
	s_waitcnt lgkmcnt(0)
	v_mul_f64 v[103:104], v[101:102], v[105:106]
	v_fma_f64 v[103:104], v[99:100], v[97:98], -v[103:104]
	v_mul_f64 v[99:100], v[99:100], v[105:106]
	v_fma_f64 v[99:100], v[101:102], v[97:98], v[99:100]
	s_waitcnt vmcnt(2)
	v_add_f64 v[73:74], v[73:74], -v[103:104]
	s_waitcnt vmcnt(0)
	v_add_f64 v[75:76], v[75:76], -v[99:100]
	buffer_store_dword v73, off, s[20:23], 0 offset:16 ; 4-byte Folded Spill
	s_nop 0
	buffer_store_dword v74, off, s[20:23], 0 offset:20 ; 4-byte Folded Spill
	buffer_store_dword v75, off, s[20:23], 0 offset:24 ; 4-byte Folded Spill
	;; [unrolled: 1-line block ×3, first 2 shown]
	v_mov_b32_e32 v76, v72
	v_mov_b32_e32 v75, v71
	;; [unrolled: 1-line block ×4, first 2 shown]
	ds_read2_b64 v[99:102], v125 offset0:68 offset1:69
	buffer_load_dword v69, off, s[20:23], 0 ; 4-byte Folded Reload
	buffer_load_dword v70, off, s[20:23], 0 offset:4 ; 4-byte Folded Reload
	buffer_load_dword v71, off, s[20:23], 0 offset:8 ; 4-byte Folded Reload
	;; [unrolled: 1-line block ×3, first 2 shown]
	s_waitcnt lgkmcnt(0)
	v_mul_f64 v[103:104], v[101:102], v[105:106]
	v_fma_f64 v[103:104], v[99:100], v[97:98], -v[103:104]
	v_mul_f64 v[99:100], v[99:100], v[105:106]
	v_fma_f64 v[99:100], v[101:102], v[97:98], v[99:100]
	s_waitcnt vmcnt(2)
	v_add_f64 v[69:70], v[69:70], -v[103:104]
	s_waitcnt vmcnt(0)
	v_add_f64 v[71:72], v[71:72], -v[99:100]
	buffer_store_dword v69, off, s[20:23], 0 ; 4-byte Folded Spill
	s_nop 0
	buffer_store_dword v70, off, s[20:23], 0 offset:4 ; 4-byte Folded Spill
	buffer_store_dword v71, off, s[20:23], 0 offset:8 ; 4-byte Folded Spill
	buffer_store_dword v72, off, s[20:23], 0 offset:12 ; 4-byte Folded Spill
	ds_read2_b64 v[99:102], v125 offset0:70 offset1:71
	s_waitcnt lgkmcnt(0)
	v_mul_f64 v[103:104], v[101:102], v[105:106]
	v_fma_f64 v[103:104], v[99:100], v[97:98], -v[103:104]
	v_mul_f64 v[99:100], v[99:100], v[105:106]
	v_add_f64 v[65:66], v[65:66], -v[103:104]
	v_fma_f64 v[99:100], v[101:102], v[97:98], v[99:100]
	v_add_f64 v[67:68], v[67:68], -v[99:100]
	ds_read2_b64 v[99:102], v125 offset0:72 offset1:73
	s_waitcnt lgkmcnt(0)
	v_mul_f64 v[103:104], v[101:102], v[105:106]
	v_fma_f64 v[103:104], v[99:100], v[97:98], -v[103:104]
	v_mul_f64 v[99:100], v[99:100], v[105:106]
	v_add_f64 v[61:62], v[61:62], -v[103:104]
	v_fma_f64 v[99:100], v[101:102], v[97:98], v[99:100]
	v_add_f64 v[63:64], v[63:64], -v[99:100]
	;; [unrolled: 8-line block ×17, first 2 shown]
	ds_read2_b64 v[99:102], v125 offset0:104 offset1:105
	s_waitcnt lgkmcnt(0)
	v_mul_f64 v[103:104], v[101:102], v[105:106]
	v_fma_f64 v[103:104], v[99:100], v[97:98], -v[103:104]
	v_mul_f64 v[99:100], v[99:100], v[105:106]
	v_add_f64 v[73:74], v[73:74], -v[103:104]
	v_fma_f64 v[99:100], v[101:102], v[97:98], v[99:100]
	v_mov_b32_e32 v104, v98
	v_mov_b32_e32 v103, v97
	buffer_store_dword v103, off, s[20:23], 0 offset:128 ; 4-byte Folded Spill
	s_nop 0
	buffer_store_dword v104, off, s[20:23], 0 offset:132 ; 4-byte Folded Spill
	buffer_store_dword v105, off, s[20:23], 0 offset:136 ; 4-byte Folded Spill
	;; [unrolled: 1-line block ×3, first 2 shown]
	v_add_f64 v[75:76], v[75:76], -v[99:100]
.LBB105_199:
	s_or_b64 exec, exec, s[2:3]
	v_cmp_eq_u32_e32 vcc, 22, v0
	s_waitcnt vmcnt(0)
	s_barrier
	s_and_saveexec_b64 s[4:5], vcc
	s_cbranch_execz .LBB105_206
; %bb.200:
	buffer_load_dword v69, off, s[20:23], 0 offset:112 ; 4-byte Folded Reload
	buffer_load_dword v70, off, s[20:23], 0 offset:116 ; 4-byte Folded Reload
	;; [unrolled: 1-line block ×4, first 2 shown]
	s_waitcnt vmcnt(0)
	ds_write2_b64 v127, v[69:70], v[71:72] offset1:1
	buffer_load_dword v69, off, s[20:23], 0 offset:96 ; 4-byte Folded Reload
	buffer_load_dword v70, off, s[20:23], 0 offset:100 ; 4-byte Folded Reload
	buffer_load_dword v71, off, s[20:23], 0 offset:104 ; 4-byte Folded Reload
	buffer_load_dword v72, off, s[20:23], 0 offset:108 ; 4-byte Folded Reload
	s_waitcnt vmcnt(0)
	ds_write2_b64 v125, v[69:70], v[71:72] offset0:46 offset1:47
	buffer_load_dword v69, off, s[20:23], 0 offset:80 ; 4-byte Folded Reload
	buffer_load_dword v70, off, s[20:23], 0 offset:84 ; 4-byte Folded Reload
	buffer_load_dword v71, off, s[20:23], 0 offset:88 ; 4-byte Folded Reload
	buffer_load_dword v72, off, s[20:23], 0 offset:92 ; 4-byte Folded Reload
	s_waitcnt vmcnt(0)
	ds_write2_b64 v125, v[69:70], v[71:72] offset0:48 offset1:49
	;; [unrolled: 6-line block ×4, first 2 shown]
	ds_write2_b64 v125, v[117:118], v[119:120] offset0:54 offset1:55
	ds_write2_b64 v125, v[121:122], v[123:124] offset0:56 offset1:57
	;; [unrolled: 1-line block ×5, first 2 shown]
	buffer_load_dword v77, off, s[20:23], 0 offset:32 ; 4-byte Folded Reload
	buffer_load_dword v78, off, s[20:23], 0 offset:36 ; 4-byte Folded Reload
	;; [unrolled: 1-line block ×4, first 2 shown]
	v_mov_b32_e32 v69, v73
	v_mov_b32_e32 v70, v74
	;; [unrolled: 1-line block ×4, first 2 shown]
	s_waitcnt vmcnt(0)
	ds_write2_b64 v125, v[77:78], v[79:80] offset0:64 offset1:65
	buffer_load_dword v73, off, s[20:23], 0 offset:16 ; 4-byte Folded Reload
	buffer_load_dword v74, off, s[20:23], 0 offset:20 ; 4-byte Folded Reload
	;; [unrolled: 1-line block ×4, first 2 shown]
	s_waitcnt vmcnt(0)
	ds_write2_b64 v125, v[73:74], v[75:76] offset0:66 offset1:67
	v_mov_b32_e32 v76, v72
	v_mov_b32_e32 v75, v71
	;; [unrolled: 1-line block ×4, first 2 shown]
	buffer_load_dword v69, off, s[20:23], 0 ; 4-byte Folded Reload
	buffer_load_dword v70, off, s[20:23], 0 offset:4 ; 4-byte Folded Reload
	buffer_load_dword v71, off, s[20:23], 0 offset:8 ; 4-byte Folded Reload
	;; [unrolled: 1-line block ×3, first 2 shown]
	s_waitcnt vmcnt(0)
	ds_write2_b64 v125, v[69:70], v[71:72] offset0:68 offset1:69
	ds_write2_b64 v125, v[65:66], v[67:68] offset0:70 offset1:71
	;; [unrolled: 1-line block ×19, first 2 shown]
	ds_read2_b64 v[97:100], v127 offset1:1
	s_waitcnt lgkmcnt(0)
	v_cmp_neq_f64_e32 vcc, 0, v[97:98]
	v_cmp_neq_f64_e64 s[2:3], 0, v[99:100]
	s_or_b64 s[2:3], vcc, s[2:3]
	s_and_b64 exec, exec, s[2:3]
	s_cbranch_execz .LBB105_206
; %bb.201:
	v_cmp_ngt_f64_e64 s[2:3], |v[97:98]|, |v[99:100]|
                                        ; implicit-def: $vgpr101_vgpr102
	s_and_saveexec_b64 s[6:7], s[2:3]
	s_xor_b64 s[2:3], exec, s[6:7]
                                        ; implicit-def: $vgpr103_vgpr104
	s_cbranch_execz .LBB105_203
; %bb.202:
	v_div_scale_f64 v[101:102], s[6:7], v[99:100], v[99:100], v[97:98]
	v_rcp_f64_e32 v[103:104], v[101:102]
	v_fma_f64 v[105:106], -v[101:102], v[103:104], 1.0
	v_fma_f64 v[103:104], v[103:104], v[105:106], v[103:104]
	v_div_scale_f64 v[105:106], vcc, v[97:98], v[99:100], v[97:98]
	v_fma_f64 v[107:108], -v[101:102], v[103:104], 1.0
	v_fma_f64 v[103:104], v[103:104], v[107:108], v[103:104]
	v_mul_f64 v[107:108], v[105:106], v[103:104]
	v_fma_f64 v[101:102], -v[101:102], v[107:108], v[105:106]
	v_div_fmas_f64 v[101:102], v[101:102], v[103:104], v[107:108]
	v_div_fixup_f64 v[101:102], v[101:102], v[99:100], v[97:98]
	v_fma_f64 v[97:98], v[97:98], v[101:102], v[99:100]
	v_div_scale_f64 v[99:100], s[6:7], v[97:98], v[97:98], 1.0
	v_div_scale_f64 v[107:108], vcc, 1.0, v[97:98], 1.0
	v_rcp_f64_e32 v[103:104], v[99:100]
	v_fma_f64 v[105:106], -v[99:100], v[103:104], 1.0
	v_fma_f64 v[103:104], v[103:104], v[105:106], v[103:104]
	v_fma_f64 v[105:106], -v[99:100], v[103:104], 1.0
	v_fma_f64 v[103:104], v[103:104], v[105:106], v[103:104]
	v_mul_f64 v[105:106], v[107:108], v[103:104]
	v_fma_f64 v[99:100], -v[99:100], v[105:106], v[107:108]
	v_div_fmas_f64 v[99:100], v[99:100], v[103:104], v[105:106]
	v_div_fixup_f64 v[103:104], v[99:100], v[97:98], 1.0
                                        ; implicit-def: $vgpr97_vgpr98
	v_mul_f64 v[101:102], v[101:102], v[103:104]
	v_xor_b32_e32 v104, 0x80000000, v104
.LBB105_203:
	s_andn2_saveexec_b64 s[2:3], s[2:3]
	s_cbranch_execz .LBB105_205
; %bb.204:
	v_div_scale_f64 v[101:102], s[6:7], v[97:98], v[97:98], v[99:100]
	v_rcp_f64_e32 v[103:104], v[101:102]
	v_fma_f64 v[105:106], -v[101:102], v[103:104], 1.0
	v_fma_f64 v[103:104], v[103:104], v[105:106], v[103:104]
	v_div_scale_f64 v[105:106], vcc, v[99:100], v[97:98], v[99:100]
	v_fma_f64 v[107:108], -v[101:102], v[103:104], 1.0
	v_fma_f64 v[103:104], v[103:104], v[107:108], v[103:104]
	v_mul_f64 v[107:108], v[105:106], v[103:104]
	v_fma_f64 v[101:102], -v[101:102], v[107:108], v[105:106]
	v_div_fmas_f64 v[101:102], v[101:102], v[103:104], v[107:108]
	v_div_fixup_f64 v[103:104], v[101:102], v[97:98], v[99:100]
	v_fma_f64 v[97:98], v[99:100], v[103:104], v[97:98]
	v_div_scale_f64 v[99:100], s[6:7], v[97:98], v[97:98], 1.0
	v_div_scale_f64 v[107:108], vcc, 1.0, v[97:98], 1.0
	v_rcp_f64_e32 v[101:102], v[99:100]
	v_fma_f64 v[105:106], -v[99:100], v[101:102], 1.0
	v_fma_f64 v[101:102], v[101:102], v[105:106], v[101:102]
	v_fma_f64 v[105:106], -v[99:100], v[101:102], 1.0
	v_fma_f64 v[101:102], v[101:102], v[105:106], v[101:102]
	v_mul_f64 v[105:106], v[107:108], v[101:102]
	v_fma_f64 v[99:100], -v[99:100], v[105:106], v[107:108]
	v_div_fmas_f64 v[99:100], v[99:100], v[101:102], v[105:106]
	v_div_fixup_f64 v[101:102], v[99:100], v[97:98], 1.0
	v_mul_f64 v[103:104], v[103:104], -v[101:102]
.LBB105_205:
	s_or_b64 exec, exec, s[2:3]
	ds_write2_b64 v127, v[101:102], v[103:104] offset1:1
.LBB105_206:
	s_or_b64 exec, exec, s[4:5]
	s_waitcnt lgkmcnt(0)
	s_barrier
	ds_read2_b64 v[69:72], v127 offset1:1
	v_cmp_lt_u32_e32 vcc, 22, v0
	s_waitcnt lgkmcnt(0)
	buffer_store_dword v69, off, s[20:23], 0 offset:1248 ; 4-byte Folded Spill
	s_nop 0
	buffer_store_dword v70, off, s[20:23], 0 offset:1252 ; 4-byte Folded Spill
	buffer_store_dword v71, off, s[20:23], 0 offset:1256 ; 4-byte Folded Spill
	;; [unrolled: 1-line block ×3, first 2 shown]
	s_and_saveexec_b64 s[2:3], vcc
	s_cbranch_execz .LBB105_208
; %bb.207:
	buffer_load_dword v103, off, s[20:23], 0 offset:112 ; 4-byte Folded Reload
	buffer_load_dword v104, off, s[20:23], 0 offset:116 ; 4-byte Folded Reload
	;; [unrolled: 1-line block ×8, first 2 shown]
	s_waitcnt vmcnt(2)
	v_mul_f64 v[99:100], v[69:70], v[105:106]
	s_waitcnt vmcnt(0)
	v_mul_f64 v[97:98], v[71:72], v[105:106]
	v_fma_f64 v[105:106], v[71:72], v[103:104], v[99:100]
	ds_read2_b64 v[99:102], v125 offset0:46 offset1:47
	v_fma_f64 v[97:98], v[69:70], v[103:104], -v[97:98]
	buffer_load_dword v69, off, s[20:23], 0 offset:96 ; 4-byte Folded Reload
	buffer_load_dword v70, off, s[20:23], 0 offset:100 ; 4-byte Folded Reload
	buffer_load_dword v71, off, s[20:23], 0 offset:104 ; 4-byte Folded Reload
	buffer_load_dword v72, off, s[20:23], 0 offset:108 ; 4-byte Folded Reload
	s_waitcnt lgkmcnt(0)
	v_mul_f64 v[103:104], v[101:102], v[105:106]
	v_fma_f64 v[103:104], v[99:100], v[97:98], -v[103:104]
	v_mul_f64 v[99:100], v[99:100], v[105:106]
	v_fma_f64 v[99:100], v[101:102], v[97:98], v[99:100]
	s_waitcnt vmcnt(2)
	v_add_f64 v[69:70], v[69:70], -v[103:104]
	s_waitcnt vmcnt(0)
	v_add_f64 v[71:72], v[71:72], -v[99:100]
	buffer_store_dword v69, off, s[20:23], 0 offset:96 ; 4-byte Folded Spill
	s_nop 0
	buffer_store_dword v70, off, s[20:23], 0 offset:100 ; 4-byte Folded Spill
	buffer_store_dword v71, off, s[20:23], 0 offset:104 ; 4-byte Folded Spill
	buffer_store_dword v72, off, s[20:23], 0 offset:108 ; 4-byte Folded Spill
	ds_read2_b64 v[99:102], v125 offset0:48 offset1:49
	buffer_load_dword v69, off, s[20:23], 0 offset:80 ; 4-byte Folded Reload
	buffer_load_dword v70, off, s[20:23], 0 offset:84 ; 4-byte Folded Reload
	buffer_load_dword v71, off, s[20:23], 0 offset:88 ; 4-byte Folded Reload
	buffer_load_dword v72, off, s[20:23], 0 offset:92 ; 4-byte Folded Reload
	s_waitcnt lgkmcnt(0)
	v_mul_f64 v[103:104], v[101:102], v[105:106]
	v_fma_f64 v[103:104], v[99:100], v[97:98], -v[103:104]
	v_mul_f64 v[99:100], v[99:100], v[105:106]
	v_fma_f64 v[99:100], v[101:102], v[97:98], v[99:100]
	s_waitcnt vmcnt(2)
	v_add_f64 v[69:70], v[69:70], -v[103:104]
	s_waitcnt vmcnt(0)
	v_add_f64 v[71:72], v[71:72], -v[99:100]
	buffer_store_dword v69, off, s[20:23], 0 offset:80 ; 4-byte Folded Spill
	s_nop 0
	buffer_store_dword v70, off, s[20:23], 0 offset:84 ; 4-byte Folded Spill
	buffer_store_dword v71, off, s[20:23], 0 offset:88 ; 4-byte Folded Spill
	buffer_store_dword v72, off, s[20:23], 0 offset:92 ; 4-byte Folded Spill
	ds_read2_b64 v[99:102], v125 offset0:50 offset1:51
	;; [unrolled: 19-line block ×4, first 2 shown]
	v_mov_b32_e32 v69, v73
	v_mov_b32_e32 v70, v74
	;; [unrolled: 1-line block ×4, first 2 shown]
	s_waitcnt lgkmcnt(0)
	v_mul_f64 v[103:104], v[101:102], v[105:106]
	v_fma_f64 v[103:104], v[99:100], v[97:98], -v[103:104]
	v_mul_f64 v[99:100], v[99:100], v[105:106]
	v_add_f64 v[117:118], v[117:118], -v[103:104]
	v_fma_f64 v[99:100], v[101:102], v[97:98], v[99:100]
	v_add_f64 v[119:120], v[119:120], -v[99:100]
	ds_read2_b64 v[99:102], v125 offset0:56 offset1:57
	s_waitcnt lgkmcnt(0)
	v_mul_f64 v[103:104], v[101:102], v[105:106]
	v_fma_f64 v[103:104], v[99:100], v[97:98], -v[103:104]
	v_mul_f64 v[99:100], v[99:100], v[105:106]
	v_add_f64 v[121:122], v[121:122], -v[103:104]
	v_fma_f64 v[99:100], v[101:102], v[97:98], v[99:100]
	v_add_f64 v[123:124], v[123:124], -v[99:100]
	ds_read2_b64 v[99:102], v125 offset0:58 offset1:59
	;; [unrolled: 8-line block ×5, first 2 shown]
	buffer_load_dword v77, off, s[20:23], 0 offset:32 ; 4-byte Folded Reload
	buffer_load_dword v78, off, s[20:23], 0 offset:36 ; 4-byte Folded Reload
	buffer_load_dword v79, off, s[20:23], 0 offset:40 ; 4-byte Folded Reload
	buffer_load_dword v80, off, s[20:23], 0 offset:44 ; 4-byte Folded Reload
	s_waitcnt lgkmcnt(0)
	v_mul_f64 v[103:104], v[101:102], v[105:106]
	v_fma_f64 v[103:104], v[99:100], v[97:98], -v[103:104]
	v_mul_f64 v[99:100], v[99:100], v[105:106]
	v_fma_f64 v[99:100], v[101:102], v[97:98], v[99:100]
	s_waitcnt vmcnt(2)
	v_add_f64 v[77:78], v[77:78], -v[103:104]
	s_waitcnt vmcnt(0)
	v_add_f64 v[79:80], v[79:80], -v[99:100]
	buffer_store_dword v77, off, s[20:23], 0 offset:32 ; 4-byte Folded Spill
	s_nop 0
	buffer_store_dword v78, off, s[20:23], 0 offset:36 ; 4-byte Folded Spill
	buffer_store_dword v79, off, s[20:23], 0 offset:40 ; 4-byte Folded Spill
	;; [unrolled: 1-line block ×3, first 2 shown]
	ds_read2_b64 v[99:102], v125 offset0:66 offset1:67
	buffer_load_dword v73, off, s[20:23], 0 offset:16 ; 4-byte Folded Reload
	buffer_load_dword v74, off, s[20:23], 0 offset:20 ; 4-byte Folded Reload
	;; [unrolled: 1-line block ×4, first 2 shown]
	s_waitcnt lgkmcnt(0)
	v_mul_f64 v[103:104], v[101:102], v[105:106]
	v_fma_f64 v[103:104], v[99:100], v[97:98], -v[103:104]
	v_mul_f64 v[99:100], v[99:100], v[105:106]
	v_fma_f64 v[99:100], v[101:102], v[97:98], v[99:100]
	s_waitcnt vmcnt(2)
	v_add_f64 v[73:74], v[73:74], -v[103:104]
	s_waitcnt vmcnt(0)
	v_add_f64 v[75:76], v[75:76], -v[99:100]
	buffer_store_dword v73, off, s[20:23], 0 offset:16 ; 4-byte Folded Spill
	s_nop 0
	buffer_store_dword v74, off, s[20:23], 0 offset:20 ; 4-byte Folded Spill
	buffer_store_dword v75, off, s[20:23], 0 offset:24 ; 4-byte Folded Spill
	;; [unrolled: 1-line block ×3, first 2 shown]
	v_mov_b32_e32 v76, v72
	v_mov_b32_e32 v75, v71
	;; [unrolled: 1-line block ×4, first 2 shown]
	ds_read2_b64 v[99:102], v125 offset0:68 offset1:69
	buffer_load_dword v69, off, s[20:23], 0 ; 4-byte Folded Reload
	buffer_load_dword v70, off, s[20:23], 0 offset:4 ; 4-byte Folded Reload
	buffer_load_dword v71, off, s[20:23], 0 offset:8 ; 4-byte Folded Reload
	;; [unrolled: 1-line block ×3, first 2 shown]
	s_waitcnt lgkmcnt(0)
	v_mul_f64 v[103:104], v[101:102], v[105:106]
	v_fma_f64 v[103:104], v[99:100], v[97:98], -v[103:104]
	v_mul_f64 v[99:100], v[99:100], v[105:106]
	v_fma_f64 v[99:100], v[101:102], v[97:98], v[99:100]
	s_waitcnt vmcnt(2)
	v_add_f64 v[69:70], v[69:70], -v[103:104]
	s_waitcnt vmcnt(0)
	v_add_f64 v[71:72], v[71:72], -v[99:100]
	buffer_store_dword v69, off, s[20:23], 0 ; 4-byte Folded Spill
	s_nop 0
	buffer_store_dword v70, off, s[20:23], 0 offset:4 ; 4-byte Folded Spill
	buffer_store_dword v71, off, s[20:23], 0 offset:8 ; 4-byte Folded Spill
	;; [unrolled: 1-line block ×3, first 2 shown]
	ds_read2_b64 v[99:102], v125 offset0:70 offset1:71
	s_waitcnt lgkmcnt(0)
	v_mul_f64 v[103:104], v[101:102], v[105:106]
	v_fma_f64 v[103:104], v[99:100], v[97:98], -v[103:104]
	v_mul_f64 v[99:100], v[99:100], v[105:106]
	v_add_f64 v[65:66], v[65:66], -v[103:104]
	v_fma_f64 v[99:100], v[101:102], v[97:98], v[99:100]
	v_add_f64 v[67:68], v[67:68], -v[99:100]
	ds_read2_b64 v[99:102], v125 offset0:72 offset1:73
	s_waitcnt lgkmcnt(0)
	v_mul_f64 v[103:104], v[101:102], v[105:106]
	v_fma_f64 v[103:104], v[99:100], v[97:98], -v[103:104]
	v_mul_f64 v[99:100], v[99:100], v[105:106]
	v_add_f64 v[61:62], v[61:62], -v[103:104]
	v_fma_f64 v[99:100], v[101:102], v[97:98], v[99:100]
	v_add_f64 v[63:64], v[63:64], -v[99:100]
	;; [unrolled: 8-line block ×17, first 2 shown]
	ds_read2_b64 v[99:102], v125 offset0:104 offset1:105
	s_waitcnt lgkmcnt(0)
	v_mul_f64 v[103:104], v[101:102], v[105:106]
	v_fma_f64 v[103:104], v[99:100], v[97:98], -v[103:104]
	v_mul_f64 v[99:100], v[99:100], v[105:106]
	v_add_f64 v[73:74], v[73:74], -v[103:104]
	v_fma_f64 v[99:100], v[101:102], v[97:98], v[99:100]
	v_mov_b32_e32 v104, v98
	v_mov_b32_e32 v103, v97
	buffer_store_dword v103, off, s[20:23], 0 offset:112 ; 4-byte Folded Spill
	s_nop 0
	buffer_store_dword v104, off, s[20:23], 0 offset:116 ; 4-byte Folded Spill
	buffer_store_dword v105, off, s[20:23], 0 offset:120 ; 4-byte Folded Spill
	;; [unrolled: 1-line block ×3, first 2 shown]
	v_add_f64 v[75:76], v[75:76], -v[99:100]
.LBB105_208:
	s_or_b64 exec, exec, s[2:3]
	v_cmp_eq_u32_e32 vcc, 23, v0
	s_waitcnt vmcnt(0)
	s_barrier
	s_and_saveexec_b64 s[4:5], vcc
	s_cbranch_execz .LBB105_215
; %bb.209:
	buffer_load_dword v69, off, s[20:23], 0 offset:96 ; 4-byte Folded Reload
	buffer_load_dword v70, off, s[20:23], 0 offset:100 ; 4-byte Folded Reload
	;; [unrolled: 1-line block ×4, first 2 shown]
	s_waitcnt vmcnt(0)
	ds_write2_b64 v127, v[69:70], v[71:72] offset1:1
	buffer_load_dword v69, off, s[20:23], 0 offset:80 ; 4-byte Folded Reload
	buffer_load_dword v70, off, s[20:23], 0 offset:84 ; 4-byte Folded Reload
	buffer_load_dword v71, off, s[20:23], 0 offset:88 ; 4-byte Folded Reload
	buffer_load_dword v72, off, s[20:23], 0 offset:92 ; 4-byte Folded Reload
	s_waitcnt vmcnt(0)
	ds_write2_b64 v125, v[69:70], v[71:72] offset0:48 offset1:49
	buffer_load_dword v69, off, s[20:23], 0 offset:64 ; 4-byte Folded Reload
	buffer_load_dword v70, off, s[20:23], 0 offset:68 ; 4-byte Folded Reload
	buffer_load_dword v71, off, s[20:23], 0 offset:72 ; 4-byte Folded Reload
	buffer_load_dword v72, off, s[20:23], 0 offset:76 ; 4-byte Folded Reload
	s_waitcnt vmcnt(0)
	ds_write2_b64 v125, v[69:70], v[71:72] offset0:50 offset1:51
	;; [unrolled: 6-line block ×3, first 2 shown]
	ds_write2_b64 v125, v[117:118], v[119:120] offset0:54 offset1:55
	ds_write2_b64 v125, v[121:122], v[123:124] offset0:56 offset1:57
	;; [unrolled: 1-line block ×5, first 2 shown]
	buffer_load_dword v77, off, s[20:23], 0 offset:32 ; 4-byte Folded Reload
	buffer_load_dword v78, off, s[20:23], 0 offset:36 ; 4-byte Folded Reload
	;; [unrolled: 1-line block ×4, first 2 shown]
	v_mov_b32_e32 v69, v73
	v_mov_b32_e32 v70, v74
	;; [unrolled: 1-line block ×4, first 2 shown]
	s_waitcnt vmcnt(0)
	ds_write2_b64 v125, v[77:78], v[79:80] offset0:64 offset1:65
	buffer_load_dword v73, off, s[20:23], 0 offset:16 ; 4-byte Folded Reload
	buffer_load_dword v74, off, s[20:23], 0 offset:20 ; 4-byte Folded Reload
	buffer_load_dword v75, off, s[20:23], 0 offset:24 ; 4-byte Folded Reload
	buffer_load_dword v76, off, s[20:23], 0 offset:28 ; 4-byte Folded Reload
	s_waitcnt vmcnt(0)
	ds_write2_b64 v125, v[73:74], v[75:76] offset0:66 offset1:67
	v_mov_b32_e32 v76, v72
	v_mov_b32_e32 v75, v71
	;; [unrolled: 1-line block ×4, first 2 shown]
	buffer_load_dword v69, off, s[20:23], 0 ; 4-byte Folded Reload
	buffer_load_dword v70, off, s[20:23], 0 offset:4 ; 4-byte Folded Reload
	buffer_load_dword v71, off, s[20:23], 0 offset:8 ; 4-byte Folded Reload
	;; [unrolled: 1-line block ×3, first 2 shown]
	s_waitcnt vmcnt(0)
	ds_write2_b64 v125, v[69:70], v[71:72] offset0:68 offset1:69
	ds_write2_b64 v125, v[65:66], v[67:68] offset0:70 offset1:71
	;; [unrolled: 1-line block ×19, first 2 shown]
	ds_read2_b64 v[97:100], v127 offset1:1
	s_waitcnt lgkmcnt(0)
	v_cmp_neq_f64_e32 vcc, 0, v[97:98]
	v_cmp_neq_f64_e64 s[2:3], 0, v[99:100]
	s_or_b64 s[2:3], vcc, s[2:3]
	s_and_b64 exec, exec, s[2:3]
	s_cbranch_execz .LBB105_215
; %bb.210:
	v_cmp_ngt_f64_e64 s[2:3], |v[97:98]|, |v[99:100]|
                                        ; implicit-def: $vgpr101_vgpr102
	s_and_saveexec_b64 s[6:7], s[2:3]
	s_xor_b64 s[2:3], exec, s[6:7]
                                        ; implicit-def: $vgpr103_vgpr104
	s_cbranch_execz .LBB105_212
; %bb.211:
	v_div_scale_f64 v[101:102], s[6:7], v[99:100], v[99:100], v[97:98]
	v_rcp_f64_e32 v[103:104], v[101:102]
	v_fma_f64 v[105:106], -v[101:102], v[103:104], 1.0
	v_fma_f64 v[103:104], v[103:104], v[105:106], v[103:104]
	v_div_scale_f64 v[105:106], vcc, v[97:98], v[99:100], v[97:98]
	v_fma_f64 v[107:108], -v[101:102], v[103:104], 1.0
	v_fma_f64 v[103:104], v[103:104], v[107:108], v[103:104]
	v_mul_f64 v[107:108], v[105:106], v[103:104]
	v_fma_f64 v[101:102], -v[101:102], v[107:108], v[105:106]
	v_div_fmas_f64 v[101:102], v[101:102], v[103:104], v[107:108]
	v_div_fixup_f64 v[101:102], v[101:102], v[99:100], v[97:98]
	v_fma_f64 v[97:98], v[97:98], v[101:102], v[99:100]
	v_div_scale_f64 v[99:100], s[6:7], v[97:98], v[97:98], 1.0
	v_div_scale_f64 v[107:108], vcc, 1.0, v[97:98], 1.0
	v_rcp_f64_e32 v[103:104], v[99:100]
	v_fma_f64 v[105:106], -v[99:100], v[103:104], 1.0
	v_fma_f64 v[103:104], v[103:104], v[105:106], v[103:104]
	v_fma_f64 v[105:106], -v[99:100], v[103:104], 1.0
	v_fma_f64 v[103:104], v[103:104], v[105:106], v[103:104]
	v_mul_f64 v[105:106], v[107:108], v[103:104]
	v_fma_f64 v[99:100], -v[99:100], v[105:106], v[107:108]
	v_div_fmas_f64 v[99:100], v[99:100], v[103:104], v[105:106]
	v_div_fixup_f64 v[103:104], v[99:100], v[97:98], 1.0
                                        ; implicit-def: $vgpr97_vgpr98
	v_mul_f64 v[101:102], v[101:102], v[103:104]
	v_xor_b32_e32 v104, 0x80000000, v104
.LBB105_212:
	s_andn2_saveexec_b64 s[2:3], s[2:3]
	s_cbranch_execz .LBB105_214
; %bb.213:
	v_div_scale_f64 v[101:102], s[6:7], v[97:98], v[97:98], v[99:100]
	v_rcp_f64_e32 v[103:104], v[101:102]
	v_fma_f64 v[105:106], -v[101:102], v[103:104], 1.0
	v_fma_f64 v[103:104], v[103:104], v[105:106], v[103:104]
	v_div_scale_f64 v[105:106], vcc, v[99:100], v[97:98], v[99:100]
	v_fma_f64 v[107:108], -v[101:102], v[103:104], 1.0
	v_fma_f64 v[103:104], v[103:104], v[107:108], v[103:104]
	v_mul_f64 v[107:108], v[105:106], v[103:104]
	v_fma_f64 v[101:102], -v[101:102], v[107:108], v[105:106]
	v_div_fmas_f64 v[101:102], v[101:102], v[103:104], v[107:108]
	v_div_fixup_f64 v[103:104], v[101:102], v[97:98], v[99:100]
	v_fma_f64 v[97:98], v[99:100], v[103:104], v[97:98]
	v_div_scale_f64 v[99:100], s[6:7], v[97:98], v[97:98], 1.0
	v_div_scale_f64 v[107:108], vcc, 1.0, v[97:98], 1.0
	v_rcp_f64_e32 v[101:102], v[99:100]
	v_fma_f64 v[105:106], -v[99:100], v[101:102], 1.0
	v_fma_f64 v[101:102], v[101:102], v[105:106], v[101:102]
	v_fma_f64 v[105:106], -v[99:100], v[101:102], 1.0
	v_fma_f64 v[101:102], v[101:102], v[105:106], v[101:102]
	v_mul_f64 v[105:106], v[107:108], v[101:102]
	v_fma_f64 v[99:100], -v[99:100], v[105:106], v[107:108]
	v_div_fmas_f64 v[99:100], v[99:100], v[101:102], v[105:106]
	v_div_fixup_f64 v[101:102], v[99:100], v[97:98], 1.0
	v_mul_f64 v[103:104], v[103:104], -v[101:102]
.LBB105_214:
	s_or_b64 exec, exec, s[2:3]
	ds_write2_b64 v127, v[101:102], v[103:104] offset1:1
.LBB105_215:
	s_or_b64 exec, exec, s[4:5]
	s_waitcnt lgkmcnt(0)
	s_barrier
	ds_read2_b64 v[69:72], v127 offset1:1
	v_cmp_lt_u32_e32 vcc, 23, v0
	s_waitcnt lgkmcnt(0)
	buffer_store_dword v69, off, s[20:23], 0 offset:1264 ; 4-byte Folded Spill
	s_nop 0
	buffer_store_dword v70, off, s[20:23], 0 offset:1268 ; 4-byte Folded Spill
	buffer_store_dword v71, off, s[20:23], 0 offset:1272 ; 4-byte Folded Spill
	;; [unrolled: 1-line block ×3, first 2 shown]
	s_and_saveexec_b64 s[2:3], vcc
	s_cbranch_execz .LBB105_217
; %bb.216:
	buffer_load_dword v103, off, s[20:23], 0 offset:96 ; 4-byte Folded Reload
	buffer_load_dword v104, off, s[20:23], 0 offset:100 ; 4-byte Folded Reload
	;; [unrolled: 1-line block ×8, first 2 shown]
	s_waitcnt vmcnt(2)
	v_mul_f64 v[99:100], v[69:70], v[105:106]
	s_waitcnt vmcnt(0)
	v_mul_f64 v[97:98], v[71:72], v[105:106]
	v_fma_f64 v[105:106], v[71:72], v[103:104], v[99:100]
	ds_read2_b64 v[99:102], v125 offset0:48 offset1:49
	v_fma_f64 v[97:98], v[69:70], v[103:104], -v[97:98]
	buffer_load_dword v69, off, s[20:23], 0 offset:80 ; 4-byte Folded Reload
	buffer_load_dword v70, off, s[20:23], 0 offset:84 ; 4-byte Folded Reload
	buffer_load_dword v71, off, s[20:23], 0 offset:88 ; 4-byte Folded Reload
	buffer_load_dword v72, off, s[20:23], 0 offset:92 ; 4-byte Folded Reload
	s_waitcnt lgkmcnt(0)
	v_mul_f64 v[103:104], v[101:102], v[105:106]
	v_fma_f64 v[103:104], v[99:100], v[97:98], -v[103:104]
	v_mul_f64 v[99:100], v[99:100], v[105:106]
	v_fma_f64 v[99:100], v[101:102], v[97:98], v[99:100]
	s_waitcnt vmcnt(2)
	v_add_f64 v[69:70], v[69:70], -v[103:104]
	s_waitcnt vmcnt(0)
	v_add_f64 v[71:72], v[71:72], -v[99:100]
	buffer_store_dword v69, off, s[20:23], 0 offset:80 ; 4-byte Folded Spill
	s_nop 0
	buffer_store_dword v70, off, s[20:23], 0 offset:84 ; 4-byte Folded Spill
	buffer_store_dword v71, off, s[20:23], 0 offset:88 ; 4-byte Folded Spill
	buffer_store_dword v72, off, s[20:23], 0 offset:92 ; 4-byte Folded Spill
	ds_read2_b64 v[99:102], v125 offset0:50 offset1:51
	buffer_load_dword v69, off, s[20:23], 0 offset:64 ; 4-byte Folded Reload
	buffer_load_dword v70, off, s[20:23], 0 offset:68 ; 4-byte Folded Reload
	buffer_load_dword v71, off, s[20:23], 0 offset:72 ; 4-byte Folded Reload
	buffer_load_dword v72, off, s[20:23], 0 offset:76 ; 4-byte Folded Reload
	s_waitcnt lgkmcnt(0)
	v_mul_f64 v[103:104], v[101:102], v[105:106]
	v_fma_f64 v[103:104], v[99:100], v[97:98], -v[103:104]
	v_mul_f64 v[99:100], v[99:100], v[105:106]
	v_fma_f64 v[99:100], v[101:102], v[97:98], v[99:100]
	s_waitcnt vmcnt(2)
	v_add_f64 v[69:70], v[69:70], -v[103:104]
	s_waitcnt vmcnt(0)
	v_add_f64 v[71:72], v[71:72], -v[99:100]
	buffer_store_dword v69, off, s[20:23], 0 offset:64 ; 4-byte Folded Spill
	s_nop 0
	buffer_store_dword v70, off, s[20:23], 0 offset:68 ; 4-byte Folded Spill
	buffer_store_dword v71, off, s[20:23], 0 offset:72 ; 4-byte Folded Spill
	buffer_store_dword v72, off, s[20:23], 0 offset:76 ; 4-byte Folded Spill
	ds_read2_b64 v[99:102], v125 offset0:52 offset1:53
	;; [unrolled: 19-line block ×3, first 2 shown]
	v_mov_b32_e32 v69, v73
	v_mov_b32_e32 v70, v74
	;; [unrolled: 1-line block ×4, first 2 shown]
	s_waitcnt lgkmcnt(0)
	v_mul_f64 v[103:104], v[101:102], v[105:106]
	v_fma_f64 v[103:104], v[99:100], v[97:98], -v[103:104]
	v_mul_f64 v[99:100], v[99:100], v[105:106]
	v_add_f64 v[117:118], v[117:118], -v[103:104]
	v_fma_f64 v[99:100], v[101:102], v[97:98], v[99:100]
	v_add_f64 v[119:120], v[119:120], -v[99:100]
	ds_read2_b64 v[99:102], v125 offset0:56 offset1:57
	s_waitcnt lgkmcnt(0)
	v_mul_f64 v[103:104], v[101:102], v[105:106]
	v_fma_f64 v[103:104], v[99:100], v[97:98], -v[103:104]
	v_mul_f64 v[99:100], v[99:100], v[105:106]
	v_add_f64 v[121:122], v[121:122], -v[103:104]
	v_fma_f64 v[99:100], v[101:102], v[97:98], v[99:100]
	v_add_f64 v[123:124], v[123:124], -v[99:100]
	ds_read2_b64 v[99:102], v125 offset0:58 offset1:59
	;; [unrolled: 8-line block ×5, first 2 shown]
	buffer_load_dword v77, off, s[20:23], 0 offset:32 ; 4-byte Folded Reload
	buffer_load_dword v78, off, s[20:23], 0 offset:36 ; 4-byte Folded Reload
	;; [unrolled: 1-line block ×4, first 2 shown]
	s_waitcnt lgkmcnt(0)
	v_mul_f64 v[103:104], v[101:102], v[105:106]
	v_fma_f64 v[103:104], v[99:100], v[97:98], -v[103:104]
	v_mul_f64 v[99:100], v[99:100], v[105:106]
	v_fma_f64 v[99:100], v[101:102], v[97:98], v[99:100]
	s_waitcnt vmcnt(2)
	v_add_f64 v[77:78], v[77:78], -v[103:104]
	s_waitcnt vmcnt(0)
	v_add_f64 v[79:80], v[79:80], -v[99:100]
	buffer_store_dword v77, off, s[20:23], 0 offset:32 ; 4-byte Folded Spill
	s_nop 0
	buffer_store_dword v78, off, s[20:23], 0 offset:36 ; 4-byte Folded Spill
	buffer_store_dword v79, off, s[20:23], 0 offset:40 ; 4-byte Folded Spill
	;; [unrolled: 1-line block ×3, first 2 shown]
	ds_read2_b64 v[99:102], v125 offset0:66 offset1:67
	buffer_load_dword v73, off, s[20:23], 0 offset:16 ; 4-byte Folded Reload
	buffer_load_dword v74, off, s[20:23], 0 offset:20 ; 4-byte Folded Reload
	;; [unrolled: 1-line block ×4, first 2 shown]
	s_waitcnt lgkmcnt(0)
	v_mul_f64 v[103:104], v[101:102], v[105:106]
	v_fma_f64 v[103:104], v[99:100], v[97:98], -v[103:104]
	v_mul_f64 v[99:100], v[99:100], v[105:106]
	v_fma_f64 v[99:100], v[101:102], v[97:98], v[99:100]
	s_waitcnt vmcnt(2)
	v_add_f64 v[73:74], v[73:74], -v[103:104]
	s_waitcnt vmcnt(0)
	v_add_f64 v[75:76], v[75:76], -v[99:100]
	buffer_store_dword v73, off, s[20:23], 0 offset:16 ; 4-byte Folded Spill
	s_nop 0
	buffer_store_dword v74, off, s[20:23], 0 offset:20 ; 4-byte Folded Spill
	buffer_store_dword v75, off, s[20:23], 0 offset:24 ; 4-byte Folded Spill
	;; [unrolled: 1-line block ×3, first 2 shown]
	v_mov_b32_e32 v76, v72
	v_mov_b32_e32 v75, v71
	;; [unrolled: 1-line block ×4, first 2 shown]
	ds_read2_b64 v[99:102], v125 offset0:68 offset1:69
	buffer_load_dword v69, off, s[20:23], 0 ; 4-byte Folded Reload
	buffer_load_dword v70, off, s[20:23], 0 offset:4 ; 4-byte Folded Reload
	buffer_load_dword v71, off, s[20:23], 0 offset:8 ; 4-byte Folded Reload
	;; [unrolled: 1-line block ×3, first 2 shown]
	s_waitcnt lgkmcnt(0)
	v_mul_f64 v[103:104], v[101:102], v[105:106]
	v_fma_f64 v[103:104], v[99:100], v[97:98], -v[103:104]
	v_mul_f64 v[99:100], v[99:100], v[105:106]
	v_fma_f64 v[99:100], v[101:102], v[97:98], v[99:100]
	s_waitcnt vmcnt(2)
	v_add_f64 v[69:70], v[69:70], -v[103:104]
	s_waitcnt vmcnt(0)
	v_add_f64 v[71:72], v[71:72], -v[99:100]
	buffer_store_dword v69, off, s[20:23], 0 ; 4-byte Folded Spill
	s_nop 0
	buffer_store_dword v70, off, s[20:23], 0 offset:4 ; 4-byte Folded Spill
	buffer_store_dword v71, off, s[20:23], 0 offset:8 ; 4-byte Folded Spill
	;; [unrolled: 1-line block ×3, first 2 shown]
	ds_read2_b64 v[99:102], v125 offset0:70 offset1:71
	s_waitcnt lgkmcnt(0)
	v_mul_f64 v[103:104], v[101:102], v[105:106]
	v_fma_f64 v[103:104], v[99:100], v[97:98], -v[103:104]
	v_mul_f64 v[99:100], v[99:100], v[105:106]
	v_add_f64 v[65:66], v[65:66], -v[103:104]
	v_fma_f64 v[99:100], v[101:102], v[97:98], v[99:100]
	v_add_f64 v[67:68], v[67:68], -v[99:100]
	ds_read2_b64 v[99:102], v125 offset0:72 offset1:73
	s_waitcnt lgkmcnt(0)
	v_mul_f64 v[103:104], v[101:102], v[105:106]
	v_fma_f64 v[103:104], v[99:100], v[97:98], -v[103:104]
	v_mul_f64 v[99:100], v[99:100], v[105:106]
	v_add_f64 v[61:62], v[61:62], -v[103:104]
	v_fma_f64 v[99:100], v[101:102], v[97:98], v[99:100]
	v_add_f64 v[63:64], v[63:64], -v[99:100]
	;; [unrolled: 8-line block ×17, first 2 shown]
	ds_read2_b64 v[99:102], v125 offset0:104 offset1:105
	s_waitcnt lgkmcnt(0)
	v_mul_f64 v[103:104], v[101:102], v[105:106]
	v_fma_f64 v[103:104], v[99:100], v[97:98], -v[103:104]
	v_mul_f64 v[99:100], v[99:100], v[105:106]
	v_add_f64 v[73:74], v[73:74], -v[103:104]
	v_fma_f64 v[99:100], v[101:102], v[97:98], v[99:100]
	v_mov_b32_e32 v104, v98
	v_mov_b32_e32 v103, v97
	buffer_store_dword v103, off, s[20:23], 0 offset:96 ; 4-byte Folded Spill
	s_nop 0
	buffer_store_dword v104, off, s[20:23], 0 offset:100 ; 4-byte Folded Spill
	buffer_store_dword v105, off, s[20:23], 0 offset:104 ; 4-byte Folded Spill
	;; [unrolled: 1-line block ×3, first 2 shown]
	v_add_f64 v[75:76], v[75:76], -v[99:100]
.LBB105_217:
	s_or_b64 exec, exec, s[2:3]
	v_cmp_eq_u32_e32 vcc, 24, v0
	s_waitcnt vmcnt(0)
	s_barrier
	s_and_saveexec_b64 s[4:5], vcc
	s_cbranch_execz .LBB105_224
; %bb.218:
	buffer_load_dword v69, off, s[20:23], 0 offset:80 ; 4-byte Folded Reload
	buffer_load_dword v70, off, s[20:23], 0 offset:84 ; 4-byte Folded Reload
	;; [unrolled: 1-line block ×4, first 2 shown]
	s_waitcnt vmcnt(0)
	ds_write2_b64 v127, v[69:70], v[71:72] offset1:1
	buffer_load_dword v69, off, s[20:23], 0 offset:64 ; 4-byte Folded Reload
	buffer_load_dword v70, off, s[20:23], 0 offset:68 ; 4-byte Folded Reload
	;; [unrolled: 1-line block ×4, first 2 shown]
	s_waitcnt vmcnt(0)
	ds_write2_b64 v125, v[69:70], v[71:72] offset0:50 offset1:51
	buffer_load_dword v69, off, s[20:23], 0 offset:48 ; 4-byte Folded Reload
	buffer_load_dword v70, off, s[20:23], 0 offset:52 ; 4-byte Folded Reload
	;; [unrolled: 1-line block ×4, first 2 shown]
	s_waitcnt vmcnt(0)
	ds_write2_b64 v125, v[69:70], v[71:72] offset0:52 offset1:53
	ds_write2_b64 v125, v[117:118], v[119:120] offset0:54 offset1:55
	;; [unrolled: 1-line block ×6, first 2 shown]
	buffer_load_dword v77, off, s[20:23], 0 offset:32 ; 4-byte Folded Reload
	buffer_load_dword v78, off, s[20:23], 0 offset:36 ; 4-byte Folded Reload
	buffer_load_dword v79, off, s[20:23], 0 offset:40 ; 4-byte Folded Reload
	buffer_load_dword v80, off, s[20:23], 0 offset:44 ; 4-byte Folded Reload
	v_mov_b32_e32 v69, v73
	v_mov_b32_e32 v70, v74
	;; [unrolled: 1-line block ×4, first 2 shown]
	s_waitcnt vmcnt(0)
	ds_write2_b64 v125, v[77:78], v[79:80] offset0:64 offset1:65
	buffer_load_dword v73, off, s[20:23], 0 offset:16 ; 4-byte Folded Reload
	buffer_load_dword v74, off, s[20:23], 0 offset:20 ; 4-byte Folded Reload
	;; [unrolled: 1-line block ×4, first 2 shown]
	s_waitcnt vmcnt(0)
	ds_write2_b64 v125, v[73:74], v[75:76] offset0:66 offset1:67
	v_mov_b32_e32 v76, v72
	v_mov_b32_e32 v75, v71
	;; [unrolled: 1-line block ×4, first 2 shown]
	buffer_load_dword v69, off, s[20:23], 0 ; 4-byte Folded Reload
	buffer_load_dword v70, off, s[20:23], 0 offset:4 ; 4-byte Folded Reload
	buffer_load_dword v71, off, s[20:23], 0 offset:8 ; 4-byte Folded Reload
	;; [unrolled: 1-line block ×3, first 2 shown]
	s_waitcnt vmcnt(0)
	ds_write2_b64 v125, v[69:70], v[71:72] offset0:68 offset1:69
	ds_write2_b64 v125, v[65:66], v[67:68] offset0:70 offset1:71
	;; [unrolled: 1-line block ×19, first 2 shown]
	ds_read2_b64 v[97:100], v127 offset1:1
	s_waitcnt lgkmcnt(0)
	v_cmp_neq_f64_e32 vcc, 0, v[97:98]
	v_cmp_neq_f64_e64 s[2:3], 0, v[99:100]
	s_or_b64 s[2:3], vcc, s[2:3]
	s_and_b64 exec, exec, s[2:3]
	s_cbranch_execz .LBB105_224
; %bb.219:
	v_cmp_ngt_f64_e64 s[2:3], |v[97:98]|, |v[99:100]|
                                        ; implicit-def: $vgpr101_vgpr102
	s_and_saveexec_b64 s[6:7], s[2:3]
	s_xor_b64 s[2:3], exec, s[6:7]
                                        ; implicit-def: $vgpr103_vgpr104
	s_cbranch_execz .LBB105_221
; %bb.220:
	v_div_scale_f64 v[101:102], s[6:7], v[99:100], v[99:100], v[97:98]
	v_rcp_f64_e32 v[103:104], v[101:102]
	v_fma_f64 v[105:106], -v[101:102], v[103:104], 1.0
	v_fma_f64 v[103:104], v[103:104], v[105:106], v[103:104]
	v_div_scale_f64 v[105:106], vcc, v[97:98], v[99:100], v[97:98]
	v_fma_f64 v[107:108], -v[101:102], v[103:104], 1.0
	v_fma_f64 v[103:104], v[103:104], v[107:108], v[103:104]
	v_mul_f64 v[107:108], v[105:106], v[103:104]
	v_fma_f64 v[101:102], -v[101:102], v[107:108], v[105:106]
	v_div_fmas_f64 v[101:102], v[101:102], v[103:104], v[107:108]
	v_div_fixup_f64 v[101:102], v[101:102], v[99:100], v[97:98]
	v_fma_f64 v[97:98], v[97:98], v[101:102], v[99:100]
	v_div_scale_f64 v[99:100], s[6:7], v[97:98], v[97:98], 1.0
	v_div_scale_f64 v[107:108], vcc, 1.0, v[97:98], 1.0
	v_rcp_f64_e32 v[103:104], v[99:100]
	v_fma_f64 v[105:106], -v[99:100], v[103:104], 1.0
	v_fma_f64 v[103:104], v[103:104], v[105:106], v[103:104]
	v_fma_f64 v[105:106], -v[99:100], v[103:104], 1.0
	v_fma_f64 v[103:104], v[103:104], v[105:106], v[103:104]
	v_mul_f64 v[105:106], v[107:108], v[103:104]
	v_fma_f64 v[99:100], -v[99:100], v[105:106], v[107:108]
	v_div_fmas_f64 v[99:100], v[99:100], v[103:104], v[105:106]
	v_div_fixup_f64 v[103:104], v[99:100], v[97:98], 1.0
                                        ; implicit-def: $vgpr97_vgpr98
	v_mul_f64 v[101:102], v[101:102], v[103:104]
	v_xor_b32_e32 v104, 0x80000000, v104
.LBB105_221:
	s_andn2_saveexec_b64 s[2:3], s[2:3]
	s_cbranch_execz .LBB105_223
; %bb.222:
	v_div_scale_f64 v[101:102], s[6:7], v[97:98], v[97:98], v[99:100]
	v_rcp_f64_e32 v[103:104], v[101:102]
	v_fma_f64 v[105:106], -v[101:102], v[103:104], 1.0
	v_fma_f64 v[103:104], v[103:104], v[105:106], v[103:104]
	v_div_scale_f64 v[105:106], vcc, v[99:100], v[97:98], v[99:100]
	v_fma_f64 v[107:108], -v[101:102], v[103:104], 1.0
	v_fma_f64 v[103:104], v[103:104], v[107:108], v[103:104]
	v_mul_f64 v[107:108], v[105:106], v[103:104]
	v_fma_f64 v[101:102], -v[101:102], v[107:108], v[105:106]
	v_div_fmas_f64 v[101:102], v[101:102], v[103:104], v[107:108]
	v_div_fixup_f64 v[103:104], v[101:102], v[97:98], v[99:100]
	v_fma_f64 v[97:98], v[99:100], v[103:104], v[97:98]
	v_div_scale_f64 v[99:100], s[6:7], v[97:98], v[97:98], 1.0
	v_div_scale_f64 v[107:108], vcc, 1.0, v[97:98], 1.0
	v_rcp_f64_e32 v[101:102], v[99:100]
	v_fma_f64 v[105:106], -v[99:100], v[101:102], 1.0
	v_fma_f64 v[101:102], v[101:102], v[105:106], v[101:102]
	v_fma_f64 v[105:106], -v[99:100], v[101:102], 1.0
	v_fma_f64 v[101:102], v[101:102], v[105:106], v[101:102]
	v_mul_f64 v[105:106], v[107:108], v[101:102]
	v_fma_f64 v[99:100], -v[99:100], v[105:106], v[107:108]
	v_div_fmas_f64 v[99:100], v[99:100], v[101:102], v[105:106]
	v_div_fixup_f64 v[101:102], v[99:100], v[97:98], 1.0
	v_mul_f64 v[103:104], v[103:104], -v[101:102]
.LBB105_223:
	s_or_b64 exec, exec, s[2:3]
	ds_write2_b64 v127, v[101:102], v[103:104] offset1:1
.LBB105_224:
	s_or_b64 exec, exec, s[4:5]
	s_waitcnt lgkmcnt(0)
	s_barrier
	ds_read2_b64 v[69:72], v127 offset1:1
	v_cmp_lt_u32_e32 vcc, 24, v0
	s_waitcnt lgkmcnt(0)
	buffer_store_dword v69, off, s[20:23], 0 offset:1280 ; 4-byte Folded Spill
	s_nop 0
	buffer_store_dword v70, off, s[20:23], 0 offset:1284 ; 4-byte Folded Spill
	buffer_store_dword v71, off, s[20:23], 0 offset:1288 ; 4-byte Folded Spill
	;; [unrolled: 1-line block ×3, first 2 shown]
	s_and_saveexec_b64 s[2:3], vcc
	s_cbranch_execz .LBB105_226
; %bb.225:
	buffer_load_dword v103, off, s[20:23], 0 offset:80 ; 4-byte Folded Reload
	buffer_load_dword v104, off, s[20:23], 0 offset:84 ; 4-byte Folded Reload
	;; [unrolled: 1-line block ×8, first 2 shown]
	s_waitcnt vmcnt(2)
	v_mul_f64 v[99:100], v[69:70], v[105:106]
	s_waitcnt vmcnt(0)
	v_mul_f64 v[97:98], v[71:72], v[105:106]
	v_fma_f64 v[105:106], v[71:72], v[103:104], v[99:100]
	ds_read2_b64 v[99:102], v125 offset0:50 offset1:51
	v_fma_f64 v[97:98], v[69:70], v[103:104], -v[97:98]
	buffer_load_dword v69, off, s[20:23], 0 offset:64 ; 4-byte Folded Reload
	buffer_load_dword v70, off, s[20:23], 0 offset:68 ; 4-byte Folded Reload
	;; [unrolled: 1-line block ×4, first 2 shown]
	s_waitcnt lgkmcnt(0)
	v_mul_f64 v[103:104], v[101:102], v[105:106]
	v_fma_f64 v[103:104], v[99:100], v[97:98], -v[103:104]
	v_mul_f64 v[99:100], v[99:100], v[105:106]
	v_fma_f64 v[99:100], v[101:102], v[97:98], v[99:100]
	s_waitcnt vmcnt(2)
	v_add_f64 v[69:70], v[69:70], -v[103:104]
	s_waitcnt vmcnt(0)
	v_add_f64 v[71:72], v[71:72], -v[99:100]
	buffer_store_dword v69, off, s[20:23], 0 offset:64 ; 4-byte Folded Spill
	s_nop 0
	buffer_store_dword v70, off, s[20:23], 0 offset:68 ; 4-byte Folded Spill
	buffer_store_dword v71, off, s[20:23], 0 offset:72 ; 4-byte Folded Spill
	;; [unrolled: 1-line block ×3, first 2 shown]
	ds_read2_b64 v[99:102], v125 offset0:52 offset1:53
	buffer_load_dword v69, off, s[20:23], 0 offset:48 ; 4-byte Folded Reload
	buffer_load_dword v70, off, s[20:23], 0 offset:52 ; 4-byte Folded Reload
	;; [unrolled: 1-line block ×4, first 2 shown]
	s_waitcnt lgkmcnt(0)
	v_mul_f64 v[103:104], v[101:102], v[105:106]
	v_fma_f64 v[103:104], v[99:100], v[97:98], -v[103:104]
	v_mul_f64 v[99:100], v[99:100], v[105:106]
	v_fma_f64 v[99:100], v[101:102], v[97:98], v[99:100]
	s_waitcnt vmcnt(2)
	v_add_f64 v[69:70], v[69:70], -v[103:104]
	s_waitcnt vmcnt(0)
	v_add_f64 v[71:72], v[71:72], -v[99:100]
	buffer_store_dword v69, off, s[20:23], 0 offset:48 ; 4-byte Folded Spill
	s_nop 0
	buffer_store_dword v70, off, s[20:23], 0 offset:52 ; 4-byte Folded Spill
	buffer_store_dword v71, off, s[20:23], 0 offset:56 ; 4-byte Folded Spill
	;; [unrolled: 1-line block ×3, first 2 shown]
	ds_read2_b64 v[99:102], v125 offset0:54 offset1:55
	v_mov_b32_e32 v69, v73
	v_mov_b32_e32 v70, v74
	v_mov_b32_e32 v71, v75
	v_mov_b32_e32 v72, v76
	s_waitcnt lgkmcnt(0)
	v_mul_f64 v[103:104], v[101:102], v[105:106]
	v_fma_f64 v[103:104], v[99:100], v[97:98], -v[103:104]
	v_mul_f64 v[99:100], v[99:100], v[105:106]
	v_add_f64 v[117:118], v[117:118], -v[103:104]
	v_fma_f64 v[99:100], v[101:102], v[97:98], v[99:100]
	v_add_f64 v[119:120], v[119:120], -v[99:100]
	ds_read2_b64 v[99:102], v125 offset0:56 offset1:57
	s_waitcnt lgkmcnt(0)
	v_mul_f64 v[103:104], v[101:102], v[105:106]
	v_fma_f64 v[103:104], v[99:100], v[97:98], -v[103:104]
	v_mul_f64 v[99:100], v[99:100], v[105:106]
	v_add_f64 v[121:122], v[121:122], -v[103:104]
	v_fma_f64 v[99:100], v[101:102], v[97:98], v[99:100]
	v_add_f64 v[123:124], v[123:124], -v[99:100]
	ds_read2_b64 v[99:102], v125 offset0:58 offset1:59
	;; [unrolled: 8-line block ×5, first 2 shown]
	buffer_load_dword v77, off, s[20:23], 0 offset:32 ; 4-byte Folded Reload
	buffer_load_dword v78, off, s[20:23], 0 offset:36 ; 4-byte Folded Reload
	;; [unrolled: 1-line block ×4, first 2 shown]
	s_waitcnt lgkmcnt(0)
	v_mul_f64 v[103:104], v[101:102], v[105:106]
	v_fma_f64 v[103:104], v[99:100], v[97:98], -v[103:104]
	v_mul_f64 v[99:100], v[99:100], v[105:106]
	v_fma_f64 v[99:100], v[101:102], v[97:98], v[99:100]
	s_waitcnt vmcnt(2)
	v_add_f64 v[77:78], v[77:78], -v[103:104]
	s_waitcnt vmcnt(0)
	v_add_f64 v[79:80], v[79:80], -v[99:100]
	buffer_store_dword v77, off, s[20:23], 0 offset:32 ; 4-byte Folded Spill
	s_nop 0
	buffer_store_dword v78, off, s[20:23], 0 offset:36 ; 4-byte Folded Spill
	buffer_store_dword v79, off, s[20:23], 0 offset:40 ; 4-byte Folded Spill
	;; [unrolled: 1-line block ×3, first 2 shown]
	ds_read2_b64 v[99:102], v125 offset0:66 offset1:67
	buffer_load_dword v73, off, s[20:23], 0 offset:16 ; 4-byte Folded Reload
	buffer_load_dword v74, off, s[20:23], 0 offset:20 ; 4-byte Folded Reload
	;; [unrolled: 1-line block ×4, first 2 shown]
	s_waitcnt lgkmcnt(0)
	v_mul_f64 v[103:104], v[101:102], v[105:106]
	v_fma_f64 v[103:104], v[99:100], v[97:98], -v[103:104]
	v_mul_f64 v[99:100], v[99:100], v[105:106]
	v_fma_f64 v[99:100], v[101:102], v[97:98], v[99:100]
	s_waitcnt vmcnt(2)
	v_add_f64 v[73:74], v[73:74], -v[103:104]
	s_waitcnt vmcnt(0)
	v_add_f64 v[75:76], v[75:76], -v[99:100]
	buffer_store_dword v73, off, s[20:23], 0 offset:16 ; 4-byte Folded Spill
	s_nop 0
	buffer_store_dword v74, off, s[20:23], 0 offset:20 ; 4-byte Folded Spill
	buffer_store_dword v75, off, s[20:23], 0 offset:24 ; 4-byte Folded Spill
	;; [unrolled: 1-line block ×3, first 2 shown]
	v_mov_b32_e32 v76, v72
	v_mov_b32_e32 v75, v71
	;; [unrolled: 1-line block ×4, first 2 shown]
	ds_read2_b64 v[99:102], v125 offset0:68 offset1:69
	buffer_load_dword v69, off, s[20:23], 0 ; 4-byte Folded Reload
	buffer_load_dword v70, off, s[20:23], 0 offset:4 ; 4-byte Folded Reload
	buffer_load_dword v71, off, s[20:23], 0 offset:8 ; 4-byte Folded Reload
	;; [unrolled: 1-line block ×3, first 2 shown]
	s_waitcnt lgkmcnt(0)
	v_mul_f64 v[103:104], v[101:102], v[105:106]
	v_fma_f64 v[103:104], v[99:100], v[97:98], -v[103:104]
	v_mul_f64 v[99:100], v[99:100], v[105:106]
	v_fma_f64 v[99:100], v[101:102], v[97:98], v[99:100]
	s_waitcnt vmcnt(2)
	v_add_f64 v[69:70], v[69:70], -v[103:104]
	s_waitcnt vmcnt(0)
	v_add_f64 v[71:72], v[71:72], -v[99:100]
	buffer_store_dword v69, off, s[20:23], 0 ; 4-byte Folded Spill
	s_nop 0
	buffer_store_dword v70, off, s[20:23], 0 offset:4 ; 4-byte Folded Spill
	buffer_store_dword v71, off, s[20:23], 0 offset:8 ; 4-byte Folded Spill
	;; [unrolled: 1-line block ×3, first 2 shown]
	ds_read2_b64 v[99:102], v125 offset0:70 offset1:71
	s_waitcnt lgkmcnt(0)
	v_mul_f64 v[103:104], v[101:102], v[105:106]
	v_fma_f64 v[103:104], v[99:100], v[97:98], -v[103:104]
	v_mul_f64 v[99:100], v[99:100], v[105:106]
	v_add_f64 v[65:66], v[65:66], -v[103:104]
	v_fma_f64 v[99:100], v[101:102], v[97:98], v[99:100]
	v_add_f64 v[67:68], v[67:68], -v[99:100]
	ds_read2_b64 v[99:102], v125 offset0:72 offset1:73
	s_waitcnt lgkmcnt(0)
	v_mul_f64 v[103:104], v[101:102], v[105:106]
	v_fma_f64 v[103:104], v[99:100], v[97:98], -v[103:104]
	v_mul_f64 v[99:100], v[99:100], v[105:106]
	v_add_f64 v[61:62], v[61:62], -v[103:104]
	v_fma_f64 v[99:100], v[101:102], v[97:98], v[99:100]
	v_add_f64 v[63:64], v[63:64], -v[99:100]
	ds_read2_b64 v[99:102], v125 offset0:74 offset1:75
	s_waitcnt lgkmcnt(0)
	v_mul_f64 v[103:104], v[101:102], v[105:106]
	v_fma_f64 v[103:104], v[99:100], v[97:98], -v[103:104]
	v_mul_f64 v[99:100], v[99:100], v[105:106]
	v_add_f64 v[57:58], v[57:58], -v[103:104]
	v_fma_f64 v[99:100], v[101:102], v[97:98], v[99:100]
	v_add_f64 v[59:60], v[59:60], -v[99:100]
	ds_read2_b64 v[99:102], v125 offset0:76 offset1:77
	s_waitcnt lgkmcnt(0)
	v_mul_f64 v[103:104], v[101:102], v[105:106]
	v_fma_f64 v[103:104], v[99:100], v[97:98], -v[103:104]
	v_mul_f64 v[99:100], v[99:100], v[105:106]
	v_add_f64 v[53:54], v[53:54], -v[103:104]
	v_fma_f64 v[99:100], v[101:102], v[97:98], v[99:100]
	v_add_f64 v[55:56], v[55:56], -v[99:100]
	ds_read2_b64 v[99:102], v125 offset0:78 offset1:79
	s_waitcnt lgkmcnt(0)
	v_mul_f64 v[103:104], v[101:102], v[105:106]
	v_fma_f64 v[103:104], v[99:100], v[97:98], -v[103:104]
	v_mul_f64 v[99:100], v[99:100], v[105:106]
	v_add_f64 v[49:50], v[49:50], -v[103:104]
	v_fma_f64 v[99:100], v[101:102], v[97:98], v[99:100]
	v_add_f64 v[51:52], v[51:52], -v[99:100]
	ds_read2_b64 v[99:102], v125 offset0:80 offset1:81
	s_waitcnt lgkmcnt(0)
	v_mul_f64 v[103:104], v[101:102], v[105:106]
	v_fma_f64 v[103:104], v[99:100], v[97:98], -v[103:104]
	v_mul_f64 v[99:100], v[99:100], v[105:106]
	v_add_f64 v[45:46], v[45:46], -v[103:104]
	v_fma_f64 v[99:100], v[101:102], v[97:98], v[99:100]
	v_add_f64 v[47:48], v[47:48], -v[99:100]
	ds_read2_b64 v[99:102], v125 offset0:82 offset1:83
	s_waitcnt lgkmcnt(0)
	v_mul_f64 v[103:104], v[101:102], v[105:106]
	v_fma_f64 v[103:104], v[99:100], v[97:98], -v[103:104]
	v_mul_f64 v[99:100], v[99:100], v[105:106]
	v_add_f64 v[41:42], v[41:42], -v[103:104]
	v_fma_f64 v[99:100], v[101:102], v[97:98], v[99:100]
	v_add_f64 v[43:44], v[43:44], -v[99:100]
	ds_read2_b64 v[99:102], v125 offset0:84 offset1:85
	s_waitcnt lgkmcnt(0)
	v_mul_f64 v[103:104], v[101:102], v[105:106]
	v_fma_f64 v[103:104], v[99:100], v[97:98], -v[103:104]
	v_mul_f64 v[99:100], v[99:100], v[105:106]
	v_add_f64 v[37:38], v[37:38], -v[103:104]
	v_fma_f64 v[99:100], v[101:102], v[97:98], v[99:100]
	v_add_f64 v[39:40], v[39:40], -v[99:100]
	ds_read2_b64 v[99:102], v125 offset0:86 offset1:87
	s_waitcnt lgkmcnt(0)
	v_mul_f64 v[103:104], v[101:102], v[105:106]
	v_fma_f64 v[103:104], v[99:100], v[97:98], -v[103:104]
	v_mul_f64 v[99:100], v[99:100], v[105:106]
	v_add_f64 v[33:34], v[33:34], -v[103:104]
	v_fma_f64 v[99:100], v[101:102], v[97:98], v[99:100]
	v_add_f64 v[35:36], v[35:36], -v[99:100]
	ds_read2_b64 v[99:102], v125 offset0:88 offset1:89
	s_waitcnt lgkmcnt(0)
	v_mul_f64 v[103:104], v[101:102], v[105:106]
	v_fma_f64 v[103:104], v[99:100], v[97:98], -v[103:104]
	v_mul_f64 v[99:100], v[99:100], v[105:106]
	v_add_f64 v[29:30], v[29:30], -v[103:104]
	v_fma_f64 v[99:100], v[101:102], v[97:98], v[99:100]
	v_add_f64 v[31:32], v[31:32], -v[99:100]
	ds_read2_b64 v[99:102], v125 offset0:90 offset1:91
	s_waitcnt lgkmcnt(0)
	v_mul_f64 v[103:104], v[101:102], v[105:106]
	v_fma_f64 v[103:104], v[99:100], v[97:98], -v[103:104]
	v_mul_f64 v[99:100], v[99:100], v[105:106]
	v_add_f64 v[25:26], v[25:26], -v[103:104]
	v_fma_f64 v[99:100], v[101:102], v[97:98], v[99:100]
	v_add_f64 v[27:28], v[27:28], -v[99:100]
	ds_read2_b64 v[99:102], v125 offset0:92 offset1:93
	s_waitcnt lgkmcnt(0)
	v_mul_f64 v[103:104], v[101:102], v[105:106]
	v_fma_f64 v[103:104], v[99:100], v[97:98], -v[103:104]
	v_mul_f64 v[99:100], v[99:100], v[105:106]
	v_add_f64 v[21:22], v[21:22], -v[103:104]
	v_fma_f64 v[99:100], v[101:102], v[97:98], v[99:100]
	v_add_f64 v[23:24], v[23:24], -v[99:100]
	ds_read2_b64 v[99:102], v125 offset0:94 offset1:95
	s_waitcnt lgkmcnt(0)
	v_mul_f64 v[103:104], v[101:102], v[105:106]
	v_fma_f64 v[103:104], v[99:100], v[97:98], -v[103:104]
	v_mul_f64 v[99:100], v[99:100], v[105:106]
	v_add_f64 v[17:18], v[17:18], -v[103:104]
	v_fma_f64 v[99:100], v[101:102], v[97:98], v[99:100]
	v_add_f64 v[19:20], v[19:20], -v[99:100]
	ds_read2_b64 v[99:102], v125 offset0:96 offset1:97
	s_waitcnt lgkmcnt(0)
	v_mul_f64 v[103:104], v[101:102], v[105:106]
	v_fma_f64 v[103:104], v[99:100], v[97:98], -v[103:104]
	v_mul_f64 v[99:100], v[99:100], v[105:106]
	v_add_f64 v[13:14], v[13:14], -v[103:104]
	v_fma_f64 v[99:100], v[101:102], v[97:98], v[99:100]
	v_add_f64 v[15:16], v[15:16], -v[99:100]
	ds_read2_b64 v[99:102], v125 offset0:98 offset1:99
	s_waitcnt lgkmcnt(0)
	v_mul_f64 v[103:104], v[101:102], v[105:106]
	v_fma_f64 v[103:104], v[99:100], v[97:98], -v[103:104]
	v_mul_f64 v[99:100], v[99:100], v[105:106]
	v_add_f64 v[9:10], v[9:10], -v[103:104]
	v_fma_f64 v[99:100], v[101:102], v[97:98], v[99:100]
	v_add_f64 v[11:12], v[11:12], -v[99:100]
	ds_read2_b64 v[99:102], v125 offset0:100 offset1:101
	s_waitcnt lgkmcnt(0)
	v_mul_f64 v[103:104], v[101:102], v[105:106]
	v_fma_f64 v[103:104], v[99:100], v[97:98], -v[103:104]
	v_mul_f64 v[99:100], v[99:100], v[105:106]
	v_add_f64 v[5:6], v[5:6], -v[103:104]
	v_fma_f64 v[99:100], v[101:102], v[97:98], v[99:100]
	v_add_f64 v[7:8], v[7:8], -v[99:100]
	ds_read2_b64 v[99:102], v125 offset0:102 offset1:103
	s_waitcnt lgkmcnt(0)
	v_mul_f64 v[103:104], v[101:102], v[105:106]
	v_fma_f64 v[103:104], v[99:100], v[97:98], -v[103:104]
	v_mul_f64 v[99:100], v[99:100], v[105:106]
	v_add_f64 v[1:2], v[1:2], -v[103:104]
	v_fma_f64 v[99:100], v[101:102], v[97:98], v[99:100]
	v_add_f64 v[3:4], v[3:4], -v[99:100]
	ds_read2_b64 v[99:102], v125 offset0:104 offset1:105
	s_waitcnt lgkmcnt(0)
	v_mul_f64 v[103:104], v[101:102], v[105:106]
	v_fma_f64 v[103:104], v[99:100], v[97:98], -v[103:104]
	v_mul_f64 v[99:100], v[99:100], v[105:106]
	v_add_f64 v[73:74], v[73:74], -v[103:104]
	v_fma_f64 v[99:100], v[101:102], v[97:98], v[99:100]
	v_mov_b32_e32 v104, v98
	v_mov_b32_e32 v103, v97
	buffer_store_dword v103, off, s[20:23], 0 offset:80 ; 4-byte Folded Spill
	s_nop 0
	buffer_store_dword v104, off, s[20:23], 0 offset:84 ; 4-byte Folded Spill
	buffer_store_dword v105, off, s[20:23], 0 offset:88 ; 4-byte Folded Spill
	;; [unrolled: 1-line block ×3, first 2 shown]
	v_add_f64 v[75:76], v[75:76], -v[99:100]
.LBB105_226:
	s_or_b64 exec, exec, s[2:3]
	v_cmp_eq_u32_e32 vcc, 25, v0
	s_waitcnt vmcnt(0)
	s_barrier
	s_and_saveexec_b64 s[4:5], vcc
	s_cbranch_execz .LBB105_233
; %bb.227:
	buffer_load_dword v69, off, s[20:23], 0 offset:64 ; 4-byte Folded Reload
	buffer_load_dword v70, off, s[20:23], 0 offset:68 ; 4-byte Folded Reload
	;; [unrolled: 1-line block ×4, first 2 shown]
	s_waitcnt vmcnt(0)
	ds_write2_b64 v127, v[69:70], v[71:72] offset1:1
	buffer_load_dword v69, off, s[20:23], 0 offset:48 ; 4-byte Folded Reload
	buffer_load_dword v70, off, s[20:23], 0 offset:52 ; 4-byte Folded Reload
	;; [unrolled: 1-line block ×4, first 2 shown]
	s_waitcnt vmcnt(0)
	ds_write2_b64 v125, v[69:70], v[71:72] offset0:52 offset1:53
	ds_write2_b64 v125, v[117:118], v[119:120] offset0:54 offset1:55
	;; [unrolled: 1-line block ×6, first 2 shown]
	buffer_load_dword v77, off, s[20:23], 0 offset:32 ; 4-byte Folded Reload
	buffer_load_dword v78, off, s[20:23], 0 offset:36 ; 4-byte Folded Reload
	;; [unrolled: 1-line block ×4, first 2 shown]
	v_mov_b32_e32 v69, v73
	v_mov_b32_e32 v70, v74
	;; [unrolled: 1-line block ×4, first 2 shown]
	s_waitcnt vmcnt(0)
	ds_write2_b64 v125, v[77:78], v[79:80] offset0:64 offset1:65
	buffer_load_dword v73, off, s[20:23], 0 offset:16 ; 4-byte Folded Reload
	buffer_load_dword v74, off, s[20:23], 0 offset:20 ; 4-byte Folded Reload
	;; [unrolled: 1-line block ×4, first 2 shown]
	s_waitcnt vmcnt(0)
	ds_write2_b64 v125, v[73:74], v[75:76] offset0:66 offset1:67
	v_mov_b32_e32 v76, v72
	v_mov_b32_e32 v75, v71
	;; [unrolled: 1-line block ×4, first 2 shown]
	buffer_load_dword v69, off, s[20:23], 0 ; 4-byte Folded Reload
	buffer_load_dword v70, off, s[20:23], 0 offset:4 ; 4-byte Folded Reload
	buffer_load_dword v71, off, s[20:23], 0 offset:8 ; 4-byte Folded Reload
	buffer_load_dword v72, off, s[20:23], 0 offset:12 ; 4-byte Folded Reload
	s_waitcnt vmcnt(0)
	ds_write2_b64 v125, v[69:70], v[71:72] offset0:68 offset1:69
	ds_write2_b64 v125, v[65:66], v[67:68] offset0:70 offset1:71
	;; [unrolled: 1-line block ×19, first 2 shown]
	ds_read2_b64 v[97:100], v127 offset1:1
	s_waitcnt lgkmcnt(0)
	v_cmp_neq_f64_e32 vcc, 0, v[97:98]
	v_cmp_neq_f64_e64 s[2:3], 0, v[99:100]
	s_or_b64 s[2:3], vcc, s[2:3]
	s_and_b64 exec, exec, s[2:3]
	s_cbranch_execz .LBB105_233
; %bb.228:
	v_cmp_ngt_f64_e64 s[2:3], |v[97:98]|, |v[99:100]|
                                        ; implicit-def: $vgpr101_vgpr102
	s_and_saveexec_b64 s[6:7], s[2:3]
	s_xor_b64 s[2:3], exec, s[6:7]
                                        ; implicit-def: $vgpr103_vgpr104
	s_cbranch_execz .LBB105_230
; %bb.229:
	v_div_scale_f64 v[101:102], s[6:7], v[99:100], v[99:100], v[97:98]
	v_rcp_f64_e32 v[103:104], v[101:102]
	v_fma_f64 v[105:106], -v[101:102], v[103:104], 1.0
	v_fma_f64 v[103:104], v[103:104], v[105:106], v[103:104]
	v_div_scale_f64 v[105:106], vcc, v[97:98], v[99:100], v[97:98]
	v_fma_f64 v[107:108], -v[101:102], v[103:104], 1.0
	v_fma_f64 v[103:104], v[103:104], v[107:108], v[103:104]
	v_mul_f64 v[107:108], v[105:106], v[103:104]
	v_fma_f64 v[101:102], -v[101:102], v[107:108], v[105:106]
	v_div_fmas_f64 v[101:102], v[101:102], v[103:104], v[107:108]
	v_div_fixup_f64 v[101:102], v[101:102], v[99:100], v[97:98]
	v_fma_f64 v[97:98], v[97:98], v[101:102], v[99:100]
	v_div_scale_f64 v[99:100], s[6:7], v[97:98], v[97:98], 1.0
	v_div_scale_f64 v[107:108], vcc, 1.0, v[97:98], 1.0
	v_rcp_f64_e32 v[103:104], v[99:100]
	v_fma_f64 v[105:106], -v[99:100], v[103:104], 1.0
	v_fma_f64 v[103:104], v[103:104], v[105:106], v[103:104]
	v_fma_f64 v[105:106], -v[99:100], v[103:104], 1.0
	v_fma_f64 v[103:104], v[103:104], v[105:106], v[103:104]
	v_mul_f64 v[105:106], v[107:108], v[103:104]
	v_fma_f64 v[99:100], -v[99:100], v[105:106], v[107:108]
	v_div_fmas_f64 v[99:100], v[99:100], v[103:104], v[105:106]
	v_div_fixup_f64 v[103:104], v[99:100], v[97:98], 1.0
                                        ; implicit-def: $vgpr97_vgpr98
	v_mul_f64 v[101:102], v[101:102], v[103:104]
	v_xor_b32_e32 v104, 0x80000000, v104
.LBB105_230:
	s_andn2_saveexec_b64 s[2:3], s[2:3]
	s_cbranch_execz .LBB105_232
; %bb.231:
	v_div_scale_f64 v[101:102], s[6:7], v[97:98], v[97:98], v[99:100]
	v_rcp_f64_e32 v[103:104], v[101:102]
	v_fma_f64 v[105:106], -v[101:102], v[103:104], 1.0
	v_fma_f64 v[103:104], v[103:104], v[105:106], v[103:104]
	v_div_scale_f64 v[105:106], vcc, v[99:100], v[97:98], v[99:100]
	v_fma_f64 v[107:108], -v[101:102], v[103:104], 1.0
	v_fma_f64 v[103:104], v[103:104], v[107:108], v[103:104]
	v_mul_f64 v[107:108], v[105:106], v[103:104]
	v_fma_f64 v[101:102], -v[101:102], v[107:108], v[105:106]
	v_div_fmas_f64 v[101:102], v[101:102], v[103:104], v[107:108]
	v_div_fixup_f64 v[103:104], v[101:102], v[97:98], v[99:100]
	v_fma_f64 v[97:98], v[99:100], v[103:104], v[97:98]
	v_div_scale_f64 v[99:100], s[6:7], v[97:98], v[97:98], 1.0
	v_div_scale_f64 v[107:108], vcc, 1.0, v[97:98], 1.0
	v_rcp_f64_e32 v[101:102], v[99:100]
	v_fma_f64 v[105:106], -v[99:100], v[101:102], 1.0
	v_fma_f64 v[101:102], v[101:102], v[105:106], v[101:102]
	v_fma_f64 v[105:106], -v[99:100], v[101:102], 1.0
	v_fma_f64 v[101:102], v[101:102], v[105:106], v[101:102]
	v_mul_f64 v[105:106], v[107:108], v[101:102]
	v_fma_f64 v[99:100], -v[99:100], v[105:106], v[107:108]
	v_div_fmas_f64 v[99:100], v[99:100], v[101:102], v[105:106]
	v_div_fixup_f64 v[101:102], v[99:100], v[97:98], 1.0
	v_mul_f64 v[103:104], v[103:104], -v[101:102]
.LBB105_232:
	s_or_b64 exec, exec, s[2:3]
	ds_write2_b64 v127, v[101:102], v[103:104] offset1:1
.LBB105_233:
	s_or_b64 exec, exec, s[4:5]
	s_waitcnt lgkmcnt(0)
	s_barrier
	ds_read2_b64 v[69:72], v127 offset1:1
	v_cmp_lt_u32_e32 vcc, 25, v0
	s_waitcnt lgkmcnt(0)
	buffer_store_dword v69, off, s[20:23], 0 offset:1296 ; 4-byte Folded Spill
	s_nop 0
	buffer_store_dword v70, off, s[20:23], 0 offset:1300 ; 4-byte Folded Spill
	buffer_store_dword v71, off, s[20:23], 0 offset:1304 ; 4-byte Folded Spill
	;; [unrolled: 1-line block ×3, first 2 shown]
	s_and_saveexec_b64 s[2:3], vcc
	s_cbranch_execz .LBB105_235
; %bb.234:
	buffer_load_dword v103, off, s[20:23], 0 offset:64 ; 4-byte Folded Reload
	buffer_load_dword v104, off, s[20:23], 0 offset:68 ; 4-byte Folded Reload
	;; [unrolled: 1-line block ×8, first 2 shown]
	s_waitcnt vmcnt(2)
	v_mul_f64 v[99:100], v[69:70], v[105:106]
	s_waitcnt vmcnt(0)
	v_mul_f64 v[97:98], v[71:72], v[105:106]
	v_fma_f64 v[105:106], v[71:72], v[103:104], v[99:100]
	ds_read2_b64 v[99:102], v125 offset0:52 offset1:53
	v_fma_f64 v[97:98], v[69:70], v[103:104], -v[97:98]
	buffer_load_dword v69, off, s[20:23], 0 offset:48 ; 4-byte Folded Reload
	buffer_load_dword v70, off, s[20:23], 0 offset:52 ; 4-byte Folded Reload
	;; [unrolled: 1-line block ×4, first 2 shown]
	s_waitcnt lgkmcnt(0)
	v_mul_f64 v[103:104], v[101:102], v[105:106]
	v_fma_f64 v[103:104], v[99:100], v[97:98], -v[103:104]
	v_mul_f64 v[99:100], v[99:100], v[105:106]
	v_fma_f64 v[99:100], v[101:102], v[97:98], v[99:100]
	s_waitcnt vmcnt(2)
	v_add_f64 v[69:70], v[69:70], -v[103:104]
	s_waitcnt vmcnt(0)
	v_add_f64 v[71:72], v[71:72], -v[99:100]
	buffer_store_dword v69, off, s[20:23], 0 offset:48 ; 4-byte Folded Spill
	s_nop 0
	buffer_store_dword v70, off, s[20:23], 0 offset:52 ; 4-byte Folded Spill
	buffer_store_dword v71, off, s[20:23], 0 offset:56 ; 4-byte Folded Spill
	;; [unrolled: 1-line block ×3, first 2 shown]
	ds_read2_b64 v[99:102], v125 offset0:54 offset1:55
	v_mov_b32_e32 v69, v73
	v_mov_b32_e32 v70, v74
	;; [unrolled: 1-line block ×4, first 2 shown]
	s_waitcnt lgkmcnt(0)
	v_mul_f64 v[103:104], v[101:102], v[105:106]
	v_fma_f64 v[103:104], v[99:100], v[97:98], -v[103:104]
	v_mul_f64 v[99:100], v[99:100], v[105:106]
	v_add_f64 v[117:118], v[117:118], -v[103:104]
	v_fma_f64 v[99:100], v[101:102], v[97:98], v[99:100]
	v_add_f64 v[119:120], v[119:120], -v[99:100]
	ds_read2_b64 v[99:102], v125 offset0:56 offset1:57
	s_waitcnt lgkmcnt(0)
	v_mul_f64 v[103:104], v[101:102], v[105:106]
	v_fma_f64 v[103:104], v[99:100], v[97:98], -v[103:104]
	v_mul_f64 v[99:100], v[99:100], v[105:106]
	v_add_f64 v[121:122], v[121:122], -v[103:104]
	v_fma_f64 v[99:100], v[101:102], v[97:98], v[99:100]
	v_add_f64 v[123:124], v[123:124], -v[99:100]
	ds_read2_b64 v[99:102], v125 offset0:58 offset1:59
	;; [unrolled: 8-line block ×5, first 2 shown]
	buffer_load_dword v77, off, s[20:23], 0 offset:32 ; 4-byte Folded Reload
	buffer_load_dword v78, off, s[20:23], 0 offset:36 ; 4-byte Folded Reload
	;; [unrolled: 1-line block ×4, first 2 shown]
	s_waitcnt lgkmcnt(0)
	v_mul_f64 v[103:104], v[101:102], v[105:106]
	v_fma_f64 v[103:104], v[99:100], v[97:98], -v[103:104]
	v_mul_f64 v[99:100], v[99:100], v[105:106]
	v_fma_f64 v[99:100], v[101:102], v[97:98], v[99:100]
	s_waitcnt vmcnt(2)
	v_add_f64 v[77:78], v[77:78], -v[103:104]
	s_waitcnt vmcnt(0)
	v_add_f64 v[79:80], v[79:80], -v[99:100]
	buffer_store_dword v77, off, s[20:23], 0 offset:32 ; 4-byte Folded Spill
	s_nop 0
	buffer_store_dword v78, off, s[20:23], 0 offset:36 ; 4-byte Folded Spill
	buffer_store_dword v79, off, s[20:23], 0 offset:40 ; 4-byte Folded Spill
	;; [unrolled: 1-line block ×3, first 2 shown]
	ds_read2_b64 v[99:102], v125 offset0:66 offset1:67
	buffer_load_dword v73, off, s[20:23], 0 offset:16 ; 4-byte Folded Reload
	buffer_load_dword v74, off, s[20:23], 0 offset:20 ; 4-byte Folded Reload
	buffer_load_dword v75, off, s[20:23], 0 offset:24 ; 4-byte Folded Reload
	buffer_load_dword v76, off, s[20:23], 0 offset:28 ; 4-byte Folded Reload
	s_waitcnt lgkmcnt(0)
	v_mul_f64 v[103:104], v[101:102], v[105:106]
	v_fma_f64 v[103:104], v[99:100], v[97:98], -v[103:104]
	v_mul_f64 v[99:100], v[99:100], v[105:106]
	v_fma_f64 v[99:100], v[101:102], v[97:98], v[99:100]
	s_waitcnt vmcnt(2)
	v_add_f64 v[73:74], v[73:74], -v[103:104]
	s_waitcnt vmcnt(0)
	v_add_f64 v[75:76], v[75:76], -v[99:100]
	buffer_store_dword v73, off, s[20:23], 0 offset:16 ; 4-byte Folded Spill
	s_nop 0
	buffer_store_dword v74, off, s[20:23], 0 offset:20 ; 4-byte Folded Spill
	buffer_store_dword v75, off, s[20:23], 0 offset:24 ; 4-byte Folded Spill
	buffer_store_dword v76, off, s[20:23], 0 offset:28 ; 4-byte Folded Spill
	v_mov_b32_e32 v76, v72
	v_mov_b32_e32 v75, v71
	;; [unrolled: 1-line block ×4, first 2 shown]
	ds_read2_b64 v[99:102], v125 offset0:68 offset1:69
	buffer_load_dword v69, off, s[20:23], 0 ; 4-byte Folded Reload
	buffer_load_dword v70, off, s[20:23], 0 offset:4 ; 4-byte Folded Reload
	buffer_load_dword v71, off, s[20:23], 0 offset:8 ; 4-byte Folded Reload
	;; [unrolled: 1-line block ×3, first 2 shown]
	s_waitcnt lgkmcnt(0)
	v_mul_f64 v[103:104], v[101:102], v[105:106]
	v_fma_f64 v[103:104], v[99:100], v[97:98], -v[103:104]
	v_mul_f64 v[99:100], v[99:100], v[105:106]
	v_fma_f64 v[99:100], v[101:102], v[97:98], v[99:100]
	s_waitcnt vmcnt(2)
	v_add_f64 v[69:70], v[69:70], -v[103:104]
	s_waitcnt vmcnt(0)
	v_add_f64 v[71:72], v[71:72], -v[99:100]
	buffer_store_dword v69, off, s[20:23], 0 ; 4-byte Folded Spill
	s_nop 0
	buffer_store_dword v70, off, s[20:23], 0 offset:4 ; 4-byte Folded Spill
	buffer_store_dword v71, off, s[20:23], 0 offset:8 ; 4-byte Folded Spill
	buffer_store_dword v72, off, s[20:23], 0 offset:12 ; 4-byte Folded Spill
	ds_read2_b64 v[99:102], v125 offset0:70 offset1:71
	s_waitcnt lgkmcnt(0)
	v_mul_f64 v[103:104], v[101:102], v[105:106]
	v_fma_f64 v[103:104], v[99:100], v[97:98], -v[103:104]
	v_mul_f64 v[99:100], v[99:100], v[105:106]
	v_add_f64 v[65:66], v[65:66], -v[103:104]
	v_fma_f64 v[99:100], v[101:102], v[97:98], v[99:100]
	v_add_f64 v[67:68], v[67:68], -v[99:100]
	ds_read2_b64 v[99:102], v125 offset0:72 offset1:73
	s_waitcnt lgkmcnt(0)
	v_mul_f64 v[103:104], v[101:102], v[105:106]
	v_fma_f64 v[103:104], v[99:100], v[97:98], -v[103:104]
	v_mul_f64 v[99:100], v[99:100], v[105:106]
	v_add_f64 v[61:62], v[61:62], -v[103:104]
	v_fma_f64 v[99:100], v[101:102], v[97:98], v[99:100]
	v_add_f64 v[63:64], v[63:64], -v[99:100]
	ds_read2_b64 v[99:102], v125 offset0:74 offset1:75
	s_waitcnt lgkmcnt(0)
	v_mul_f64 v[103:104], v[101:102], v[105:106]
	v_fma_f64 v[103:104], v[99:100], v[97:98], -v[103:104]
	v_mul_f64 v[99:100], v[99:100], v[105:106]
	v_add_f64 v[57:58], v[57:58], -v[103:104]
	v_fma_f64 v[99:100], v[101:102], v[97:98], v[99:100]
	v_add_f64 v[59:60], v[59:60], -v[99:100]
	ds_read2_b64 v[99:102], v125 offset0:76 offset1:77
	s_waitcnt lgkmcnt(0)
	v_mul_f64 v[103:104], v[101:102], v[105:106]
	v_fma_f64 v[103:104], v[99:100], v[97:98], -v[103:104]
	v_mul_f64 v[99:100], v[99:100], v[105:106]
	v_add_f64 v[53:54], v[53:54], -v[103:104]
	v_fma_f64 v[99:100], v[101:102], v[97:98], v[99:100]
	v_add_f64 v[55:56], v[55:56], -v[99:100]
	ds_read2_b64 v[99:102], v125 offset0:78 offset1:79
	s_waitcnt lgkmcnt(0)
	v_mul_f64 v[103:104], v[101:102], v[105:106]
	v_fma_f64 v[103:104], v[99:100], v[97:98], -v[103:104]
	v_mul_f64 v[99:100], v[99:100], v[105:106]
	v_add_f64 v[49:50], v[49:50], -v[103:104]
	v_fma_f64 v[99:100], v[101:102], v[97:98], v[99:100]
	v_add_f64 v[51:52], v[51:52], -v[99:100]
	ds_read2_b64 v[99:102], v125 offset0:80 offset1:81
	s_waitcnt lgkmcnt(0)
	v_mul_f64 v[103:104], v[101:102], v[105:106]
	v_fma_f64 v[103:104], v[99:100], v[97:98], -v[103:104]
	v_mul_f64 v[99:100], v[99:100], v[105:106]
	v_add_f64 v[45:46], v[45:46], -v[103:104]
	v_fma_f64 v[99:100], v[101:102], v[97:98], v[99:100]
	v_add_f64 v[47:48], v[47:48], -v[99:100]
	ds_read2_b64 v[99:102], v125 offset0:82 offset1:83
	s_waitcnt lgkmcnt(0)
	v_mul_f64 v[103:104], v[101:102], v[105:106]
	v_fma_f64 v[103:104], v[99:100], v[97:98], -v[103:104]
	v_mul_f64 v[99:100], v[99:100], v[105:106]
	v_add_f64 v[41:42], v[41:42], -v[103:104]
	v_fma_f64 v[99:100], v[101:102], v[97:98], v[99:100]
	v_add_f64 v[43:44], v[43:44], -v[99:100]
	ds_read2_b64 v[99:102], v125 offset0:84 offset1:85
	s_waitcnt lgkmcnt(0)
	v_mul_f64 v[103:104], v[101:102], v[105:106]
	v_fma_f64 v[103:104], v[99:100], v[97:98], -v[103:104]
	v_mul_f64 v[99:100], v[99:100], v[105:106]
	v_add_f64 v[37:38], v[37:38], -v[103:104]
	v_fma_f64 v[99:100], v[101:102], v[97:98], v[99:100]
	v_add_f64 v[39:40], v[39:40], -v[99:100]
	ds_read2_b64 v[99:102], v125 offset0:86 offset1:87
	s_waitcnt lgkmcnt(0)
	v_mul_f64 v[103:104], v[101:102], v[105:106]
	v_fma_f64 v[103:104], v[99:100], v[97:98], -v[103:104]
	v_mul_f64 v[99:100], v[99:100], v[105:106]
	v_add_f64 v[33:34], v[33:34], -v[103:104]
	v_fma_f64 v[99:100], v[101:102], v[97:98], v[99:100]
	v_add_f64 v[35:36], v[35:36], -v[99:100]
	ds_read2_b64 v[99:102], v125 offset0:88 offset1:89
	s_waitcnt lgkmcnt(0)
	v_mul_f64 v[103:104], v[101:102], v[105:106]
	v_fma_f64 v[103:104], v[99:100], v[97:98], -v[103:104]
	v_mul_f64 v[99:100], v[99:100], v[105:106]
	v_add_f64 v[29:30], v[29:30], -v[103:104]
	v_fma_f64 v[99:100], v[101:102], v[97:98], v[99:100]
	v_add_f64 v[31:32], v[31:32], -v[99:100]
	ds_read2_b64 v[99:102], v125 offset0:90 offset1:91
	s_waitcnt lgkmcnt(0)
	v_mul_f64 v[103:104], v[101:102], v[105:106]
	v_fma_f64 v[103:104], v[99:100], v[97:98], -v[103:104]
	v_mul_f64 v[99:100], v[99:100], v[105:106]
	v_add_f64 v[25:26], v[25:26], -v[103:104]
	v_fma_f64 v[99:100], v[101:102], v[97:98], v[99:100]
	v_add_f64 v[27:28], v[27:28], -v[99:100]
	ds_read2_b64 v[99:102], v125 offset0:92 offset1:93
	s_waitcnt lgkmcnt(0)
	v_mul_f64 v[103:104], v[101:102], v[105:106]
	v_fma_f64 v[103:104], v[99:100], v[97:98], -v[103:104]
	v_mul_f64 v[99:100], v[99:100], v[105:106]
	v_add_f64 v[21:22], v[21:22], -v[103:104]
	v_fma_f64 v[99:100], v[101:102], v[97:98], v[99:100]
	v_add_f64 v[23:24], v[23:24], -v[99:100]
	ds_read2_b64 v[99:102], v125 offset0:94 offset1:95
	s_waitcnt lgkmcnt(0)
	v_mul_f64 v[103:104], v[101:102], v[105:106]
	v_fma_f64 v[103:104], v[99:100], v[97:98], -v[103:104]
	v_mul_f64 v[99:100], v[99:100], v[105:106]
	v_add_f64 v[17:18], v[17:18], -v[103:104]
	v_fma_f64 v[99:100], v[101:102], v[97:98], v[99:100]
	v_add_f64 v[19:20], v[19:20], -v[99:100]
	ds_read2_b64 v[99:102], v125 offset0:96 offset1:97
	s_waitcnt lgkmcnt(0)
	v_mul_f64 v[103:104], v[101:102], v[105:106]
	v_fma_f64 v[103:104], v[99:100], v[97:98], -v[103:104]
	v_mul_f64 v[99:100], v[99:100], v[105:106]
	v_add_f64 v[13:14], v[13:14], -v[103:104]
	v_fma_f64 v[99:100], v[101:102], v[97:98], v[99:100]
	v_add_f64 v[15:16], v[15:16], -v[99:100]
	ds_read2_b64 v[99:102], v125 offset0:98 offset1:99
	s_waitcnt lgkmcnt(0)
	v_mul_f64 v[103:104], v[101:102], v[105:106]
	v_fma_f64 v[103:104], v[99:100], v[97:98], -v[103:104]
	v_mul_f64 v[99:100], v[99:100], v[105:106]
	v_add_f64 v[9:10], v[9:10], -v[103:104]
	v_fma_f64 v[99:100], v[101:102], v[97:98], v[99:100]
	v_add_f64 v[11:12], v[11:12], -v[99:100]
	ds_read2_b64 v[99:102], v125 offset0:100 offset1:101
	s_waitcnt lgkmcnt(0)
	v_mul_f64 v[103:104], v[101:102], v[105:106]
	v_fma_f64 v[103:104], v[99:100], v[97:98], -v[103:104]
	v_mul_f64 v[99:100], v[99:100], v[105:106]
	v_add_f64 v[5:6], v[5:6], -v[103:104]
	v_fma_f64 v[99:100], v[101:102], v[97:98], v[99:100]
	v_add_f64 v[7:8], v[7:8], -v[99:100]
	ds_read2_b64 v[99:102], v125 offset0:102 offset1:103
	s_waitcnt lgkmcnt(0)
	v_mul_f64 v[103:104], v[101:102], v[105:106]
	v_fma_f64 v[103:104], v[99:100], v[97:98], -v[103:104]
	v_mul_f64 v[99:100], v[99:100], v[105:106]
	v_add_f64 v[1:2], v[1:2], -v[103:104]
	v_fma_f64 v[99:100], v[101:102], v[97:98], v[99:100]
	v_add_f64 v[3:4], v[3:4], -v[99:100]
	ds_read2_b64 v[99:102], v125 offset0:104 offset1:105
	s_waitcnt lgkmcnt(0)
	v_mul_f64 v[103:104], v[101:102], v[105:106]
	v_fma_f64 v[103:104], v[99:100], v[97:98], -v[103:104]
	v_mul_f64 v[99:100], v[99:100], v[105:106]
	v_add_f64 v[73:74], v[73:74], -v[103:104]
	v_fma_f64 v[99:100], v[101:102], v[97:98], v[99:100]
	v_mov_b32_e32 v104, v98
	v_mov_b32_e32 v103, v97
	buffer_store_dword v103, off, s[20:23], 0 offset:64 ; 4-byte Folded Spill
	s_nop 0
	buffer_store_dword v104, off, s[20:23], 0 offset:68 ; 4-byte Folded Spill
	buffer_store_dword v105, off, s[20:23], 0 offset:72 ; 4-byte Folded Spill
	;; [unrolled: 1-line block ×3, first 2 shown]
	v_add_f64 v[75:76], v[75:76], -v[99:100]
.LBB105_235:
	s_or_b64 exec, exec, s[2:3]
	v_cmp_eq_u32_e32 vcc, 26, v0
	s_waitcnt vmcnt(0)
	s_barrier
	s_and_saveexec_b64 s[4:5], vcc
	s_cbranch_execz .LBB105_242
; %bb.236:
	buffer_load_dword v69, off, s[20:23], 0 offset:48 ; 4-byte Folded Reload
	buffer_load_dword v70, off, s[20:23], 0 offset:52 ; 4-byte Folded Reload
	;; [unrolled: 1-line block ×4, first 2 shown]
	s_waitcnt vmcnt(0)
	ds_write2_b64 v127, v[69:70], v[71:72] offset1:1
	ds_write2_b64 v125, v[117:118], v[119:120] offset0:54 offset1:55
	ds_write2_b64 v125, v[121:122], v[123:124] offset0:56 offset1:57
	;; [unrolled: 1-line block ×5, first 2 shown]
	buffer_load_dword v77, off, s[20:23], 0 offset:32 ; 4-byte Folded Reload
	buffer_load_dword v78, off, s[20:23], 0 offset:36 ; 4-byte Folded Reload
	;; [unrolled: 1-line block ×4, first 2 shown]
	v_mov_b32_e32 v69, v73
	v_mov_b32_e32 v70, v74
	;; [unrolled: 1-line block ×4, first 2 shown]
	s_waitcnt vmcnt(0)
	ds_write2_b64 v125, v[77:78], v[79:80] offset0:64 offset1:65
	buffer_load_dword v73, off, s[20:23], 0 offset:16 ; 4-byte Folded Reload
	buffer_load_dword v74, off, s[20:23], 0 offset:20 ; 4-byte Folded Reload
	;; [unrolled: 1-line block ×4, first 2 shown]
	s_waitcnt vmcnt(0)
	ds_write2_b64 v125, v[73:74], v[75:76] offset0:66 offset1:67
	v_mov_b32_e32 v76, v72
	v_mov_b32_e32 v75, v71
	;; [unrolled: 1-line block ×4, first 2 shown]
	buffer_load_dword v69, off, s[20:23], 0 ; 4-byte Folded Reload
	buffer_load_dword v70, off, s[20:23], 0 offset:4 ; 4-byte Folded Reload
	buffer_load_dword v71, off, s[20:23], 0 offset:8 ; 4-byte Folded Reload
	;; [unrolled: 1-line block ×3, first 2 shown]
	s_waitcnt vmcnt(0)
	ds_write2_b64 v125, v[69:70], v[71:72] offset0:68 offset1:69
	ds_write2_b64 v125, v[65:66], v[67:68] offset0:70 offset1:71
	;; [unrolled: 1-line block ×19, first 2 shown]
	ds_read2_b64 v[97:100], v127 offset1:1
	s_waitcnt lgkmcnt(0)
	v_cmp_neq_f64_e32 vcc, 0, v[97:98]
	v_cmp_neq_f64_e64 s[2:3], 0, v[99:100]
	s_or_b64 s[2:3], vcc, s[2:3]
	s_and_b64 exec, exec, s[2:3]
	s_cbranch_execz .LBB105_242
; %bb.237:
	v_cmp_ngt_f64_e64 s[2:3], |v[97:98]|, |v[99:100]|
                                        ; implicit-def: $vgpr101_vgpr102
	s_and_saveexec_b64 s[6:7], s[2:3]
	s_xor_b64 s[2:3], exec, s[6:7]
                                        ; implicit-def: $vgpr103_vgpr104
	s_cbranch_execz .LBB105_239
; %bb.238:
	v_div_scale_f64 v[101:102], s[6:7], v[99:100], v[99:100], v[97:98]
	v_rcp_f64_e32 v[103:104], v[101:102]
	v_fma_f64 v[105:106], -v[101:102], v[103:104], 1.0
	v_fma_f64 v[103:104], v[103:104], v[105:106], v[103:104]
	v_div_scale_f64 v[105:106], vcc, v[97:98], v[99:100], v[97:98]
	v_fma_f64 v[107:108], -v[101:102], v[103:104], 1.0
	v_fma_f64 v[103:104], v[103:104], v[107:108], v[103:104]
	v_mul_f64 v[107:108], v[105:106], v[103:104]
	v_fma_f64 v[101:102], -v[101:102], v[107:108], v[105:106]
	v_div_fmas_f64 v[101:102], v[101:102], v[103:104], v[107:108]
	v_div_fixup_f64 v[101:102], v[101:102], v[99:100], v[97:98]
	v_fma_f64 v[97:98], v[97:98], v[101:102], v[99:100]
	v_div_scale_f64 v[99:100], s[6:7], v[97:98], v[97:98], 1.0
	v_div_scale_f64 v[107:108], vcc, 1.0, v[97:98], 1.0
	v_rcp_f64_e32 v[103:104], v[99:100]
	v_fma_f64 v[105:106], -v[99:100], v[103:104], 1.0
	v_fma_f64 v[103:104], v[103:104], v[105:106], v[103:104]
	v_fma_f64 v[105:106], -v[99:100], v[103:104], 1.0
	v_fma_f64 v[103:104], v[103:104], v[105:106], v[103:104]
	v_mul_f64 v[105:106], v[107:108], v[103:104]
	v_fma_f64 v[99:100], -v[99:100], v[105:106], v[107:108]
	v_div_fmas_f64 v[99:100], v[99:100], v[103:104], v[105:106]
	v_div_fixup_f64 v[103:104], v[99:100], v[97:98], 1.0
                                        ; implicit-def: $vgpr97_vgpr98
	v_mul_f64 v[101:102], v[101:102], v[103:104]
	v_xor_b32_e32 v104, 0x80000000, v104
.LBB105_239:
	s_andn2_saveexec_b64 s[2:3], s[2:3]
	s_cbranch_execz .LBB105_241
; %bb.240:
	v_div_scale_f64 v[101:102], s[6:7], v[97:98], v[97:98], v[99:100]
	v_rcp_f64_e32 v[103:104], v[101:102]
	v_fma_f64 v[105:106], -v[101:102], v[103:104], 1.0
	v_fma_f64 v[103:104], v[103:104], v[105:106], v[103:104]
	v_div_scale_f64 v[105:106], vcc, v[99:100], v[97:98], v[99:100]
	v_fma_f64 v[107:108], -v[101:102], v[103:104], 1.0
	v_fma_f64 v[103:104], v[103:104], v[107:108], v[103:104]
	v_mul_f64 v[107:108], v[105:106], v[103:104]
	v_fma_f64 v[101:102], -v[101:102], v[107:108], v[105:106]
	v_div_fmas_f64 v[101:102], v[101:102], v[103:104], v[107:108]
	v_div_fixup_f64 v[103:104], v[101:102], v[97:98], v[99:100]
	v_fma_f64 v[97:98], v[99:100], v[103:104], v[97:98]
	v_div_scale_f64 v[99:100], s[6:7], v[97:98], v[97:98], 1.0
	v_div_scale_f64 v[107:108], vcc, 1.0, v[97:98], 1.0
	v_rcp_f64_e32 v[101:102], v[99:100]
	v_fma_f64 v[105:106], -v[99:100], v[101:102], 1.0
	v_fma_f64 v[101:102], v[101:102], v[105:106], v[101:102]
	v_fma_f64 v[105:106], -v[99:100], v[101:102], 1.0
	v_fma_f64 v[101:102], v[101:102], v[105:106], v[101:102]
	v_mul_f64 v[105:106], v[107:108], v[101:102]
	v_fma_f64 v[99:100], -v[99:100], v[105:106], v[107:108]
	v_div_fmas_f64 v[99:100], v[99:100], v[101:102], v[105:106]
	v_div_fixup_f64 v[101:102], v[99:100], v[97:98], 1.0
	v_mul_f64 v[103:104], v[103:104], -v[101:102]
.LBB105_241:
	s_or_b64 exec, exec, s[2:3]
	ds_write2_b64 v127, v[101:102], v[103:104] offset1:1
.LBB105_242:
	s_or_b64 exec, exec, s[4:5]
	s_waitcnt lgkmcnt(0)
	s_barrier
	ds_read2_b64 v[69:72], v127 offset1:1
	v_cmp_lt_u32_e32 vcc, 26, v0
	s_waitcnt lgkmcnt(0)
	buffer_store_dword v69, off, s[20:23], 0 offset:1312 ; 4-byte Folded Spill
	s_nop 0
	buffer_store_dword v70, off, s[20:23], 0 offset:1316 ; 4-byte Folded Spill
	buffer_store_dword v71, off, s[20:23], 0 offset:1320 ; 4-byte Folded Spill
	buffer_store_dword v72, off, s[20:23], 0 offset:1324 ; 4-byte Folded Spill
	s_and_saveexec_b64 s[2:3], vcc
	s_cbranch_execz .LBB105_244
; %bb.243:
	buffer_load_dword v103, off, s[20:23], 0 offset:48 ; 4-byte Folded Reload
	buffer_load_dword v104, off, s[20:23], 0 offset:52 ; 4-byte Folded Reload
	;; [unrolled: 1-line block ×8, first 2 shown]
	s_waitcnt vmcnt(2)
	v_mul_f64 v[99:100], v[69:70], v[105:106]
	s_waitcnt vmcnt(0)
	v_mul_f64 v[97:98], v[71:72], v[105:106]
	v_fma_f64 v[105:106], v[71:72], v[103:104], v[99:100]
	ds_read2_b64 v[99:102], v125 offset0:54 offset1:55
	v_fma_f64 v[97:98], v[69:70], v[103:104], -v[97:98]
	v_mov_b32_e32 v69, v73
	v_mov_b32_e32 v70, v74
	;; [unrolled: 1-line block ×4, first 2 shown]
	s_waitcnt lgkmcnt(0)
	v_mul_f64 v[103:104], v[101:102], v[105:106]
	v_fma_f64 v[103:104], v[99:100], v[97:98], -v[103:104]
	v_mul_f64 v[99:100], v[99:100], v[105:106]
	v_add_f64 v[117:118], v[117:118], -v[103:104]
	v_fma_f64 v[99:100], v[101:102], v[97:98], v[99:100]
	v_add_f64 v[119:120], v[119:120], -v[99:100]
	ds_read2_b64 v[99:102], v125 offset0:56 offset1:57
	s_waitcnt lgkmcnt(0)
	v_mul_f64 v[103:104], v[101:102], v[105:106]
	v_fma_f64 v[103:104], v[99:100], v[97:98], -v[103:104]
	v_mul_f64 v[99:100], v[99:100], v[105:106]
	v_add_f64 v[121:122], v[121:122], -v[103:104]
	v_fma_f64 v[99:100], v[101:102], v[97:98], v[99:100]
	v_add_f64 v[123:124], v[123:124], -v[99:100]
	ds_read2_b64 v[99:102], v125 offset0:58 offset1:59
	;; [unrolled: 8-line block ×5, first 2 shown]
	buffer_load_dword v77, off, s[20:23], 0 offset:32 ; 4-byte Folded Reload
	buffer_load_dword v78, off, s[20:23], 0 offset:36 ; 4-byte Folded Reload
	;; [unrolled: 1-line block ×4, first 2 shown]
	s_waitcnt lgkmcnt(0)
	v_mul_f64 v[103:104], v[101:102], v[105:106]
	v_fma_f64 v[103:104], v[99:100], v[97:98], -v[103:104]
	v_mul_f64 v[99:100], v[99:100], v[105:106]
	v_fma_f64 v[99:100], v[101:102], v[97:98], v[99:100]
	s_waitcnt vmcnt(2)
	v_add_f64 v[77:78], v[77:78], -v[103:104]
	s_waitcnt vmcnt(0)
	v_add_f64 v[79:80], v[79:80], -v[99:100]
	buffer_store_dword v77, off, s[20:23], 0 offset:32 ; 4-byte Folded Spill
	s_nop 0
	buffer_store_dword v78, off, s[20:23], 0 offset:36 ; 4-byte Folded Spill
	buffer_store_dword v79, off, s[20:23], 0 offset:40 ; 4-byte Folded Spill
	;; [unrolled: 1-line block ×3, first 2 shown]
	ds_read2_b64 v[99:102], v125 offset0:66 offset1:67
	buffer_load_dword v73, off, s[20:23], 0 offset:16 ; 4-byte Folded Reload
	buffer_load_dword v74, off, s[20:23], 0 offset:20 ; 4-byte Folded Reload
	;; [unrolled: 1-line block ×4, first 2 shown]
	s_waitcnt lgkmcnt(0)
	v_mul_f64 v[103:104], v[101:102], v[105:106]
	v_fma_f64 v[103:104], v[99:100], v[97:98], -v[103:104]
	v_mul_f64 v[99:100], v[99:100], v[105:106]
	v_fma_f64 v[99:100], v[101:102], v[97:98], v[99:100]
	s_waitcnt vmcnt(2)
	v_add_f64 v[73:74], v[73:74], -v[103:104]
	s_waitcnt vmcnt(0)
	v_add_f64 v[75:76], v[75:76], -v[99:100]
	buffer_store_dword v73, off, s[20:23], 0 offset:16 ; 4-byte Folded Spill
	s_nop 0
	buffer_store_dword v74, off, s[20:23], 0 offset:20 ; 4-byte Folded Spill
	buffer_store_dword v75, off, s[20:23], 0 offset:24 ; 4-byte Folded Spill
	buffer_store_dword v76, off, s[20:23], 0 offset:28 ; 4-byte Folded Spill
	v_mov_b32_e32 v76, v72
	v_mov_b32_e32 v75, v71
	;; [unrolled: 1-line block ×4, first 2 shown]
	ds_read2_b64 v[99:102], v125 offset0:68 offset1:69
	buffer_load_dword v69, off, s[20:23], 0 ; 4-byte Folded Reload
	buffer_load_dword v70, off, s[20:23], 0 offset:4 ; 4-byte Folded Reload
	buffer_load_dword v71, off, s[20:23], 0 offset:8 ; 4-byte Folded Reload
	;; [unrolled: 1-line block ×3, first 2 shown]
	s_waitcnt lgkmcnt(0)
	v_mul_f64 v[103:104], v[101:102], v[105:106]
	v_fma_f64 v[103:104], v[99:100], v[97:98], -v[103:104]
	v_mul_f64 v[99:100], v[99:100], v[105:106]
	v_fma_f64 v[99:100], v[101:102], v[97:98], v[99:100]
	s_waitcnt vmcnt(2)
	v_add_f64 v[69:70], v[69:70], -v[103:104]
	s_waitcnt vmcnt(0)
	v_add_f64 v[71:72], v[71:72], -v[99:100]
	buffer_store_dword v69, off, s[20:23], 0 ; 4-byte Folded Spill
	s_nop 0
	buffer_store_dword v70, off, s[20:23], 0 offset:4 ; 4-byte Folded Spill
	buffer_store_dword v71, off, s[20:23], 0 offset:8 ; 4-byte Folded Spill
	;; [unrolled: 1-line block ×3, first 2 shown]
	ds_read2_b64 v[99:102], v125 offset0:70 offset1:71
	s_waitcnt lgkmcnt(0)
	v_mul_f64 v[103:104], v[101:102], v[105:106]
	v_fma_f64 v[103:104], v[99:100], v[97:98], -v[103:104]
	v_mul_f64 v[99:100], v[99:100], v[105:106]
	v_add_f64 v[65:66], v[65:66], -v[103:104]
	v_fma_f64 v[99:100], v[101:102], v[97:98], v[99:100]
	v_add_f64 v[67:68], v[67:68], -v[99:100]
	ds_read2_b64 v[99:102], v125 offset0:72 offset1:73
	s_waitcnt lgkmcnt(0)
	v_mul_f64 v[103:104], v[101:102], v[105:106]
	v_fma_f64 v[103:104], v[99:100], v[97:98], -v[103:104]
	v_mul_f64 v[99:100], v[99:100], v[105:106]
	v_add_f64 v[61:62], v[61:62], -v[103:104]
	v_fma_f64 v[99:100], v[101:102], v[97:98], v[99:100]
	v_add_f64 v[63:64], v[63:64], -v[99:100]
	;; [unrolled: 8-line block ×17, first 2 shown]
	ds_read2_b64 v[99:102], v125 offset0:104 offset1:105
	s_waitcnt lgkmcnt(0)
	v_mul_f64 v[103:104], v[101:102], v[105:106]
	v_fma_f64 v[103:104], v[99:100], v[97:98], -v[103:104]
	v_mul_f64 v[99:100], v[99:100], v[105:106]
	v_add_f64 v[73:74], v[73:74], -v[103:104]
	v_fma_f64 v[99:100], v[101:102], v[97:98], v[99:100]
	v_mov_b32_e32 v104, v98
	v_mov_b32_e32 v103, v97
	buffer_store_dword v103, off, s[20:23], 0 offset:48 ; 4-byte Folded Spill
	s_nop 0
	buffer_store_dword v104, off, s[20:23], 0 offset:52 ; 4-byte Folded Spill
	buffer_store_dword v105, off, s[20:23], 0 offset:56 ; 4-byte Folded Spill
	;; [unrolled: 1-line block ×3, first 2 shown]
	v_add_f64 v[75:76], v[75:76], -v[99:100]
.LBB105_244:
	s_or_b64 exec, exec, s[2:3]
	v_cmp_eq_u32_e32 vcc, 27, v0
	s_waitcnt vmcnt(0)
	s_barrier
	s_and_saveexec_b64 s[4:5], vcc
	s_cbranch_execz .LBB105_251
; %bb.245:
	ds_write2_b64 v127, v[117:118], v[119:120] offset1:1
	ds_write2_b64 v125, v[121:122], v[123:124] offset0:56 offset1:57
	ds_write2_b64 v125, v[109:110], v[111:112] offset0:58 offset1:59
	;; [unrolled: 1-line block ×4, first 2 shown]
	buffer_load_dword v77, off, s[20:23], 0 offset:32 ; 4-byte Folded Reload
	buffer_load_dword v78, off, s[20:23], 0 offset:36 ; 4-byte Folded Reload
	;; [unrolled: 1-line block ×4, first 2 shown]
	v_mov_b32_e32 v69, v73
	v_mov_b32_e32 v70, v74
	;; [unrolled: 1-line block ×4, first 2 shown]
	s_waitcnt vmcnt(0)
	ds_write2_b64 v125, v[77:78], v[79:80] offset0:64 offset1:65
	buffer_load_dword v73, off, s[20:23], 0 offset:16 ; 4-byte Folded Reload
	buffer_load_dword v74, off, s[20:23], 0 offset:20 ; 4-byte Folded Reload
	;; [unrolled: 1-line block ×4, first 2 shown]
	s_waitcnt vmcnt(0)
	ds_write2_b64 v125, v[73:74], v[75:76] offset0:66 offset1:67
	v_mov_b32_e32 v76, v72
	v_mov_b32_e32 v75, v71
	v_mov_b32_e32 v74, v70
	v_mov_b32_e32 v73, v69
	buffer_load_dword v69, off, s[20:23], 0 ; 4-byte Folded Reload
	buffer_load_dword v70, off, s[20:23], 0 offset:4 ; 4-byte Folded Reload
	buffer_load_dword v71, off, s[20:23], 0 offset:8 ; 4-byte Folded Reload
	;; [unrolled: 1-line block ×3, first 2 shown]
	s_waitcnt vmcnt(0)
	ds_write2_b64 v125, v[69:70], v[71:72] offset0:68 offset1:69
	ds_write2_b64 v125, v[65:66], v[67:68] offset0:70 offset1:71
	;; [unrolled: 1-line block ×19, first 2 shown]
	ds_read2_b64 v[97:100], v127 offset1:1
	s_waitcnt lgkmcnt(0)
	v_cmp_neq_f64_e32 vcc, 0, v[97:98]
	v_cmp_neq_f64_e64 s[2:3], 0, v[99:100]
	s_or_b64 s[2:3], vcc, s[2:3]
	s_and_b64 exec, exec, s[2:3]
	s_cbranch_execz .LBB105_251
; %bb.246:
	v_cmp_ngt_f64_e64 s[2:3], |v[97:98]|, |v[99:100]|
                                        ; implicit-def: $vgpr101_vgpr102
	s_and_saveexec_b64 s[6:7], s[2:3]
	s_xor_b64 s[2:3], exec, s[6:7]
                                        ; implicit-def: $vgpr103_vgpr104
	s_cbranch_execz .LBB105_248
; %bb.247:
	v_div_scale_f64 v[101:102], s[6:7], v[99:100], v[99:100], v[97:98]
	v_rcp_f64_e32 v[103:104], v[101:102]
	v_fma_f64 v[105:106], -v[101:102], v[103:104], 1.0
	v_fma_f64 v[103:104], v[103:104], v[105:106], v[103:104]
	v_div_scale_f64 v[105:106], vcc, v[97:98], v[99:100], v[97:98]
	v_fma_f64 v[107:108], -v[101:102], v[103:104], 1.0
	v_fma_f64 v[103:104], v[103:104], v[107:108], v[103:104]
	v_mul_f64 v[107:108], v[105:106], v[103:104]
	v_fma_f64 v[101:102], -v[101:102], v[107:108], v[105:106]
	v_div_fmas_f64 v[101:102], v[101:102], v[103:104], v[107:108]
	v_div_fixup_f64 v[101:102], v[101:102], v[99:100], v[97:98]
	v_fma_f64 v[97:98], v[97:98], v[101:102], v[99:100]
	v_div_scale_f64 v[99:100], s[6:7], v[97:98], v[97:98], 1.0
	v_div_scale_f64 v[107:108], vcc, 1.0, v[97:98], 1.0
	v_rcp_f64_e32 v[103:104], v[99:100]
	v_fma_f64 v[105:106], -v[99:100], v[103:104], 1.0
	v_fma_f64 v[103:104], v[103:104], v[105:106], v[103:104]
	v_fma_f64 v[105:106], -v[99:100], v[103:104], 1.0
	v_fma_f64 v[103:104], v[103:104], v[105:106], v[103:104]
	v_mul_f64 v[105:106], v[107:108], v[103:104]
	v_fma_f64 v[99:100], -v[99:100], v[105:106], v[107:108]
	v_div_fmas_f64 v[99:100], v[99:100], v[103:104], v[105:106]
	v_div_fixup_f64 v[103:104], v[99:100], v[97:98], 1.0
                                        ; implicit-def: $vgpr97_vgpr98
	v_mul_f64 v[101:102], v[101:102], v[103:104]
	v_xor_b32_e32 v104, 0x80000000, v104
.LBB105_248:
	s_andn2_saveexec_b64 s[2:3], s[2:3]
	s_cbranch_execz .LBB105_250
; %bb.249:
	v_div_scale_f64 v[101:102], s[6:7], v[97:98], v[97:98], v[99:100]
	v_rcp_f64_e32 v[103:104], v[101:102]
	v_fma_f64 v[105:106], -v[101:102], v[103:104], 1.0
	v_fma_f64 v[103:104], v[103:104], v[105:106], v[103:104]
	v_div_scale_f64 v[105:106], vcc, v[99:100], v[97:98], v[99:100]
	v_fma_f64 v[107:108], -v[101:102], v[103:104], 1.0
	v_fma_f64 v[103:104], v[103:104], v[107:108], v[103:104]
	v_mul_f64 v[107:108], v[105:106], v[103:104]
	v_fma_f64 v[101:102], -v[101:102], v[107:108], v[105:106]
	v_div_fmas_f64 v[101:102], v[101:102], v[103:104], v[107:108]
	v_div_fixup_f64 v[103:104], v[101:102], v[97:98], v[99:100]
	v_fma_f64 v[97:98], v[99:100], v[103:104], v[97:98]
	v_div_scale_f64 v[99:100], s[6:7], v[97:98], v[97:98], 1.0
	v_div_scale_f64 v[107:108], vcc, 1.0, v[97:98], 1.0
	v_rcp_f64_e32 v[101:102], v[99:100]
	v_fma_f64 v[105:106], -v[99:100], v[101:102], 1.0
	v_fma_f64 v[101:102], v[101:102], v[105:106], v[101:102]
	v_fma_f64 v[105:106], -v[99:100], v[101:102], 1.0
	v_fma_f64 v[101:102], v[101:102], v[105:106], v[101:102]
	v_mul_f64 v[105:106], v[107:108], v[101:102]
	v_fma_f64 v[99:100], -v[99:100], v[105:106], v[107:108]
	v_div_fmas_f64 v[99:100], v[99:100], v[101:102], v[105:106]
	v_div_fixup_f64 v[101:102], v[99:100], v[97:98], 1.0
	v_mul_f64 v[103:104], v[103:104], -v[101:102]
.LBB105_250:
	s_or_b64 exec, exec, s[2:3]
	ds_write2_b64 v127, v[101:102], v[103:104] offset1:1
.LBB105_251:
	s_or_b64 exec, exec, s[4:5]
	s_waitcnt lgkmcnt(0)
	s_barrier
	ds_read2_b64 v[69:72], v127 offset1:1
	v_cmp_lt_u32_e32 vcc, 27, v0
	s_waitcnt lgkmcnt(0)
	buffer_store_dword v69, off, s[20:23], 0 offset:1328 ; 4-byte Folded Spill
	s_nop 0
	buffer_store_dword v70, off, s[20:23], 0 offset:1332 ; 4-byte Folded Spill
	buffer_store_dword v71, off, s[20:23], 0 offset:1336 ; 4-byte Folded Spill
	;; [unrolled: 1-line block ×3, first 2 shown]
	s_and_saveexec_b64 s[2:3], vcc
	s_cbranch_execz .LBB105_253
; %bb.252:
	buffer_load_dword v69, off, s[20:23], 0 offset:1328 ; 4-byte Folded Reload
	buffer_load_dword v70, off, s[20:23], 0 offset:1332 ; 4-byte Folded Reload
	;; [unrolled: 1-line block ×4, first 2 shown]
	s_waitcnt vmcnt(2)
	v_mul_f64 v[99:100], v[69:70], v[119:120]
	s_waitcnt vmcnt(0)
	v_mul_f64 v[97:98], v[71:72], v[119:120]
	v_fma_f64 v[119:120], v[71:72], v[117:118], v[99:100]
	ds_read2_b64 v[99:102], v125 offset0:56 offset1:57
	v_fma_f64 v[97:98], v[69:70], v[117:118], -v[97:98]
	v_mov_b32_e32 v69, v73
	v_mov_b32_e32 v70, v74
	;; [unrolled: 1-line block ×4, first 2 shown]
	s_waitcnt lgkmcnt(0)
	v_mul_f64 v[103:104], v[101:102], v[119:120]
	v_mov_b32_e32 v118, v98
	v_mov_b32_e32 v117, v97
	v_fma_f64 v[103:104], v[99:100], v[97:98], -v[103:104]
	v_mul_f64 v[99:100], v[99:100], v[119:120]
	v_add_f64 v[121:122], v[121:122], -v[103:104]
	v_fma_f64 v[99:100], v[101:102], v[97:98], v[99:100]
	v_add_f64 v[123:124], v[123:124], -v[99:100]
	ds_read2_b64 v[99:102], v125 offset0:58 offset1:59
	s_waitcnt lgkmcnt(0)
	v_mul_f64 v[103:104], v[101:102], v[119:120]
	v_fma_f64 v[103:104], v[99:100], v[97:98], -v[103:104]
	v_mul_f64 v[99:100], v[99:100], v[119:120]
	v_add_f64 v[109:110], v[109:110], -v[103:104]
	v_fma_f64 v[99:100], v[101:102], v[97:98], v[99:100]
	v_add_f64 v[111:112], v[111:112], -v[99:100]
	ds_read2_b64 v[99:102], v125 offset0:60 offset1:61
	s_waitcnt lgkmcnt(0)
	v_mul_f64 v[103:104], v[101:102], v[119:120]
	;; [unrolled: 8-line block ×3, first 2 shown]
	v_fma_f64 v[103:104], v[99:100], v[97:98], -v[103:104]
	v_mul_f64 v[99:100], v[99:100], v[119:120]
	v_add_f64 v[93:94], v[93:94], -v[103:104]
	v_fma_f64 v[99:100], v[101:102], v[97:98], v[99:100]
	v_add_f64 v[95:96], v[95:96], -v[99:100]
	ds_read2_b64 v[99:102], v125 offset0:64 offset1:65
	buffer_load_dword v77, off, s[20:23], 0 offset:32 ; 4-byte Folded Reload
	buffer_load_dword v78, off, s[20:23], 0 offset:36 ; 4-byte Folded Reload
	;; [unrolled: 1-line block ×4, first 2 shown]
	s_waitcnt lgkmcnt(0)
	v_mul_f64 v[103:104], v[101:102], v[119:120]
	v_fma_f64 v[103:104], v[99:100], v[97:98], -v[103:104]
	v_mul_f64 v[99:100], v[99:100], v[119:120]
	v_fma_f64 v[99:100], v[101:102], v[97:98], v[99:100]
	s_waitcnt vmcnt(2)
	v_add_f64 v[77:78], v[77:78], -v[103:104]
	s_waitcnt vmcnt(0)
	v_add_f64 v[79:80], v[79:80], -v[99:100]
	buffer_store_dword v77, off, s[20:23], 0 offset:32 ; 4-byte Folded Spill
	s_nop 0
	buffer_store_dword v78, off, s[20:23], 0 offset:36 ; 4-byte Folded Spill
	buffer_store_dword v79, off, s[20:23], 0 offset:40 ; 4-byte Folded Spill
	;; [unrolled: 1-line block ×3, first 2 shown]
	ds_read2_b64 v[99:102], v125 offset0:66 offset1:67
	buffer_load_dword v73, off, s[20:23], 0 offset:16 ; 4-byte Folded Reload
	buffer_load_dword v74, off, s[20:23], 0 offset:20 ; 4-byte Folded Reload
	;; [unrolled: 1-line block ×4, first 2 shown]
	s_waitcnt lgkmcnt(0)
	v_mul_f64 v[103:104], v[101:102], v[119:120]
	v_fma_f64 v[103:104], v[99:100], v[97:98], -v[103:104]
	v_mul_f64 v[99:100], v[99:100], v[119:120]
	v_fma_f64 v[99:100], v[101:102], v[97:98], v[99:100]
	s_waitcnt vmcnt(2)
	v_add_f64 v[73:74], v[73:74], -v[103:104]
	s_waitcnt vmcnt(0)
	v_add_f64 v[75:76], v[75:76], -v[99:100]
	buffer_store_dword v73, off, s[20:23], 0 offset:16 ; 4-byte Folded Spill
	s_nop 0
	buffer_store_dword v74, off, s[20:23], 0 offset:20 ; 4-byte Folded Spill
	buffer_store_dword v75, off, s[20:23], 0 offset:24 ; 4-byte Folded Spill
	;; [unrolled: 1-line block ×3, first 2 shown]
	v_mov_b32_e32 v76, v72
	v_mov_b32_e32 v75, v71
	;; [unrolled: 1-line block ×4, first 2 shown]
	ds_read2_b64 v[99:102], v125 offset0:68 offset1:69
	buffer_load_dword v69, off, s[20:23], 0 ; 4-byte Folded Reload
	buffer_load_dword v70, off, s[20:23], 0 offset:4 ; 4-byte Folded Reload
	buffer_load_dword v71, off, s[20:23], 0 offset:8 ; 4-byte Folded Reload
	;; [unrolled: 1-line block ×3, first 2 shown]
	s_waitcnt lgkmcnt(0)
	v_mul_f64 v[103:104], v[101:102], v[119:120]
	v_fma_f64 v[103:104], v[99:100], v[97:98], -v[103:104]
	v_mul_f64 v[99:100], v[99:100], v[119:120]
	v_fma_f64 v[99:100], v[101:102], v[97:98], v[99:100]
	s_waitcnt vmcnt(2)
	v_add_f64 v[69:70], v[69:70], -v[103:104]
	s_waitcnt vmcnt(0)
	v_add_f64 v[71:72], v[71:72], -v[99:100]
	buffer_store_dword v69, off, s[20:23], 0 ; 4-byte Folded Spill
	s_nop 0
	buffer_store_dword v70, off, s[20:23], 0 offset:4 ; 4-byte Folded Spill
	buffer_store_dword v71, off, s[20:23], 0 offset:8 ; 4-byte Folded Spill
	;; [unrolled: 1-line block ×3, first 2 shown]
	ds_read2_b64 v[99:102], v125 offset0:70 offset1:71
	s_waitcnt lgkmcnt(0)
	v_mul_f64 v[103:104], v[101:102], v[119:120]
	v_fma_f64 v[103:104], v[99:100], v[97:98], -v[103:104]
	v_mul_f64 v[99:100], v[99:100], v[119:120]
	v_add_f64 v[65:66], v[65:66], -v[103:104]
	v_fma_f64 v[99:100], v[101:102], v[97:98], v[99:100]
	v_add_f64 v[67:68], v[67:68], -v[99:100]
	ds_read2_b64 v[99:102], v125 offset0:72 offset1:73
	s_waitcnt lgkmcnt(0)
	v_mul_f64 v[103:104], v[101:102], v[119:120]
	v_fma_f64 v[103:104], v[99:100], v[97:98], -v[103:104]
	v_mul_f64 v[99:100], v[99:100], v[119:120]
	v_add_f64 v[61:62], v[61:62], -v[103:104]
	v_fma_f64 v[99:100], v[101:102], v[97:98], v[99:100]
	v_add_f64 v[63:64], v[63:64], -v[99:100]
	;; [unrolled: 8-line block ×18, first 2 shown]
.LBB105_253:
	s_or_b64 exec, exec, s[2:3]
	v_cmp_eq_u32_e32 vcc, 28, v0
	s_waitcnt vmcnt(0)
	s_barrier
	s_and_saveexec_b64 s[4:5], vcc
	s_cbranch_execz .LBB105_260
; %bb.254:
	ds_write2_b64 v127, v[121:122], v[123:124] offset1:1
	ds_write2_b64 v125, v[109:110], v[111:112] offset0:58 offset1:59
	ds_write2_b64 v125, v[113:114], v[115:116] offset0:60 offset1:61
	;; [unrolled: 1-line block ×3, first 2 shown]
	buffer_load_dword v77, off, s[20:23], 0 offset:32 ; 4-byte Folded Reload
	buffer_load_dword v78, off, s[20:23], 0 offset:36 ; 4-byte Folded Reload
	;; [unrolled: 1-line block ×4, first 2 shown]
	v_mov_b32_e32 v69, v73
	v_mov_b32_e32 v70, v74
	;; [unrolled: 1-line block ×4, first 2 shown]
	s_waitcnt vmcnt(0)
	ds_write2_b64 v125, v[77:78], v[79:80] offset0:64 offset1:65
	buffer_load_dword v73, off, s[20:23], 0 offset:16 ; 4-byte Folded Reload
	buffer_load_dword v74, off, s[20:23], 0 offset:20 ; 4-byte Folded Reload
	;; [unrolled: 1-line block ×4, first 2 shown]
	s_waitcnt vmcnt(0)
	ds_write2_b64 v125, v[73:74], v[75:76] offset0:66 offset1:67
	v_mov_b32_e32 v76, v72
	v_mov_b32_e32 v75, v71
	;; [unrolled: 1-line block ×4, first 2 shown]
	buffer_load_dword v69, off, s[20:23], 0 ; 4-byte Folded Reload
	buffer_load_dword v70, off, s[20:23], 0 offset:4 ; 4-byte Folded Reload
	buffer_load_dword v71, off, s[20:23], 0 offset:8 ; 4-byte Folded Reload
	;; [unrolled: 1-line block ×3, first 2 shown]
	s_waitcnt vmcnt(0)
	ds_write2_b64 v125, v[69:70], v[71:72] offset0:68 offset1:69
	ds_write2_b64 v125, v[65:66], v[67:68] offset0:70 offset1:71
	;; [unrolled: 1-line block ×19, first 2 shown]
	ds_read2_b64 v[97:100], v127 offset1:1
	s_waitcnt lgkmcnt(0)
	v_cmp_neq_f64_e32 vcc, 0, v[97:98]
	v_cmp_neq_f64_e64 s[2:3], 0, v[99:100]
	s_or_b64 s[2:3], vcc, s[2:3]
	s_and_b64 exec, exec, s[2:3]
	s_cbranch_execz .LBB105_260
; %bb.255:
	v_cmp_ngt_f64_e64 s[2:3], |v[97:98]|, |v[99:100]|
                                        ; implicit-def: $vgpr101_vgpr102
	s_and_saveexec_b64 s[6:7], s[2:3]
	s_xor_b64 s[2:3], exec, s[6:7]
                                        ; implicit-def: $vgpr103_vgpr104
	s_cbranch_execz .LBB105_257
; %bb.256:
	v_div_scale_f64 v[101:102], s[6:7], v[99:100], v[99:100], v[97:98]
	v_rcp_f64_e32 v[103:104], v[101:102]
	v_fma_f64 v[105:106], -v[101:102], v[103:104], 1.0
	v_fma_f64 v[103:104], v[103:104], v[105:106], v[103:104]
	v_div_scale_f64 v[105:106], vcc, v[97:98], v[99:100], v[97:98]
	v_fma_f64 v[107:108], -v[101:102], v[103:104], 1.0
	v_fma_f64 v[103:104], v[103:104], v[107:108], v[103:104]
	v_mul_f64 v[107:108], v[105:106], v[103:104]
	v_fma_f64 v[101:102], -v[101:102], v[107:108], v[105:106]
	v_div_fmas_f64 v[101:102], v[101:102], v[103:104], v[107:108]
	v_div_fixup_f64 v[101:102], v[101:102], v[99:100], v[97:98]
	v_fma_f64 v[97:98], v[97:98], v[101:102], v[99:100]
	v_div_scale_f64 v[99:100], s[6:7], v[97:98], v[97:98], 1.0
	v_div_scale_f64 v[107:108], vcc, 1.0, v[97:98], 1.0
	v_rcp_f64_e32 v[103:104], v[99:100]
	v_fma_f64 v[105:106], -v[99:100], v[103:104], 1.0
	v_fma_f64 v[103:104], v[103:104], v[105:106], v[103:104]
	v_fma_f64 v[105:106], -v[99:100], v[103:104], 1.0
	v_fma_f64 v[103:104], v[103:104], v[105:106], v[103:104]
	v_mul_f64 v[105:106], v[107:108], v[103:104]
	v_fma_f64 v[99:100], -v[99:100], v[105:106], v[107:108]
	v_div_fmas_f64 v[99:100], v[99:100], v[103:104], v[105:106]
	v_div_fixup_f64 v[103:104], v[99:100], v[97:98], 1.0
                                        ; implicit-def: $vgpr97_vgpr98
	v_mul_f64 v[101:102], v[101:102], v[103:104]
	v_xor_b32_e32 v104, 0x80000000, v104
.LBB105_257:
	s_andn2_saveexec_b64 s[2:3], s[2:3]
	s_cbranch_execz .LBB105_259
; %bb.258:
	v_div_scale_f64 v[101:102], s[6:7], v[97:98], v[97:98], v[99:100]
	v_rcp_f64_e32 v[103:104], v[101:102]
	v_fma_f64 v[105:106], -v[101:102], v[103:104], 1.0
	v_fma_f64 v[103:104], v[103:104], v[105:106], v[103:104]
	v_div_scale_f64 v[105:106], vcc, v[99:100], v[97:98], v[99:100]
	v_fma_f64 v[107:108], -v[101:102], v[103:104], 1.0
	v_fma_f64 v[103:104], v[103:104], v[107:108], v[103:104]
	v_mul_f64 v[107:108], v[105:106], v[103:104]
	v_fma_f64 v[101:102], -v[101:102], v[107:108], v[105:106]
	v_div_fmas_f64 v[101:102], v[101:102], v[103:104], v[107:108]
	v_div_fixup_f64 v[103:104], v[101:102], v[97:98], v[99:100]
	v_fma_f64 v[97:98], v[99:100], v[103:104], v[97:98]
	v_div_scale_f64 v[99:100], s[6:7], v[97:98], v[97:98], 1.0
	v_div_scale_f64 v[107:108], vcc, 1.0, v[97:98], 1.0
	v_rcp_f64_e32 v[101:102], v[99:100]
	v_fma_f64 v[105:106], -v[99:100], v[101:102], 1.0
	v_fma_f64 v[101:102], v[101:102], v[105:106], v[101:102]
	v_fma_f64 v[105:106], -v[99:100], v[101:102], 1.0
	v_fma_f64 v[101:102], v[101:102], v[105:106], v[101:102]
	v_mul_f64 v[105:106], v[107:108], v[101:102]
	v_fma_f64 v[99:100], -v[99:100], v[105:106], v[107:108]
	v_div_fmas_f64 v[99:100], v[99:100], v[101:102], v[105:106]
	v_div_fixup_f64 v[101:102], v[99:100], v[97:98], 1.0
	v_mul_f64 v[103:104], v[103:104], -v[101:102]
.LBB105_259:
	s_or_b64 exec, exec, s[2:3]
	ds_write2_b64 v127, v[101:102], v[103:104] offset1:1
.LBB105_260:
	s_or_b64 exec, exec, s[4:5]
	s_waitcnt lgkmcnt(0)
	s_barrier
	ds_read2_b64 v[69:72], v127 offset1:1
	v_cmp_lt_u32_e32 vcc, 28, v0
	s_waitcnt lgkmcnt(0)
	buffer_store_dword v69, off, s[20:23], 0 offset:1344 ; 4-byte Folded Spill
	s_nop 0
	buffer_store_dword v70, off, s[20:23], 0 offset:1348 ; 4-byte Folded Spill
	buffer_store_dword v71, off, s[20:23], 0 offset:1352 ; 4-byte Folded Spill
	;; [unrolled: 1-line block ×3, first 2 shown]
	s_and_saveexec_b64 s[2:3], vcc
	s_cbranch_execz .LBB105_262
; %bb.261:
	buffer_load_dword v69, off, s[20:23], 0 offset:1344 ; 4-byte Folded Reload
	buffer_load_dword v70, off, s[20:23], 0 offset:1348 ; 4-byte Folded Reload
	;; [unrolled: 1-line block ×4, first 2 shown]
	v_mov_b32_e32 v106, v96
	v_mov_b32_e32 v105, v95
	;; [unrolled: 1-line block ×4, first 2 shown]
	ds_read2_b64 v[99:102], v125 offset0:58 offset1:59
	s_waitcnt vmcnt(2)
	v_mul_f64 v[95:96], v[69:70], v[123:124]
	s_waitcnt vmcnt(0)
	v_mul_f64 v[97:98], v[71:72], v[123:124]
	v_fma_f64 v[123:124], v[71:72], v[121:122], v[95:96]
	v_fma_f64 v[97:98], v[69:70], v[121:122], -v[97:98]
	v_mov_b32_e32 v69, v73
	v_mov_b32_e32 v70, v74
	;; [unrolled: 1-line block ×4, first 2 shown]
	s_waitcnt lgkmcnt(0)
	v_mul_f64 v[93:94], v[101:102], v[123:124]
	v_mov_b32_e32 v122, v98
	v_mov_b32_e32 v121, v97
	v_fma_f64 v[93:94], v[99:100], v[97:98], -v[93:94]
	v_mul_f64 v[99:100], v[99:100], v[123:124]
	v_add_f64 v[109:110], v[109:110], -v[93:94]
	v_fma_f64 v[99:100], v[101:102], v[97:98], v[99:100]
	v_add_f64 v[111:112], v[111:112], -v[99:100]
	ds_read2_b64 v[99:102], v125 offset0:60 offset1:61
	s_waitcnt lgkmcnt(0)
	v_mul_f64 v[93:94], v[101:102], v[123:124]
	v_fma_f64 v[93:94], v[99:100], v[97:98], -v[93:94]
	v_mul_f64 v[99:100], v[99:100], v[123:124]
	v_add_f64 v[113:114], v[113:114], -v[93:94]
	v_fma_f64 v[99:100], v[101:102], v[97:98], v[99:100]
	v_add_f64 v[115:116], v[115:116], -v[99:100]
	ds_read2_b64 v[99:102], v125 offset0:62 offset1:63
	s_waitcnt lgkmcnt(0)
	v_mul_f64 v[93:94], v[101:102], v[123:124]
	v_fma_f64 v[93:94], v[99:100], v[97:98], -v[93:94]
	v_mul_f64 v[99:100], v[99:100], v[123:124]
	v_add_f64 v[103:104], v[103:104], -v[93:94]
	v_fma_f64 v[99:100], v[101:102], v[97:98], v[99:100]
	v_add_f64 v[105:106], v[105:106], -v[99:100]
	ds_read2_b64 v[99:102], v125 offset0:64 offset1:65
	buffer_load_dword v77, off, s[20:23], 0 offset:32 ; 4-byte Folded Reload
	buffer_load_dword v78, off, s[20:23], 0 offset:36 ; 4-byte Folded Reload
	;; [unrolled: 1-line block ×4, first 2 shown]
	s_waitcnt lgkmcnt(0)
	v_mul_f64 v[93:94], v[101:102], v[123:124]
	v_fma_f64 v[93:94], v[99:100], v[97:98], -v[93:94]
	v_mul_f64 v[99:100], v[99:100], v[123:124]
	v_fma_f64 v[99:100], v[101:102], v[97:98], v[99:100]
	s_waitcnt vmcnt(2)
	v_add_f64 v[77:78], v[77:78], -v[93:94]
	s_waitcnt vmcnt(0)
	v_add_f64 v[79:80], v[79:80], -v[99:100]
	buffer_store_dword v77, off, s[20:23], 0 offset:32 ; 4-byte Folded Spill
	s_nop 0
	buffer_store_dword v78, off, s[20:23], 0 offset:36 ; 4-byte Folded Spill
	buffer_store_dword v79, off, s[20:23], 0 offset:40 ; 4-byte Folded Spill
	;; [unrolled: 1-line block ×3, first 2 shown]
	ds_read2_b64 v[99:102], v125 offset0:66 offset1:67
	buffer_load_dword v73, off, s[20:23], 0 offset:16 ; 4-byte Folded Reload
	buffer_load_dword v74, off, s[20:23], 0 offset:20 ; 4-byte Folded Reload
	;; [unrolled: 1-line block ×4, first 2 shown]
	s_waitcnt lgkmcnt(0)
	v_mul_f64 v[93:94], v[101:102], v[123:124]
	v_fma_f64 v[93:94], v[99:100], v[97:98], -v[93:94]
	v_mul_f64 v[99:100], v[99:100], v[123:124]
	v_fma_f64 v[99:100], v[101:102], v[97:98], v[99:100]
	s_waitcnt vmcnt(2)
	v_add_f64 v[73:74], v[73:74], -v[93:94]
	s_waitcnt vmcnt(0)
	v_add_f64 v[75:76], v[75:76], -v[99:100]
	buffer_store_dword v73, off, s[20:23], 0 offset:16 ; 4-byte Folded Spill
	s_nop 0
	buffer_store_dword v74, off, s[20:23], 0 offset:20 ; 4-byte Folded Spill
	buffer_store_dword v75, off, s[20:23], 0 offset:24 ; 4-byte Folded Spill
	;; [unrolled: 1-line block ×3, first 2 shown]
	v_mov_b32_e32 v76, v72
	v_mov_b32_e32 v75, v71
	;; [unrolled: 1-line block ×4, first 2 shown]
	ds_read2_b64 v[99:102], v125 offset0:68 offset1:69
	buffer_load_dword v69, off, s[20:23], 0 ; 4-byte Folded Reload
	buffer_load_dword v70, off, s[20:23], 0 offset:4 ; 4-byte Folded Reload
	buffer_load_dword v71, off, s[20:23], 0 offset:8 ; 4-byte Folded Reload
	;; [unrolled: 1-line block ×3, first 2 shown]
	s_waitcnt lgkmcnt(0)
	v_mul_f64 v[93:94], v[101:102], v[123:124]
	v_fma_f64 v[93:94], v[99:100], v[97:98], -v[93:94]
	v_mul_f64 v[99:100], v[99:100], v[123:124]
	v_fma_f64 v[99:100], v[101:102], v[97:98], v[99:100]
	s_waitcnt vmcnt(2)
	v_add_f64 v[69:70], v[69:70], -v[93:94]
	s_waitcnt vmcnt(0)
	v_add_f64 v[71:72], v[71:72], -v[99:100]
	buffer_store_dword v69, off, s[20:23], 0 ; 4-byte Folded Spill
	s_nop 0
	buffer_store_dword v70, off, s[20:23], 0 offset:4 ; 4-byte Folded Spill
	buffer_store_dword v71, off, s[20:23], 0 offset:8 ; 4-byte Folded Spill
	;; [unrolled: 1-line block ×3, first 2 shown]
	ds_read2_b64 v[99:102], v125 offset0:70 offset1:71
	s_waitcnt lgkmcnt(0)
	v_mul_f64 v[93:94], v[101:102], v[123:124]
	v_fma_f64 v[93:94], v[99:100], v[97:98], -v[93:94]
	v_mul_f64 v[99:100], v[99:100], v[123:124]
	v_add_f64 v[65:66], v[65:66], -v[93:94]
	v_fma_f64 v[99:100], v[101:102], v[97:98], v[99:100]
	v_add_f64 v[67:68], v[67:68], -v[99:100]
	ds_read2_b64 v[99:102], v125 offset0:72 offset1:73
	s_waitcnt lgkmcnt(0)
	v_mul_f64 v[93:94], v[101:102], v[123:124]
	v_fma_f64 v[93:94], v[99:100], v[97:98], -v[93:94]
	v_mul_f64 v[99:100], v[99:100], v[123:124]
	v_add_f64 v[61:62], v[61:62], -v[93:94]
	v_fma_f64 v[99:100], v[101:102], v[97:98], v[99:100]
	v_add_f64 v[63:64], v[63:64], -v[99:100]
	;; [unrolled: 8-line block ×17, first 2 shown]
	ds_read2_b64 v[99:102], v125 offset0:104 offset1:105
	s_waitcnt lgkmcnt(0)
	v_mul_f64 v[93:94], v[101:102], v[123:124]
	v_fma_f64 v[93:94], v[99:100], v[97:98], -v[93:94]
	v_mul_f64 v[99:100], v[99:100], v[123:124]
	v_add_f64 v[73:74], v[73:74], -v[93:94]
	v_fma_f64 v[99:100], v[101:102], v[97:98], v[99:100]
	v_mov_b32_e32 v93, v103
	v_mov_b32_e32 v94, v104
	;; [unrolled: 1-line block ×4, first 2 shown]
	v_add_f64 v[75:76], v[75:76], -v[99:100]
.LBB105_262:
	s_or_b64 exec, exec, s[2:3]
	v_cmp_eq_u32_e32 vcc, 29, v0
	s_waitcnt vmcnt(0)
	s_barrier
	s_and_saveexec_b64 s[4:5], vcc
	s_cbranch_execz .LBB105_269
; %bb.263:
	ds_write2_b64 v127, v[109:110], v[111:112] offset1:1
	ds_write2_b64 v125, v[113:114], v[115:116] offset0:60 offset1:61
	ds_write2_b64 v125, v[93:94], v[95:96] offset0:62 offset1:63
	buffer_load_dword v77, off, s[20:23], 0 offset:32 ; 4-byte Folded Reload
	buffer_load_dword v78, off, s[20:23], 0 offset:36 ; 4-byte Folded Reload
	buffer_load_dword v79, off, s[20:23], 0 offset:40 ; 4-byte Folded Reload
	buffer_load_dword v80, off, s[20:23], 0 offset:44 ; 4-byte Folded Reload
	v_mov_b32_e32 v69, v73
	v_mov_b32_e32 v70, v74
	;; [unrolled: 1-line block ×4, first 2 shown]
	s_waitcnt vmcnt(0)
	ds_write2_b64 v125, v[77:78], v[79:80] offset0:64 offset1:65
	buffer_load_dword v73, off, s[20:23], 0 offset:16 ; 4-byte Folded Reload
	buffer_load_dword v74, off, s[20:23], 0 offset:20 ; 4-byte Folded Reload
	;; [unrolled: 1-line block ×4, first 2 shown]
	s_waitcnt vmcnt(0)
	ds_write2_b64 v125, v[73:74], v[75:76] offset0:66 offset1:67
	v_mov_b32_e32 v76, v72
	v_mov_b32_e32 v75, v71
	v_mov_b32_e32 v74, v70
	v_mov_b32_e32 v73, v69
	buffer_load_dword v69, off, s[20:23], 0 ; 4-byte Folded Reload
	buffer_load_dword v70, off, s[20:23], 0 offset:4 ; 4-byte Folded Reload
	buffer_load_dword v71, off, s[20:23], 0 offset:8 ; 4-byte Folded Reload
	;; [unrolled: 1-line block ×3, first 2 shown]
	s_waitcnt vmcnt(0)
	ds_write2_b64 v125, v[69:70], v[71:72] offset0:68 offset1:69
	ds_write2_b64 v125, v[65:66], v[67:68] offset0:70 offset1:71
	;; [unrolled: 1-line block ×19, first 2 shown]
	ds_read2_b64 v[97:100], v127 offset1:1
	s_waitcnt lgkmcnt(0)
	v_cmp_neq_f64_e32 vcc, 0, v[97:98]
	v_cmp_neq_f64_e64 s[2:3], 0, v[99:100]
	s_or_b64 s[2:3], vcc, s[2:3]
	s_and_b64 exec, exec, s[2:3]
	s_cbranch_execz .LBB105_269
; %bb.264:
	v_cmp_ngt_f64_e64 s[2:3], |v[97:98]|, |v[99:100]|
                                        ; implicit-def: $vgpr101_vgpr102
	s_and_saveexec_b64 s[6:7], s[2:3]
	s_xor_b64 s[2:3], exec, s[6:7]
                                        ; implicit-def: $vgpr103_vgpr104
	s_cbranch_execz .LBB105_266
; %bb.265:
	v_div_scale_f64 v[101:102], s[6:7], v[99:100], v[99:100], v[97:98]
	v_rcp_f64_e32 v[103:104], v[101:102]
	v_fma_f64 v[105:106], -v[101:102], v[103:104], 1.0
	v_fma_f64 v[103:104], v[103:104], v[105:106], v[103:104]
	v_div_scale_f64 v[105:106], vcc, v[97:98], v[99:100], v[97:98]
	v_fma_f64 v[107:108], -v[101:102], v[103:104], 1.0
	v_fma_f64 v[103:104], v[103:104], v[107:108], v[103:104]
	v_mul_f64 v[107:108], v[105:106], v[103:104]
	v_fma_f64 v[101:102], -v[101:102], v[107:108], v[105:106]
	v_div_fmas_f64 v[101:102], v[101:102], v[103:104], v[107:108]
	v_div_fixup_f64 v[101:102], v[101:102], v[99:100], v[97:98]
	v_fma_f64 v[97:98], v[97:98], v[101:102], v[99:100]
	v_div_scale_f64 v[99:100], s[6:7], v[97:98], v[97:98], 1.0
	v_div_scale_f64 v[107:108], vcc, 1.0, v[97:98], 1.0
	v_rcp_f64_e32 v[103:104], v[99:100]
	v_fma_f64 v[105:106], -v[99:100], v[103:104], 1.0
	v_fma_f64 v[103:104], v[103:104], v[105:106], v[103:104]
	v_fma_f64 v[105:106], -v[99:100], v[103:104], 1.0
	v_fma_f64 v[103:104], v[103:104], v[105:106], v[103:104]
	v_mul_f64 v[105:106], v[107:108], v[103:104]
	v_fma_f64 v[99:100], -v[99:100], v[105:106], v[107:108]
	v_div_fmas_f64 v[99:100], v[99:100], v[103:104], v[105:106]
	v_div_fixup_f64 v[103:104], v[99:100], v[97:98], 1.0
                                        ; implicit-def: $vgpr97_vgpr98
	v_mul_f64 v[101:102], v[101:102], v[103:104]
	v_xor_b32_e32 v104, 0x80000000, v104
.LBB105_266:
	s_andn2_saveexec_b64 s[2:3], s[2:3]
	s_cbranch_execz .LBB105_268
; %bb.267:
	v_div_scale_f64 v[101:102], s[6:7], v[97:98], v[97:98], v[99:100]
	v_rcp_f64_e32 v[103:104], v[101:102]
	v_fma_f64 v[105:106], -v[101:102], v[103:104], 1.0
	v_fma_f64 v[103:104], v[103:104], v[105:106], v[103:104]
	v_div_scale_f64 v[105:106], vcc, v[99:100], v[97:98], v[99:100]
	v_fma_f64 v[107:108], -v[101:102], v[103:104], 1.0
	v_fma_f64 v[103:104], v[103:104], v[107:108], v[103:104]
	v_mul_f64 v[107:108], v[105:106], v[103:104]
	v_fma_f64 v[101:102], -v[101:102], v[107:108], v[105:106]
	v_div_fmas_f64 v[101:102], v[101:102], v[103:104], v[107:108]
	v_div_fixup_f64 v[103:104], v[101:102], v[97:98], v[99:100]
	v_fma_f64 v[97:98], v[99:100], v[103:104], v[97:98]
	v_div_scale_f64 v[99:100], s[6:7], v[97:98], v[97:98], 1.0
	v_div_scale_f64 v[107:108], vcc, 1.0, v[97:98], 1.0
	v_rcp_f64_e32 v[101:102], v[99:100]
	v_fma_f64 v[105:106], -v[99:100], v[101:102], 1.0
	v_fma_f64 v[101:102], v[101:102], v[105:106], v[101:102]
	v_fma_f64 v[105:106], -v[99:100], v[101:102], 1.0
	v_fma_f64 v[101:102], v[101:102], v[105:106], v[101:102]
	v_mul_f64 v[105:106], v[107:108], v[101:102]
	v_fma_f64 v[99:100], -v[99:100], v[105:106], v[107:108]
	v_div_fmas_f64 v[99:100], v[99:100], v[101:102], v[105:106]
	v_div_fixup_f64 v[101:102], v[99:100], v[97:98], 1.0
	v_mul_f64 v[103:104], v[103:104], -v[101:102]
.LBB105_268:
	s_or_b64 exec, exec, s[2:3]
	ds_write2_b64 v127, v[101:102], v[103:104] offset1:1
.LBB105_269:
	s_or_b64 exec, exec, s[4:5]
	s_waitcnt lgkmcnt(0)
	s_barrier
	ds_read2_b64 v[69:72], v127 offset1:1
	v_cmp_lt_u32_e32 vcc, 29, v0
	s_waitcnt lgkmcnt(0)
	buffer_store_dword v69, off, s[20:23], 0 offset:1360 ; 4-byte Folded Spill
	s_nop 0
	buffer_store_dword v70, off, s[20:23], 0 offset:1364 ; 4-byte Folded Spill
	buffer_store_dword v71, off, s[20:23], 0 offset:1368 ; 4-byte Folded Spill
	;; [unrolled: 1-line block ×3, first 2 shown]
	s_and_saveexec_b64 s[2:3], vcc
	s_cbranch_execz .LBB105_271
; %bb.270:
	buffer_load_dword v69, off, s[20:23], 0 offset:1360 ; 4-byte Folded Reload
	buffer_load_dword v70, off, s[20:23], 0 offset:1364 ; 4-byte Folded Reload
	;; [unrolled: 1-line block ×4, first 2 shown]
	v_mov_b32_e32 v89, v91
	v_mov_b32_e32 v90, v92
	ds_read2_b64 v[99:102], v125 offset0:60 offset1:61
	s_waitcnt vmcnt(2)
	v_mul_f64 v[91:92], v[69:70], v[111:112]
	s_waitcnt vmcnt(0)
	v_mul_f64 v[97:98], v[71:72], v[111:112]
	v_fma_f64 v[111:112], v[71:72], v[109:110], v[91:92]
	v_mov_b32_e32 v92, v90
	v_fma_f64 v[97:98], v[69:70], v[109:110], -v[97:98]
	v_mov_b32_e32 v91, v89
	v_mov_b32_e32 v69, v73
	;; [unrolled: 1-line block ×5, first 2 shown]
	s_waitcnt lgkmcnt(0)
	v_mul_f64 v[89:90], v[101:102], v[111:112]
	v_mov_b32_e32 v110, v98
	v_mov_b32_e32 v109, v97
	v_fma_f64 v[89:90], v[99:100], v[97:98], -v[89:90]
	v_mul_f64 v[99:100], v[99:100], v[111:112]
	v_add_f64 v[113:114], v[113:114], -v[89:90]
	v_fma_f64 v[99:100], v[101:102], v[97:98], v[99:100]
	v_add_f64 v[115:116], v[115:116], -v[99:100]
	ds_read2_b64 v[99:102], v125 offset0:62 offset1:63
	s_waitcnt lgkmcnt(0)
	v_mul_f64 v[89:90], v[101:102], v[111:112]
	v_fma_f64 v[89:90], v[99:100], v[97:98], -v[89:90]
	v_mul_f64 v[99:100], v[99:100], v[111:112]
	v_add_f64 v[93:94], v[93:94], -v[89:90]
	v_fma_f64 v[99:100], v[101:102], v[97:98], v[99:100]
	v_add_f64 v[95:96], v[95:96], -v[99:100]
	ds_read2_b64 v[99:102], v125 offset0:64 offset1:65
	buffer_load_dword v77, off, s[20:23], 0 offset:32 ; 4-byte Folded Reload
	buffer_load_dword v78, off, s[20:23], 0 offset:36 ; 4-byte Folded Reload
	;; [unrolled: 1-line block ×4, first 2 shown]
	s_waitcnt lgkmcnt(0)
	v_mul_f64 v[89:90], v[101:102], v[111:112]
	v_fma_f64 v[89:90], v[99:100], v[97:98], -v[89:90]
	v_mul_f64 v[99:100], v[99:100], v[111:112]
	v_fma_f64 v[99:100], v[101:102], v[97:98], v[99:100]
	s_waitcnt vmcnt(2)
	v_add_f64 v[77:78], v[77:78], -v[89:90]
	s_waitcnt vmcnt(0)
	v_add_f64 v[79:80], v[79:80], -v[99:100]
	buffer_store_dword v77, off, s[20:23], 0 offset:32 ; 4-byte Folded Spill
	s_nop 0
	buffer_store_dword v78, off, s[20:23], 0 offset:36 ; 4-byte Folded Spill
	buffer_store_dword v79, off, s[20:23], 0 offset:40 ; 4-byte Folded Spill
	buffer_store_dword v80, off, s[20:23], 0 offset:44 ; 4-byte Folded Spill
	ds_read2_b64 v[99:102], v125 offset0:66 offset1:67
	buffer_load_dword v73, off, s[20:23], 0 offset:16 ; 4-byte Folded Reload
	buffer_load_dword v74, off, s[20:23], 0 offset:20 ; 4-byte Folded Reload
	;; [unrolled: 1-line block ×4, first 2 shown]
	s_waitcnt lgkmcnt(0)
	v_mul_f64 v[89:90], v[101:102], v[111:112]
	v_fma_f64 v[89:90], v[99:100], v[97:98], -v[89:90]
	v_mul_f64 v[99:100], v[99:100], v[111:112]
	v_fma_f64 v[99:100], v[101:102], v[97:98], v[99:100]
	s_waitcnt vmcnt(2)
	v_add_f64 v[73:74], v[73:74], -v[89:90]
	s_waitcnt vmcnt(0)
	v_add_f64 v[75:76], v[75:76], -v[99:100]
	buffer_store_dword v73, off, s[20:23], 0 offset:16 ; 4-byte Folded Spill
	s_nop 0
	buffer_store_dword v74, off, s[20:23], 0 offset:20 ; 4-byte Folded Spill
	buffer_store_dword v75, off, s[20:23], 0 offset:24 ; 4-byte Folded Spill
	;; [unrolled: 1-line block ×3, first 2 shown]
	v_mov_b32_e32 v76, v72
	v_mov_b32_e32 v75, v71
	;; [unrolled: 1-line block ×4, first 2 shown]
	ds_read2_b64 v[99:102], v125 offset0:68 offset1:69
	buffer_load_dword v69, off, s[20:23], 0 ; 4-byte Folded Reload
	buffer_load_dword v70, off, s[20:23], 0 offset:4 ; 4-byte Folded Reload
	buffer_load_dword v71, off, s[20:23], 0 offset:8 ; 4-byte Folded Reload
	;; [unrolled: 1-line block ×3, first 2 shown]
	s_waitcnt lgkmcnt(0)
	v_mul_f64 v[89:90], v[101:102], v[111:112]
	v_fma_f64 v[89:90], v[99:100], v[97:98], -v[89:90]
	v_mul_f64 v[99:100], v[99:100], v[111:112]
	v_fma_f64 v[99:100], v[101:102], v[97:98], v[99:100]
	s_waitcnt vmcnt(2)
	v_add_f64 v[69:70], v[69:70], -v[89:90]
	s_waitcnt vmcnt(0)
	v_add_f64 v[71:72], v[71:72], -v[99:100]
	buffer_store_dword v69, off, s[20:23], 0 ; 4-byte Folded Spill
	s_nop 0
	buffer_store_dword v70, off, s[20:23], 0 offset:4 ; 4-byte Folded Spill
	buffer_store_dword v71, off, s[20:23], 0 offset:8 ; 4-byte Folded Spill
	;; [unrolled: 1-line block ×3, first 2 shown]
	ds_read2_b64 v[99:102], v125 offset0:70 offset1:71
	s_waitcnt lgkmcnt(0)
	v_mul_f64 v[89:90], v[101:102], v[111:112]
	v_fma_f64 v[89:90], v[99:100], v[97:98], -v[89:90]
	v_mul_f64 v[99:100], v[99:100], v[111:112]
	v_add_f64 v[65:66], v[65:66], -v[89:90]
	v_fma_f64 v[99:100], v[101:102], v[97:98], v[99:100]
	v_add_f64 v[67:68], v[67:68], -v[99:100]
	ds_read2_b64 v[99:102], v125 offset0:72 offset1:73
	s_waitcnt lgkmcnt(0)
	v_mul_f64 v[89:90], v[101:102], v[111:112]
	v_fma_f64 v[89:90], v[99:100], v[97:98], -v[89:90]
	v_mul_f64 v[99:100], v[99:100], v[111:112]
	v_add_f64 v[61:62], v[61:62], -v[89:90]
	v_fma_f64 v[99:100], v[101:102], v[97:98], v[99:100]
	v_add_f64 v[63:64], v[63:64], -v[99:100]
	;; [unrolled: 8-line block ×18, first 2 shown]
.LBB105_271:
	s_or_b64 exec, exec, s[2:3]
	v_cmp_eq_u32_e32 vcc, 30, v0
	s_waitcnt vmcnt(0)
	s_barrier
	s_and_saveexec_b64 s[4:5], vcc
	s_cbranch_execz .LBB105_278
; %bb.272:
	ds_write2_b64 v127, v[113:114], v[115:116] offset1:1
	ds_write2_b64 v125, v[93:94], v[95:96] offset0:62 offset1:63
	buffer_load_dword v77, off, s[20:23], 0 offset:32 ; 4-byte Folded Reload
	buffer_load_dword v78, off, s[20:23], 0 offset:36 ; 4-byte Folded Reload
	;; [unrolled: 1-line block ×4, first 2 shown]
	v_mov_b32_e32 v69, v73
	v_mov_b32_e32 v70, v74
	;; [unrolled: 1-line block ×4, first 2 shown]
	s_waitcnt vmcnt(0)
	ds_write2_b64 v125, v[77:78], v[79:80] offset0:64 offset1:65
	buffer_load_dword v73, off, s[20:23], 0 offset:16 ; 4-byte Folded Reload
	buffer_load_dword v74, off, s[20:23], 0 offset:20 ; 4-byte Folded Reload
	;; [unrolled: 1-line block ×4, first 2 shown]
	s_waitcnt vmcnt(0)
	ds_write2_b64 v125, v[73:74], v[75:76] offset0:66 offset1:67
	v_mov_b32_e32 v76, v72
	v_mov_b32_e32 v75, v71
	;; [unrolled: 1-line block ×4, first 2 shown]
	buffer_load_dword v69, off, s[20:23], 0 ; 4-byte Folded Reload
	buffer_load_dword v70, off, s[20:23], 0 offset:4 ; 4-byte Folded Reload
	buffer_load_dword v71, off, s[20:23], 0 offset:8 ; 4-byte Folded Reload
	;; [unrolled: 1-line block ×3, first 2 shown]
	s_waitcnt vmcnt(0)
	ds_write2_b64 v125, v[69:70], v[71:72] offset0:68 offset1:69
	ds_write2_b64 v125, v[65:66], v[67:68] offset0:70 offset1:71
	;; [unrolled: 1-line block ×19, first 2 shown]
	ds_read2_b64 v[97:100], v127 offset1:1
	s_waitcnt lgkmcnt(0)
	v_cmp_neq_f64_e32 vcc, 0, v[97:98]
	v_cmp_neq_f64_e64 s[2:3], 0, v[99:100]
	s_or_b64 s[2:3], vcc, s[2:3]
	s_and_b64 exec, exec, s[2:3]
	s_cbranch_execz .LBB105_278
; %bb.273:
	v_cmp_ngt_f64_e64 s[2:3], |v[97:98]|, |v[99:100]|
                                        ; implicit-def: $vgpr101_vgpr102
	s_and_saveexec_b64 s[6:7], s[2:3]
	s_xor_b64 s[2:3], exec, s[6:7]
                                        ; implicit-def: $vgpr103_vgpr104
	s_cbranch_execz .LBB105_275
; %bb.274:
	v_div_scale_f64 v[101:102], s[6:7], v[99:100], v[99:100], v[97:98]
	v_rcp_f64_e32 v[103:104], v[101:102]
	v_fma_f64 v[105:106], -v[101:102], v[103:104], 1.0
	v_fma_f64 v[103:104], v[103:104], v[105:106], v[103:104]
	v_div_scale_f64 v[105:106], vcc, v[97:98], v[99:100], v[97:98]
	v_fma_f64 v[107:108], -v[101:102], v[103:104], 1.0
	v_fma_f64 v[103:104], v[103:104], v[107:108], v[103:104]
	v_mul_f64 v[107:108], v[105:106], v[103:104]
	v_fma_f64 v[101:102], -v[101:102], v[107:108], v[105:106]
	v_div_fmas_f64 v[101:102], v[101:102], v[103:104], v[107:108]
	v_div_fixup_f64 v[101:102], v[101:102], v[99:100], v[97:98]
	v_fma_f64 v[97:98], v[97:98], v[101:102], v[99:100]
	v_div_scale_f64 v[99:100], s[6:7], v[97:98], v[97:98], 1.0
	v_div_scale_f64 v[107:108], vcc, 1.0, v[97:98], 1.0
	v_rcp_f64_e32 v[103:104], v[99:100]
	v_fma_f64 v[105:106], -v[99:100], v[103:104], 1.0
	v_fma_f64 v[103:104], v[103:104], v[105:106], v[103:104]
	v_fma_f64 v[105:106], -v[99:100], v[103:104], 1.0
	v_fma_f64 v[103:104], v[103:104], v[105:106], v[103:104]
	v_mul_f64 v[105:106], v[107:108], v[103:104]
	v_fma_f64 v[99:100], -v[99:100], v[105:106], v[107:108]
	v_div_fmas_f64 v[99:100], v[99:100], v[103:104], v[105:106]
	v_div_fixup_f64 v[103:104], v[99:100], v[97:98], 1.0
                                        ; implicit-def: $vgpr97_vgpr98
	v_mul_f64 v[101:102], v[101:102], v[103:104]
	v_xor_b32_e32 v104, 0x80000000, v104
.LBB105_275:
	s_andn2_saveexec_b64 s[2:3], s[2:3]
	s_cbranch_execz .LBB105_277
; %bb.276:
	v_div_scale_f64 v[101:102], s[6:7], v[97:98], v[97:98], v[99:100]
	v_rcp_f64_e32 v[103:104], v[101:102]
	v_fma_f64 v[105:106], -v[101:102], v[103:104], 1.0
	v_fma_f64 v[103:104], v[103:104], v[105:106], v[103:104]
	v_div_scale_f64 v[105:106], vcc, v[99:100], v[97:98], v[99:100]
	v_fma_f64 v[107:108], -v[101:102], v[103:104], 1.0
	v_fma_f64 v[103:104], v[103:104], v[107:108], v[103:104]
	v_mul_f64 v[107:108], v[105:106], v[103:104]
	v_fma_f64 v[101:102], -v[101:102], v[107:108], v[105:106]
	v_div_fmas_f64 v[101:102], v[101:102], v[103:104], v[107:108]
	v_div_fixup_f64 v[103:104], v[101:102], v[97:98], v[99:100]
	v_fma_f64 v[97:98], v[99:100], v[103:104], v[97:98]
	v_div_scale_f64 v[99:100], s[6:7], v[97:98], v[97:98], 1.0
	v_div_scale_f64 v[107:108], vcc, 1.0, v[97:98], 1.0
	v_rcp_f64_e32 v[101:102], v[99:100]
	v_fma_f64 v[105:106], -v[99:100], v[101:102], 1.0
	v_fma_f64 v[101:102], v[101:102], v[105:106], v[101:102]
	v_fma_f64 v[105:106], -v[99:100], v[101:102], 1.0
	v_fma_f64 v[101:102], v[101:102], v[105:106], v[101:102]
	v_mul_f64 v[105:106], v[107:108], v[101:102]
	v_fma_f64 v[99:100], -v[99:100], v[105:106], v[107:108]
	v_div_fmas_f64 v[99:100], v[99:100], v[101:102], v[105:106]
	v_div_fixup_f64 v[101:102], v[99:100], v[97:98], 1.0
	v_mul_f64 v[103:104], v[103:104], -v[101:102]
.LBB105_277:
	s_or_b64 exec, exec, s[2:3]
	ds_write2_b64 v127, v[101:102], v[103:104] offset1:1
.LBB105_278:
	s_or_b64 exec, exec, s[4:5]
	s_waitcnt lgkmcnt(0)
	s_barrier
	ds_read2_b64 v[69:72], v127 offset1:1
	v_cmp_lt_u32_e32 vcc, 30, v0
	s_waitcnt lgkmcnt(0)
	buffer_store_dword v69, off, s[20:23], 0 offset:1376 ; 4-byte Folded Spill
	s_nop 0
	buffer_store_dword v70, off, s[20:23], 0 offset:1380 ; 4-byte Folded Spill
	buffer_store_dword v71, off, s[20:23], 0 offset:1384 ; 4-byte Folded Spill
	;; [unrolled: 1-line block ×3, first 2 shown]
	s_and_saveexec_b64 s[2:3], vcc
	s_cbranch_execz .LBB105_280
; %bb.279:
	buffer_load_dword v69, off, s[20:23], 0 offset:1376 ; 4-byte Folded Reload
	buffer_load_dword v70, off, s[20:23], 0 offset:1380 ; 4-byte Folded Reload
	;; [unrolled: 1-line block ×4, first 2 shown]
	v_mov_b32_e32 v90, v86
	v_mov_b32_e32 v89, v85
	;; [unrolled: 1-line block ×4, first 2 shown]
	ds_read2_b64 v[99:102], v125 offset0:62 offset1:63
	s_waitcnt vmcnt(2)
	v_mul_f64 v[87:88], v[69:70], v[115:116]
	s_waitcnt vmcnt(0)
	v_mul_f64 v[97:98], v[71:72], v[115:116]
	v_fma_f64 v[115:116], v[71:72], v[113:114], v[87:88]
	v_mov_b32_e32 v88, v86
	v_fma_f64 v[97:98], v[69:70], v[113:114], -v[97:98]
	v_mov_b32_e32 v87, v85
	v_mov_b32_e32 v69, v73
	;; [unrolled: 1-line block ×5, first 2 shown]
	s_waitcnt lgkmcnt(0)
	v_mul_f64 v[85:86], v[101:102], v[115:116]
	v_mov_b32_e32 v114, v98
	v_mov_b32_e32 v113, v97
	v_fma_f64 v[85:86], v[99:100], v[97:98], -v[85:86]
	v_mul_f64 v[99:100], v[99:100], v[115:116]
	v_add_f64 v[93:94], v[93:94], -v[85:86]
	v_fma_f64 v[99:100], v[101:102], v[97:98], v[99:100]
	v_add_f64 v[95:96], v[95:96], -v[99:100]
	ds_read2_b64 v[99:102], v125 offset0:64 offset1:65
	buffer_load_dword v77, off, s[20:23], 0 offset:32 ; 4-byte Folded Reload
	buffer_load_dword v78, off, s[20:23], 0 offset:36 ; 4-byte Folded Reload
	;; [unrolled: 1-line block ×4, first 2 shown]
	s_waitcnt lgkmcnt(0)
	v_mul_f64 v[85:86], v[101:102], v[115:116]
	v_fma_f64 v[85:86], v[99:100], v[97:98], -v[85:86]
	v_mul_f64 v[99:100], v[99:100], v[115:116]
	v_fma_f64 v[99:100], v[101:102], v[97:98], v[99:100]
	s_waitcnt vmcnt(2)
	v_add_f64 v[77:78], v[77:78], -v[85:86]
	s_waitcnt vmcnt(0)
	v_add_f64 v[79:80], v[79:80], -v[99:100]
	buffer_store_dword v77, off, s[20:23], 0 offset:32 ; 4-byte Folded Spill
	s_nop 0
	buffer_store_dword v78, off, s[20:23], 0 offset:36 ; 4-byte Folded Spill
	buffer_store_dword v79, off, s[20:23], 0 offset:40 ; 4-byte Folded Spill
	;; [unrolled: 1-line block ×3, first 2 shown]
	ds_read2_b64 v[99:102], v125 offset0:66 offset1:67
	buffer_load_dword v73, off, s[20:23], 0 offset:16 ; 4-byte Folded Reload
	buffer_load_dword v74, off, s[20:23], 0 offset:20 ; 4-byte Folded Reload
	;; [unrolled: 1-line block ×4, first 2 shown]
	s_waitcnt lgkmcnt(0)
	v_mul_f64 v[85:86], v[101:102], v[115:116]
	v_fma_f64 v[85:86], v[99:100], v[97:98], -v[85:86]
	v_mul_f64 v[99:100], v[99:100], v[115:116]
	v_fma_f64 v[99:100], v[101:102], v[97:98], v[99:100]
	s_waitcnt vmcnt(2)
	v_add_f64 v[73:74], v[73:74], -v[85:86]
	s_waitcnt vmcnt(0)
	v_add_f64 v[75:76], v[75:76], -v[99:100]
	buffer_store_dword v73, off, s[20:23], 0 offset:16 ; 4-byte Folded Spill
	s_nop 0
	buffer_store_dword v74, off, s[20:23], 0 offset:20 ; 4-byte Folded Spill
	buffer_store_dword v75, off, s[20:23], 0 offset:24 ; 4-byte Folded Spill
	;; [unrolled: 1-line block ×3, first 2 shown]
	v_mov_b32_e32 v76, v72
	v_mov_b32_e32 v75, v71
	;; [unrolled: 1-line block ×4, first 2 shown]
	ds_read2_b64 v[99:102], v125 offset0:68 offset1:69
	buffer_load_dword v69, off, s[20:23], 0 ; 4-byte Folded Reload
	buffer_load_dword v70, off, s[20:23], 0 offset:4 ; 4-byte Folded Reload
	buffer_load_dword v71, off, s[20:23], 0 offset:8 ; 4-byte Folded Reload
	;; [unrolled: 1-line block ×3, first 2 shown]
	s_waitcnt lgkmcnt(0)
	v_mul_f64 v[85:86], v[101:102], v[115:116]
	v_fma_f64 v[85:86], v[99:100], v[97:98], -v[85:86]
	v_mul_f64 v[99:100], v[99:100], v[115:116]
	v_fma_f64 v[99:100], v[101:102], v[97:98], v[99:100]
	s_waitcnt vmcnt(2)
	v_add_f64 v[69:70], v[69:70], -v[85:86]
	s_waitcnt vmcnt(0)
	v_add_f64 v[71:72], v[71:72], -v[99:100]
	buffer_store_dword v69, off, s[20:23], 0 ; 4-byte Folded Spill
	s_nop 0
	buffer_store_dword v70, off, s[20:23], 0 offset:4 ; 4-byte Folded Spill
	buffer_store_dword v71, off, s[20:23], 0 offset:8 ; 4-byte Folded Spill
	;; [unrolled: 1-line block ×3, first 2 shown]
	ds_read2_b64 v[99:102], v125 offset0:70 offset1:71
	s_waitcnt lgkmcnt(0)
	v_mul_f64 v[85:86], v[101:102], v[115:116]
	v_fma_f64 v[85:86], v[99:100], v[97:98], -v[85:86]
	v_mul_f64 v[99:100], v[99:100], v[115:116]
	v_add_f64 v[65:66], v[65:66], -v[85:86]
	v_fma_f64 v[99:100], v[101:102], v[97:98], v[99:100]
	v_add_f64 v[67:68], v[67:68], -v[99:100]
	ds_read2_b64 v[99:102], v125 offset0:72 offset1:73
	s_waitcnt lgkmcnt(0)
	v_mul_f64 v[85:86], v[101:102], v[115:116]
	v_fma_f64 v[85:86], v[99:100], v[97:98], -v[85:86]
	v_mul_f64 v[99:100], v[99:100], v[115:116]
	v_add_f64 v[61:62], v[61:62], -v[85:86]
	v_fma_f64 v[99:100], v[101:102], v[97:98], v[99:100]
	v_add_f64 v[63:64], v[63:64], -v[99:100]
	;; [unrolled: 8-line block ×17, first 2 shown]
	ds_read2_b64 v[99:102], v125 offset0:104 offset1:105
	s_waitcnt lgkmcnt(0)
	v_mul_f64 v[85:86], v[101:102], v[115:116]
	v_fma_f64 v[85:86], v[99:100], v[97:98], -v[85:86]
	v_mul_f64 v[99:100], v[99:100], v[115:116]
	v_add_f64 v[73:74], v[73:74], -v[85:86]
	v_fma_f64 v[99:100], v[101:102], v[97:98], v[99:100]
	v_mov_b32_e32 v85, v89
	v_mov_b32_e32 v86, v90
	v_add_f64 v[75:76], v[75:76], -v[99:100]
.LBB105_280:
	s_or_b64 exec, exec, s[2:3]
	v_cmp_eq_u32_e32 vcc, 31, v0
	s_waitcnt vmcnt(0)
	s_barrier
	s_and_saveexec_b64 s[4:5], vcc
	s_cbranch_execz .LBB105_287
; %bb.281:
	ds_write2_b64 v127, v[93:94], v[95:96] offset1:1
	buffer_load_dword v77, off, s[20:23], 0 offset:32 ; 4-byte Folded Reload
	buffer_load_dword v78, off, s[20:23], 0 offset:36 ; 4-byte Folded Reload
	;; [unrolled: 1-line block ×4, first 2 shown]
	v_mov_b32_e32 v69, v73
	v_mov_b32_e32 v70, v74
	;; [unrolled: 1-line block ×4, first 2 shown]
	s_waitcnt vmcnt(0)
	ds_write2_b64 v125, v[77:78], v[79:80] offset0:64 offset1:65
	buffer_load_dword v73, off, s[20:23], 0 offset:16 ; 4-byte Folded Reload
	buffer_load_dword v74, off, s[20:23], 0 offset:20 ; 4-byte Folded Reload
	;; [unrolled: 1-line block ×4, first 2 shown]
	s_waitcnt vmcnt(0)
	ds_write2_b64 v125, v[73:74], v[75:76] offset0:66 offset1:67
	v_mov_b32_e32 v76, v72
	v_mov_b32_e32 v75, v71
	;; [unrolled: 1-line block ×4, first 2 shown]
	buffer_load_dword v69, off, s[20:23], 0 ; 4-byte Folded Reload
	buffer_load_dword v70, off, s[20:23], 0 offset:4 ; 4-byte Folded Reload
	buffer_load_dword v71, off, s[20:23], 0 offset:8 ; 4-byte Folded Reload
	;; [unrolled: 1-line block ×3, first 2 shown]
	s_waitcnt vmcnt(0)
	ds_write2_b64 v125, v[69:70], v[71:72] offset0:68 offset1:69
	ds_write2_b64 v125, v[65:66], v[67:68] offset0:70 offset1:71
	;; [unrolled: 1-line block ×19, first 2 shown]
	ds_read2_b64 v[97:100], v127 offset1:1
	s_waitcnt lgkmcnt(0)
	v_cmp_neq_f64_e32 vcc, 0, v[97:98]
	v_cmp_neq_f64_e64 s[2:3], 0, v[99:100]
	s_or_b64 s[2:3], vcc, s[2:3]
	s_and_b64 exec, exec, s[2:3]
	s_cbranch_execz .LBB105_287
; %bb.282:
	v_cmp_ngt_f64_e64 s[2:3], |v[97:98]|, |v[99:100]|
                                        ; implicit-def: $vgpr101_vgpr102
	s_and_saveexec_b64 s[6:7], s[2:3]
	s_xor_b64 s[2:3], exec, s[6:7]
                                        ; implicit-def: $vgpr103_vgpr104
	s_cbranch_execz .LBB105_284
; %bb.283:
	v_div_scale_f64 v[101:102], s[6:7], v[99:100], v[99:100], v[97:98]
	v_rcp_f64_e32 v[103:104], v[101:102]
	v_fma_f64 v[105:106], -v[101:102], v[103:104], 1.0
	v_fma_f64 v[103:104], v[103:104], v[105:106], v[103:104]
	v_div_scale_f64 v[105:106], vcc, v[97:98], v[99:100], v[97:98]
	v_fma_f64 v[107:108], -v[101:102], v[103:104], 1.0
	v_fma_f64 v[103:104], v[103:104], v[107:108], v[103:104]
	v_mul_f64 v[107:108], v[105:106], v[103:104]
	v_fma_f64 v[101:102], -v[101:102], v[107:108], v[105:106]
	v_div_fmas_f64 v[101:102], v[101:102], v[103:104], v[107:108]
	v_div_fixup_f64 v[101:102], v[101:102], v[99:100], v[97:98]
	v_fma_f64 v[97:98], v[97:98], v[101:102], v[99:100]
	v_div_scale_f64 v[99:100], s[6:7], v[97:98], v[97:98], 1.0
	v_div_scale_f64 v[107:108], vcc, 1.0, v[97:98], 1.0
	v_rcp_f64_e32 v[103:104], v[99:100]
	v_fma_f64 v[105:106], -v[99:100], v[103:104], 1.0
	v_fma_f64 v[103:104], v[103:104], v[105:106], v[103:104]
	v_fma_f64 v[105:106], -v[99:100], v[103:104], 1.0
	v_fma_f64 v[103:104], v[103:104], v[105:106], v[103:104]
	v_mul_f64 v[105:106], v[107:108], v[103:104]
	v_fma_f64 v[99:100], -v[99:100], v[105:106], v[107:108]
	v_div_fmas_f64 v[99:100], v[99:100], v[103:104], v[105:106]
	v_div_fixup_f64 v[103:104], v[99:100], v[97:98], 1.0
                                        ; implicit-def: $vgpr97_vgpr98
	v_mul_f64 v[101:102], v[101:102], v[103:104]
	v_xor_b32_e32 v104, 0x80000000, v104
.LBB105_284:
	s_andn2_saveexec_b64 s[2:3], s[2:3]
	s_cbranch_execz .LBB105_286
; %bb.285:
	v_div_scale_f64 v[101:102], s[6:7], v[97:98], v[97:98], v[99:100]
	v_rcp_f64_e32 v[103:104], v[101:102]
	v_fma_f64 v[105:106], -v[101:102], v[103:104], 1.0
	v_fma_f64 v[103:104], v[103:104], v[105:106], v[103:104]
	v_div_scale_f64 v[105:106], vcc, v[99:100], v[97:98], v[99:100]
	v_fma_f64 v[107:108], -v[101:102], v[103:104], 1.0
	v_fma_f64 v[103:104], v[103:104], v[107:108], v[103:104]
	v_mul_f64 v[107:108], v[105:106], v[103:104]
	v_fma_f64 v[101:102], -v[101:102], v[107:108], v[105:106]
	v_div_fmas_f64 v[101:102], v[101:102], v[103:104], v[107:108]
	v_div_fixup_f64 v[103:104], v[101:102], v[97:98], v[99:100]
	v_fma_f64 v[97:98], v[99:100], v[103:104], v[97:98]
	v_div_scale_f64 v[99:100], s[6:7], v[97:98], v[97:98], 1.0
	v_div_scale_f64 v[107:108], vcc, 1.0, v[97:98], 1.0
	v_rcp_f64_e32 v[101:102], v[99:100]
	v_fma_f64 v[105:106], -v[99:100], v[101:102], 1.0
	v_fma_f64 v[101:102], v[101:102], v[105:106], v[101:102]
	v_fma_f64 v[105:106], -v[99:100], v[101:102], 1.0
	v_fma_f64 v[101:102], v[101:102], v[105:106], v[101:102]
	v_mul_f64 v[105:106], v[107:108], v[101:102]
	v_fma_f64 v[99:100], -v[99:100], v[105:106], v[107:108]
	v_div_fmas_f64 v[99:100], v[99:100], v[101:102], v[105:106]
	v_div_fixup_f64 v[101:102], v[99:100], v[97:98], 1.0
	v_mul_f64 v[103:104], v[103:104], -v[101:102]
.LBB105_286:
	s_or_b64 exec, exec, s[2:3]
	ds_write2_b64 v127, v[101:102], v[103:104] offset1:1
.LBB105_287:
	s_or_b64 exec, exec, s[4:5]
	s_waitcnt lgkmcnt(0)
	s_barrier
	ds_read2_b64 v[69:72], v127 offset1:1
	v_cmp_lt_u32_e32 vcc, 31, v0
	s_waitcnt lgkmcnt(0)
	buffer_store_dword v69, off, s[20:23], 0 offset:1392 ; 4-byte Folded Spill
	s_nop 0
	buffer_store_dword v70, off, s[20:23], 0 offset:1396 ; 4-byte Folded Spill
	buffer_store_dword v71, off, s[20:23], 0 offset:1400 ; 4-byte Folded Spill
	buffer_store_dword v72, off, s[20:23], 0 offset:1404 ; 4-byte Folded Spill
	s_and_saveexec_b64 s[2:3], vcc
	s_cbranch_execz .LBB105_289
; %bb.288:
	buffer_load_dword v69, off, s[20:23], 0 offset:1392 ; 4-byte Folded Reload
	buffer_load_dword v70, off, s[20:23], 0 offset:1396 ; 4-byte Folded Reload
	;; [unrolled: 1-line block ×4, first 2 shown]
	ds_read2_b64 v[99:102], v125 offset0:64 offset1:65
	buffer_load_dword v77, off, s[20:23], 0 offset:32 ; 4-byte Folded Reload
	buffer_load_dword v78, off, s[20:23], 0 offset:36 ; 4-byte Folded Reload
	;; [unrolled: 1-line block ×4, first 2 shown]
	v_mov_b32_e32 v90, v82
	v_mov_b32_e32 v89, v81
	s_waitcnt vmcnt(6)
	v_mul_f64 v[83:84], v[69:70], v[95:96]
	s_waitcnt vmcnt(4)
	v_mul_f64 v[97:98], v[71:72], v[95:96]
	v_fma_f64 v[95:96], v[71:72], v[93:94], v[83:84]
	v_fma_f64 v[97:98], v[69:70], v[93:94], -v[97:98]
	v_mov_b32_e32 v69, v73
	v_mov_b32_e32 v70, v74
	;; [unrolled: 1-line block ×4, first 2 shown]
	s_waitcnt lgkmcnt(0)
	v_mul_f64 v[81:82], v[101:102], v[95:96]
	v_mov_b32_e32 v93, v97
	v_mov_b32_e32 v94, v98
	v_fma_f64 v[81:82], v[99:100], v[97:98], -v[81:82]
	v_mul_f64 v[99:100], v[99:100], v[95:96]
	s_waitcnt vmcnt(2)
	v_add_f64 v[77:78], v[77:78], -v[81:82]
	v_fma_f64 v[99:100], v[101:102], v[97:98], v[99:100]
	s_waitcnt vmcnt(0)
	v_add_f64 v[79:80], v[79:80], -v[99:100]
	buffer_store_dword v77, off, s[20:23], 0 offset:32 ; 4-byte Folded Spill
	s_nop 0
	buffer_store_dword v78, off, s[20:23], 0 offset:36 ; 4-byte Folded Spill
	buffer_store_dword v79, off, s[20:23], 0 offset:40 ; 4-byte Folded Spill
	;; [unrolled: 1-line block ×3, first 2 shown]
	ds_read2_b64 v[99:102], v125 offset0:66 offset1:67
	buffer_load_dword v73, off, s[20:23], 0 offset:16 ; 4-byte Folded Reload
	buffer_load_dword v74, off, s[20:23], 0 offset:20 ; 4-byte Folded Reload
	;; [unrolled: 1-line block ×4, first 2 shown]
	s_waitcnt lgkmcnt(0)
	v_mul_f64 v[81:82], v[101:102], v[95:96]
	v_fma_f64 v[81:82], v[99:100], v[97:98], -v[81:82]
	v_mul_f64 v[99:100], v[99:100], v[95:96]
	v_fma_f64 v[99:100], v[101:102], v[97:98], v[99:100]
	s_waitcnt vmcnt(2)
	v_add_f64 v[73:74], v[73:74], -v[81:82]
	s_waitcnt vmcnt(0)
	v_add_f64 v[75:76], v[75:76], -v[99:100]
	buffer_store_dword v73, off, s[20:23], 0 offset:16 ; 4-byte Folded Spill
	s_nop 0
	buffer_store_dword v74, off, s[20:23], 0 offset:20 ; 4-byte Folded Spill
	buffer_store_dword v75, off, s[20:23], 0 offset:24 ; 4-byte Folded Spill
	;; [unrolled: 1-line block ×3, first 2 shown]
	v_mov_b32_e32 v76, v72
	v_mov_b32_e32 v75, v71
	;; [unrolled: 1-line block ×4, first 2 shown]
	ds_read2_b64 v[99:102], v125 offset0:68 offset1:69
	buffer_load_dword v69, off, s[20:23], 0 ; 4-byte Folded Reload
	buffer_load_dword v70, off, s[20:23], 0 offset:4 ; 4-byte Folded Reload
	buffer_load_dword v71, off, s[20:23], 0 offset:8 ; 4-byte Folded Reload
	;; [unrolled: 1-line block ×3, first 2 shown]
	s_waitcnt lgkmcnt(0)
	v_mul_f64 v[81:82], v[101:102], v[95:96]
	v_fma_f64 v[81:82], v[99:100], v[97:98], -v[81:82]
	v_mul_f64 v[99:100], v[99:100], v[95:96]
	v_fma_f64 v[99:100], v[101:102], v[97:98], v[99:100]
	s_waitcnt vmcnt(2)
	v_add_f64 v[69:70], v[69:70], -v[81:82]
	s_waitcnt vmcnt(0)
	v_add_f64 v[71:72], v[71:72], -v[99:100]
	buffer_store_dword v69, off, s[20:23], 0 ; 4-byte Folded Spill
	s_nop 0
	buffer_store_dword v70, off, s[20:23], 0 offset:4 ; 4-byte Folded Spill
	buffer_store_dword v71, off, s[20:23], 0 offset:8 ; 4-byte Folded Spill
	;; [unrolled: 1-line block ×3, first 2 shown]
	ds_read2_b64 v[99:102], v125 offset0:70 offset1:71
	s_waitcnt lgkmcnt(0)
	v_mul_f64 v[81:82], v[101:102], v[95:96]
	v_fma_f64 v[81:82], v[99:100], v[97:98], -v[81:82]
	v_mul_f64 v[99:100], v[99:100], v[95:96]
	v_add_f64 v[65:66], v[65:66], -v[81:82]
	v_fma_f64 v[99:100], v[101:102], v[97:98], v[99:100]
	v_add_f64 v[67:68], v[67:68], -v[99:100]
	ds_read2_b64 v[99:102], v125 offset0:72 offset1:73
	s_waitcnt lgkmcnt(0)
	v_mul_f64 v[81:82], v[101:102], v[95:96]
	v_fma_f64 v[81:82], v[99:100], v[97:98], -v[81:82]
	v_mul_f64 v[99:100], v[99:100], v[95:96]
	v_add_f64 v[61:62], v[61:62], -v[81:82]
	v_fma_f64 v[99:100], v[101:102], v[97:98], v[99:100]
	v_add_f64 v[63:64], v[63:64], -v[99:100]
	;; [unrolled: 8-line block ×17, first 2 shown]
	ds_read2_b64 v[99:102], v125 offset0:104 offset1:105
	s_waitcnt lgkmcnt(0)
	v_mul_f64 v[81:82], v[101:102], v[95:96]
	v_fma_f64 v[81:82], v[99:100], v[97:98], -v[81:82]
	v_mul_f64 v[99:100], v[99:100], v[95:96]
	v_add_f64 v[73:74], v[73:74], -v[81:82]
	v_fma_f64 v[99:100], v[101:102], v[97:98], v[99:100]
	v_mov_b32_e32 v81, v89
	v_mov_b32_e32 v82, v90
	v_add_f64 v[75:76], v[75:76], -v[99:100]
.LBB105_289:
	s_or_b64 exec, exec, s[2:3]
	v_cmp_eq_u32_e32 vcc, 32, v0
	s_waitcnt vmcnt(0)
	s_barrier
	s_and_saveexec_b64 s[4:5], vcc
	s_cbranch_execz .LBB105_296
; %bb.290:
	buffer_load_dword v77, off, s[20:23], 0 offset:32 ; 4-byte Folded Reload
	buffer_load_dword v78, off, s[20:23], 0 offset:36 ; 4-byte Folded Reload
	;; [unrolled: 1-line block ×4, first 2 shown]
	v_mov_b32_e32 v69, v73
	v_mov_b32_e32 v70, v74
	;; [unrolled: 1-line block ×4, first 2 shown]
	s_waitcnt vmcnt(0)
	ds_write2_b64 v127, v[77:78], v[79:80] offset1:1
	buffer_load_dword v73, off, s[20:23], 0 offset:16 ; 4-byte Folded Reload
	buffer_load_dword v74, off, s[20:23], 0 offset:20 ; 4-byte Folded Reload
	;; [unrolled: 1-line block ×4, first 2 shown]
	s_waitcnt vmcnt(0)
	ds_write2_b64 v125, v[73:74], v[75:76] offset0:66 offset1:67
	v_mov_b32_e32 v76, v72
	v_mov_b32_e32 v75, v71
	;; [unrolled: 1-line block ×4, first 2 shown]
	buffer_load_dword v69, off, s[20:23], 0 ; 4-byte Folded Reload
	buffer_load_dword v70, off, s[20:23], 0 offset:4 ; 4-byte Folded Reload
	buffer_load_dword v71, off, s[20:23], 0 offset:8 ; 4-byte Folded Reload
	;; [unrolled: 1-line block ×3, first 2 shown]
	s_waitcnt vmcnt(0)
	ds_write2_b64 v125, v[69:70], v[71:72] offset0:68 offset1:69
	ds_write2_b64 v125, v[65:66], v[67:68] offset0:70 offset1:71
	;; [unrolled: 1-line block ×19, first 2 shown]
	ds_read2_b64 v[97:100], v127 offset1:1
	s_waitcnt lgkmcnt(0)
	v_cmp_neq_f64_e32 vcc, 0, v[97:98]
	v_cmp_neq_f64_e64 s[2:3], 0, v[99:100]
	s_or_b64 s[2:3], vcc, s[2:3]
	s_and_b64 exec, exec, s[2:3]
	s_cbranch_execz .LBB105_296
; %bb.291:
	v_cmp_ngt_f64_e64 s[2:3], |v[97:98]|, |v[99:100]|
                                        ; implicit-def: $vgpr101_vgpr102
	s_and_saveexec_b64 s[6:7], s[2:3]
	s_xor_b64 s[2:3], exec, s[6:7]
                                        ; implicit-def: $vgpr103_vgpr104
	s_cbranch_execz .LBB105_293
; %bb.292:
	v_div_scale_f64 v[101:102], s[6:7], v[99:100], v[99:100], v[97:98]
	v_rcp_f64_e32 v[103:104], v[101:102]
	v_fma_f64 v[105:106], -v[101:102], v[103:104], 1.0
	v_fma_f64 v[103:104], v[103:104], v[105:106], v[103:104]
	v_div_scale_f64 v[105:106], vcc, v[97:98], v[99:100], v[97:98]
	v_fma_f64 v[107:108], -v[101:102], v[103:104], 1.0
	v_fma_f64 v[103:104], v[103:104], v[107:108], v[103:104]
	v_mul_f64 v[107:108], v[105:106], v[103:104]
	v_fma_f64 v[101:102], -v[101:102], v[107:108], v[105:106]
	v_div_fmas_f64 v[101:102], v[101:102], v[103:104], v[107:108]
	v_div_fixup_f64 v[101:102], v[101:102], v[99:100], v[97:98]
	v_fma_f64 v[97:98], v[97:98], v[101:102], v[99:100]
	v_div_scale_f64 v[99:100], s[6:7], v[97:98], v[97:98], 1.0
	v_div_scale_f64 v[107:108], vcc, 1.0, v[97:98], 1.0
	v_rcp_f64_e32 v[103:104], v[99:100]
	v_fma_f64 v[105:106], -v[99:100], v[103:104], 1.0
	v_fma_f64 v[103:104], v[103:104], v[105:106], v[103:104]
	v_fma_f64 v[105:106], -v[99:100], v[103:104], 1.0
	v_fma_f64 v[103:104], v[103:104], v[105:106], v[103:104]
	v_mul_f64 v[105:106], v[107:108], v[103:104]
	v_fma_f64 v[99:100], -v[99:100], v[105:106], v[107:108]
	v_div_fmas_f64 v[99:100], v[99:100], v[103:104], v[105:106]
	v_div_fixup_f64 v[103:104], v[99:100], v[97:98], 1.0
                                        ; implicit-def: $vgpr97_vgpr98
	v_mul_f64 v[101:102], v[101:102], v[103:104]
	v_xor_b32_e32 v104, 0x80000000, v104
.LBB105_293:
	s_andn2_saveexec_b64 s[2:3], s[2:3]
	s_cbranch_execz .LBB105_295
; %bb.294:
	v_div_scale_f64 v[101:102], s[6:7], v[97:98], v[97:98], v[99:100]
	v_rcp_f64_e32 v[103:104], v[101:102]
	v_fma_f64 v[105:106], -v[101:102], v[103:104], 1.0
	v_fma_f64 v[103:104], v[103:104], v[105:106], v[103:104]
	v_div_scale_f64 v[105:106], vcc, v[99:100], v[97:98], v[99:100]
	v_fma_f64 v[107:108], -v[101:102], v[103:104], 1.0
	v_fma_f64 v[103:104], v[103:104], v[107:108], v[103:104]
	v_mul_f64 v[107:108], v[105:106], v[103:104]
	v_fma_f64 v[101:102], -v[101:102], v[107:108], v[105:106]
	v_div_fmas_f64 v[101:102], v[101:102], v[103:104], v[107:108]
	v_div_fixup_f64 v[103:104], v[101:102], v[97:98], v[99:100]
	v_fma_f64 v[97:98], v[99:100], v[103:104], v[97:98]
	v_div_scale_f64 v[99:100], s[6:7], v[97:98], v[97:98], 1.0
	v_div_scale_f64 v[107:108], vcc, 1.0, v[97:98], 1.0
	v_rcp_f64_e32 v[101:102], v[99:100]
	v_fma_f64 v[105:106], -v[99:100], v[101:102], 1.0
	v_fma_f64 v[101:102], v[101:102], v[105:106], v[101:102]
	v_fma_f64 v[105:106], -v[99:100], v[101:102], 1.0
	v_fma_f64 v[101:102], v[101:102], v[105:106], v[101:102]
	v_mul_f64 v[105:106], v[107:108], v[101:102]
	v_fma_f64 v[99:100], -v[99:100], v[105:106], v[107:108]
	v_div_fmas_f64 v[99:100], v[99:100], v[101:102], v[105:106]
	v_div_fixup_f64 v[101:102], v[99:100], v[97:98], 1.0
	v_mul_f64 v[103:104], v[103:104], -v[101:102]
.LBB105_295:
	s_or_b64 exec, exec, s[2:3]
	ds_write2_b64 v127, v[101:102], v[103:104] offset1:1
.LBB105_296:
	s_or_b64 exec, exec, s[4:5]
	s_waitcnt lgkmcnt(0)
	s_barrier
	ds_read2_b64 v[69:72], v127 offset1:1
	v_cmp_lt_u32_e32 vcc, 32, v0
	s_waitcnt lgkmcnt(0)
	buffer_store_dword v69, off, s[20:23], 0 offset:1408 ; 4-byte Folded Spill
	s_nop 0
	buffer_store_dword v70, off, s[20:23], 0 offset:1412 ; 4-byte Folded Spill
	buffer_store_dword v71, off, s[20:23], 0 offset:1416 ; 4-byte Folded Spill
	;; [unrolled: 1-line block ×3, first 2 shown]
	s_and_saveexec_b64 s[2:3], vcc
	s_cbranch_execz .LBB105_298
; %bb.297:
	buffer_load_dword v77, off, s[20:23], 0 offset:32 ; 4-byte Folded Reload
	buffer_load_dword v78, off, s[20:23], 0 offset:36 ; 4-byte Folded Reload
	;; [unrolled: 1-line block ×8, first 2 shown]
	ds_read2_b64 v[99:102], v125 offset0:66 offset1:67
	s_waitcnt vmcnt(0)
	v_mul_f64 v[97:98], v[71:72], v[79:80]
	v_mul_f64 v[79:80], v[69:70], v[79:80]
	v_fma_f64 v[97:98], v[69:70], v[77:78], -v[97:98]
	v_fma_f64 v[79:80], v[71:72], v[77:78], v[79:80]
	v_mov_b32_e32 v69, v73
	v_mov_b32_e32 v70, v74
	;; [unrolled: 1-line block ×4, first 2 shown]
	buffer_load_dword v73, off, s[20:23], 0 offset:16 ; 4-byte Folded Reload
	buffer_load_dword v74, off, s[20:23], 0 offset:20 ; 4-byte Folded Reload
	;; [unrolled: 1-line block ×4, first 2 shown]
	s_waitcnt lgkmcnt(0)
	v_mul_f64 v[77:78], v[101:102], v[79:80]
	v_fma_f64 v[77:78], v[99:100], v[97:98], -v[77:78]
	v_mul_f64 v[99:100], v[99:100], v[79:80]
	v_fma_f64 v[99:100], v[101:102], v[97:98], v[99:100]
	s_waitcnt vmcnt(2)
	v_add_f64 v[73:74], v[73:74], -v[77:78]
	s_waitcnt vmcnt(0)
	v_add_f64 v[75:76], v[75:76], -v[99:100]
	buffer_store_dword v73, off, s[20:23], 0 offset:16 ; 4-byte Folded Spill
	s_nop 0
	buffer_store_dword v74, off, s[20:23], 0 offset:20 ; 4-byte Folded Spill
	buffer_store_dword v75, off, s[20:23], 0 offset:24 ; 4-byte Folded Spill
	;; [unrolled: 1-line block ×3, first 2 shown]
	v_mov_b32_e32 v76, v72
	v_mov_b32_e32 v75, v71
	;; [unrolled: 1-line block ×4, first 2 shown]
	ds_read2_b64 v[99:102], v125 offset0:68 offset1:69
	buffer_load_dword v69, off, s[20:23], 0 ; 4-byte Folded Reload
	buffer_load_dword v70, off, s[20:23], 0 offset:4 ; 4-byte Folded Reload
	buffer_load_dword v71, off, s[20:23], 0 offset:8 ; 4-byte Folded Reload
	;; [unrolled: 1-line block ×3, first 2 shown]
	s_waitcnt lgkmcnt(0)
	v_mul_f64 v[77:78], v[101:102], v[79:80]
	v_fma_f64 v[77:78], v[99:100], v[97:98], -v[77:78]
	v_mul_f64 v[99:100], v[99:100], v[79:80]
	v_fma_f64 v[99:100], v[101:102], v[97:98], v[99:100]
	s_waitcnt vmcnt(2)
	v_add_f64 v[69:70], v[69:70], -v[77:78]
	s_waitcnt vmcnt(0)
	v_add_f64 v[71:72], v[71:72], -v[99:100]
	buffer_store_dword v69, off, s[20:23], 0 ; 4-byte Folded Spill
	s_nop 0
	buffer_store_dword v70, off, s[20:23], 0 offset:4 ; 4-byte Folded Spill
	buffer_store_dword v71, off, s[20:23], 0 offset:8 ; 4-byte Folded Spill
	;; [unrolled: 1-line block ×3, first 2 shown]
	ds_read2_b64 v[99:102], v125 offset0:70 offset1:71
	s_waitcnt lgkmcnt(0)
	v_mul_f64 v[77:78], v[101:102], v[79:80]
	v_fma_f64 v[77:78], v[99:100], v[97:98], -v[77:78]
	v_mul_f64 v[99:100], v[99:100], v[79:80]
	v_add_f64 v[65:66], v[65:66], -v[77:78]
	v_fma_f64 v[99:100], v[101:102], v[97:98], v[99:100]
	v_add_f64 v[67:68], v[67:68], -v[99:100]
	ds_read2_b64 v[99:102], v125 offset0:72 offset1:73
	s_waitcnt lgkmcnt(0)
	v_mul_f64 v[77:78], v[101:102], v[79:80]
	v_fma_f64 v[77:78], v[99:100], v[97:98], -v[77:78]
	v_mul_f64 v[99:100], v[99:100], v[79:80]
	v_add_f64 v[61:62], v[61:62], -v[77:78]
	v_fma_f64 v[99:100], v[101:102], v[97:98], v[99:100]
	v_add_f64 v[63:64], v[63:64], -v[99:100]
	;; [unrolled: 8-line block ×17, first 2 shown]
	ds_read2_b64 v[99:102], v125 offset0:104 offset1:105
	s_waitcnt lgkmcnt(0)
	v_mul_f64 v[77:78], v[101:102], v[79:80]
	v_fma_f64 v[77:78], v[99:100], v[97:98], -v[77:78]
	v_mul_f64 v[99:100], v[99:100], v[79:80]
	v_add_f64 v[73:74], v[73:74], -v[77:78]
	v_fma_f64 v[99:100], v[101:102], v[97:98], v[99:100]
	v_mov_b32_e32 v77, v97
	v_mov_b32_e32 v78, v98
	buffer_store_dword v77, off, s[20:23], 0 offset:32 ; 4-byte Folded Spill
	s_nop 0
	buffer_store_dword v78, off, s[20:23], 0 offset:36 ; 4-byte Folded Spill
	buffer_store_dword v79, off, s[20:23], 0 offset:40 ; 4-byte Folded Spill
	;; [unrolled: 1-line block ×3, first 2 shown]
	v_add_f64 v[75:76], v[75:76], -v[99:100]
.LBB105_298:
	s_or_b64 exec, exec, s[2:3]
	v_cmp_eq_u32_e32 vcc, 33, v0
	s_waitcnt vmcnt(0)
	s_barrier
	s_and_saveexec_b64 s[4:5], vcc
	s_cbranch_execz .LBB105_305
; %bb.299:
	v_mov_b32_e32 v69, v73
	v_mov_b32_e32 v70, v74
	;; [unrolled: 1-line block ×4, first 2 shown]
	buffer_load_dword v73, off, s[20:23], 0 offset:16 ; 4-byte Folded Reload
	buffer_load_dword v74, off, s[20:23], 0 offset:20 ; 4-byte Folded Reload
	;; [unrolled: 1-line block ×4, first 2 shown]
	s_waitcnt vmcnt(0)
	ds_write2_b64 v127, v[73:74], v[75:76] offset1:1
	v_mov_b32_e32 v76, v72
	v_mov_b32_e32 v75, v71
	v_mov_b32_e32 v74, v70
	v_mov_b32_e32 v73, v69
	buffer_load_dword v69, off, s[20:23], 0 ; 4-byte Folded Reload
	buffer_load_dword v70, off, s[20:23], 0 offset:4 ; 4-byte Folded Reload
	buffer_load_dword v71, off, s[20:23], 0 offset:8 ; 4-byte Folded Reload
	;; [unrolled: 1-line block ×3, first 2 shown]
	s_waitcnt vmcnt(0)
	ds_write2_b64 v125, v[69:70], v[71:72] offset0:68 offset1:69
	ds_write2_b64 v125, v[65:66], v[67:68] offset0:70 offset1:71
	;; [unrolled: 1-line block ×19, first 2 shown]
	ds_read2_b64 v[97:100], v127 offset1:1
	s_waitcnt lgkmcnt(0)
	v_cmp_neq_f64_e32 vcc, 0, v[97:98]
	v_cmp_neq_f64_e64 s[2:3], 0, v[99:100]
	s_or_b64 s[2:3], vcc, s[2:3]
	s_and_b64 exec, exec, s[2:3]
	s_cbranch_execz .LBB105_305
; %bb.300:
	v_cmp_ngt_f64_e64 s[2:3], |v[97:98]|, |v[99:100]|
                                        ; implicit-def: $vgpr101_vgpr102
	s_and_saveexec_b64 s[6:7], s[2:3]
	s_xor_b64 s[2:3], exec, s[6:7]
                                        ; implicit-def: $vgpr103_vgpr104
	s_cbranch_execz .LBB105_302
; %bb.301:
	v_div_scale_f64 v[101:102], s[6:7], v[99:100], v[99:100], v[97:98]
	v_rcp_f64_e32 v[103:104], v[101:102]
	v_fma_f64 v[105:106], -v[101:102], v[103:104], 1.0
	v_fma_f64 v[103:104], v[103:104], v[105:106], v[103:104]
	v_div_scale_f64 v[105:106], vcc, v[97:98], v[99:100], v[97:98]
	v_fma_f64 v[107:108], -v[101:102], v[103:104], 1.0
	v_fma_f64 v[103:104], v[103:104], v[107:108], v[103:104]
	v_mul_f64 v[107:108], v[105:106], v[103:104]
	v_fma_f64 v[101:102], -v[101:102], v[107:108], v[105:106]
	v_div_fmas_f64 v[101:102], v[101:102], v[103:104], v[107:108]
	v_div_fixup_f64 v[101:102], v[101:102], v[99:100], v[97:98]
	v_fma_f64 v[97:98], v[97:98], v[101:102], v[99:100]
	v_div_scale_f64 v[99:100], s[6:7], v[97:98], v[97:98], 1.0
	v_div_scale_f64 v[107:108], vcc, 1.0, v[97:98], 1.0
	v_rcp_f64_e32 v[103:104], v[99:100]
	v_fma_f64 v[105:106], -v[99:100], v[103:104], 1.0
	v_fma_f64 v[103:104], v[103:104], v[105:106], v[103:104]
	v_fma_f64 v[105:106], -v[99:100], v[103:104], 1.0
	v_fma_f64 v[103:104], v[103:104], v[105:106], v[103:104]
	v_mul_f64 v[105:106], v[107:108], v[103:104]
	v_fma_f64 v[99:100], -v[99:100], v[105:106], v[107:108]
	v_div_fmas_f64 v[99:100], v[99:100], v[103:104], v[105:106]
	v_div_fixup_f64 v[103:104], v[99:100], v[97:98], 1.0
                                        ; implicit-def: $vgpr97_vgpr98
	v_mul_f64 v[101:102], v[101:102], v[103:104]
	v_xor_b32_e32 v104, 0x80000000, v104
.LBB105_302:
	s_andn2_saveexec_b64 s[2:3], s[2:3]
	s_cbranch_execz .LBB105_304
; %bb.303:
	v_div_scale_f64 v[101:102], s[6:7], v[97:98], v[97:98], v[99:100]
	v_rcp_f64_e32 v[103:104], v[101:102]
	v_fma_f64 v[105:106], -v[101:102], v[103:104], 1.0
	v_fma_f64 v[103:104], v[103:104], v[105:106], v[103:104]
	v_div_scale_f64 v[105:106], vcc, v[99:100], v[97:98], v[99:100]
	v_fma_f64 v[107:108], -v[101:102], v[103:104], 1.0
	v_fma_f64 v[103:104], v[103:104], v[107:108], v[103:104]
	v_mul_f64 v[107:108], v[105:106], v[103:104]
	v_fma_f64 v[101:102], -v[101:102], v[107:108], v[105:106]
	v_div_fmas_f64 v[101:102], v[101:102], v[103:104], v[107:108]
	v_div_fixup_f64 v[103:104], v[101:102], v[97:98], v[99:100]
	v_fma_f64 v[97:98], v[99:100], v[103:104], v[97:98]
	v_div_scale_f64 v[99:100], s[6:7], v[97:98], v[97:98], 1.0
	v_div_scale_f64 v[107:108], vcc, 1.0, v[97:98], 1.0
	v_rcp_f64_e32 v[101:102], v[99:100]
	v_fma_f64 v[105:106], -v[99:100], v[101:102], 1.0
	v_fma_f64 v[101:102], v[101:102], v[105:106], v[101:102]
	v_fma_f64 v[105:106], -v[99:100], v[101:102], 1.0
	v_fma_f64 v[101:102], v[101:102], v[105:106], v[101:102]
	v_mul_f64 v[105:106], v[107:108], v[101:102]
	v_fma_f64 v[99:100], -v[99:100], v[105:106], v[107:108]
	v_div_fmas_f64 v[99:100], v[99:100], v[101:102], v[105:106]
	v_div_fixup_f64 v[101:102], v[99:100], v[97:98], 1.0
	v_mul_f64 v[103:104], v[103:104], -v[101:102]
.LBB105_304:
	s_or_b64 exec, exec, s[2:3]
	ds_write2_b64 v127, v[101:102], v[103:104] offset1:1
.LBB105_305:
	s_or_b64 exec, exec, s[4:5]
	s_waitcnt lgkmcnt(0)
	s_barrier
	ds_read2_b64 v[69:72], v127 offset1:1
	v_cmp_lt_u32_e32 vcc, 33, v0
	s_waitcnt lgkmcnt(0)
	buffer_store_dword v69, off, s[20:23], 0 offset:1424 ; 4-byte Folded Spill
	s_nop 0
	buffer_store_dword v70, off, s[20:23], 0 offset:1428 ; 4-byte Folded Spill
	buffer_store_dword v71, off, s[20:23], 0 offset:1432 ; 4-byte Folded Spill
	;; [unrolled: 1-line block ×3, first 2 shown]
	s_and_saveexec_b64 s[2:3], vcc
	s_cbranch_execz .LBB105_307
; %bb.306:
	v_mov_b32_e32 v80, v76
	v_mov_b32_e32 v79, v75
	;; [unrolled: 1-line block ×4, first 2 shown]
	buffer_load_dword v73, off, s[20:23], 0 offset:16 ; 4-byte Folded Reload
	buffer_load_dword v74, off, s[20:23], 0 offset:20 ; 4-byte Folded Reload
	buffer_load_dword v75, off, s[20:23], 0 offset:24 ; 4-byte Folded Reload
	buffer_load_dword v76, off, s[20:23], 0 offset:28 ; 4-byte Folded Reload
	buffer_load_dword v69, off, s[20:23], 0 offset:1424 ; 4-byte Folded Reload
	buffer_load_dword v70, off, s[20:23], 0 offset:1428 ; 4-byte Folded Reload
	buffer_load_dword v71, off, s[20:23], 0 offset:1432 ; 4-byte Folded Reload
	buffer_load_dword v72, off, s[20:23], 0 offset:1436 ; 4-byte Folded Reload
	ds_read2_b64 v[99:102], v125 offset0:68 offset1:69
	s_waitcnt vmcnt(0)
	v_mul_f64 v[97:98], v[71:72], v[75:76]
	v_mul_f64 v[75:76], v[69:70], v[75:76]
	v_fma_f64 v[97:98], v[69:70], v[73:74], -v[97:98]
	v_fma_f64 v[75:76], v[71:72], v[73:74], v[75:76]
	buffer_load_dword v69, off, s[20:23], 0 ; 4-byte Folded Reload
	buffer_load_dword v70, off, s[20:23], 0 offset:4 ; 4-byte Folded Reload
	buffer_load_dword v71, off, s[20:23], 0 offset:8 ; 4-byte Folded Reload
	;; [unrolled: 1-line block ×3, first 2 shown]
	s_waitcnt lgkmcnt(0)
	v_mul_f64 v[73:74], v[101:102], v[75:76]
	v_fma_f64 v[73:74], v[99:100], v[97:98], -v[73:74]
	v_mul_f64 v[99:100], v[99:100], v[75:76]
	v_fma_f64 v[99:100], v[101:102], v[97:98], v[99:100]
	s_waitcnt vmcnt(2)
	v_add_f64 v[69:70], v[69:70], -v[73:74]
	s_waitcnt vmcnt(0)
	v_add_f64 v[71:72], v[71:72], -v[99:100]
	buffer_store_dword v69, off, s[20:23], 0 ; 4-byte Folded Spill
	s_nop 0
	buffer_store_dword v70, off, s[20:23], 0 offset:4 ; 4-byte Folded Spill
	buffer_store_dword v71, off, s[20:23], 0 offset:8 ; 4-byte Folded Spill
	;; [unrolled: 1-line block ×3, first 2 shown]
	ds_read2_b64 v[99:102], v125 offset0:70 offset1:71
	s_waitcnt lgkmcnt(0)
	v_mul_f64 v[73:74], v[101:102], v[75:76]
	v_fma_f64 v[73:74], v[99:100], v[97:98], -v[73:74]
	v_mul_f64 v[99:100], v[99:100], v[75:76]
	v_add_f64 v[65:66], v[65:66], -v[73:74]
	v_fma_f64 v[99:100], v[101:102], v[97:98], v[99:100]
	v_add_f64 v[67:68], v[67:68], -v[99:100]
	ds_read2_b64 v[99:102], v125 offset0:72 offset1:73
	s_waitcnt lgkmcnt(0)
	v_mul_f64 v[73:74], v[101:102], v[75:76]
	v_fma_f64 v[73:74], v[99:100], v[97:98], -v[73:74]
	v_mul_f64 v[99:100], v[99:100], v[75:76]
	v_add_f64 v[61:62], v[61:62], -v[73:74]
	v_fma_f64 v[99:100], v[101:102], v[97:98], v[99:100]
	v_add_f64 v[63:64], v[63:64], -v[99:100]
	;; [unrolled: 8-line block ×17, first 2 shown]
	ds_read2_b64 v[99:102], v125 offset0:104 offset1:105
	s_waitcnt lgkmcnt(0)
	v_mul_f64 v[73:74], v[101:102], v[75:76]
	v_fma_f64 v[73:74], v[99:100], v[97:98], -v[73:74]
	v_mul_f64 v[99:100], v[99:100], v[75:76]
	v_add_f64 v[77:78], v[77:78], -v[73:74]
	v_fma_f64 v[99:100], v[101:102], v[97:98], v[99:100]
	v_mov_b32_e32 v73, v97
	v_mov_b32_e32 v74, v98
	buffer_store_dword v73, off, s[20:23], 0 offset:16 ; 4-byte Folded Spill
	s_nop 0
	buffer_store_dword v74, off, s[20:23], 0 offset:20 ; 4-byte Folded Spill
	buffer_store_dword v75, off, s[20:23], 0 offset:24 ; 4-byte Folded Spill
	buffer_store_dword v76, off, s[20:23], 0 offset:28 ; 4-byte Folded Spill
	v_add_f64 v[79:80], v[79:80], -v[99:100]
	v_mov_b32_e32 v73, v77
	v_mov_b32_e32 v74, v78
	;; [unrolled: 1-line block ×4, first 2 shown]
.LBB105_307:
	s_or_b64 exec, exec, s[2:3]
	v_cmp_eq_u32_e32 vcc, 34, v0
	s_waitcnt vmcnt(0)
	s_barrier
	s_and_saveexec_b64 s[4:5], vcc
	s_cbranch_execz .LBB105_314
; %bb.308:
	buffer_load_dword v69, off, s[20:23], 0 ; 4-byte Folded Reload
	buffer_load_dword v70, off, s[20:23], 0 offset:4 ; 4-byte Folded Reload
	buffer_load_dword v71, off, s[20:23], 0 offset:8 ; 4-byte Folded Reload
	buffer_load_dword v72, off, s[20:23], 0 offset:12 ; 4-byte Folded Reload
	s_waitcnt vmcnt(0)
	ds_write2_b64 v127, v[69:70], v[71:72] offset1:1
	ds_write2_b64 v125, v[65:66], v[67:68] offset0:70 offset1:71
	ds_write2_b64 v125, v[61:62], v[63:64] offset0:72 offset1:73
	;; [unrolled: 1-line block ×18, first 2 shown]
	ds_read2_b64 v[97:100], v127 offset1:1
	s_waitcnt lgkmcnt(0)
	v_cmp_neq_f64_e32 vcc, 0, v[97:98]
	v_cmp_neq_f64_e64 s[2:3], 0, v[99:100]
	s_or_b64 s[2:3], vcc, s[2:3]
	s_and_b64 exec, exec, s[2:3]
	s_cbranch_execz .LBB105_314
; %bb.309:
	v_cmp_ngt_f64_e64 s[2:3], |v[97:98]|, |v[99:100]|
                                        ; implicit-def: $vgpr101_vgpr102
	s_and_saveexec_b64 s[6:7], s[2:3]
	s_xor_b64 s[2:3], exec, s[6:7]
                                        ; implicit-def: $vgpr103_vgpr104
	s_cbranch_execz .LBB105_311
; %bb.310:
	v_div_scale_f64 v[101:102], s[6:7], v[99:100], v[99:100], v[97:98]
	v_rcp_f64_e32 v[103:104], v[101:102]
	v_fma_f64 v[105:106], -v[101:102], v[103:104], 1.0
	v_fma_f64 v[103:104], v[103:104], v[105:106], v[103:104]
	v_div_scale_f64 v[105:106], vcc, v[97:98], v[99:100], v[97:98]
	v_fma_f64 v[107:108], -v[101:102], v[103:104], 1.0
	v_fma_f64 v[103:104], v[103:104], v[107:108], v[103:104]
	v_mul_f64 v[107:108], v[105:106], v[103:104]
	v_fma_f64 v[101:102], -v[101:102], v[107:108], v[105:106]
	v_div_fmas_f64 v[101:102], v[101:102], v[103:104], v[107:108]
	v_div_fixup_f64 v[101:102], v[101:102], v[99:100], v[97:98]
	v_fma_f64 v[97:98], v[97:98], v[101:102], v[99:100]
	v_div_scale_f64 v[99:100], s[6:7], v[97:98], v[97:98], 1.0
	v_div_scale_f64 v[107:108], vcc, 1.0, v[97:98], 1.0
	v_rcp_f64_e32 v[103:104], v[99:100]
	v_fma_f64 v[105:106], -v[99:100], v[103:104], 1.0
	v_fma_f64 v[103:104], v[103:104], v[105:106], v[103:104]
	v_fma_f64 v[105:106], -v[99:100], v[103:104], 1.0
	v_fma_f64 v[103:104], v[103:104], v[105:106], v[103:104]
	v_mul_f64 v[105:106], v[107:108], v[103:104]
	v_fma_f64 v[99:100], -v[99:100], v[105:106], v[107:108]
	v_div_fmas_f64 v[99:100], v[99:100], v[103:104], v[105:106]
	v_div_fixup_f64 v[103:104], v[99:100], v[97:98], 1.0
                                        ; implicit-def: $vgpr97_vgpr98
	v_mul_f64 v[101:102], v[101:102], v[103:104]
	v_xor_b32_e32 v104, 0x80000000, v104
.LBB105_311:
	s_andn2_saveexec_b64 s[2:3], s[2:3]
	s_cbranch_execz .LBB105_313
; %bb.312:
	v_div_scale_f64 v[101:102], s[6:7], v[97:98], v[97:98], v[99:100]
	v_rcp_f64_e32 v[103:104], v[101:102]
	v_fma_f64 v[105:106], -v[101:102], v[103:104], 1.0
	v_fma_f64 v[103:104], v[103:104], v[105:106], v[103:104]
	v_div_scale_f64 v[105:106], vcc, v[99:100], v[97:98], v[99:100]
	v_fma_f64 v[107:108], -v[101:102], v[103:104], 1.0
	v_fma_f64 v[103:104], v[103:104], v[107:108], v[103:104]
	v_mul_f64 v[107:108], v[105:106], v[103:104]
	v_fma_f64 v[101:102], -v[101:102], v[107:108], v[105:106]
	v_div_fmas_f64 v[101:102], v[101:102], v[103:104], v[107:108]
	v_div_fixup_f64 v[103:104], v[101:102], v[97:98], v[99:100]
	v_fma_f64 v[97:98], v[99:100], v[103:104], v[97:98]
	v_div_scale_f64 v[99:100], s[6:7], v[97:98], v[97:98], 1.0
	v_div_scale_f64 v[107:108], vcc, 1.0, v[97:98], 1.0
	v_rcp_f64_e32 v[101:102], v[99:100]
	v_fma_f64 v[105:106], -v[99:100], v[101:102], 1.0
	v_fma_f64 v[101:102], v[101:102], v[105:106], v[101:102]
	v_fma_f64 v[105:106], -v[99:100], v[101:102], 1.0
	v_fma_f64 v[101:102], v[101:102], v[105:106], v[101:102]
	v_mul_f64 v[105:106], v[107:108], v[101:102]
	v_fma_f64 v[99:100], -v[99:100], v[105:106], v[107:108]
	v_div_fmas_f64 v[99:100], v[99:100], v[101:102], v[105:106]
	v_div_fixup_f64 v[101:102], v[99:100], v[97:98], 1.0
	v_mul_f64 v[103:104], v[103:104], -v[101:102]
.LBB105_313:
	s_or_b64 exec, exec, s[2:3]
	ds_write2_b64 v127, v[101:102], v[103:104] offset1:1
.LBB105_314:
	s_or_b64 exec, exec, s[4:5]
	s_waitcnt lgkmcnt(0)
	s_barrier
	ds_read2_b64 v[69:72], v127 offset1:1
	v_cmp_lt_u32_e32 vcc, 34, v0
	s_waitcnt lgkmcnt(0)
	buffer_store_dword v69, off, s[20:23], 0 offset:1440 ; 4-byte Folded Spill
	s_nop 0
	buffer_store_dword v70, off, s[20:23], 0 offset:1444 ; 4-byte Folded Spill
	buffer_store_dword v71, off, s[20:23], 0 offset:1448 ; 4-byte Folded Spill
	;; [unrolled: 1-line block ×3, first 2 shown]
	s_and_saveexec_b64 s[2:3], vcc
	s_cbranch_execz .LBB105_316
; %bb.315:
	buffer_load_dword v69, off, s[20:23], 0 ; 4-byte Folded Reload
	buffer_load_dword v70, off, s[20:23], 0 offset:4 ; 4-byte Folded Reload
	buffer_load_dword v71, off, s[20:23], 0 offset:8 ; 4-byte Folded Reload
	;; [unrolled: 1-line block ×7, first 2 shown]
	ds_read2_b64 v[99:102], v125 offset0:70 offset1:71
	s_waitcnt vmcnt(0)
	v_mul_f64 v[97:98], v[79:80], v[71:72]
	v_mul_f64 v[71:72], v[77:78], v[71:72]
	v_fma_f64 v[97:98], v[77:78], v[69:70], -v[97:98]
	v_fma_f64 v[71:72], v[79:80], v[69:70], v[71:72]
	s_waitcnt lgkmcnt(0)
	v_mul_f64 v[69:70], v[101:102], v[71:72]
	v_fma_f64 v[69:70], v[99:100], v[97:98], -v[69:70]
	v_mul_f64 v[99:100], v[99:100], v[71:72]
	v_add_f64 v[65:66], v[65:66], -v[69:70]
	v_fma_f64 v[99:100], v[101:102], v[97:98], v[99:100]
	v_add_f64 v[67:68], v[67:68], -v[99:100]
	ds_read2_b64 v[99:102], v125 offset0:72 offset1:73
	s_waitcnt lgkmcnt(0)
	v_mul_f64 v[69:70], v[101:102], v[71:72]
	v_fma_f64 v[69:70], v[99:100], v[97:98], -v[69:70]
	v_mul_f64 v[99:100], v[99:100], v[71:72]
	v_add_f64 v[61:62], v[61:62], -v[69:70]
	v_fma_f64 v[99:100], v[101:102], v[97:98], v[99:100]
	v_add_f64 v[63:64], v[63:64], -v[99:100]
	ds_read2_b64 v[99:102], v125 offset0:74 offset1:75
	;; [unrolled: 8-line block ×17, first 2 shown]
	s_waitcnt lgkmcnt(0)
	v_mul_f64 v[69:70], v[101:102], v[71:72]
	v_fma_f64 v[69:70], v[99:100], v[97:98], -v[69:70]
	v_mul_f64 v[99:100], v[99:100], v[71:72]
	v_add_f64 v[73:74], v[73:74], -v[69:70]
	v_fma_f64 v[99:100], v[101:102], v[97:98], v[99:100]
	v_mov_b32_e32 v69, v97
	v_mov_b32_e32 v70, v98
	buffer_store_dword v69, off, s[20:23], 0 ; 4-byte Folded Spill
	s_nop 0
	buffer_store_dword v70, off, s[20:23], 0 offset:4 ; 4-byte Folded Spill
	buffer_store_dword v71, off, s[20:23], 0 offset:8 ; 4-byte Folded Spill
	;; [unrolled: 1-line block ×3, first 2 shown]
	v_add_f64 v[75:76], v[75:76], -v[99:100]
.LBB105_316:
	s_or_b64 exec, exec, s[2:3]
	v_cmp_eq_u32_e32 vcc, 35, v0
	s_waitcnt vmcnt(0)
	s_barrier
	s_and_saveexec_b64 s[4:5], vcc
	s_cbranch_execz .LBB105_323
; %bb.317:
	ds_write2_b64 v127, v[65:66], v[67:68] offset1:1
	ds_write2_b64 v125, v[61:62], v[63:64] offset0:72 offset1:73
	ds_write2_b64 v125, v[57:58], v[59:60] offset0:74 offset1:75
	ds_write2_b64 v125, v[53:54], v[55:56] offset0:76 offset1:77
	ds_write2_b64 v125, v[49:50], v[51:52] offset0:78 offset1:79
	ds_write2_b64 v125, v[45:46], v[47:48] offset0:80 offset1:81
	ds_write2_b64 v125, v[41:42], v[43:44] offset0:82 offset1:83
	ds_write2_b64 v125, v[37:38], v[39:40] offset0:84 offset1:85
	ds_write2_b64 v125, v[33:34], v[35:36] offset0:86 offset1:87
	ds_write2_b64 v125, v[29:30], v[31:32] offset0:88 offset1:89
	ds_write2_b64 v125, v[25:26], v[27:28] offset0:90 offset1:91
	ds_write2_b64 v125, v[21:22], v[23:24] offset0:92 offset1:93
	ds_write2_b64 v125, v[17:18], v[19:20] offset0:94 offset1:95
	ds_write2_b64 v125, v[13:14], v[15:16] offset0:96 offset1:97
	ds_write2_b64 v125, v[9:10], v[11:12] offset0:98 offset1:99
	ds_write2_b64 v125, v[5:6], v[7:8] offset0:100 offset1:101
	ds_write2_b64 v125, v[1:2], v[3:4] offset0:102 offset1:103
	ds_write2_b64 v125, v[73:74], v[75:76] offset0:104 offset1:105
	ds_read2_b64 v[97:100], v127 offset1:1
	s_waitcnt lgkmcnt(0)
	v_cmp_neq_f64_e32 vcc, 0, v[97:98]
	v_cmp_neq_f64_e64 s[2:3], 0, v[99:100]
	s_or_b64 s[2:3], vcc, s[2:3]
	s_and_b64 exec, exec, s[2:3]
	s_cbranch_execz .LBB105_323
; %bb.318:
	v_cmp_ngt_f64_e64 s[2:3], |v[97:98]|, |v[99:100]|
                                        ; implicit-def: $vgpr101_vgpr102
	s_and_saveexec_b64 s[6:7], s[2:3]
	s_xor_b64 s[2:3], exec, s[6:7]
                                        ; implicit-def: $vgpr103_vgpr104
	s_cbranch_execz .LBB105_320
; %bb.319:
	v_div_scale_f64 v[101:102], s[6:7], v[99:100], v[99:100], v[97:98]
	v_rcp_f64_e32 v[103:104], v[101:102]
	v_fma_f64 v[105:106], -v[101:102], v[103:104], 1.0
	v_fma_f64 v[103:104], v[103:104], v[105:106], v[103:104]
	v_div_scale_f64 v[105:106], vcc, v[97:98], v[99:100], v[97:98]
	v_fma_f64 v[107:108], -v[101:102], v[103:104], 1.0
	v_fma_f64 v[103:104], v[103:104], v[107:108], v[103:104]
	v_mul_f64 v[107:108], v[105:106], v[103:104]
	v_fma_f64 v[101:102], -v[101:102], v[107:108], v[105:106]
	v_div_fmas_f64 v[101:102], v[101:102], v[103:104], v[107:108]
	v_div_fixup_f64 v[101:102], v[101:102], v[99:100], v[97:98]
	v_fma_f64 v[97:98], v[97:98], v[101:102], v[99:100]
	v_div_scale_f64 v[99:100], s[6:7], v[97:98], v[97:98], 1.0
	v_div_scale_f64 v[107:108], vcc, 1.0, v[97:98], 1.0
	v_rcp_f64_e32 v[103:104], v[99:100]
	v_fma_f64 v[105:106], -v[99:100], v[103:104], 1.0
	v_fma_f64 v[103:104], v[103:104], v[105:106], v[103:104]
	v_fma_f64 v[105:106], -v[99:100], v[103:104], 1.0
	v_fma_f64 v[103:104], v[103:104], v[105:106], v[103:104]
	v_mul_f64 v[105:106], v[107:108], v[103:104]
	v_fma_f64 v[99:100], -v[99:100], v[105:106], v[107:108]
	v_div_fmas_f64 v[99:100], v[99:100], v[103:104], v[105:106]
	v_div_fixup_f64 v[103:104], v[99:100], v[97:98], 1.0
                                        ; implicit-def: $vgpr97_vgpr98
	v_mul_f64 v[101:102], v[101:102], v[103:104]
	v_xor_b32_e32 v104, 0x80000000, v104
.LBB105_320:
	s_andn2_saveexec_b64 s[2:3], s[2:3]
	s_cbranch_execz .LBB105_322
; %bb.321:
	v_div_scale_f64 v[101:102], s[6:7], v[97:98], v[97:98], v[99:100]
	v_rcp_f64_e32 v[103:104], v[101:102]
	v_fma_f64 v[105:106], -v[101:102], v[103:104], 1.0
	v_fma_f64 v[103:104], v[103:104], v[105:106], v[103:104]
	v_div_scale_f64 v[105:106], vcc, v[99:100], v[97:98], v[99:100]
	v_fma_f64 v[107:108], -v[101:102], v[103:104], 1.0
	v_fma_f64 v[103:104], v[103:104], v[107:108], v[103:104]
	v_mul_f64 v[107:108], v[105:106], v[103:104]
	v_fma_f64 v[101:102], -v[101:102], v[107:108], v[105:106]
	v_div_fmas_f64 v[101:102], v[101:102], v[103:104], v[107:108]
	v_div_fixup_f64 v[103:104], v[101:102], v[97:98], v[99:100]
	v_fma_f64 v[97:98], v[99:100], v[103:104], v[97:98]
	v_div_scale_f64 v[99:100], s[6:7], v[97:98], v[97:98], 1.0
	v_div_scale_f64 v[107:108], vcc, 1.0, v[97:98], 1.0
	v_rcp_f64_e32 v[101:102], v[99:100]
	v_fma_f64 v[105:106], -v[99:100], v[101:102], 1.0
	v_fma_f64 v[101:102], v[101:102], v[105:106], v[101:102]
	v_fma_f64 v[105:106], -v[99:100], v[101:102], 1.0
	v_fma_f64 v[101:102], v[101:102], v[105:106], v[101:102]
	v_mul_f64 v[105:106], v[107:108], v[101:102]
	v_fma_f64 v[99:100], -v[99:100], v[105:106], v[107:108]
	v_div_fmas_f64 v[99:100], v[99:100], v[101:102], v[105:106]
	v_div_fixup_f64 v[101:102], v[99:100], v[97:98], 1.0
	v_mul_f64 v[103:104], v[103:104], -v[101:102]
.LBB105_322:
	s_or_b64 exec, exec, s[2:3]
	ds_write2_b64 v127, v[101:102], v[103:104] offset1:1
.LBB105_323:
	s_or_b64 exec, exec, s[4:5]
	s_waitcnt lgkmcnt(0)
	s_barrier
	ds_read2_b64 v[69:72], v127 offset1:1
	v_cmp_lt_u32_e32 vcc, 35, v0
	s_waitcnt lgkmcnt(0)
	buffer_store_dword v69, off, s[20:23], 0 offset:1456 ; 4-byte Folded Spill
	s_nop 0
	buffer_store_dword v70, off, s[20:23], 0 offset:1460 ; 4-byte Folded Spill
	buffer_store_dword v71, off, s[20:23], 0 offset:1464 ; 4-byte Folded Spill
	;; [unrolled: 1-line block ×3, first 2 shown]
	s_and_saveexec_b64 s[2:3], vcc
	s_cbranch_execz .LBB105_325
; %bb.324:
	buffer_load_dword v69, off, s[20:23], 0 offset:1456 ; 4-byte Folded Reload
	buffer_load_dword v70, off, s[20:23], 0 offset:1460 ; 4-byte Folded Reload
	;; [unrolled: 1-line block ×4, first 2 shown]
	ds_read2_b64 v[99:102], v125 offset0:72 offset1:73
	s_waitcnt vmcnt(0)
	v_mul_f64 v[97:98], v[71:72], v[67:68]
	v_mul_f64 v[67:68], v[69:70], v[67:68]
	v_fma_f64 v[97:98], v[69:70], v[65:66], -v[97:98]
	v_fma_f64 v[67:68], v[71:72], v[65:66], v[67:68]
	s_waitcnt lgkmcnt(0)
	v_mul_f64 v[65:66], v[101:102], v[67:68]
	v_fma_f64 v[65:66], v[99:100], v[97:98], -v[65:66]
	v_mul_f64 v[99:100], v[99:100], v[67:68]
	v_add_f64 v[61:62], v[61:62], -v[65:66]
	v_fma_f64 v[99:100], v[101:102], v[97:98], v[99:100]
	v_add_f64 v[63:64], v[63:64], -v[99:100]
	ds_read2_b64 v[99:102], v125 offset0:74 offset1:75
	s_waitcnt lgkmcnt(0)
	v_mul_f64 v[65:66], v[101:102], v[67:68]
	v_fma_f64 v[65:66], v[99:100], v[97:98], -v[65:66]
	v_mul_f64 v[99:100], v[99:100], v[67:68]
	v_add_f64 v[57:58], v[57:58], -v[65:66]
	v_fma_f64 v[99:100], v[101:102], v[97:98], v[99:100]
	v_add_f64 v[59:60], v[59:60], -v[99:100]
	ds_read2_b64 v[99:102], v125 offset0:76 offset1:77
	;; [unrolled: 8-line block ×16, first 2 shown]
	s_waitcnt lgkmcnt(0)
	v_mul_f64 v[65:66], v[101:102], v[67:68]
	v_fma_f64 v[65:66], v[99:100], v[97:98], -v[65:66]
	v_mul_f64 v[99:100], v[99:100], v[67:68]
	v_add_f64 v[73:74], v[73:74], -v[65:66]
	v_fma_f64 v[99:100], v[101:102], v[97:98], v[99:100]
	v_mov_b32_e32 v65, v97
	v_mov_b32_e32 v66, v98
	v_add_f64 v[75:76], v[75:76], -v[99:100]
.LBB105_325:
	s_or_b64 exec, exec, s[2:3]
	v_cmp_eq_u32_e32 vcc, 36, v0
	s_waitcnt vmcnt(0)
	s_barrier
	s_and_saveexec_b64 s[4:5], vcc
	s_cbranch_execz .LBB105_332
; %bb.326:
	ds_write2_b64 v127, v[61:62], v[63:64] offset1:1
	ds_write2_b64 v125, v[57:58], v[59:60] offset0:74 offset1:75
	ds_write2_b64 v125, v[53:54], v[55:56] offset0:76 offset1:77
	;; [unrolled: 1-line block ×16, first 2 shown]
	ds_read2_b64 v[97:100], v127 offset1:1
	s_waitcnt lgkmcnt(0)
	v_cmp_neq_f64_e32 vcc, 0, v[97:98]
	v_cmp_neq_f64_e64 s[2:3], 0, v[99:100]
	s_or_b64 s[2:3], vcc, s[2:3]
	s_and_b64 exec, exec, s[2:3]
	s_cbranch_execz .LBB105_332
; %bb.327:
	v_cmp_ngt_f64_e64 s[2:3], |v[97:98]|, |v[99:100]|
                                        ; implicit-def: $vgpr101_vgpr102
	s_and_saveexec_b64 s[6:7], s[2:3]
	s_xor_b64 s[2:3], exec, s[6:7]
                                        ; implicit-def: $vgpr103_vgpr104
	s_cbranch_execz .LBB105_329
; %bb.328:
	v_div_scale_f64 v[101:102], s[6:7], v[99:100], v[99:100], v[97:98]
	v_rcp_f64_e32 v[103:104], v[101:102]
	v_fma_f64 v[105:106], -v[101:102], v[103:104], 1.0
	v_fma_f64 v[103:104], v[103:104], v[105:106], v[103:104]
	v_div_scale_f64 v[105:106], vcc, v[97:98], v[99:100], v[97:98]
	v_fma_f64 v[107:108], -v[101:102], v[103:104], 1.0
	v_fma_f64 v[103:104], v[103:104], v[107:108], v[103:104]
	v_mul_f64 v[107:108], v[105:106], v[103:104]
	v_fma_f64 v[101:102], -v[101:102], v[107:108], v[105:106]
	v_div_fmas_f64 v[101:102], v[101:102], v[103:104], v[107:108]
	v_div_fixup_f64 v[101:102], v[101:102], v[99:100], v[97:98]
	v_fma_f64 v[97:98], v[97:98], v[101:102], v[99:100]
	v_div_scale_f64 v[99:100], s[6:7], v[97:98], v[97:98], 1.0
	v_div_scale_f64 v[107:108], vcc, 1.0, v[97:98], 1.0
	v_rcp_f64_e32 v[103:104], v[99:100]
	v_fma_f64 v[105:106], -v[99:100], v[103:104], 1.0
	v_fma_f64 v[103:104], v[103:104], v[105:106], v[103:104]
	v_fma_f64 v[105:106], -v[99:100], v[103:104], 1.0
	v_fma_f64 v[103:104], v[103:104], v[105:106], v[103:104]
	v_mul_f64 v[105:106], v[107:108], v[103:104]
	v_fma_f64 v[99:100], -v[99:100], v[105:106], v[107:108]
	v_div_fmas_f64 v[99:100], v[99:100], v[103:104], v[105:106]
	v_div_fixup_f64 v[103:104], v[99:100], v[97:98], 1.0
                                        ; implicit-def: $vgpr97_vgpr98
	v_mul_f64 v[101:102], v[101:102], v[103:104]
	v_xor_b32_e32 v104, 0x80000000, v104
.LBB105_329:
	s_andn2_saveexec_b64 s[2:3], s[2:3]
	s_cbranch_execz .LBB105_331
; %bb.330:
	v_div_scale_f64 v[101:102], s[6:7], v[97:98], v[97:98], v[99:100]
	v_rcp_f64_e32 v[103:104], v[101:102]
	v_fma_f64 v[105:106], -v[101:102], v[103:104], 1.0
	v_fma_f64 v[103:104], v[103:104], v[105:106], v[103:104]
	v_div_scale_f64 v[105:106], vcc, v[99:100], v[97:98], v[99:100]
	v_fma_f64 v[107:108], -v[101:102], v[103:104], 1.0
	v_fma_f64 v[103:104], v[103:104], v[107:108], v[103:104]
	v_mul_f64 v[107:108], v[105:106], v[103:104]
	v_fma_f64 v[101:102], -v[101:102], v[107:108], v[105:106]
	v_div_fmas_f64 v[101:102], v[101:102], v[103:104], v[107:108]
	v_div_fixup_f64 v[103:104], v[101:102], v[97:98], v[99:100]
	v_fma_f64 v[97:98], v[99:100], v[103:104], v[97:98]
	v_div_scale_f64 v[99:100], s[6:7], v[97:98], v[97:98], 1.0
	v_div_scale_f64 v[107:108], vcc, 1.0, v[97:98], 1.0
	v_rcp_f64_e32 v[101:102], v[99:100]
	v_fma_f64 v[105:106], -v[99:100], v[101:102], 1.0
	v_fma_f64 v[101:102], v[101:102], v[105:106], v[101:102]
	v_fma_f64 v[105:106], -v[99:100], v[101:102], 1.0
	v_fma_f64 v[101:102], v[101:102], v[105:106], v[101:102]
	v_mul_f64 v[105:106], v[107:108], v[101:102]
	v_fma_f64 v[99:100], -v[99:100], v[105:106], v[107:108]
	v_div_fmas_f64 v[99:100], v[99:100], v[101:102], v[105:106]
	v_div_fixup_f64 v[101:102], v[99:100], v[97:98], 1.0
	v_mul_f64 v[103:104], v[103:104], -v[101:102]
.LBB105_331:
	s_or_b64 exec, exec, s[2:3]
	ds_write2_b64 v127, v[101:102], v[103:104] offset1:1
.LBB105_332:
	s_or_b64 exec, exec, s[4:5]
	s_waitcnt lgkmcnt(0)
	s_barrier
	ds_read2_b64 v[69:72], v127 offset1:1
	v_cmp_lt_u32_e32 vcc, 36, v0
	s_waitcnt lgkmcnt(0)
	buffer_store_dword v69, off, s[20:23], 0 offset:1472 ; 4-byte Folded Spill
	s_nop 0
	buffer_store_dword v70, off, s[20:23], 0 offset:1476 ; 4-byte Folded Spill
	buffer_store_dword v71, off, s[20:23], 0 offset:1480 ; 4-byte Folded Spill
	;; [unrolled: 1-line block ×3, first 2 shown]
	s_and_saveexec_b64 s[2:3], vcc
	s_cbranch_execz .LBB105_334
; %bb.333:
	buffer_load_dword v69, off, s[20:23], 0 offset:1472 ; 4-byte Folded Reload
	buffer_load_dword v70, off, s[20:23], 0 offset:1476 ; 4-byte Folded Reload
	;; [unrolled: 1-line block ×4, first 2 shown]
	ds_read2_b64 v[99:102], v125 offset0:74 offset1:75
	s_waitcnt vmcnt(2)
	v_mul_f64 v[97:98], v[69:70], v[63:64]
	s_waitcnt vmcnt(0)
	v_mul_f64 v[63:64], v[71:72], v[63:64]
	v_fma_f64 v[97:98], v[71:72], v[61:62], v[97:98]
	v_fma_f64 v[61:62], v[69:70], v[61:62], -v[63:64]
	s_waitcnt lgkmcnt(0)
	v_mul_f64 v[63:64], v[101:102], v[97:98]
	v_fma_f64 v[63:64], v[99:100], v[61:62], -v[63:64]
	v_mul_f64 v[99:100], v[99:100], v[97:98]
	v_add_f64 v[57:58], v[57:58], -v[63:64]
	v_fma_f64 v[99:100], v[101:102], v[61:62], v[99:100]
	v_add_f64 v[59:60], v[59:60], -v[99:100]
	ds_read2_b64 v[99:102], v125 offset0:76 offset1:77
	s_waitcnt lgkmcnt(0)
	v_mul_f64 v[63:64], v[101:102], v[97:98]
	v_fma_f64 v[63:64], v[99:100], v[61:62], -v[63:64]
	v_mul_f64 v[99:100], v[99:100], v[97:98]
	v_add_f64 v[53:54], v[53:54], -v[63:64]
	v_fma_f64 v[99:100], v[101:102], v[61:62], v[99:100]
	v_add_f64 v[55:56], v[55:56], -v[99:100]
	ds_read2_b64 v[99:102], v125 offset0:78 offset1:79
	;; [unrolled: 8-line block ×15, first 2 shown]
	s_waitcnt lgkmcnt(0)
	v_mul_f64 v[63:64], v[101:102], v[97:98]
	v_fma_f64 v[63:64], v[99:100], v[61:62], -v[63:64]
	v_mul_f64 v[99:100], v[99:100], v[97:98]
	v_add_f64 v[73:74], v[73:74], -v[63:64]
	v_fma_f64 v[99:100], v[101:102], v[61:62], v[99:100]
	v_mov_b32_e32 v63, v97
	v_mov_b32_e32 v64, v98
	v_add_f64 v[75:76], v[75:76], -v[99:100]
.LBB105_334:
	s_or_b64 exec, exec, s[2:3]
	v_cmp_eq_u32_e32 vcc, 37, v0
	s_waitcnt vmcnt(0)
	s_barrier
	s_and_saveexec_b64 s[4:5], vcc
	s_cbranch_execz .LBB105_341
; %bb.335:
	ds_write2_b64 v127, v[57:58], v[59:60] offset1:1
	ds_write2_b64 v125, v[53:54], v[55:56] offset0:76 offset1:77
	ds_write2_b64 v125, v[49:50], v[51:52] offset0:78 offset1:79
	;; [unrolled: 1-line block ×15, first 2 shown]
	ds_read2_b64 v[97:100], v127 offset1:1
	s_waitcnt lgkmcnt(0)
	v_cmp_neq_f64_e32 vcc, 0, v[97:98]
	v_cmp_neq_f64_e64 s[2:3], 0, v[99:100]
	s_or_b64 s[2:3], vcc, s[2:3]
	s_and_b64 exec, exec, s[2:3]
	s_cbranch_execz .LBB105_341
; %bb.336:
	v_cmp_ngt_f64_e64 s[2:3], |v[97:98]|, |v[99:100]|
                                        ; implicit-def: $vgpr101_vgpr102
	s_and_saveexec_b64 s[6:7], s[2:3]
	s_xor_b64 s[2:3], exec, s[6:7]
                                        ; implicit-def: $vgpr103_vgpr104
	s_cbranch_execz .LBB105_338
; %bb.337:
	v_div_scale_f64 v[101:102], s[6:7], v[99:100], v[99:100], v[97:98]
	v_rcp_f64_e32 v[103:104], v[101:102]
	v_fma_f64 v[105:106], -v[101:102], v[103:104], 1.0
	v_fma_f64 v[103:104], v[103:104], v[105:106], v[103:104]
	v_div_scale_f64 v[105:106], vcc, v[97:98], v[99:100], v[97:98]
	v_fma_f64 v[107:108], -v[101:102], v[103:104], 1.0
	v_fma_f64 v[103:104], v[103:104], v[107:108], v[103:104]
	v_mul_f64 v[107:108], v[105:106], v[103:104]
	v_fma_f64 v[101:102], -v[101:102], v[107:108], v[105:106]
	v_div_fmas_f64 v[101:102], v[101:102], v[103:104], v[107:108]
	v_div_fixup_f64 v[101:102], v[101:102], v[99:100], v[97:98]
	v_fma_f64 v[97:98], v[97:98], v[101:102], v[99:100]
	v_div_scale_f64 v[99:100], s[6:7], v[97:98], v[97:98], 1.0
	v_div_scale_f64 v[107:108], vcc, 1.0, v[97:98], 1.0
	v_rcp_f64_e32 v[103:104], v[99:100]
	v_fma_f64 v[105:106], -v[99:100], v[103:104], 1.0
	v_fma_f64 v[103:104], v[103:104], v[105:106], v[103:104]
	v_fma_f64 v[105:106], -v[99:100], v[103:104], 1.0
	v_fma_f64 v[103:104], v[103:104], v[105:106], v[103:104]
	v_mul_f64 v[105:106], v[107:108], v[103:104]
	v_fma_f64 v[99:100], -v[99:100], v[105:106], v[107:108]
	v_div_fmas_f64 v[99:100], v[99:100], v[103:104], v[105:106]
	v_div_fixup_f64 v[103:104], v[99:100], v[97:98], 1.0
                                        ; implicit-def: $vgpr97_vgpr98
	v_mul_f64 v[101:102], v[101:102], v[103:104]
	v_xor_b32_e32 v104, 0x80000000, v104
.LBB105_338:
	s_andn2_saveexec_b64 s[2:3], s[2:3]
	s_cbranch_execz .LBB105_340
; %bb.339:
	v_div_scale_f64 v[101:102], s[6:7], v[97:98], v[97:98], v[99:100]
	v_rcp_f64_e32 v[103:104], v[101:102]
	v_fma_f64 v[105:106], -v[101:102], v[103:104], 1.0
	v_fma_f64 v[103:104], v[103:104], v[105:106], v[103:104]
	v_div_scale_f64 v[105:106], vcc, v[99:100], v[97:98], v[99:100]
	v_fma_f64 v[107:108], -v[101:102], v[103:104], 1.0
	v_fma_f64 v[103:104], v[103:104], v[107:108], v[103:104]
	v_mul_f64 v[107:108], v[105:106], v[103:104]
	v_fma_f64 v[101:102], -v[101:102], v[107:108], v[105:106]
	v_div_fmas_f64 v[101:102], v[101:102], v[103:104], v[107:108]
	v_div_fixup_f64 v[103:104], v[101:102], v[97:98], v[99:100]
	v_fma_f64 v[97:98], v[99:100], v[103:104], v[97:98]
	v_div_scale_f64 v[99:100], s[6:7], v[97:98], v[97:98], 1.0
	v_div_scale_f64 v[107:108], vcc, 1.0, v[97:98], 1.0
	v_rcp_f64_e32 v[101:102], v[99:100]
	v_fma_f64 v[105:106], -v[99:100], v[101:102], 1.0
	v_fma_f64 v[101:102], v[101:102], v[105:106], v[101:102]
	v_fma_f64 v[105:106], -v[99:100], v[101:102], 1.0
	v_fma_f64 v[101:102], v[101:102], v[105:106], v[101:102]
	v_mul_f64 v[105:106], v[107:108], v[101:102]
	v_fma_f64 v[99:100], -v[99:100], v[105:106], v[107:108]
	v_div_fmas_f64 v[99:100], v[99:100], v[101:102], v[105:106]
	v_div_fixup_f64 v[101:102], v[99:100], v[97:98], 1.0
	v_mul_f64 v[103:104], v[103:104], -v[101:102]
.LBB105_340:
	s_or_b64 exec, exec, s[2:3]
	ds_write2_b64 v127, v[101:102], v[103:104] offset1:1
.LBB105_341:
	s_or_b64 exec, exec, s[4:5]
	s_waitcnt lgkmcnt(0)
	s_barrier
	ds_read2_b64 v[69:72], v127 offset1:1
	v_cmp_lt_u32_e32 vcc, 37, v0
	s_waitcnt lgkmcnt(0)
	buffer_store_dword v69, off, s[20:23], 0 offset:1488 ; 4-byte Folded Spill
	s_nop 0
	buffer_store_dword v70, off, s[20:23], 0 offset:1492 ; 4-byte Folded Spill
	buffer_store_dword v71, off, s[20:23], 0 offset:1496 ; 4-byte Folded Spill
	;; [unrolled: 1-line block ×3, first 2 shown]
	s_and_saveexec_b64 s[2:3], vcc
	s_cbranch_execz .LBB105_343
; %bb.342:
	buffer_load_dword v69, off, s[20:23], 0 offset:1488 ; 4-byte Folded Reload
	buffer_load_dword v70, off, s[20:23], 0 offset:1492 ; 4-byte Folded Reload
	;; [unrolled: 1-line block ×4, first 2 shown]
	ds_read2_b64 v[99:102], v125 offset0:76 offset1:77
	s_waitcnt vmcnt(2)
	v_mul_f64 v[97:98], v[69:70], v[59:60]
	s_waitcnt vmcnt(0)
	v_mul_f64 v[59:60], v[71:72], v[59:60]
	v_fma_f64 v[97:98], v[71:72], v[57:58], v[97:98]
	v_fma_f64 v[57:58], v[69:70], v[57:58], -v[59:60]
	s_waitcnt lgkmcnt(0)
	v_mul_f64 v[59:60], v[101:102], v[97:98]
	v_fma_f64 v[59:60], v[99:100], v[57:58], -v[59:60]
	v_mul_f64 v[99:100], v[99:100], v[97:98]
	v_add_f64 v[53:54], v[53:54], -v[59:60]
	v_fma_f64 v[99:100], v[101:102], v[57:58], v[99:100]
	v_add_f64 v[55:56], v[55:56], -v[99:100]
	ds_read2_b64 v[99:102], v125 offset0:78 offset1:79
	s_waitcnt lgkmcnt(0)
	v_mul_f64 v[59:60], v[101:102], v[97:98]
	v_fma_f64 v[59:60], v[99:100], v[57:58], -v[59:60]
	v_mul_f64 v[99:100], v[99:100], v[97:98]
	v_add_f64 v[49:50], v[49:50], -v[59:60]
	v_fma_f64 v[99:100], v[101:102], v[57:58], v[99:100]
	v_add_f64 v[51:52], v[51:52], -v[99:100]
	ds_read2_b64 v[99:102], v125 offset0:80 offset1:81
	;; [unrolled: 8-line block ×14, first 2 shown]
	s_waitcnt lgkmcnt(0)
	v_mul_f64 v[59:60], v[101:102], v[97:98]
	v_fma_f64 v[59:60], v[99:100], v[57:58], -v[59:60]
	v_mul_f64 v[99:100], v[99:100], v[97:98]
	v_add_f64 v[73:74], v[73:74], -v[59:60]
	v_fma_f64 v[99:100], v[101:102], v[57:58], v[99:100]
	v_mov_b32_e32 v59, v97
	v_mov_b32_e32 v60, v98
	v_add_f64 v[75:76], v[75:76], -v[99:100]
.LBB105_343:
	s_or_b64 exec, exec, s[2:3]
	v_cmp_eq_u32_e32 vcc, 38, v0
	s_waitcnt vmcnt(0)
	s_barrier
	s_and_saveexec_b64 s[4:5], vcc
	s_cbranch_execz .LBB105_350
; %bb.344:
	ds_write2_b64 v127, v[53:54], v[55:56] offset1:1
	ds_write2_b64 v125, v[49:50], v[51:52] offset0:78 offset1:79
	ds_write2_b64 v125, v[45:46], v[47:48] offset0:80 offset1:81
	;; [unrolled: 1-line block ×14, first 2 shown]
	ds_read2_b64 v[97:100], v127 offset1:1
	s_waitcnt lgkmcnt(0)
	v_cmp_neq_f64_e32 vcc, 0, v[97:98]
	v_cmp_neq_f64_e64 s[2:3], 0, v[99:100]
	s_or_b64 s[2:3], vcc, s[2:3]
	s_and_b64 exec, exec, s[2:3]
	s_cbranch_execz .LBB105_350
; %bb.345:
	v_cmp_ngt_f64_e64 s[2:3], |v[97:98]|, |v[99:100]|
                                        ; implicit-def: $vgpr101_vgpr102
	s_and_saveexec_b64 s[6:7], s[2:3]
	s_xor_b64 s[2:3], exec, s[6:7]
                                        ; implicit-def: $vgpr103_vgpr104
	s_cbranch_execz .LBB105_347
; %bb.346:
	v_div_scale_f64 v[101:102], s[6:7], v[99:100], v[99:100], v[97:98]
	v_rcp_f64_e32 v[103:104], v[101:102]
	v_fma_f64 v[105:106], -v[101:102], v[103:104], 1.0
	v_fma_f64 v[103:104], v[103:104], v[105:106], v[103:104]
	v_div_scale_f64 v[105:106], vcc, v[97:98], v[99:100], v[97:98]
	v_fma_f64 v[107:108], -v[101:102], v[103:104], 1.0
	v_fma_f64 v[103:104], v[103:104], v[107:108], v[103:104]
	v_mul_f64 v[107:108], v[105:106], v[103:104]
	v_fma_f64 v[101:102], -v[101:102], v[107:108], v[105:106]
	v_div_fmas_f64 v[101:102], v[101:102], v[103:104], v[107:108]
	v_div_fixup_f64 v[101:102], v[101:102], v[99:100], v[97:98]
	v_fma_f64 v[97:98], v[97:98], v[101:102], v[99:100]
	v_div_scale_f64 v[99:100], s[6:7], v[97:98], v[97:98], 1.0
	v_div_scale_f64 v[107:108], vcc, 1.0, v[97:98], 1.0
	v_rcp_f64_e32 v[103:104], v[99:100]
	v_fma_f64 v[105:106], -v[99:100], v[103:104], 1.0
	v_fma_f64 v[103:104], v[103:104], v[105:106], v[103:104]
	v_fma_f64 v[105:106], -v[99:100], v[103:104], 1.0
	v_fma_f64 v[103:104], v[103:104], v[105:106], v[103:104]
	v_mul_f64 v[105:106], v[107:108], v[103:104]
	v_fma_f64 v[99:100], -v[99:100], v[105:106], v[107:108]
	v_div_fmas_f64 v[99:100], v[99:100], v[103:104], v[105:106]
	v_div_fixup_f64 v[103:104], v[99:100], v[97:98], 1.0
                                        ; implicit-def: $vgpr97_vgpr98
	v_mul_f64 v[101:102], v[101:102], v[103:104]
	v_xor_b32_e32 v104, 0x80000000, v104
.LBB105_347:
	s_andn2_saveexec_b64 s[2:3], s[2:3]
	s_cbranch_execz .LBB105_349
; %bb.348:
	v_div_scale_f64 v[101:102], s[6:7], v[97:98], v[97:98], v[99:100]
	v_rcp_f64_e32 v[103:104], v[101:102]
	v_fma_f64 v[105:106], -v[101:102], v[103:104], 1.0
	v_fma_f64 v[103:104], v[103:104], v[105:106], v[103:104]
	v_div_scale_f64 v[105:106], vcc, v[99:100], v[97:98], v[99:100]
	v_fma_f64 v[107:108], -v[101:102], v[103:104], 1.0
	v_fma_f64 v[103:104], v[103:104], v[107:108], v[103:104]
	v_mul_f64 v[107:108], v[105:106], v[103:104]
	v_fma_f64 v[101:102], -v[101:102], v[107:108], v[105:106]
	v_div_fmas_f64 v[101:102], v[101:102], v[103:104], v[107:108]
	v_div_fixup_f64 v[103:104], v[101:102], v[97:98], v[99:100]
	v_fma_f64 v[97:98], v[99:100], v[103:104], v[97:98]
	v_div_scale_f64 v[99:100], s[6:7], v[97:98], v[97:98], 1.0
	v_div_scale_f64 v[107:108], vcc, 1.0, v[97:98], 1.0
	v_rcp_f64_e32 v[101:102], v[99:100]
	v_fma_f64 v[105:106], -v[99:100], v[101:102], 1.0
	v_fma_f64 v[101:102], v[101:102], v[105:106], v[101:102]
	v_fma_f64 v[105:106], -v[99:100], v[101:102], 1.0
	v_fma_f64 v[101:102], v[101:102], v[105:106], v[101:102]
	v_mul_f64 v[105:106], v[107:108], v[101:102]
	v_fma_f64 v[99:100], -v[99:100], v[105:106], v[107:108]
	v_div_fmas_f64 v[99:100], v[99:100], v[101:102], v[105:106]
	v_div_fixup_f64 v[101:102], v[99:100], v[97:98], 1.0
	v_mul_f64 v[103:104], v[103:104], -v[101:102]
.LBB105_349:
	s_or_b64 exec, exec, s[2:3]
	ds_write2_b64 v127, v[101:102], v[103:104] offset1:1
.LBB105_350:
	s_or_b64 exec, exec, s[4:5]
	s_waitcnt lgkmcnt(0)
	s_barrier
	ds_read2_b64 v[69:72], v127 offset1:1
	v_cmp_lt_u32_e32 vcc, 38, v0
	s_waitcnt lgkmcnt(0)
	buffer_store_dword v69, off, s[20:23], 0 offset:1504 ; 4-byte Folded Spill
	s_nop 0
	buffer_store_dword v70, off, s[20:23], 0 offset:1508 ; 4-byte Folded Spill
	buffer_store_dword v71, off, s[20:23], 0 offset:1512 ; 4-byte Folded Spill
	;; [unrolled: 1-line block ×3, first 2 shown]
	s_and_saveexec_b64 s[2:3], vcc
	s_cbranch_execz .LBB105_352
; %bb.351:
	buffer_load_dword v69, off, s[20:23], 0 offset:1504 ; 4-byte Folded Reload
	buffer_load_dword v70, off, s[20:23], 0 offset:1508 ; 4-byte Folded Reload
	;; [unrolled: 1-line block ×4, first 2 shown]
	ds_read2_b64 v[99:102], v125 offset0:78 offset1:79
	s_waitcnt vmcnt(2)
	v_mul_f64 v[97:98], v[69:70], v[55:56]
	s_waitcnt vmcnt(0)
	v_mul_f64 v[55:56], v[71:72], v[55:56]
	v_fma_f64 v[97:98], v[71:72], v[53:54], v[97:98]
	v_fma_f64 v[53:54], v[69:70], v[53:54], -v[55:56]
	s_waitcnt lgkmcnt(0)
	v_mul_f64 v[55:56], v[101:102], v[97:98]
	v_fma_f64 v[55:56], v[99:100], v[53:54], -v[55:56]
	v_mul_f64 v[99:100], v[99:100], v[97:98]
	v_add_f64 v[49:50], v[49:50], -v[55:56]
	v_fma_f64 v[99:100], v[101:102], v[53:54], v[99:100]
	v_add_f64 v[51:52], v[51:52], -v[99:100]
	ds_read2_b64 v[99:102], v125 offset0:80 offset1:81
	s_waitcnt lgkmcnt(0)
	v_mul_f64 v[55:56], v[101:102], v[97:98]
	v_fma_f64 v[55:56], v[99:100], v[53:54], -v[55:56]
	v_mul_f64 v[99:100], v[99:100], v[97:98]
	v_add_f64 v[45:46], v[45:46], -v[55:56]
	v_fma_f64 v[99:100], v[101:102], v[53:54], v[99:100]
	v_add_f64 v[47:48], v[47:48], -v[99:100]
	ds_read2_b64 v[99:102], v125 offset0:82 offset1:83
	;; [unrolled: 8-line block ×13, first 2 shown]
	s_waitcnt lgkmcnt(0)
	v_mul_f64 v[55:56], v[101:102], v[97:98]
	v_fma_f64 v[55:56], v[99:100], v[53:54], -v[55:56]
	v_mul_f64 v[99:100], v[99:100], v[97:98]
	v_add_f64 v[73:74], v[73:74], -v[55:56]
	v_fma_f64 v[99:100], v[101:102], v[53:54], v[99:100]
	v_mov_b32_e32 v55, v97
	v_mov_b32_e32 v56, v98
	v_add_f64 v[75:76], v[75:76], -v[99:100]
.LBB105_352:
	s_or_b64 exec, exec, s[2:3]
	v_cmp_eq_u32_e32 vcc, 39, v0
	s_waitcnt vmcnt(0)
	s_barrier
	s_and_saveexec_b64 s[4:5], vcc
	s_cbranch_execz .LBB105_359
; %bb.353:
	ds_write2_b64 v127, v[49:50], v[51:52] offset1:1
	ds_write2_b64 v125, v[45:46], v[47:48] offset0:80 offset1:81
	ds_write2_b64 v125, v[41:42], v[43:44] offset0:82 offset1:83
	ds_write2_b64 v125, v[37:38], v[39:40] offset0:84 offset1:85
	ds_write2_b64 v125, v[33:34], v[35:36] offset0:86 offset1:87
	ds_write2_b64 v125, v[29:30], v[31:32] offset0:88 offset1:89
	ds_write2_b64 v125, v[25:26], v[27:28] offset0:90 offset1:91
	ds_write2_b64 v125, v[21:22], v[23:24] offset0:92 offset1:93
	ds_write2_b64 v125, v[17:18], v[19:20] offset0:94 offset1:95
	ds_write2_b64 v125, v[13:14], v[15:16] offset0:96 offset1:97
	ds_write2_b64 v125, v[9:10], v[11:12] offset0:98 offset1:99
	ds_write2_b64 v125, v[5:6], v[7:8] offset0:100 offset1:101
	ds_write2_b64 v125, v[1:2], v[3:4] offset0:102 offset1:103
	ds_write2_b64 v125, v[73:74], v[75:76] offset0:104 offset1:105
	ds_read2_b64 v[97:100], v127 offset1:1
	s_waitcnt lgkmcnt(0)
	v_cmp_neq_f64_e32 vcc, 0, v[97:98]
	v_cmp_neq_f64_e64 s[2:3], 0, v[99:100]
	s_or_b64 s[2:3], vcc, s[2:3]
	s_and_b64 exec, exec, s[2:3]
	s_cbranch_execz .LBB105_359
; %bb.354:
	v_cmp_ngt_f64_e64 s[2:3], |v[97:98]|, |v[99:100]|
                                        ; implicit-def: $vgpr101_vgpr102
	s_and_saveexec_b64 s[6:7], s[2:3]
	s_xor_b64 s[2:3], exec, s[6:7]
                                        ; implicit-def: $vgpr103_vgpr104
	s_cbranch_execz .LBB105_356
; %bb.355:
	v_div_scale_f64 v[101:102], s[6:7], v[99:100], v[99:100], v[97:98]
	v_rcp_f64_e32 v[103:104], v[101:102]
	v_fma_f64 v[105:106], -v[101:102], v[103:104], 1.0
	v_fma_f64 v[103:104], v[103:104], v[105:106], v[103:104]
	v_div_scale_f64 v[105:106], vcc, v[97:98], v[99:100], v[97:98]
	v_fma_f64 v[107:108], -v[101:102], v[103:104], 1.0
	v_fma_f64 v[103:104], v[103:104], v[107:108], v[103:104]
	v_mul_f64 v[107:108], v[105:106], v[103:104]
	v_fma_f64 v[101:102], -v[101:102], v[107:108], v[105:106]
	v_div_fmas_f64 v[101:102], v[101:102], v[103:104], v[107:108]
	v_div_fixup_f64 v[101:102], v[101:102], v[99:100], v[97:98]
	v_fma_f64 v[97:98], v[97:98], v[101:102], v[99:100]
	v_div_scale_f64 v[99:100], s[6:7], v[97:98], v[97:98], 1.0
	v_div_scale_f64 v[107:108], vcc, 1.0, v[97:98], 1.0
	v_rcp_f64_e32 v[103:104], v[99:100]
	v_fma_f64 v[105:106], -v[99:100], v[103:104], 1.0
	v_fma_f64 v[103:104], v[103:104], v[105:106], v[103:104]
	v_fma_f64 v[105:106], -v[99:100], v[103:104], 1.0
	v_fma_f64 v[103:104], v[103:104], v[105:106], v[103:104]
	v_mul_f64 v[105:106], v[107:108], v[103:104]
	v_fma_f64 v[99:100], -v[99:100], v[105:106], v[107:108]
	v_div_fmas_f64 v[99:100], v[99:100], v[103:104], v[105:106]
	v_div_fixup_f64 v[103:104], v[99:100], v[97:98], 1.0
                                        ; implicit-def: $vgpr97_vgpr98
	v_mul_f64 v[101:102], v[101:102], v[103:104]
	v_xor_b32_e32 v104, 0x80000000, v104
.LBB105_356:
	s_andn2_saveexec_b64 s[2:3], s[2:3]
	s_cbranch_execz .LBB105_358
; %bb.357:
	v_div_scale_f64 v[101:102], s[6:7], v[97:98], v[97:98], v[99:100]
	v_rcp_f64_e32 v[103:104], v[101:102]
	v_fma_f64 v[105:106], -v[101:102], v[103:104], 1.0
	v_fma_f64 v[103:104], v[103:104], v[105:106], v[103:104]
	v_div_scale_f64 v[105:106], vcc, v[99:100], v[97:98], v[99:100]
	v_fma_f64 v[107:108], -v[101:102], v[103:104], 1.0
	v_fma_f64 v[103:104], v[103:104], v[107:108], v[103:104]
	v_mul_f64 v[107:108], v[105:106], v[103:104]
	v_fma_f64 v[101:102], -v[101:102], v[107:108], v[105:106]
	v_div_fmas_f64 v[101:102], v[101:102], v[103:104], v[107:108]
	v_div_fixup_f64 v[103:104], v[101:102], v[97:98], v[99:100]
	v_fma_f64 v[97:98], v[99:100], v[103:104], v[97:98]
	v_div_scale_f64 v[99:100], s[6:7], v[97:98], v[97:98], 1.0
	v_div_scale_f64 v[107:108], vcc, 1.0, v[97:98], 1.0
	v_rcp_f64_e32 v[101:102], v[99:100]
	v_fma_f64 v[105:106], -v[99:100], v[101:102], 1.0
	v_fma_f64 v[101:102], v[101:102], v[105:106], v[101:102]
	v_fma_f64 v[105:106], -v[99:100], v[101:102], 1.0
	v_fma_f64 v[101:102], v[101:102], v[105:106], v[101:102]
	v_mul_f64 v[105:106], v[107:108], v[101:102]
	v_fma_f64 v[99:100], -v[99:100], v[105:106], v[107:108]
	v_div_fmas_f64 v[99:100], v[99:100], v[101:102], v[105:106]
	v_div_fixup_f64 v[101:102], v[99:100], v[97:98], 1.0
	v_mul_f64 v[103:104], v[103:104], -v[101:102]
.LBB105_358:
	s_or_b64 exec, exec, s[2:3]
	ds_write2_b64 v127, v[101:102], v[103:104] offset1:1
.LBB105_359:
	s_or_b64 exec, exec, s[4:5]
	s_waitcnt lgkmcnt(0)
	s_barrier
	ds_read2_b64 v[69:72], v127 offset1:1
	v_cmp_lt_u32_e32 vcc, 39, v0
	s_waitcnt lgkmcnt(0)
	buffer_store_dword v69, off, s[20:23], 0 offset:1520 ; 4-byte Folded Spill
	s_nop 0
	buffer_store_dword v70, off, s[20:23], 0 offset:1524 ; 4-byte Folded Spill
	buffer_store_dword v71, off, s[20:23], 0 offset:1528 ; 4-byte Folded Spill
	;; [unrolled: 1-line block ×3, first 2 shown]
	s_and_saveexec_b64 s[2:3], vcc
	s_cbranch_execz .LBB105_361
; %bb.360:
	buffer_load_dword v69, off, s[20:23], 0 offset:1520 ; 4-byte Folded Reload
	buffer_load_dword v70, off, s[20:23], 0 offset:1524 ; 4-byte Folded Reload
	;; [unrolled: 1-line block ×4, first 2 shown]
	ds_read2_b64 v[99:102], v125 offset0:80 offset1:81
	s_waitcnt vmcnt(2)
	v_mul_f64 v[97:98], v[69:70], v[51:52]
	s_waitcnt vmcnt(0)
	v_mul_f64 v[51:52], v[71:72], v[51:52]
	v_fma_f64 v[97:98], v[71:72], v[49:50], v[97:98]
	v_fma_f64 v[49:50], v[69:70], v[49:50], -v[51:52]
	s_waitcnt lgkmcnt(0)
	v_mul_f64 v[51:52], v[101:102], v[97:98]
	v_fma_f64 v[51:52], v[99:100], v[49:50], -v[51:52]
	v_mul_f64 v[99:100], v[99:100], v[97:98]
	v_add_f64 v[45:46], v[45:46], -v[51:52]
	v_fma_f64 v[99:100], v[101:102], v[49:50], v[99:100]
	v_add_f64 v[47:48], v[47:48], -v[99:100]
	ds_read2_b64 v[99:102], v125 offset0:82 offset1:83
	s_waitcnt lgkmcnt(0)
	v_mul_f64 v[51:52], v[101:102], v[97:98]
	v_fma_f64 v[51:52], v[99:100], v[49:50], -v[51:52]
	v_mul_f64 v[99:100], v[99:100], v[97:98]
	v_add_f64 v[41:42], v[41:42], -v[51:52]
	v_fma_f64 v[99:100], v[101:102], v[49:50], v[99:100]
	v_add_f64 v[43:44], v[43:44], -v[99:100]
	ds_read2_b64 v[99:102], v125 offset0:84 offset1:85
	;; [unrolled: 8-line block ×12, first 2 shown]
	s_waitcnt lgkmcnt(0)
	v_mul_f64 v[51:52], v[101:102], v[97:98]
	v_fma_f64 v[51:52], v[99:100], v[49:50], -v[51:52]
	v_mul_f64 v[99:100], v[99:100], v[97:98]
	v_add_f64 v[73:74], v[73:74], -v[51:52]
	v_fma_f64 v[99:100], v[101:102], v[49:50], v[99:100]
	v_mov_b32_e32 v51, v97
	v_mov_b32_e32 v52, v98
	v_add_f64 v[75:76], v[75:76], -v[99:100]
.LBB105_361:
	s_or_b64 exec, exec, s[2:3]
	v_cmp_eq_u32_e32 vcc, 40, v0
	s_waitcnt vmcnt(0)
	s_barrier
	s_and_saveexec_b64 s[4:5], vcc
	s_cbranch_execz .LBB105_368
; %bb.362:
	ds_write2_b64 v127, v[45:46], v[47:48] offset1:1
	ds_write2_b64 v125, v[41:42], v[43:44] offset0:82 offset1:83
	ds_write2_b64 v125, v[37:38], v[39:40] offset0:84 offset1:85
	;; [unrolled: 1-line block ×12, first 2 shown]
	ds_read2_b64 v[97:100], v127 offset1:1
	s_waitcnt lgkmcnt(0)
	v_cmp_neq_f64_e32 vcc, 0, v[97:98]
	v_cmp_neq_f64_e64 s[2:3], 0, v[99:100]
	s_or_b64 s[2:3], vcc, s[2:3]
	s_and_b64 exec, exec, s[2:3]
	s_cbranch_execz .LBB105_368
; %bb.363:
	v_cmp_ngt_f64_e64 s[2:3], |v[97:98]|, |v[99:100]|
                                        ; implicit-def: $vgpr101_vgpr102
	s_and_saveexec_b64 s[6:7], s[2:3]
	s_xor_b64 s[2:3], exec, s[6:7]
                                        ; implicit-def: $vgpr103_vgpr104
	s_cbranch_execz .LBB105_365
; %bb.364:
	v_div_scale_f64 v[101:102], s[6:7], v[99:100], v[99:100], v[97:98]
	v_rcp_f64_e32 v[103:104], v[101:102]
	v_fma_f64 v[105:106], -v[101:102], v[103:104], 1.0
	v_fma_f64 v[103:104], v[103:104], v[105:106], v[103:104]
	v_div_scale_f64 v[105:106], vcc, v[97:98], v[99:100], v[97:98]
	v_fma_f64 v[107:108], -v[101:102], v[103:104], 1.0
	v_fma_f64 v[103:104], v[103:104], v[107:108], v[103:104]
	v_mul_f64 v[107:108], v[105:106], v[103:104]
	v_fma_f64 v[101:102], -v[101:102], v[107:108], v[105:106]
	v_div_fmas_f64 v[101:102], v[101:102], v[103:104], v[107:108]
	v_div_fixup_f64 v[101:102], v[101:102], v[99:100], v[97:98]
	v_fma_f64 v[97:98], v[97:98], v[101:102], v[99:100]
	v_div_scale_f64 v[99:100], s[6:7], v[97:98], v[97:98], 1.0
	v_div_scale_f64 v[107:108], vcc, 1.0, v[97:98], 1.0
	v_rcp_f64_e32 v[103:104], v[99:100]
	v_fma_f64 v[105:106], -v[99:100], v[103:104], 1.0
	v_fma_f64 v[103:104], v[103:104], v[105:106], v[103:104]
	v_fma_f64 v[105:106], -v[99:100], v[103:104], 1.0
	v_fma_f64 v[103:104], v[103:104], v[105:106], v[103:104]
	v_mul_f64 v[105:106], v[107:108], v[103:104]
	v_fma_f64 v[99:100], -v[99:100], v[105:106], v[107:108]
	v_div_fmas_f64 v[99:100], v[99:100], v[103:104], v[105:106]
	v_div_fixup_f64 v[103:104], v[99:100], v[97:98], 1.0
                                        ; implicit-def: $vgpr97_vgpr98
	v_mul_f64 v[101:102], v[101:102], v[103:104]
	v_xor_b32_e32 v104, 0x80000000, v104
.LBB105_365:
	s_andn2_saveexec_b64 s[2:3], s[2:3]
	s_cbranch_execz .LBB105_367
; %bb.366:
	v_div_scale_f64 v[101:102], s[6:7], v[97:98], v[97:98], v[99:100]
	v_rcp_f64_e32 v[103:104], v[101:102]
	v_fma_f64 v[105:106], -v[101:102], v[103:104], 1.0
	v_fma_f64 v[103:104], v[103:104], v[105:106], v[103:104]
	v_div_scale_f64 v[105:106], vcc, v[99:100], v[97:98], v[99:100]
	v_fma_f64 v[107:108], -v[101:102], v[103:104], 1.0
	v_fma_f64 v[103:104], v[103:104], v[107:108], v[103:104]
	v_mul_f64 v[107:108], v[105:106], v[103:104]
	v_fma_f64 v[101:102], -v[101:102], v[107:108], v[105:106]
	v_div_fmas_f64 v[101:102], v[101:102], v[103:104], v[107:108]
	v_div_fixup_f64 v[103:104], v[101:102], v[97:98], v[99:100]
	v_fma_f64 v[97:98], v[99:100], v[103:104], v[97:98]
	v_div_scale_f64 v[99:100], s[6:7], v[97:98], v[97:98], 1.0
	v_div_scale_f64 v[107:108], vcc, 1.0, v[97:98], 1.0
	v_rcp_f64_e32 v[101:102], v[99:100]
	v_fma_f64 v[105:106], -v[99:100], v[101:102], 1.0
	v_fma_f64 v[101:102], v[101:102], v[105:106], v[101:102]
	v_fma_f64 v[105:106], -v[99:100], v[101:102], 1.0
	v_fma_f64 v[101:102], v[101:102], v[105:106], v[101:102]
	v_mul_f64 v[105:106], v[107:108], v[101:102]
	v_fma_f64 v[99:100], -v[99:100], v[105:106], v[107:108]
	v_div_fmas_f64 v[99:100], v[99:100], v[101:102], v[105:106]
	v_div_fixup_f64 v[101:102], v[99:100], v[97:98], 1.0
	v_mul_f64 v[103:104], v[103:104], -v[101:102]
.LBB105_367:
	s_or_b64 exec, exec, s[2:3]
	ds_write2_b64 v127, v[101:102], v[103:104] offset1:1
.LBB105_368:
	s_or_b64 exec, exec, s[4:5]
	s_waitcnt lgkmcnt(0)
	s_barrier
	ds_read2_b64 v[69:72], v127 offset1:1
	v_cmp_lt_u32_e32 vcc, 40, v0
	s_waitcnt lgkmcnt(0)
	buffer_store_dword v69, off, s[20:23], 0 offset:1536 ; 4-byte Folded Spill
	s_nop 0
	buffer_store_dword v70, off, s[20:23], 0 offset:1540 ; 4-byte Folded Spill
	buffer_store_dword v71, off, s[20:23], 0 offset:1544 ; 4-byte Folded Spill
	;; [unrolled: 1-line block ×3, first 2 shown]
	s_and_saveexec_b64 s[2:3], vcc
	s_cbranch_execz .LBB105_370
; %bb.369:
	buffer_load_dword v69, off, s[20:23], 0 offset:1536 ; 4-byte Folded Reload
	buffer_load_dword v70, off, s[20:23], 0 offset:1540 ; 4-byte Folded Reload
	;; [unrolled: 1-line block ×4, first 2 shown]
	ds_read2_b64 v[99:102], v125 offset0:82 offset1:83
	s_waitcnt vmcnt(2)
	v_mul_f64 v[97:98], v[69:70], v[47:48]
	s_waitcnt vmcnt(0)
	v_mul_f64 v[47:48], v[71:72], v[47:48]
	v_fma_f64 v[97:98], v[71:72], v[45:46], v[97:98]
	v_fma_f64 v[45:46], v[69:70], v[45:46], -v[47:48]
	s_waitcnt lgkmcnt(0)
	v_mul_f64 v[47:48], v[101:102], v[97:98]
	v_fma_f64 v[47:48], v[99:100], v[45:46], -v[47:48]
	v_mul_f64 v[99:100], v[99:100], v[97:98]
	v_add_f64 v[41:42], v[41:42], -v[47:48]
	v_fma_f64 v[99:100], v[101:102], v[45:46], v[99:100]
	v_add_f64 v[43:44], v[43:44], -v[99:100]
	ds_read2_b64 v[99:102], v125 offset0:84 offset1:85
	s_waitcnt lgkmcnt(0)
	v_mul_f64 v[47:48], v[101:102], v[97:98]
	v_fma_f64 v[47:48], v[99:100], v[45:46], -v[47:48]
	v_mul_f64 v[99:100], v[99:100], v[97:98]
	v_add_f64 v[37:38], v[37:38], -v[47:48]
	v_fma_f64 v[99:100], v[101:102], v[45:46], v[99:100]
	v_add_f64 v[39:40], v[39:40], -v[99:100]
	ds_read2_b64 v[99:102], v125 offset0:86 offset1:87
	;; [unrolled: 8-line block ×11, first 2 shown]
	s_waitcnt lgkmcnt(0)
	v_mul_f64 v[47:48], v[101:102], v[97:98]
	v_fma_f64 v[47:48], v[99:100], v[45:46], -v[47:48]
	v_mul_f64 v[99:100], v[99:100], v[97:98]
	v_add_f64 v[73:74], v[73:74], -v[47:48]
	v_fma_f64 v[99:100], v[101:102], v[45:46], v[99:100]
	v_mov_b32_e32 v47, v97
	v_mov_b32_e32 v48, v98
	v_add_f64 v[75:76], v[75:76], -v[99:100]
.LBB105_370:
	s_or_b64 exec, exec, s[2:3]
	v_cmp_eq_u32_e32 vcc, 41, v0
	s_waitcnt vmcnt(0)
	s_barrier
	s_and_saveexec_b64 s[4:5], vcc
	s_cbranch_execz .LBB105_377
; %bb.371:
	ds_write2_b64 v127, v[41:42], v[43:44] offset1:1
	ds_write2_b64 v125, v[37:38], v[39:40] offset0:84 offset1:85
	ds_write2_b64 v125, v[33:34], v[35:36] offset0:86 offset1:87
	;; [unrolled: 1-line block ×11, first 2 shown]
	ds_read2_b64 v[97:100], v127 offset1:1
	s_waitcnt lgkmcnt(0)
	v_cmp_neq_f64_e32 vcc, 0, v[97:98]
	v_cmp_neq_f64_e64 s[2:3], 0, v[99:100]
	s_or_b64 s[2:3], vcc, s[2:3]
	s_and_b64 exec, exec, s[2:3]
	s_cbranch_execz .LBB105_377
; %bb.372:
	v_cmp_ngt_f64_e64 s[2:3], |v[97:98]|, |v[99:100]|
                                        ; implicit-def: $vgpr101_vgpr102
	s_and_saveexec_b64 s[6:7], s[2:3]
	s_xor_b64 s[2:3], exec, s[6:7]
                                        ; implicit-def: $vgpr103_vgpr104
	s_cbranch_execz .LBB105_374
; %bb.373:
	v_div_scale_f64 v[101:102], s[6:7], v[99:100], v[99:100], v[97:98]
	v_rcp_f64_e32 v[103:104], v[101:102]
	v_fma_f64 v[105:106], -v[101:102], v[103:104], 1.0
	v_fma_f64 v[103:104], v[103:104], v[105:106], v[103:104]
	v_div_scale_f64 v[105:106], vcc, v[97:98], v[99:100], v[97:98]
	v_fma_f64 v[107:108], -v[101:102], v[103:104], 1.0
	v_fma_f64 v[103:104], v[103:104], v[107:108], v[103:104]
	v_mul_f64 v[107:108], v[105:106], v[103:104]
	v_fma_f64 v[101:102], -v[101:102], v[107:108], v[105:106]
	v_div_fmas_f64 v[101:102], v[101:102], v[103:104], v[107:108]
	v_div_fixup_f64 v[101:102], v[101:102], v[99:100], v[97:98]
	v_fma_f64 v[97:98], v[97:98], v[101:102], v[99:100]
	v_div_scale_f64 v[99:100], s[6:7], v[97:98], v[97:98], 1.0
	v_div_scale_f64 v[107:108], vcc, 1.0, v[97:98], 1.0
	v_rcp_f64_e32 v[103:104], v[99:100]
	v_fma_f64 v[105:106], -v[99:100], v[103:104], 1.0
	v_fma_f64 v[103:104], v[103:104], v[105:106], v[103:104]
	v_fma_f64 v[105:106], -v[99:100], v[103:104], 1.0
	v_fma_f64 v[103:104], v[103:104], v[105:106], v[103:104]
	v_mul_f64 v[105:106], v[107:108], v[103:104]
	v_fma_f64 v[99:100], -v[99:100], v[105:106], v[107:108]
	v_div_fmas_f64 v[99:100], v[99:100], v[103:104], v[105:106]
	v_div_fixup_f64 v[103:104], v[99:100], v[97:98], 1.0
                                        ; implicit-def: $vgpr97_vgpr98
	v_mul_f64 v[101:102], v[101:102], v[103:104]
	v_xor_b32_e32 v104, 0x80000000, v104
.LBB105_374:
	s_andn2_saveexec_b64 s[2:3], s[2:3]
	s_cbranch_execz .LBB105_376
; %bb.375:
	v_div_scale_f64 v[101:102], s[6:7], v[97:98], v[97:98], v[99:100]
	v_rcp_f64_e32 v[103:104], v[101:102]
	v_fma_f64 v[105:106], -v[101:102], v[103:104], 1.0
	v_fma_f64 v[103:104], v[103:104], v[105:106], v[103:104]
	v_div_scale_f64 v[105:106], vcc, v[99:100], v[97:98], v[99:100]
	v_fma_f64 v[107:108], -v[101:102], v[103:104], 1.0
	v_fma_f64 v[103:104], v[103:104], v[107:108], v[103:104]
	v_mul_f64 v[107:108], v[105:106], v[103:104]
	v_fma_f64 v[101:102], -v[101:102], v[107:108], v[105:106]
	v_div_fmas_f64 v[101:102], v[101:102], v[103:104], v[107:108]
	v_div_fixup_f64 v[103:104], v[101:102], v[97:98], v[99:100]
	v_fma_f64 v[97:98], v[99:100], v[103:104], v[97:98]
	v_div_scale_f64 v[99:100], s[6:7], v[97:98], v[97:98], 1.0
	v_div_scale_f64 v[107:108], vcc, 1.0, v[97:98], 1.0
	v_rcp_f64_e32 v[101:102], v[99:100]
	v_fma_f64 v[105:106], -v[99:100], v[101:102], 1.0
	v_fma_f64 v[101:102], v[101:102], v[105:106], v[101:102]
	v_fma_f64 v[105:106], -v[99:100], v[101:102], 1.0
	v_fma_f64 v[101:102], v[101:102], v[105:106], v[101:102]
	v_mul_f64 v[105:106], v[107:108], v[101:102]
	v_fma_f64 v[99:100], -v[99:100], v[105:106], v[107:108]
	v_div_fmas_f64 v[99:100], v[99:100], v[101:102], v[105:106]
	v_div_fixup_f64 v[101:102], v[99:100], v[97:98], 1.0
	v_mul_f64 v[103:104], v[103:104], -v[101:102]
.LBB105_376:
	s_or_b64 exec, exec, s[2:3]
	ds_write2_b64 v127, v[101:102], v[103:104] offset1:1
.LBB105_377:
	s_or_b64 exec, exec, s[4:5]
	s_waitcnt lgkmcnt(0)
	s_barrier
	ds_read2_b64 v[69:72], v127 offset1:1
	v_cmp_lt_u32_e32 vcc, 41, v0
	s_waitcnt lgkmcnt(0)
	buffer_store_dword v69, off, s[20:23], 0 offset:1552 ; 4-byte Folded Spill
	s_nop 0
	buffer_store_dword v70, off, s[20:23], 0 offset:1556 ; 4-byte Folded Spill
	buffer_store_dword v71, off, s[20:23], 0 offset:1560 ; 4-byte Folded Spill
	;; [unrolled: 1-line block ×3, first 2 shown]
	s_and_saveexec_b64 s[2:3], vcc
	s_cbranch_execz .LBB105_379
; %bb.378:
	buffer_load_dword v69, off, s[20:23], 0 offset:1552 ; 4-byte Folded Reload
	buffer_load_dword v70, off, s[20:23], 0 offset:1556 ; 4-byte Folded Reload
	;; [unrolled: 1-line block ×4, first 2 shown]
	ds_read2_b64 v[99:102], v125 offset0:84 offset1:85
	s_waitcnt vmcnt(2)
	v_mul_f64 v[97:98], v[69:70], v[43:44]
	s_waitcnt vmcnt(0)
	v_mul_f64 v[43:44], v[71:72], v[43:44]
	v_fma_f64 v[97:98], v[71:72], v[41:42], v[97:98]
	v_fma_f64 v[41:42], v[69:70], v[41:42], -v[43:44]
	s_waitcnt lgkmcnt(0)
	v_mul_f64 v[43:44], v[101:102], v[97:98]
	v_fma_f64 v[43:44], v[99:100], v[41:42], -v[43:44]
	v_mul_f64 v[99:100], v[99:100], v[97:98]
	v_add_f64 v[37:38], v[37:38], -v[43:44]
	v_fma_f64 v[99:100], v[101:102], v[41:42], v[99:100]
	v_add_f64 v[39:40], v[39:40], -v[99:100]
	ds_read2_b64 v[99:102], v125 offset0:86 offset1:87
	s_waitcnt lgkmcnt(0)
	v_mul_f64 v[43:44], v[101:102], v[97:98]
	v_fma_f64 v[43:44], v[99:100], v[41:42], -v[43:44]
	v_mul_f64 v[99:100], v[99:100], v[97:98]
	v_add_f64 v[33:34], v[33:34], -v[43:44]
	v_fma_f64 v[99:100], v[101:102], v[41:42], v[99:100]
	v_add_f64 v[35:36], v[35:36], -v[99:100]
	ds_read2_b64 v[99:102], v125 offset0:88 offset1:89
	;; [unrolled: 8-line block ×10, first 2 shown]
	s_waitcnt lgkmcnt(0)
	v_mul_f64 v[43:44], v[101:102], v[97:98]
	v_fma_f64 v[43:44], v[99:100], v[41:42], -v[43:44]
	v_mul_f64 v[99:100], v[99:100], v[97:98]
	v_add_f64 v[73:74], v[73:74], -v[43:44]
	v_fma_f64 v[99:100], v[101:102], v[41:42], v[99:100]
	v_mov_b32_e32 v43, v97
	v_mov_b32_e32 v44, v98
	v_add_f64 v[75:76], v[75:76], -v[99:100]
.LBB105_379:
	s_or_b64 exec, exec, s[2:3]
	v_cmp_eq_u32_e32 vcc, 42, v0
	s_waitcnt vmcnt(0)
	s_barrier
	s_and_saveexec_b64 s[4:5], vcc
	s_cbranch_execz .LBB105_386
; %bb.380:
	ds_write2_b64 v127, v[37:38], v[39:40] offset1:1
	ds_write2_b64 v125, v[33:34], v[35:36] offset0:86 offset1:87
	ds_write2_b64 v125, v[29:30], v[31:32] offset0:88 offset1:89
	;; [unrolled: 1-line block ×10, first 2 shown]
	ds_read2_b64 v[97:100], v127 offset1:1
	s_waitcnt lgkmcnt(0)
	v_cmp_neq_f64_e32 vcc, 0, v[97:98]
	v_cmp_neq_f64_e64 s[2:3], 0, v[99:100]
	s_or_b64 s[2:3], vcc, s[2:3]
	s_and_b64 exec, exec, s[2:3]
	s_cbranch_execz .LBB105_386
; %bb.381:
	v_cmp_ngt_f64_e64 s[2:3], |v[97:98]|, |v[99:100]|
                                        ; implicit-def: $vgpr101_vgpr102
	s_and_saveexec_b64 s[6:7], s[2:3]
	s_xor_b64 s[2:3], exec, s[6:7]
                                        ; implicit-def: $vgpr103_vgpr104
	s_cbranch_execz .LBB105_383
; %bb.382:
	v_div_scale_f64 v[101:102], s[6:7], v[99:100], v[99:100], v[97:98]
	v_rcp_f64_e32 v[103:104], v[101:102]
	v_fma_f64 v[105:106], -v[101:102], v[103:104], 1.0
	v_fma_f64 v[103:104], v[103:104], v[105:106], v[103:104]
	v_div_scale_f64 v[105:106], vcc, v[97:98], v[99:100], v[97:98]
	v_fma_f64 v[107:108], -v[101:102], v[103:104], 1.0
	v_fma_f64 v[103:104], v[103:104], v[107:108], v[103:104]
	v_mul_f64 v[107:108], v[105:106], v[103:104]
	v_fma_f64 v[101:102], -v[101:102], v[107:108], v[105:106]
	v_div_fmas_f64 v[101:102], v[101:102], v[103:104], v[107:108]
	v_div_fixup_f64 v[101:102], v[101:102], v[99:100], v[97:98]
	v_fma_f64 v[97:98], v[97:98], v[101:102], v[99:100]
	v_div_scale_f64 v[99:100], s[6:7], v[97:98], v[97:98], 1.0
	v_div_scale_f64 v[107:108], vcc, 1.0, v[97:98], 1.0
	v_rcp_f64_e32 v[103:104], v[99:100]
	v_fma_f64 v[105:106], -v[99:100], v[103:104], 1.0
	v_fma_f64 v[103:104], v[103:104], v[105:106], v[103:104]
	v_fma_f64 v[105:106], -v[99:100], v[103:104], 1.0
	v_fma_f64 v[103:104], v[103:104], v[105:106], v[103:104]
	v_mul_f64 v[105:106], v[107:108], v[103:104]
	v_fma_f64 v[99:100], -v[99:100], v[105:106], v[107:108]
	v_div_fmas_f64 v[99:100], v[99:100], v[103:104], v[105:106]
	v_div_fixup_f64 v[103:104], v[99:100], v[97:98], 1.0
                                        ; implicit-def: $vgpr97_vgpr98
	v_mul_f64 v[101:102], v[101:102], v[103:104]
	v_xor_b32_e32 v104, 0x80000000, v104
.LBB105_383:
	s_andn2_saveexec_b64 s[2:3], s[2:3]
	s_cbranch_execz .LBB105_385
; %bb.384:
	v_div_scale_f64 v[101:102], s[6:7], v[97:98], v[97:98], v[99:100]
	v_rcp_f64_e32 v[103:104], v[101:102]
	v_fma_f64 v[105:106], -v[101:102], v[103:104], 1.0
	v_fma_f64 v[103:104], v[103:104], v[105:106], v[103:104]
	v_div_scale_f64 v[105:106], vcc, v[99:100], v[97:98], v[99:100]
	v_fma_f64 v[107:108], -v[101:102], v[103:104], 1.0
	v_fma_f64 v[103:104], v[103:104], v[107:108], v[103:104]
	v_mul_f64 v[107:108], v[105:106], v[103:104]
	v_fma_f64 v[101:102], -v[101:102], v[107:108], v[105:106]
	v_div_fmas_f64 v[101:102], v[101:102], v[103:104], v[107:108]
	v_div_fixup_f64 v[103:104], v[101:102], v[97:98], v[99:100]
	v_fma_f64 v[97:98], v[99:100], v[103:104], v[97:98]
	v_div_scale_f64 v[99:100], s[6:7], v[97:98], v[97:98], 1.0
	v_div_scale_f64 v[107:108], vcc, 1.0, v[97:98], 1.0
	v_rcp_f64_e32 v[101:102], v[99:100]
	v_fma_f64 v[105:106], -v[99:100], v[101:102], 1.0
	v_fma_f64 v[101:102], v[101:102], v[105:106], v[101:102]
	v_fma_f64 v[105:106], -v[99:100], v[101:102], 1.0
	v_fma_f64 v[101:102], v[101:102], v[105:106], v[101:102]
	v_mul_f64 v[105:106], v[107:108], v[101:102]
	v_fma_f64 v[99:100], -v[99:100], v[105:106], v[107:108]
	v_div_fmas_f64 v[99:100], v[99:100], v[101:102], v[105:106]
	v_div_fixup_f64 v[101:102], v[99:100], v[97:98], 1.0
	v_mul_f64 v[103:104], v[103:104], -v[101:102]
.LBB105_385:
	s_or_b64 exec, exec, s[2:3]
	ds_write2_b64 v127, v[101:102], v[103:104] offset1:1
.LBB105_386:
	s_or_b64 exec, exec, s[4:5]
	s_waitcnt lgkmcnt(0)
	s_barrier
	ds_read2_b64 v[69:72], v127 offset1:1
	v_cmp_lt_u32_e32 vcc, 42, v0
	s_waitcnt lgkmcnt(0)
	buffer_store_dword v69, off, s[20:23], 0 offset:1568 ; 4-byte Folded Spill
	s_nop 0
	buffer_store_dword v70, off, s[20:23], 0 offset:1572 ; 4-byte Folded Spill
	buffer_store_dword v71, off, s[20:23], 0 offset:1576 ; 4-byte Folded Spill
	;; [unrolled: 1-line block ×3, first 2 shown]
	s_and_saveexec_b64 s[2:3], vcc
	s_cbranch_execz .LBB105_388
; %bb.387:
	buffer_load_dword v69, off, s[20:23], 0 offset:1568 ; 4-byte Folded Reload
	buffer_load_dword v70, off, s[20:23], 0 offset:1572 ; 4-byte Folded Reload
	;; [unrolled: 1-line block ×4, first 2 shown]
	ds_read2_b64 v[99:102], v125 offset0:86 offset1:87
	s_waitcnt vmcnt(2)
	v_mul_f64 v[97:98], v[69:70], v[39:40]
	s_waitcnt vmcnt(0)
	v_mul_f64 v[39:40], v[71:72], v[39:40]
	v_fma_f64 v[97:98], v[71:72], v[37:38], v[97:98]
	v_fma_f64 v[37:38], v[69:70], v[37:38], -v[39:40]
	s_waitcnt lgkmcnt(0)
	v_mul_f64 v[39:40], v[101:102], v[97:98]
	v_fma_f64 v[39:40], v[99:100], v[37:38], -v[39:40]
	v_mul_f64 v[99:100], v[99:100], v[97:98]
	v_add_f64 v[33:34], v[33:34], -v[39:40]
	v_fma_f64 v[99:100], v[101:102], v[37:38], v[99:100]
	v_add_f64 v[35:36], v[35:36], -v[99:100]
	ds_read2_b64 v[99:102], v125 offset0:88 offset1:89
	s_waitcnt lgkmcnt(0)
	v_mul_f64 v[39:40], v[101:102], v[97:98]
	v_fma_f64 v[39:40], v[99:100], v[37:38], -v[39:40]
	v_mul_f64 v[99:100], v[99:100], v[97:98]
	v_add_f64 v[29:30], v[29:30], -v[39:40]
	v_fma_f64 v[99:100], v[101:102], v[37:38], v[99:100]
	v_add_f64 v[31:32], v[31:32], -v[99:100]
	ds_read2_b64 v[99:102], v125 offset0:90 offset1:91
	;; [unrolled: 8-line block ×9, first 2 shown]
	s_waitcnt lgkmcnt(0)
	v_mul_f64 v[39:40], v[101:102], v[97:98]
	v_fma_f64 v[39:40], v[99:100], v[37:38], -v[39:40]
	v_mul_f64 v[99:100], v[99:100], v[97:98]
	v_add_f64 v[73:74], v[73:74], -v[39:40]
	v_fma_f64 v[99:100], v[101:102], v[37:38], v[99:100]
	v_mov_b32_e32 v39, v97
	v_mov_b32_e32 v40, v98
	v_add_f64 v[75:76], v[75:76], -v[99:100]
.LBB105_388:
	s_or_b64 exec, exec, s[2:3]
	v_cmp_eq_u32_e32 vcc, 43, v0
	s_waitcnt vmcnt(0)
	s_barrier
	s_and_saveexec_b64 s[4:5], vcc
	s_cbranch_execz .LBB105_395
; %bb.389:
	ds_write2_b64 v127, v[33:34], v[35:36] offset1:1
	ds_write2_b64 v125, v[29:30], v[31:32] offset0:88 offset1:89
	ds_write2_b64 v125, v[25:26], v[27:28] offset0:90 offset1:91
	ds_write2_b64 v125, v[21:22], v[23:24] offset0:92 offset1:93
	ds_write2_b64 v125, v[17:18], v[19:20] offset0:94 offset1:95
	ds_write2_b64 v125, v[13:14], v[15:16] offset0:96 offset1:97
	ds_write2_b64 v125, v[9:10], v[11:12] offset0:98 offset1:99
	ds_write2_b64 v125, v[5:6], v[7:8] offset0:100 offset1:101
	ds_write2_b64 v125, v[1:2], v[3:4] offset0:102 offset1:103
	ds_write2_b64 v125, v[73:74], v[75:76] offset0:104 offset1:105
	ds_read2_b64 v[97:100], v127 offset1:1
	s_waitcnt lgkmcnt(0)
	v_cmp_neq_f64_e32 vcc, 0, v[97:98]
	v_cmp_neq_f64_e64 s[2:3], 0, v[99:100]
	s_or_b64 s[2:3], vcc, s[2:3]
	s_and_b64 exec, exec, s[2:3]
	s_cbranch_execz .LBB105_395
; %bb.390:
	v_cmp_ngt_f64_e64 s[2:3], |v[97:98]|, |v[99:100]|
                                        ; implicit-def: $vgpr101_vgpr102
	s_and_saveexec_b64 s[6:7], s[2:3]
	s_xor_b64 s[2:3], exec, s[6:7]
                                        ; implicit-def: $vgpr103_vgpr104
	s_cbranch_execz .LBB105_392
; %bb.391:
	v_div_scale_f64 v[101:102], s[6:7], v[99:100], v[99:100], v[97:98]
	v_rcp_f64_e32 v[103:104], v[101:102]
	v_fma_f64 v[105:106], -v[101:102], v[103:104], 1.0
	v_fma_f64 v[103:104], v[103:104], v[105:106], v[103:104]
	v_div_scale_f64 v[105:106], vcc, v[97:98], v[99:100], v[97:98]
	v_fma_f64 v[107:108], -v[101:102], v[103:104], 1.0
	v_fma_f64 v[103:104], v[103:104], v[107:108], v[103:104]
	v_mul_f64 v[107:108], v[105:106], v[103:104]
	v_fma_f64 v[101:102], -v[101:102], v[107:108], v[105:106]
	v_div_fmas_f64 v[101:102], v[101:102], v[103:104], v[107:108]
	v_div_fixup_f64 v[101:102], v[101:102], v[99:100], v[97:98]
	v_fma_f64 v[97:98], v[97:98], v[101:102], v[99:100]
	v_div_scale_f64 v[99:100], s[6:7], v[97:98], v[97:98], 1.0
	v_div_scale_f64 v[107:108], vcc, 1.0, v[97:98], 1.0
	v_rcp_f64_e32 v[103:104], v[99:100]
	v_fma_f64 v[105:106], -v[99:100], v[103:104], 1.0
	v_fma_f64 v[103:104], v[103:104], v[105:106], v[103:104]
	v_fma_f64 v[105:106], -v[99:100], v[103:104], 1.0
	v_fma_f64 v[103:104], v[103:104], v[105:106], v[103:104]
	v_mul_f64 v[105:106], v[107:108], v[103:104]
	v_fma_f64 v[99:100], -v[99:100], v[105:106], v[107:108]
	v_div_fmas_f64 v[99:100], v[99:100], v[103:104], v[105:106]
	v_div_fixup_f64 v[103:104], v[99:100], v[97:98], 1.0
                                        ; implicit-def: $vgpr97_vgpr98
	v_mul_f64 v[101:102], v[101:102], v[103:104]
	v_xor_b32_e32 v104, 0x80000000, v104
.LBB105_392:
	s_andn2_saveexec_b64 s[2:3], s[2:3]
	s_cbranch_execz .LBB105_394
; %bb.393:
	v_div_scale_f64 v[101:102], s[6:7], v[97:98], v[97:98], v[99:100]
	v_rcp_f64_e32 v[103:104], v[101:102]
	v_fma_f64 v[105:106], -v[101:102], v[103:104], 1.0
	v_fma_f64 v[103:104], v[103:104], v[105:106], v[103:104]
	v_div_scale_f64 v[105:106], vcc, v[99:100], v[97:98], v[99:100]
	v_fma_f64 v[107:108], -v[101:102], v[103:104], 1.0
	v_fma_f64 v[103:104], v[103:104], v[107:108], v[103:104]
	v_mul_f64 v[107:108], v[105:106], v[103:104]
	v_fma_f64 v[101:102], -v[101:102], v[107:108], v[105:106]
	v_div_fmas_f64 v[101:102], v[101:102], v[103:104], v[107:108]
	v_div_fixup_f64 v[103:104], v[101:102], v[97:98], v[99:100]
	v_fma_f64 v[97:98], v[99:100], v[103:104], v[97:98]
	v_div_scale_f64 v[99:100], s[6:7], v[97:98], v[97:98], 1.0
	v_div_scale_f64 v[107:108], vcc, 1.0, v[97:98], 1.0
	v_rcp_f64_e32 v[101:102], v[99:100]
	v_fma_f64 v[105:106], -v[99:100], v[101:102], 1.0
	v_fma_f64 v[101:102], v[101:102], v[105:106], v[101:102]
	v_fma_f64 v[105:106], -v[99:100], v[101:102], 1.0
	v_fma_f64 v[101:102], v[101:102], v[105:106], v[101:102]
	v_mul_f64 v[105:106], v[107:108], v[101:102]
	v_fma_f64 v[99:100], -v[99:100], v[105:106], v[107:108]
	v_div_fmas_f64 v[99:100], v[99:100], v[101:102], v[105:106]
	v_div_fixup_f64 v[101:102], v[99:100], v[97:98], 1.0
	v_mul_f64 v[103:104], v[103:104], -v[101:102]
.LBB105_394:
	s_or_b64 exec, exec, s[2:3]
	ds_write2_b64 v127, v[101:102], v[103:104] offset1:1
.LBB105_395:
	s_or_b64 exec, exec, s[4:5]
	s_waitcnt lgkmcnt(0)
	s_barrier
	ds_read2_b64 v[69:72], v127 offset1:1
	v_cmp_lt_u32_e32 vcc, 43, v0
	s_waitcnt lgkmcnt(0)
	buffer_store_dword v69, off, s[20:23], 0 offset:1584 ; 4-byte Folded Spill
	s_nop 0
	buffer_store_dword v70, off, s[20:23], 0 offset:1588 ; 4-byte Folded Spill
	buffer_store_dword v71, off, s[20:23], 0 offset:1592 ; 4-byte Folded Spill
	;; [unrolled: 1-line block ×3, first 2 shown]
	s_and_saveexec_b64 s[2:3], vcc
	s_cbranch_execz .LBB105_397
; %bb.396:
	buffer_load_dword v69, off, s[20:23], 0 offset:1584 ; 4-byte Folded Reload
	buffer_load_dword v70, off, s[20:23], 0 offset:1588 ; 4-byte Folded Reload
	;; [unrolled: 1-line block ×4, first 2 shown]
	ds_read2_b64 v[99:102], v125 offset0:88 offset1:89
	s_waitcnt vmcnt(2)
	v_mul_f64 v[97:98], v[69:70], v[35:36]
	s_waitcnt vmcnt(0)
	v_mul_f64 v[35:36], v[71:72], v[35:36]
	v_fma_f64 v[97:98], v[71:72], v[33:34], v[97:98]
	v_fma_f64 v[33:34], v[69:70], v[33:34], -v[35:36]
	s_waitcnt lgkmcnt(0)
	v_mul_f64 v[35:36], v[101:102], v[97:98]
	v_fma_f64 v[35:36], v[99:100], v[33:34], -v[35:36]
	v_mul_f64 v[99:100], v[99:100], v[97:98]
	v_add_f64 v[29:30], v[29:30], -v[35:36]
	v_fma_f64 v[99:100], v[101:102], v[33:34], v[99:100]
	v_add_f64 v[31:32], v[31:32], -v[99:100]
	ds_read2_b64 v[99:102], v125 offset0:90 offset1:91
	s_waitcnt lgkmcnt(0)
	v_mul_f64 v[35:36], v[101:102], v[97:98]
	v_fma_f64 v[35:36], v[99:100], v[33:34], -v[35:36]
	v_mul_f64 v[99:100], v[99:100], v[97:98]
	v_add_f64 v[25:26], v[25:26], -v[35:36]
	v_fma_f64 v[99:100], v[101:102], v[33:34], v[99:100]
	v_add_f64 v[27:28], v[27:28], -v[99:100]
	ds_read2_b64 v[99:102], v125 offset0:92 offset1:93
	;; [unrolled: 8-line block ×8, first 2 shown]
	s_waitcnt lgkmcnt(0)
	v_mul_f64 v[35:36], v[101:102], v[97:98]
	v_fma_f64 v[35:36], v[99:100], v[33:34], -v[35:36]
	v_mul_f64 v[99:100], v[99:100], v[97:98]
	v_add_f64 v[73:74], v[73:74], -v[35:36]
	v_fma_f64 v[99:100], v[101:102], v[33:34], v[99:100]
	v_mov_b32_e32 v35, v97
	v_mov_b32_e32 v36, v98
	v_add_f64 v[75:76], v[75:76], -v[99:100]
.LBB105_397:
	s_or_b64 exec, exec, s[2:3]
	v_cmp_eq_u32_e32 vcc, 44, v0
	s_waitcnt vmcnt(0)
	s_barrier
	s_and_saveexec_b64 s[4:5], vcc
	s_cbranch_execz .LBB105_404
; %bb.398:
	ds_write2_b64 v127, v[29:30], v[31:32] offset1:1
	ds_write2_b64 v125, v[25:26], v[27:28] offset0:90 offset1:91
	ds_write2_b64 v125, v[21:22], v[23:24] offset0:92 offset1:93
	;; [unrolled: 1-line block ×8, first 2 shown]
	ds_read2_b64 v[97:100], v127 offset1:1
	s_waitcnt lgkmcnt(0)
	v_cmp_neq_f64_e32 vcc, 0, v[97:98]
	v_cmp_neq_f64_e64 s[2:3], 0, v[99:100]
	s_or_b64 s[2:3], vcc, s[2:3]
	s_and_b64 exec, exec, s[2:3]
	s_cbranch_execz .LBB105_404
; %bb.399:
	v_cmp_ngt_f64_e64 s[2:3], |v[97:98]|, |v[99:100]|
                                        ; implicit-def: $vgpr101_vgpr102
	s_and_saveexec_b64 s[6:7], s[2:3]
	s_xor_b64 s[2:3], exec, s[6:7]
                                        ; implicit-def: $vgpr103_vgpr104
	s_cbranch_execz .LBB105_401
; %bb.400:
	v_div_scale_f64 v[101:102], s[6:7], v[99:100], v[99:100], v[97:98]
	v_rcp_f64_e32 v[103:104], v[101:102]
	v_fma_f64 v[105:106], -v[101:102], v[103:104], 1.0
	v_fma_f64 v[103:104], v[103:104], v[105:106], v[103:104]
	v_div_scale_f64 v[105:106], vcc, v[97:98], v[99:100], v[97:98]
	v_fma_f64 v[107:108], -v[101:102], v[103:104], 1.0
	v_fma_f64 v[103:104], v[103:104], v[107:108], v[103:104]
	v_mul_f64 v[107:108], v[105:106], v[103:104]
	v_fma_f64 v[101:102], -v[101:102], v[107:108], v[105:106]
	v_div_fmas_f64 v[101:102], v[101:102], v[103:104], v[107:108]
	v_div_fixup_f64 v[101:102], v[101:102], v[99:100], v[97:98]
	v_fma_f64 v[97:98], v[97:98], v[101:102], v[99:100]
	v_div_scale_f64 v[99:100], s[6:7], v[97:98], v[97:98], 1.0
	v_div_scale_f64 v[107:108], vcc, 1.0, v[97:98], 1.0
	v_rcp_f64_e32 v[103:104], v[99:100]
	v_fma_f64 v[105:106], -v[99:100], v[103:104], 1.0
	v_fma_f64 v[103:104], v[103:104], v[105:106], v[103:104]
	v_fma_f64 v[105:106], -v[99:100], v[103:104], 1.0
	v_fma_f64 v[103:104], v[103:104], v[105:106], v[103:104]
	v_mul_f64 v[105:106], v[107:108], v[103:104]
	v_fma_f64 v[99:100], -v[99:100], v[105:106], v[107:108]
	v_div_fmas_f64 v[99:100], v[99:100], v[103:104], v[105:106]
	v_div_fixup_f64 v[103:104], v[99:100], v[97:98], 1.0
                                        ; implicit-def: $vgpr97_vgpr98
	v_mul_f64 v[101:102], v[101:102], v[103:104]
	v_xor_b32_e32 v104, 0x80000000, v104
.LBB105_401:
	s_andn2_saveexec_b64 s[2:3], s[2:3]
	s_cbranch_execz .LBB105_403
; %bb.402:
	v_div_scale_f64 v[101:102], s[6:7], v[97:98], v[97:98], v[99:100]
	v_rcp_f64_e32 v[103:104], v[101:102]
	v_fma_f64 v[105:106], -v[101:102], v[103:104], 1.0
	v_fma_f64 v[103:104], v[103:104], v[105:106], v[103:104]
	v_div_scale_f64 v[105:106], vcc, v[99:100], v[97:98], v[99:100]
	v_fma_f64 v[107:108], -v[101:102], v[103:104], 1.0
	v_fma_f64 v[103:104], v[103:104], v[107:108], v[103:104]
	v_mul_f64 v[107:108], v[105:106], v[103:104]
	v_fma_f64 v[101:102], -v[101:102], v[107:108], v[105:106]
	v_div_fmas_f64 v[101:102], v[101:102], v[103:104], v[107:108]
	v_div_fixup_f64 v[103:104], v[101:102], v[97:98], v[99:100]
	v_fma_f64 v[97:98], v[99:100], v[103:104], v[97:98]
	v_div_scale_f64 v[99:100], s[6:7], v[97:98], v[97:98], 1.0
	v_div_scale_f64 v[107:108], vcc, 1.0, v[97:98], 1.0
	v_rcp_f64_e32 v[101:102], v[99:100]
	v_fma_f64 v[105:106], -v[99:100], v[101:102], 1.0
	v_fma_f64 v[101:102], v[101:102], v[105:106], v[101:102]
	v_fma_f64 v[105:106], -v[99:100], v[101:102], 1.0
	v_fma_f64 v[101:102], v[101:102], v[105:106], v[101:102]
	v_mul_f64 v[105:106], v[107:108], v[101:102]
	v_fma_f64 v[99:100], -v[99:100], v[105:106], v[107:108]
	v_div_fmas_f64 v[99:100], v[99:100], v[101:102], v[105:106]
	v_div_fixup_f64 v[101:102], v[99:100], v[97:98], 1.0
	v_mul_f64 v[103:104], v[103:104], -v[101:102]
.LBB105_403:
	s_or_b64 exec, exec, s[2:3]
	ds_write2_b64 v127, v[101:102], v[103:104] offset1:1
.LBB105_404:
	s_or_b64 exec, exec, s[4:5]
	s_waitcnt lgkmcnt(0)
	s_barrier
	ds_read2_b64 v[69:72], v127 offset1:1
	v_cmp_lt_u32_e32 vcc, 44, v0
	s_waitcnt lgkmcnt(0)
	buffer_store_dword v69, off, s[20:23], 0 offset:1600 ; 4-byte Folded Spill
	s_nop 0
	buffer_store_dword v70, off, s[20:23], 0 offset:1604 ; 4-byte Folded Spill
	buffer_store_dword v71, off, s[20:23], 0 offset:1608 ; 4-byte Folded Spill
	;; [unrolled: 1-line block ×3, first 2 shown]
	s_and_saveexec_b64 s[2:3], vcc
	s_cbranch_execz .LBB105_406
; %bb.405:
	buffer_load_dword v69, off, s[20:23], 0 offset:1600 ; 4-byte Folded Reload
	buffer_load_dword v70, off, s[20:23], 0 offset:1604 ; 4-byte Folded Reload
	;; [unrolled: 1-line block ×4, first 2 shown]
	ds_read2_b64 v[99:102], v125 offset0:90 offset1:91
	s_waitcnt vmcnt(2)
	v_mul_f64 v[97:98], v[69:70], v[31:32]
	s_waitcnt vmcnt(0)
	v_mul_f64 v[31:32], v[71:72], v[31:32]
	v_fma_f64 v[97:98], v[71:72], v[29:30], v[97:98]
	v_fma_f64 v[29:30], v[69:70], v[29:30], -v[31:32]
	s_waitcnt lgkmcnt(0)
	v_mul_f64 v[31:32], v[101:102], v[97:98]
	v_fma_f64 v[31:32], v[99:100], v[29:30], -v[31:32]
	v_mul_f64 v[99:100], v[99:100], v[97:98]
	v_add_f64 v[25:26], v[25:26], -v[31:32]
	v_fma_f64 v[99:100], v[101:102], v[29:30], v[99:100]
	v_add_f64 v[27:28], v[27:28], -v[99:100]
	ds_read2_b64 v[99:102], v125 offset0:92 offset1:93
	s_waitcnt lgkmcnt(0)
	v_mul_f64 v[31:32], v[101:102], v[97:98]
	v_fma_f64 v[31:32], v[99:100], v[29:30], -v[31:32]
	v_mul_f64 v[99:100], v[99:100], v[97:98]
	v_add_f64 v[21:22], v[21:22], -v[31:32]
	v_fma_f64 v[99:100], v[101:102], v[29:30], v[99:100]
	v_add_f64 v[23:24], v[23:24], -v[99:100]
	ds_read2_b64 v[99:102], v125 offset0:94 offset1:95
	;; [unrolled: 8-line block ×7, first 2 shown]
	s_waitcnt lgkmcnt(0)
	v_mul_f64 v[31:32], v[101:102], v[97:98]
	v_fma_f64 v[31:32], v[99:100], v[29:30], -v[31:32]
	v_mul_f64 v[99:100], v[99:100], v[97:98]
	v_add_f64 v[73:74], v[73:74], -v[31:32]
	v_fma_f64 v[99:100], v[101:102], v[29:30], v[99:100]
	v_mov_b32_e32 v31, v97
	v_mov_b32_e32 v32, v98
	v_add_f64 v[75:76], v[75:76], -v[99:100]
.LBB105_406:
	s_or_b64 exec, exec, s[2:3]
	v_cmp_eq_u32_e32 vcc, 45, v0
	s_waitcnt vmcnt(0)
	s_barrier
	s_and_saveexec_b64 s[4:5], vcc
	s_cbranch_execz .LBB105_413
; %bb.407:
	ds_write2_b64 v127, v[25:26], v[27:28] offset1:1
	ds_write2_b64 v125, v[21:22], v[23:24] offset0:92 offset1:93
	ds_write2_b64 v125, v[17:18], v[19:20] offset0:94 offset1:95
	;; [unrolled: 1-line block ×7, first 2 shown]
	ds_read2_b64 v[97:100], v127 offset1:1
	s_waitcnt lgkmcnt(0)
	v_cmp_neq_f64_e32 vcc, 0, v[97:98]
	v_cmp_neq_f64_e64 s[2:3], 0, v[99:100]
	s_or_b64 s[2:3], vcc, s[2:3]
	s_and_b64 exec, exec, s[2:3]
	s_cbranch_execz .LBB105_413
; %bb.408:
	v_cmp_ngt_f64_e64 s[2:3], |v[97:98]|, |v[99:100]|
                                        ; implicit-def: $vgpr101_vgpr102
	s_and_saveexec_b64 s[6:7], s[2:3]
	s_xor_b64 s[2:3], exec, s[6:7]
                                        ; implicit-def: $vgpr103_vgpr104
	s_cbranch_execz .LBB105_410
; %bb.409:
	v_div_scale_f64 v[101:102], s[6:7], v[99:100], v[99:100], v[97:98]
	v_rcp_f64_e32 v[103:104], v[101:102]
	v_fma_f64 v[105:106], -v[101:102], v[103:104], 1.0
	v_fma_f64 v[103:104], v[103:104], v[105:106], v[103:104]
	v_div_scale_f64 v[105:106], vcc, v[97:98], v[99:100], v[97:98]
	v_fma_f64 v[107:108], -v[101:102], v[103:104], 1.0
	v_fma_f64 v[103:104], v[103:104], v[107:108], v[103:104]
	v_mul_f64 v[107:108], v[105:106], v[103:104]
	v_fma_f64 v[101:102], -v[101:102], v[107:108], v[105:106]
	v_div_fmas_f64 v[101:102], v[101:102], v[103:104], v[107:108]
	v_div_fixup_f64 v[101:102], v[101:102], v[99:100], v[97:98]
	v_fma_f64 v[97:98], v[97:98], v[101:102], v[99:100]
	v_div_scale_f64 v[99:100], s[6:7], v[97:98], v[97:98], 1.0
	v_div_scale_f64 v[107:108], vcc, 1.0, v[97:98], 1.0
	v_rcp_f64_e32 v[103:104], v[99:100]
	v_fma_f64 v[105:106], -v[99:100], v[103:104], 1.0
	v_fma_f64 v[103:104], v[103:104], v[105:106], v[103:104]
	v_fma_f64 v[105:106], -v[99:100], v[103:104], 1.0
	v_fma_f64 v[103:104], v[103:104], v[105:106], v[103:104]
	v_mul_f64 v[105:106], v[107:108], v[103:104]
	v_fma_f64 v[99:100], -v[99:100], v[105:106], v[107:108]
	v_div_fmas_f64 v[99:100], v[99:100], v[103:104], v[105:106]
	v_div_fixup_f64 v[103:104], v[99:100], v[97:98], 1.0
                                        ; implicit-def: $vgpr97_vgpr98
	v_mul_f64 v[101:102], v[101:102], v[103:104]
	v_xor_b32_e32 v104, 0x80000000, v104
.LBB105_410:
	s_andn2_saveexec_b64 s[2:3], s[2:3]
	s_cbranch_execz .LBB105_412
; %bb.411:
	v_div_scale_f64 v[101:102], s[6:7], v[97:98], v[97:98], v[99:100]
	v_rcp_f64_e32 v[103:104], v[101:102]
	v_fma_f64 v[105:106], -v[101:102], v[103:104], 1.0
	v_fma_f64 v[103:104], v[103:104], v[105:106], v[103:104]
	v_div_scale_f64 v[105:106], vcc, v[99:100], v[97:98], v[99:100]
	v_fma_f64 v[107:108], -v[101:102], v[103:104], 1.0
	v_fma_f64 v[103:104], v[103:104], v[107:108], v[103:104]
	v_mul_f64 v[107:108], v[105:106], v[103:104]
	v_fma_f64 v[101:102], -v[101:102], v[107:108], v[105:106]
	v_div_fmas_f64 v[101:102], v[101:102], v[103:104], v[107:108]
	v_div_fixup_f64 v[103:104], v[101:102], v[97:98], v[99:100]
	v_fma_f64 v[97:98], v[99:100], v[103:104], v[97:98]
	v_div_scale_f64 v[99:100], s[6:7], v[97:98], v[97:98], 1.0
	v_div_scale_f64 v[107:108], vcc, 1.0, v[97:98], 1.0
	v_rcp_f64_e32 v[101:102], v[99:100]
	v_fma_f64 v[105:106], -v[99:100], v[101:102], 1.0
	v_fma_f64 v[101:102], v[101:102], v[105:106], v[101:102]
	v_fma_f64 v[105:106], -v[99:100], v[101:102], 1.0
	v_fma_f64 v[101:102], v[101:102], v[105:106], v[101:102]
	v_mul_f64 v[105:106], v[107:108], v[101:102]
	v_fma_f64 v[99:100], -v[99:100], v[105:106], v[107:108]
	v_div_fmas_f64 v[99:100], v[99:100], v[101:102], v[105:106]
	v_div_fixup_f64 v[101:102], v[99:100], v[97:98], 1.0
	v_mul_f64 v[103:104], v[103:104], -v[101:102]
.LBB105_412:
	s_or_b64 exec, exec, s[2:3]
	ds_write2_b64 v127, v[101:102], v[103:104] offset1:1
.LBB105_413:
	s_or_b64 exec, exec, s[4:5]
	s_waitcnt lgkmcnt(0)
	s_barrier
	ds_read2_b64 v[69:72], v127 offset1:1
	v_cmp_lt_u32_e32 vcc, 45, v0
	s_waitcnt lgkmcnt(0)
	buffer_store_dword v69, off, s[20:23], 0 offset:1616 ; 4-byte Folded Spill
	s_nop 0
	buffer_store_dword v70, off, s[20:23], 0 offset:1620 ; 4-byte Folded Spill
	buffer_store_dword v71, off, s[20:23], 0 offset:1624 ; 4-byte Folded Spill
	;; [unrolled: 1-line block ×3, first 2 shown]
	s_and_saveexec_b64 s[2:3], vcc
	s_cbranch_execz .LBB105_415
; %bb.414:
	buffer_load_dword v69, off, s[20:23], 0 offset:1616 ; 4-byte Folded Reload
	buffer_load_dword v70, off, s[20:23], 0 offset:1620 ; 4-byte Folded Reload
	;; [unrolled: 1-line block ×4, first 2 shown]
	ds_read2_b64 v[99:102], v125 offset0:92 offset1:93
	s_waitcnt vmcnt(2)
	v_mul_f64 v[97:98], v[69:70], v[27:28]
	s_waitcnt vmcnt(0)
	v_mul_f64 v[27:28], v[71:72], v[27:28]
	v_fma_f64 v[97:98], v[71:72], v[25:26], v[97:98]
	v_fma_f64 v[25:26], v[69:70], v[25:26], -v[27:28]
	s_waitcnt lgkmcnt(0)
	v_mul_f64 v[27:28], v[101:102], v[97:98]
	v_fma_f64 v[27:28], v[99:100], v[25:26], -v[27:28]
	v_mul_f64 v[99:100], v[99:100], v[97:98]
	v_add_f64 v[21:22], v[21:22], -v[27:28]
	v_fma_f64 v[99:100], v[101:102], v[25:26], v[99:100]
	v_add_f64 v[23:24], v[23:24], -v[99:100]
	ds_read2_b64 v[99:102], v125 offset0:94 offset1:95
	s_waitcnt lgkmcnt(0)
	v_mul_f64 v[27:28], v[101:102], v[97:98]
	v_fma_f64 v[27:28], v[99:100], v[25:26], -v[27:28]
	v_mul_f64 v[99:100], v[99:100], v[97:98]
	v_add_f64 v[17:18], v[17:18], -v[27:28]
	v_fma_f64 v[99:100], v[101:102], v[25:26], v[99:100]
	v_add_f64 v[19:20], v[19:20], -v[99:100]
	ds_read2_b64 v[99:102], v125 offset0:96 offset1:97
	;; [unrolled: 8-line block ×6, first 2 shown]
	s_waitcnt lgkmcnt(0)
	v_mul_f64 v[27:28], v[101:102], v[97:98]
	v_fma_f64 v[27:28], v[99:100], v[25:26], -v[27:28]
	v_mul_f64 v[99:100], v[99:100], v[97:98]
	v_add_f64 v[73:74], v[73:74], -v[27:28]
	v_fma_f64 v[99:100], v[101:102], v[25:26], v[99:100]
	v_mov_b32_e32 v27, v97
	v_mov_b32_e32 v28, v98
	v_add_f64 v[75:76], v[75:76], -v[99:100]
.LBB105_415:
	s_or_b64 exec, exec, s[2:3]
	v_cmp_eq_u32_e32 vcc, 46, v0
	s_waitcnt vmcnt(0)
	s_barrier
	s_and_saveexec_b64 s[4:5], vcc
	s_cbranch_execz .LBB105_422
; %bb.416:
	ds_write2_b64 v127, v[21:22], v[23:24] offset1:1
	ds_write2_b64 v125, v[17:18], v[19:20] offset0:94 offset1:95
	ds_write2_b64 v125, v[13:14], v[15:16] offset0:96 offset1:97
	;; [unrolled: 1-line block ×6, first 2 shown]
	ds_read2_b64 v[97:100], v127 offset1:1
	s_waitcnt lgkmcnt(0)
	v_cmp_neq_f64_e32 vcc, 0, v[97:98]
	v_cmp_neq_f64_e64 s[2:3], 0, v[99:100]
	s_or_b64 s[2:3], vcc, s[2:3]
	s_and_b64 exec, exec, s[2:3]
	s_cbranch_execz .LBB105_422
; %bb.417:
	v_cmp_ngt_f64_e64 s[2:3], |v[97:98]|, |v[99:100]|
                                        ; implicit-def: $vgpr101_vgpr102
	s_and_saveexec_b64 s[6:7], s[2:3]
	s_xor_b64 s[2:3], exec, s[6:7]
                                        ; implicit-def: $vgpr103_vgpr104
	s_cbranch_execz .LBB105_419
; %bb.418:
	v_div_scale_f64 v[101:102], s[6:7], v[99:100], v[99:100], v[97:98]
	v_rcp_f64_e32 v[103:104], v[101:102]
	v_fma_f64 v[105:106], -v[101:102], v[103:104], 1.0
	v_fma_f64 v[103:104], v[103:104], v[105:106], v[103:104]
	v_div_scale_f64 v[105:106], vcc, v[97:98], v[99:100], v[97:98]
	v_fma_f64 v[107:108], -v[101:102], v[103:104], 1.0
	v_fma_f64 v[103:104], v[103:104], v[107:108], v[103:104]
	v_mul_f64 v[107:108], v[105:106], v[103:104]
	v_fma_f64 v[101:102], -v[101:102], v[107:108], v[105:106]
	v_div_fmas_f64 v[101:102], v[101:102], v[103:104], v[107:108]
	v_div_fixup_f64 v[101:102], v[101:102], v[99:100], v[97:98]
	v_fma_f64 v[97:98], v[97:98], v[101:102], v[99:100]
	v_div_scale_f64 v[99:100], s[6:7], v[97:98], v[97:98], 1.0
	v_div_scale_f64 v[107:108], vcc, 1.0, v[97:98], 1.0
	v_rcp_f64_e32 v[103:104], v[99:100]
	v_fma_f64 v[105:106], -v[99:100], v[103:104], 1.0
	v_fma_f64 v[103:104], v[103:104], v[105:106], v[103:104]
	v_fma_f64 v[105:106], -v[99:100], v[103:104], 1.0
	v_fma_f64 v[103:104], v[103:104], v[105:106], v[103:104]
	v_mul_f64 v[105:106], v[107:108], v[103:104]
	v_fma_f64 v[99:100], -v[99:100], v[105:106], v[107:108]
	v_div_fmas_f64 v[99:100], v[99:100], v[103:104], v[105:106]
	v_div_fixup_f64 v[103:104], v[99:100], v[97:98], 1.0
                                        ; implicit-def: $vgpr97_vgpr98
	v_mul_f64 v[101:102], v[101:102], v[103:104]
	v_xor_b32_e32 v104, 0x80000000, v104
.LBB105_419:
	s_andn2_saveexec_b64 s[2:3], s[2:3]
	s_cbranch_execz .LBB105_421
; %bb.420:
	v_div_scale_f64 v[101:102], s[6:7], v[97:98], v[97:98], v[99:100]
	v_rcp_f64_e32 v[103:104], v[101:102]
	v_fma_f64 v[105:106], -v[101:102], v[103:104], 1.0
	v_fma_f64 v[103:104], v[103:104], v[105:106], v[103:104]
	v_div_scale_f64 v[105:106], vcc, v[99:100], v[97:98], v[99:100]
	v_fma_f64 v[107:108], -v[101:102], v[103:104], 1.0
	v_fma_f64 v[103:104], v[103:104], v[107:108], v[103:104]
	v_mul_f64 v[107:108], v[105:106], v[103:104]
	v_fma_f64 v[101:102], -v[101:102], v[107:108], v[105:106]
	v_div_fmas_f64 v[101:102], v[101:102], v[103:104], v[107:108]
	v_div_fixup_f64 v[103:104], v[101:102], v[97:98], v[99:100]
	v_fma_f64 v[97:98], v[99:100], v[103:104], v[97:98]
	v_div_scale_f64 v[99:100], s[6:7], v[97:98], v[97:98], 1.0
	v_div_scale_f64 v[107:108], vcc, 1.0, v[97:98], 1.0
	v_rcp_f64_e32 v[101:102], v[99:100]
	v_fma_f64 v[105:106], -v[99:100], v[101:102], 1.0
	v_fma_f64 v[101:102], v[101:102], v[105:106], v[101:102]
	v_fma_f64 v[105:106], -v[99:100], v[101:102], 1.0
	v_fma_f64 v[101:102], v[101:102], v[105:106], v[101:102]
	v_mul_f64 v[105:106], v[107:108], v[101:102]
	v_fma_f64 v[99:100], -v[99:100], v[105:106], v[107:108]
	v_div_fmas_f64 v[99:100], v[99:100], v[101:102], v[105:106]
	v_div_fixup_f64 v[101:102], v[99:100], v[97:98], 1.0
	v_mul_f64 v[103:104], v[103:104], -v[101:102]
.LBB105_421:
	s_or_b64 exec, exec, s[2:3]
	ds_write2_b64 v127, v[101:102], v[103:104] offset1:1
.LBB105_422:
	s_or_b64 exec, exec, s[4:5]
	s_waitcnt lgkmcnt(0)
	s_barrier
	ds_read2_b64 v[69:72], v127 offset1:1
	v_cmp_lt_u32_e32 vcc, 46, v0
	s_waitcnt lgkmcnt(0)
	buffer_store_dword v69, off, s[20:23], 0 offset:1632 ; 4-byte Folded Spill
	s_nop 0
	buffer_store_dword v70, off, s[20:23], 0 offset:1636 ; 4-byte Folded Spill
	buffer_store_dword v71, off, s[20:23], 0 offset:1640 ; 4-byte Folded Spill
	;; [unrolled: 1-line block ×3, first 2 shown]
	s_and_saveexec_b64 s[2:3], vcc
	s_cbranch_execz .LBB105_424
; %bb.423:
	buffer_load_dword v69, off, s[20:23], 0 offset:1632 ; 4-byte Folded Reload
	buffer_load_dword v70, off, s[20:23], 0 offset:1636 ; 4-byte Folded Reload
	;; [unrolled: 1-line block ×4, first 2 shown]
	ds_read2_b64 v[99:102], v125 offset0:94 offset1:95
	s_waitcnt vmcnt(2)
	v_mul_f64 v[97:98], v[69:70], v[23:24]
	s_waitcnt vmcnt(0)
	v_mul_f64 v[23:24], v[71:72], v[23:24]
	v_fma_f64 v[97:98], v[71:72], v[21:22], v[97:98]
	v_fma_f64 v[21:22], v[69:70], v[21:22], -v[23:24]
	s_waitcnt lgkmcnt(0)
	v_mul_f64 v[23:24], v[101:102], v[97:98]
	v_fma_f64 v[23:24], v[99:100], v[21:22], -v[23:24]
	v_mul_f64 v[99:100], v[99:100], v[97:98]
	v_add_f64 v[17:18], v[17:18], -v[23:24]
	v_fma_f64 v[99:100], v[101:102], v[21:22], v[99:100]
	v_add_f64 v[19:20], v[19:20], -v[99:100]
	ds_read2_b64 v[99:102], v125 offset0:96 offset1:97
	s_waitcnt lgkmcnt(0)
	v_mul_f64 v[23:24], v[101:102], v[97:98]
	v_fma_f64 v[23:24], v[99:100], v[21:22], -v[23:24]
	v_mul_f64 v[99:100], v[99:100], v[97:98]
	v_add_f64 v[13:14], v[13:14], -v[23:24]
	v_fma_f64 v[99:100], v[101:102], v[21:22], v[99:100]
	v_add_f64 v[15:16], v[15:16], -v[99:100]
	ds_read2_b64 v[99:102], v125 offset0:98 offset1:99
	;; [unrolled: 8-line block ×5, first 2 shown]
	s_waitcnt lgkmcnt(0)
	v_mul_f64 v[23:24], v[101:102], v[97:98]
	v_fma_f64 v[23:24], v[99:100], v[21:22], -v[23:24]
	v_mul_f64 v[99:100], v[99:100], v[97:98]
	v_add_f64 v[73:74], v[73:74], -v[23:24]
	v_fma_f64 v[99:100], v[101:102], v[21:22], v[99:100]
	v_mov_b32_e32 v23, v97
	v_mov_b32_e32 v24, v98
	v_add_f64 v[75:76], v[75:76], -v[99:100]
.LBB105_424:
	s_or_b64 exec, exec, s[2:3]
	v_cmp_eq_u32_e32 vcc, 47, v0
	s_waitcnt vmcnt(0)
	s_barrier
	s_and_saveexec_b64 s[4:5], vcc
	s_cbranch_execz .LBB105_431
; %bb.425:
	ds_write2_b64 v127, v[17:18], v[19:20] offset1:1
	ds_write2_b64 v125, v[13:14], v[15:16] offset0:96 offset1:97
	ds_write2_b64 v125, v[9:10], v[11:12] offset0:98 offset1:99
	ds_write2_b64 v125, v[5:6], v[7:8] offset0:100 offset1:101
	ds_write2_b64 v125, v[1:2], v[3:4] offset0:102 offset1:103
	ds_write2_b64 v125, v[73:74], v[75:76] offset0:104 offset1:105
	ds_read2_b64 v[97:100], v127 offset1:1
	s_waitcnt lgkmcnt(0)
	v_cmp_neq_f64_e32 vcc, 0, v[97:98]
	v_cmp_neq_f64_e64 s[2:3], 0, v[99:100]
	s_or_b64 s[2:3], vcc, s[2:3]
	s_and_b64 exec, exec, s[2:3]
	s_cbranch_execz .LBB105_431
; %bb.426:
	v_cmp_ngt_f64_e64 s[2:3], |v[97:98]|, |v[99:100]|
                                        ; implicit-def: $vgpr101_vgpr102
	s_and_saveexec_b64 s[6:7], s[2:3]
	s_xor_b64 s[2:3], exec, s[6:7]
                                        ; implicit-def: $vgpr103_vgpr104
	s_cbranch_execz .LBB105_428
; %bb.427:
	v_div_scale_f64 v[101:102], s[6:7], v[99:100], v[99:100], v[97:98]
	v_rcp_f64_e32 v[103:104], v[101:102]
	v_fma_f64 v[105:106], -v[101:102], v[103:104], 1.0
	v_fma_f64 v[103:104], v[103:104], v[105:106], v[103:104]
	v_div_scale_f64 v[105:106], vcc, v[97:98], v[99:100], v[97:98]
	v_fma_f64 v[107:108], -v[101:102], v[103:104], 1.0
	v_fma_f64 v[103:104], v[103:104], v[107:108], v[103:104]
	v_mul_f64 v[107:108], v[105:106], v[103:104]
	v_fma_f64 v[101:102], -v[101:102], v[107:108], v[105:106]
	v_div_fmas_f64 v[101:102], v[101:102], v[103:104], v[107:108]
	v_div_fixup_f64 v[101:102], v[101:102], v[99:100], v[97:98]
	v_fma_f64 v[97:98], v[97:98], v[101:102], v[99:100]
	v_div_scale_f64 v[99:100], s[6:7], v[97:98], v[97:98], 1.0
	v_div_scale_f64 v[107:108], vcc, 1.0, v[97:98], 1.0
	v_rcp_f64_e32 v[103:104], v[99:100]
	v_fma_f64 v[105:106], -v[99:100], v[103:104], 1.0
	v_fma_f64 v[103:104], v[103:104], v[105:106], v[103:104]
	v_fma_f64 v[105:106], -v[99:100], v[103:104], 1.0
	v_fma_f64 v[103:104], v[103:104], v[105:106], v[103:104]
	v_mul_f64 v[105:106], v[107:108], v[103:104]
	v_fma_f64 v[99:100], -v[99:100], v[105:106], v[107:108]
	v_div_fmas_f64 v[99:100], v[99:100], v[103:104], v[105:106]
	v_div_fixup_f64 v[103:104], v[99:100], v[97:98], 1.0
                                        ; implicit-def: $vgpr97_vgpr98
	v_mul_f64 v[101:102], v[101:102], v[103:104]
	v_xor_b32_e32 v104, 0x80000000, v104
.LBB105_428:
	s_andn2_saveexec_b64 s[2:3], s[2:3]
	s_cbranch_execz .LBB105_430
; %bb.429:
	v_div_scale_f64 v[101:102], s[6:7], v[97:98], v[97:98], v[99:100]
	v_rcp_f64_e32 v[103:104], v[101:102]
	v_fma_f64 v[105:106], -v[101:102], v[103:104], 1.0
	v_fma_f64 v[103:104], v[103:104], v[105:106], v[103:104]
	v_div_scale_f64 v[105:106], vcc, v[99:100], v[97:98], v[99:100]
	v_fma_f64 v[107:108], -v[101:102], v[103:104], 1.0
	v_fma_f64 v[103:104], v[103:104], v[107:108], v[103:104]
	v_mul_f64 v[107:108], v[105:106], v[103:104]
	v_fma_f64 v[101:102], -v[101:102], v[107:108], v[105:106]
	v_div_fmas_f64 v[101:102], v[101:102], v[103:104], v[107:108]
	v_div_fixup_f64 v[103:104], v[101:102], v[97:98], v[99:100]
	v_fma_f64 v[97:98], v[99:100], v[103:104], v[97:98]
	v_div_scale_f64 v[99:100], s[6:7], v[97:98], v[97:98], 1.0
	v_div_scale_f64 v[107:108], vcc, 1.0, v[97:98], 1.0
	v_rcp_f64_e32 v[101:102], v[99:100]
	v_fma_f64 v[105:106], -v[99:100], v[101:102], 1.0
	v_fma_f64 v[101:102], v[101:102], v[105:106], v[101:102]
	v_fma_f64 v[105:106], -v[99:100], v[101:102], 1.0
	v_fma_f64 v[101:102], v[101:102], v[105:106], v[101:102]
	v_mul_f64 v[105:106], v[107:108], v[101:102]
	v_fma_f64 v[99:100], -v[99:100], v[105:106], v[107:108]
	v_div_fmas_f64 v[99:100], v[99:100], v[101:102], v[105:106]
	v_div_fixup_f64 v[101:102], v[99:100], v[97:98], 1.0
	v_mul_f64 v[103:104], v[103:104], -v[101:102]
.LBB105_430:
	s_or_b64 exec, exec, s[2:3]
	ds_write2_b64 v127, v[101:102], v[103:104] offset1:1
.LBB105_431:
	s_or_b64 exec, exec, s[4:5]
	s_waitcnt lgkmcnt(0)
	s_barrier
	ds_read2_b64 v[69:72], v127 offset1:1
	v_cmp_lt_u32_e32 vcc, 47, v0
	s_waitcnt lgkmcnt(0)
	buffer_store_dword v69, off, s[20:23], 0 offset:1648 ; 4-byte Folded Spill
	s_nop 0
	buffer_store_dword v70, off, s[20:23], 0 offset:1652 ; 4-byte Folded Spill
	buffer_store_dword v71, off, s[20:23], 0 offset:1656 ; 4-byte Folded Spill
	buffer_store_dword v72, off, s[20:23], 0 offset:1660 ; 4-byte Folded Spill
	s_and_saveexec_b64 s[2:3], vcc
	s_cbranch_execz .LBB105_433
; %bb.432:
	buffer_load_dword v69, off, s[20:23], 0 offset:1648 ; 4-byte Folded Reload
	buffer_load_dword v70, off, s[20:23], 0 offset:1652 ; 4-byte Folded Reload
	;; [unrolled: 1-line block ×4, first 2 shown]
	s_waitcnt vmcnt(2)
	v_mul_f64 v[97:98], v[69:70], v[19:20]
	s_waitcnt vmcnt(0)
	v_mul_f64 v[19:20], v[71:72], v[19:20]
	v_fma_f64 v[101:102], v[71:72], v[17:18], v[97:98]
	ds_read2_b64 v[97:100], v125 offset0:96 offset1:97
	v_fma_f64 v[17:18], v[69:70], v[17:18], -v[19:20]
	s_waitcnt lgkmcnt(0)
	v_mul_f64 v[19:20], v[99:100], v[101:102]
	v_fma_f64 v[19:20], v[97:98], v[17:18], -v[19:20]
	v_mul_f64 v[97:98], v[97:98], v[101:102]
	v_add_f64 v[13:14], v[13:14], -v[19:20]
	v_fma_f64 v[97:98], v[99:100], v[17:18], v[97:98]
	v_add_f64 v[15:16], v[15:16], -v[97:98]
	ds_read2_b64 v[97:100], v125 offset0:98 offset1:99
	s_waitcnt lgkmcnt(0)
	v_mul_f64 v[19:20], v[99:100], v[101:102]
	v_fma_f64 v[19:20], v[97:98], v[17:18], -v[19:20]
	v_mul_f64 v[97:98], v[97:98], v[101:102]
	v_add_f64 v[9:10], v[9:10], -v[19:20]
	v_fma_f64 v[97:98], v[99:100], v[17:18], v[97:98]
	v_add_f64 v[11:12], v[11:12], -v[97:98]
	ds_read2_b64 v[97:100], v125 offset0:100 offset1:101
	;; [unrolled: 8-line block ×4, first 2 shown]
	s_waitcnt lgkmcnt(0)
	v_mul_f64 v[19:20], v[99:100], v[101:102]
	v_fma_f64 v[19:20], v[97:98], v[17:18], -v[19:20]
	v_mul_f64 v[97:98], v[97:98], v[101:102]
	v_add_f64 v[73:74], v[73:74], -v[19:20]
	v_fma_f64 v[97:98], v[99:100], v[17:18], v[97:98]
	v_mov_b32_e32 v19, v101
	v_mov_b32_e32 v20, v102
	v_add_f64 v[75:76], v[75:76], -v[97:98]
.LBB105_433:
	s_or_b64 exec, exec, s[2:3]
	v_cmp_eq_u32_e32 vcc, 48, v0
	s_waitcnt vmcnt(0)
	s_barrier
	s_and_saveexec_b64 s[4:5], vcc
	s_cbranch_execz .LBB105_440
; %bb.434:
	ds_write2_b64 v127, v[13:14], v[15:16] offset1:1
	ds_write2_b64 v125, v[9:10], v[11:12] offset0:98 offset1:99
	ds_write2_b64 v125, v[5:6], v[7:8] offset0:100 offset1:101
	;; [unrolled: 1-line block ×4, first 2 shown]
	ds_read2_b64 v[97:100], v127 offset1:1
	s_waitcnt lgkmcnt(0)
	v_cmp_neq_f64_e32 vcc, 0, v[97:98]
	v_cmp_neq_f64_e64 s[2:3], 0, v[99:100]
	s_or_b64 s[2:3], vcc, s[2:3]
	s_and_b64 exec, exec, s[2:3]
	s_cbranch_execz .LBB105_440
; %bb.435:
	v_cmp_ngt_f64_e64 s[2:3], |v[97:98]|, |v[99:100]|
                                        ; implicit-def: $vgpr101_vgpr102
	s_and_saveexec_b64 s[6:7], s[2:3]
	s_xor_b64 s[2:3], exec, s[6:7]
                                        ; implicit-def: $vgpr103_vgpr104
	s_cbranch_execz .LBB105_437
; %bb.436:
	v_div_scale_f64 v[101:102], s[6:7], v[99:100], v[99:100], v[97:98]
	v_rcp_f64_e32 v[103:104], v[101:102]
	v_fma_f64 v[105:106], -v[101:102], v[103:104], 1.0
	v_fma_f64 v[103:104], v[103:104], v[105:106], v[103:104]
	v_div_scale_f64 v[105:106], vcc, v[97:98], v[99:100], v[97:98]
	v_fma_f64 v[107:108], -v[101:102], v[103:104], 1.0
	v_fma_f64 v[103:104], v[103:104], v[107:108], v[103:104]
	v_mul_f64 v[107:108], v[105:106], v[103:104]
	v_fma_f64 v[101:102], -v[101:102], v[107:108], v[105:106]
	v_div_fmas_f64 v[101:102], v[101:102], v[103:104], v[107:108]
	v_div_fixup_f64 v[101:102], v[101:102], v[99:100], v[97:98]
	v_fma_f64 v[97:98], v[97:98], v[101:102], v[99:100]
	v_div_scale_f64 v[99:100], s[6:7], v[97:98], v[97:98], 1.0
	v_div_scale_f64 v[107:108], vcc, 1.0, v[97:98], 1.0
	v_rcp_f64_e32 v[103:104], v[99:100]
	v_fma_f64 v[105:106], -v[99:100], v[103:104], 1.0
	v_fma_f64 v[103:104], v[103:104], v[105:106], v[103:104]
	v_fma_f64 v[105:106], -v[99:100], v[103:104], 1.0
	v_fma_f64 v[103:104], v[103:104], v[105:106], v[103:104]
	v_mul_f64 v[105:106], v[107:108], v[103:104]
	v_fma_f64 v[99:100], -v[99:100], v[105:106], v[107:108]
	v_div_fmas_f64 v[99:100], v[99:100], v[103:104], v[105:106]
	v_div_fixup_f64 v[103:104], v[99:100], v[97:98], 1.0
                                        ; implicit-def: $vgpr97_vgpr98
	v_mul_f64 v[101:102], v[101:102], v[103:104]
	v_xor_b32_e32 v104, 0x80000000, v104
.LBB105_437:
	s_andn2_saveexec_b64 s[2:3], s[2:3]
	s_cbranch_execz .LBB105_439
; %bb.438:
	v_div_scale_f64 v[101:102], s[6:7], v[97:98], v[97:98], v[99:100]
	v_rcp_f64_e32 v[103:104], v[101:102]
	v_fma_f64 v[105:106], -v[101:102], v[103:104], 1.0
	v_fma_f64 v[103:104], v[103:104], v[105:106], v[103:104]
	v_div_scale_f64 v[105:106], vcc, v[99:100], v[97:98], v[99:100]
	v_fma_f64 v[107:108], -v[101:102], v[103:104], 1.0
	v_fma_f64 v[103:104], v[103:104], v[107:108], v[103:104]
	v_mul_f64 v[107:108], v[105:106], v[103:104]
	v_fma_f64 v[101:102], -v[101:102], v[107:108], v[105:106]
	v_div_fmas_f64 v[101:102], v[101:102], v[103:104], v[107:108]
	v_div_fixup_f64 v[103:104], v[101:102], v[97:98], v[99:100]
	v_fma_f64 v[97:98], v[99:100], v[103:104], v[97:98]
	v_div_scale_f64 v[99:100], s[6:7], v[97:98], v[97:98], 1.0
	v_div_scale_f64 v[107:108], vcc, 1.0, v[97:98], 1.0
	v_rcp_f64_e32 v[101:102], v[99:100]
	v_fma_f64 v[105:106], -v[99:100], v[101:102], 1.0
	v_fma_f64 v[101:102], v[101:102], v[105:106], v[101:102]
	v_fma_f64 v[105:106], -v[99:100], v[101:102], 1.0
	v_fma_f64 v[101:102], v[101:102], v[105:106], v[101:102]
	v_mul_f64 v[105:106], v[107:108], v[101:102]
	v_fma_f64 v[99:100], -v[99:100], v[105:106], v[107:108]
	v_div_fmas_f64 v[99:100], v[99:100], v[101:102], v[105:106]
	v_div_fixup_f64 v[101:102], v[99:100], v[97:98], 1.0
	v_mul_f64 v[103:104], v[103:104], -v[101:102]
.LBB105_439:
	s_or_b64 exec, exec, s[2:3]
	ds_write2_b64 v127, v[101:102], v[103:104] offset1:1
.LBB105_440:
	s_or_b64 exec, exec, s[4:5]
	s_waitcnt lgkmcnt(0)
	s_barrier
	ds_read2_b64 v[69:72], v127 offset1:1
	v_cmp_lt_u32_e32 vcc, 48, v0
	s_waitcnt lgkmcnt(0)
	buffer_store_dword v69, off, s[20:23], 0 offset:1664 ; 4-byte Folded Spill
	s_nop 0
	buffer_store_dword v70, off, s[20:23], 0 offset:1668 ; 4-byte Folded Spill
	buffer_store_dword v71, off, s[20:23], 0 offset:1672 ; 4-byte Folded Spill
	buffer_store_dword v72, off, s[20:23], 0 offset:1676 ; 4-byte Folded Spill
	s_and_saveexec_b64 s[2:3], vcc
	s_cbranch_execz .LBB105_442
; %bb.441:
	buffer_load_dword v69, off, s[20:23], 0 offset:1664 ; 4-byte Folded Reload
	buffer_load_dword v70, off, s[20:23], 0 offset:1668 ; 4-byte Folded Reload
	;; [unrolled: 1-line block ×4, first 2 shown]
	s_waitcnt vmcnt(2)
	v_mul_f64 v[97:98], v[69:70], v[15:16]
	s_waitcnt vmcnt(0)
	v_mul_f64 v[15:16], v[71:72], v[15:16]
	v_fma_f64 v[101:102], v[71:72], v[13:14], v[97:98]
	ds_read2_b64 v[97:100], v125 offset0:98 offset1:99
	v_fma_f64 v[13:14], v[69:70], v[13:14], -v[15:16]
	s_waitcnt lgkmcnt(0)
	v_mul_f64 v[15:16], v[99:100], v[101:102]
	v_fma_f64 v[15:16], v[97:98], v[13:14], -v[15:16]
	v_mul_f64 v[97:98], v[97:98], v[101:102]
	v_add_f64 v[9:10], v[9:10], -v[15:16]
	v_fma_f64 v[97:98], v[99:100], v[13:14], v[97:98]
	v_add_f64 v[11:12], v[11:12], -v[97:98]
	ds_read2_b64 v[97:100], v125 offset0:100 offset1:101
	s_waitcnt lgkmcnt(0)
	v_mul_f64 v[15:16], v[99:100], v[101:102]
	v_fma_f64 v[15:16], v[97:98], v[13:14], -v[15:16]
	v_mul_f64 v[97:98], v[97:98], v[101:102]
	v_add_f64 v[5:6], v[5:6], -v[15:16]
	v_fma_f64 v[97:98], v[99:100], v[13:14], v[97:98]
	v_add_f64 v[7:8], v[7:8], -v[97:98]
	ds_read2_b64 v[97:100], v125 offset0:102 offset1:103
	;; [unrolled: 8-line block ×3, first 2 shown]
	s_waitcnt lgkmcnt(0)
	v_mul_f64 v[15:16], v[99:100], v[101:102]
	v_fma_f64 v[15:16], v[97:98], v[13:14], -v[15:16]
	v_mul_f64 v[97:98], v[97:98], v[101:102]
	v_add_f64 v[73:74], v[73:74], -v[15:16]
	v_fma_f64 v[97:98], v[99:100], v[13:14], v[97:98]
	v_mov_b32_e32 v15, v101
	v_mov_b32_e32 v16, v102
	v_add_f64 v[75:76], v[75:76], -v[97:98]
.LBB105_442:
	s_or_b64 exec, exec, s[2:3]
	v_cmp_eq_u32_e32 vcc, 49, v0
	s_waitcnt vmcnt(0)
	s_barrier
	s_and_saveexec_b64 s[4:5], vcc
	s_cbranch_execz .LBB105_449
; %bb.443:
	ds_write2_b64 v127, v[9:10], v[11:12] offset1:1
	ds_write2_b64 v125, v[5:6], v[7:8] offset0:100 offset1:101
	ds_write2_b64 v125, v[1:2], v[3:4] offset0:102 offset1:103
	;; [unrolled: 1-line block ×3, first 2 shown]
	ds_read2_b64 v[97:100], v127 offset1:1
	s_waitcnt lgkmcnt(0)
	v_cmp_neq_f64_e32 vcc, 0, v[97:98]
	v_cmp_neq_f64_e64 s[2:3], 0, v[99:100]
	s_or_b64 s[2:3], vcc, s[2:3]
	s_and_b64 exec, exec, s[2:3]
	s_cbranch_execz .LBB105_449
; %bb.444:
	v_cmp_ngt_f64_e64 s[2:3], |v[97:98]|, |v[99:100]|
                                        ; implicit-def: $vgpr101_vgpr102
	s_and_saveexec_b64 s[6:7], s[2:3]
	s_xor_b64 s[2:3], exec, s[6:7]
                                        ; implicit-def: $vgpr103_vgpr104
	s_cbranch_execz .LBB105_446
; %bb.445:
	v_div_scale_f64 v[101:102], s[6:7], v[99:100], v[99:100], v[97:98]
	v_rcp_f64_e32 v[103:104], v[101:102]
	v_fma_f64 v[105:106], -v[101:102], v[103:104], 1.0
	v_fma_f64 v[103:104], v[103:104], v[105:106], v[103:104]
	v_div_scale_f64 v[105:106], vcc, v[97:98], v[99:100], v[97:98]
	v_fma_f64 v[107:108], -v[101:102], v[103:104], 1.0
	v_fma_f64 v[103:104], v[103:104], v[107:108], v[103:104]
	v_mul_f64 v[107:108], v[105:106], v[103:104]
	v_fma_f64 v[101:102], -v[101:102], v[107:108], v[105:106]
	v_div_fmas_f64 v[101:102], v[101:102], v[103:104], v[107:108]
	v_div_fixup_f64 v[101:102], v[101:102], v[99:100], v[97:98]
	v_fma_f64 v[97:98], v[97:98], v[101:102], v[99:100]
	v_div_scale_f64 v[99:100], s[6:7], v[97:98], v[97:98], 1.0
	v_div_scale_f64 v[107:108], vcc, 1.0, v[97:98], 1.0
	v_rcp_f64_e32 v[103:104], v[99:100]
	v_fma_f64 v[105:106], -v[99:100], v[103:104], 1.0
	v_fma_f64 v[103:104], v[103:104], v[105:106], v[103:104]
	v_fma_f64 v[105:106], -v[99:100], v[103:104], 1.0
	v_fma_f64 v[103:104], v[103:104], v[105:106], v[103:104]
	v_mul_f64 v[105:106], v[107:108], v[103:104]
	v_fma_f64 v[99:100], -v[99:100], v[105:106], v[107:108]
	v_div_fmas_f64 v[99:100], v[99:100], v[103:104], v[105:106]
	v_div_fixup_f64 v[103:104], v[99:100], v[97:98], 1.0
                                        ; implicit-def: $vgpr97_vgpr98
	v_mul_f64 v[101:102], v[101:102], v[103:104]
	v_xor_b32_e32 v104, 0x80000000, v104
.LBB105_446:
	s_andn2_saveexec_b64 s[2:3], s[2:3]
	s_cbranch_execz .LBB105_448
; %bb.447:
	v_div_scale_f64 v[101:102], s[6:7], v[97:98], v[97:98], v[99:100]
	v_rcp_f64_e32 v[103:104], v[101:102]
	v_fma_f64 v[105:106], -v[101:102], v[103:104], 1.0
	v_fma_f64 v[103:104], v[103:104], v[105:106], v[103:104]
	v_div_scale_f64 v[105:106], vcc, v[99:100], v[97:98], v[99:100]
	v_fma_f64 v[107:108], -v[101:102], v[103:104], 1.0
	v_fma_f64 v[103:104], v[103:104], v[107:108], v[103:104]
	v_mul_f64 v[107:108], v[105:106], v[103:104]
	v_fma_f64 v[101:102], -v[101:102], v[107:108], v[105:106]
	v_div_fmas_f64 v[101:102], v[101:102], v[103:104], v[107:108]
	v_div_fixup_f64 v[103:104], v[101:102], v[97:98], v[99:100]
	v_fma_f64 v[97:98], v[99:100], v[103:104], v[97:98]
	v_div_scale_f64 v[99:100], s[6:7], v[97:98], v[97:98], 1.0
	v_div_scale_f64 v[107:108], vcc, 1.0, v[97:98], 1.0
	v_rcp_f64_e32 v[101:102], v[99:100]
	v_fma_f64 v[105:106], -v[99:100], v[101:102], 1.0
	v_fma_f64 v[101:102], v[101:102], v[105:106], v[101:102]
	v_fma_f64 v[105:106], -v[99:100], v[101:102], 1.0
	v_fma_f64 v[101:102], v[101:102], v[105:106], v[101:102]
	v_mul_f64 v[105:106], v[107:108], v[101:102]
	v_fma_f64 v[99:100], -v[99:100], v[105:106], v[107:108]
	v_div_fmas_f64 v[99:100], v[99:100], v[101:102], v[105:106]
	v_div_fixup_f64 v[101:102], v[99:100], v[97:98], 1.0
	v_mul_f64 v[103:104], v[103:104], -v[101:102]
.LBB105_448:
	s_or_b64 exec, exec, s[2:3]
	ds_write2_b64 v127, v[101:102], v[103:104] offset1:1
.LBB105_449:
	s_or_b64 exec, exec, s[4:5]
	s_waitcnt lgkmcnt(0)
	s_barrier
	ds_read2_b64 v[69:72], v127 offset1:1
	v_cmp_lt_u32_e32 vcc, 49, v0
	s_waitcnt lgkmcnt(0)
	buffer_store_dword v69, off, s[20:23], 0 offset:1680 ; 4-byte Folded Spill
	s_nop 0
	buffer_store_dword v70, off, s[20:23], 0 offset:1684 ; 4-byte Folded Spill
	buffer_store_dword v71, off, s[20:23], 0 offset:1688 ; 4-byte Folded Spill
	buffer_store_dword v72, off, s[20:23], 0 offset:1692 ; 4-byte Folded Spill
	s_and_saveexec_b64 s[2:3], vcc
	s_cbranch_execz .LBB105_451
; %bb.450:
	buffer_load_dword v69, off, s[20:23], 0 offset:1680 ; 4-byte Folded Reload
	buffer_load_dword v70, off, s[20:23], 0 offset:1684 ; 4-byte Folded Reload
	buffer_load_dword v71, off, s[20:23], 0 offset:1688 ; 4-byte Folded Reload
	buffer_load_dword v72, off, s[20:23], 0 offset:1692 ; 4-byte Folded Reload
	s_waitcnt vmcnt(2)
	v_mul_f64 v[97:98], v[69:70], v[11:12]
	s_waitcnt vmcnt(0)
	v_mul_f64 v[11:12], v[71:72], v[11:12]
	v_fma_f64 v[101:102], v[71:72], v[9:10], v[97:98]
	ds_read2_b64 v[97:100], v125 offset0:100 offset1:101
	v_fma_f64 v[9:10], v[69:70], v[9:10], -v[11:12]
	s_waitcnt lgkmcnt(0)
	v_mul_f64 v[11:12], v[99:100], v[101:102]
	v_fma_f64 v[11:12], v[97:98], v[9:10], -v[11:12]
	v_mul_f64 v[97:98], v[97:98], v[101:102]
	v_add_f64 v[5:6], v[5:6], -v[11:12]
	v_fma_f64 v[97:98], v[99:100], v[9:10], v[97:98]
	v_add_f64 v[7:8], v[7:8], -v[97:98]
	ds_read2_b64 v[97:100], v125 offset0:102 offset1:103
	s_waitcnt lgkmcnt(0)
	v_mul_f64 v[11:12], v[99:100], v[101:102]
	v_fma_f64 v[11:12], v[97:98], v[9:10], -v[11:12]
	v_mul_f64 v[97:98], v[97:98], v[101:102]
	v_add_f64 v[1:2], v[1:2], -v[11:12]
	v_fma_f64 v[97:98], v[99:100], v[9:10], v[97:98]
	v_add_f64 v[3:4], v[3:4], -v[97:98]
	ds_read2_b64 v[97:100], v125 offset0:104 offset1:105
	s_waitcnt lgkmcnt(0)
	v_mul_f64 v[11:12], v[99:100], v[101:102]
	v_fma_f64 v[11:12], v[97:98], v[9:10], -v[11:12]
	v_mul_f64 v[97:98], v[97:98], v[101:102]
	v_add_f64 v[73:74], v[73:74], -v[11:12]
	v_fma_f64 v[97:98], v[99:100], v[9:10], v[97:98]
	v_mov_b32_e32 v11, v101
	v_mov_b32_e32 v12, v102
	v_add_f64 v[75:76], v[75:76], -v[97:98]
.LBB105_451:
	s_or_b64 exec, exec, s[2:3]
	v_cmp_eq_u32_e32 vcc, 50, v0
	s_waitcnt vmcnt(0)
	s_barrier
	s_and_saveexec_b64 s[4:5], vcc
	s_cbranch_execz .LBB105_458
; %bb.452:
	ds_write2_b64 v127, v[5:6], v[7:8] offset1:1
	ds_write2_b64 v125, v[1:2], v[3:4] offset0:102 offset1:103
	ds_write2_b64 v125, v[73:74], v[75:76] offset0:104 offset1:105
	ds_read2_b64 v[97:100], v127 offset1:1
	s_waitcnt lgkmcnt(0)
	v_cmp_neq_f64_e32 vcc, 0, v[97:98]
	v_cmp_neq_f64_e64 s[2:3], 0, v[99:100]
	s_or_b64 s[2:3], vcc, s[2:3]
	s_and_b64 exec, exec, s[2:3]
	s_cbranch_execz .LBB105_458
; %bb.453:
	v_cmp_ngt_f64_e64 s[2:3], |v[97:98]|, |v[99:100]|
                                        ; implicit-def: $vgpr101_vgpr102
	s_and_saveexec_b64 s[6:7], s[2:3]
	s_xor_b64 s[2:3], exec, s[6:7]
                                        ; implicit-def: $vgpr103_vgpr104
	s_cbranch_execz .LBB105_455
; %bb.454:
	v_div_scale_f64 v[101:102], s[6:7], v[99:100], v[99:100], v[97:98]
	v_rcp_f64_e32 v[103:104], v[101:102]
	v_fma_f64 v[105:106], -v[101:102], v[103:104], 1.0
	v_fma_f64 v[103:104], v[103:104], v[105:106], v[103:104]
	v_div_scale_f64 v[105:106], vcc, v[97:98], v[99:100], v[97:98]
	v_fma_f64 v[107:108], -v[101:102], v[103:104], 1.0
	v_fma_f64 v[103:104], v[103:104], v[107:108], v[103:104]
	v_mul_f64 v[107:108], v[105:106], v[103:104]
	v_fma_f64 v[101:102], -v[101:102], v[107:108], v[105:106]
	v_div_fmas_f64 v[101:102], v[101:102], v[103:104], v[107:108]
	v_div_fixup_f64 v[101:102], v[101:102], v[99:100], v[97:98]
	v_fma_f64 v[97:98], v[97:98], v[101:102], v[99:100]
	v_div_scale_f64 v[99:100], s[6:7], v[97:98], v[97:98], 1.0
	v_div_scale_f64 v[107:108], vcc, 1.0, v[97:98], 1.0
	v_rcp_f64_e32 v[103:104], v[99:100]
	v_fma_f64 v[105:106], -v[99:100], v[103:104], 1.0
	v_fma_f64 v[103:104], v[103:104], v[105:106], v[103:104]
	v_fma_f64 v[105:106], -v[99:100], v[103:104], 1.0
	v_fma_f64 v[103:104], v[103:104], v[105:106], v[103:104]
	v_mul_f64 v[105:106], v[107:108], v[103:104]
	v_fma_f64 v[99:100], -v[99:100], v[105:106], v[107:108]
	v_div_fmas_f64 v[99:100], v[99:100], v[103:104], v[105:106]
	v_div_fixup_f64 v[103:104], v[99:100], v[97:98], 1.0
                                        ; implicit-def: $vgpr97_vgpr98
	v_mul_f64 v[101:102], v[101:102], v[103:104]
	v_xor_b32_e32 v104, 0x80000000, v104
.LBB105_455:
	s_andn2_saveexec_b64 s[2:3], s[2:3]
	s_cbranch_execz .LBB105_457
; %bb.456:
	v_div_scale_f64 v[101:102], s[6:7], v[97:98], v[97:98], v[99:100]
	v_rcp_f64_e32 v[103:104], v[101:102]
	v_fma_f64 v[105:106], -v[101:102], v[103:104], 1.0
	v_fma_f64 v[103:104], v[103:104], v[105:106], v[103:104]
	v_div_scale_f64 v[105:106], vcc, v[99:100], v[97:98], v[99:100]
	v_fma_f64 v[107:108], -v[101:102], v[103:104], 1.0
	v_fma_f64 v[103:104], v[103:104], v[107:108], v[103:104]
	v_mul_f64 v[107:108], v[105:106], v[103:104]
	v_fma_f64 v[101:102], -v[101:102], v[107:108], v[105:106]
	v_div_fmas_f64 v[101:102], v[101:102], v[103:104], v[107:108]
	v_div_fixup_f64 v[103:104], v[101:102], v[97:98], v[99:100]
	v_fma_f64 v[97:98], v[99:100], v[103:104], v[97:98]
	v_div_scale_f64 v[99:100], s[6:7], v[97:98], v[97:98], 1.0
	v_div_scale_f64 v[107:108], vcc, 1.0, v[97:98], 1.0
	v_rcp_f64_e32 v[101:102], v[99:100]
	v_fma_f64 v[105:106], -v[99:100], v[101:102], 1.0
	v_fma_f64 v[101:102], v[101:102], v[105:106], v[101:102]
	v_fma_f64 v[105:106], -v[99:100], v[101:102], 1.0
	v_fma_f64 v[101:102], v[101:102], v[105:106], v[101:102]
	v_mul_f64 v[105:106], v[107:108], v[101:102]
	v_fma_f64 v[99:100], -v[99:100], v[105:106], v[107:108]
	v_div_fmas_f64 v[99:100], v[99:100], v[101:102], v[105:106]
	v_div_fixup_f64 v[101:102], v[99:100], v[97:98], 1.0
	v_mul_f64 v[103:104], v[103:104], -v[101:102]
.LBB105_457:
	s_or_b64 exec, exec, s[2:3]
	ds_write2_b64 v127, v[101:102], v[103:104] offset1:1
.LBB105_458:
	s_or_b64 exec, exec, s[4:5]
	s_waitcnt lgkmcnt(0)
	s_barrier
	ds_read2_b64 v[69:72], v127 offset1:1
	v_cmp_lt_u32_e32 vcc, 50, v0
	s_and_saveexec_b64 s[2:3], vcc
	s_cbranch_execz .LBB105_460
; %bb.459:
	s_waitcnt lgkmcnt(0)
	v_mul_f64 v[97:98], v[69:70], v[7:8]
	v_mul_f64 v[7:8], v[71:72], v[7:8]
	v_fma_f64 v[105:106], v[71:72], v[5:6], v[97:98]
	ds_read2_b64 v[97:100], v125 offset0:102 offset1:103
	v_fma_f64 v[5:6], v[69:70], v[5:6], -v[7:8]
	s_waitcnt lgkmcnt(0)
	v_mul_f64 v[7:8], v[99:100], v[105:106]
	v_fma_f64 v[7:8], v[97:98], v[5:6], -v[7:8]
	v_mul_f64 v[97:98], v[97:98], v[105:106]
	v_add_f64 v[1:2], v[1:2], -v[7:8]
	v_fma_f64 v[97:98], v[99:100], v[5:6], v[97:98]
	v_add_f64 v[3:4], v[3:4], -v[97:98]
	ds_read2_b64 v[97:100], v125 offset0:104 offset1:105
	s_waitcnt lgkmcnt(0)
	v_mul_f64 v[7:8], v[99:100], v[105:106]
	v_fma_f64 v[7:8], v[97:98], v[5:6], -v[7:8]
	v_mul_f64 v[97:98], v[97:98], v[105:106]
	v_add_f64 v[73:74], v[73:74], -v[7:8]
	v_fma_f64 v[97:98], v[99:100], v[5:6], v[97:98]
	v_mov_b32_e32 v7, v105
	v_mov_b32_e32 v8, v106
	v_add_f64 v[75:76], v[75:76], -v[97:98]
.LBB105_460:
	s_or_b64 exec, exec, s[2:3]
	v_cmp_eq_u32_e32 vcc, 51, v0
	s_waitcnt lgkmcnt(0)
	s_barrier
	s_and_saveexec_b64 s[4:5], vcc
	s_cbranch_execz .LBB105_467
; %bb.461:
	ds_write2_b64 v127, v[1:2], v[3:4] offset1:1
	ds_write2_b64 v125, v[73:74], v[75:76] offset0:104 offset1:105
	ds_read2_b64 v[97:100], v127 offset1:1
	s_waitcnt lgkmcnt(0)
	v_cmp_neq_f64_e32 vcc, 0, v[97:98]
	v_cmp_neq_f64_e64 s[2:3], 0, v[99:100]
	s_or_b64 s[2:3], vcc, s[2:3]
	s_and_b64 exec, exec, s[2:3]
	s_cbranch_execz .LBB105_467
; %bb.462:
	v_cmp_ngt_f64_e64 s[2:3], |v[97:98]|, |v[99:100]|
                                        ; implicit-def: $vgpr105_vgpr106
	s_and_saveexec_b64 s[6:7], s[2:3]
	s_xor_b64 s[2:3], exec, s[6:7]
                                        ; implicit-def: $vgpr107_vgpr108
	s_cbranch_execz .LBB105_464
; %bb.463:
	v_div_scale_f64 v[105:106], s[6:7], v[99:100], v[99:100], v[97:98]
	v_mov_b32_e32 v77, v93
	v_mov_b32_e32 v78, v94
	;; [unrolled: 1-line block ×4, first 2 shown]
	v_div_scale_f64 v[95:96], vcc, v[97:98], v[99:100], v[97:98]
	v_rcp_f64_e32 v[107:108], v[105:106]
	v_fma_f64 v[93:94], -v[105:106], v[107:108], 1.0
	v_fma_f64 v[93:94], v[107:108], v[93:94], v[107:108]
	v_fma_f64 v[107:108], -v[105:106], v[93:94], 1.0
	v_fma_f64 v[93:94], v[93:94], v[107:108], v[93:94]
	v_mul_f64 v[107:108], v[95:96], v[93:94]
	v_fma_f64 v[95:96], -v[105:106], v[107:108], v[95:96]
	v_div_fmas_f64 v[93:94], v[95:96], v[93:94], v[107:108]
	v_div_fixup_f64 v[93:94], v[93:94], v[99:100], v[97:98]
	v_fma_f64 v[95:96], v[97:98], v[93:94], v[99:100]
	v_div_scale_f64 v[97:98], s[6:7], v[95:96], v[95:96], 1.0
	v_div_scale_f64 v[107:108], vcc, 1.0, v[95:96], 1.0
	v_rcp_f64_e32 v[99:100], v[97:98]
	v_fma_f64 v[105:106], -v[97:98], v[99:100], 1.0
	v_fma_f64 v[99:100], v[99:100], v[105:106], v[99:100]
	v_fma_f64 v[105:106], -v[97:98], v[99:100], 1.0
	v_fma_f64 v[99:100], v[99:100], v[105:106], v[99:100]
	v_mul_f64 v[105:106], v[107:108], v[99:100]
	v_fma_f64 v[97:98], -v[97:98], v[105:106], v[107:108]
	v_div_fmas_f64 v[97:98], v[97:98], v[99:100], v[105:106]
	v_div_fixup_f64 v[107:108], v[97:98], v[95:96], 1.0
                                        ; implicit-def: $vgpr97_vgpr98
	v_mul_f64 v[105:106], v[93:94], v[107:108]
	v_mov_b32_e32 v96, v80
	v_mov_b32_e32 v95, v79
	;; [unrolled: 1-line block ×4, first 2 shown]
	v_xor_b32_e32 v108, 0x80000000, v108
.LBB105_464:
	s_andn2_saveexec_b64 s[2:3], s[2:3]
	s_cbranch_execz .LBB105_466
; %bb.465:
	v_mov_b32_e32 v77, v117
	v_mov_b32_e32 v78, v118
	;; [unrolled: 1-line block ×8, first 2 shown]
	v_div_scale_f64 v[93:94], s[6:7], v[97:98], v[97:98], v[99:100]
	v_rcp_f64_e32 v[95:96], v[93:94]
	v_fma_f64 v[105:106], -v[93:94], v[95:96], 1.0
	v_fma_f64 v[95:96], v[95:96], v[105:106], v[95:96]
	v_div_scale_f64 v[105:106], vcc, v[99:100], v[97:98], v[99:100]
	v_fma_f64 v[107:108], -v[93:94], v[95:96], 1.0
	v_fma_f64 v[95:96], v[95:96], v[107:108], v[95:96]
	v_mul_f64 v[107:108], v[105:106], v[95:96]
	v_fma_f64 v[93:94], -v[93:94], v[107:108], v[105:106]
	v_div_fmas_f64 v[93:94], v[93:94], v[95:96], v[107:108]
	v_div_fixup_f64 v[93:94], v[93:94], v[97:98], v[99:100]
	v_fma_f64 v[95:96], v[99:100], v[93:94], v[97:98]
	v_div_scale_f64 v[97:98], s[6:7], v[95:96], v[95:96], 1.0
	v_div_scale_f64 v[107:108], vcc, 1.0, v[95:96], 1.0
	v_rcp_f64_e32 v[99:100], v[97:98]
	v_fma_f64 v[105:106], -v[97:98], v[99:100], 1.0
	v_fma_f64 v[99:100], v[99:100], v[105:106], v[99:100]
	v_fma_f64 v[105:106], -v[97:98], v[99:100], 1.0
	v_fma_f64 v[99:100], v[99:100], v[105:106], v[99:100]
	v_mul_f64 v[105:106], v[107:108], v[99:100]
	v_fma_f64 v[97:98], -v[97:98], v[105:106], v[107:108]
	v_div_fmas_f64 v[97:98], v[97:98], v[99:100], v[105:106]
	v_div_fixup_f64 v[105:106], v[97:98], v[95:96], 1.0
	v_mul_f64 v[107:108], v[93:94], -v[105:106]
	v_mov_b32_e32 v93, v117
	v_mov_b32_e32 v94, v118
	;; [unrolled: 1-line block ×8, first 2 shown]
.LBB105_466:
	s_or_b64 exec, exec, s[2:3]
	ds_write2_b64 v127, v[105:106], v[107:108] offset1:1
.LBB105_467:
	s_or_b64 exec, exec, s[4:5]
	s_waitcnt lgkmcnt(0)
	s_barrier
	ds_read2_b64 v[97:100], v127 offset1:1
	v_cmp_lt_u32_e32 vcc, 51, v0
	s_and_saveexec_b64 s[2:3], vcc
	s_cbranch_execz .LBB105_469
; %bb.468:
	v_mov_b32_e32 v77, v117
	v_mov_b32_e32 v78, v118
	;; [unrolled: 1-line block ×8, first 2 shown]
	s_waitcnt lgkmcnt(0)
	v_mul_f64 v[93:94], v[97:98], v[3:4]
	v_mul_f64 v[3:4], v[99:100], v[3:4]
	ds_read2_b64 v[105:108], v125 offset0:104 offset1:105
	v_fma_f64 v[93:94], v[99:100], v[1:2], v[93:94]
	v_fma_f64 v[1:2], v[97:98], v[1:2], -v[3:4]
	s_waitcnt lgkmcnt(0)
	v_mul_f64 v[3:4], v[107:108], v[93:94]
	v_mul_f64 v[95:96], v[105:106], v[93:94]
	v_fma_f64 v[3:4], v[105:106], v[1:2], -v[3:4]
	v_fma_f64 v[95:96], v[107:108], v[1:2], v[95:96]
	v_add_f64 v[73:74], v[73:74], -v[3:4]
	v_add_f64 v[75:76], v[75:76], -v[95:96]
	v_mov_b32_e32 v3, v93
	v_mov_b32_e32 v4, v94
	;; [unrolled: 1-line block ×10, first 2 shown]
.LBB105_469:
	s_or_b64 exec, exec, s[2:3]
	s_waitcnt lgkmcnt(0)
	s_barrier
	v_cmp_eq_u32_e32 vcc, 52, v0
	s_mov_b64 s[4:5], exec
	s_and_b64 s[2:3], s[4:5], vcc
	buffer_store_dword v73, off, s[20:23], 0 offset:480 ; 4-byte Folded Spill
	s_nop 0
	buffer_store_dword v74, off, s[20:23], 0 offset:484 ; 4-byte Folded Spill
	buffer_store_dword v75, off, s[20:23], 0 offset:488 ; 4-byte Folded Spill
	;; [unrolled: 1-line block ×3, first 2 shown]
	s_mov_b64 exec, s[2:3]
	s_cbranch_execz .LBB105_476
; %bb.470:
	v_cmp_neq_f64_e32 vcc, 0, v[73:74]
	v_cmp_neq_f64_e64 s[2:3], 0, v[75:76]
	ds_write2_b64 v127, v[73:74], v[75:76] offset1:1
	s_or_b64 s[2:3], vcc, s[2:3]
	s_and_b64 exec, exec, s[2:3]
	s_cbranch_execz .LBB105_476
; %bb.471:
	v_cmp_ngt_f64_e64 s[2:3], |v[73:74]|, |v[75:76]|
                                        ; implicit-def: $vgpr105_vgpr106
	s_and_saveexec_b64 s[6:7], s[2:3]
	s_xor_b64 s[2:3], exec, s[6:7]
                                        ; implicit-def: $vgpr107_vgpr108
	s_cbranch_execz .LBB105_473
; %bb.472:
	v_mov_b32_e32 v77, v93
	v_mov_b32_e32 v78, v94
	;; [unrolled: 1-line block ×4, first 2 shown]
	v_div_scale_f64 v[93:94], s[6:7], v[75:76], v[75:76], v[73:74]
	v_mov_b32_e32 v101, v121
	v_mov_b32_e32 v102, v122
	;; [unrolled: 1-line block ×8, first 2 shown]
	v_rcp_f64_e32 v[95:96], v[93:94]
	v_fma_f64 v[105:106], -v[93:94], v[95:96], 1.0
	v_fma_f64 v[95:96], v[95:96], v[105:106], v[95:96]
	v_div_scale_f64 v[105:106], vcc, v[73:74], v[75:76], v[73:74]
	v_fma_f64 v[107:108], -v[93:94], v[95:96], 1.0
	v_fma_f64 v[95:96], v[95:96], v[107:108], v[95:96]
	v_mul_f64 v[107:108], v[105:106], v[95:96]
	v_fma_f64 v[93:94], -v[93:94], v[107:108], v[105:106]
	v_div_fmas_f64 v[93:94], v[93:94], v[95:96], v[107:108]
	v_div_fixup_f64 v[93:94], v[93:94], v[75:76], v[73:74]
	v_fma_f64 v[95:96], v[73:74], v[93:94], v[75:76]
	v_mov_b32_e32 v73, v117
	v_mov_b32_e32 v74, v118
	;; [unrolled: 1-line block ×7, first 2 shown]
	v_div_scale_f64 v[105:106], s[6:7], v[95:96], v[95:96], 1.0
	v_mov_b32_e32 v119, v109
	v_mov_b32_e32 v112, v4
	v_div_scale_f64 v[89:90], vcc, 1.0, v[95:96], 1.0
	v_mov_b32_e32 v111, v3
	v_mov_b32_e32 v110, v2
	;; [unrolled: 1-line block ×10, first 2 shown]
	v_rcp_f64_e32 v[107:108], v[105:106]
	v_mov_b32_e32 v8, v12
	v_mov_b32_e32 v9, v13
	;; [unrolled: 1-line block ×15, first 2 shown]
	v_fma_f64 v[125:126], -v[105:106], v[107:108], 1.0
	v_mov_b32_e32 v23, v27
	v_mov_b32_e32 v24, v28
	;; [unrolled: 1-line block ×7, first 2 shown]
	v_fma_f64 v[107:108], v[107:108], v[125:126], v[107:108]
	v_mov_b32_e32 v118, v92
	v_mov_b32_e32 v30, v34
	;; [unrolled: 1-line block ×7, first 2 shown]
	v_fma_f64 v[125:126], -v[105:106], v[107:108], 1.0
	v_mov_b32_e32 v35, v39
	v_mov_b32_e32 v36, v40
	;; [unrolled: 1-line block ×7, first 2 shown]
	v_fma_f64 v[91:92], v[107:108], v[125:126], v[107:108]
	v_mov_b32_e32 v115, v43
	v_mov_b32_e32 v114, v42
	;; [unrolled: 1-line block ×19, first 2 shown]
	v_mul_f64 v[107:108], v[89:90], v[91:92]
	v_mov_b32_e32 v60, v56
	v_mov_b32_e32 v59, v55
	;; [unrolled: 1-line block ×29, first 2 shown]
	v_fma_f64 v[89:90], -v[105:106], v[107:108], v[89:90]
	v_mov_b32_e32 v35, v31
	v_mov_b32_e32 v34, v30
	;; [unrolled: 1-line block ×32, first 2 shown]
	v_div_fmas_f64 v[89:90], v[89:90], v[91:92], v[107:108]
	v_mov_b32_e32 v91, v117
	v_mov_b32_e32 v2, v110
	;; [unrolled: 1-line block ×13, first 2 shown]
	buffer_load_dword v73, off, s[20:23], 0 offset:480 ; 4-byte Folded Reload
	buffer_load_dword v74, off, s[20:23], 0 offset:484 ; 4-byte Folded Reload
	;; [unrolled: 1-line block ×4, first 2 shown]
	v_mov_b32_e32 v124, v104
	v_div_fixup_f64 v[107:108], v[89:90], v[95:96], 1.0
	v_mov_b32_e32 v123, v103
	v_mov_b32_e32 v122, v102
	;; [unrolled: 1-line block ×3, first 2 shown]
	v_mul_f64 v[105:106], v[93:94], v[107:108]
	v_mov_b32_e32 v96, v80
	v_mov_b32_e32 v95, v79
	;; [unrolled: 1-line block ×4, first 2 shown]
	v_xor_b32_e32 v108, 0x80000000, v108
.LBB105_473:
	s_andn2_saveexec_b64 s[2:3], s[2:3]
	s_cbranch_execz .LBB105_475
; %bb.474:
	s_waitcnt vmcnt(0)
	v_div_scale_f64 v[89:90], s[6:7], v[73:74], v[73:74], v[75:76]
	v_mov_b32_e32 v126, v92
	v_mov_b32_e32 v125, v91
	;; [unrolled: 1-line block ×6, first 2 shown]
	v_rcp_f64_e32 v[91:92], v[89:90]
	v_fma_f64 v[93:94], -v[89:90], v[91:92], 1.0
	v_fma_f64 v[91:92], v[91:92], v[93:94], v[91:92]
	v_div_scale_f64 v[93:94], vcc, v[75:76], v[73:74], v[75:76]
	v_fma_f64 v[95:96], -v[89:90], v[91:92], 1.0
	v_fma_f64 v[91:92], v[91:92], v[95:96], v[91:92]
	v_mul_f64 v[95:96], v[93:94], v[91:92]
	v_fma_f64 v[89:90], -v[89:90], v[95:96], v[93:94]
	v_div_fmas_f64 v[89:90], v[89:90], v[91:92], v[95:96]
	v_div_fixup_f64 v[89:90], v[89:90], v[73:74], v[75:76]
	v_fma_f64 v[91:92], v[75:76], v[89:90], v[73:74]
	v_div_scale_f64 v[93:94], s[6:7], v[91:92], v[91:92], 1.0
	v_div_scale_f64 v[107:108], vcc, 1.0, v[91:92], 1.0
	v_rcp_f64_e32 v[95:96], v[93:94]
	v_fma_f64 v[105:106], -v[93:94], v[95:96], 1.0
	v_fma_f64 v[95:96], v[95:96], v[105:106], v[95:96]
	v_fma_f64 v[105:106], -v[93:94], v[95:96], 1.0
	v_fma_f64 v[95:96], v[95:96], v[105:106], v[95:96]
	v_mul_f64 v[105:106], v[107:108], v[95:96]
	v_fma_f64 v[93:94], -v[93:94], v[105:106], v[107:108]
	v_div_fmas_f64 v[93:94], v[93:94], v[95:96], v[105:106]
	v_div_fixup_f64 v[105:106], v[93:94], v[91:92], 1.0
	v_mov_b32_e32 v96, v80
	v_mov_b32_e32 v91, v125
	;; [unrolled: 1-line block ×6, first 2 shown]
	v_mul_f64 v[107:108], v[89:90], -v[105:106]
.LBB105_475:
	s_or_b64 exec, exec, s[2:3]
	ds_write2_b64 v127, v[105:106], v[107:108] offset1:1
.LBB105_476:
	s_or_b64 exec, exec, s[4:5]
	s_waitcnt vmcnt(0) lgkmcnt(0)
	s_barrier
	ds_read2_b64 v[105:108], v127 offset1:1
	s_waitcnt lgkmcnt(0)
	s_barrier
	s_and_saveexec_b64 s[2:3], s[0:1]
	s_cbranch_execz .LBB105_479
; %bb.477:
	buffer_load_dword v73, off, s[20:23], 0 offset:896 ; 4-byte Folded Reload
	buffer_load_dword v74, off, s[20:23], 0 offset:900 ; 4-byte Folded Reload
	;; [unrolled: 1-line block ×4, first 2 shown]
	s_waitcnt vmcnt(2)
	v_cmp_eq_f64_e32 vcc, 0, v[73:74]
	s_waitcnt vmcnt(0)
	v_cmp_eq_f64_e64 s[0:1], 0, v[75:76]
	buffer_load_dword v73, off, s[20:23], 0 offset:912 ; 4-byte Folded Reload
	buffer_load_dword v74, off, s[20:23], 0 offset:916 ; 4-byte Folded Reload
	;; [unrolled: 1-line block ×4, first 2 shown]
	s_and_b64 s[4:5], vcc, s[0:1]
	v_cndmask_b32_e64 v89, 0, 1, s[4:5]
	s_waitcnt vmcnt(2)
	v_cmp_neq_f64_e32 vcc, 0, v[73:74]
	s_waitcnt vmcnt(0)
	v_cmp_neq_f64_e64 s[0:1], 0, v[75:76]
	buffer_load_dword v73, off, s[20:23], 0 offset:928 ; 4-byte Folded Reload
	buffer_load_dword v74, off, s[20:23], 0 offset:932 ; 4-byte Folded Reload
	;; [unrolled: 1-line block ×4, first 2 shown]
	s_or_b64 s[0:1], vcc, s[0:1]
	s_or_b64 vcc, s[0:1], s[4:5]
	v_cndmask_b32_e32 v89, 2, v89, vcc
	s_waitcnt vmcnt(2)
	v_cmp_eq_f64_e32 vcc, 0, v[73:74]
	s_waitcnt vmcnt(0)
	v_cmp_eq_f64_e64 s[0:1], 0, v[75:76]
	buffer_load_dword v73, off, s[20:23], 0 offset:944 ; 4-byte Folded Reload
	buffer_load_dword v74, off, s[20:23], 0 offset:948 ; 4-byte Folded Reload
	buffer_load_dword v75, off, s[20:23], 0 offset:952 ; 4-byte Folded Reload
	buffer_load_dword v76, off, s[20:23], 0 offset:956 ; 4-byte Folded Reload
	s_and_b64 s[0:1], vcc, s[0:1]
	v_cmp_eq_u32_e32 vcc, 0, v89
	s_and_b64 s[0:1], s[0:1], vcc
	v_cndmask_b32_e64 v89, v89, 3, s[0:1]
	s_waitcnt vmcnt(2)
	v_cmp_eq_f64_e32 vcc, 0, v[73:74]
	s_waitcnt vmcnt(0)
	v_cmp_eq_f64_e64 s[0:1], 0, v[75:76]
	buffer_load_dword v73, off, s[20:23], 0 offset:960 ; 4-byte Folded Reload
	buffer_load_dword v74, off, s[20:23], 0 offset:964 ; 4-byte Folded Reload
	buffer_load_dword v75, off, s[20:23], 0 offset:968 ; 4-byte Folded Reload
	buffer_load_dword v76, off, s[20:23], 0 offset:972 ; 4-byte Folded Reload
	s_and_b64 s[0:1], vcc, s[0:1]
	v_cmp_eq_u32_e32 vcc, 0, v89
	s_and_b64 s[0:1], s[0:1], vcc
	v_cndmask_b32_e64 v89, v89, 4, s[0:1]
	;; [unrolled: 12-line block ×47, first 2 shown]
	s_waitcnt vmcnt(2)
	v_cmp_eq_f64_e32 vcc, 0, v[73:74]
	s_waitcnt vmcnt(0)
	v_cmp_eq_f64_e64 s[0:1], 0, v[75:76]
	s_and_b64 s[0:1], vcc, s[0:1]
	v_cmp_eq_u32_e32 vcc, 0, v89
	s_and_b64 s[0:1], s[0:1], vcc
	v_cndmask_b32_e64 v89, v89, 50, s[0:1]
	v_cmp_eq_f64_e32 vcc, 0, v[69:70]
	v_cmp_eq_f64_e64 s[0:1], 0, v[71:72]
	s_and_b64 s[0:1], vcc, s[0:1]
	v_cmp_eq_u32_e32 vcc, 0, v89
	s_and_b64 s[0:1], s[0:1], vcc
	v_cndmask_b32_e64 v89, v89, 51, s[0:1]
	v_cmp_eq_f64_e32 vcc, 0, v[97:98]
	;; [unrolled: 6-line block ×3, first 2 shown]
	v_cmp_eq_f64_e64 s[0:1], 0, v[107:108]
	s_and_b64 s[0:1], vcc, s[0:1]
	v_cmp_eq_u32_e32 vcc, 0, v89
	s_and_b64 s[0:1], s[0:1], vcc
	v_cndmask_b32_e64 v99, v89, 53, s[0:1]
	v_lshlrev_b64 v[89:90], 2, v[87:88]
	v_cmp_ne_u32_e64 s[0:1], 0, v99
	v_add_co_u32_e32 v97, vcc, s10, v89
	v_mov_b32_e32 v89, s11
	v_addc_co_u32_e32 v98, vcc, v89, v90, vcc
	global_load_dword v89, v[97:98], off
	s_waitcnt vmcnt(0)
	v_cmp_eq_u32_e32 vcc, 0, v89
	s_and_b64 s[0:1], vcc, s[0:1]
	s_and_b64 exec, exec, s[0:1]
	s_cbranch_execz .LBB105_479
; %bb.478:
	v_add_u32_e32 v89, s13, v99
	global_store_dword v[97:98], v89, off
.LBB105_479:
	s_or_b64 exec, exec, s[2:3]
	buffer_load_dword v69, off, s[20:23], 0 offset:880 ; 4-byte Folded Reload
	buffer_load_dword v70, off, s[20:23], 0 offset:884 ; 4-byte Folded Reload
	;; [unrolled: 1-line block ×6, first 2 shown]
	v_cmp_lt_u32_e32 vcc, 52, v0
	s_waitcnt vmcnt(0)
	global_store_dwordx4 v[69:70], v[71:74], off
	buffer_load_dword v69, off, s[20:23], 0 offset:888 ; 4-byte Folded Reload
	s_nop 0
	buffer_load_dword v70, off, s[20:23], 0 offset:892 ; 4-byte Folded Reload
	buffer_load_dword v71, off, s[20:23], 0 offset:448 ; 4-byte Folded Reload
	;; [unrolled: 1-line block ×5, first 2 shown]
	s_waitcnt vmcnt(0)
	global_store_dwordx4 v[69:70], v[71:74], off
	buffer_load_dword v69, off, s[20:23], 0 offset:432 ; 4-byte Folded Reload
	s_nop 0
	buffer_load_dword v70, off, s[20:23], 0 offset:436 ; 4-byte Folded Reload
	buffer_load_dword v71, off, s[20:23], 0 offset:440 ; 4-byte Folded Reload
	buffer_load_dword v72, off, s[20:23], 0 offset:444 ; 4-byte Folded Reload
	s_waitcnt vmcnt(0)
	global_store_dwordx4 v[91:92], v[69:72], off
	buffer_load_dword v83, off, s[20:23], 0 offset:864 ; 4-byte Folded Reload
	buffer_load_dword v84, off, s[20:23], 0 offset:868 ; 4-byte Folded Reload
	s_nop 0
	buffer_load_dword v69, off, s[20:23], 0 offset:416 ; 4-byte Folded Reload
	buffer_load_dword v70, off, s[20:23], 0 offset:420 ; 4-byte Folded Reload
	buffer_load_dword v71, off, s[20:23], 0 offset:424 ; 4-byte Folded Reload
	buffer_load_dword v72, off, s[20:23], 0 offset:428 ; 4-byte Folded Reload
	s_waitcnt vmcnt(0)
	global_store_dwordx4 v[83:84], v[69:72], off
	buffer_load_dword v77, off, s[20:23], 0 offset:872 ; 4-byte Folded Reload
	buffer_load_dword v78, off, s[20:23], 0 offset:876 ; 4-byte Folded Reload
	s_nop 0
	buffer_load_dword v69, off, s[20:23], 0 offset:400 ; 4-byte Folded Reload
	;; [unrolled: 9-line block ×3, first 2 shown]
	buffer_load_dword v70, off, s[20:23], 0 offset:388 ; 4-byte Folded Reload
	buffer_load_dword v71, off, s[20:23], 0 offset:392 ; 4-byte Folded Reload
	buffer_load_dword v72, off, s[20:23], 0 offset:396 ; 4-byte Folded Reload
	s_waitcnt vmcnt(0)
	global_store_dwordx4 v[87:88], v[69:72], off
	buffer_load_dword v69, off, s[20:23], 0 offset:368 ; 4-byte Folded Reload
	s_nop 0
	buffer_load_dword v70, off, s[20:23], 0 offset:372 ; 4-byte Folded Reload
	buffer_load_dword v71, off, s[20:23], 0 offset:376 ; 4-byte Folded Reload
	;; [unrolled: 1-line block ×3, first 2 shown]
	s_waitcnt vmcnt(0)
	global_store_dwordx4 v[85:86], v[69:72], off
	buffer_load_dword v85, off, s[20:23], 0 offset:504 ; 4-byte Folded Reload
	s_nop 0
	buffer_load_dword v86, off, s[20:23], 0 offset:508 ; 4-byte Folded Reload
	buffer_load_dword v69, off, s[20:23], 0 offset:352 ; 4-byte Folded Reload
	;; [unrolled: 1-line block ×5, first 2 shown]
	s_waitcnt vmcnt(0)
	global_store_dwordx4 v[85:86], v[69:72], off
	buffer_load_dword v69, off, s[20:23], 0 offset:480 ; 4-byte Folded Reload
	s_nop 0
	buffer_load_dword v70, off, s[20:23], 0 offset:484 ; 4-byte Folded Reload
	buffer_load_dword v71, off, s[20:23], 0 offset:488 ; 4-byte Folded Reload
	;; [unrolled: 1-line block ×3, first 2 shown]
	s_waitcnt vmcnt(0)
	v_mul_f64 v[89:90], v[105:106], v[71:72]
	v_mul_f64 v[91:92], v[107:108], v[71:72]
	v_fma_f64 v[89:90], v[107:108], v[69:70], v[89:90]
	v_fma_f64 v[91:92], v[105:106], v[69:70], -v[91:92]
	v_cndmask_b32_e32 v100, v72, v90, vcc
	v_cndmask_b32_e32 v99, v71, v89, vcc
	;; [unrolled: 1-line block ×4, first 2 shown]
	buffer_load_dword v85, off, s[20:23], 0 offset:512 ; 4-byte Folded Reload
	buffer_load_dword v86, off, s[20:23], 0 offset:516 ; 4-byte Folded Reload
	;; [unrolled: 1-line block ×6, first 2 shown]
	s_waitcnt vmcnt(0)
	global_store_dwordx4 v[85:86], v[69:72], off
	buffer_load_dword v85, off, s[20:23], 0 offset:520 ; 4-byte Folded Reload
	s_nop 0
	buffer_load_dword v86, off, s[20:23], 0 offset:524 ; 4-byte Folded Reload
	buffer_load_dword v69, off, s[20:23], 0 offset:320 ; 4-byte Folded Reload
	buffer_load_dword v70, off, s[20:23], 0 offset:324 ; 4-byte Folded Reload
	buffer_load_dword v71, off, s[20:23], 0 offset:328 ; 4-byte Folded Reload
	buffer_load_dword v72, off, s[20:23], 0 offset:332 ; 4-byte Folded Reload
	s_waitcnt vmcnt(0)
	global_store_dwordx4 v[85:86], v[69:72], off
	buffer_load_dword v85, off, s[20:23], 0 offset:528 ; 4-byte Folded Reload
	s_nop 0
	buffer_load_dword v86, off, s[20:23], 0 offset:532 ; 4-byte Folded Reload
	buffer_load_dword v69, off, s[20:23], 0 offset:304 ; 4-byte Folded Reload
	buffer_load_dword v70, off, s[20:23], 0 offset:308 ; 4-byte Folded Reload
	buffer_load_dword v71, off, s[20:23], 0 offset:312 ; 4-byte Folded Reload
	buffer_load_dword v72, off, s[20:23], 0 offset:316 ; 4-byte Folded Reload
	;; [unrolled: 9-line block ×14, first 2 shown]
	s_waitcnt vmcnt(0)
	global_store_dwordx4 v[85:86], v[69:72], off
	buffer_load_dword v83, off, s[20:23], 0 offset:632 ; 4-byte Folded Reload
	buffer_load_dword v84, off, s[20:23], 0 offset:636 ; 4-byte Folded Reload
	s_nop 0
	buffer_load_dword v69, off, s[20:23], 0 offset:96 ; 4-byte Folded Reload
	buffer_load_dword v70, off, s[20:23], 0 offset:100 ; 4-byte Folded Reload
	;; [unrolled: 1-line block ×4, first 2 shown]
	s_waitcnt vmcnt(0)
	global_store_dwordx4 v[83:84], v[69:72], off
	buffer_load_dword v69, off, s[20:23], 0 offset:80 ; 4-byte Folded Reload
	s_nop 0
	buffer_load_dword v70, off, s[20:23], 0 offset:84 ; 4-byte Folded Reload
	buffer_load_dword v71, off, s[20:23], 0 offset:88 ; 4-byte Folded Reload
	;; [unrolled: 1-line block ×3, first 2 shown]
	s_waitcnt vmcnt(0)
	global_store_dwordx4 v[81:82], v[69:72], off
	buffer_load_dword v81, off, s[20:23], 0 offset:640 ; 4-byte Folded Reload
	s_nop 0
	buffer_load_dword v82, off, s[20:23], 0 offset:644 ; 4-byte Folded Reload
	buffer_load_dword v69, off, s[20:23], 0 offset:64 ; 4-byte Folded Reload
	;; [unrolled: 1-line block ×5, first 2 shown]
	s_waitcnt vmcnt(0)
	global_store_dwordx4 v[81:82], v[69:72], off
	buffer_load_dword v81, off, s[20:23], 0 offset:648 ; 4-byte Folded Reload
	s_nop 0
	buffer_load_dword v82, off, s[20:23], 0 offset:652 ; 4-byte Folded Reload
	buffer_load_dword v69, off, s[20:23], 0 offset:48 ; 4-byte Folded Reload
	;; [unrolled: 1-line block ×5, first 2 shown]
	s_waitcnt vmcnt(0)
	global_store_dwordx4 v[81:82], v[69:72], off
	buffer_load_dword v81, off, s[20:23], 0 offset:656 ; 4-byte Folded Reload
	s_nop 0
	buffer_load_dword v82, off, s[20:23], 0 offset:660 ; 4-byte Folded Reload
	s_waitcnt vmcnt(0)
	global_store_dwordx4 v[81:82], v[117:120], off
	buffer_load_dword v81, off, s[20:23], 0 offset:664 ; 4-byte Folded Reload
	s_nop 0
	buffer_load_dword v82, off, s[20:23], 0 offset:668 ; 4-byte Folded Reload
	;; [unrolled: 5-line block ×6, first 2 shown]
	buffer_load_dword v77, off, s[20:23], 0 offset:32 ; 4-byte Folded Reload
	buffer_load_dword v78, off, s[20:23], 0 offset:36 ; 4-byte Folded Reload
	;; [unrolled: 1-line block ×4, first 2 shown]
	s_waitcnt vmcnt(0)
	global_store_dwordx4 v[81:82], v[77:80], off
	buffer_load_dword v77, off, s[20:23], 0 offset:704 ; 4-byte Folded Reload
	s_nop 0
	buffer_load_dword v78, off, s[20:23], 0 offset:708 ; 4-byte Folded Reload
	buffer_load_dword v73, off, s[20:23], 0 offset:16 ; 4-byte Folded Reload
	;; [unrolled: 1-line block ×5, first 2 shown]
	s_waitcnt vmcnt(0)
	global_store_dwordx4 v[77:78], v[73:76], off
	buffer_load_dword v73, off, s[20:23], 0 offset:712 ; 4-byte Folded Reload
	s_nop 0
	buffer_load_dword v74, off, s[20:23], 0 offset:716 ; 4-byte Folded Reload
	buffer_load_dword v69, off, s[20:23], 0 ; 4-byte Folded Reload
	buffer_load_dword v70, off, s[20:23], 0 offset:4 ; 4-byte Folded Reload
	buffer_load_dword v71, off, s[20:23], 0 offset:8 ; 4-byte Folded Reload
	;; [unrolled: 1-line block ×3, first 2 shown]
	s_waitcnt vmcnt(0)
	global_store_dwordx4 v[73:74], v[69:72], off
	buffer_load_dword v69, off, s[20:23], 0 offset:720 ; 4-byte Folded Reload
	s_nop 0
	buffer_load_dword v70, off, s[20:23], 0 offset:724 ; 4-byte Folded Reload
	s_waitcnt vmcnt(0)
	global_store_dwordx4 v[69:70], v[65:68], off
	buffer_load_dword v65, off, s[20:23], 0 offset:728 ; 4-byte Folded Reload
	s_nop 0
	buffer_load_dword v66, off, s[20:23], 0 offset:732 ; 4-byte Folded Reload
	;; [unrolled: 5-line block ×18, first 2 shown]
	s_waitcnt vmcnt(0)
	global_store_dwordx4 v[0:1], v[97:100], off
.LBB105_480:
	s_endpgm
	.section	.rodata,"a",@progbits
	.p2align	6, 0x0
	.amdhsa_kernel _ZN9rocsolver6v33100L23getf2_npvt_small_kernelILi53E19rocblas_complex_numIdEiiPS3_EEvT1_T3_lS5_lPT2_S5_S5_
		.amdhsa_group_segment_fixed_size 0
		.amdhsa_private_segment_fixed_size 1700
		.amdhsa_kernarg_size 312
		.amdhsa_user_sgpr_count 6
		.amdhsa_user_sgpr_private_segment_buffer 1
		.amdhsa_user_sgpr_dispatch_ptr 0
		.amdhsa_user_sgpr_queue_ptr 0
		.amdhsa_user_sgpr_kernarg_segment_ptr 1
		.amdhsa_user_sgpr_dispatch_id 0
		.amdhsa_user_sgpr_flat_scratch_init 0
		.amdhsa_user_sgpr_private_segment_size 0
		.amdhsa_uses_dynamic_stack 0
		.amdhsa_system_sgpr_private_segment_wavefront_offset 1
		.amdhsa_system_sgpr_workgroup_id_x 1
		.amdhsa_system_sgpr_workgroup_id_y 1
		.amdhsa_system_sgpr_workgroup_id_z 0
		.amdhsa_system_sgpr_workgroup_info 0
		.amdhsa_system_vgpr_workitem_id 1
		.amdhsa_next_free_vgpr 128
		.amdhsa_next_free_sgpr 24
		.amdhsa_reserve_vcc 1
		.amdhsa_reserve_flat_scratch 0
		.amdhsa_float_round_mode_32 0
		.amdhsa_float_round_mode_16_64 0
		.amdhsa_float_denorm_mode_32 3
		.amdhsa_float_denorm_mode_16_64 3
		.amdhsa_dx10_clamp 1
		.amdhsa_ieee_mode 1
		.amdhsa_fp16_overflow 0
		.amdhsa_exception_fp_ieee_invalid_op 0
		.amdhsa_exception_fp_denorm_src 0
		.amdhsa_exception_fp_ieee_div_zero 0
		.amdhsa_exception_fp_ieee_overflow 0
		.amdhsa_exception_fp_ieee_underflow 0
		.amdhsa_exception_fp_ieee_inexact 0
		.amdhsa_exception_int_div_zero 0
	.end_amdhsa_kernel
	.section	.text._ZN9rocsolver6v33100L23getf2_npvt_small_kernelILi53E19rocblas_complex_numIdEiiPS3_EEvT1_T3_lS5_lPT2_S5_S5_,"axG",@progbits,_ZN9rocsolver6v33100L23getf2_npvt_small_kernelILi53E19rocblas_complex_numIdEiiPS3_EEvT1_T3_lS5_lPT2_S5_S5_,comdat
.Lfunc_end105:
	.size	_ZN9rocsolver6v33100L23getf2_npvt_small_kernelILi53E19rocblas_complex_numIdEiiPS3_EEvT1_T3_lS5_lPT2_S5_S5_, .Lfunc_end105-_ZN9rocsolver6v33100L23getf2_npvt_small_kernelILi53E19rocblas_complex_numIdEiiPS3_EEvT1_T3_lS5_lPT2_S5_S5_
                                        ; -- End function
	.set _ZN9rocsolver6v33100L23getf2_npvt_small_kernelILi53E19rocblas_complex_numIdEiiPS3_EEvT1_T3_lS5_lPT2_S5_S5_.num_vgpr, 128
	.set _ZN9rocsolver6v33100L23getf2_npvt_small_kernelILi53E19rocblas_complex_numIdEiiPS3_EEvT1_T3_lS5_lPT2_S5_S5_.num_agpr, 0
	.set _ZN9rocsolver6v33100L23getf2_npvt_small_kernelILi53E19rocblas_complex_numIdEiiPS3_EEvT1_T3_lS5_lPT2_S5_S5_.numbered_sgpr, 24
	.set _ZN9rocsolver6v33100L23getf2_npvt_small_kernelILi53E19rocblas_complex_numIdEiiPS3_EEvT1_T3_lS5_lPT2_S5_S5_.num_named_barrier, 0
	.set _ZN9rocsolver6v33100L23getf2_npvt_small_kernelILi53E19rocblas_complex_numIdEiiPS3_EEvT1_T3_lS5_lPT2_S5_S5_.private_seg_size, 1700
	.set _ZN9rocsolver6v33100L23getf2_npvt_small_kernelILi53E19rocblas_complex_numIdEiiPS3_EEvT1_T3_lS5_lPT2_S5_S5_.uses_vcc, 1
	.set _ZN9rocsolver6v33100L23getf2_npvt_small_kernelILi53E19rocblas_complex_numIdEiiPS3_EEvT1_T3_lS5_lPT2_S5_S5_.uses_flat_scratch, 0
	.set _ZN9rocsolver6v33100L23getf2_npvt_small_kernelILi53E19rocblas_complex_numIdEiiPS3_EEvT1_T3_lS5_lPT2_S5_S5_.has_dyn_sized_stack, 0
	.set _ZN9rocsolver6v33100L23getf2_npvt_small_kernelILi53E19rocblas_complex_numIdEiiPS3_EEvT1_T3_lS5_lPT2_S5_S5_.has_recursion, 0
	.set _ZN9rocsolver6v33100L23getf2_npvt_small_kernelILi53E19rocblas_complex_numIdEiiPS3_EEvT1_T3_lS5_lPT2_S5_S5_.has_indirect_call, 0
	.section	.AMDGPU.csdata,"",@progbits
; Kernel info:
; codeLenInByte = 194720
; TotalNumSgprs: 28
; NumVgprs: 128
; ScratchSize: 1700
; MemoryBound: 1
; FloatMode: 240
; IeeeMode: 1
; LDSByteSize: 0 bytes/workgroup (compile time only)
; SGPRBlocks: 3
; VGPRBlocks: 31
; NumSGPRsForWavesPerEU: 28
; NumVGPRsForWavesPerEU: 128
; Occupancy: 2
; WaveLimiterHint : 0
; COMPUTE_PGM_RSRC2:SCRATCH_EN: 1
; COMPUTE_PGM_RSRC2:USER_SGPR: 6
; COMPUTE_PGM_RSRC2:TRAP_HANDLER: 0
; COMPUTE_PGM_RSRC2:TGID_X_EN: 1
; COMPUTE_PGM_RSRC2:TGID_Y_EN: 1
; COMPUTE_PGM_RSRC2:TGID_Z_EN: 0
; COMPUTE_PGM_RSRC2:TIDIG_COMP_CNT: 1
	.section	.text._ZN9rocsolver6v33100L18getf2_small_kernelILi54E19rocblas_complex_numIdEiiPS3_EEvT1_T3_lS5_lPS5_llPT2_S5_S5_S7_l,"axG",@progbits,_ZN9rocsolver6v33100L18getf2_small_kernelILi54E19rocblas_complex_numIdEiiPS3_EEvT1_T3_lS5_lPS5_llPT2_S5_S5_S7_l,comdat
	.globl	_ZN9rocsolver6v33100L18getf2_small_kernelILi54E19rocblas_complex_numIdEiiPS3_EEvT1_T3_lS5_lPS5_llPT2_S5_S5_S7_l ; -- Begin function _ZN9rocsolver6v33100L18getf2_small_kernelILi54E19rocblas_complex_numIdEiiPS3_EEvT1_T3_lS5_lPS5_llPT2_S5_S5_S7_l
	.p2align	8
	.type	_ZN9rocsolver6v33100L18getf2_small_kernelILi54E19rocblas_complex_numIdEiiPS3_EEvT1_T3_lS5_lPS5_llPT2_S5_S5_S7_l,@function
_ZN9rocsolver6v33100L18getf2_small_kernelILi54E19rocblas_complex_numIdEiiPS3_EEvT1_T3_lS5_lPS5_llPT2_S5_S5_S7_l: ; @_ZN9rocsolver6v33100L18getf2_small_kernelILi54E19rocblas_complex_numIdEiiPS3_EEvT1_T3_lS5_lPS5_llPT2_S5_S5_S7_l
; %bb.0:
	s_mov_b64 s[26:27], s[2:3]
	s_mov_b64 s[24:25], s[0:1]
	s_load_dword s0, s[4:5], 0x6c
	s_load_dwordx2 s[16:17], s[4:5], 0x48
	s_add_u32 s24, s24, s8
	s_addc_u32 s25, s25, 0
	s_waitcnt lgkmcnt(0)
	s_lshr_b32 s0, s0, 16
	s_mul_i32 s7, s7, s0
	v_add_u32_e32 v5, s7, v1
	v_cmp_gt_i32_e32 vcc, s16, v5
	s_and_saveexec_b64 s[0:1], vcc
	s_cbranch_execnz .LBB106_1
; %bb.1136:
	s_getpc_b64 s[28:29]
.Lpost_getpc20:
	s_add_u32 s28, s28, (.LBB106_1135-.Lpost_getpc20)&4294967295
	s_addc_u32 s29, s29, (.LBB106_1135-.Lpost_getpc20)>>32
	s_setpc_b64 s[28:29]
.LBB106_1:
	s_load_dwordx4 s[0:3], s[4:5], 0x50
	v_mov_b32_e32 v2, 0
	v_ashrrev_i32_e32 v6, 31, v5
	v_mov_b32_e32 v3, 0
	buffer_store_dword v2, off, s[24:27], 0 offset:436 ; 4-byte Folded Spill
	s_nop 0
	buffer_store_dword v3, off, s[24:27], 0 offset:440 ; 4-byte Folded Spill
	s_waitcnt lgkmcnt(0)
	s_cmp_eq_u64 s[0:1], 0
	s_cselect_b64 s[6:7], -1, 0
	s_and_b64 vcc, exec, s[6:7]
	s_cbranch_vccnz .LBB106_3
; %bb.2:
	v_mul_lo_u32 v7, s3, v5
	v_mul_lo_u32 v4, s2, v6
	v_mad_u64_u32 v[2:3], s[2:3], s2, v5, 0
	v_add3_u32 v3, v3, v4, v7
	v_lshlrev_b64 v[2:3], 2, v[2:3]
	v_mov_b32_e32 v4, s1
	v_add_co_u32_e32 v2, vcc, s0, v2
	v_addc_co_u32_e32 v3, vcc, v4, v3, vcc
	buffer_store_dword v2, off, s[24:27], 0 offset:436 ; 4-byte Folded Spill
	s_nop 0
	buffer_store_dword v3, off, s[24:27], 0 offset:440 ; 4-byte Folded Spill
.LBB106_3:
	s_load_dwordx8 s[8:15], s[4:5], 0x20
	s_load_dwordx4 s[20:23], s[4:5], 0x8
	s_load_dword s2, s[4:5], 0x18
	v_lshlrev_b32_e32 v74, 4, v0
	v_mov_b32_e32 v127, v0
	s_waitcnt lgkmcnt(0)
	v_mul_lo_u32 v7, s9, v5
	v_mul_lo_u32 v4, s8, v6
	buffer_store_dword v5, off, s[24:27], 0 offset:496 ; 4-byte Folded Spill
	s_nop 0
	buffer_store_dword v6, off, s[24:27], 0 offset:500 ; 4-byte Folded Spill
	s_add_i32 s16, s2, s2
	s_ashr_i32 s3, s2, 31
	v_mad_u64_u32 v[2:3], s[0:1], s8, v5, 0
	v_mov_b32_e32 v5, s21
	s_lshl_b64 s[0:1], s[22:23], 4
	v_add3_u32 v3, v3, v4, v7
	v_lshlrev_b64 v[2:3], 4, v[2:3]
	s_lshl_b64 s[8:9], s[2:3], 4
	v_add_co_u32_e32 v4, vcc, s20, v2
	v_addc_co_u32_e32 v2, vcc, v5, v3, vcc
	v_add_co_u32_e32 v79, vcc, s0, v4
	v_add_u32_e32 v4, s16, v0
	v_mov_b32_e32 v3, s1
	v_ashrrev_i32_e32 v5, 31, v4
	v_addc_co_u32_e32 v73, vcc, v2, v3, vcc
	v_lshlrev_b64 v[2:3], 4, v[4:5]
	v_add_u32_e32 v6, s2, v4
	v_ashrrev_i32_e32 v7, 31, v6
	v_add_co_u32_e32 v75, vcc, v79, v2
	v_lshlrev_b64 v[4:5], 4, v[6:7]
	v_add_u32_e32 v8, s2, v6
	v_addc_co_u32_e32 v76, vcc, v73, v3, vcc
	v_ashrrev_i32_e32 v9, 31, v8
	v_add_co_u32_e32 v77, vcc, v79, v4
	v_lshlrev_b64 v[6:7], 4, v[8:9]
	v_add_u32_e32 v10, s2, v8
	v_addc_co_u32_e32 v78, vcc, v73, v5, vcc
	;; [unrolled: 5-line block ×33, first 2 shown]
	v_ashrrev_i32_e32 v71, 31, v70
	v_add_co_u32_e32 v68, vcc, v79, v68
	v_lshlrev_b64 v[71:72], 4, v[70:71]
	v_addc_co_u32_e32 v69, vcc, v73, v69, vcc
	v_add_u32_e32 v70, s2, v70
	v_add_co_u32_e32 v117, vcc, v79, v71
	v_ashrrev_i32_e32 v71, 31, v70
	v_addc_co_u32_e32 v118, vcc, v73, v72, vcc
	v_lshlrev_b64 v[71:72], 4, v[70:71]
	v_add_u32_e32 v70, s2, v70
	v_add_co_u32_e32 v119, vcc, v79, v71
	v_ashrrev_i32_e32 v71, 31, v70
	v_addc_co_u32_e32 v120, vcc, v73, v72, vcc
	v_lshlrev_b64 v[71:72], 4, v[70:71]
	;; [unrolled: 5-line block ×16, first 2 shown]
	v_add_u32_e32 v70, s2, v70
	v_add_co_u32_e32 v95, vcc, v79, v71
	v_ashrrev_i32_e32 v71, 31, v70
	v_lshlrev_b64 v[70:71], 4, v[70:71]
	v_addc_co_u32_e32 v96, vcc, v73, v72, vcc
	v_add_co_u32_e32 v89, vcc, v79, v70
	v_addc_co_u32_e32 v90, vcc, v73, v71, vcc
	v_add_co_u32_e32 v72, vcc, v79, v74
	buffer_store_dword v73, off, s[24:27], 0 offset:492 ; 4-byte Folded Spill
	v_addc_co_u32_e32 v73, vcc, 0, v73, vcc
	v_mov_b32_e32 v0, s9
	v_add_co_u32_e32 v70, vcc, s8, v72
	buffer_store_dword v79, off, s[24:27], 0 offset:504 ; 4-byte Folded Spill
	v_addc_co_u32_e32 v71, vcc, v73, v0, vcc
	global_load_dwordx4 v[85:88], v[72:73], off
	s_nop 0
	global_load_dwordx4 v[70:73], v[70:71], off
	s_waitcnt vmcnt(0)
	buffer_store_dword v70, off, s[24:27], 0 offset:460 ; 4-byte Folded Spill
	s_nop 0
	buffer_store_dword v71, off, s[24:27], 0 offset:464 ; 4-byte Folded Spill
	buffer_store_dword v72, off, s[24:27], 0 offset:468 ; 4-byte Folded Spill
	;; [unrolled: 1-line block ×4, first 2 shown]
	s_nop 0
	buffer_store_dword v86, off, s[24:27], 0 offset:480 ; 4-byte Folded Spill
	buffer_store_dword v87, off, s[24:27], 0 offset:484 ; 4-byte Folded Spill
	;; [unrolled: 1-line block ×3, first 2 shown]
	global_load_dwordx4 v[70:73], v[75:76], off
	s_load_dword s3, s[4:5], 0x0
	s_waitcnt lgkmcnt(0)
	s_max_i32 s0, s3, 54
	v_mul_lo_u32 v91, s0, v1
	s_load_dwordx2 s[4:5], s[4:5], 0x40
	s_cmp_lt_i32 s3, 2
	v_lshl_add_u32 v0, v91, 4, 0
	v_add_u32_e32 v1, v0, v74
	ds_write2_b64 v1, v[85:86], v[87:88] offset1:1
	s_waitcnt vmcnt(0)
	buffer_store_dword v70, off, s[24:27], 0 offset:444 ; 4-byte Folded Spill
	s_nop 0
	buffer_store_dword v71, off, s[24:27], 0 offset:448 ; 4-byte Folded Spill
	buffer_store_dword v72, off, s[24:27], 0 offset:452 ; 4-byte Folded Spill
	buffer_store_dword v73, off, s[24:27], 0 offset:456 ; 4-byte Folded Spill
	global_load_dwordx4 v[70:73], v[77:78], off
	s_waitcnt vmcnt(0)
	buffer_store_dword v70, off, s[24:27], 0 offset:420 ; 4-byte Folded Spill
	s_nop 0
	buffer_store_dword v71, off, s[24:27], 0 offset:424 ; 4-byte Folded Spill
	buffer_store_dword v72, off, s[24:27], 0 offset:428 ; 4-byte Folded Spill
	buffer_store_dword v73, off, s[24:27], 0 offset:432 ; 4-byte Folded Spill
	global_load_dwordx4 v[70:73], v[6:7], off
	;; [unrolled: 7-line block ×27, first 2 shown]
	s_nop 0
	global_load_dwordx4 v[85:88], v[58:59], off
	global_load_dwordx4 v[109:112], v[60:61], off
	;; [unrolled: 1-line block ×5, first 2 shown]
	s_nop 0
	global_load_dwordx4 v[69:72], v[68:69], off
	s_nop 0
	global_load_dwordx4 v[65:68], v[117:118], off
	global_load_dwordx4 v[61:64], v[119:120], off
	;; [unrolled: 1-line block ×4, first 2 shown]
	s_waitcnt vmcnt(0)
	buffer_store_dword v6, off, s[24:27], 0 ; 4-byte Folded Spill
	s_nop 0
	buffer_store_dword v7, off, s[24:27], 0 offset:4 ; 4-byte Folded Spill
	buffer_store_dword v8, off, s[24:27], 0 offset:8 ; 4-byte Folded Spill
	;; [unrolled: 1-line block ×3, first 2 shown]
	global_load_dwordx4 v[49:52], v[125:126], off
	global_load_dwordx4 v[45:48], v[83:84], off
	;; [unrolled: 1-line block ×14, first 2 shown]
	s_waitcnt vmcnt(0) lgkmcnt(0)
	s_barrier
	ds_read2_b64 v[117:120], v0 offset1:1
	v_lshlrev_b32_e32 v93, 4, v91
	v_mov_b32_e32 v89, 0
	s_cbranch_scc1 .LBB106_6
; %bb.4:
	v_add3_u32 v90, v93, 0, 16
	s_mov_b32 s0, 1
	v_mov_b32_e32 v89, 0
.LBB106_5:                              ; =>This Inner Loop Header: Depth=1
	s_waitcnt lgkmcnt(0)
	v_cmp_gt_f64_e32 vcc, 0, v[117:118]
	v_xor_b32_e32 v91, 0x80000000, v118
	ds_read2_b64 v[94:97], v90 offset1:1
	v_xor_b32_e32 v98, 0x80000000, v120
	v_add_u32_e32 v90, 16, v90
	s_waitcnt lgkmcnt(0)
	v_xor_b32_e32 v100, 0x80000000, v97
	v_cndmask_b32_e32 v92, v118, v91, vcc
	v_cmp_gt_f64_e32 vcc, 0, v[119:120]
	v_mov_b32_e32 v91, v117
	v_cndmask_b32_e32 v99, v120, v98, vcc
	v_cmp_gt_f64_e32 vcc, 0, v[94:95]
	v_mov_b32_e32 v98, v119
	v_add_f64 v[91:92], v[91:92], v[98:99]
	v_xor_b32_e32 v98, 0x80000000, v95
	v_cndmask_b32_e32 v99, v95, v98, vcc
	v_cmp_gt_f64_e32 vcc, 0, v[96:97]
	v_mov_b32_e32 v98, v94
	v_cndmask_b32_e32 v101, v97, v100, vcc
	v_mov_b32_e32 v100, v96
	v_add_f64 v[98:99], v[98:99], v[100:101]
	v_cmp_lt_f64_e32 vcc, v[91:92], v[98:99]
	v_mov_b32_e32 v91, s0
	s_add_i32 s0, s0, 1
	s_cmp_eq_u32 s3, s0
	v_cndmask_b32_e32 v118, v118, v95, vcc
	v_cndmask_b32_e32 v117, v117, v94, vcc
	;; [unrolled: 1-line block ×5, first 2 shown]
	s_cbranch_scc0 .LBB106_5
.LBB106_6:
	s_waitcnt lgkmcnt(0)
	v_cmp_neq_f64_e32 vcc, 0, v[117:118]
	v_cmp_neq_f64_e64 s[0:1], 0, v[119:120]
	v_mov_b32_e32 v84, v56
	v_mov_b32_e32 v83, v55
	;; [unrolled: 1-line block ×6, first 2 shown]
	s_or_b64 s[18:19], vcc, s[0:1]
	s_and_saveexec_b64 s[0:1], s[18:19]
	s_cbranch_execz .LBB106_12
; %bb.7:
	v_cmp_ngt_f64_e64 s[18:19], |v[117:118]|, |v[119:120]|
	s_and_saveexec_b64 s[20:21], s[18:19]
	s_xor_b64 s[18:19], exec, s[20:21]
	s_cbranch_execz .LBB106_9
; %bb.8:
	v_div_scale_f64 v[90:91], s[20:21], v[119:120], v[119:120], v[117:118]
	v_rcp_f64_e32 v[94:95], v[90:91]
	v_fma_f64 v[96:97], -v[90:91], v[94:95], 1.0
	v_fma_f64 v[94:95], v[94:95], v[96:97], v[94:95]
	v_div_scale_f64 v[96:97], vcc, v[117:118], v[119:120], v[117:118]
	v_fma_f64 v[98:99], -v[90:91], v[94:95], 1.0
	v_fma_f64 v[94:95], v[94:95], v[98:99], v[94:95]
	v_mul_f64 v[98:99], v[96:97], v[94:95]
	v_fma_f64 v[90:91], -v[90:91], v[98:99], v[96:97]
	v_div_fmas_f64 v[90:91], v[90:91], v[94:95], v[98:99]
	v_div_fixup_f64 v[90:91], v[90:91], v[119:120], v[117:118]
	v_fma_f64 v[94:95], v[117:118], v[90:91], v[119:120]
	v_div_scale_f64 v[96:97], s[20:21], v[94:95], v[94:95], 1.0
	v_div_scale_f64 v[102:103], vcc, 1.0, v[94:95], 1.0
	v_rcp_f64_e32 v[98:99], v[96:97]
	v_fma_f64 v[100:101], -v[96:97], v[98:99], 1.0
	v_fma_f64 v[98:99], v[98:99], v[100:101], v[98:99]
	v_fma_f64 v[100:101], -v[96:97], v[98:99], 1.0
	v_fma_f64 v[98:99], v[98:99], v[100:101], v[98:99]
	v_mul_f64 v[100:101], v[102:103], v[98:99]
	v_fma_f64 v[96:97], -v[96:97], v[100:101], v[102:103]
	v_div_fmas_f64 v[96:97], v[96:97], v[98:99], v[100:101]
	v_div_fixup_f64 v[119:120], v[96:97], v[94:95], 1.0
	v_mul_f64 v[117:118], v[90:91], v[119:120]
	v_xor_b32_e32 v120, 0x80000000, v120
.LBB106_9:
	s_andn2_saveexec_b64 s[18:19], s[18:19]
	s_cbranch_execz .LBB106_11
; %bb.10:
	v_div_scale_f64 v[90:91], s[20:21], v[117:118], v[117:118], v[119:120]
	v_rcp_f64_e32 v[94:95], v[90:91]
	v_fma_f64 v[96:97], -v[90:91], v[94:95], 1.0
	v_fma_f64 v[94:95], v[94:95], v[96:97], v[94:95]
	v_div_scale_f64 v[96:97], vcc, v[119:120], v[117:118], v[119:120]
	v_fma_f64 v[98:99], -v[90:91], v[94:95], 1.0
	v_fma_f64 v[94:95], v[94:95], v[98:99], v[94:95]
	v_mul_f64 v[98:99], v[96:97], v[94:95]
	v_fma_f64 v[90:91], -v[90:91], v[98:99], v[96:97]
	v_div_fmas_f64 v[90:91], v[90:91], v[94:95], v[98:99]
	v_div_fixup_f64 v[90:91], v[90:91], v[117:118], v[119:120]
	v_fma_f64 v[94:95], v[119:120], v[90:91], v[117:118]
	v_div_scale_f64 v[96:97], s[20:21], v[94:95], v[94:95], 1.0
	v_div_scale_f64 v[102:103], vcc, 1.0, v[94:95], 1.0
	v_rcp_f64_e32 v[98:99], v[96:97]
	v_fma_f64 v[100:101], -v[96:97], v[98:99], 1.0
	v_fma_f64 v[98:99], v[98:99], v[100:101], v[98:99]
	v_fma_f64 v[100:101], -v[96:97], v[98:99], 1.0
	v_fma_f64 v[98:99], v[98:99], v[100:101], v[98:99]
	v_mul_f64 v[100:101], v[102:103], v[98:99]
	v_fma_f64 v[96:97], -v[96:97], v[100:101], v[102:103]
	v_div_fmas_f64 v[96:97], v[96:97], v[98:99], v[100:101]
	v_div_fixup_f64 v[117:118], v[96:97], v[94:95], 1.0
	v_mul_f64 v[119:120], v[90:91], -v[117:118]
.LBB106_11:
	s_or_b64 exec, exec, s[18:19]
	v_mov_b32_e32 v94, 0
	v_mov_b32_e32 v95, 2
.LBB106_12:
	s_or_b64 exec, exec, s[0:1]
	v_mov_b32_e32 v96, v127
	v_cmp_ne_u32_e32 vcc, v96, v89
	s_and_saveexec_b64 s[0:1], vcc
	s_xor_b64 s[0:1], exec, s[0:1]
	s_cbranch_execz .LBB106_18
; %bb.13:
	v_cmp_eq_u32_e32 vcc, 0, v96
	s_and_saveexec_b64 s[18:19], vcc
	s_cbranch_execz .LBB106_17
; %bb.14:
	v_cmp_ne_u32_e32 vcc, 0, v89
	s_xor_b64 s[20:21], s[6:7], -1
	s_and_b64 s[22:23], s[20:21], vcc
	s_and_saveexec_b64 s[20:21], s[22:23]
	s_cbranch_execz .LBB106_16
; %bb.15:
	buffer_load_dword v81, off, s[24:27], 0 offset:436 ; 4-byte Folded Reload
	buffer_load_dword v82, off, s[24:27], 0 offset:440 ; 4-byte Folded Reload
	v_ashrrev_i32_e32 v90, 31, v89
	v_lshlrev_b64 v[90:91], 2, v[89:90]
	s_waitcnt vmcnt(1)
	v_add_co_u32_e32 v90, vcc, v81, v90
	s_waitcnt vmcnt(0)
	v_addc_co_u32_e32 v91, vcc, v82, v91, vcc
	global_load_dword v92, v[90:91], off
	global_load_dword v96, v[81:82], off
	s_waitcnt vmcnt(1)
	global_store_dword v[81:82], v92, off
	v_mov_b32_e32 v84, v56
	v_mov_b32_e32 v83, v55
	;; [unrolled: 1-line block ×4, first 2 shown]
	s_waitcnt vmcnt(1)
	global_store_dword v[90:91], v96, off
.LBB106_16:
	s_or_b64 exec, exec, s[20:21]
	v_mov_b32_e32 v127, v89
.LBB106_17:
	s_or_b64 exec, exec, s[18:19]
	v_mov_b32_e32 v96, v127
.LBB106_18:
	s_or_saveexec_b64 s[0:1], s[0:1]
	buffer_store_dword v96, off, s[24:27], 0 offset:352 ; 4-byte Folded Spill
	s_xor_b64 exec, exec, s[0:1]
	s_cbranch_execz .LBB106_20
; %bb.19:
	buffer_load_dword v53, off, s[24:27], 0 offset:460 ; 4-byte Folded Reload
	buffer_load_dword v54, off, s[24:27], 0 offset:464 ; 4-byte Folded Reload
	;; [unrolled: 1-line block ×4, first 2 shown]
	v_mov_b32_e32 v96, 0
	s_waitcnt vmcnt(0)
	ds_write2_b64 v0, v[53:54], v[55:56] offset0:2 offset1:3
	buffer_load_dword v53, off, s[24:27], 0 offset:444 ; 4-byte Folded Reload
	buffer_load_dword v54, off, s[24:27], 0 offset:448 ; 4-byte Folded Reload
	buffer_load_dword v55, off, s[24:27], 0 offset:452 ; 4-byte Folded Reload
	buffer_load_dword v56, off, s[24:27], 0 offset:456 ; 4-byte Folded Reload
	s_waitcnt vmcnt(0)
	ds_write2_b64 v0, v[53:54], v[55:56] offset0:4 offset1:5
	buffer_load_dword v53, off, s[24:27], 0 offset:420 ; 4-byte Folded Reload
	buffer_load_dword v54, off, s[24:27], 0 offset:424 ; 4-byte Folded Reload
	buffer_load_dword v55, off, s[24:27], 0 offset:428 ; 4-byte Folded Reload
	buffer_load_dword v56, off, s[24:27], 0 offset:432 ; 4-byte Folded Reload
	;; [unrolled: 6-line block ×27, first 2 shown]
	s_waitcnt vmcnt(0)
	ds_write2_b64 v0, v[53:54], v[55:56] offset0:56 offset1:57
	ds_write2_b64 v0, v[81:82], v[83:84] offset0:58 offset1:59
	;; [unrolled: 1-line block ×11, first 2 shown]
	buffer_load_dword v53, off, s[24:27], 0 ; 4-byte Folded Reload
	buffer_load_dword v54, off, s[24:27], 0 offset:4 ; 4-byte Folded Reload
	buffer_load_dword v55, off, s[24:27], 0 offset:8 ; 4-byte Folded Reload
	;; [unrolled: 1-line block ×3, first 2 shown]
	s_waitcnt vmcnt(0)
	ds_write2_b64 v0, v[53:54], v[55:56] offset0:78 offset1:79
	ds_write2_b64 v0, v[49:50], v[51:52] offset0:80 offset1:81
	;; [unrolled: 1-line block ×15, first 2 shown]
.LBB106_20:
	s_or_b64 exec, exec, s[0:1]
	v_cmp_lt_i32_e32 vcc, 0, v96
	s_waitcnt vmcnt(0) lgkmcnt(0)
	s_barrier
	s_and_saveexec_b64 s[0:1], vcc
	s_cbranch_execz .LBB106_22
; %bb.21:
	buffer_load_dword v99, off, s[24:27], 0 offset:476 ; 4-byte Folded Reload
	buffer_load_dword v100, off, s[24:27], 0 offset:480 ; 4-byte Folded Reload
	;; [unrolled: 1-line block ×4, first 2 shown]
	s_waitcnt vmcnt(0)
	v_mul_f64 v[89:90], v[119:120], v[101:102]
	v_fma_f64 v[125:126], v[117:118], v[99:100], -v[89:90]
	v_mul_f64 v[89:90], v[117:118], v[101:102]
	v_fma_f64 v[101:102], v[119:120], v[99:100], v[89:90]
	ds_read2_b64 v[89:92], v0 offset0:2 offset1:3
	buffer_load_dword v53, off, s[24:27], 0 offset:460 ; 4-byte Folded Reload
	buffer_load_dword v54, off, s[24:27], 0 offset:464 ; 4-byte Folded Reload
	buffer_load_dword v55, off, s[24:27], 0 offset:468 ; 4-byte Folded Reload
	buffer_load_dword v56, off, s[24:27], 0 offset:472 ; 4-byte Folded Reload
	s_waitcnt lgkmcnt(0)
	v_mul_f64 v[97:98], v[91:92], v[101:102]
	v_fma_f64 v[97:98], v[89:90], v[125:126], -v[97:98]
	v_mul_f64 v[89:90], v[89:90], v[101:102]
	v_fma_f64 v[89:90], v[91:92], v[125:126], v[89:90]
	s_waitcnt vmcnt(2)
	v_add_f64 v[53:54], v[53:54], -v[97:98]
	s_waitcnt vmcnt(0)
	v_add_f64 v[55:56], v[55:56], -v[89:90]
	buffer_store_dword v53, off, s[24:27], 0 offset:460 ; 4-byte Folded Spill
	s_nop 0
	buffer_store_dword v54, off, s[24:27], 0 offset:464 ; 4-byte Folded Spill
	buffer_store_dword v55, off, s[24:27], 0 offset:468 ; 4-byte Folded Spill
	buffer_store_dword v56, off, s[24:27], 0 offset:472 ; 4-byte Folded Spill
	ds_read2_b64 v[89:92], v0 offset0:4 offset1:5
	buffer_load_dword v53, off, s[24:27], 0 offset:444 ; 4-byte Folded Reload
	buffer_load_dword v54, off, s[24:27], 0 offset:448 ; 4-byte Folded Reload
	buffer_load_dword v55, off, s[24:27], 0 offset:452 ; 4-byte Folded Reload
	buffer_load_dword v56, off, s[24:27], 0 offset:456 ; 4-byte Folded Reload
	s_waitcnt lgkmcnt(0)
	v_mul_f64 v[97:98], v[91:92], v[101:102]
	v_fma_f64 v[97:98], v[89:90], v[125:126], -v[97:98]
	v_mul_f64 v[89:90], v[89:90], v[101:102]
	v_fma_f64 v[89:90], v[91:92], v[125:126], v[89:90]
	s_waitcnt vmcnt(2)
	v_add_f64 v[53:54], v[53:54], -v[97:98]
	s_waitcnt vmcnt(0)
	v_add_f64 v[55:56], v[55:56], -v[89:90]
	buffer_store_dword v53, off, s[24:27], 0 offset:444 ; 4-byte Folded Spill
	s_nop 0
	buffer_store_dword v54, off, s[24:27], 0 offset:448 ; 4-byte Folded Spill
	buffer_store_dword v55, off, s[24:27], 0 offset:452 ; 4-byte Folded Spill
	buffer_store_dword v56, off, s[24:27], 0 offset:456 ; 4-byte Folded Spill
	;; [unrolled: 19-line block ×28, first 2 shown]
	ds_read2_b64 v[89:92], v0 offset0:58 offset1:59
	s_waitcnt lgkmcnt(0)
	v_mul_f64 v[97:98], v[91:92], v[101:102]
	v_fma_f64 v[97:98], v[89:90], v[125:126], -v[97:98]
	v_mul_f64 v[89:90], v[89:90], v[101:102]
	v_add_f64 v[81:82], v[81:82], -v[97:98]
	v_fma_f64 v[89:90], v[91:92], v[125:126], v[89:90]
	v_add_f64 v[83:84], v[83:84], -v[89:90]
	ds_read2_b64 v[89:92], v0 offset0:60 offset1:61
	s_waitcnt lgkmcnt(0)
	v_mul_f64 v[97:98], v[91:92], v[101:102]
	v_fma_f64 v[97:98], v[89:90], v[125:126], -v[97:98]
	v_mul_f64 v[89:90], v[89:90], v[101:102]
	v_add_f64 v[85:86], v[85:86], -v[97:98]
	v_fma_f64 v[89:90], v[91:92], v[125:126], v[89:90]
	v_add_f64 v[87:88], v[87:88], -v[89:90]
	;; [unrolled: 8-line block ×10, first 2 shown]
	ds_read2_b64 v[89:92], v0 offset0:78 offset1:79
	buffer_load_dword v53, off, s[24:27], 0 ; 4-byte Folded Reload
	buffer_load_dword v54, off, s[24:27], 0 offset:4 ; 4-byte Folded Reload
	buffer_load_dword v55, off, s[24:27], 0 offset:8 ; 4-byte Folded Reload
	;; [unrolled: 1-line block ×3, first 2 shown]
	s_waitcnt lgkmcnt(0)
	v_mul_f64 v[97:98], v[91:92], v[101:102]
	v_fma_f64 v[97:98], v[89:90], v[125:126], -v[97:98]
	v_mul_f64 v[89:90], v[89:90], v[101:102]
	v_fma_f64 v[89:90], v[91:92], v[125:126], v[89:90]
	s_waitcnt vmcnt(2)
	v_add_f64 v[53:54], v[53:54], -v[97:98]
	s_waitcnt vmcnt(0)
	v_add_f64 v[55:56], v[55:56], -v[89:90]
	buffer_store_dword v53, off, s[24:27], 0 ; 4-byte Folded Spill
	s_nop 0
	buffer_store_dword v54, off, s[24:27], 0 offset:4 ; 4-byte Folded Spill
	buffer_store_dword v55, off, s[24:27], 0 offset:8 ; 4-byte Folded Spill
	;; [unrolled: 1-line block ×3, first 2 shown]
	ds_read2_b64 v[89:92], v0 offset0:80 offset1:81
	s_waitcnt lgkmcnt(0)
	v_mul_f64 v[97:98], v[91:92], v[101:102]
	v_fma_f64 v[97:98], v[89:90], v[125:126], -v[97:98]
	v_mul_f64 v[89:90], v[89:90], v[101:102]
	v_add_f64 v[49:50], v[49:50], -v[97:98]
	v_fma_f64 v[89:90], v[91:92], v[125:126], v[89:90]
	v_add_f64 v[51:52], v[51:52], -v[89:90]
	ds_read2_b64 v[89:92], v0 offset0:82 offset1:83
	s_waitcnt lgkmcnt(0)
	v_mul_f64 v[97:98], v[91:92], v[101:102]
	v_fma_f64 v[97:98], v[89:90], v[125:126], -v[97:98]
	v_mul_f64 v[89:90], v[89:90], v[101:102]
	v_add_f64 v[45:46], v[45:46], -v[97:98]
	v_fma_f64 v[89:90], v[91:92], v[125:126], v[89:90]
	v_add_f64 v[47:48], v[47:48], -v[89:90]
	;; [unrolled: 8-line block ×12, first 2 shown]
	ds_read2_b64 v[89:92], v0 offset0:104 offset1:105
	s_waitcnt lgkmcnt(0)
	v_mul_f64 v[97:98], v[91:92], v[101:102]
	v_fma_f64 v[97:98], v[89:90], v[125:126], -v[97:98]
	v_mul_f64 v[89:90], v[89:90], v[101:102]
	v_add_f64 v[1:2], v[1:2], -v[97:98]
	v_fma_f64 v[89:90], v[91:92], v[125:126], v[89:90]
	ds_read2_b64 v[97:100], v0 offset0:106 offset1:107
	s_waitcnt lgkmcnt(0)
	v_mul_f64 v[91:92], v[97:98], v[101:102]
	v_add_f64 v[3:4], v[3:4], -v[89:90]
	v_mul_f64 v[89:90], v[99:100], v[101:102]
	v_fma_f64 v[91:92], v[99:100], v[125:126], v[91:92]
	v_mov_b32_e32 v99, v125
	v_mov_b32_e32 v100, v126
	v_fma_f64 v[89:90], v[97:98], v[125:126], -v[89:90]
	buffer_store_dword v99, off, s[24:27], 0 offset:476 ; 4-byte Folded Spill
	s_nop 0
	buffer_store_dword v100, off, s[24:27], 0 offset:480 ; 4-byte Folded Spill
	buffer_store_dword v101, off, s[24:27], 0 offset:484 ; 4-byte Folded Spill
	;; [unrolled: 1-line block ×3, first 2 shown]
	v_add_f64 v[123:124], v[123:124], -v[91:92]
	v_add_f64 v[121:122], v[121:122], -v[89:90]
.LBB106_22:
	s_or_b64 exec, exec, s[0:1]
	s_waitcnt vmcnt(0)
	s_barrier
	buffer_load_dword v53, off, s[24:27], 0 offset:460 ; 4-byte Folded Reload
	buffer_load_dword v54, off, s[24:27], 0 offset:464 ; 4-byte Folded Reload
	;; [unrolled: 1-line block ×4, first 2 shown]
	v_lshl_add_u32 v89, v96, 4, v0
	s_cmp_lt_i32 s3, 3
	s_waitcnt vmcnt(0)
	ds_write2_b64 v89, v[53:54], v[55:56] offset1:1
	s_waitcnt lgkmcnt(0)
	s_barrier
	ds_read2_b64 v[117:120], v0 offset0:2 offset1:3
	v_mov_b32_e32 v89, 1
	s_cbranch_scc1 .LBB106_25
; %bb.23:
	v_add3_u32 v90, v93, 0, 32
	s_mov_b32 s0, 2
	v_mov_b32_e32 v89, 1
.LBB106_24:                             ; =>This Inner Loop Header: Depth=1
	s_waitcnt lgkmcnt(0)
	v_cmp_gt_f64_e32 vcc, 0, v[117:118]
	v_xor_b32_e32 v91, 0x80000000, v118
	ds_read2_b64 v[97:100], v90 offset1:1
	v_xor_b32_e32 v101, 0x80000000, v120
	v_add_u32_e32 v90, 16, v90
	s_waitcnt lgkmcnt(0)
	v_xor_b32_e32 v103, 0x80000000, v100
	v_cndmask_b32_e32 v92, v118, v91, vcc
	v_cmp_gt_f64_e32 vcc, 0, v[119:120]
	v_mov_b32_e32 v91, v117
	v_cndmask_b32_e32 v102, v120, v101, vcc
	v_cmp_gt_f64_e32 vcc, 0, v[97:98]
	v_mov_b32_e32 v101, v119
	v_add_f64 v[91:92], v[91:92], v[101:102]
	v_xor_b32_e32 v101, 0x80000000, v98
	v_cndmask_b32_e32 v102, v98, v101, vcc
	v_cmp_gt_f64_e32 vcc, 0, v[99:100]
	v_mov_b32_e32 v101, v97
	v_cndmask_b32_e32 v104, v100, v103, vcc
	v_mov_b32_e32 v103, v99
	v_add_f64 v[101:102], v[101:102], v[103:104]
	v_cmp_lt_f64_e32 vcc, v[91:92], v[101:102]
	v_mov_b32_e32 v91, s0
	s_add_i32 s0, s0, 1
	s_cmp_lg_u32 s3, s0
	v_cndmask_b32_e32 v118, v118, v98, vcc
	v_cndmask_b32_e32 v117, v117, v97, vcc
	;; [unrolled: 1-line block ×5, first 2 shown]
	s_cbranch_scc1 .LBB106_24
.LBB106_25:
	s_waitcnt lgkmcnt(0)
	v_cmp_neq_f64_e32 vcc, 0, v[117:118]
	v_cmp_neq_f64_e64 s[0:1], 0, v[119:120]
	s_or_b64 s[18:19], vcc, s[0:1]
	s_and_saveexec_b64 s[0:1], s[18:19]
	s_cbranch_execz .LBB106_31
; %bb.26:
	v_cmp_ngt_f64_e64 s[18:19], |v[117:118]|, |v[119:120]|
	s_and_saveexec_b64 s[20:21], s[18:19]
	s_xor_b64 s[18:19], exec, s[20:21]
	s_cbranch_execz .LBB106_28
; %bb.27:
	v_div_scale_f64 v[90:91], s[20:21], v[119:120], v[119:120], v[117:118]
	v_rcp_f64_e32 v[97:98], v[90:91]
	v_fma_f64 v[99:100], -v[90:91], v[97:98], 1.0
	v_fma_f64 v[97:98], v[97:98], v[99:100], v[97:98]
	v_div_scale_f64 v[99:100], vcc, v[117:118], v[119:120], v[117:118]
	v_fma_f64 v[101:102], -v[90:91], v[97:98], 1.0
	v_fma_f64 v[97:98], v[97:98], v[101:102], v[97:98]
	v_mul_f64 v[101:102], v[99:100], v[97:98]
	v_fma_f64 v[90:91], -v[90:91], v[101:102], v[99:100]
	v_div_fmas_f64 v[90:91], v[90:91], v[97:98], v[101:102]
	v_div_fixup_f64 v[90:91], v[90:91], v[119:120], v[117:118]
	v_fma_f64 v[97:98], v[117:118], v[90:91], v[119:120]
	v_div_scale_f64 v[99:100], s[20:21], v[97:98], v[97:98], 1.0
	v_div_scale_f64 v[105:106], vcc, 1.0, v[97:98], 1.0
	v_rcp_f64_e32 v[101:102], v[99:100]
	v_fma_f64 v[103:104], -v[99:100], v[101:102], 1.0
	v_fma_f64 v[101:102], v[101:102], v[103:104], v[101:102]
	v_fma_f64 v[103:104], -v[99:100], v[101:102], 1.0
	v_fma_f64 v[101:102], v[101:102], v[103:104], v[101:102]
	v_mul_f64 v[103:104], v[105:106], v[101:102]
	v_fma_f64 v[99:100], -v[99:100], v[103:104], v[105:106]
	v_div_fmas_f64 v[99:100], v[99:100], v[101:102], v[103:104]
	v_div_fixup_f64 v[119:120], v[99:100], v[97:98], 1.0
	v_mul_f64 v[117:118], v[90:91], v[119:120]
	v_xor_b32_e32 v120, 0x80000000, v120
.LBB106_28:
	s_andn2_saveexec_b64 s[18:19], s[18:19]
	s_cbranch_execz .LBB106_30
; %bb.29:
	v_div_scale_f64 v[90:91], s[20:21], v[117:118], v[117:118], v[119:120]
	v_rcp_f64_e32 v[97:98], v[90:91]
	v_fma_f64 v[99:100], -v[90:91], v[97:98], 1.0
	v_fma_f64 v[97:98], v[97:98], v[99:100], v[97:98]
	v_div_scale_f64 v[99:100], vcc, v[119:120], v[117:118], v[119:120]
	v_fma_f64 v[101:102], -v[90:91], v[97:98], 1.0
	v_fma_f64 v[97:98], v[97:98], v[101:102], v[97:98]
	v_mul_f64 v[101:102], v[99:100], v[97:98]
	v_fma_f64 v[90:91], -v[90:91], v[101:102], v[99:100]
	v_div_fmas_f64 v[90:91], v[90:91], v[97:98], v[101:102]
	v_div_fixup_f64 v[90:91], v[90:91], v[117:118], v[119:120]
	v_fma_f64 v[97:98], v[119:120], v[90:91], v[117:118]
	v_div_scale_f64 v[99:100], s[20:21], v[97:98], v[97:98], 1.0
	v_div_scale_f64 v[105:106], vcc, 1.0, v[97:98], 1.0
	v_rcp_f64_e32 v[101:102], v[99:100]
	v_fma_f64 v[103:104], -v[99:100], v[101:102], 1.0
	v_fma_f64 v[101:102], v[101:102], v[103:104], v[101:102]
	v_fma_f64 v[103:104], -v[99:100], v[101:102], 1.0
	v_fma_f64 v[101:102], v[101:102], v[103:104], v[101:102]
	v_mul_f64 v[103:104], v[105:106], v[101:102]
	v_fma_f64 v[99:100], -v[99:100], v[103:104], v[105:106]
	v_div_fmas_f64 v[99:100], v[99:100], v[101:102], v[103:104]
	v_div_fixup_f64 v[117:118], v[99:100], v[97:98], 1.0
	v_mul_f64 v[119:120], v[90:91], -v[117:118]
.LBB106_30:
	s_or_b64 exec, exec, s[18:19]
	v_mov_b32_e32 v95, v94
.LBB106_31:
	s_or_b64 exec, exec, s[0:1]
	v_cmp_ne_u32_e32 vcc, v96, v89
	s_and_saveexec_b64 s[0:1], vcc
	s_xor_b64 s[0:1], exec, s[0:1]
	s_cbranch_execz .LBB106_37
; %bb.32:
	v_cmp_eq_u32_e32 vcc, 1, v96
	s_and_saveexec_b64 s[18:19], vcc
	s_cbranch_execz .LBB106_36
; %bb.33:
	v_cmp_ne_u32_e32 vcc, 1, v89
	s_xor_b64 s[20:21], s[6:7], -1
	s_and_b64 s[22:23], s[20:21], vcc
	s_and_saveexec_b64 s[20:21], s[22:23]
	s_cbranch_execz .LBB106_35
; %bb.34:
	v_mov_b32_e32 v53, v81
	v_mov_b32_e32 v54, v82
	;; [unrolled: 1-line block ×4, first 2 shown]
	buffer_load_dword v81, off, s[24:27], 0 offset:436 ; 4-byte Folded Reload
	buffer_load_dword v82, off, s[24:27], 0 offset:440 ; 4-byte Folded Reload
	v_ashrrev_i32_e32 v90, 31, v89
	v_lshlrev_b64 v[90:91], 2, v[89:90]
	s_waitcnt vmcnt(1)
	v_add_co_u32_e32 v90, vcc, v81, v90
	s_waitcnt vmcnt(0)
	v_addc_co_u32_e32 v91, vcc, v82, v91, vcc
	global_load_dword v92, v[90:91], off
	global_load_dword v94, v[81:82], off offset:4
	s_waitcnt vmcnt(1)
	global_store_dword v[81:82], v92, off offset:4
	v_mov_b32_e32 v84, v56
	v_mov_b32_e32 v83, v55
	;; [unrolled: 1-line block ×4, first 2 shown]
	s_waitcnt vmcnt(1)
	global_store_dword v[90:91], v94, off
.LBB106_35:
	s_or_b64 exec, exec, s[20:21]
	v_mov_b32_e32 v96, v89
	v_mov_b32_e32 v53, v89
	buffer_store_dword v53, off, s[24:27], 0 offset:352 ; 4-byte Folded Spill
.LBB106_36:
	s_or_b64 exec, exec, s[18:19]
.LBB106_37:
	s_andn2_saveexec_b64 s[0:1], s[0:1]
	s_cbranch_execz .LBB106_39
; %bb.38:
	buffer_load_dword v53, off, s[24:27], 0 offset:444 ; 4-byte Folded Reload
	buffer_load_dword v54, off, s[24:27], 0 offset:448 ; 4-byte Folded Reload
	buffer_load_dword v55, off, s[24:27], 0 offset:452 ; 4-byte Folded Reload
	buffer_load_dword v56, off, s[24:27], 0 offset:456 ; 4-byte Folded Reload
	v_mov_b32_e32 v96, 1
	s_waitcnt vmcnt(0)
	ds_write2_b64 v0, v[53:54], v[55:56] offset0:4 offset1:5
	buffer_load_dword v53, off, s[24:27], 0 offset:420 ; 4-byte Folded Reload
	buffer_load_dword v54, off, s[24:27], 0 offset:424 ; 4-byte Folded Reload
	buffer_load_dword v55, off, s[24:27], 0 offset:428 ; 4-byte Folded Reload
	buffer_load_dword v56, off, s[24:27], 0 offset:432 ; 4-byte Folded Reload
	s_waitcnt vmcnt(0)
	ds_write2_b64 v0, v[53:54], v[55:56] offset0:6 offset1:7
	buffer_load_dword v53, off, s[24:27], 0 offset:404 ; 4-byte Folded Reload
	buffer_load_dword v54, off, s[24:27], 0 offset:408 ; 4-byte Folded Reload
	buffer_load_dword v55, off, s[24:27], 0 offset:412 ; 4-byte Folded Reload
	buffer_load_dword v56, off, s[24:27], 0 offset:416 ; 4-byte Folded Reload
	;; [unrolled: 6-line block ×26, first 2 shown]
	s_waitcnt vmcnt(0)
	ds_write2_b64 v0, v[53:54], v[55:56] offset0:56 offset1:57
	ds_write2_b64 v0, v[81:82], v[83:84] offset0:58 offset1:59
	;; [unrolled: 1-line block ×11, first 2 shown]
	buffer_load_dword v53, off, s[24:27], 0 ; 4-byte Folded Reload
	buffer_load_dword v54, off, s[24:27], 0 offset:4 ; 4-byte Folded Reload
	buffer_load_dword v55, off, s[24:27], 0 offset:8 ; 4-byte Folded Reload
	;; [unrolled: 1-line block ×3, first 2 shown]
	s_waitcnt vmcnt(0)
	ds_write2_b64 v0, v[53:54], v[55:56] offset0:78 offset1:79
	ds_write2_b64 v0, v[49:50], v[51:52] offset0:80 offset1:81
	;; [unrolled: 1-line block ×15, first 2 shown]
.LBB106_39:
	s_or_b64 exec, exec, s[0:1]
	v_cmp_lt_i32_e32 vcc, 1, v96
	s_waitcnt vmcnt(0) lgkmcnt(0)
	s_barrier
	s_and_saveexec_b64 s[0:1], vcc
	s_cbranch_execz .LBB106_41
; %bb.40:
	buffer_load_dword v99, off, s[24:27], 0 offset:460 ; 4-byte Folded Reload
	buffer_load_dword v100, off, s[24:27], 0 offset:464 ; 4-byte Folded Reload
	buffer_load_dword v101, off, s[24:27], 0 offset:468 ; 4-byte Folded Reload
	buffer_load_dword v102, off, s[24:27], 0 offset:472 ; 4-byte Folded Reload
	s_waitcnt vmcnt(0)
	v_mul_f64 v[89:90], v[119:120], v[101:102]
	v_fma_f64 v[125:126], v[117:118], v[99:100], -v[89:90]
	v_mul_f64 v[89:90], v[117:118], v[101:102]
	v_fma_f64 v[101:102], v[119:120], v[99:100], v[89:90]
	ds_read2_b64 v[89:92], v0 offset0:4 offset1:5
	buffer_load_dword v53, off, s[24:27], 0 offset:444 ; 4-byte Folded Reload
	buffer_load_dword v54, off, s[24:27], 0 offset:448 ; 4-byte Folded Reload
	buffer_load_dword v55, off, s[24:27], 0 offset:452 ; 4-byte Folded Reload
	buffer_load_dword v56, off, s[24:27], 0 offset:456 ; 4-byte Folded Reload
	s_waitcnt lgkmcnt(0)
	v_mul_f64 v[97:98], v[91:92], v[101:102]
	v_fma_f64 v[97:98], v[89:90], v[125:126], -v[97:98]
	v_mul_f64 v[89:90], v[89:90], v[101:102]
	v_fma_f64 v[89:90], v[91:92], v[125:126], v[89:90]
	s_waitcnt vmcnt(2)
	v_add_f64 v[53:54], v[53:54], -v[97:98]
	s_waitcnt vmcnt(0)
	v_add_f64 v[55:56], v[55:56], -v[89:90]
	buffer_store_dword v53, off, s[24:27], 0 offset:444 ; 4-byte Folded Spill
	s_nop 0
	buffer_store_dword v54, off, s[24:27], 0 offset:448 ; 4-byte Folded Spill
	buffer_store_dword v55, off, s[24:27], 0 offset:452 ; 4-byte Folded Spill
	buffer_store_dword v56, off, s[24:27], 0 offset:456 ; 4-byte Folded Spill
	ds_read2_b64 v[89:92], v0 offset0:6 offset1:7
	buffer_load_dword v53, off, s[24:27], 0 offset:420 ; 4-byte Folded Reload
	buffer_load_dword v54, off, s[24:27], 0 offset:424 ; 4-byte Folded Reload
	buffer_load_dword v55, off, s[24:27], 0 offset:428 ; 4-byte Folded Reload
	buffer_load_dword v56, off, s[24:27], 0 offset:432 ; 4-byte Folded Reload
	s_waitcnt lgkmcnt(0)
	v_mul_f64 v[97:98], v[91:92], v[101:102]
	v_fma_f64 v[97:98], v[89:90], v[125:126], -v[97:98]
	v_mul_f64 v[89:90], v[89:90], v[101:102]
	v_fma_f64 v[89:90], v[91:92], v[125:126], v[89:90]
	s_waitcnt vmcnt(2)
	v_add_f64 v[53:54], v[53:54], -v[97:98]
	s_waitcnt vmcnt(0)
	v_add_f64 v[55:56], v[55:56], -v[89:90]
	buffer_store_dword v53, off, s[24:27], 0 offset:420 ; 4-byte Folded Spill
	s_nop 0
	buffer_store_dword v54, off, s[24:27], 0 offset:424 ; 4-byte Folded Spill
	buffer_store_dword v55, off, s[24:27], 0 offset:428 ; 4-byte Folded Spill
	buffer_store_dword v56, off, s[24:27], 0 offset:432 ; 4-byte Folded Spill
	ds_read2_b64 v[89:92], v0 offset0:8 offset1:9
	buffer_load_dword v53, off, s[24:27], 0 offset:404 ; 4-byte Folded Reload
	buffer_load_dword v54, off, s[24:27], 0 offset:408 ; 4-byte Folded Reload
	buffer_load_dword v55, off, s[24:27], 0 offset:412 ; 4-byte Folded Reload
	buffer_load_dword v56, off, s[24:27], 0 offset:416 ; 4-byte Folded Reload
	s_waitcnt lgkmcnt(0)
	v_mul_f64 v[97:98], v[91:92], v[101:102]
	v_fma_f64 v[97:98], v[89:90], v[125:126], -v[97:98]
	v_mul_f64 v[89:90], v[89:90], v[101:102]
	v_fma_f64 v[89:90], v[91:92], v[125:126], v[89:90]
	s_waitcnt vmcnt(2)
	v_add_f64 v[53:54], v[53:54], -v[97:98]
	s_waitcnt vmcnt(0)
	v_add_f64 v[55:56], v[55:56], -v[89:90]
	buffer_store_dword v53, off, s[24:27], 0 offset:404 ; 4-byte Folded Spill
	s_nop 0
	buffer_store_dword v54, off, s[24:27], 0 offset:408 ; 4-byte Folded Spill
	buffer_store_dword v55, off, s[24:27], 0 offset:412 ; 4-byte Folded Spill
	buffer_store_dword v56, off, s[24:27], 0 offset:416 ; 4-byte Folded Spill
	ds_read2_b64 v[89:92], v0 offset0:10 offset1:11
	buffer_load_dword v53, off, s[24:27], 0 offset:388 ; 4-byte Folded Reload
	buffer_load_dword v54, off, s[24:27], 0 offset:392 ; 4-byte Folded Reload
	buffer_load_dword v55, off, s[24:27], 0 offset:396 ; 4-byte Folded Reload
	buffer_load_dword v56, off, s[24:27], 0 offset:400 ; 4-byte Folded Reload
	s_waitcnt lgkmcnt(0)
	v_mul_f64 v[97:98], v[91:92], v[101:102]
	v_fma_f64 v[97:98], v[89:90], v[125:126], -v[97:98]
	v_mul_f64 v[89:90], v[89:90], v[101:102]
	v_fma_f64 v[89:90], v[91:92], v[125:126], v[89:90]
	s_waitcnt vmcnt(2)
	v_add_f64 v[53:54], v[53:54], -v[97:98]
	s_waitcnt vmcnt(0)
	v_add_f64 v[55:56], v[55:56], -v[89:90]
	buffer_store_dword v53, off, s[24:27], 0 offset:388 ; 4-byte Folded Spill
	s_nop 0
	buffer_store_dword v54, off, s[24:27], 0 offset:392 ; 4-byte Folded Spill
	buffer_store_dword v55, off, s[24:27], 0 offset:396 ; 4-byte Folded Spill
	buffer_store_dword v56, off, s[24:27], 0 offset:400 ; 4-byte Folded Spill
	ds_read2_b64 v[89:92], v0 offset0:12 offset1:13
	buffer_load_dword v53, off, s[24:27], 0 offset:372 ; 4-byte Folded Reload
	buffer_load_dword v54, off, s[24:27], 0 offset:376 ; 4-byte Folded Reload
	buffer_load_dword v55, off, s[24:27], 0 offset:380 ; 4-byte Folded Reload
	buffer_load_dword v56, off, s[24:27], 0 offset:384 ; 4-byte Folded Reload
	s_waitcnt lgkmcnt(0)
	v_mul_f64 v[97:98], v[91:92], v[101:102]
	v_fma_f64 v[97:98], v[89:90], v[125:126], -v[97:98]
	v_mul_f64 v[89:90], v[89:90], v[101:102]
	v_fma_f64 v[89:90], v[91:92], v[125:126], v[89:90]
	s_waitcnt vmcnt(2)
	v_add_f64 v[53:54], v[53:54], -v[97:98]
	s_waitcnt vmcnt(0)
	v_add_f64 v[55:56], v[55:56], -v[89:90]
	buffer_store_dword v53, off, s[24:27], 0 offset:372 ; 4-byte Folded Spill
	s_nop 0
	buffer_store_dword v54, off, s[24:27], 0 offset:376 ; 4-byte Folded Spill
	buffer_store_dword v55, off, s[24:27], 0 offset:380 ; 4-byte Folded Spill
	buffer_store_dword v56, off, s[24:27], 0 offset:384 ; 4-byte Folded Spill
	ds_read2_b64 v[89:92], v0 offset0:14 offset1:15
	buffer_load_dword v53, off, s[24:27], 0 offset:356 ; 4-byte Folded Reload
	buffer_load_dword v54, off, s[24:27], 0 offset:360 ; 4-byte Folded Reload
	buffer_load_dword v55, off, s[24:27], 0 offset:364 ; 4-byte Folded Reload
	buffer_load_dword v56, off, s[24:27], 0 offset:368 ; 4-byte Folded Reload
	s_waitcnt lgkmcnt(0)
	v_mul_f64 v[97:98], v[91:92], v[101:102]
	v_fma_f64 v[97:98], v[89:90], v[125:126], -v[97:98]
	v_mul_f64 v[89:90], v[89:90], v[101:102]
	v_fma_f64 v[89:90], v[91:92], v[125:126], v[89:90]
	s_waitcnt vmcnt(2)
	v_add_f64 v[53:54], v[53:54], -v[97:98]
	s_waitcnt vmcnt(0)
	v_add_f64 v[55:56], v[55:56], -v[89:90]
	buffer_store_dword v53, off, s[24:27], 0 offset:356 ; 4-byte Folded Spill
	s_nop 0
	buffer_store_dword v54, off, s[24:27], 0 offset:360 ; 4-byte Folded Spill
	buffer_store_dword v55, off, s[24:27], 0 offset:364 ; 4-byte Folded Spill
	buffer_store_dword v56, off, s[24:27], 0 offset:368 ; 4-byte Folded Spill
	ds_read2_b64 v[89:92], v0 offset0:16 offset1:17
	buffer_load_dword v53, off, s[24:27], 0 offset:336 ; 4-byte Folded Reload
	buffer_load_dword v54, off, s[24:27], 0 offset:340 ; 4-byte Folded Reload
	buffer_load_dword v55, off, s[24:27], 0 offset:344 ; 4-byte Folded Reload
	buffer_load_dword v56, off, s[24:27], 0 offset:348 ; 4-byte Folded Reload
	s_waitcnt lgkmcnt(0)
	v_mul_f64 v[97:98], v[91:92], v[101:102]
	v_fma_f64 v[97:98], v[89:90], v[125:126], -v[97:98]
	v_mul_f64 v[89:90], v[89:90], v[101:102]
	v_fma_f64 v[89:90], v[91:92], v[125:126], v[89:90]
	s_waitcnt vmcnt(2)
	v_add_f64 v[53:54], v[53:54], -v[97:98]
	s_waitcnt vmcnt(0)
	v_add_f64 v[55:56], v[55:56], -v[89:90]
	buffer_store_dword v53, off, s[24:27], 0 offset:336 ; 4-byte Folded Spill
	s_nop 0
	buffer_store_dword v54, off, s[24:27], 0 offset:340 ; 4-byte Folded Spill
	buffer_store_dword v55, off, s[24:27], 0 offset:344 ; 4-byte Folded Spill
	buffer_store_dword v56, off, s[24:27], 0 offset:348 ; 4-byte Folded Spill
	ds_read2_b64 v[89:92], v0 offset0:18 offset1:19
	buffer_load_dword v53, off, s[24:27], 0 offset:320 ; 4-byte Folded Reload
	buffer_load_dword v54, off, s[24:27], 0 offset:324 ; 4-byte Folded Reload
	buffer_load_dword v55, off, s[24:27], 0 offset:328 ; 4-byte Folded Reload
	buffer_load_dword v56, off, s[24:27], 0 offset:332 ; 4-byte Folded Reload
	s_waitcnt lgkmcnt(0)
	v_mul_f64 v[97:98], v[91:92], v[101:102]
	v_fma_f64 v[97:98], v[89:90], v[125:126], -v[97:98]
	v_mul_f64 v[89:90], v[89:90], v[101:102]
	v_fma_f64 v[89:90], v[91:92], v[125:126], v[89:90]
	s_waitcnt vmcnt(2)
	v_add_f64 v[53:54], v[53:54], -v[97:98]
	s_waitcnt vmcnt(0)
	v_add_f64 v[55:56], v[55:56], -v[89:90]
	buffer_store_dword v53, off, s[24:27], 0 offset:320 ; 4-byte Folded Spill
	s_nop 0
	buffer_store_dword v54, off, s[24:27], 0 offset:324 ; 4-byte Folded Spill
	buffer_store_dword v55, off, s[24:27], 0 offset:328 ; 4-byte Folded Spill
	buffer_store_dword v56, off, s[24:27], 0 offset:332 ; 4-byte Folded Spill
	ds_read2_b64 v[89:92], v0 offset0:20 offset1:21
	buffer_load_dword v53, off, s[24:27], 0 offset:304 ; 4-byte Folded Reload
	buffer_load_dword v54, off, s[24:27], 0 offset:308 ; 4-byte Folded Reload
	buffer_load_dword v55, off, s[24:27], 0 offset:312 ; 4-byte Folded Reload
	buffer_load_dword v56, off, s[24:27], 0 offset:316 ; 4-byte Folded Reload
	s_waitcnt lgkmcnt(0)
	v_mul_f64 v[97:98], v[91:92], v[101:102]
	v_fma_f64 v[97:98], v[89:90], v[125:126], -v[97:98]
	v_mul_f64 v[89:90], v[89:90], v[101:102]
	v_fma_f64 v[89:90], v[91:92], v[125:126], v[89:90]
	s_waitcnt vmcnt(2)
	v_add_f64 v[53:54], v[53:54], -v[97:98]
	s_waitcnt vmcnt(0)
	v_add_f64 v[55:56], v[55:56], -v[89:90]
	buffer_store_dword v53, off, s[24:27], 0 offset:304 ; 4-byte Folded Spill
	s_nop 0
	buffer_store_dword v54, off, s[24:27], 0 offset:308 ; 4-byte Folded Spill
	buffer_store_dword v55, off, s[24:27], 0 offset:312 ; 4-byte Folded Spill
	buffer_store_dword v56, off, s[24:27], 0 offset:316 ; 4-byte Folded Spill
	ds_read2_b64 v[89:92], v0 offset0:22 offset1:23
	buffer_load_dword v53, off, s[24:27], 0 offset:288 ; 4-byte Folded Reload
	buffer_load_dword v54, off, s[24:27], 0 offset:292 ; 4-byte Folded Reload
	buffer_load_dword v55, off, s[24:27], 0 offset:296 ; 4-byte Folded Reload
	buffer_load_dword v56, off, s[24:27], 0 offset:300 ; 4-byte Folded Reload
	s_waitcnt lgkmcnt(0)
	v_mul_f64 v[97:98], v[91:92], v[101:102]
	v_fma_f64 v[97:98], v[89:90], v[125:126], -v[97:98]
	v_mul_f64 v[89:90], v[89:90], v[101:102]
	v_fma_f64 v[89:90], v[91:92], v[125:126], v[89:90]
	s_waitcnt vmcnt(2)
	v_add_f64 v[53:54], v[53:54], -v[97:98]
	s_waitcnt vmcnt(0)
	v_add_f64 v[55:56], v[55:56], -v[89:90]
	buffer_store_dword v53, off, s[24:27], 0 offset:288 ; 4-byte Folded Spill
	s_nop 0
	buffer_store_dword v54, off, s[24:27], 0 offset:292 ; 4-byte Folded Spill
	buffer_store_dword v55, off, s[24:27], 0 offset:296 ; 4-byte Folded Spill
	buffer_store_dword v56, off, s[24:27], 0 offset:300 ; 4-byte Folded Spill
	ds_read2_b64 v[89:92], v0 offset0:24 offset1:25
	buffer_load_dword v53, off, s[24:27], 0 offset:272 ; 4-byte Folded Reload
	buffer_load_dword v54, off, s[24:27], 0 offset:276 ; 4-byte Folded Reload
	buffer_load_dword v55, off, s[24:27], 0 offset:280 ; 4-byte Folded Reload
	buffer_load_dword v56, off, s[24:27], 0 offset:284 ; 4-byte Folded Reload
	s_waitcnt lgkmcnt(0)
	v_mul_f64 v[97:98], v[91:92], v[101:102]
	v_fma_f64 v[97:98], v[89:90], v[125:126], -v[97:98]
	v_mul_f64 v[89:90], v[89:90], v[101:102]
	v_fma_f64 v[89:90], v[91:92], v[125:126], v[89:90]
	s_waitcnt vmcnt(2)
	v_add_f64 v[53:54], v[53:54], -v[97:98]
	s_waitcnt vmcnt(0)
	v_add_f64 v[55:56], v[55:56], -v[89:90]
	buffer_store_dword v53, off, s[24:27], 0 offset:272 ; 4-byte Folded Spill
	s_nop 0
	buffer_store_dword v54, off, s[24:27], 0 offset:276 ; 4-byte Folded Spill
	buffer_store_dword v55, off, s[24:27], 0 offset:280 ; 4-byte Folded Spill
	buffer_store_dword v56, off, s[24:27], 0 offset:284 ; 4-byte Folded Spill
	ds_read2_b64 v[89:92], v0 offset0:26 offset1:27
	buffer_load_dword v53, off, s[24:27], 0 offset:256 ; 4-byte Folded Reload
	buffer_load_dword v54, off, s[24:27], 0 offset:260 ; 4-byte Folded Reload
	buffer_load_dword v55, off, s[24:27], 0 offset:264 ; 4-byte Folded Reload
	buffer_load_dword v56, off, s[24:27], 0 offset:268 ; 4-byte Folded Reload
	s_waitcnt lgkmcnt(0)
	v_mul_f64 v[97:98], v[91:92], v[101:102]
	v_fma_f64 v[97:98], v[89:90], v[125:126], -v[97:98]
	v_mul_f64 v[89:90], v[89:90], v[101:102]
	v_fma_f64 v[89:90], v[91:92], v[125:126], v[89:90]
	s_waitcnt vmcnt(2)
	v_add_f64 v[53:54], v[53:54], -v[97:98]
	s_waitcnt vmcnt(0)
	v_add_f64 v[55:56], v[55:56], -v[89:90]
	buffer_store_dword v53, off, s[24:27], 0 offset:256 ; 4-byte Folded Spill
	s_nop 0
	buffer_store_dword v54, off, s[24:27], 0 offset:260 ; 4-byte Folded Spill
	buffer_store_dword v55, off, s[24:27], 0 offset:264 ; 4-byte Folded Spill
	buffer_store_dword v56, off, s[24:27], 0 offset:268 ; 4-byte Folded Spill
	ds_read2_b64 v[89:92], v0 offset0:28 offset1:29
	buffer_load_dword v53, off, s[24:27], 0 offset:240 ; 4-byte Folded Reload
	buffer_load_dword v54, off, s[24:27], 0 offset:244 ; 4-byte Folded Reload
	buffer_load_dword v55, off, s[24:27], 0 offset:248 ; 4-byte Folded Reload
	buffer_load_dword v56, off, s[24:27], 0 offset:252 ; 4-byte Folded Reload
	s_waitcnt lgkmcnt(0)
	v_mul_f64 v[97:98], v[91:92], v[101:102]
	v_fma_f64 v[97:98], v[89:90], v[125:126], -v[97:98]
	v_mul_f64 v[89:90], v[89:90], v[101:102]
	v_fma_f64 v[89:90], v[91:92], v[125:126], v[89:90]
	s_waitcnt vmcnt(2)
	v_add_f64 v[53:54], v[53:54], -v[97:98]
	s_waitcnt vmcnt(0)
	v_add_f64 v[55:56], v[55:56], -v[89:90]
	buffer_store_dword v53, off, s[24:27], 0 offset:240 ; 4-byte Folded Spill
	s_nop 0
	buffer_store_dword v54, off, s[24:27], 0 offset:244 ; 4-byte Folded Spill
	buffer_store_dword v55, off, s[24:27], 0 offset:248 ; 4-byte Folded Spill
	buffer_store_dword v56, off, s[24:27], 0 offset:252 ; 4-byte Folded Spill
	ds_read2_b64 v[89:92], v0 offset0:30 offset1:31
	buffer_load_dword v53, off, s[24:27], 0 offset:224 ; 4-byte Folded Reload
	buffer_load_dword v54, off, s[24:27], 0 offset:228 ; 4-byte Folded Reload
	buffer_load_dword v55, off, s[24:27], 0 offset:232 ; 4-byte Folded Reload
	buffer_load_dword v56, off, s[24:27], 0 offset:236 ; 4-byte Folded Reload
	s_waitcnt lgkmcnt(0)
	v_mul_f64 v[97:98], v[91:92], v[101:102]
	v_fma_f64 v[97:98], v[89:90], v[125:126], -v[97:98]
	v_mul_f64 v[89:90], v[89:90], v[101:102]
	v_fma_f64 v[89:90], v[91:92], v[125:126], v[89:90]
	s_waitcnt vmcnt(2)
	v_add_f64 v[53:54], v[53:54], -v[97:98]
	s_waitcnt vmcnt(0)
	v_add_f64 v[55:56], v[55:56], -v[89:90]
	buffer_store_dword v53, off, s[24:27], 0 offset:224 ; 4-byte Folded Spill
	s_nop 0
	buffer_store_dword v54, off, s[24:27], 0 offset:228 ; 4-byte Folded Spill
	buffer_store_dword v55, off, s[24:27], 0 offset:232 ; 4-byte Folded Spill
	buffer_store_dword v56, off, s[24:27], 0 offset:236 ; 4-byte Folded Spill
	ds_read2_b64 v[89:92], v0 offset0:32 offset1:33
	buffer_load_dword v53, off, s[24:27], 0 offset:208 ; 4-byte Folded Reload
	buffer_load_dword v54, off, s[24:27], 0 offset:212 ; 4-byte Folded Reload
	buffer_load_dword v55, off, s[24:27], 0 offset:216 ; 4-byte Folded Reload
	buffer_load_dword v56, off, s[24:27], 0 offset:220 ; 4-byte Folded Reload
	s_waitcnt lgkmcnt(0)
	v_mul_f64 v[97:98], v[91:92], v[101:102]
	v_fma_f64 v[97:98], v[89:90], v[125:126], -v[97:98]
	v_mul_f64 v[89:90], v[89:90], v[101:102]
	v_fma_f64 v[89:90], v[91:92], v[125:126], v[89:90]
	s_waitcnt vmcnt(2)
	v_add_f64 v[53:54], v[53:54], -v[97:98]
	s_waitcnt vmcnt(0)
	v_add_f64 v[55:56], v[55:56], -v[89:90]
	buffer_store_dword v53, off, s[24:27], 0 offset:208 ; 4-byte Folded Spill
	s_nop 0
	buffer_store_dword v54, off, s[24:27], 0 offset:212 ; 4-byte Folded Spill
	buffer_store_dword v55, off, s[24:27], 0 offset:216 ; 4-byte Folded Spill
	buffer_store_dword v56, off, s[24:27], 0 offset:220 ; 4-byte Folded Spill
	ds_read2_b64 v[89:92], v0 offset0:34 offset1:35
	buffer_load_dword v53, off, s[24:27], 0 offset:192 ; 4-byte Folded Reload
	buffer_load_dword v54, off, s[24:27], 0 offset:196 ; 4-byte Folded Reload
	buffer_load_dword v55, off, s[24:27], 0 offset:200 ; 4-byte Folded Reload
	buffer_load_dword v56, off, s[24:27], 0 offset:204 ; 4-byte Folded Reload
	s_waitcnt lgkmcnt(0)
	v_mul_f64 v[97:98], v[91:92], v[101:102]
	v_fma_f64 v[97:98], v[89:90], v[125:126], -v[97:98]
	v_mul_f64 v[89:90], v[89:90], v[101:102]
	v_fma_f64 v[89:90], v[91:92], v[125:126], v[89:90]
	s_waitcnt vmcnt(2)
	v_add_f64 v[53:54], v[53:54], -v[97:98]
	s_waitcnt vmcnt(0)
	v_add_f64 v[55:56], v[55:56], -v[89:90]
	buffer_store_dword v53, off, s[24:27], 0 offset:192 ; 4-byte Folded Spill
	s_nop 0
	buffer_store_dword v54, off, s[24:27], 0 offset:196 ; 4-byte Folded Spill
	buffer_store_dword v55, off, s[24:27], 0 offset:200 ; 4-byte Folded Spill
	buffer_store_dword v56, off, s[24:27], 0 offset:204 ; 4-byte Folded Spill
	ds_read2_b64 v[89:92], v0 offset0:36 offset1:37
	buffer_load_dword v53, off, s[24:27], 0 offset:176 ; 4-byte Folded Reload
	buffer_load_dword v54, off, s[24:27], 0 offset:180 ; 4-byte Folded Reload
	buffer_load_dword v55, off, s[24:27], 0 offset:184 ; 4-byte Folded Reload
	buffer_load_dword v56, off, s[24:27], 0 offset:188 ; 4-byte Folded Reload
	s_waitcnt lgkmcnt(0)
	v_mul_f64 v[97:98], v[91:92], v[101:102]
	v_fma_f64 v[97:98], v[89:90], v[125:126], -v[97:98]
	v_mul_f64 v[89:90], v[89:90], v[101:102]
	v_fma_f64 v[89:90], v[91:92], v[125:126], v[89:90]
	s_waitcnt vmcnt(2)
	v_add_f64 v[53:54], v[53:54], -v[97:98]
	s_waitcnt vmcnt(0)
	v_add_f64 v[55:56], v[55:56], -v[89:90]
	buffer_store_dword v53, off, s[24:27], 0 offset:176 ; 4-byte Folded Spill
	s_nop 0
	buffer_store_dword v54, off, s[24:27], 0 offset:180 ; 4-byte Folded Spill
	buffer_store_dword v55, off, s[24:27], 0 offset:184 ; 4-byte Folded Spill
	buffer_store_dword v56, off, s[24:27], 0 offset:188 ; 4-byte Folded Spill
	ds_read2_b64 v[89:92], v0 offset0:38 offset1:39
	buffer_load_dword v53, off, s[24:27], 0 offset:160 ; 4-byte Folded Reload
	buffer_load_dword v54, off, s[24:27], 0 offset:164 ; 4-byte Folded Reload
	buffer_load_dword v55, off, s[24:27], 0 offset:168 ; 4-byte Folded Reload
	buffer_load_dword v56, off, s[24:27], 0 offset:172 ; 4-byte Folded Reload
	s_waitcnt lgkmcnt(0)
	v_mul_f64 v[97:98], v[91:92], v[101:102]
	v_fma_f64 v[97:98], v[89:90], v[125:126], -v[97:98]
	v_mul_f64 v[89:90], v[89:90], v[101:102]
	v_fma_f64 v[89:90], v[91:92], v[125:126], v[89:90]
	s_waitcnt vmcnt(2)
	v_add_f64 v[53:54], v[53:54], -v[97:98]
	s_waitcnt vmcnt(0)
	v_add_f64 v[55:56], v[55:56], -v[89:90]
	buffer_store_dword v53, off, s[24:27], 0 offset:160 ; 4-byte Folded Spill
	s_nop 0
	buffer_store_dword v54, off, s[24:27], 0 offset:164 ; 4-byte Folded Spill
	buffer_store_dword v55, off, s[24:27], 0 offset:168 ; 4-byte Folded Spill
	buffer_store_dword v56, off, s[24:27], 0 offset:172 ; 4-byte Folded Spill
	ds_read2_b64 v[89:92], v0 offset0:40 offset1:41
	buffer_load_dword v53, off, s[24:27], 0 offset:144 ; 4-byte Folded Reload
	buffer_load_dword v54, off, s[24:27], 0 offset:148 ; 4-byte Folded Reload
	buffer_load_dword v55, off, s[24:27], 0 offset:152 ; 4-byte Folded Reload
	buffer_load_dword v56, off, s[24:27], 0 offset:156 ; 4-byte Folded Reload
	s_waitcnt lgkmcnt(0)
	v_mul_f64 v[97:98], v[91:92], v[101:102]
	v_fma_f64 v[97:98], v[89:90], v[125:126], -v[97:98]
	v_mul_f64 v[89:90], v[89:90], v[101:102]
	v_fma_f64 v[89:90], v[91:92], v[125:126], v[89:90]
	s_waitcnt vmcnt(2)
	v_add_f64 v[53:54], v[53:54], -v[97:98]
	s_waitcnt vmcnt(0)
	v_add_f64 v[55:56], v[55:56], -v[89:90]
	buffer_store_dword v53, off, s[24:27], 0 offset:144 ; 4-byte Folded Spill
	s_nop 0
	buffer_store_dword v54, off, s[24:27], 0 offset:148 ; 4-byte Folded Spill
	buffer_store_dword v55, off, s[24:27], 0 offset:152 ; 4-byte Folded Spill
	buffer_store_dword v56, off, s[24:27], 0 offset:156 ; 4-byte Folded Spill
	ds_read2_b64 v[89:92], v0 offset0:42 offset1:43
	buffer_load_dword v53, off, s[24:27], 0 offset:128 ; 4-byte Folded Reload
	buffer_load_dword v54, off, s[24:27], 0 offset:132 ; 4-byte Folded Reload
	buffer_load_dword v55, off, s[24:27], 0 offset:136 ; 4-byte Folded Reload
	buffer_load_dword v56, off, s[24:27], 0 offset:140 ; 4-byte Folded Reload
	s_waitcnt lgkmcnt(0)
	v_mul_f64 v[97:98], v[91:92], v[101:102]
	v_fma_f64 v[97:98], v[89:90], v[125:126], -v[97:98]
	v_mul_f64 v[89:90], v[89:90], v[101:102]
	v_fma_f64 v[89:90], v[91:92], v[125:126], v[89:90]
	s_waitcnt vmcnt(2)
	v_add_f64 v[53:54], v[53:54], -v[97:98]
	s_waitcnt vmcnt(0)
	v_add_f64 v[55:56], v[55:56], -v[89:90]
	buffer_store_dword v53, off, s[24:27], 0 offset:128 ; 4-byte Folded Spill
	s_nop 0
	buffer_store_dword v54, off, s[24:27], 0 offset:132 ; 4-byte Folded Spill
	buffer_store_dword v55, off, s[24:27], 0 offset:136 ; 4-byte Folded Spill
	buffer_store_dword v56, off, s[24:27], 0 offset:140 ; 4-byte Folded Spill
	ds_read2_b64 v[89:92], v0 offset0:44 offset1:45
	buffer_load_dword v53, off, s[24:27], 0 offset:112 ; 4-byte Folded Reload
	buffer_load_dword v54, off, s[24:27], 0 offset:116 ; 4-byte Folded Reload
	buffer_load_dword v55, off, s[24:27], 0 offset:120 ; 4-byte Folded Reload
	buffer_load_dword v56, off, s[24:27], 0 offset:124 ; 4-byte Folded Reload
	s_waitcnt lgkmcnt(0)
	v_mul_f64 v[97:98], v[91:92], v[101:102]
	v_fma_f64 v[97:98], v[89:90], v[125:126], -v[97:98]
	v_mul_f64 v[89:90], v[89:90], v[101:102]
	v_fma_f64 v[89:90], v[91:92], v[125:126], v[89:90]
	s_waitcnt vmcnt(2)
	v_add_f64 v[53:54], v[53:54], -v[97:98]
	s_waitcnt vmcnt(0)
	v_add_f64 v[55:56], v[55:56], -v[89:90]
	buffer_store_dword v53, off, s[24:27], 0 offset:112 ; 4-byte Folded Spill
	s_nop 0
	buffer_store_dword v54, off, s[24:27], 0 offset:116 ; 4-byte Folded Spill
	buffer_store_dword v55, off, s[24:27], 0 offset:120 ; 4-byte Folded Spill
	buffer_store_dword v56, off, s[24:27], 0 offset:124 ; 4-byte Folded Spill
	ds_read2_b64 v[89:92], v0 offset0:46 offset1:47
	buffer_load_dword v53, off, s[24:27], 0 offset:96 ; 4-byte Folded Reload
	buffer_load_dword v54, off, s[24:27], 0 offset:100 ; 4-byte Folded Reload
	buffer_load_dword v55, off, s[24:27], 0 offset:104 ; 4-byte Folded Reload
	buffer_load_dword v56, off, s[24:27], 0 offset:108 ; 4-byte Folded Reload
	s_waitcnt lgkmcnt(0)
	v_mul_f64 v[97:98], v[91:92], v[101:102]
	v_fma_f64 v[97:98], v[89:90], v[125:126], -v[97:98]
	v_mul_f64 v[89:90], v[89:90], v[101:102]
	v_fma_f64 v[89:90], v[91:92], v[125:126], v[89:90]
	s_waitcnt vmcnt(2)
	v_add_f64 v[53:54], v[53:54], -v[97:98]
	s_waitcnt vmcnt(0)
	v_add_f64 v[55:56], v[55:56], -v[89:90]
	buffer_store_dword v53, off, s[24:27], 0 offset:96 ; 4-byte Folded Spill
	s_nop 0
	buffer_store_dword v54, off, s[24:27], 0 offset:100 ; 4-byte Folded Spill
	buffer_store_dword v55, off, s[24:27], 0 offset:104 ; 4-byte Folded Spill
	buffer_store_dword v56, off, s[24:27], 0 offset:108 ; 4-byte Folded Spill
	ds_read2_b64 v[89:92], v0 offset0:48 offset1:49
	buffer_load_dword v53, off, s[24:27], 0 offset:80 ; 4-byte Folded Reload
	buffer_load_dword v54, off, s[24:27], 0 offset:84 ; 4-byte Folded Reload
	buffer_load_dword v55, off, s[24:27], 0 offset:88 ; 4-byte Folded Reload
	buffer_load_dword v56, off, s[24:27], 0 offset:92 ; 4-byte Folded Reload
	s_waitcnt lgkmcnt(0)
	v_mul_f64 v[97:98], v[91:92], v[101:102]
	v_fma_f64 v[97:98], v[89:90], v[125:126], -v[97:98]
	v_mul_f64 v[89:90], v[89:90], v[101:102]
	v_fma_f64 v[89:90], v[91:92], v[125:126], v[89:90]
	s_waitcnt vmcnt(2)
	v_add_f64 v[53:54], v[53:54], -v[97:98]
	s_waitcnt vmcnt(0)
	v_add_f64 v[55:56], v[55:56], -v[89:90]
	buffer_store_dword v53, off, s[24:27], 0 offset:80 ; 4-byte Folded Spill
	s_nop 0
	buffer_store_dword v54, off, s[24:27], 0 offset:84 ; 4-byte Folded Spill
	buffer_store_dword v55, off, s[24:27], 0 offset:88 ; 4-byte Folded Spill
	buffer_store_dword v56, off, s[24:27], 0 offset:92 ; 4-byte Folded Spill
	ds_read2_b64 v[89:92], v0 offset0:50 offset1:51
	buffer_load_dword v53, off, s[24:27], 0 offset:64 ; 4-byte Folded Reload
	buffer_load_dword v54, off, s[24:27], 0 offset:68 ; 4-byte Folded Reload
	buffer_load_dword v55, off, s[24:27], 0 offset:72 ; 4-byte Folded Reload
	buffer_load_dword v56, off, s[24:27], 0 offset:76 ; 4-byte Folded Reload
	s_waitcnt lgkmcnt(0)
	v_mul_f64 v[97:98], v[91:92], v[101:102]
	v_fma_f64 v[97:98], v[89:90], v[125:126], -v[97:98]
	v_mul_f64 v[89:90], v[89:90], v[101:102]
	v_fma_f64 v[89:90], v[91:92], v[125:126], v[89:90]
	s_waitcnt vmcnt(2)
	v_add_f64 v[53:54], v[53:54], -v[97:98]
	s_waitcnt vmcnt(0)
	v_add_f64 v[55:56], v[55:56], -v[89:90]
	buffer_store_dword v53, off, s[24:27], 0 offset:64 ; 4-byte Folded Spill
	s_nop 0
	buffer_store_dword v54, off, s[24:27], 0 offset:68 ; 4-byte Folded Spill
	buffer_store_dword v55, off, s[24:27], 0 offset:72 ; 4-byte Folded Spill
	buffer_store_dword v56, off, s[24:27], 0 offset:76 ; 4-byte Folded Spill
	ds_read2_b64 v[89:92], v0 offset0:52 offset1:53
	buffer_load_dword v53, off, s[24:27], 0 offset:48 ; 4-byte Folded Reload
	buffer_load_dword v54, off, s[24:27], 0 offset:52 ; 4-byte Folded Reload
	buffer_load_dword v55, off, s[24:27], 0 offset:56 ; 4-byte Folded Reload
	buffer_load_dword v56, off, s[24:27], 0 offset:60 ; 4-byte Folded Reload
	s_waitcnt lgkmcnt(0)
	v_mul_f64 v[97:98], v[91:92], v[101:102]
	v_fma_f64 v[97:98], v[89:90], v[125:126], -v[97:98]
	v_mul_f64 v[89:90], v[89:90], v[101:102]
	v_fma_f64 v[89:90], v[91:92], v[125:126], v[89:90]
	s_waitcnt vmcnt(2)
	v_add_f64 v[53:54], v[53:54], -v[97:98]
	s_waitcnt vmcnt(0)
	v_add_f64 v[55:56], v[55:56], -v[89:90]
	buffer_store_dword v53, off, s[24:27], 0 offset:48 ; 4-byte Folded Spill
	s_nop 0
	buffer_store_dword v54, off, s[24:27], 0 offset:52 ; 4-byte Folded Spill
	buffer_store_dword v55, off, s[24:27], 0 offset:56 ; 4-byte Folded Spill
	buffer_store_dword v56, off, s[24:27], 0 offset:60 ; 4-byte Folded Spill
	ds_read2_b64 v[89:92], v0 offset0:54 offset1:55
	buffer_load_dword v53, off, s[24:27], 0 offset:32 ; 4-byte Folded Reload
	buffer_load_dword v54, off, s[24:27], 0 offset:36 ; 4-byte Folded Reload
	buffer_load_dword v55, off, s[24:27], 0 offset:40 ; 4-byte Folded Reload
	buffer_load_dword v56, off, s[24:27], 0 offset:44 ; 4-byte Folded Reload
	s_waitcnt lgkmcnt(0)
	v_mul_f64 v[97:98], v[91:92], v[101:102]
	v_fma_f64 v[97:98], v[89:90], v[125:126], -v[97:98]
	v_mul_f64 v[89:90], v[89:90], v[101:102]
	v_fma_f64 v[89:90], v[91:92], v[125:126], v[89:90]
	s_waitcnt vmcnt(2)
	v_add_f64 v[53:54], v[53:54], -v[97:98]
	s_waitcnt vmcnt(0)
	v_add_f64 v[55:56], v[55:56], -v[89:90]
	buffer_store_dword v53, off, s[24:27], 0 offset:32 ; 4-byte Folded Spill
	s_nop 0
	buffer_store_dword v54, off, s[24:27], 0 offset:36 ; 4-byte Folded Spill
	buffer_store_dword v55, off, s[24:27], 0 offset:40 ; 4-byte Folded Spill
	buffer_store_dword v56, off, s[24:27], 0 offset:44 ; 4-byte Folded Spill
	ds_read2_b64 v[89:92], v0 offset0:56 offset1:57
	buffer_load_dword v53, off, s[24:27], 0 offset:16 ; 4-byte Folded Reload
	buffer_load_dword v54, off, s[24:27], 0 offset:20 ; 4-byte Folded Reload
	buffer_load_dword v55, off, s[24:27], 0 offset:24 ; 4-byte Folded Reload
	buffer_load_dword v56, off, s[24:27], 0 offset:28 ; 4-byte Folded Reload
	s_waitcnt lgkmcnt(0)
	v_mul_f64 v[97:98], v[91:92], v[101:102]
	v_fma_f64 v[97:98], v[89:90], v[125:126], -v[97:98]
	v_mul_f64 v[89:90], v[89:90], v[101:102]
	v_fma_f64 v[89:90], v[91:92], v[125:126], v[89:90]
	s_waitcnt vmcnt(2)
	v_add_f64 v[53:54], v[53:54], -v[97:98]
	s_waitcnt vmcnt(0)
	v_add_f64 v[55:56], v[55:56], -v[89:90]
	buffer_store_dword v53, off, s[24:27], 0 offset:16 ; 4-byte Folded Spill
	s_nop 0
	buffer_store_dword v54, off, s[24:27], 0 offset:20 ; 4-byte Folded Spill
	buffer_store_dword v55, off, s[24:27], 0 offset:24 ; 4-byte Folded Spill
	buffer_store_dword v56, off, s[24:27], 0 offset:28 ; 4-byte Folded Spill
	ds_read2_b64 v[89:92], v0 offset0:58 offset1:59
	s_waitcnt lgkmcnt(0)
	v_mul_f64 v[97:98], v[91:92], v[101:102]
	v_fma_f64 v[97:98], v[89:90], v[125:126], -v[97:98]
	v_mul_f64 v[89:90], v[89:90], v[101:102]
	v_add_f64 v[81:82], v[81:82], -v[97:98]
	v_fma_f64 v[89:90], v[91:92], v[125:126], v[89:90]
	v_add_f64 v[83:84], v[83:84], -v[89:90]
	ds_read2_b64 v[89:92], v0 offset0:60 offset1:61
	s_waitcnt lgkmcnt(0)
	v_mul_f64 v[97:98], v[91:92], v[101:102]
	v_fma_f64 v[97:98], v[89:90], v[125:126], -v[97:98]
	v_mul_f64 v[89:90], v[89:90], v[101:102]
	v_add_f64 v[85:86], v[85:86], -v[97:98]
	v_fma_f64 v[89:90], v[91:92], v[125:126], v[89:90]
	v_add_f64 v[87:88], v[87:88], -v[89:90]
	;; [unrolled: 8-line block ×10, first 2 shown]
	ds_read2_b64 v[89:92], v0 offset0:78 offset1:79
	buffer_load_dword v53, off, s[24:27], 0 ; 4-byte Folded Reload
	buffer_load_dword v54, off, s[24:27], 0 offset:4 ; 4-byte Folded Reload
	buffer_load_dword v55, off, s[24:27], 0 offset:8 ; 4-byte Folded Reload
	;; [unrolled: 1-line block ×3, first 2 shown]
	s_waitcnt lgkmcnt(0)
	v_mul_f64 v[97:98], v[91:92], v[101:102]
	v_fma_f64 v[97:98], v[89:90], v[125:126], -v[97:98]
	v_mul_f64 v[89:90], v[89:90], v[101:102]
	v_fma_f64 v[89:90], v[91:92], v[125:126], v[89:90]
	s_waitcnt vmcnt(2)
	v_add_f64 v[53:54], v[53:54], -v[97:98]
	s_waitcnt vmcnt(0)
	v_add_f64 v[55:56], v[55:56], -v[89:90]
	buffer_store_dword v53, off, s[24:27], 0 ; 4-byte Folded Spill
	s_nop 0
	buffer_store_dword v54, off, s[24:27], 0 offset:4 ; 4-byte Folded Spill
	buffer_store_dword v55, off, s[24:27], 0 offset:8 ; 4-byte Folded Spill
	;; [unrolled: 1-line block ×3, first 2 shown]
	ds_read2_b64 v[89:92], v0 offset0:80 offset1:81
	s_waitcnt lgkmcnt(0)
	v_mul_f64 v[97:98], v[91:92], v[101:102]
	v_fma_f64 v[97:98], v[89:90], v[125:126], -v[97:98]
	v_mul_f64 v[89:90], v[89:90], v[101:102]
	v_add_f64 v[49:50], v[49:50], -v[97:98]
	v_fma_f64 v[89:90], v[91:92], v[125:126], v[89:90]
	v_add_f64 v[51:52], v[51:52], -v[89:90]
	ds_read2_b64 v[89:92], v0 offset0:82 offset1:83
	s_waitcnt lgkmcnt(0)
	v_mul_f64 v[97:98], v[91:92], v[101:102]
	v_fma_f64 v[97:98], v[89:90], v[125:126], -v[97:98]
	v_mul_f64 v[89:90], v[89:90], v[101:102]
	v_add_f64 v[45:46], v[45:46], -v[97:98]
	v_fma_f64 v[89:90], v[91:92], v[125:126], v[89:90]
	v_add_f64 v[47:48], v[47:48], -v[89:90]
	;; [unrolled: 8-line block ×12, first 2 shown]
	ds_read2_b64 v[89:92], v0 offset0:104 offset1:105
	s_waitcnt lgkmcnt(0)
	v_mul_f64 v[97:98], v[91:92], v[101:102]
	v_fma_f64 v[97:98], v[89:90], v[125:126], -v[97:98]
	v_mul_f64 v[89:90], v[89:90], v[101:102]
	v_add_f64 v[1:2], v[1:2], -v[97:98]
	v_fma_f64 v[89:90], v[91:92], v[125:126], v[89:90]
	ds_read2_b64 v[97:100], v0 offset0:106 offset1:107
	s_waitcnt lgkmcnt(0)
	v_mul_f64 v[91:92], v[97:98], v[101:102]
	v_add_f64 v[3:4], v[3:4], -v[89:90]
	v_mul_f64 v[89:90], v[99:100], v[101:102]
	v_fma_f64 v[91:92], v[99:100], v[125:126], v[91:92]
	v_mov_b32_e32 v99, v125
	v_mov_b32_e32 v100, v126
	v_fma_f64 v[89:90], v[97:98], v[125:126], -v[89:90]
	buffer_store_dword v99, off, s[24:27], 0 offset:460 ; 4-byte Folded Spill
	s_nop 0
	buffer_store_dword v100, off, s[24:27], 0 offset:464 ; 4-byte Folded Spill
	buffer_store_dword v101, off, s[24:27], 0 offset:468 ; 4-byte Folded Spill
	;; [unrolled: 1-line block ×3, first 2 shown]
	v_add_f64 v[123:124], v[123:124], -v[91:92]
	v_add_f64 v[121:122], v[121:122], -v[89:90]
.LBB106_41:
	s_or_b64 exec, exec, s[0:1]
	s_waitcnt vmcnt(0)
	s_barrier
	buffer_load_dword v53, off, s[24:27], 0 offset:444 ; 4-byte Folded Reload
	buffer_load_dword v54, off, s[24:27], 0 offset:448 ; 4-byte Folded Reload
	;; [unrolled: 1-line block ×4, first 2 shown]
	v_lshl_add_u32 v89, v96, 4, v0
	s_cmp_lt_i32 s3, 4
	s_waitcnt vmcnt(0)
	ds_write2_b64 v89, v[53:54], v[55:56] offset1:1
	s_waitcnt lgkmcnt(0)
	s_barrier
	ds_read2_b64 v[117:120], v0 offset0:4 offset1:5
	v_mov_b32_e32 v89, 2
	s_cbranch_scc1 .LBB106_44
; %bb.42:
	v_add3_u32 v90, v93, 0, 48
	s_mov_b32 s0, 3
	v_mov_b32_e32 v89, 2
.LBB106_43:                             ; =>This Inner Loop Header: Depth=1
	s_waitcnt lgkmcnt(0)
	v_cmp_gt_f64_e32 vcc, 0, v[117:118]
	v_xor_b32_e32 v91, 0x80000000, v118
	ds_read2_b64 v[97:100], v90 offset1:1
	v_xor_b32_e32 v94, 0x80000000, v120
	v_mov_b32_e32 v101, v119
	v_add_u32_e32 v90, 16, v90
	s_waitcnt lgkmcnt(0)
	v_mov_b32_e32 v103, v99
	v_cndmask_b32_e32 v92, v118, v91, vcc
	v_cmp_gt_f64_e32 vcc, 0, v[119:120]
	v_mov_b32_e32 v91, v117
	v_cndmask_b32_e32 v102, v120, v94, vcc
	v_cmp_gt_f64_e32 vcc, 0, v[97:98]
	v_xor_b32_e32 v94, 0x80000000, v98
	v_add_f64 v[91:92], v[91:92], v[101:102]
	v_mov_b32_e32 v101, v97
	v_cndmask_b32_e32 v102, v98, v94, vcc
	v_cmp_gt_f64_e32 vcc, 0, v[99:100]
	v_xor_b32_e32 v94, 0x80000000, v100
	v_cndmask_b32_e32 v104, v100, v94, vcc
	v_add_f64 v[101:102], v[101:102], v[103:104]
	v_cmp_lt_f64_e32 vcc, v[91:92], v[101:102]
	v_mov_b32_e32 v91, s0
	s_add_i32 s0, s0, 1
	s_cmp_lg_u32 s3, s0
	v_cndmask_b32_e32 v118, v118, v98, vcc
	v_cndmask_b32_e32 v117, v117, v97, vcc
	;; [unrolled: 1-line block ×5, first 2 shown]
	s_cbranch_scc1 .LBB106_43
.LBB106_44:
	s_waitcnt lgkmcnt(0)
	v_cmp_eq_f64_e32 vcc, 0, v[117:118]
	v_cmp_eq_f64_e64 s[0:1], 0, v[119:120]
	s_and_b64 s[0:1], vcc, s[0:1]
	s_and_saveexec_b64 s[18:19], s[0:1]
	s_xor_b64 s[0:1], exec, s[18:19]
; %bb.45:
	v_cmp_ne_u32_e32 vcc, 0, v95
	v_cndmask_b32_e32 v95, 3, v95, vcc
; %bb.46:
	s_andn2_saveexec_b64 s[0:1], s[0:1]
	s_cbranch_execz .LBB106_52
; %bb.47:
	v_cmp_ngt_f64_e64 s[18:19], |v[117:118]|, |v[119:120]|
	s_and_saveexec_b64 s[20:21], s[18:19]
	s_xor_b64 s[18:19], exec, s[20:21]
	s_cbranch_execz .LBB106_49
; %bb.48:
	v_div_scale_f64 v[90:91], s[20:21], v[119:120], v[119:120], v[117:118]
	v_rcp_f64_e32 v[97:98], v[90:91]
	v_fma_f64 v[99:100], -v[90:91], v[97:98], 1.0
	v_fma_f64 v[97:98], v[97:98], v[99:100], v[97:98]
	v_div_scale_f64 v[99:100], vcc, v[117:118], v[119:120], v[117:118]
	v_fma_f64 v[101:102], -v[90:91], v[97:98], 1.0
	v_fma_f64 v[97:98], v[97:98], v[101:102], v[97:98]
	v_mul_f64 v[101:102], v[99:100], v[97:98]
	v_fma_f64 v[90:91], -v[90:91], v[101:102], v[99:100]
	v_div_fmas_f64 v[90:91], v[90:91], v[97:98], v[101:102]
	v_div_fixup_f64 v[90:91], v[90:91], v[119:120], v[117:118]
	v_fma_f64 v[97:98], v[117:118], v[90:91], v[119:120]
	v_div_scale_f64 v[99:100], s[20:21], v[97:98], v[97:98], 1.0
	v_div_scale_f64 v[105:106], vcc, 1.0, v[97:98], 1.0
	v_rcp_f64_e32 v[101:102], v[99:100]
	v_fma_f64 v[103:104], -v[99:100], v[101:102], 1.0
	v_fma_f64 v[101:102], v[101:102], v[103:104], v[101:102]
	v_fma_f64 v[103:104], -v[99:100], v[101:102], 1.0
	v_fma_f64 v[101:102], v[101:102], v[103:104], v[101:102]
	v_mul_f64 v[103:104], v[105:106], v[101:102]
	v_fma_f64 v[99:100], -v[99:100], v[103:104], v[105:106]
	v_div_fmas_f64 v[99:100], v[99:100], v[101:102], v[103:104]
	v_div_fixup_f64 v[119:120], v[99:100], v[97:98], 1.0
	v_mul_f64 v[117:118], v[90:91], v[119:120]
	v_xor_b32_e32 v120, 0x80000000, v120
.LBB106_49:
	s_andn2_saveexec_b64 s[18:19], s[18:19]
	s_cbranch_execz .LBB106_51
; %bb.50:
	v_div_scale_f64 v[90:91], s[20:21], v[117:118], v[117:118], v[119:120]
	v_rcp_f64_e32 v[97:98], v[90:91]
	v_fma_f64 v[99:100], -v[90:91], v[97:98], 1.0
	v_fma_f64 v[97:98], v[97:98], v[99:100], v[97:98]
	v_div_scale_f64 v[99:100], vcc, v[119:120], v[117:118], v[119:120]
	v_fma_f64 v[101:102], -v[90:91], v[97:98], 1.0
	v_fma_f64 v[97:98], v[97:98], v[101:102], v[97:98]
	v_mul_f64 v[101:102], v[99:100], v[97:98]
	v_fma_f64 v[90:91], -v[90:91], v[101:102], v[99:100]
	v_div_fmas_f64 v[90:91], v[90:91], v[97:98], v[101:102]
	v_div_fixup_f64 v[90:91], v[90:91], v[117:118], v[119:120]
	v_fma_f64 v[97:98], v[119:120], v[90:91], v[117:118]
	v_div_scale_f64 v[99:100], s[20:21], v[97:98], v[97:98], 1.0
	v_div_scale_f64 v[105:106], vcc, 1.0, v[97:98], 1.0
	v_rcp_f64_e32 v[101:102], v[99:100]
	v_fma_f64 v[103:104], -v[99:100], v[101:102], 1.0
	v_fma_f64 v[101:102], v[101:102], v[103:104], v[101:102]
	v_fma_f64 v[103:104], -v[99:100], v[101:102], 1.0
	v_fma_f64 v[101:102], v[101:102], v[103:104], v[101:102]
	v_mul_f64 v[103:104], v[105:106], v[101:102]
	v_fma_f64 v[99:100], -v[99:100], v[103:104], v[105:106]
	v_div_fmas_f64 v[99:100], v[99:100], v[101:102], v[103:104]
	v_div_fixup_f64 v[117:118], v[99:100], v[97:98], 1.0
	v_mul_f64 v[119:120], v[90:91], -v[117:118]
.LBB106_51:
	s_or_b64 exec, exec, s[18:19]
.LBB106_52:
	s_or_b64 exec, exec, s[0:1]
	v_cmp_ne_u32_e32 vcc, v96, v89
	s_and_saveexec_b64 s[0:1], vcc
	s_xor_b64 s[0:1], exec, s[0:1]
	s_cbranch_execz .LBB106_58
; %bb.53:
	v_cmp_eq_u32_e32 vcc, 2, v96
	s_and_saveexec_b64 s[18:19], vcc
	s_cbranch_execz .LBB106_57
; %bb.54:
	v_cmp_ne_u32_e32 vcc, 2, v89
	s_xor_b64 s[20:21], s[6:7], -1
	s_and_b64 s[22:23], s[20:21], vcc
	s_and_saveexec_b64 s[20:21], s[22:23]
	s_cbranch_execz .LBB106_56
; %bb.55:
	v_mov_b32_e32 v53, v81
	v_mov_b32_e32 v54, v82
	;; [unrolled: 1-line block ×4, first 2 shown]
	buffer_load_dword v81, off, s[24:27], 0 offset:436 ; 4-byte Folded Reload
	buffer_load_dword v82, off, s[24:27], 0 offset:440 ; 4-byte Folded Reload
	v_ashrrev_i32_e32 v90, 31, v89
	v_lshlrev_b64 v[90:91], 2, v[89:90]
	s_waitcnt vmcnt(1)
	v_add_co_u32_e32 v90, vcc, v81, v90
	s_waitcnt vmcnt(0)
	v_addc_co_u32_e32 v91, vcc, v82, v91, vcc
	global_load_dword v92, v[90:91], off
	global_load_dword v94, v[81:82], off offset:8
	s_waitcnt vmcnt(1)
	global_store_dword v[81:82], v92, off offset:8
	v_mov_b32_e32 v84, v56
	v_mov_b32_e32 v83, v55
	;; [unrolled: 1-line block ×4, first 2 shown]
	s_waitcnt vmcnt(1)
	global_store_dword v[90:91], v94, off
.LBB106_56:
	s_or_b64 exec, exec, s[20:21]
	v_mov_b32_e32 v96, v89
	v_mov_b32_e32 v53, v89
	buffer_store_dword v53, off, s[24:27], 0 offset:352 ; 4-byte Folded Spill
.LBB106_57:
	s_or_b64 exec, exec, s[18:19]
.LBB106_58:
	s_andn2_saveexec_b64 s[0:1], s[0:1]
	s_cbranch_execz .LBB106_60
; %bb.59:
	buffer_load_dword v53, off, s[24:27], 0 offset:420 ; 4-byte Folded Reload
	buffer_load_dword v54, off, s[24:27], 0 offset:424 ; 4-byte Folded Reload
	;; [unrolled: 1-line block ×4, first 2 shown]
	v_mov_b32_e32 v96, 2
	s_waitcnt vmcnt(0)
	ds_write2_b64 v0, v[53:54], v[55:56] offset0:6 offset1:7
	buffer_load_dword v53, off, s[24:27], 0 offset:404 ; 4-byte Folded Reload
	buffer_load_dword v54, off, s[24:27], 0 offset:408 ; 4-byte Folded Reload
	buffer_load_dword v55, off, s[24:27], 0 offset:412 ; 4-byte Folded Reload
	buffer_load_dword v56, off, s[24:27], 0 offset:416 ; 4-byte Folded Reload
	s_waitcnt vmcnt(0)
	ds_write2_b64 v0, v[53:54], v[55:56] offset0:8 offset1:9
	buffer_load_dword v53, off, s[24:27], 0 offset:388 ; 4-byte Folded Reload
	buffer_load_dword v54, off, s[24:27], 0 offset:392 ; 4-byte Folded Reload
	buffer_load_dword v55, off, s[24:27], 0 offset:396 ; 4-byte Folded Reload
	buffer_load_dword v56, off, s[24:27], 0 offset:400 ; 4-byte Folded Reload
	;; [unrolled: 6-line block ×25, first 2 shown]
	s_waitcnt vmcnt(0)
	ds_write2_b64 v0, v[53:54], v[55:56] offset0:56 offset1:57
	ds_write2_b64 v0, v[81:82], v[83:84] offset0:58 offset1:59
	;; [unrolled: 1-line block ×11, first 2 shown]
	buffer_load_dword v53, off, s[24:27], 0 ; 4-byte Folded Reload
	buffer_load_dword v54, off, s[24:27], 0 offset:4 ; 4-byte Folded Reload
	buffer_load_dword v55, off, s[24:27], 0 offset:8 ; 4-byte Folded Reload
	;; [unrolled: 1-line block ×3, first 2 shown]
	s_waitcnt vmcnt(0)
	ds_write2_b64 v0, v[53:54], v[55:56] offset0:78 offset1:79
	ds_write2_b64 v0, v[49:50], v[51:52] offset0:80 offset1:81
	;; [unrolled: 1-line block ×15, first 2 shown]
.LBB106_60:
	s_or_b64 exec, exec, s[0:1]
	v_cmp_lt_i32_e32 vcc, 2, v96
	s_waitcnt vmcnt(0) lgkmcnt(0)
	s_barrier
	s_and_saveexec_b64 s[0:1], vcc
	s_cbranch_execz .LBB106_62
; %bb.61:
	buffer_load_dword v99, off, s[24:27], 0 offset:444 ; 4-byte Folded Reload
	buffer_load_dword v100, off, s[24:27], 0 offset:448 ; 4-byte Folded Reload
	;; [unrolled: 1-line block ×4, first 2 shown]
	s_waitcnt vmcnt(0)
	v_mul_f64 v[89:90], v[119:120], v[101:102]
	v_fma_f64 v[125:126], v[117:118], v[99:100], -v[89:90]
	v_mul_f64 v[89:90], v[117:118], v[101:102]
	v_fma_f64 v[101:102], v[119:120], v[99:100], v[89:90]
	ds_read2_b64 v[89:92], v0 offset0:6 offset1:7
	buffer_load_dword v53, off, s[24:27], 0 offset:420 ; 4-byte Folded Reload
	buffer_load_dword v54, off, s[24:27], 0 offset:424 ; 4-byte Folded Reload
	buffer_load_dword v55, off, s[24:27], 0 offset:428 ; 4-byte Folded Reload
	buffer_load_dword v56, off, s[24:27], 0 offset:432 ; 4-byte Folded Reload
	s_waitcnt lgkmcnt(0)
	v_mul_f64 v[97:98], v[91:92], v[101:102]
	v_fma_f64 v[97:98], v[89:90], v[125:126], -v[97:98]
	v_mul_f64 v[89:90], v[89:90], v[101:102]
	v_fma_f64 v[89:90], v[91:92], v[125:126], v[89:90]
	s_waitcnt vmcnt(2)
	v_add_f64 v[53:54], v[53:54], -v[97:98]
	s_waitcnt vmcnt(0)
	v_add_f64 v[55:56], v[55:56], -v[89:90]
	buffer_store_dword v53, off, s[24:27], 0 offset:420 ; 4-byte Folded Spill
	s_nop 0
	buffer_store_dword v54, off, s[24:27], 0 offset:424 ; 4-byte Folded Spill
	buffer_store_dword v55, off, s[24:27], 0 offset:428 ; 4-byte Folded Spill
	buffer_store_dword v56, off, s[24:27], 0 offset:432 ; 4-byte Folded Spill
	ds_read2_b64 v[89:92], v0 offset0:8 offset1:9
	buffer_load_dword v53, off, s[24:27], 0 offset:404 ; 4-byte Folded Reload
	buffer_load_dword v54, off, s[24:27], 0 offset:408 ; 4-byte Folded Reload
	buffer_load_dword v55, off, s[24:27], 0 offset:412 ; 4-byte Folded Reload
	buffer_load_dword v56, off, s[24:27], 0 offset:416 ; 4-byte Folded Reload
	s_waitcnt lgkmcnt(0)
	v_mul_f64 v[97:98], v[91:92], v[101:102]
	v_fma_f64 v[97:98], v[89:90], v[125:126], -v[97:98]
	v_mul_f64 v[89:90], v[89:90], v[101:102]
	v_fma_f64 v[89:90], v[91:92], v[125:126], v[89:90]
	s_waitcnt vmcnt(2)
	v_add_f64 v[53:54], v[53:54], -v[97:98]
	s_waitcnt vmcnt(0)
	v_add_f64 v[55:56], v[55:56], -v[89:90]
	buffer_store_dword v53, off, s[24:27], 0 offset:404 ; 4-byte Folded Spill
	s_nop 0
	buffer_store_dword v54, off, s[24:27], 0 offset:408 ; 4-byte Folded Spill
	buffer_store_dword v55, off, s[24:27], 0 offset:412 ; 4-byte Folded Spill
	buffer_store_dword v56, off, s[24:27], 0 offset:416 ; 4-byte Folded Spill
	;; [unrolled: 19-line block ×26, first 2 shown]
	ds_read2_b64 v[89:92], v0 offset0:58 offset1:59
	s_waitcnt lgkmcnt(0)
	v_mul_f64 v[97:98], v[91:92], v[101:102]
	v_fma_f64 v[97:98], v[89:90], v[125:126], -v[97:98]
	v_mul_f64 v[89:90], v[89:90], v[101:102]
	v_add_f64 v[81:82], v[81:82], -v[97:98]
	v_fma_f64 v[89:90], v[91:92], v[125:126], v[89:90]
	v_add_f64 v[83:84], v[83:84], -v[89:90]
	ds_read2_b64 v[89:92], v0 offset0:60 offset1:61
	s_waitcnt lgkmcnt(0)
	v_mul_f64 v[97:98], v[91:92], v[101:102]
	v_fma_f64 v[97:98], v[89:90], v[125:126], -v[97:98]
	v_mul_f64 v[89:90], v[89:90], v[101:102]
	v_add_f64 v[85:86], v[85:86], -v[97:98]
	v_fma_f64 v[89:90], v[91:92], v[125:126], v[89:90]
	v_add_f64 v[87:88], v[87:88], -v[89:90]
	;; [unrolled: 8-line block ×10, first 2 shown]
	ds_read2_b64 v[89:92], v0 offset0:78 offset1:79
	buffer_load_dword v53, off, s[24:27], 0 ; 4-byte Folded Reload
	buffer_load_dword v54, off, s[24:27], 0 offset:4 ; 4-byte Folded Reload
	buffer_load_dword v55, off, s[24:27], 0 offset:8 ; 4-byte Folded Reload
	;; [unrolled: 1-line block ×3, first 2 shown]
	s_waitcnt lgkmcnt(0)
	v_mul_f64 v[97:98], v[91:92], v[101:102]
	v_fma_f64 v[97:98], v[89:90], v[125:126], -v[97:98]
	v_mul_f64 v[89:90], v[89:90], v[101:102]
	v_fma_f64 v[89:90], v[91:92], v[125:126], v[89:90]
	s_waitcnt vmcnt(2)
	v_add_f64 v[53:54], v[53:54], -v[97:98]
	s_waitcnt vmcnt(0)
	v_add_f64 v[55:56], v[55:56], -v[89:90]
	buffer_store_dword v53, off, s[24:27], 0 ; 4-byte Folded Spill
	s_nop 0
	buffer_store_dword v54, off, s[24:27], 0 offset:4 ; 4-byte Folded Spill
	buffer_store_dword v55, off, s[24:27], 0 offset:8 ; 4-byte Folded Spill
	;; [unrolled: 1-line block ×3, first 2 shown]
	ds_read2_b64 v[89:92], v0 offset0:80 offset1:81
	s_waitcnt lgkmcnt(0)
	v_mul_f64 v[97:98], v[91:92], v[101:102]
	v_fma_f64 v[97:98], v[89:90], v[125:126], -v[97:98]
	v_mul_f64 v[89:90], v[89:90], v[101:102]
	v_add_f64 v[49:50], v[49:50], -v[97:98]
	v_fma_f64 v[89:90], v[91:92], v[125:126], v[89:90]
	v_add_f64 v[51:52], v[51:52], -v[89:90]
	ds_read2_b64 v[89:92], v0 offset0:82 offset1:83
	s_waitcnt lgkmcnt(0)
	v_mul_f64 v[97:98], v[91:92], v[101:102]
	v_fma_f64 v[97:98], v[89:90], v[125:126], -v[97:98]
	v_mul_f64 v[89:90], v[89:90], v[101:102]
	v_add_f64 v[45:46], v[45:46], -v[97:98]
	v_fma_f64 v[89:90], v[91:92], v[125:126], v[89:90]
	v_add_f64 v[47:48], v[47:48], -v[89:90]
	;; [unrolled: 8-line block ×12, first 2 shown]
	ds_read2_b64 v[89:92], v0 offset0:104 offset1:105
	s_waitcnt lgkmcnt(0)
	v_mul_f64 v[97:98], v[91:92], v[101:102]
	v_fma_f64 v[97:98], v[89:90], v[125:126], -v[97:98]
	v_mul_f64 v[89:90], v[89:90], v[101:102]
	v_add_f64 v[1:2], v[1:2], -v[97:98]
	v_fma_f64 v[89:90], v[91:92], v[125:126], v[89:90]
	ds_read2_b64 v[97:100], v0 offset0:106 offset1:107
	s_waitcnt lgkmcnt(0)
	v_mul_f64 v[91:92], v[97:98], v[101:102]
	v_add_f64 v[3:4], v[3:4], -v[89:90]
	v_mul_f64 v[89:90], v[99:100], v[101:102]
	v_fma_f64 v[91:92], v[99:100], v[125:126], v[91:92]
	v_mov_b32_e32 v99, v125
	v_mov_b32_e32 v100, v126
	v_fma_f64 v[89:90], v[97:98], v[125:126], -v[89:90]
	buffer_store_dword v99, off, s[24:27], 0 offset:444 ; 4-byte Folded Spill
	s_nop 0
	buffer_store_dword v100, off, s[24:27], 0 offset:448 ; 4-byte Folded Spill
	buffer_store_dword v101, off, s[24:27], 0 offset:452 ; 4-byte Folded Spill
	buffer_store_dword v102, off, s[24:27], 0 offset:456 ; 4-byte Folded Spill
	v_add_f64 v[123:124], v[123:124], -v[91:92]
	v_add_f64 v[121:122], v[121:122], -v[89:90]
.LBB106_62:
	s_or_b64 exec, exec, s[0:1]
	s_waitcnt vmcnt(0)
	s_barrier
	buffer_load_dword v53, off, s[24:27], 0 offset:420 ; 4-byte Folded Reload
	buffer_load_dword v54, off, s[24:27], 0 offset:424 ; 4-byte Folded Reload
	;; [unrolled: 1-line block ×4, first 2 shown]
	v_lshl_add_u32 v89, v96, 4, v0
	s_mov_b32 s0, 4
	s_cmp_lt_i32 s3, 5
	s_waitcnt vmcnt(0)
	ds_write2_b64 v89, v[53:54], v[55:56] offset1:1
	s_waitcnt lgkmcnt(0)
	s_barrier
	ds_read2_b64 v[117:120], v0 offset0:6 offset1:7
	v_mov_b32_e32 v89, 3
	s_cbranch_scc1 .LBB106_65
; %bb.63:
	v_add3_u32 v90, v93, 0, 64
	v_mov_b32_e32 v89, 3
.LBB106_64:                             ; =>This Inner Loop Header: Depth=1
	s_waitcnt lgkmcnt(0)
	v_cmp_gt_f64_e32 vcc, 0, v[117:118]
	v_xor_b32_e32 v97, 0x80000000, v118
	ds_read2_b64 v[91:94], v90 offset1:1
	v_xor_b32_e32 v99, 0x80000000, v120
	v_add_u32_e32 v90, 16, v90
	s_waitcnt lgkmcnt(0)
	v_xor_b32_e32 v101, 0x80000000, v94
	v_cndmask_b32_e32 v98, v118, v97, vcc
	v_cmp_gt_f64_e32 vcc, 0, v[119:120]
	v_mov_b32_e32 v97, v117
	v_cndmask_b32_e32 v100, v120, v99, vcc
	v_cmp_gt_f64_e32 vcc, 0, v[91:92]
	v_mov_b32_e32 v99, v119
	v_add_f64 v[97:98], v[97:98], v[99:100]
	v_xor_b32_e32 v99, 0x80000000, v92
	v_cndmask_b32_e32 v100, v92, v99, vcc
	v_cmp_gt_f64_e32 vcc, 0, v[93:94]
	v_mov_b32_e32 v99, v91
	v_cndmask_b32_e32 v102, v94, v101, vcc
	v_mov_b32_e32 v101, v93
	v_add_f64 v[99:100], v[99:100], v[101:102]
	v_cmp_lt_f64_e32 vcc, v[97:98], v[99:100]
	v_cndmask_b32_e32 v117, v117, v91, vcc
	v_mov_b32_e32 v91, s0
	s_add_i32 s0, s0, 1
	v_cndmask_b32_e32 v118, v118, v92, vcc
	v_cndmask_b32_e32 v120, v120, v94, vcc
	;; [unrolled: 1-line block ×4, first 2 shown]
	s_cmp_lg_u32 s3, s0
	s_cbranch_scc1 .LBB106_64
.LBB106_65:
	s_waitcnt lgkmcnt(0)
	v_cmp_eq_f64_e32 vcc, 0, v[117:118]
	v_cmp_eq_f64_e64 s[0:1], 0, v[119:120]
	s_and_b64 s[0:1], vcc, s[0:1]
	s_and_saveexec_b64 s[18:19], s[0:1]
	s_xor_b64 s[0:1], exec, s[18:19]
; %bb.66:
	v_cmp_ne_u32_e32 vcc, 0, v95
	v_cndmask_b32_e32 v95, 4, v95, vcc
; %bb.67:
	s_andn2_saveexec_b64 s[0:1], s[0:1]
	s_cbranch_execz .LBB106_73
; %bb.68:
	v_cmp_ngt_f64_e64 s[18:19], |v[117:118]|, |v[119:120]|
	s_and_saveexec_b64 s[20:21], s[18:19]
	s_xor_b64 s[18:19], exec, s[20:21]
	s_cbranch_execz .LBB106_70
; %bb.69:
	v_div_scale_f64 v[90:91], s[20:21], v[119:120], v[119:120], v[117:118]
	v_rcp_f64_e32 v[92:93], v[90:91]
	v_fma_f64 v[97:98], -v[90:91], v[92:93], 1.0
	v_fma_f64 v[92:93], v[92:93], v[97:98], v[92:93]
	v_div_scale_f64 v[97:98], vcc, v[117:118], v[119:120], v[117:118]
	v_fma_f64 v[99:100], -v[90:91], v[92:93], 1.0
	v_fma_f64 v[92:93], v[92:93], v[99:100], v[92:93]
	v_mul_f64 v[99:100], v[97:98], v[92:93]
	v_fma_f64 v[90:91], -v[90:91], v[99:100], v[97:98]
	v_div_fmas_f64 v[90:91], v[90:91], v[92:93], v[99:100]
	v_div_fixup_f64 v[90:91], v[90:91], v[119:120], v[117:118]
	v_fma_f64 v[92:93], v[117:118], v[90:91], v[119:120]
	v_div_scale_f64 v[97:98], s[20:21], v[92:93], v[92:93], 1.0
	v_div_scale_f64 v[103:104], vcc, 1.0, v[92:93], 1.0
	v_rcp_f64_e32 v[99:100], v[97:98]
	v_fma_f64 v[101:102], -v[97:98], v[99:100], 1.0
	v_fma_f64 v[99:100], v[99:100], v[101:102], v[99:100]
	v_fma_f64 v[101:102], -v[97:98], v[99:100], 1.0
	v_fma_f64 v[99:100], v[99:100], v[101:102], v[99:100]
	v_mul_f64 v[101:102], v[103:104], v[99:100]
	v_fma_f64 v[97:98], -v[97:98], v[101:102], v[103:104]
	v_div_fmas_f64 v[97:98], v[97:98], v[99:100], v[101:102]
	v_div_fixup_f64 v[119:120], v[97:98], v[92:93], 1.0
	v_mul_f64 v[117:118], v[90:91], v[119:120]
	v_xor_b32_e32 v120, 0x80000000, v120
.LBB106_70:
	s_andn2_saveexec_b64 s[18:19], s[18:19]
	s_cbranch_execz .LBB106_72
; %bb.71:
	v_div_scale_f64 v[90:91], s[20:21], v[117:118], v[117:118], v[119:120]
	v_rcp_f64_e32 v[92:93], v[90:91]
	v_fma_f64 v[97:98], -v[90:91], v[92:93], 1.0
	v_fma_f64 v[92:93], v[92:93], v[97:98], v[92:93]
	v_div_scale_f64 v[97:98], vcc, v[119:120], v[117:118], v[119:120]
	v_fma_f64 v[99:100], -v[90:91], v[92:93], 1.0
	v_fma_f64 v[92:93], v[92:93], v[99:100], v[92:93]
	v_mul_f64 v[99:100], v[97:98], v[92:93]
	v_fma_f64 v[90:91], -v[90:91], v[99:100], v[97:98]
	v_div_fmas_f64 v[90:91], v[90:91], v[92:93], v[99:100]
	v_div_fixup_f64 v[90:91], v[90:91], v[117:118], v[119:120]
	v_fma_f64 v[92:93], v[119:120], v[90:91], v[117:118]
	v_div_scale_f64 v[97:98], s[20:21], v[92:93], v[92:93], 1.0
	v_div_scale_f64 v[103:104], vcc, 1.0, v[92:93], 1.0
	v_rcp_f64_e32 v[99:100], v[97:98]
	v_fma_f64 v[101:102], -v[97:98], v[99:100], 1.0
	v_fma_f64 v[99:100], v[99:100], v[101:102], v[99:100]
	v_fma_f64 v[101:102], -v[97:98], v[99:100], 1.0
	v_fma_f64 v[99:100], v[99:100], v[101:102], v[99:100]
	v_mul_f64 v[101:102], v[103:104], v[99:100]
	v_fma_f64 v[97:98], -v[97:98], v[101:102], v[103:104]
	v_div_fmas_f64 v[97:98], v[97:98], v[99:100], v[101:102]
	v_div_fixup_f64 v[117:118], v[97:98], v[92:93], 1.0
	v_mul_f64 v[119:120], v[90:91], -v[117:118]
.LBB106_72:
	s_or_b64 exec, exec, s[18:19]
.LBB106_73:
	s_or_b64 exec, exec, s[0:1]
	v_cmp_ne_u32_e32 vcc, v96, v89
	s_and_saveexec_b64 s[0:1], vcc
	s_xor_b64 s[0:1], exec, s[0:1]
	s_cbranch_execz .LBB106_79
; %bb.74:
	v_cmp_eq_u32_e32 vcc, 3, v96
	s_and_saveexec_b64 s[18:19], vcc
	s_cbranch_execz .LBB106_78
; %bb.75:
	v_cmp_ne_u32_e32 vcc, 3, v89
	s_xor_b64 s[20:21], s[6:7], -1
	s_and_b64 s[22:23], s[20:21], vcc
	s_and_saveexec_b64 s[20:21], s[22:23]
	s_cbranch_execz .LBB106_77
; %bb.76:
	v_mov_b32_e32 v53, v81
	v_mov_b32_e32 v54, v82
	;; [unrolled: 1-line block ×4, first 2 shown]
	buffer_load_dword v81, off, s[24:27], 0 offset:436 ; 4-byte Folded Reload
	buffer_load_dword v82, off, s[24:27], 0 offset:440 ; 4-byte Folded Reload
	v_ashrrev_i32_e32 v90, 31, v89
	v_lshlrev_b64 v[90:91], 2, v[89:90]
	s_waitcnt vmcnt(1)
	v_add_co_u32_e32 v90, vcc, v81, v90
	s_waitcnt vmcnt(0)
	v_addc_co_u32_e32 v91, vcc, v82, v91, vcc
	global_load_dword v92, v[90:91], off
	global_load_dword v93, v[81:82], off offset:12
	s_waitcnt vmcnt(1)
	global_store_dword v[81:82], v92, off offset:12
	v_mov_b32_e32 v84, v56
	v_mov_b32_e32 v83, v55
	;; [unrolled: 1-line block ×4, first 2 shown]
	s_waitcnt vmcnt(1)
	global_store_dword v[90:91], v93, off
.LBB106_77:
	s_or_b64 exec, exec, s[20:21]
	v_mov_b32_e32 v96, v89
	v_mov_b32_e32 v53, v89
	buffer_store_dword v53, off, s[24:27], 0 offset:352 ; 4-byte Folded Spill
.LBB106_78:
	s_or_b64 exec, exec, s[18:19]
.LBB106_79:
	s_andn2_saveexec_b64 s[0:1], s[0:1]
	s_cbranch_execz .LBB106_81
; %bb.80:
	buffer_load_dword v53, off, s[24:27], 0 offset:404 ; 4-byte Folded Reload
	buffer_load_dword v54, off, s[24:27], 0 offset:408 ; 4-byte Folded Reload
	;; [unrolled: 1-line block ×4, first 2 shown]
	v_mov_b32_e32 v96, 3
	s_waitcnt vmcnt(0)
	ds_write2_b64 v0, v[53:54], v[55:56] offset0:8 offset1:9
	buffer_load_dword v53, off, s[24:27], 0 offset:388 ; 4-byte Folded Reload
	buffer_load_dword v54, off, s[24:27], 0 offset:392 ; 4-byte Folded Reload
	buffer_load_dword v55, off, s[24:27], 0 offset:396 ; 4-byte Folded Reload
	buffer_load_dword v56, off, s[24:27], 0 offset:400 ; 4-byte Folded Reload
	s_waitcnt vmcnt(0)
	ds_write2_b64 v0, v[53:54], v[55:56] offset0:10 offset1:11
	buffer_load_dword v53, off, s[24:27], 0 offset:372 ; 4-byte Folded Reload
	buffer_load_dword v54, off, s[24:27], 0 offset:376 ; 4-byte Folded Reload
	buffer_load_dword v55, off, s[24:27], 0 offset:380 ; 4-byte Folded Reload
	buffer_load_dword v56, off, s[24:27], 0 offset:384 ; 4-byte Folded Reload
	;; [unrolled: 6-line block ×24, first 2 shown]
	s_waitcnt vmcnt(0)
	ds_write2_b64 v0, v[53:54], v[55:56] offset0:56 offset1:57
	ds_write2_b64 v0, v[81:82], v[83:84] offset0:58 offset1:59
	ds_write2_b64 v0, v[85:86], v[87:88] offset0:60 offset1:61
	ds_write2_b64 v0, v[109:110], v[111:112] offset0:62 offset1:63
	ds_write2_b64 v0, v[113:114], v[115:116] offset0:64 offset1:65
	ds_write2_b64 v0, v[77:78], v[79:80] offset0:66 offset1:67
	ds_write2_b64 v0, v[73:74], v[75:76] offset0:68 offset1:69
	ds_write2_b64 v0, v[69:70], v[71:72] offset0:70 offset1:71
	ds_write2_b64 v0, v[65:66], v[67:68] offset0:72 offset1:73
	ds_write2_b64 v0, v[61:62], v[63:64] offset0:74 offset1:75
	ds_write2_b64 v0, v[57:58], v[59:60] offset0:76 offset1:77
	buffer_load_dword v53, off, s[24:27], 0 ; 4-byte Folded Reload
	buffer_load_dword v54, off, s[24:27], 0 offset:4 ; 4-byte Folded Reload
	buffer_load_dword v55, off, s[24:27], 0 offset:8 ; 4-byte Folded Reload
	;; [unrolled: 1-line block ×3, first 2 shown]
	s_waitcnt vmcnt(0)
	ds_write2_b64 v0, v[53:54], v[55:56] offset0:78 offset1:79
	ds_write2_b64 v0, v[49:50], v[51:52] offset0:80 offset1:81
	;; [unrolled: 1-line block ×15, first 2 shown]
.LBB106_81:
	s_or_b64 exec, exec, s[0:1]
	v_cmp_lt_i32_e32 vcc, 3, v96
	s_waitcnt vmcnt(0) lgkmcnt(0)
	s_barrier
	s_and_saveexec_b64 s[0:1], vcc
	s_cbranch_execz .LBB106_83
; %bb.82:
	buffer_load_dword v97, off, s[24:27], 0 offset:420 ; 4-byte Folded Reload
	buffer_load_dword v98, off, s[24:27], 0 offset:424 ; 4-byte Folded Reload
	buffer_load_dword v99, off, s[24:27], 0 offset:428 ; 4-byte Folded Reload
	buffer_load_dword v100, off, s[24:27], 0 offset:432 ; 4-byte Folded Reload
	s_waitcnt vmcnt(0)
	v_mul_f64 v[89:90], v[119:120], v[99:100]
	v_fma_f64 v[125:126], v[117:118], v[97:98], -v[89:90]
	v_mul_f64 v[89:90], v[117:118], v[99:100]
	v_fma_f64 v[99:100], v[119:120], v[97:98], v[89:90]
	ds_read2_b64 v[89:92], v0 offset0:8 offset1:9
	buffer_load_dword v53, off, s[24:27], 0 offset:404 ; 4-byte Folded Reload
	buffer_load_dword v54, off, s[24:27], 0 offset:408 ; 4-byte Folded Reload
	;; [unrolled: 1-line block ×4, first 2 shown]
	v_mov_b32_e32 v97, v125
	v_mov_b32_e32 v98, v126
	s_waitcnt lgkmcnt(0)
	v_mul_f64 v[93:94], v[91:92], v[99:100]
	v_fma_f64 v[93:94], v[89:90], v[125:126], -v[93:94]
	v_mul_f64 v[89:90], v[89:90], v[99:100]
	v_fma_f64 v[89:90], v[91:92], v[125:126], v[89:90]
	s_waitcnt vmcnt(2)
	v_add_f64 v[53:54], v[53:54], -v[93:94]
	s_waitcnt vmcnt(0)
	v_add_f64 v[55:56], v[55:56], -v[89:90]
	buffer_store_dword v53, off, s[24:27], 0 offset:404 ; 4-byte Folded Spill
	s_nop 0
	buffer_store_dword v54, off, s[24:27], 0 offset:408 ; 4-byte Folded Spill
	buffer_store_dword v55, off, s[24:27], 0 offset:412 ; 4-byte Folded Spill
	buffer_store_dword v56, off, s[24:27], 0 offset:416 ; 4-byte Folded Spill
	ds_read2_b64 v[89:92], v0 offset0:10 offset1:11
	buffer_load_dword v53, off, s[24:27], 0 offset:388 ; 4-byte Folded Reload
	buffer_load_dword v54, off, s[24:27], 0 offset:392 ; 4-byte Folded Reload
	buffer_load_dword v55, off, s[24:27], 0 offset:396 ; 4-byte Folded Reload
	buffer_load_dword v56, off, s[24:27], 0 offset:400 ; 4-byte Folded Reload
	s_waitcnt lgkmcnt(0)
	v_mul_f64 v[93:94], v[91:92], v[99:100]
	v_fma_f64 v[93:94], v[89:90], v[125:126], -v[93:94]
	v_mul_f64 v[89:90], v[89:90], v[99:100]
	v_fma_f64 v[89:90], v[91:92], v[125:126], v[89:90]
	s_waitcnt vmcnt(2)
	v_add_f64 v[53:54], v[53:54], -v[93:94]
	s_waitcnt vmcnt(0)
	v_add_f64 v[55:56], v[55:56], -v[89:90]
	buffer_store_dword v53, off, s[24:27], 0 offset:388 ; 4-byte Folded Spill
	s_nop 0
	buffer_store_dword v54, off, s[24:27], 0 offset:392 ; 4-byte Folded Spill
	buffer_store_dword v55, off, s[24:27], 0 offset:396 ; 4-byte Folded Spill
	buffer_store_dword v56, off, s[24:27], 0 offset:400 ; 4-byte Folded Spill
	ds_read2_b64 v[89:92], v0 offset0:12 offset1:13
	buffer_load_dword v53, off, s[24:27], 0 offset:372 ; 4-byte Folded Reload
	buffer_load_dword v54, off, s[24:27], 0 offset:376 ; 4-byte Folded Reload
	buffer_load_dword v55, off, s[24:27], 0 offset:380 ; 4-byte Folded Reload
	buffer_load_dword v56, off, s[24:27], 0 offset:384 ; 4-byte Folded Reload
	;; [unrolled: 19-line block ×24, first 2 shown]
	s_waitcnt lgkmcnt(0)
	v_mul_f64 v[93:94], v[91:92], v[99:100]
	v_fma_f64 v[93:94], v[89:90], v[125:126], -v[93:94]
	v_mul_f64 v[89:90], v[89:90], v[99:100]
	v_fma_f64 v[89:90], v[91:92], v[125:126], v[89:90]
	s_waitcnt vmcnt(2)
	v_add_f64 v[53:54], v[53:54], -v[93:94]
	s_waitcnt vmcnt(0)
	v_add_f64 v[55:56], v[55:56], -v[89:90]
	buffer_store_dword v53, off, s[24:27], 0 offset:16 ; 4-byte Folded Spill
	s_nop 0
	buffer_store_dword v54, off, s[24:27], 0 offset:20 ; 4-byte Folded Spill
	buffer_store_dword v55, off, s[24:27], 0 offset:24 ; 4-byte Folded Spill
	;; [unrolled: 1-line block ×3, first 2 shown]
	ds_read2_b64 v[89:92], v0 offset0:58 offset1:59
	s_waitcnt lgkmcnt(0)
	v_mul_f64 v[93:94], v[91:92], v[99:100]
	v_fma_f64 v[93:94], v[89:90], v[125:126], -v[93:94]
	v_mul_f64 v[89:90], v[89:90], v[99:100]
	v_add_f64 v[81:82], v[81:82], -v[93:94]
	v_fma_f64 v[89:90], v[91:92], v[125:126], v[89:90]
	v_add_f64 v[83:84], v[83:84], -v[89:90]
	ds_read2_b64 v[89:92], v0 offset0:60 offset1:61
	s_waitcnt lgkmcnt(0)
	v_mul_f64 v[93:94], v[91:92], v[99:100]
	v_fma_f64 v[93:94], v[89:90], v[125:126], -v[93:94]
	v_mul_f64 v[89:90], v[89:90], v[99:100]
	v_add_f64 v[85:86], v[85:86], -v[93:94]
	v_fma_f64 v[89:90], v[91:92], v[125:126], v[89:90]
	v_add_f64 v[87:88], v[87:88], -v[89:90]
	;; [unrolled: 8-line block ×10, first 2 shown]
	ds_read2_b64 v[89:92], v0 offset0:78 offset1:79
	buffer_load_dword v53, off, s[24:27], 0 ; 4-byte Folded Reload
	buffer_load_dword v54, off, s[24:27], 0 offset:4 ; 4-byte Folded Reload
	buffer_load_dword v55, off, s[24:27], 0 offset:8 ; 4-byte Folded Reload
	;; [unrolled: 1-line block ×3, first 2 shown]
	s_waitcnt lgkmcnt(0)
	v_mul_f64 v[93:94], v[91:92], v[99:100]
	v_fma_f64 v[93:94], v[89:90], v[125:126], -v[93:94]
	v_mul_f64 v[89:90], v[89:90], v[99:100]
	v_fma_f64 v[89:90], v[91:92], v[125:126], v[89:90]
	s_waitcnt vmcnt(2)
	v_add_f64 v[53:54], v[53:54], -v[93:94]
	s_waitcnt vmcnt(0)
	v_add_f64 v[55:56], v[55:56], -v[89:90]
	buffer_store_dword v53, off, s[24:27], 0 ; 4-byte Folded Spill
	s_nop 0
	buffer_store_dword v54, off, s[24:27], 0 offset:4 ; 4-byte Folded Spill
	buffer_store_dword v55, off, s[24:27], 0 offset:8 ; 4-byte Folded Spill
	;; [unrolled: 1-line block ×3, first 2 shown]
	ds_read2_b64 v[89:92], v0 offset0:80 offset1:81
	s_waitcnt lgkmcnt(0)
	v_mul_f64 v[93:94], v[91:92], v[99:100]
	v_fma_f64 v[93:94], v[89:90], v[125:126], -v[93:94]
	v_mul_f64 v[89:90], v[89:90], v[99:100]
	v_add_f64 v[49:50], v[49:50], -v[93:94]
	v_fma_f64 v[89:90], v[91:92], v[125:126], v[89:90]
	v_add_f64 v[51:52], v[51:52], -v[89:90]
	ds_read2_b64 v[89:92], v0 offset0:82 offset1:83
	s_waitcnt lgkmcnt(0)
	v_mul_f64 v[93:94], v[91:92], v[99:100]
	v_fma_f64 v[93:94], v[89:90], v[125:126], -v[93:94]
	v_mul_f64 v[89:90], v[89:90], v[99:100]
	v_add_f64 v[45:46], v[45:46], -v[93:94]
	v_fma_f64 v[89:90], v[91:92], v[125:126], v[89:90]
	v_add_f64 v[47:48], v[47:48], -v[89:90]
	;; [unrolled: 8-line block ×12, first 2 shown]
	ds_read2_b64 v[89:92], v0 offset0:104 offset1:105
	s_waitcnt lgkmcnt(0)
	v_mul_f64 v[93:94], v[91:92], v[99:100]
	v_fma_f64 v[93:94], v[89:90], v[125:126], -v[93:94]
	v_mul_f64 v[89:90], v[89:90], v[99:100]
	v_add_f64 v[1:2], v[1:2], -v[93:94]
	v_fma_f64 v[89:90], v[91:92], v[125:126], v[89:90]
	ds_read2_b64 v[91:94], v0 offset0:106 offset1:107
	v_add_f64 v[3:4], v[3:4], -v[89:90]
	s_waitcnt lgkmcnt(0)
	v_mul_f64 v[89:90], v[93:94], v[99:100]
	v_fma_f64 v[89:90], v[91:92], v[125:126], -v[89:90]
	v_mul_f64 v[91:92], v[91:92], v[99:100]
	buffer_store_dword v97, off, s[24:27], 0 offset:420 ; 4-byte Folded Spill
	s_nop 0
	buffer_store_dword v98, off, s[24:27], 0 offset:424 ; 4-byte Folded Spill
	buffer_store_dword v99, off, s[24:27], 0 offset:428 ; 4-byte Folded Spill
	;; [unrolled: 1-line block ×3, first 2 shown]
	v_add_f64 v[121:122], v[121:122], -v[89:90]
	v_fma_f64 v[91:92], v[93:94], v[125:126], v[91:92]
	v_add_f64 v[123:124], v[123:124], -v[91:92]
.LBB106_83:
	s_or_b64 exec, exec, s[0:1]
	s_waitcnt vmcnt(0)
	s_barrier
	buffer_load_dword v53, off, s[24:27], 0 offset:404 ; 4-byte Folded Reload
	buffer_load_dword v54, off, s[24:27], 0 offset:408 ; 4-byte Folded Reload
	;; [unrolled: 1-line block ×4, first 2 shown]
	v_lshl_add_u32 v89, v96, 4, v0
	s_cmp_lt_i32 s3, 6
	s_waitcnt vmcnt(0)
	ds_write2_b64 v89, v[53:54], v[55:56] offset1:1
	s_waitcnt lgkmcnt(0)
	s_barrier
	ds_read2_b64 v[117:120], v0 offset0:8 offset1:9
	v_mov_b32_e32 v89, 4
	s_cbranch_scc1 .LBB106_86
; %bb.84:
	v_mov_b32_e32 v89, 4
	v_add_u32_e32 v90, 0x50, v0
	s_mov_b32 s0, 5
.LBB106_85:                             ; =>This Inner Loop Header: Depth=1
	s_waitcnt lgkmcnt(0)
	v_cmp_gt_f64_e32 vcc, 0, v[117:118]
	v_xor_b32_e32 v97, 0x80000000, v118
	ds_read2_b64 v[91:94], v90 offset1:1
	v_xor_b32_e32 v99, 0x80000000, v120
	v_add_u32_e32 v90, 16, v90
	s_waitcnt lgkmcnt(0)
	v_xor_b32_e32 v101, 0x80000000, v94
	v_cndmask_b32_e32 v98, v118, v97, vcc
	v_cmp_gt_f64_e32 vcc, 0, v[119:120]
	v_mov_b32_e32 v97, v117
	v_cndmask_b32_e32 v100, v120, v99, vcc
	v_cmp_gt_f64_e32 vcc, 0, v[91:92]
	v_mov_b32_e32 v99, v119
	v_add_f64 v[97:98], v[97:98], v[99:100]
	v_xor_b32_e32 v99, 0x80000000, v92
	v_cndmask_b32_e32 v100, v92, v99, vcc
	v_cmp_gt_f64_e32 vcc, 0, v[93:94]
	v_mov_b32_e32 v99, v91
	v_cndmask_b32_e32 v102, v94, v101, vcc
	v_mov_b32_e32 v101, v93
	v_add_f64 v[99:100], v[99:100], v[101:102]
	v_cmp_lt_f64_e32 vcc, v[97:98], v[99:100]
	v_cndmask_b32_e32 v117, v117, v91, vcc
	v_mov_b32_e32 v91, s0
	s_add_i32 s0, s0, 1
	v_cndmask_b32_e32 v118, v118, v92, vcc
	v_cndmask_b32_e32 v120, v120, v94, vcc
	;; [unrolled: 1-line block ×4, first 2 shown]
	s_cmp_lg_u32 s3, s0
	s_cbranch_scc1 .LBB106_85
.LBB106_86:
	s_waitcnt lgkmcnt(0)
	v_cmp_eq_f64_e32 vcc, 0, v[117:118]
	v_cmp_eq_f64_e64 s[0:1], 0, v[119:120]
	s_and_b64 s[0:1], vcc, s[0:1]
	s_and_saveexec_b64 s[18:19], s[0:1]
	s_xor_b64 s[0:1], exec, s[18:19]
; %bb.87:
	v_cmp_ne_u32_e32 vcc, 0, v95
	v_cndmask_b32_e32 v95, 5, v95, vcc
; %bb.88:
	s_andn2_saveexec_b64 s[0:1], s[0:1]
	s_cbranch_execz .LBB106_94
; %bb.89:
	v_cmp_ngt_f64_e64 s[18:19], |v[117:118]|, |v[119:120]|
	s_and_saveexec_b64 s[20:21], s[18:19]
	s_xor_b64 s[18:19], exec, s[20:21]
	s_cbranch_execz .LBB106_91
; %bb.90:
	v_div_scale_f64 v[90:91], s[20:21], v[119:120], v[119:120], v[117:118]
	v_rcp_f64_e32 v[92:93], v[90:91]
	v_fma_f64 v[97:98], -v[90:91], v[92:93], 1.0
	v_fma_f64 v[92:93], v[92:93], v[97:98], v[92:93]
	v_div_scale_f64 v[97:98], vcc, v[117:118], v[119:120], v[117:118]
	v_fma_f64 v[99:100], -v[90:91], v[92:93], 1.0
	v_fma_f64 v[92:93], v[92:93], v[99:100], v[92:93]
	v_mul_f64 v[99:100], v[97:98], v[92:93]
	v_fma_f64 v[90:91], -v[90:91], v[99:100], v[97:98]
	v_div_fmas_f64 v[90:91], v[90:91], v[92:93], v[99:100]
	v_div_fixup_f64 v[90:91], v[90:91], v[119:120], v[117:118]
	v_fma_f64 v[92:93], v[117:118], v[90:91], v[119:120]
	v_div_scale_f64 v[97:98], s[20:21], v[92:93], v[92:93], 1.0
	v_div_scale_f64 v[103:104], vcc, 1.0, v[92:93], 1.0
	v_rcp_f64_e32 v[99:100], v[97:98]
	v_fma_f64 v[101:102], -v[97:98], v[99:100], 1.0
	v_fma_f64 v[99:100], v[99:100], v[101:102], v[99:100]
	v_fma_f64 v[101:102], -v[97:98], v[99:100], 1.0
	v_fma_f64 v[99:100], v[99:100], v[101:102], v[99:100]
	v_mul_f64 v[101:102], v[103:104], v[99:100]
	v_fma_f64 v[97:98], -v[97:98], v[101:102], v[103:104]
	v_div_fmas_f64 v[97:98], v[97:98], v[99:100], v[101:102]
	v_div_fixup_f64 v[119:120], v[97:98], v[92:93], 1.0
	v_mul_f64 v[117:118], v[90:91], v[119:120]
	v_xor_b32_e32 v120, 0x80000000, v120
.LBB106_91:
	s_andn2_saveexec_b64 s[18:19], s[18:19]
	s_cbranch_execz .LBB106_93
; %bb.92:
	v_div_scale_f64 v[90:91], s[20:21], v[117:118], v[117:118], v[119:120]
	v_rcp_f64_e32 v[92:93], v[90:91]
	v_fma_f64 v[97:98], -v[90:91], v[92:93], 1.0
	v_fma_f64 v[92:93], v[92:93], v[97:98], v[92:93]
	v_div_scale_f64 v[97:98], vcc, v[119:120], v[117:118], v[119:120]
	v_fma_f64 v[99:100], -v[90:91], v[92:93], 1.0
	v_fma_f64 v[92:93], v[92:93], v[99:100], v[92:93]
	v_mul_f64 v[99:100], v[97:98], v[92:93]
	v_fma_f64 v[90:91], -v[90:91], v[99:100], v[97:98]
	v_div_fmas_f64 v[90:91], v[90:91], v[92:93], v[99:100]
	v_div_fixup_f64 v[90:91], v[90:91], v[117:118], v[119:120]
	v_fma_f64 v[92:93], v[119:120], v[90:91], v[117:118]
	v_div_scale_f64 v[97:98], s[20:21], v[92:93], v[92:93], 1.0
	v_div_scale_f64 v[103:104], vcc, 1.0, v[92:93], 1.0
	v_rcp_f64_e32 v[99:100], v[97:98]
	v_fma_f64 v[101:102], -v[97:98], v[99:100], 1.0
	v_fma_f64 v[99:100], v[99:100], v[101:102], v[99:100]
	v_fma_f64 v[101:102], -v[97:98], v[99:100], 1.0
	v_fma_f64 v[99:100], v[99:100], v[101:102], v[99:100]
	v_mul_f64 v[101:102], v[103:104], v[99:100]
	v_fma_f64 v[97:98], -v[97:98], v[101:102], v[103:104]
	v_div_fmas_f64 v[97:98], v[97:98], v[99:100], v[101:102]
	v_div_fixup_f64 v[117:118], v[97:98], v[92:93], 1.0
	v_mul_f64 v[119:120], v[90:91], -v[117:118]
.LBB106_93:
	s_or_b64 exec, exec, s[18:19]
.LBB106_94:
	s_or_b64 exec, exec, s[0:1]
	v_cmp_ne_u32_e32 vcc, v96, v89
	s_and_saveexec_b64 s[0:1], vcc
	s_xor_b64 s[0:1], exec, s[0:1]
	s_cbranch_execz .LBB106_100
; %bb.95:
	v_cmp_eq_u32_e32 vcc, 4, v96
	s_and_saveexec_b64 s[18:19], vcc
	s_cbranch_execz .LBB106_99
; %bb.96:
	v_cmp_ne_u32_e32 vcc, 4, v89
	s_xor_b64 s[20:21], s[6:7], -1
	s_and_b64 s[22:23], s[20:21], vcc
	s_and_saveexec_b64 s[20:21], s[22:23]
	s_cbranch_execz .LBB106_98
; %bb.97:
	v_mov_b32_e32 v53, v81
	v_mov_b32_e32 v54, v82
	;; [unrolled: 1-line block ×4, first 2 shown]
	buffer_load_dword v81, off, s[24:27], 0 offset:436 ; 4-byte Folded Reload
	buffer_load_dword v82, off, s[24:27], 0 offset:440 ; 4-byte Folded Reload
	v_ashrrev_i32_e32 v90, 31, v89
	v_lshlrev_b64 v[90:91], 2, v[89:90]
	s_waitcnt vmcnt(1)
	v_add_co_u32_e32 v90, vcc, v81, v90
	s_waitcnt vmcnt(0)
	v_addc_co_u32_e32 v91, vcc, v82, v91, vcc
	global_load_dword v92, v[90:91], off
	global_load_dword v93, v[81:82], off offset:16
	s_waitcnt vmcnt(1)
	global_store_dword v[81:82], v92, off offset:16
	v_mov_b32_e32 v84, v56
	v_mov_b32_e32 v83, v55
	;; [unrolled: 1-line block ×4, first 2 shown]
	s_waitcnt vmcnt(1)
	global_store_dword v[90:91], v93, off
.LBB106_98:
	s_or_b64 exec, exec, s[20:21]
	v_mov_b32_e32 v96, v89
	v_mov_b32_e32 v53, v89
	buffer_store_dword v53, off, s[24:27], 0 offset:352 ; 4-byte Folded Spill
.LBB106_99:
	s_or_b64 exec, exec, s[18:19]
.LBB106_100:
	s_andn2_saveexec_b64 s[0:1], s[0:1]
	s_cbranch_execz .LBB106_102
; %bb.101:
	buffer_load_dword v53, off, s[24:27], 0 offset:388 ; 4-byte Folded Reload
	buffer_load_dword v54, off, s[24:27], 0 offset:392 ; 4-byte Folded Reload
	;; [unrolled: 1-line block ×4, first 2 shown]
	v_mov_b32_e32 v96, 4
	s_waitcnt vmcnt(0)
	ds_write2_b64 v0, v[53:54], v[55:56] offset0:10 offset1:11
	buffer_load_dword v53, off, s[24:27], 0 offset:372 ; 4-byte Folded Reload
	buffer_load_dword v54, off, s[24:27], 0 offset:376 ; 4-byte Folded Reload
	buffer_load_dword v55, off, s[24:27], 0 offset:380 ; 4-byte Folded Reload
	buffer_load_dword v56, off, s[24:27], 0 offset:384 ; 4-byte Folded Reload
	s_waitcnt vmcnt(0)
	ds_write2_b64 v0, v[53:54], v[55:56] offset0:12 offset1:13
	buffer_load_dword v53, off, s[24:27], 0 offset:356 ; 4-byte Folded Reload
	buffer_load_dword v54, off, s[24:27], 0 offset:360 ; 4-byte Folded Reload
	buffer_load_dword v55, off, s[24:27], 0 offset:364 ; 4-byte Folded Reload
	buffer_load_dword v56, off, s[24:27], 0 offset:368 ; 4-byte Folded Reload
	;; [unrolled: 6-line block ×23, first 2 shown]
	s_waitcnt vmcnt(0)
	ds_write2_b64 v0, v[53:54], v[55:56] offset0:56 offset1:57
	ds_write2_b64 v0, v[81:82], v[83:84] offset0:58 offset1:59
	;; [unrolled: 1-line block ×11, first 2 shown]
	buffer_load_dword v53, off, s[24:27], 0 ; 4-byte Folded Reload
	buffer_load_dword v54, off, s[24:27], 0 offset:4 ; 4-byte Folded Reload
	buffer_load_dword v55, off, s[24:27], 0 offset:8 ; 4-byte Folded Reload
	;; [unrolled: 1-line block ×3, first 2 shown]
	s_waitcnt vmcnt(0)
	ds_write2_b64 v0, v[53:54], v[55:56] offset0:78 offset1:79
	ds_write2_b64 v0, v[49:50], v[51:52] offset0:80 offset1:81
	;; [unrolled: 1-line block ×15, first 2 shown]
.LBB106_102:
	s_or_b64 exec, exec, s[0:1]
	v_cmp_lt_i32_e32 vcc, 4, v96
	s_waitcnt vmcnt(0) lgkmcnt(0)
	s_barrier
	s_and_saveexec_b64 s[0:1], vcc
	s_cbranch_execz .LBB106_104
; %bb.103:
	buffer_load_dword v97, off, s[24:27], 0 offset:404 ; 4-byte Folded Reload
	buffer_load_dword v98, off, s[24:27], 0 offset:408 ; 4-byte Folded Reload
	;; [unrolled: 1-line block ×4, first 2 shown]
	s_waitcnt vmcnt(0)
	v_mul_f64 v[89:90], v[119:120], v[99:100]
	v_fma_f64 v[125:126], v[117:118], v[97:98], -v[89:90]
	v_mul_f64 v[89:90], v[117:118], v[99:100]
	v_fma_f64 v[99:100], v[119:120], v[97:98], v[89:90]
	ds_read2_b64 v[89:92], v0 offset0:10 offset1:11
	buffer_load_dword v53, off, s[24:27], 0 offset:388 ; 4-byte Folded Reload
	buffer_load_dword v54, off, s[24:27], 0 offset:392 ; 4-byte Folded Reload
	;; [unrolled: 1-line block ×4, first 2 shown]
	v_mov_b32_e32 v97, v125
	v_mov_b32_e32 v98, v126
	s_waitcnt lgkmcnt(0)
	v_mul_f64 v[93:94], v[91:92], v[99:100]
	v_fma_f64 v[93:94], v[89:90], v[125:126], -v[93:94]
	v_mul_f64 v[89:90], v[89:90], v[99:100]
	v_fma_f64 v[89:90], v[91:92], v[125:126], v[89:90]
	s_waitcnt vmcnt(2)
	v_add_f64 v[53:54], v[53:54], -v[93:94]
	s_waitcnt vmcnt(0)
	v_add_f64 v[55:56], v[55:56], -v[89:90]
	buffer_store_dword v53, off, s[24:27], 0 offset:388 ; 4-byte Folded Spill
	s_nop 0
	buffer_store_dword v54, off, s[24:27], 0 offset:392 ; 4-byte Folded Spill
	buffer_store_dword v55, off, s[24:27], 0 offset:396 ; 4-byte Folded Spill
	buffer_store_dword v56, off, s[24:27], 0 offset:400 ; 4-byte Folded Spill
	ds_read2_b64 v[89:92], v0 offset0:12 offset1:13
	buffer_load_dword v53, off, s[24:27], 0 offset:372 ; 4-byte Folded Reload
	buffer_load_dword v54, off, s[24:27], 0 offset:376 ; 4-byte Folded Reload
	buffer_load_dword v55, off, s[24:27], 0 offset:380 ; 4-byte Folded Reload
	buffer_load_dword v56, off, s[24:27], 0 offset:384 ; 4-byte Folded Reload
	s_waitcnt lgkmcnt(0)
	v_mul_f64 v[93:94], v[91:92], v[99:100]
	v_fma_f64 v[93:94], v[89:90], v[125:126], -v[93:94]
	v_mul_f64 v[89:90], v[89:90], v[99:100]
	v_fma_f64 v[89:90], v[91:92], v[125:126], v[89:90]
	s_waitcnt vmcnt(2)
	v_add_f64 v[53:54], v[53:54], -v[93:94]
	s_waitcnt vmcnt(0)
	v_add_f64 v[55:56], v[55:56], -v[89:90]
	buffer_store_dword v53, off, s[24:27], 0 offset:372 ; 4-byte Folded Spill
	s_nop 0
	buffer_store_dword v54, off, s[24:27], 0 offset:376 ; 4-byte Folded Spill
	buffer_store_dword v55, off, s[24:27], 0 offset:380 ; 4-byte Folded Spill
	buffer_store_dword v56, off, s[24:27], 0 offset:384 ; 4-byte Folded Spill
	ds_read2_b64 v[89:92], v0 offset0:14 offset1:15
	buffer_load_dword v53, off, s[24:27], 0 offset:356 ; 4-byte Folded Reload
	buffer_load_dword v54, off, s[24:27], 0 offset:360 ; 4-byte Folded Reload
	buffer_load_dword v55, off, s[24:27], 0 offset:364 ; 4-byte Folded Reload
	buffer_load_dword v56, off, s[24:27], 0 offset:368 ; 4-byte Folded Reload
	;; [unrolled: 19-line block ×23, first 2 shown]
	s_waitcnt lgkmcnt(0)
	v_mul_f64 v[93:94], v[91:92], v[99:100]
	v_fma_f64 v[93:94], v[89:90], v[125:126], -v[93:94]
	v_mul_f64 v[89:90], v[89:90], v[99:100]
	v_fma_f64 v[89:90], v[91:92], v[125:126], v[89:90]
	s_waitcnt vmcnt(2)
	v_add_f64 v[53:54], v[53:54], -v[93:94]
	s_waitcnt vmcnt(0)
	v_add_f64 v[55:56], v[55:56], -v[89:90]
	buffer_store_dword v53, off, s[24:27], 0 offset:16 ; 4-byte Folded Spill
	s_nop 0
	buffer_store_dword v54, off, s[24:27], 0 offset:20 ; 4-byte Folded Spill
	buffer_store_dword v55, off, s[24:27], 0 offset:24 ; 4-byte Folded Spill
	;; [unrolled: 1-line block ×3, first 2 shown]
	ds_read2_b64 v[89:92], v0 offset0:58 offset1:59
	s_waitcnt lgkmcnt(0)
	v_mul_f64 v[93:94], v[91:92], v[99:100]
	v_fma_f64 v[93:94], v[89:90], v[125:126], -v[93:94]
	v_mul_f64 v[89:90], v[89:90], v[99:100]
	v_add_f64 v[81:82], v[81:82], -v[93:94]
	v_fma_f64 v[89:90], v[91:92], v[125:126], v[89:90]
	v_add_f64 v[83:84], v[83:84], -v[89:90]
	ds_read2_b64 v[89:92], v0 offset0:60 offset1:61
	s_waitcnt lgkmcnt(0)
	v_mul_f64 v[93:94], v[91:92], v[99:100]
	v_fma_f64 v[93:94], v[89:90], v[125:126], -v[93:94]
	v_mul_f64 v[89:90], v[89:90], v[99:100]
	v_add_f64 v[85:86], v[85:86], -v[93:94]
	v_fma_f64 v[89:90], v[91:92], v[125:126], v[89:90]
	v_add_f64 v[87:88], v[87:88], -v[89:90]
	;; [unrolled: 8-line block ×10, first 2 shown]
	ds_read2_b64 v[89:92], v0 offset0:78 offset1:79
	buffer_load_dword v53, off, s[24:27], 0 ; 4-byte Folded Reload
	buffer_load_dword v54, off, s[24:27], 0 offset:4 ; 4-byte Folded Reload
	buffer_load_dword v55, off, s[24:27], 0 offset:8 ; 4-byte Folded Reload
	;; [unrolled: 1-line block ×3, first 2 shown]
	s_waitcnt lgkmcnt(0)
	v_mul_f64 v[93:94], v[91:92], v[99:100]
	v_fma_f64 v[93:94], v[89:90], v[125:126], -v[93:94]
	v_mul_f64 v[89:90], v[89:90], v[99:100]
	v_fma_f64 v[89:90], v[91:92], v[125:126], v[89:90]
	s_waitcnt vmcnt(2)
	v_add_f64 v[53:54], v[53:54], -v[93:94]
	s_waitcnt vmcnt(0)
	v_add_f64 v[55:56], v[55:56], -v[89:90]
	buffer_store_dword v53, off, s[24:27], 0 ; 4-byte Folded Spill
	s_nop 0
	buffer_store_dword v54, off, s[24:27], 0 offset:4 ; 4-byte Folded Spill
	buffer_store_dword v55, off, s[24:27], 0 offset:8 ; 4-byte Folded Spill
	;; [unrolled: 1-line block ×3, first 2 shown]
	ds_read2_b64 v[89:92], v0 offset0:80 offset1:81
	s_waitcnt lgkmcnt(0)
	v_mul_f64 v[93:94], v[91:92], v[99:100]
	v_fma_f64 v[93:94], v[89:90], v[125:126], -v[93:94]
	v_mul_f64 v[89:90], v[89:90], v[99:100]
	v_add_f64 v[49:50], v[49:50], -v[93:94]
	v_fma_f64 v[89:90], v[91:92], v[125:126], v[89:90]
	v_add_f64 v[51:52], v[51:52], -v[89:90]
	ds_read2_b64 v[89:92], v0 offset0:82 offset1:83
	s_waitcnt lgkmcnt(0)
	v_mul_f64 v[93:94], v[91:92], v[99:100]
	v_fma_f64 v[93:94], v[89:90], v[125:126], -v[93:94]
	v_mul_f64 v[89:90], v[89:90], v[99:100]
	v_add_f64 v[45:46], v[45:46], -v[93:94]
	v_fma_f64 v[89:90], v[91:92], v[125:126], v[89:90]
	v_add_f64 v[47:48], v[47:48], -v[89:90]
	;; [unrolled: 8-line block ×12, first 2 shown]
	ds_read2_b64 v[89:92], v0 offset0:104 offset1:105
	s_waitcnt lgkmcnt(0)
	v_mul_f64 v[93:94], v[91:92], v[99:100]
	v_fma_f64 v[93:94], v[89:90], v[125:126], -v[93:94]
	v_mul_f64 v[89:90], v[89:90], v[99:100]
	v_add_f64 v[1:2], v[1:2], -v[93:94]
	v_fma_f64 v[89:90], v[91:92], v[125:126], v[89:90]
	ds_read2_b64 v[91:94], v0 offset0:106 offset1:107
	v_add_f64 v[3:4], v[3:4], -v[89:90]
	s_waitcnt lgkmcnt(0)
	v_mul_f64 v[89:90], v[93:94], v[99:100]
	v_fma_f64 v[89:90], v[91:92], v[125:126], -v[89:90]
	v_mul_f64 v[91:92], v[91:92], v[99:100]
	buffer_store_dword v97, off, s[24:27], 0 offset:404 ; 4-byte Folded Spill
	s_nop 0
	buffer_store_dword v98, off, s[24:27], 0 offset:408 ; 4-byte Folded Spill
	buffer_store_dword v99, off, s[24:27], 0 offset:412 ; 4-byte Folded Spill
	;; [unrolled: 1-line block ×3, first 2 shown]
	v_add_f64 v[121:122], v[121:122], -v[89:90]
	v_fma_f64 v[91:92], v[93:94], v[125:126], v[91:92]
	v_add_f64 v[123:124], v[123:124], -v[91:92]
.LBB106_104:
	s_or_b64 exec, exec, s[0:1]
	s_waitcnt vmcnt(0)
	s_barrier
	buffer_load_dword v53, off, s[24:27], 0 offset:388 ; 4-byte Folded Reload
	buffer_load_dword v54, off, s[24:27], 0 offset:392 ; 4-byte Folded Reload
	;; [unrolled: 1-line block ×4, first 2 shown]
	v_lshl_add_u32 v89, v96, 4, v0
	s_cmp_lt_i32 s3, 7
	s_waitcnt vmcnt(0)
	ds_write2_b64 v89, v[53:54], v[55:56] offset1:1
	s_waitcnt lgkmcnt(0)
	s_barrier
	ds_read2_b64 v[117:120], v0 offset0:10 offset1:11
	v_mov_b32_e32 v89, 5
	s_cbranch_scc1 .LBB106_107
; %bb.105:
	v_add_u32_e32 v90, 0x60, v0
	s_mov_b32 s0, 6
	v_mov_b32_e32 v89, 5
.LBB106_106:                            ; =>This Inner Loop Header: Depth=1
	s_waitcnt lgkmcnt(0)
	v_cmp_gt_f64_e32 vcc, 0, v[117:118]
	v_xor_b32_e32 v97, 0x80000000, v118
	ds_read2_b64 v[91:94], v90 offset1:1
	v_xor_b32_e32 v99, 0x80000000, v120
	v_add_u32_e32 v90, 16, v90
	s_waitcnt lgkmcnt(0)
	v_xor_b32_e32 v101, 0x80000000, v94
	v_cndmask_b32_e32 v98, v118, v97, vcc
	v_cmp_gt_f64_e32 vcc, 0, v[119:120]
	v_mov_b32_e32 v97, v117
	v_cndmask_b32_e32 v100, v120, v99, vcc
	v_cmp_gt_f64_e32 vcc, 0, v[91:92]
	v_mov_b32_e32 v99, v119
	v_add_f64 v[97:98], v[97:98], v[99:100]
	v_xor_b32_e32 v99, 0x80000000, v92
	v_cndmask_b32_e32 v100, v92, v99, vcc
	v_cmp_gt_f64_e32 vcc, 0, v[93:94]
	v_mov_b32_e32 v99, v91
	v_cndmask_b32_e32 v102, v94, v101, vcc
	v_mov_b32_e32 v101, v93
	v_add_f64 v[99:100], v[99:100], v[101:102]
	v_cmp_lt_f64_e32 vcc, v[97:98], v[99:100]
	v_cndmask_b32_e32 v117, v117, v91, vcc
	v_mov_b32_e32 v91, s0
	s_add_i32 s0, s0, 1
	v_cndmask_b32_e32 v118, v118, v92, vcc
	v_cndmask_b32_e32 v120, v120, v94, vcc
	;; [unrolled: 1-line block ×4, first 2 shown]
	s_cmp_lg_u32 s3, s0
	s_cbranch_scc1 .LBB106_106
.LBB106_107:
	s_waitcnt lgkmcnt(0)
	v_cmp_eq_f64_e32 vcc, 0, v[117:118]
	v_cmp_eq_f64_e64 s[0:1], 0, v[119:120]
	s_and_b64 s[0:1], vcc, s[0:1]
	s_and_saveexec_b64 s[18:19], s[0:1]
	s_xor_b64 s[0:1], exec, s[18:19]
; %bb.108:
	v_cmp_ne_u32_e32 vcc, 0, v95
	v_cndmask_b32_e32 v95, 6, v95, vcc
; %bb.109:
	s_andn2_saveexec_b64 s[0:1], s[0:1]
	s_cbranch_execz .LBB106_115
; %bb.110:
	v_cmp_ngt_f64_e64 s[18:19], |v[117:118]|, |v[119:120]|
	s_and_saveexec_b64 s[20:21], s[18:19]
	s_xor_b64 s[18:19], exec, s[20:21]
	s_cbranch_execz .LBB106_112
; %bb.111:
	v_div_scale_f64 v[90:91], s[20:21], v[119:120], v[119:120], v[117:118]
	v_rcp_f64_e32 v[92:93], v[90:91]
	v_fma_f64 v[97:98], -v[90:91], v[92:93], 1.0
	v_fma_f64 v[92:93], v[92:93], v[97:98], v[92:93]
	v_div_scale_f64 v[97:98], vcc, v[117:118], v[119:120], v[117:118]
	v_fma_f64 v[99:100], -v[90:91], v[92:93], 1.0
	v_fma_f64 v[92:93], v[92:93], v[99:100], v[92:93]
	v_mul_f64 v[99:100], v[97:98], v[92:93]
	v_fma_f64 v[90:91], -v[90:91], v[99:100], v[97:98]
	v_div_fmas_f64 v[90:91], v[90:91], v[92:93], v[99:100]
	v_div_fixup_f64 v[90:91], v[90:91], v[119:120], v[117:118]
	v_fma_f64 v[92:93], v[117:118], v[90:91], v[119:120]
	v_div_scale_f64 v[97:98], s[20:21], v[92:93], v[92:93], 1.0
	v_div_scale_f64 v[103:104], vcc, 1.0, v[92:93], 1.0
	v_rcp_f64_e32 v[99:100], v[97:98]
	v_fma_f64 v[101:102], -v[97:98], v[99:100], 1.0
	v_fma_f64 v[99:100], v[99:100], v[101:102], v[99:100]
	v_fma_f64 v[101:102], -v[97:98], v[99:100], 1.0
	v_fma_f64 v[99:100], v[99:100], v[101:102], v[99:100]
	v_mul_f64 v[101:102], v[103:104], v[99:100]
	v_fma_f64 v[97:98], -v[97:98], v[101:102], v[103:104]
	v_div_fmas_f64 v[97:98], v[97:98], v[99:100], v[101:102]
	v_div_fixup_f64 v[119:120], v[97:98], v[92:93], 1.0
	v_mul_f64 v[117:118], v[90:91], v[119:120]
	v_xor_b32_e32 v120, 0x80000000, v120
.LBB106_112:
	s_andn2_saveexec_b64 s[18:19], s[18:19]
	s_cbranch_execz .LBB106_114
; %bb.113:
	v_div_scale_f64 v[90:91], s[20:21], v[117:118], v[117:118], v[119:120]
	v_rcp_f64_e32 v[92:93], v[90:91]
	v_fma_f64 v[97:98], -v[90:91], v[92:93], 1.0
	v_fma_f64 v[92:93], v[92:93], v[97:98], v[92:93]
	v_div_scale_f64 v[97:98], vcc, v[119:120], v[117:118], v[119:120]
	v_fma_f64 v[99:100], -v[90:91], v[92:93], 1.0
	v_fma_f64 v[92:93], v[92:93], v[99:100], v[92:93]
	v_mul_f64 v[99:100], v[97:98], v[92:93]
	v_fma_f64 v[90:91], -v[90:91], v[99:100], v[97:98]
	v_div_fmas_f64 v[90:91], v[90:91], v[92:93], v[99:100]
	v_div_fixup_f64 v[90:91], v[90:91], v[117:118], v[119:120]
	v_fma_f64 v[92:93], v[119:120], v[90:91], v[117:118]
	v_div_scale_f64 v[97:98], s[20:21], v[92:93], v[92:93], 1.0
	v_div_scale_f64 v[103:104], vcc, 1.0, v[92:93], 1.0
	v_rcp_f64_e32 v[99:100], v[97:98]
	v_fma_f64 v[101:102], -v[97:98], v[99:100], 1.0
	v_fma_f64 v[99:100], v[99:100], v[101:102], v[99:100]
	v_fma_f64 v[101:102], -v[97:98], v[99:100], 1.0
	v_fma_f64 v[99:100], v[99:100], v[101:102], v[99:100]
	v_mul_f64 v[101:102], v[103:104], v[99:100]
	v_fma_f64 v[97:98], -v[97:98], v[101:102], v[103:104]
	v_div_fmas_f64 v[97:98], v[97:98], v[99:100], v[101:102]
	v_div_fixup_f64 v[117:118], v[97:98], v[92:93], 1.0
	v_mul_f64 v[119:120], v[90:91], -v[117:118]
.LBB106_114:
	s_or_b64 exec, exec, s[18:19]
.LBB106_115:
	s_or_b64 exec, exec, s[0:1]
	v_cmp_ne_u32_e32 vcc, v96, v89
	s_and_saveexec_b64 s[0:1], vcc
	s_xor_b64 s[0:1], exec, s[0:1]
	s_cbranch_execz .LBB106_121
; %bb.116:
	v_cmp_eq_u32_e32 vcc, 5, v96
	s_and_saveexec_b64 s[18:19], vcc
	s_cbranch_execz .LBB106_120
; %bb.117:
	v_cmp_ne_u32_e32 vcc, 5, v89
	s_xor_b64 s[20:21], s[6:7], -1
	s_and_b64 s[22:23], s[20:21], vcc
	s_and_saveexec_b64 s[20:21], s[22:23]
	s_cbranch_execz .LBB106_119
; %bb.118:
	v_mov_b32_e32 v53, v81
	v_mov_b32_e32 v54, v82
	;; [unrolled: 1-line block ×4, first 2 shown]
	buffer_load_dword v81, off, s[24:27], 0 offset:436 ; 4-byte Folded Reload
	buffer_load_dword v82, off, s[24:27], 0 offset:440 ; 4-byte Folded Reload
	v_ashrrev_i32_e32 v90, 31, v89
	v_lshlrev_b64 v[90:91], 2, v[89:90]
	s_waitcnt vmcnt(1)
	v_add_co_u32_e32 v90, vcc, v81, v90
	s_waitcnt vmcnt(0)
	v_addc_co_u32_e32 v91, vcc, v82, v91, vcc
	global_load_dword v92, v[90:91], off
	global_load_dword v93, v[81:82], off offset:20
	s_waitcnt vmcnt(1)
	global_store_dword v[81:82], v92, off offset:20
	v_mov_b32_e32 v84, v56
	v_mov_b32_e32 v83, v55
	;; [unrolled: 1-line block ×4, first 2 shown]
	s_waitcnt vmcnt(1)
	global_store_dword v[90:91], v93, off
.LBB106_119:
	s_or_b64 exec, exec, s[20:21]
	v_mov_b32_e32 v96, v89
	v_mov_b32_e32 v53, v89
	buffer_store_dword v53, off, s[24:27], 0 offset:352 ; 4-byte Folded Spill
.LBB106_120:
	s_or_b64 exec, exec, s[18:19]
.LBB106_121:
	s_andn2_saveexec_b64 s[0:1], s[0:1]
	s_cbranch_execz .LBB106_123
; %bb.122:
	buffer_load_dword v53, off, s[24:27], 0 offset:372 ; 4-byte Folded Reload
	buffer_load_dword v54, off, s[24:27], 0 offset:376 ; 4-byte Folded Reload
	;; [unrolled: 1-line block ×4, first 2 shown]
	v_mov_b32_e32 v96, 5
	s_waitcnt vmcnt(0)
	ds_write2_b64 v0, v[53:54], v[55:56] offset0:12 offset1:13
	buffer_load_dword v53, off, s[24:27], 0 offset:356 ; 4-byte Folded Reload
	buffer_load_dword v54, off, s[24:27], 0 offset:360 ; 4-byte Folded Reload
	buffer_load_dword v55, off, s[24:27], 0 offset:364 ; 4-byte Folded Reload
	buffer_load_dword v56, off, s[24:27], 0 offset:368 ; 4-byte Folded Reload
	s_waitcnt vmcnt(0)
	ds_write2_b64 v0, v[53:54], v[55:56] offset0:14 offset1:15
	buffer_load_dword v53, off, s[24:27], 0 offset:336 ; 4-byte Folded Reload
	buffer_load_dword v54, off, s[24:27], 0 offset:340 ; 4-byte Folded Reload
	buffer_load_dword v55, off, s[24:27], 0 offset:344 ; 4-byte Folded Reload
	buffer_load_dword v56, off, s[24:27], 0 offset:348 ; 4-byte Folded Reload
	;; [unrolled: 6-line block ×22, first 2 shown]
	s_waitcnt vmcnt(0)
	ds_write2_b64 v0, v[53:54], v[55:56] offset0:56 offset1:57
	ds_write2_b64 v0, v[81:82], v[83:84] offset0:58 offset1:59
	;; [unrolled: 1-line block ×11, first 2 shown]
	buffer_load_dword v53, off, s[24:27], 0 ; 4-byte Folded Reload
	buffer_load_dword v54, off, s[24:27], 0 offset:4 ; 4-byte Folded Reload
	buffer_load_dword v55, off, s[24:27], 0 offset:8 ; 4-byte Folded Reload
	;; [unrolled: 1-line block ×3, first 2 shown]
	s_waitcnt vmcnt(0)
	ds_write2_b64 v0, v[53:54], v[55:56] offset0:78 offset1:79
	ds_write2_b64 v0, v[49:50], v[51:52] offset0:80 offset1:81
	;; [unrolled: 1-line block ×15, first 2 shown]
.LBB106_123:
	s_or_b64 exec, exec, s[0:1]
	v_cmp_lt_i32_e32 vcc, 5, v96
	s_waitcnt vmcnt(0) lgkmcnt(0)
	s_barrier
	s_and_saveexec_b64 s[0:1], vcc
	s_cbranch_execz .LBB106_125
; %bb.124:
	buffer_load_dword v97, off, s[24:27], 0 offset:388 ; 4-byte Folded Reload
	buffer_load_dword v98, off, s[24:27], 0 offset:392 ; 4-byte Folded Reload
	;; [unrolled: 1-line block ×4, first 2 shown]
	s_waitcnt vmcnt(0)
	v_mul_f64 v[89:90], v[119:120], v[99:100]
	v_fma_f64 v[125:126], v[117:118], v[97:98], -v[89:90]
	v_mul_f64 v[89:90], v[117:118], v[99:100]
	v_fma_f64 v[99:100], v[119:120], v[97:98], v[89:90]
	ds_read2_b64 v[89:92], v0 offset0:12 offset1:13
	buffer_load_dword v53, off, s[24:27], 0 offset:372 ; 4-byte Folded Reload
	buffer_load_dword v54, off, s[24:27], 0 offset:376 ; 4-byte Folded Reload
	;; [unrolled: 1-line block ×4, first 2 shown]
	v_mov_b32_e32 v97, v125
	v_mov_b32_e32 v98, v126
	s_waitcnt lgkmcnt(0)
	v_mul_f64 v[93:94], v[91:92], v[99:100]
	v_fma_f64 v[93:94], v[89:90], v[125:126], -v[93:94]
	v_mul_f64 v[89:90], v[89:90], v[99:100]
	v_fma_f64 v[89:90], v[91:92], v[125:126], v[89:90]
	s_waitcnt vmcnt(2)
	v_add_f64 v[53:54], v[53:54], -v[93:94]
	s_waitcnt vmcnt(0)
	v_add_f64 v[55:56], v[55:56], -v[89:90]
	buffer_store_dword v53, off, s[24:27], 0 offset:372 ; 4-byte Folded Spill
	s_nop 0
	buffer_store_dword v54, off, s[24:27], 0 offset:376 ; 4-byte Folded Spill
	buffer_store_dword v55, off, s[24:27], 0 offset:380 ; 4-byte Folded Spill
	buffer_store_dword v56, off, s[24:27], 0 offset:384 ; 4-byte Folded Spill
	ds_read2_b64 v[89:92], v0 offset0:14 offset1:15
	buffer_load_dword v53, off, s[24:27], 0 offset:356 ; 4-byte Folded Reload
	buffer_load_dword v54, off, s[24:27], 0 offset:360 ; 4-byte Folded Reload
	buffer_load_dword v55, off, s[24:27], 0 offset:364 ; 4-byte Folded Reload
	buffer_load_dword v56, off, s[24:27], 0 offset:368 ; 4-byte Folded Reload
	s_waitcnt lgkmcnt(0)
	v_mul_f64 v[93:94], v[91:92], v[99:100]
	v_fma_f64 v[93:94], v[89:90], v[125:126], -v[93:94]
	v_mul_f64 v[89:90], v[89:90], v[99:100]
	v_fma_f64 v[89:90], v[91:92], v[125:126], v[89:90]
	s_waitcnt vmcnt(2)
	v_add_f64 v[53:54], v[53:54], -v[93:94]
	s_waitcnt vmcnt(0)
	v_add_f64 v[55:56], v[55:56], -v[89:90]
	buffer_store_dword v53, off, s[24:27], 0 offset:356 ; 4-byte Folded Spill
	s_nop 0
	buffer_store_dword v54, off, s[24:27], 0 offset:360 ; 4-byte Folded Spill
	buffer_store_dword v55, off, s[24:27], 0 offset:364 ; 4-byte Folded Spill
	buffer_store_dword v56, off, s[24:27], 0 offset:368 ; 4-byte Folded Spill
	ds_read2_b64 v[89:92], v0 offset0:16 offset1:17
	buffer_load_dword v53, off, s[24:27], 0 offset:336 ; 4-byte Folded Reload
	buffer_load_dword v54, off, s[24:27], 0 offset:340 ; 4-byte Folded Reload
	buffer_load_dword v55, off, s[24:27], 0 offset:344 ; 4-byte Folded Reload
	buffer_load_dword v56, off, s[24:27], 0 offset:348 ; 4-byte Folded Reload
	;; [unrolled: 19-line block ×22, first 2 shown]
	s_waitcnt lgkmcnt(0)
	v_mul_f64 v[93:94], v[91:92], v[99:100]
	v_fma_f64 v[93:94], v[89:90], v[125:126], -v[93:94]
	v_mul_f64 v[89:90], v[89:90], v[99:100]
	v_fma_f64 v[89:90], v[91:92], v[125:126], v[89:90]
	s_waitcnt vmcnt(2)
	v_add_f64 v[53:54], v[53:54], -v[93:94]
	s_waitcnt vmcnt(0)
	v_add_f64 v[55:56], v[55:56], -v[89:90]
	buffer_store_dword v53, off, s[24:27], 0 offset:16 ; 4-byte Folded Spill
	s_nop 0
	buffer_store_dword v54, off, s[24:27], 0 offset:20 ; 4-byte Folded Spill
	buffer_store_dword v55, off, s[24:27], 0 offset:24 ; 4-byte Folded Spill
	;; [unrolled: 1-line block ×3, first 2 shown]
	ds_read2_b64 v[89:92], v0 offset0:58 offset1:59
	s_waitcnt lgkmcnt(0)
	v_mul_f64 v[93:94], v[91:92], v[99:100]
	v_fma_f64 v[93:94], v[89:90], v[125:126], -v[93:94]
	v_mul_f64 v[89:90], v[89:90], v[99:100]
	v_add_f64 v[81:82], v[81:82], -v[93:94]
	v_fma_f64 v[89:90], v[91:92], v[125:126], v[89:90]
	v_add_f64 v[83:84], v[83:84], -v[89:90]
	ds_read2_b64 v[89:92], v0 offset0:60 offset1:61
	s_waitcnt lgkmcnt(0)
	v_mul_f64 v[93:94], v[91:92], v[99:100]
	v_fma_f64 v[93:94], v[89:90], v[125:126], -v[93:94]
	v_mul_f64 v[89:90], v[89:90], v[99:100]
	v_add_f64 v[85:86], v[85:86], -v[93:94]
	v_fma_f64 v[89:90], v[91:92], v[125:126], v[89:90]
	v_add_f64 v[87:88], v[87:88], -v[89:90]
	;; [unrolled: 8-line block ×10, first 2 shown]
	ds_read2_b64 v[89:92], v0 offset0:78 offset1:79
	buffer_load_dword v53, off, s[24:27], 0 ; 4-byte Folded Reload
	buffer_load_dword v54, off, s[24:27], 0 offset:4 ; 4-byte Folded Reload
	buffer_load_dword v55, off, s[24:27], 0 offset:8 ; 4-byte Folded Reload
	;; [unrolled: 1-line block ×3, first 2 shown]
	s_waitcnt lgkmcnt(0)
	v_mul_f64 v[93:94], v[91:92], v[99:100]
	v_fma_f64 v[93:94], v[89:90], v[125:126], -v[93:94]
	v_mul_f64 v[89:90], v[89:90], v[99:100]
	v_fma_f64 v[89:90], v[91:92], v[125:126], v[89:90]
	s_waitcnt vmcnt(2)
	v_add_f64 v[53:54], v[53:54], -v[93:94]
	s_waitcnt vmcnt(0)
	v_add_f64 v[55:56], v[55:56], -v[89:90]
	buffer_store_dword v53, off, s[24:27], 0 ; 4-byte Folded Spill
	s_nop 0
	buffer_store_dword v54, off, s[24:27], 0 offset:4 ; 4-byte Folded Spill
	buffer_store_dword v55, off, s[24:27], 0 offset:8 ; 4-byte Folded Spill
	;; [unrolled: 1-line block ×3, first 2 shown]
	ds_read2_b64 v[89:92], v0 offset0:80 offset1:81
	s_waitcnt lgkmcnt(0)
	v_mul_f64 v[93:94], v[91:92], v[99:100]
	v_fma_f64 v[93:94], v[89:90], v[125:126], -v[93:94]
	v_mul_f64 v[89:90], v[89:90], v[99:100]
	v_add_f64 v[49:50], v[49:50], -v[93:94]
	v_fma_f64 v[89:90], v[91:92], v[125:126], v[89:90]
	v_add_f64 v[51:52], v[51:52], -v[89:90]
	ds_read2_b64 v[89:92], v0 offset0:82 offset1:83
	s_waitcnt lgkmcnt(0)
	v_mul_f64 v[93:94], v[91:92], v[99:100]
	v_fma_f64 v[93:94], v[89:90], v[125:126], -v[93:94]
	v_mul_f64 v[89:90], v[89:90], v[99:100]
	v_add_f64 v[45:46], v[45:46], -v[93:94]
	v_fma_f64 v[89:90], v[91:92], v[125:126], v[89:90]
	v_add_f64 v[47:48], v[47:48], -v[89:90]
	;; [unrolled: 8-line block ×12, first 2 shown]
	ds_read2_b64 v[89:92], v0 offset0:104 offset1:105
	s_waitcnt lgkmcnt(0)
	v_mul_f64 v[93:94], v[91:92], v[99:100]
	v_fma_f64 v[93:94], v[89:90], v[125:126], -v[93:94]
	v_mul_f64 v[89:90], v[89:90], v[99:100]
	v_add_f64 v[1:2], v[1:2], -v[93:94]
	v_fma_f64 v[89:90], v[91:92], v[125:126], v[89:90]
	ds_read2_b64 v[91:94], v0 offset0:106 offset1:107
	v_add_f64 v[3:4], v[3:4], -v[89:90]
	s_waitcnt lgkmcnt(0)
	v_mul_f64 v[89:90], v[93:94], v[99:100]
	v_fma_f64 v[89:90], v[91:92], v[125:126], -v[89:90]
	v_mul_f64 v[91:92], v[91:92], v[99:100]
	buffer_store_dword v97, off, s[24:27], 0 offset:388 ; 4-byte Folded Spill
	s_nop 0
	buffer_store_dword v98, off, s[24:27], 0 offset:392 ; 4-byte Folded Spill
	buffer_store_dword v99, off, s[24:27], 0 offset:396 ; 4-byte Folded Spill
	;; [unrolled: 1-line block ×3, first 2 shown]
	v_add_f64 v[121:122], v[121:122], -v[89:90]
	v_fma_f64 v[91:92], v[93:94], v[125:126], v[91:92]
	v_add_f64 v[123:124], v[123:124], -v[91:92]
.LBB106_125:
	s_or_b64 exec, exec, s[0:1]
	s_waitcnt vmcnt(0)
	s_barrier
	buffer_load_dword v53, off, s[24:27], 0 offset:372 ; 4-byte Folded Reload
	buffer_load_dword v54, off, s[24:27], 0 offset:376 ; 4-byte Folded Reload
	;; [unrolled: 1-line block ×4, first 2 shown]
	v_lshl_add_u32 v89, v96, 4, v0
	s_cmp_lt_i32 s3, 8
	s_waitcnt vmcnt(0)
	ds_write2_b64 v89, v[53:54], v[55:56] offset1:1
	s_waitcnt lgkmcnt(0)
	s_barrier
	ds_read2_b64 v[117:120], v0 offset0:12 offset1:13
	v_mov_b32_e32 v89, 6
	s_cbranch_scc1 .LBB106_128
; %bb.126:
	v_add_u32_e32 v90, 0x70, v0
	s_mov_b32 s0, 7
	v_mov_b32_e32 v89, 6
.LBB106_127:                            ; =>This Inner Loop Header: Depth=1
	s_waitcnt lgkmcnt(0)
	v_cmp_gt_f64_e32 vcc, 0, v[117:118]
	v_xor_b32_e32 v97, 0x80000000, v118
	ds_read2_b64 v[91:94], v90 offset1:1
	v_xor_b32_e32 v99, 0x80000000, v120
	v_add_u32_e32 v90, 16, v90
	s_waitcnt lgkmcnt(0)
	v_xor_b32_e32 v101, 0x80000000, v94
	v_cndmask_b32_e32 v98, v118, v97, vcc
	v_cmp_gt_f64_e32 vcc, 0, v[119:120]
	v_mov_b32_e32 v97, v117
	v_cndmask_b32_e32 v100, v120, v99, vcc
	v_cmp_gt_f64_e32 vcc, 0, v[91:92]
	v_mov_b32_e32 v99, v119
	v_add_f64 v[97:98], v[97:98], v[99:100]
	v_xor_b32_e32 v99, 0x80000000, v92
	v_cndmask_b32_e32 v100, v92, v99, vcc
	v_cmp_gt_f64_e32 vcc, 0, v[93:94]
	v_mov_b32_e32 v99, v91
	v_cndmask_b32_e32 v102, v94, v101, vcc
	v_mov_b32_e32 v101, v93
	v_add_f64 v[99:100], v[99:100], v[101:102]
	v_cmp_lt_f64_e32 vcc, v[97:98], v[99:100]
	v_cndmask_b32_e32 v117, v117, v91, vcc
	v_mov_b32_e32 v91, s0
	s_add_i32 s0, s0, 1
	v_cndmask_b32_e32 v118, v118, v92, vcc
	v_cndmask_b32_e32 v120, v120, v94, vcc
	v_cndmask_b32_e32 v119, v119, v93, vcc
	v_cndmask_b32_e32 v89, v89, v91, vcc
	s_cmp_lg_u32 s3, s0
	s_cbranch_scc1 .LBB106_127
.LBB106_128:
	s_waitcnt lgkmcnt(0)
	v_cmp_eq_f64_e32 vcc, 0, v[117:118]
	v_cmp_eq_f64_e64 s[0:1], 0, v[119:120]
	s_and_b64 s[0:1], vcc, s[0:1]
	s_and_saveexec_b64 s[18:19], s[0:1]
	s_xor_b64 s[0:1], exec, s[18:19]
; %bb.129:
	v_cmp_ne_u32_e32 vcc, 0, v95
	v_cndmask_b32_e32 v95, 7, v95, vcc
; %bb.130:
	s_andn2_saveexec_b64 s[0:1], s[0:1]
	s_cbranch_execz .LBB106_136
; %bb.131:
	v_cmp_ngt_f64_e64 s[18:19], |v[117:118]|, |v[119:120]|
	s_and_saveexec_b64 s[20:21], s[18:19]
	s_xor_b64 s[18:19], exec, s[20:21]
	s_cbranch_execz .LBB106_133
; %bb.132:
	v_div_scale_f64 v[90:91], s[20:21], v[119:120], v[119:120], v[117:118]
	v_rcp_f64_e32 v[92:93], v[90:91]
	v_fma_f64 v[97:98], -v[90:91], v[92:93], 1.0
	v_fma_f64 v[92:93], v[92:93], v[97:98], v[92:93]
	v_div_scale_f64 v[97:98], vcc, v[117:118], v[119:120], v[117:118]
	v_fma_f64 v[99:100], -v[90:91], v[92:93], 1.0
	v_fma_f64 v[92:93], v[92:93], v[99:100], v[92:93]
	v_mul_f64 v[99:100], v[97:98], v[92:93]
	v_fma_f64 v[90:91], -v[90:91], v[99:100], v[97:98]
	v_div_fmas_f64 v[90:91], v[90:91], v[92:93], v[99:100]
	v_div_fixup_f64 v[90:91], v[90:91], v[119:120], v[117:118]
	v_fma_f64 v[92:93], v[117:118], v[90:91], v[119:120]
	v_div_scale_f64 v[97:98], s[20:21], v[92:93], v[92:93], 1.0
	v_div_scale_f64 v[103:104], vcc, 1.0, v[92:93], 1.0
	v_rcp_f64_e32 v[99:100], v[97:98]
	v_fma_f64 v[101:102], -v[97:98], v[99:100], 1.0
	v_fma_f64 v[99:100], v[99:100], v[101:102], v[99:100]
	v_fma_f64 v[101:102], -v[97:98], v[99:100], 1.0
	v_fma_f64 v[99:100], v[99:100], v[101:102], v[99:100]
	v_mul_f64 v[101:102], v[103:104], v[99:100]
	v_fma_f64 v[97:98], -v[97:98], v[101:102], v[103:104]
	v_div_fmas_f64 v[97:98], v[97:98], v[99:100], v[101:102]
	v_div_fixup_f64 v[119:120], v[97:98], v[92:93], 1.0
	v_mul_f64 v[117:118], v[90:91], v[119:120]
	v_xor_b32_e32 v120, 0x80000000, v120
.LBB106_133:
	s_andn2_saveexec_b64 s[18:19], s[18:19]
	s_cbranch_execz .LBB106_135
; %bb.134:
	v_div_scale_f64 v[90:91], s[20:21], v[117:118], v[117:118], v[119:120]
	v_rcp_f64_e32 v[92:93], v[90:91]
	v_fma_f64 v[97:98], -v[90:91], v[92:93], 1.0
	v_fma_f64 v[92:93], v[92:93], v[97:98], v[92:93]
	v_div_scale_f64 v[97:98], vcc, v[119:120], v[117:118], v[119:120]
	v_fma_f64 v[99:100], -v[90:91], v[92:93], 1.0
	v_fma_f64 v[92:93], v[92:93], v[99:100], v[92:93]
	v_mul_f64 v[99:100], v[97:98], v[92:93]
	v_fma_f64 v[90:91], -v[90:91], v[99:100], v[97:98]
	v_div_fmas_f64 v[90:91], v[90:91], v[92:93], v[99:100]
	v_div_fixup_f64 v[90:91], v[90:91], v[117:118], v[119:120]
	v_fma_f64 v[92:93], v[119:120], v[90:91], v[117:118]
	v_div_scale_f64 v[97:98], s[20:21], v[92:93], v[92:93], 1.0
	v_div_scale_f64 v[103:104], vcc, 1.0, v[92:93], 1.0
	v_rcp_f64_e32 v[99:100], v[97:98]
	v_fma_f64 v[101:102], -v[97:98], v[99:100], 1.0
	v_fma_f64 v[99:100], v[99:100], v[101:102], v[99:100]
	v_fma_f64 v[101:102], -v[97:98], v[99:100], 1.0
	v_fma_f64 v[99:100], v[99:100], v[101:102], v[99:100]
	v_mul_f64 v[101:102], v[103:104], v[99:100]
	v_fma_f64 v[97:98], -v[97:98], v[101:102], v[103:104]
	v_div_fmas_f64 v[97:98], v[97:98], v[99:100], v[101:102]
	v_div_fixup_f64 v[117:118], v[97:98], v[92:93], 1.0
	v_mul_f64 v[119:120], v[90:91], -v[117:118]
.LBB106_135:
	s_or_b64 exec, exec, s[18:19]
.LBB106_136:
	s_or_b64 exec, exec, s[0:1]
	v_cmp_ne_u32_e32 vcc, v96, v89
	s_and_saveexec_b64 s[0:1], vcc
	s_xor_b64 s[0:1], exec, s[0:1]
	s_cbranch_execz .LBB106_142
; %bb.137:
	v_cmp_eq_u32_e32 vcc, 6, v96
	s_and_saveexec_b64 s[18:19], vcc
	s_cbranch_execz .LBB106_141
; %bb.138:
	v_cmp_ne_u32_e32 vcc, 6, v89
	s_xor_b64 s[20:21], s[6:7], -1
	s_and_b64 s[22:23], s[20:21], vcc
	s_and_saveexec_b64 s[20:21], s[22:23]
	s_cbranch_execz .LBB106_140
; %bb.139:
	v_mov_b32_e32 v53, v81
	v_mov_b32_e32 v54, v82
	;; [unrolled: 1-line block ×4, first 2 shown]
	buffer_load_dword v81, off, s[24:27], 0 offset:436 ; 4-byte Folded Reload
	buffer_load_dword v82, off, s[24:27], 0 offset:440 ; 4-byte Folded Reload
	v_ashrrev_i32_e32 v90, 31, v89
	v_lshlrev_b64 v[90:91], 2, v[89:90]
	s_waitcnt vmcnt(1)
	v_add_co_u32_e32 v90, vcc, v81, v90
	s_waitcnt vmcnt(0)
	v_addc_co_u32_e32 v91, vcc, v82, v91, vcc
	global_load_dword v92, v[90:91], off
	global_load_dword v93, v[81:82], off offset:24
	s_waitcnt vmcnt(1)
	global_store_dword v[81:82], v92, off offset:24
	v_mov_b32_e32 v84, v56
	v_mov_b32_e32 v83, v55
	;; [unrolled: 1-line block ×4, first 2 shown]
	s_waitcnt vmcnt(1)
	global_store_dword v[90:91], v93, off
.LBB106_140:
	s_or_b64 exec, exec, s[20:21]
	v_mov_b32_e32 v96, v89
	v_mov_b32_e32 v53, v89
	buffer_store_dword v53, off, s[24:27], 0 offset:352 ; 4-byte Folded Spill
.LBB106_141:
	s_or_b64 exec, exec, s[18:19]
.LBB106_142:
	s_andn2_saveexec_b64 s[0:1], s[0:1]
	s_cbranch_execz .LBB106_144
; %bb.143:
	buffer_load_dword v53, off, s[24:27], 0 offset:356 ; 4-byte Folded Reload
	buffer_load_dword v54, off, s[24:27], 0 offset:360 ; 4-byte Folded Reload
	;; [unrolled: 1-line block ×4, first 2 shown]
	v_mov_b32_e32 v96, 6
	s_waitcnt vmcnt(0)
	ds_write2_b64 v0, v[53:54], v[55:56] offset0:14 offset1:15
	buffer_load_dword v53, off, s[24:27], 0 offset:336 ; 4-byte Folded Reload
	buffer_load_dword v54, off, s[24:27], 0 offset:340 ; 4-byte Folded Reload
	buffer_load_dword v55, off, s[24:27], 0 offset:344 ; 4-byte Folded Reload
	buffer_load_dword v56, off, s[24:27], 0 offset:348 ; 4-byte Folded Reload
	s_waitcnt vmcnt(0)
	ds_write2_b64 v0, v[53:54], v[55:56] offset0:16 offset1:17
	buffer_load_dword v53, off, s[24:27], 0 offset:320 ; 4-byte Folded Reload
	buffer_load_dword v54, off, s[24:27], 0 offset:324 ; 4-byte Folded Reload
	buffer_load_dword v55, off, s[24:27], 0 offset:328 ; 4-byte Folded Reload
	buffer_load_dword v56, off, s[24:27], 0 offset:332 ; 4-byte Folded Reload
	;; [unrolled: 6-line block ×21, first 2 shown]
	s_waitcnt vmcnt(0)
	ds_write2_b64 v0, v[53:54], v[55:56] offset0:56 offset1:57
	ds_write2_b64 v0, v[81:82], v[83:84] offset0:58 offset1:59
	ds_write2_b64 v0, v[85:86], v[87:88] offset0:60 offset1:61
	ds_write2_b64 v0, v[109:110], v[111:112] offset0:62 offset1:63
	ds_write2_b64 v0, v[113:114], v[115:116] offset0:64 offset1:65
	ds_write2_b64 v0, v[77:78], v[79:80] offset0:66 offset1:67
	ds_write2_b64 v0, v[73:74], v[75:76] offset0:68 offset1:69
	ds_write2_b64 v0, v[69:70], v[71:72] offset0:70 offset1:71
	ds_write2_b64 v0, v[65:66], v[67:68] offset0:72 offset1:73
	ds_write2_b64 v0, v[61:62], v[63:64] offset0:74 offset1:75
	ds_write2_b64 v0, v[57:58], v[59:60] offset0:76 offset1:77
	buffer_load_dword v53, off, s[24:27], 0 ; 4-byte Folded Reload
	buffer_load_dword v54, off, s[24:27], 0 offset:4 ; 4-byte Folded Reload
	buffer_load_dword v55, off, s[24:27], 0 offset:8 ; 4-byte Folded Reload
	;; [unrolled: 1-line block ×3, first 2 shown]
	s_waitcnt vmcnt(0)
	ds_write2_b64 v0, v[53:54], v[55:56] offset0:78 offset1:79
	ds_write2_b64 v0, v[49:50], v[51:52] offset0:80 offset1:81
	;; [unrolled: 1-line block ×15, first 2 shown]
.LBB106_144:
	s_or_b64 exec, exec, s[0:1]
	v_cmp_lt_i32_e32 vcc, 6, v96
	s_waitcnt vmcnt(0) lgkmcnt(0)
	s_barrier
	s_and_saveexec_b64 s[0:1], vcc
	s_cbranch_execz .LBB106_146
; %bb.145:
	buffer_load_dword v97, off, s[24:27], 0 offset:372 ; 4-byte Folded Reload
	buffer_load_dword v98, off, s[24:27], 0 offset:376 ; 4-byte Folded Reload
	;; [unrolled: 1-line block ×4, first 2 shown]
	s_waitcnt vmcnt(0)
	v_mul_f64 v[89:90], v[119:120], v[99:100]
	v_fma_f64 v[125:126], v[117:118], v[97:98], -v[89:90]
	v_mul_f64 v[89:90], v[117:118], v[99:100]
	v_fma_f64 v[99:100], v[119:120], v[97:98], v[89:90]
	ds_read2_b64 v[89:92], v0 offset0:14 offset1:15
	buffer_load_dword v53, off, s[24:27], 0 offset:356 ; 4-byte Folded Reload
	buffer_load_dword v54, off, s[24:27], 0 offset:360 ; 4-byte Folded Reload
	;; [unrolled: 1-line block ×4, first 2 shown]
	v_mov_b32_e32 v97, v125
	v_mov_b32_e32 v98, v126
	s_waitcnt lgkmcnt(0)
	v_mul_f64 v[93:94], v[91:92], v[99:100]
	v_fma_f64 v[93:94], v[89:90], v[125:126], -v[93:94]
	v_mul_f64 v[89:90], v[89:90], v[99:100]
	v_fma_f64 v[89:90], v[91:92], v[125:126], v[89:90]
	s_waitcnt vmcnt(2)
	v_add_f64 v[53:54], v[53:54], -v[93:94]
	s_waitcnt vmcnt(0)
	v_add_f64 v[55:56], v[55:56], -v[89:90]
	buffer_store_dword v53, off, s[24:27], 0 offset:356 ; 4-byte Folded Spill
	s_nop 0
	buffer_store_dword v54, off, s[24:27], 0 offset:360 ; 4-byte Folded Spill
	buffer_store_dword v55, off, s[24:27], 0 offset:364 ; 4-byte Folded Spill
	buffer_store_dword v56, off, s[24:27], 0 offset:368 ; 4-byte Folded Spill
	ds_read2_b64 v[89:92], v0 offset0:16 offset1:17
	buffer_load_dword v53, off, s[24:27], 0 offset:336 ; 4-byte Folded Reload
	buffer_load_dword v54, off, s[24:27], 0 offset:340 ; 4-byte Folded Reload
	buffer_load_dword v55, off, s[24:27], 0 offset:344 ; 4-byte Folded Reload
	buffer_load_dword v56, off, s[24:27], 0 offset:348 ; 4-byte Folded Reload
	s_waitcnt lgkmcnt(0)
	v_mul_f64 v[93:94], v[91:92], v[99:100]
	v_fma_f64 v[93:94], v[89:90], v[125:126], -v[93:94]
	v_mul_f64 v[89:90], v[89:90], v[99:100]
	v_fma_f64 v[89:90], v[91:92], v[125:126], v[89:90]
	s_waitcnt vmcnt(2)
	v_add_f64 v[53:54], v[53:54], -v[93:94]
	s_waitcnt vmcnt(0)
	v_add_f64 v[55:56], v[55:56], -v[89:90]
	buffer_store_dword v53, off, s[24:27], 0 offset:336 ; 4-byte Folded Spill
	s_nop 0
	buffer_store_dword v54, off, s[24:27], 0 offset:340 ; 4-byte Folded Spill
	buffer_store_dword v55, off, s[24:27], 0 offset:344 ; 4-byte Folded Spill
	buffer_store_dword v56, off, s[24:27], 0 offset:348 ; 4-byte Folded Spill
	ds_read2_b64 v[89:92], v0 offset0:18 offset1:19
	buffer_load_dword v53, off, s[24:27], 0 offset:320 ; 4-byte Folded Reload
	buffer_load_dword v54, off, s[24:27], 0 offset:324 ; 4-byte Folded Reload
	buffer_load_dword v55, off, s[24:27], 0 offset:328 ; 4-byte Folded Reload
	buffer_load_dword v56, off, s[24:27], 0 offset:332 ; 4-byte Folded Reload
	;; [unrolled: 19-line block ×21, first 2 shown]
	s_waitcnt lgkmcnt(0)
	v_mul_f64 v[93:94], v[91:92], v[99:100]
	v_fma_f64 v[93:94], v[89:90], v[125:126], -v[93:94]
	v_mul_f64 v[89:90], v[89:90], v[99:100]
	v_fma_f64 v[89:90], v[91:92], v[125:126], v[89:90]
	s_waitcnt vmcnt(2)
	v_add_f64 v[53:54], v[53:54], -v[93:94]
	s_waitcnt vmcnt(0)
	v_add_f64 v[55:56], v[55:56], -v[89:90]
	buffer_store_dword v53, off, s[24:27], 0 offset:16 ; 4-byte Folded Spill
	s_nop 0
	buffer_store_dword v54, off, s[24:27], 0 offset:20 ; 4-byte Folded Spill
	buffer_store_dword v55, off, s[24:27], 0 offset:24 ; 4-byte Folded Spill
	;; [unrolled: 1-line block ×3, first 2 shown]
	ds_read2_b64 v[89:92], v0 offset0:58 offset1:59
	s_waitcnt lgkmcnt(0)
	v_mul_f64 v[93:94], v[91:92], v[99:100]
	v_fma_f64 v[93:94], v[89:90], v[125:126], -v[93:94]
	v_mul_f64 v[89:90], v[89:90], v[99:100]
	v_add_f64 v[81:82], v[81:82], -v[93:94]
	v_fma_f64 v[89:90], v[91:92], v[125:126], v[89:90]
	v_add_f64 v[83:84], v[83:84], -v[89:90]
	ds_read2_b64 v[89:92], v0 offset0:60 offset1:61
	s_waitcnt lgkmcnt(0)
	v_mul_f64 v[93:94], v[91:92], v[99:100]
	v_fma_f64 v[93:94], v[89:90], v[125:126], -v[93:94]
	v_mul_f64 v[89:90], v[89:90], v[99:100]
	v_add_f64 v[85:86], v[85:86], -v[93:94]
	v_fma_f64 v[89:90], v[91:92], v[125:126], v[89:90]
	v_add_f64 v[87:88], v[87:88], -v[89:90]
	;; [unrolled: 8-line block ×10, first 2 shown]
	ds_read2_b64 v[89:92], v0 offset0:78 offset1:79
	buffer_load_dword v53, off, s[24:27], 0 ; 4-byte Folded Reload
	buffer_load_dword v54, off, s[24:27], 0 offset:4 ; 4-byte Folded Reload
	buffer_load_dword v55, off, s[24:27], 0 offset:8 ; 4-byte Folded Reload
	;; [unrolled: 1-line block ×3, first 2 shown]
	s_waitcnt lgkmcnt(0)
	v_mul_f64 v[93:94], v[91:92], v[99:100]
	v_fma_f64 v[93:94], v[89:90], v[125:126], -v[93:94]
	v_mul_f64 v[89:90], v[89:90], v[99:100]
	v_fma_f64 v[89:90], v[91:92], v[125:126], v[89:90]
	s_waitcnt vmcnt(2)
	v_add_f64 v[53:54], v[53:54], -v[93:94]
	s_waitcnt vmcnt(0)
	v_add_f64 v[55:56], v[55:56], -v[89:90]
	buffer_store_dword v53, off, s[24:27], 0 ; 4-byte Folded Spill
	s_nop 0
	buffer_store_dword v54, off, s[24:27], 0 offset:4 ; 4-byte Folded Spill
	buffer_store_dword v55, off, s[24:27], 0 offset:8 ; 4-byte Folded Spill
	;; [unrolled: 1-line block ×3, first 2 shown]
	ds_read2_b64 v[89:92], v0 offset0:80 offset1:81
	s_waitcnt lgkmcnt(0)
	v_mul_f64 v[93:94], v[91:92], v[99:100]
	v_fma_f64 v[93:94], v[89:90], v[125:126], -v[93:94]
	v_mul_f64 v[89:90], v[89:90], v[99:100]
	v_add_f64 v[49:50], v[49:50], -v[93:94]
	v_fma_f64 v[89:90], v[91:92], v[125:126], v[89:90]
	v_add_f64 v[51:52], v[51:52], -v[89:90]
	ds_read2_b64 v[89:92], v0 offset0:82 offset1:83
	s_waitcnt lgkmcnt(0)
	v_mul_f64 v[93:94], v[91:92], v[99:100]
	v_fma_f64 v[93:94], v[89:90], v[125:126], -v[93:94]
	v_mul_f64 v[89:90], v[89:90], v[99:100]
	v_add_f64 v[45:46], v[45:46], -v[93:94]
	v_fma_f64 v[89:90], v[91:92], v[125:126], v[89:90]
	v_add_f64 v[47:48], v[47:48], -v[89:90]
	;; [unrolled: 8-line block ×12, first 2 shown]
	ds_read2_b64 v[89:92], v0 offset0:104 offset1:105
	s_waitcnt lgkmcnt(0)
	v_mul_f64 v[93:94], v[91:92], v[99:100]
	v_fma_f64 v[93:94], v[89:90], v[125:126], -v[93:94]
	v_mul_f64 v[89:90], v[89:90], v[99:100]
	v_add_f64 v[1:2], v[1:2], -v[93:94]
	v_fma_f64 v[89:90], v[91:92], v[125:126], v[89:90]
	ds_read2_b64 v[91:94], v0 offset0:106 offset1:107
	v_add_f64 v[3:4], v[3:4], -v[89:90]
	s_waitcnt lgkmcnt(0)
	v_mul_f64 v[89:90], v[93:94], v[99:100]
	v_fma_f64 v[89:90], v[91:92], v[125:126], -v[89:90]
	v_mul_f64 v[91:92], v[91:92], v[99:100]
	buffer_store_dword v97, off, s[24:27], 0 offset:372 ; 4-byte Folded Spill
	s_nop 0
	buffer_store_dword v98, off, s[24:27], 0 offset:376 ; 4-byte Folded Spill
	buffer_store_dword v99, off, s[24:27], 0 offset:380 ; 4-byte Folded Spill
	;; [unrolled: 1-line block ×3, first 2 shown]
	v_add_f64 v[121:122], v[121:122], -v[89:90]
	v_fma_f64 v[91:92], v[93:94], v[125:126], v[91:92]
	v_add_f64 v[123:124], v[123:124], -v[91:92]
.LBB106_146:
	s_or_b64 exec, exec, s[0:1]
	s_waitcnt vmcnt(0)
	s_barrier
	buffer_load_dword v53, off, s[24:27], 0 offset:356 ; 4-byte Folded Reload
	buffer_load_dword v54, off, s[24:27], 0 offset:360 ; 4-byte Folded Reload
	;; [unrolled: 1-line block ×4, first 2 shown]
	v_lshl_add_u32 v89, v96, 4, v0
	s_cmp_lt_i32 s3, 9
	s_waitcnt vmcnt(0)
	ds_write2_b64 v89, v[53:54], v[55:56] offset1:1
	s_waitcnt lgkmcnt(0)
	s_barrier
	ds_read2_b64 v[117:120], v0 offset0:14 offset1:15
	v_mov_b32_e32 v89, 7
	s_cbranch_scc1 .LBB106_149
; %bb.147:
	v_add_u32_e32 v90, 0x80, v0
	s_mov_b32 s0, 8
	v_mov_b32_e32 v89, 7
.LBB106_148:                            ; =>This Inner Loop Header: Depth=1
	s_waitcnt lgkmcnt(0)
	v_cmp_gt_f64_e32 vcc, 0, v[117:118]
	v_xor_b32_e32 v97, 0x80000000, v118
	ds_read2_b64 v[91:94], v90 offset1:1
	v_xor_b32_e32 v99, 0x80000000, v120
	v_add_u32_e32 v90, 16, v90
	s_waitcnt lgkmcnt(0)
	v_xor_b32_e32 v101, 0x80000000, v94
	v_cndmask_b32_e32 v98, v118, v97, vcc
	v_cmp_gt_f64_e32 vcc, 0, v[119:120]
	v_mov_b32_e32 v97, v117
	v_cndmask_b32_e32 v100, v120, v99, vcc
	v_cmp_gt_f64_e32 vcc, 0, v[91:92]
	v_mov_b32_e32 v99, v119
	v_add_f64 v[97:98], v[97:98], v[99:100]
	v_xor_b32_e32 v99, 0x80000000, v92
	v_cndmask_b32_e32 v100, v92, v99, vcc
	v_cmp_gt_f64_e32 vcc, 0, v[93:94]
	v_mov_b32_e32 v99, v91
	v_cndmask_b32_e32 v102, v94, v101, vcc
	v_mov_b32_e32 v101, v93
	v_add_f64 v[99:100], v[99:100], v[101:102]
	v_cmp_lt_f64_e32 vcc, v[97:98], v[99:100]
	v_cndmask_b32_e32 v117, v117, v91, vcc
	v_mov_b32_e32 v91, s0
	s_add_i32 s0, s0, 1
	v_cndmask_b32_e32 v118, v118, v92, vcc
	v_cndmask_b32_e32 v120, v120, v94, vcc
	;; [unrolled: 1-line block ×4, first 2 shown]
	s_cmp_lg_u32 s3, s0
	s_cbranch_scc1 .LBB106_148
.LBB106_149:
	s_waitcnt lgkmcnt(0)
	v_cmp_eq_f64_e32 vcc, 0, v[117:118]
	v_cmp_eq_f64_e64 s[0:1], 0, v[119:120]
	s_and_b64 s[0:1], vcc, s[0:1]
	s_and_saveexec_b64 s[18:19], s[0:1]
	s_xor_b64 s[0:1], exec, s[18:19]
; %bb.150:
	v_cmp_ne_u32_e32 vcc, 0, v95
	v_cndmask_b32_e32 v95, 8, v95, vcc
; %bb.151:
	s_andn2_saveexec_b64 s[0:1], s[0:1]
	s_cbranch_execz .LBB106_157
; %bb.152:
	v_cmp_ngt_f64_e64 s[18:19], |v[117:118]|, |v[119:120]|
	s_and_saveexec_b64 s[20:21], s[18:19]
	s_xor_b64 s[18:19], exec, s[20:21]
	s_cbranch_execz .LBB106_154
; %bb.153:
	v_div_scale_f64 v[90:91], s[20:21], v[119:120], v[119:120], v[117:118]
	v_rcp_f64_e32 v[92:93], v[90:91]
	v_fma_f64 v[97:98], -v[90:91], v[92:93], 1.0
	v_fma_f64 v[92:93], v[92:93], v[97:98], v[92:93]
	v_div_scale_f64 v[97:98], vcc, v[117:118], v[119:120], v[117:118]
	v_fma_f64 v[99:100], -v[90:91], v[92:93], 1.0
	v_fma_f64 v[92:93], v[92:93], v[99:100], v[92:93]
	v_mul_f64 v[99:100], v[97:98], v[92:93]
	v_fma_f64 v[90:91], -v[90:91], v[99:100], v[97:98]
	v_div_fmas_f64 v[90:91], v[90:91], v[92:93], v[99:100]
	v_div_fixup_f64 v[90:91], v[90:91], v[119:120], v[117:118]
	v_fma_f64 v[92:93], v[117:118], v[90:91], v[119:120]
	v_div_scale_f64 v[97:98], s[20:21], v[92:93], v[92:93], 1.0
	v_div_scale_f64 v[103:104], vcc, 1.0, v[92:93], 1.0
	v_rcp_f64_e32 v[99:100], v[97:98]
	v_fma_f64 v[101:102], -v[97:98], v[99:100], 1.0
	v_fma_f64 v[99:100], v[99:100], v[101:102], v[99:100]
	v_fma_f64 v[101:102], -v[97:98], v[99:100], 1.0
	v_fma_f64 v[99:100], v[99:100], v[101:102], v[99:100]
	v_mul_f64 v[101:102], v[103:104], v[99:100]
	v_fma_f64 v[97:98], -v[97:98], v[101:102], v[103:104]
	v_div_fmas_f64 v[97:98], v[97:98], v[99:100], v[101:102]
	v_div_fixup_f64 v[119:120], v[97:98], v[92:93], 1.0
	v_mul_f64 v[117:118], v[90:91], v[119:120]
	v_xor_b32_e32 v120, 0x80000000, v120
.LBB106_154:
	s_andn2_saveexec_b64 s[18:19], s[18:19]
	s_cbranch_execz .LBB106_156
; %bb.155:
	v_div_scale_f64 v[90:91], s[20:21], v[117:118], v[117:118], v[119:120]
	v_rcp_f64_e32 v[92:93], v[90:91]
	v_fma_f64 v[97:98], -v[90:91], v[92:93], 1.0
	v_fma_f64 v[92:93], v[92:93], v[97:98], v[92:93]
	v_div_scale_f64 v[97:98], vcc, v[119:120], v[117:118], v[119:120]
	v_fma_f64 v[99:100], -v[90:91], v[92:93], 1.0
	v_fma_f64 v[92:93], v[92:93], v[99:100], v[92:93]
	v_mul_f64 v[99:100], v[97:98], v[92:93]
	v_fma_f64 v[90:91], -v[90:91], v[99:100], v[97:98]
	v_div_fmas_f64 v[90:91], v[90:91], v[92:93], v[99:100]
	v_div_fixup_f64 v[90:91], v[90:91], v[117:118], v[119:120]
	v_fma_f64 v[92:93], v[119:120], v[90:91], v[117:118]
	v_div_scale_f64 v[97:98], s[20:21], v[92:93], v[92:93], 1.0
	v_div_scale_f64 v[103:104], vcc, 1.0, v[92:93], 1.0
	v_rcp_f64_e32 v[99:100], v[97:98]
	v_fma_f64 v[101:102], -v[97:98], v[99:100], 1.0
	v_fma_f64 v[99:100], v[99:100], v[101:102], v[99:100]
	v_fma_f64 v[101:102], -v[97:98], v[99:100], 1.0
	v_fma_f64 v[99:100], v[99:100], v[101:102], v[99:100]
	v_mul_f64 v[101:102], v[103:104], v[99:100]
	v_fma_f64 v[97:98], -v[97:98], v[101:102], v[103:104]
	v_div_fmas_f64 v[97:98], v[97:98], v[99:100], v[101:102]
	v_div_fixup_f64 v[117:118], v[97:98], v[92:93], 1.0
	v_mul_f64 v[119:120], v[90:91], -v[117:118]
.LBB106_156:
	s_or_b64 exec, exec, s[18:19]
.LBB106_157:
	s_or_b64 exec, exec, s[0:1]
	v_cmp_ne_u32_e32 vcc, v96, v89
	s_and_saveexec_b64 s[0:1], vcc
	s_xor_b64 s[0:1], exec, s[0:1]
	s_cbranch_execz .LBB106_163
; %bb.158:
	v_cmp_eq_u32_e32 vcc, 7, v96
	s_and_saveexec_b64 s[18:19], vcc
	s_cbranch_execz .LBB106_162
; %bb.159:
	v_cmp_ne_u32_e32 vcc, 7, v89
	s_xor_b64 s[20:21], s[6:7], -1
	s_and_b64 s[22:23], s[20:21], vcc
	s_and_saveexec_b64 s[20:21], s[22:23]
	s_cbranch_execz .LBB106_161
; %bb.160:
	v_mov_b32_e32 v53, v81
	v_mov_b32_e32 v54, v82
	;; [unrolled: 1-line block ×4, first 2 shown]
	buffer_load_dword v81, off, s[24:27], 0 offset:436 ; 4-byte Folded Reload
	buffer_load_dword v82, off, s[24:27], 0 offset:440 ; 4-byte Folded Reload
	v_ashrrev_i32_e32 v90, 31, v89
	v_lshlrev_b64 v[90:91], 2, v[89:90]
	s_waitcnt vmcnt(1)
	v_add_co_u32_e32 v90, vcc, v81, v90
	s_waitcnt vmcnt(0)
	v_addc_co_u32_e32 v91, vcc, v82, v91, vcc
	global_load_dword v92, v[90:91], off
	global_load_dword v93, v[81:82], off offset:28
	s_waitcnt vmcnt(1)
	global_store_dword v[81:82], v92, off offset:28
	v_mov_b32_e32 v84, v56
	v_mov_b32_e32 v83, v55
	;; [unrolled: 1-line block ×4, first 2 shown]
	s_waitcnt vmcnt(1)
	global_store_dword v[90:91], v93, off
.LBB106_161:
	s_or_b64 exec, exec, s[20:21]
	v_mov_b32_e32 v96, v89
	v_mov_b32_e32 v53, v89
	buffer_store_dword v53, off, s[24:27], 0 offset:352 ; 4-byte Folded Spill
.LBB106_162:
	s_or_b64 exec, exec, s[18:19]
.LBB106_163:
	s_andn2_saveexec_b64 s[0:1], s[0:1]
	s_cbranch_execz .LBB106_165
; %bb.164:
	buffer_load_dword v53, off, s[24:27], 0 offset:336 ; 4-byte Folded Reload
	buffer_load_dword v54, off, s[24:27], 0 offset:340 ; 4-byte Folded Reload
	;; [unrolled: 1-line block ×4, first 2 shown]
	v_mov_b32_e32 v96, 7
	s_waitcnt vmcnt(0)
	ds_write2_b64 v0, v[53:54], v[55:56] offset0:16 offset1:17
	buffer_load_dword v53, off, s[24:27], 0 offset:320 ; 4-byte Folded Reload
	buffer_load_dword v54, off, s[24:27], 0 offset:324 ; 4-byte Folded Reload
	buffer_load_dword v55, off, s[24:27], 0 offset:328 ; 4-byte Folded Reload
	buffer_load_dword v56, off, s[24:27], 0 offset:332 ; 4-byte Folded Reload
	s_waitcnt vmcnt(0)
	ds_write2_b64 v0, v[53:54], v[55:56] offset0:18 offset1:19
	buffer_load_dword v53, off, s[24:27], 0 offset:304 ; 4-byte Folded Reload
	buffer_load_dword v54, off, s[24:27], 0 offset:308 ; 4-byte Folded Reload
	buffer_load_dword v55, off, s[24:27], 0 offset:312 ; 4-byte Folded Reload
	buffer_load_dword v56, off, s[24:27], 0 offset:316 ; 4-byte Folded Reload
	;; [unrolled: 6-line block ×20, first 2 shown]
	s_waitcnt vmcnt(0)
	ds_write2_b64 v0, v[53:54], v[55:56] offset0:56 offset1:57
	ds_write2_b64 v0, v[81:82], v[83:84] offset0:58 offset1:59
	;; [unrolled: 1-line block ×11, first 2 shown]
	buffer_load_dword v53, off, s[24:27], 0 ; 4-byte Folded Reload
	buffer_load_dword v54, off, s[24:27], 0 offset:4 ; 4-byte Folded Reload
	buffer_load_dword v55, off, s[24:27], 0 offset:8 ; 4-byte Folded Reload
	;; [unrolled: 1-line block ×3, first 2 shown]
	s_waitcnt vmcnt(0)
	ds_write2_b64 v0, v[53:54], v[55:56] offset0:78 offset1:79
	ds_write2_b64 v0, v[49:50], v[51:52] offset0:80 offset1:81
	;; [unrolled: 1-line block ×15, first 2 shown]
.LBB106_165:
	s_or_b64 exec, exec, s[0:1]
	v_cmp_lt_i32_e32 vcc, 7, v96
	s_waitcnt vmcnt(0) lgkmcnt(0)
	s_barrier
	s_and_saveexec_b64 s[0:1], vcc
	s_cbranch_execz .LBB106_167
; %bb.166:
	buffer_load_dword v97, off, s[24:27], 0 offset:356 ; 4-byte Folded Reload
	buffer_load_dword v98, off, s[24:27], 0 offset:360 ; 4-byte Folded Reload
	;; [unrolled: 1-line block ×4, first 2 shown]
	s_waitcnt vmcnt(0)
	v_mul_f64 v[89:90], v[119:120], v[99:100]
	v_fma_f64 v[125:126], v[117:118], v[97:98], -v[89:90]
	v_mul_f64 v[89:90], v[117:118], v[99:100]
	v_fma_f64 v[99:100], v[119:120], v[97:98], v[89:90]
	ds_read2_b64 v[89:92], v0 offset0:16 offset1:17
	buffer_load_dword v53, off, s[24:27], 0 offset:336 ; 4-byte Folded Reload
	buffer_load_dword v54, off, s[24:27], 0 offset:340 ; 4-byte Folded Reload
	;; [unrolled: 1-line block ×4, first 2 shown]
	v_mov_b32_e32 v97, v125
	v_mov_b32_e32 v98, v126
	s_waitcnt lgkmcnt(0)
	v_mul_f64 v[93:94], v[91:92], v[99:100]
	v_fma_f64 v[93:94], v[89:90], v[125:126], -v[93:94]
	v_mul_f64 v[89:90], v[89:90], v[99:100]
	v_fma_f64 v[89:90], v[91:92], v[125:126], v[89:90]
	s_waitcnt vmcnt(2)
	v_add_f64 v[53:54], v[53:54], -v[93:94]
	s_waitcnt vmcnt(0)
	v_add_f64 v[55:56], v[55:56], -v[89:90]
	buffer_store_dword v53, off, s[24:27], 0 offset:336 ; 4-byte Folded Spill
	s_nop 0
	buffer_store_dword v54, off, s[24:27], 0 offset:340 ; 4-byte Folded Spill
	buffer_store_dword v55, off, s[24:27], 0 offset:344 ; 4-byte Folded Spill
	buffer_store_dword v56, off, s[24:27], 0 offset:348 ; 4-byte Folded Spill
	ds_read2_b64 v[89:92], v0 offset0:18 offset1:19
	buffer_load_dword v53, off, s[24:27], 0 offset:320 ; 4-byte Folded Reload
	buffer_load_dword v54, off, s[24:27], 0 offset:324 ; 4-byte Folded Reload
	buffer_load_dword v55, off, s[24:27], 0 offset:328 ; 4-byte Folded Reload
	buffer_load_dword v56, off, s[24:27], 0 offset:332 ; 4-byte Folded Reload
	s_waitcnt lgkmcnt(0)
	v_mul_f64 v[93:94], v[91:92], v[99:100]
	v_fma_f64 v[93:94], v[89:90], v[125:126], -v[93:94]
	v_mul_f64 v[89:90], v[89:90], v[99:100]
	v_fma_f64 v[89:90], v[91:92], v[125:126], v[89:90]
	s_waitcnt vmcnt(2)
	v_add_f64 v[53:54], v[53:54], -v[93:94]
	s_waitcnt vmcnt(0)
	v_add_f64 v[55:56], v[55:56], -v[89:90]
	buffer_store_dword v53, off, s[24:27], 0 offset:320 ; 4-byte Folded Spill
	s_nop 0
	buffer_store_dword v54, off, s[24:27], 0 offset:324 ; 4-byte Folded Spill
	buffer_store_dword v55, off, s[24:27], 0 offset:328 ; 4-byte Folded Spill
	buffer_store_dword v56, off, s[24:27], 0 offset:332 ; 4-byte Folded Spill
	ds_read2_b64 v[89:92], v0 offset0:20 offset1:21
	buffer_load_dword v53, off, s[24:27], 0 offset:304 ; 4-byte Folded Reload
	buffer_load_dword v54, off, s[24:27], 0 offset:308 ; 4-byte Folded Reload
	buffer_load_dword v55, off, s[24:27], 0 offset:312 ; 4-byte Folded Reload
	buffer_load_dword v56, off, s[24:27], 0 offset:316 ; 4-byte Folded Reload
	;; [unrolled: 19-line block ×20, first 2 shown]
	s_waitcnt lgkmcnt(0)
	v_mul_f64 v[93:94], v[91:92], v[99:100]
	v_fma_f64 v[93:94], v[89:90], v[125:126], -v[93:94]
	v_mul_f64 v[89:90], v[89:90], v[99:100]
	v_fma_f64 v[89:90], v[91:92], v[125:126], v[89:90]
	s_waitcnt vmcnt(2)
	v_add_f64 v[53:54], v[53:54], -v[93:94]
	s_waitcnt vmcnt(0)
	v_add_f64 v[55:56], v[55:56], -v[89:90]
	buffer_store_dword v53, off, s[24:27], 0 offset:16 ; 4-byte Folded Spill
	s_nop 0
	buffer_store_dword v54, off, s[24:27], 0 offset:20 ; 4-byte Folded Spill
	buffer_store_dword v55, off, s[24:27], 0 offset:24 ; 4-byte Folded Spill
	;; [unrolled: 1-line block ×3, first 2 shown]
	ds_read2_b64 v[89:92], v0 offset0:58 offset1:59
	s_waitcnt lgkmcnt(0)
	v_mul_f64 v[93:94], v[91:92], v[99:100]
	v_fma_f64 v[93:94], v[89:90], v[125:126], -v[93:94]
	v_mul_f64 v[89:90], v[89:90], v[99:100]
	v_add_f64 v[81:82], v[81:82], -v[93:94]
	v_fma_f64 v[89:90], v[91:92], v[125:126], v[89:90]
	v_add_f64 v[83:84], v[83:84], -v[89:90]
	ds_read2_b64 v[89:92], v0 offset0:60 offset1:61
	s_waitcnt lgkmcnt(0)
	v_mul_f64 v[93:94], v[91:92], v[99:100]
	v_fma_f64 v[93:94], v[89:90], v[125:126], -v[93:94]
	v_mul_f64 v[89:90], v[89:90], v[99:100]
	v_add_f64 v[85:86], v[85:86], -v[93:94]
	v_fma_f64 v[89:90], v[91:92], v[125:126], v[89:90]
	v_add_f64 v[87:88], v[87:88], -v[89:90]
	;; [unrolled: 8-line block ×10, first 2 shown]
	ds_read2_b64 v[89:92], v0 offset0:78 offset1:79
	buffer_load_dword v53, off, s[24:27], 0 ; 4-byte Folded Reload
	buffer_load_dword v54, off, s[24:27], 0 offset:4 ; 4-byte Folded Reload
	buffer_load_dword v55, off, s[24:27], 0 offset:8 ; 4-byte Folded Reload
	;; [unrolled: 1-line block ×3, first 2 shown]
	s_waitcnt lgkmcnt(0)
	v_mul_f64 v[93:94], v[91:92], v[99:100]
	v_fma_f64 v[93:94], v[89:90], v[125:126], -v[93:94]
	v_mul_f64 v[89:90], v[89:90], v[99:100]
	v_fma_f64 v[89:90], v[91:92], v[125:126], v[89:90]
	s_waitcnt vmcnt(2)
	v_add_f64 v[53:54], v[53:54], -v[93:94]
	s_waitcnt vmcnt(0)
	v_add_f64 v[55:56], v[55:56], -v[89:90]
	buffer_store_dword v53, off, s[24:27], 0 ; 4-byte Folded Spill
	s_nop 0
	buffer_store_dword v54, off, s[24:27], 0 offset:4 ; 4-byte Folded Spill
	buffer_store_dword v55, off, s[24:27], 0 offset:8 ; 4-byte Folded Spill
	;; [unrolled: 1-line block ×3, first 2 shown]
	ds_read2_b64 v[89:92], v0 offset0:80 offset1:81
	s_waitcnt lgkmcnt(0)
	v_mul_f64 v[93:94], v[91:92], v[99:100]
	v_fma_f64 v[93:94], v[89:90], v[125:126], -v[93:94]
	v_mul_f64 v[89:90], v[89:90], v[99:100]
	v_add_f64 v[49:50], v[49:50], -v[93:94]
	v_fma_f64 v[89:90], v[91:92], v[125:126], v[89:90]
	v_add_f64 v[51:52], v[51:52], -v[89:90]
	ds_read2_b64 v[89:92], v0 offset0:82 offset1:83
	s_waitcnt lgkmcnt(0)
	v_mul_f64 v[93:94], v[91:92], v[99:100]
	v_fma_f64 v[93:94], v[89:90], v[125:126], -v[93:94]
	v_mul_f64 v[89:90], v[89:90], v[99:100]
	v_add_f64 v[45:46], v[45:46], -v[93:94]
	v_fma_f64 v[89:90], v[91:92], v[125:126], v[89:90]
	v_add_f64 v[47:48], v[47:48], -v[89:90]
	;; [unrolled: 8-line block ×12, first 2 shown]
	ds_read2_b64 v[89:92], v0 offset0:104 offset1:105
	s_waitcnt lgkmcnt(0)
	v_mul_f64 v[93:94], v[91:92], v[99:100]
	v_fma_f64 v[93:94], v[89:90], v[125:126], -v[93:94]
	v_mul_f64 v[89:90], v[89:90], v[99:100]
	v_add_f64 v[1:2], v[1:2], -v[93:94]
	v_fma_f64 v[89:90], v[91:92], v[125:126], v[89:90]
	ds_read2_b64 v[91:94], v0 offset0:106 offset1:107
	v_add_f64 v[3:4], v[3:4], -v[89:90]
	s_waitcnt lgkmcnt(0)
	v_mul_f64 v[89:90], v[93:94], v[99:100]
	v_fma_f64 v[89:90], v[91:92], v[125:126], -v[89:90]
	v_mul_f64 v[91:92], v[91:92], v[99:100]
	buffer_store_dword v97, off, s[24:27], 0 offset:356 ; 4-byte Folded Spill
	s_nop 0
	buffer_store_dword v98, off, s[24:27], 0 offset:360 ; 4-byte Folded Spill
	buffer_store_dword v99, off, s[24:27], 0 offset:364 ; 4-byte Folded Spill
	;; [unrolled: 1-line block ×3, first 2 shown]
	v_add_f64 v[121:122], v[121:122], -v[89:90]
	v_fma_f64 v[91:92], v[93:94], v[125:126], v[91:92]
	v_add_f64 v[123:124], v[123:124], -v[91:92]
.LBB106_167:
	s_or_b64 exec, exec, s[0:1]
	s_waitcnt vmcnt(0)
	s_barrier
	buffer_load_dword v53, off, s[24:27], 0 offset:336 ; 4-byte Folded Reload
	buffer_load_dword v54, off, s[24:27], 0 offset:340 ; 4-byte Folded Reload
	;; [unrolled: 1-line block ×4, first 2 shown]
	v_lshl_add_u32 v89, v96, 4, v0
	s_cmp_lt_i32 s3, 10
	s_waitcnt vmcnt(0)
	ds_write2_b64 v89, v[53:54], v[55:56] offset1:1
	s_waitcnt lgkmcnt(0)
	s_barrier
	ds_read2_b64 v[117:120], v0 offset0:16 offset1:17
	v_mov_b32_e32 v89, 8
	s_cbranch_scc1 .LBB106_170
; %bb.168:
	v_add_u32_e32 v90, 0x90, v0
	s_mov_b32 s0, 9
	v_mov_b32_e32 v89, 8
.LBB106_169:                            ; =>This Inner Loop Header: Depth=1
	s_waitcnt lgkmcnt(0)
	v_cmp_gt_f64_e32 vcc, 0, v[117:118]
	v_xor_b32_e32 v97, 0x80000000, v118
	ds_read2_b64 v[91:94], v90 offset1:1
	v_xor_b32_e32 v99, 0x80000000, v120
	v_add_u32_e32 v90, 16, v90
	s_waitcnt lgkmcnt(0)
	v_xor_b32_e32 v101, 0x80000000, v94
	v_cndmask_b32_e32 v98, v118, v97, vcc
	v_cmp_gt_f64_e32 vcc, 0, v[119:120]
	v_mov_b32_e32 v97, v117
	v_cndmask_b32_e32 v100, v120, v99, vcc
	v_cmp_gt_f64_e32 vcc, 0, v[91:92]
	v_mov_b32_e32 v99, v119
	v_add_f64 v[97:98], v[97:98], v[99:100]
	v_xor_b32_e32 v99, 0x80000000, v92
	v_cndmask_b32_e32 v100, v92, v99, vcc
	v_cmp_gt_f64_e32 vcc, 0, v[93:94]
	v_mov_b32_e32 v99, v91
	v_cndmask_b32_e32 v102, v94, v101, vcc
	v_mov_b32_e32 v101, v93
	v_add_f64 v[99:100], v[99:100], v[101:102]
	v_cmp_lt_f64_e32 vcc, v[97:98], v[99:100]
	v_cndmask_b32_e32 v117, v117, v91, vcc
	v_mov_b32_e32 v91, s0
	s_add_i32 s0, s0, 1
	v_cndmask_b32_e32 v118, v118, v92, vcc
	v_cndmask_b32_e32 v120, v120, v94, vcc
	;; [unrolled: 1-line block ×4, first 2 shown]
	s_cmp_lg_u32 s3, s0
	s_cbranch_scc1 .LBB106_169
.LBB106_170:
	s_waitcnt lgkmcnt(0)
	v_cmp_eq_f64_e32 vcc, 0, v[117:118]
	v_cmp_eq_f64_e64 s[0:1], 0, v[119:120]
	s_and_b64 s[0:1], vcc, s[0:1]
	s_and_saveexec_b64 s[18:19], s[0:1]
	s_xor_b64 s[0:1], exec, s[18:19]
; %bb.171:
	v_cmp_ne_u32_e32 vcc, 0, v95
	v_cndmask_b32_e32 v95, 9, v95, vcc
; %bb.172:
	s_andn2_saveexec_b64 s[0:1], s[0:1]
	s_cbranch_execz .LBB106_178
; %bb.173:
	v_cmp_ngt_f64_e64 s[18:19], |v[117:118]|, |v[119:120]|
	s_and_saveexec_b64 s[20:21], s[18:19]
	s_xor_b64 s[18:19], exec, s[20:21]
	s_cbranch_execz .LBB106_175
; %bb.174:
	v_div_scale_f64 v[90:91], s[20:21], v[119:120], v[119:120], v[117:118]
	v_rcp_f64_e32 v[92:93], v[90:91]
	v_fma_f64 v[97:98], -v[90:91], v[92:93], 1.0
	v_fma_f64 v[92:93], v[92:93], v[97:98], v[92:93]
	v_div_scale_f64 v[97:98], vcc, v[117:118], v[119:120], v[117:118]
	v_fma_f64 v[99:100], -v[90:91], v[92:93], 1.0
	v_fma_f64 v[92:93], v[92:93], v[99:100], v[92:93]
	v_mul_f64 v[99:100], v[97:98], v[92:93]
	v_fma_f64 v[90:91], -v[90:91], v[99:100], v[97:98]
	v_div_fmas_f64 v[90:91], v[90:91], v[92:93], v[99:100]
	v_div_fixup_f64 v[90:91], v[90:91], v[119:120], v[117:118]
	v_fma_f64 v[92:93], v[117:118], v[90:91], v[119:120]
	v_div_scale_f64 v[97:98], s[20:21], v[92:93], v[92:93], 1.0
	v_div_scale_f64 v[103:104], vcc, 1.0, v[92:93], 1.0
	v_rcp_f64_e32 v[99:100], v[97:98]
	v_fma_f64 v[101:102], -v[97:98], v[99:100], 1.0
	v_fma_f64 v[99:100], v[99:100], v[101:102], v[99:100]
	v_fma_f64 v[101:102], -v[97:98], v[99:100], 1.0
	v_fma_f64 v[99:100], v[99:100], v[101:102], v[99:100]
	v_mul_f64 v[101:102], v[103:104], v[99:100]
	v_fma_f64 v[97:98], -v[97:98], v[101:102], v[103:104]
	v_div_fmas_f64 v[97:98], v[97:98], v[99:100], v[101:102]
	v_div_fixup_f64 v[119:120], v[97:98], v[92:93], 1.0
	v_mul_f64 v[117:118], v[90:91], v[119:120]
	v_xor_b32_e32 v120, 0x80000000, v120
.LBB106_175:
	s_andn2_saveexec_b64 s[18:19], s[18:19]
	s_cbranch_execz .LBB106_177
; %bb.176:
	v_div_scale_f64 v[90:91], s[20:21], v[117:118], v[117:118], v[119:120]
	v_rcp_f64_e32 v[92:93], v[90:91]
	v_fma_f64 v[97:98], -v[90:91], v[92:93], 1.0
	v_fma_f64 v[92:93], v[92:93], v[97:98], v[92:93]
	v_div_scale_f64 v[97:98], vcc, v[119:120], v[117:118], v[119:120]
	v_fma_f64 v[99:100], -v[90:91], v[92:93], 1.0
	v_fma_f64 v[92:93], v[92:93], v[99:100], v[92:93]
	v_mul_f64 v[99:100], v[97:98], v[92:93]
	v_fma_f64 v[90:91], -v[90:91], v[99:100], v[97:98]
	v_div_fmas_f64 v[90:91], v[90:91], v[92:93], v[99:100]
	v_div_fixup_f64 v[90:91], v[90:91], v[117:118], v[119:120]
	v_fma_f64 v[92:93], v[119:120], v[90:91], v[117:118]
	v_div_scale_f64 v[97:98], s[20:21], v[92:93], v[92:93], 1.0
	v_div_scale_f64 v[103:104], vcc, 1.0, v[92:93], 1.0
	v_rcp_f64_e32 v[99:100], v[97:98]
	v_fma_f64 v[101:102], -v[97:98], v[99:100], 1.0
	v_fma_f64 v[99:100], v[99:100], v[101:102], v[99:100]
	v_fma_f64 v[101:102], -v[97:98], v[99:100], 1.0
	v_fma_f64 v[99:100], v[99:100], v[101:102], v[99:100]
	v_mul_f64 v[101:102], v[103:104], v[99:100]
	v_fma_f64 v[97:98], -v[97:98], v[101:102], v[103:104]
	v_div_fmas_f64 v[97:98], v[97:98], v[99:100], v[101:102]
	v_div_fixup_f64 v[117:118], v[97:98], v[92:93], 1.0
	v_mul_f64 v[119:120], v[90:91], -v[117:118]
.LBB106_177:
	s_or_b64 exec, exec, s[18:19]
.LBB106_178:
	s_or_b64 exec, exec, s[0:1]
	v_cmp_ne_u32_e32 vcc, v96, v89
	s_and_saveexec_b64 s[0:1], vcc
	s_xor_b64 s[0:1], exec, s[0:1]
	s_cbranch_execz .LBB106_184
; %bb.179:
	v_cmp_eq_u32_e32 vcc, 8, v96
	s_and_saveexec_b64 s[18:19], vcc
	s_cbranch_execz .LBB106_183
; %bb.180:
	v_cmp_ne_u32_e32 vcc, 8, v89
	s_xor_b64 s[20:21], s[6:7], -1
	s_and_b64 s[22:23], s[20:21], vcc
	s_and_saveexec_b64 s[20:21], s[22:23]
	s_cbranch_execz .LBB106_182
; %bb.181:
	v_mov_b32_e32 v53, v81
	v_mov_b32_e32 v54, v82
	;; [unrolled: 1-line block ×4, first 2 shown]
	buffer_load_dword v81, off, s[24:27], 0 offset:436 ; 4-byte Folded Reload
	buffer_load_dword v82, off, s[24:27], 0 offset:440 ; 4-byte Folded Reload
	v_ashrrev_i32_e32 v90, 31, v89
	v_lshlrev_b64 v[90:91], 2, v[89:90]
	s_waitcnt vmcnt(1)
	v_add_co_u32_e32 v90, vcc, v81, v90
	s_waitcnt vmcnt(0)
	v_addc_co_u32_e32 v91, vcc, v82, v91, vcc
	global_load_dword v92, v[90:91], off
	global_load_dword v93, v[81:82], off offset:32
	s_waitcnt vmcnt(1)
	global_store_dword v[81:82], v92, off offset:32
	v_mov_b32_e32 v84, v56
	v_mov_b32_e32 v83, v55
	;; [unrolled: 1-line block ×4, first 2 shown]
	s_waitcnt vmcnt(1)
	global_store_dword v[90:91], v93, off
.LBB106_182:
	s_or_b64 exec, exec, s[20:21]
	v_mov_b32_e32 v96, v89
	v_mov_b32_e32 v53, v89
	buffer_store_dword v53, off, s[24:27], 0 offset:352 ; 4-byte Folded Spill
.LBB106_183:
	s_or_b64 exec, exec, s[18:19]
.LBB106_184:
	s_andn2_saveexec_b64 s[0:1], s[0:1]
	s_cbranch_execz .LBB106_186
; %bb.185:
	buffer_load_dword v53, off, s[24:27], 0 offset:320 ; 4-byte Folded Reload
	buffer_load_dword v54, off, s[24:27], 0 offset:324 ; 4-byte Folded Reload
	;; [unrolled: 1-line block ×4, first 2 shown]
	v_mov_b32_e32 v96, 8
	s_waitcnt vmcnt(0)
	ds_write2_b64 v0, v[53:54], v[55:56] offset0:18 offset1:19
	buffer_load_dword v53, off, s[24:27], 0 offset:304 ; 4-byte Folded Reload
	buffer_load_dword v54, off, s[24:27], 0 offset:308 ; 4-byte Folded Reload
	buffer_load_dword v55, off, s[24:27], 0 offset:312 ; 4-byte Folded Reload
	buffer_load_dword v56, off, s[24:27], 0 offset:316 ; 4-byte Folded Reload
	s_waitcnt vmcnt(0)
	ds_write2_b64 v0, v[53:54], v[55:56] offset0:20 offset1:21
	buffer_load_dword v53, off, s[24:27], 0 offset:288 ; 4-byte Folded Reload
	buffer_load_dword v54, off, s[24:27], 0 offset:292 ; 4-byte Folded Reload
	buffer_load_dword v55, off, s[24:27], 0 offset:296 ; 4-byte Folded Reload
	buffer_load_dword v56, off, s[24:27], 0 offset:300 ; 4-byte Folded Reload
	;; [unrolled: 6-line block ×19, first 2 shown]
	s_waitcnt vmcnt(0)
	ds_write2_b64 v0, v[53:54], v[55:56] offset0:56 offset1:57
	ds_write2_b64 v0, v[81:82], v[83:84] offset0:58 offset1:59
	ds_write2_b64 v0, v[85:86], v[87:88] offset0:60 offset1:61
	ds_write2_b64 v0, v[109:110], v[111:112] offset0:62 offset1:63
	ds_write2_b64 v0, v[113:114], v[115:116] offset0:64 offset1:65
	ds_write2_b64 v0, v[77:78], v[79:80] offset0:66 offset1:67
	ds_write2_b64 v0, v[73:74], v[75:76] offset0:68 offset1:69
	ds_write2_b64 v0, v[69:70], v[71:72] offset0:70 offset1:71
	ds_write2_b64 v0, v[65:66], v[67:68] offset0:72 offset1:73
	ds_write2_b64 v0, v[61:62], v[63:64] offset0:74 offset1:75
	ds_write2_b64 v0, v[57:58], v[59:60] offset0:76 offset1:77
	buffer_load_dword v53, off, s[24:27], 0 ; 4-byte Folded Reload
	buffer_load_dword v54, off, s[24:27], 0 offset:4 ; 4-byte Folded Reload
	buffer_load_dword v55, off, s[24:27], 0 offset:8 ; 4-byte Folded Reload
	;; [unrolled: 1-line block ×3, first 2 shown]
	s_waitcnt vmcnt(0)
	ds_write2_b64 v0, v[53:54], v[55:56] offset0:78 offset1:79
	ds_write2_b64 v0, v[49:50], v[51:52] offset0:80 offset1:81
	;; [unrolled: 1-line block ×15, first 2 shown]
.LBB106_186:
	s_or_b64 exec, exec, s[0:1]
	v_cmp_lt_i32_e32 vcc, 8, v96
	s_waitcnt vmcnt(0) lgkmcnt(0)
	s_barrier
	s_and_saveexec_b64 s[0:1], vcc
	s_cbranch_execz .LBB106_188
; %bb.187:
	buffer_load_dword v97, off, s[24:27], 0 offset:336 ; 4-byte Folded Reload
	buffer_load_dword v98, off, s[24:27], 0 offset:340 ; 4-byte Folded Reload
	buffer_load_dword v99, off, s[24:27], 0 offset:344 ; 4-byte Folded Reload
	buffer_load_dword v100, off, s[24:27], 0 offset:348 ; 4-byte Folded Reload
	s_waitcnt vmcnt(0)
	v_mul_f64 v[89:90], v[119:120], v[99:100]
	v_fma_f64 v[125:126], v[117:118], v[97:98], -v[89:90]
	v_mul_f64 v[89:90], v[117:118], v[99:100]
	v_fma_f64 v[99:100], v[119:120], v[97:98], v[89:90]
	ds_read2_b64 v[89:92], v0 offset0:18 offset1:19
	buffer_load_dword v53, off, s[24:27], 0 offset:320 ; 4-byte Folded Reload
	buffer_load_dword v54, off, s[24:27], 0 offset:324 ; 4-byte Folded Reload
	;; [unrolled: 1-line block ×4, first 2 shown]
	v_mov_b32_e32 v97, v125
	v_mov_b32_e32 v98, v126
	s_waitcnt lgkmcnt(0)
	v_mul_f64 v[93:94], v[91:92], v[99:100]
	v_fma_f64 v[93:94], v[89:90], v[125:126], -v[93:94]
	v_mul_f64 v[89:90], v[89:90], v[99:100]
	v_fma_f64 v[89:90], v[91:92], v[125:126], v[89:90]
	s_waitcnt vmcnt(2)
	v_add_f64 v[53:54], v[53:54], -v[93:94]
	s_waitcnt vmcnt(0)
	v_add_f64 v[55:56], v[55:56], -v[89:90]
	buffer_store_dword v53, off, s[24:27], 0 offset:320 ; 4-byte Folded Spill
	s_nop 0
	buffer_store_dword v54, off, s[24:27], 0 offset:324 ; 4-byte Folded Spill
	buffer_store_dword v55, off, s[24:27], 0 offset:328 ; 4-byte Folded Spill
	buffer_store_dword v56, off, s[24:27], 0 offset:332 ; 4-byte Folded Spill
	ds_read2_b64 v[89:92], v0 offset0:20 offset1:21
	buffer_load_dword v53, off, s[24:27], 0 offset:304 ; 4-byte Folded Reload
	buffer_load_dword v54, off, s[24:27], 0 offset:308 ; 4-byte Folded Reload
	buffer_load_dword v55, off, s[24:27], 0 offset:312 ; 4-byte Folded Reload
	buffer_load_dword v56, off, s[24:27], 0 offset:316 ; 4-byte Folded Reload
	s_waitcnt lgkmcnt(0)
	v_mul_f64 v[93:94], v[91:92], v[99:100]
	v_fma_f64 v[93:94], v[89:90], v[125:126], -v[93:94]
	v_mul_f64 v[89:90], v[89:90], v[99:100]
	v_fma_f64 v[89:90], v[91:92], v[125:126], v[89:90]
	s_waitcnt vmcnt(2)
	v_add_f64 v[53:54], v[53:54], -v[93:94]
	s_waitcnt vmcnt(0)
	v_add_f64 v[55:56], v[55:56], -v[89:90]
	buffer_store_dword v53, off, s[24:27], 0 offset:304 ; 4-byte Folded Spill
	s_nop 0
	buffer_store_dword v54, off, s[24:27], 0 offset:308 ; 4-byte Folded Spill
	buffer_store_dword v55, off, s[24:27], 0 offset:312 ; 4-byte Folded Spill
	buffer_store_dword v56, off, s[24:27], 0 offset:316 ; 4-byte Folded Spill
	ds_read2_b64 v[89:92], v0 offset0:22 offset1:23
	buffer_load_dword v53, off, s[24:27], 0 offset:288 ; 4-byte Folded Reload
	buffer_load_dword v54, off, s[24:27], 0 offset:292 ; 4-byte Folded Reload
	buffer_load_dword v55, off, s[24:27], 0 offset:296 ; 4-byte Folded Reload
	buffer_load_dword v56, off, s[24:27], 0 offset:300 ; 4-byte Folded Reload
	s_waitcnt lgkmcnt(0)
	v_mul_f64 v[93:94], v[91:92], v[99:100]
	v_fma_f64 v[93:94], v[89:90], v[125:126], -v[93:94]
	v_mul_f64 v[89:90], v[89:90], v[99:100]
	v_fma_f64 v[89:90], v[91:92], v[125:126], v[89:90]
	s_waitcnt vmcnt(2)
	v_add_f64 v[53:54], v[53:54], -v[93:94]
	s_waitcnt vmcnt(0)
	v_add_f64 v[55:56], v[55:56], -v[89:90]
	buffer_store_dword v53, off, s[24:27], 0 offset:288 ; 4-byte Folded Spill
	s_nop 0
	buffer_store_dword v54, off, s[24:27], 0 offset:292 ; 4-byte Folded Spill
	buffer_store_dword v55, off, s[24:27], 0 offset:296 ; 4-byte Folded Spill
	buffer_store_dword v56, off, s[24:27], 0 offset:300 ; 4-byte Folded Spill
	ds_read2_b64 v[89:92], v0 offset0:24 offset1:25
	buffer_load_dword v53, off, s[24:27], 0 offset:272 ; 4-byte Folded Reload
	buffer_load_dword v54, off, s[24:27], 0 offset:276 ; 4-byte Folded Reload
	buffer_load_dword v55, off, s[24:27], 0 offset:280 ; 4-byte Folded Reload
	buffer_load_dword v56, off, s[24:27], 0 offset:284 ; 4-byte Folded Reload
	s_waitcnt lgkmcnt(0)
	v_mul_f64 v[93:94], v[91:92], v[99:100]
	v_fma_f64 v[93:94], v[89:90], v[125:126], -v[93:94]
	v_mul_f64 v[89:90], v[89:90], v[99:100]
	v_fma_f64 v[89:90], v[91:92], v[125:126], v[89:90]
	s_waitcnt vmcnt(2)
	v_add_f64 v[53:54], v[53:54], -v[93:94]
	s_waitcnt vmcnt(0)
	v_add_f64 v[55:56], v[55:56], -v[89:90]
	buffer_store_dword v53, off, s[24:27], 0 offset:272 ; 4-byte Folded Spill
	s_nop 0
	buffer_store_dword v54, off, s[24:27], 0 offset:276 ; 4-byte Folded Spill
	buffer_store_dword v55, off, s[24:27], 0 offset:280 ; 4-byte Folded Spill
	buffer_store_dword v56, off, s[24:27], 0 offset:284 ; 4-byte Folded Spill
	ds_read2_b64 v[89:92], v0 offset0:26 offset1:27
	buffer_load_dword v53, off, s[24:27], 0 offset:256 ; 4-byte Folded Reload
	buffer_load_dword v54, off, s[24:27], 0 offset:260 ; 4-byte Folded Reload
	buffer_load_dword v55, off, s[24:27], 0 offset:264 ; 4-byte Folded Reload
	buffer_load_dword v56, off, s[24:27], 0 offset:268 ; 4-byte Folded Reload
	s_waitcnt lgkmcnt(0)
	v_mul_f64 v[93:94], v[91:92], v[99:100]
	v_fma_f64 v[93:94], v[89:90], v[125:126], -v[93:94]
	v_mul_f64 v[89:90], v[89:90], v[99:100]
	v_fma_f64 v[89:90], v[91:92], v[125:126], v[89:90]
	s_waitcnt vmcnt(2)
	v_add_f64 v[53:54], v[53:54], -v[93:94]
	s_waitcnt vmcnt(0)
	v_add_f64 v[55:56], v[55:56], -v[89:90]
	buffer_store_dword v53, off, s[24:27], 0 offset:256 ; 4-byte Folded Spill
	s_nop 0
	buffer_store_dword v54, off, s[24:27], 0 offset:260 ; 4-byte Folded Spill
	buffer_store_dword v55, off, s[24:27], 0 offset:264 ; 4-byte Folded Spill
	buffer_store_dword v56, off, s[24:27], 0 offset:268 ; 4-byte Folded Spill
	ds_read2_b64 v[89:92], v0 offset0:28 offset1:29
	buffer_load_dword v53, off, s[24:27], 0 offset:240 ; 4-byte Folded Reload
	buffer_load_dword v54, off, s[24:27], 0 offset:244 ; 4-byte Folded Reload
	buffer_load_dword v55, off, s[24:27], 0 offset:248 ; 4-byte Folded Reload
	buffer_load_dword v56, off, s[24:27], 0 offset:252 ; 4-byte Folded Reload
	s_waitcnt lgkmcnt(0)
	v_mul_f64 v[93:94], v[91:92], v[99:100]
	v_fma_f64 v[93:94], v[89:90], v[125:126], -v[93:94]
	v_mul_f64 v[89:90], v[89:90], v[99:100]
	v_fma_f64 v[89:90], v[91:92], v[125:126], v[89:90]
	s_waitcnt vmcnt(2)
	v_add_f64 v[53:54], v[53:54], -v[93:94]
	s_waitcnt vmcnt(0)
	v_add_f64 v[55:56], v[55:56], -v[89:90]
	buffer_store_dword v53, off, s[24:27], 0 offset:240 ; 4-byte Folded Spill
	s_nop 0
	buffer_store_dword v54, off, s[24:27], 0 offset:244 ; 4-byte Folded Spill
	buffer_store_dword v55, off, s[24:27], 0 offset:248 ; 4-byte Folded Spill
	buffer_store_dword v56, off, s[24:27], 0 offset:252 ; 4-byte Folded Spill
	ds_read2_b64 v[89:92], v0 offset0:30 offset1:31
	buffer_load_dword v53, off, s[24:27], 0 offset:224 ; 4-byte Folded Reload
	buffer_load_dword v54, off, s[24:27], 0 offset:228 ; 4-byte Folded Reload
	buffer_load_dword v55, off, s[24:27], 0 offset:232 ; 4-byte Folded Reload
	buffer_load_dword v56, off, s[24:27], 0 offset:236 ; 4-byte Folded Reload
	s_waitcnt lgkmcnt(0)
	v_mul_f64 v[93:94], v[91:92], v[99:100]
	v_fma_f64 v[93:94], v[89:90], v[125:126], -v[93:94]
	v_mul_f64 v[89:90], v[89:90], v[99:100]
	v_fma_f64 v[89:90], v[91:92], v[125:126], v[89:90]
	s_waitcnt vmcnt(2)
	v_add_f64 v[53:54], v[53:54], -v[93:94]
	s_waitcnt vmcnt(0)
	v_add_f64 v[55:56], v[55:56], -v[89:90]
	buffer_store_dword v53, off, s[24:27], 0 offset:224 ; 4-byte Folded Spill
	s_nop 0
	buffer_store_dword v54, off, s[24:27], 0 offset:228 ; 4-byte Folded Spill
	buffer_store_dword v55, off, s[24:27], 0 offset:232 ; 4-byte Folded Spill
	buffer_store_dword v56, off, s[24:27], 0 offset:236 ; 4-byte Folded Spill
	ds_read2_b64 v[89:92], v0 offset0:32 offset1:33
	buffer_load_dword v53, off, s[24:27], 0 offset:208 ; 4-byte Folded Reload
	buffer_load_dword v54, off, s[24:27], 0 offset:212 ; 4-byte Folded Reload
	buffer_load_dword v55, off, s[24:27], 0 offset:216 ; 4-byte Folded Reload
	buffer_load_dword v56, off, s[24:27], 0 offset:220 ; 4-byte Folded Reload
	s_waitcnt lgkmcnt(0)
	v_mul_f64 v[93:94], v[91:92], v[99:100]
	v_fma_f64 v[93:94], v[89:90], v[125:126], -v[93:94]
	v_mul_f64 v[89:90], v[89:90], v[99:100]
	v_fma_f64 v[89:90], v[91:92], v[125:126], v[89:90]
	s_waitcnt vmcnt(2)
	v_add_f64 v[53:54], v[53:54], -v[93:94]
	s_waitcnt vmcnt(0)
	v_add_f64 v[55:56], v[55:56], -v[89:90]
	buffer_store_dword v53, off, s[24:27], 0 offset:208 ; 4-byte Folded Spill
	s_nop 0
	buffer_store_dword v54, off, s[24:27], 0 offset:212 ; 4-byte Folded Spill
	buffer_store_dword v55, off, s[24:27], 0 offset:216 ; 4-byte Folded Spill
	buffer_store_dword v56, off, s[24:27], 0 offset:220 ; 4-byte Folded Spill
	ds_read2_b64 v[89:92], v0 offset0:34 offset1:35
	buffer_load_dword v53, off, s[24:27], 0 offset:192 ; 4-byte Folded Reload
	buffer_load_dword v54, off, s[24:27], 0 offset:196 ; 4-byte Folded Reload
	buffer_load_dword v55, off, s[24:27], 0 offset:200 ; 4-byte Folded Reload
	buffer_load_dword v56, off, s[24:27], 0 offset:204 ; 4-byte Folded Reload
	s_waitcnt lgkmcnt(0)
	v_mul_f64 v[93:94], v[91:92], v[99:100]
	v_fma_f64 v[93:94], v[89:90], v[125:126], -v[93:94]
	v_mul_f64 v[89:90], v[89:90], v[99:100]
	v_fma_f64 v[89:90], v[91:92], v[125:126], v[89:90]
	s_waitcnt vmcnt(2)
	v_add_f64 v[53:54], v[53:54], -v[93:94]
	s_waitcnt vmcnt(0)
	v_add_f64 v[55:56], v[55:56], -v[89:90]
	buffer_store_dword v53, off, s[24:27], 0 offset:192 ; 4-byte Folded Spill
	s_nop 0
	buffer_store_dword v54, off, s[24:27], 0 offset:196 ; 4-byte Folded Spill
	buffer_store_dword v55, off, s[24:27], 0 offset:200 ; 4-byte Folded Spill
	buffer_store_dword v56, off, s[24:27], 0 offset:204 ; 4-byte Folded Spill
	ds_read2_b64 v[89:92], v0 offset0:36 offset1:37
	buffer_load_dword v53, off, s[24:27], 0 offset:176 ; 4-byte Folded Reload
	buffer_load_dword v54, off, s[24:27], 0 offset:180 ; 4-byte Folded Reload
	buffer_load_dword v55, off, s[24:27], 0 offset:184 ; 4-byte Folded Reload
	buffer_load_dword v56, off, s[24:27], 0 offset:188 ; 4-byte Folded Reload
	s_waitcnt lgkmcnt(0)
	v_mul_f64 v[93:94], v[91:92], v[99:100]
	v_fma_f64 v[93:94], v[89:90], v[125:126], -v[93:94]
	v_mul_f64 v[89:90], v[89:90], v[99:100]
	v_fma_f64 v[89:90], v[91:92], v[125:126], v[89:90]
	s_waitcnt vmcnt(2)
	v_add_f64 v[53:54], v[53:54], -v[93:94]
	s_waitcnt vmcnt(0)
	v_add_f64 v[55:56], v[55:56], -v[89:90]
	buffer_store_dword v53, off, s[24:27], 0 offset:176 ; 4-byte Folded Spill
	s_nop 0
	buffer_store_dword v54, off, s[24:27], 0 offset:180 ; 4-byte Folded Spill
	buffer_store_dword v55, off, s[24:27], 0 offset:184 ; 4-byte Folded Spill
	buffer_store_dword v56, off, s[24:27], 0 offset:188 ; 4-byte Folded Spill
	ds_read2_b64 v[89:92], v0 offset0:38 offset1:39
	buffer_load_dword v53, off, s[24:27], 0 offset:160 ; 4-byte Folded Reload
	buffer_load_dword v54, off, s[24:27], 0 offset:164 ; 4-byte Folded Reload
	buffer_load_dword v55, off, s[24:27], 0 offset:168 ; 4-byte Folded Reload
	buffer_load_dword v56, off, s[24:27], 0 offset:172 ; 4-byte Folded Reload
	s_waitcnt lgkmcnt(0)
	v_mul_f64 v[93:94], v[91:92], v[99:100]
	v_fma_f64 v[93:94], v[89:90], v[125:126], -v[93:94]
	v_mul_f64 v[89:90], v[89:90], v[99:100]
	v_fma_f64 v[89:90], v[91:92], v[125:126], v[89:90]
	s_waitcnt vmcnt(2)
	v_add_f64 v[53:54], v[53:54], -v[93:94]
	s_waitcnt vmcnt(0)
	v_add_f64 v[55:56], v[55:56], -v[89:90]
	buffer_store_dword v53, off, s[24:27], 0 offset:160 ; 4-byte Folded Spill
	s_nop 0
	buffer_store_dword v54, off, s[24:27], 0 offset:164 ; 4-byte Folded Spill
	buffer_store_dword v55, off, s[24:27], 0 offset:168 ; 4-byte Folded Spill
	buffer_store_dword v56, off, s[24:27], 0 offset:172 ; 4-byte Folded Spill
	ds_read2_b64 v[89:92], v0 offset0:40 offset1:41
	buffer_load_dword v53, off, s[24:27], 0 offset:144 ; 4-byte Folded Reload
	buffer_load_dword v54, off, s[24:27], 0 offset:148 ; 4-byte Folded Reload
	buffer_load_dword v55, off, s[24:27], 0 offset:152 ; 4-byte Folded Reload
	buffer_load_dword v56, off, s[24:27], 0 offset:156 ; 4-byte Folded Reload
	s_waitcnt lgkmcnt(0)
	v_mul_f64 v[93:94], v[91:92], v[99:100]
	v_fma_f64 v[93:94], v[89:90], v[125:126], -v[93:94]
	v_mul_f64 v[89:90], v[89:90], v[99:100]
	v_fma_f64 v[89:90], v[91:92], v[125:126], v[89:90]
	s_waitcnt vmcnt(2)
	v_add_f64 v[53:54], v[53:54], -v[93:94]
	s_waitcnt vmcnt(0)
	v_add_f64 v[55:56], v[55:56], -v[89:90]
	buffer_store_dword v53, off, s[24:27], 0 offset:144 ; 4-byte Folded Spill
	s_nop 0
	buffer_store_dword v54, off, s[24:27], 0 offset:148 ; 4-byte Folded Spill
	buffer_store_dword v55, off, s[24:27], 0 offset:152 ; 4-byte Folded Spill
	buffer_store_dword v56, off, s[24:27], 0 offset:156 ; 4-byte Folded Spill
	ds_read2_b64 v[89:92], v0 offset0:42 offset1:43
	buffer_load_dword v53, off, s[24:27], 0 offset:128 ; 4-byte Folded Reload
	buffer_load_dword v54, off, s[24:27], 0 offset:132 ; 4-byte Folded Reload
	buffer_load_dword v55, off, s[24:27], 0 offset:136 ; 4-byte Folded Reload
	buffer_load_dword v56, off, s[24:27], 0 offset:140 ; 4-byte Folded Reload
	s_waitcnt lgkmcnt(0)
	v_mul_f64 v[93:94], v[91:92], v[99:100]
	v_fma_f64 v[93:94], v[89:90], v[125:126], -v[93:94]
	v_mul_f64 v[89:90], v[89:90], v[99:100]
	v_fma_f64 v[89:90], v[91:92], v[125:126], v[89:90]
	s_waitcnt vmcnt(2)
	v_add_f64 v[53:54], v[53:54], -v[93:94]
	s_waitcnt vmcnt(0)
	v_add_f64 v[55:56], v[55:56], -v[89:90]
	buffer_store_dword v53, off, s[24:27], 0 offset:128 ; 4-byte Folded Spill
	s_nop 0
	buffer_store_dword v54, off, s[24:27], 0 offset:132 ; 4-byte Folded Spill
	buffer_store_dword v55, off, s[24:27], 0 offset:136 ; 4-byte Folded Spill
	buffer_store_dword v56, off, s[24:27], 0 offset:140 ; 4-byte Folded Spill
	ds_read2_b64 v[89:92], v0 offset0:44 offset1:45
	buffer_load_dword v53, off, s[24:27], 0 offset:112 ; 4-byte Folded Reload
	buffer_load_dword v54, off, s[24:27], 0 offset:116 ; 4-byte Folded Reload
	buffer_load_dword v55, off, s[24:27], 0 offset:120 ; 4-byte Folded Reload
	buffer_load_dword v56, off, s[24:27], 0 offset:124 ; 4-byte Folded Reload
	s_waitcnt lgkmcnt(0)
	v_mul_f64 v[93:94], v[91:92], v[99:100]
	v_fma_f64 v[93:94], v[89:90], v[125:126], -v[93:94]
	v_mul_f64 v[89:90], v[89:90], v[99:100]
	v_fma_f64 v[89:90], v[91:92], v[125:126], v[89:90]
	s_waitcnt vmcnt(2)
	v_add_f64 v[53:54], v[53:54], -v[93:94]
	s_waitcnt vmcnt(0)
	v_add_f64 v[55:56], v[55:56], -v[89:90]
	buffer_store_dword v53, off, s[24:27], 0 offset:112 ; 4-byte Folded Spill
	s_nop 0
	buffer_store_dword v54, off, s[24:27], 0 offset:116 ; 4-byte Folded Spill
	buffer_store_dword v55, off, s[24:27], 0 offset:120 ; 4-byte Folded Spill
	buffer_store_dword v56, off, s[24:27], 0 offset:124 ; 4-byte Folded Spill
	ds_read2_b64 v[89:92], v0 offset0:46 offset1:47
	buffer_load_dword v53, off, s[24:27], 0 offset:96 ; 4-byte Folded Reload
	buffer_load_dword v54, off, s[24:27], 0 offset:100 ; 4-byte Folded Reload
	buffer_load_dword v55, off, s[24:27], 0 offset:104 ; 4-byte Folded Reload
	buffer_load_dword v56, off, s[24:27], 0 offset:108 ; 4-byte Folded Reload
	s_waitcnt lgkmcnt(0)
	v_mul_f64 v[93:94], v[91:92], v[99:100]
	v_fma_f64 v[93:94], v[89:90], v[125:126], -v[93:94]
	v_mul_f64 v[89:90], v[89:90], v[99:100]
	v_fma_f64 v[89:90], v[91:92], v[125:126], v[89:90]
	s_waitcnt vmcnt(2)
	v_add_f64 v[53:54], v[53:54], -v[93:94]
	s_waitcnt vmcnt(0)
	v_add_f64 v[55:56], v[55:56], -v[89:90]
	buffer_store_dword v53, off, s[24:27], 0 offset:96 ; 4-byte Folded Spill
	s_nop 0
	buffer_store_dword v54, off, s[24:27], 0 offset:100 ; 4-byte Folded Spill
	buffer_store_dword v55, off, s[24:27], 0 offset:104 ; 4-byte Folded Spill
	buffer_store_dword v56, off, s[24:27], 0 offset:108 ; 4-byte Folded Spill
	ds_read2_b64 v[89:92], v0 offset0:48 offset1:49
	buffer_load_dword v53, off, s[24:27], 0 offset:80 ; 4-byte Folded Reload
	buffer_load_dword v54, off, s[24:27], 0 offset:84 ; 4-byte Folded Reload
	buffer_load_dword v55, off, s[24:27], 0 offset:88 ; 4-byte Folded Reload
	buffer_load_dword v56, off, s[24:27], 0 offset:92 ; 4-byte Folded Reload
	s_waitcnt lgkmcnt(0)
	v_mul_f64 v[93:94], v[91:92], v[99:100]
	v_fma_f64 v[93:94], v[89:90], v[125:126], -v[93:94]
	v_mul_f64 v[89:90], v[89:90], v[99:100]
	v_fma_f64 v[89:90], v[91:92], v[125:126], v[89:90]
	s_waitcnt vmcnt(2)
	v_add_f64 v[53:54], v[53:54], -v[93:94]
	s_waitcnt vmcnt(0)
	v_add_f64 v[55:56], v[55:56], -v[89:90]
	buffer_store_dword v53, off, s[24:27], 0 offset:80 ; 4-byte Folded Spill
	s_nop 0
	buffer_store_dword v54, off, s[24:27], 0 offset:84 ; 4-byte Folded Spill
	buffer_store_dword v55, off, s[24:27], 0 offset:88 ; 4-byte Folded Spill
	buffer_store_dword v56, off, s[24:27], 0 offset:92 ; 4-byte Folded Spill
	ds_read2_b64 v[89:92], v0 offset0:50 offset1:51
	buffer_load_dword v53, off, s[24:27], 0 offset:64 ; 4-byte Folded Reload
	buffer_load_dword v54, off, s[24:27], 0 offset:68 ; 4-byte Folded Reload
	buffer_load_dword v55, off, s[24:27], 0 offset:72 ; 4-byte Folded Reload
	buffer_load_dword v56, off, s[24:27], 0 offset:76 ; 4-byte Folded Reload
	s_waitcnt lgkmcnt(0)
	v_mul_f64 v[93:94], v[91:92], v[99:100]
	v_fma_f64 v[93:94], v[89:90], v[125:126], -v[93:94]
	v_mul_f64 v[89:90], v[89:90], v[99:100]
	v_fma_f64 v[89:90], v[91:92], v[125:126], v[89:90]
	s_waitcnt vmcnt(2)
	v_add_f64 v[53:54], v[53:54], -v[93:94]
	s_waitcnt vmcnt(0)
	v_add_f64 v[55:56], v[55:56], -v[89:90]
	buffer_store_dword v53, off, s[24:27], 0 offset:64 ; 4-byte Folded Spill
	s_nop 0
	buffer_store_dword v54, off, s[24:27], 0 offset:68 ; 4-byte Folded Spill
	buffer_store_dword v55, off, s[24:27], 0 offset:72 ; 4-byte Folded Spill
	buffer_store_dword v56, off, s[24:27], 0 offset:76 ; 4-byte Folded Spill
	ds_read2_b64 v[89:92], v0 offset0:52 offset1:53
	buffer_load_dword v53, off, s[24:27], 0 offset:48 ; 4-byte Folded Reload
	buffer_load_dword v54, off, s[24:27], 0 offset:52 ; 4-byte Folded Reload
	buffer_load_dword v55, off, s[24:27], 0 offset:56 ; 4-byte Folded Reload
	buffer_load_dword v56, off, s[24:27], 0 offset:60 ; 4-byte Folded Reload
	s_waitcnt lgkmcnt(0)
	v_mul_f64 v[93:94], v[91:92], v[99:100]
	v_fma_f64 v[93:94], v[89:90], v[125:126], -v[93:94]
	v_mul_f64 v[89:90], v[89:90], v[99:100]
	v_fma_f64 v[89:90], v[91:92], v[125:126], v[89:90]
	s_waitcnt vmcnt(2)
	v_add_f64 v[53:54], v[53:54], -v[93:94]
	s_waitcnt vmcnt(0)
	v_add_f64 v[55:56], v[55:56], -v[89:90]
	buffer_store_dword v53, off, s[24:27], 0 offset:48 ; 4-byte Folded Spill
	s_nop 0
	buffer_store_dword v54, off, s[24:27], 0 offset:52 ; 4-byte Folded Spill
	buffer_store_dword v55, off, s[24:27], 0 offset:56 ; 4-byte Folded Spill
	buffer_store_dword v56, off, s[24:27], 0 offset:60 ; 4-byte Folded Spill
	ds_read2_b64 v[89:92], v0 offset0:54 offset1:55
	buffer_load_dword v53, off, s[24:27], 0 offset:32 ; 4-byte Folded Reload
	buffer_load_dword v54, off, s[24:27], 0 offset:36 ; 4-byte Folded Reload
	buffer_load_dword v55, off, s[24:27], 0 offset:40 ; 4-byte Folded Reload
	buffer_load_dword v56, off, s[24:27], 0 offset:44 ; 4-byte Folded Reload
	s_waitcnt lgkmcnt(0)
	v_mul_f64 v[93:94], v[91:92], v[99:100]
	v_fma_f64 v[93:94], v[89:90], v[125:126], -v[93:94]
	v_mul_f64 v[89:90], v[89:90], v[99:100]
	v_fma_f64 v[89:90], v[91:92], v[125:126], v[89:90]
	s_waitcnt vmcnt(2)
	v_add_f64 v[53:54], v[53:54], -v[93:94]
	s_waitcnt vmcnt(0)
	v_add_f64 v[55:56], v[55:56], -v[89:90]
	buffer_store_dword v53, off, s[24:27], 0 offset:32 ; 4-byte Folded Spill
	s_nop 0
	buffer_store_dword v54, off, s[24:27], 0 offset:36 ; 4-byte Folded Spill
	buffer_store_dword v55, off, s[24:27], 0 offset:40 ; 4-byte Folded Spill
	buffer_store_dword v56, off, s[24:27], 0 offset:44 ; 4-byte Folded Spill
	ds_read2_b64 v[89:92], v0 offset0:56 offset1:57
	buffer_load_dword v53, off, s[24:27], 0 offset:16 ; 4-byte Folded Reload
	buffer_load_dword v54, off, s[24:27], 0 offset:20 ; 4-byte Folded Reload
	buffer_load_dword v55, off, s[24:27], 0 offset:24 ; 4-byte Folded Reload
	buffer_load_dword v56, off, s[24:27], 0 offset:28 ; 4-byte Folded Reload
	s_waitcnt lgkmcnt(0)
	v_mul_f64 v[93:94], v[91:92], v[99:100]
	v_fma_f64 v[93:94], v[89:90], v[125:126], -v[93:94]
	v_mul_f64 v[89:90], v[89:90], v[99:100]
	v_fma_f64 v[89:90], v[91:92], v[125:126], v[89:90]
	s_waitcnt vmcnt(2)
	v_add_f64 v[53:54], v[53:54], -v[93:94]
	s_waitcnt vmcnt(0)
	v_add_f64 v[55:56], v[55:56], -v[89:90]
	buffer_store_dword v53, off, s[24:27], 0 offset:16 ; 4-byte Folded Spill
	s_nop 0
	buffer_store_dword v54, off, s[24:27], 0 offset:20 ; 4-byte Folded Spill
	buffer_store_dword v55, off, s[24:27], 0 offset:24 ; 4-byte Folded Spill
	;; [unrolled: 1-line block ×3, first 2 shown]
	ds_read2_b64 v[89:92], v0 offset0:58 offset1:59
	s_waitcnt lgkmcnt(0)
	v_mul_f64 v[93:94], v[91:92], v[99:100]
	v_fma_f64 v[93:94], v[89:90], v[125:126], -v[93:94]
	v_mul_f64 v[89:90], v[89:90], v[99:100]
	v_add_f64 v[81:82], v[81:82], -v[93:94]
	v_fma_f64 v[89:90], v[91:92], v[125:126], v[89:90]
	v_add_f64 v[83:84], v[83:84], -v[89:90]
	ds_read2_b64 v[89:92], v0 offset0:60 offset1:61
	s_waitcnt lgkmcnt(0)
	v_mul_f64 v[93:94], v[91:92], v[99:100]
	v_fma_f64 v[93:94], v[89:90], v[125:126], -v[93:94]
	v_mul_f64 v[89:90], v[89:90], v[99:100]
	v_add_f64 v[85:86], v[85:86], -v[93:94]
	v_fma_f64 v[89:90], v[91:92], v[125:126], v[89:90]
	v_add_f64 v[87:88], v[87:88], -v[89:90]
	;; [unrolled: 8-line block ×10, first 2 shown]
	ds_read2_b64 v[89:92], v0 offset0:78 offset1:79
	buffer_load_dword v53, off, s[24:27], 0 ; 4-byte Folded Reload
	buffer_load_dword v54, off, s[24:27], 0 offset:4 ; 4-byte Folded Reload
	buffer_load_dword v55, off, s[24:27], 0 offset:8 ; 4-byte Folded Reload
	;; [unrolled: 1-line block ×3, first 2 shown]
	s_waitcnt lgkmcnt(0)
	v_mul_f64 v[93:94], v[91:92], v[99:100]
	v_fma_f64 v[93:94], v[89:90], v[125:126], -v[93:94]
	v_mul_f64 v[89:90], v[89:90], v[99:100]
	v_fma_f64 v[89:90], v[91:92], v[125:126], v[89:90]
	s_waitcnt vmcnt(2)
	v_add_f64 v[53:54], v[53:54], -v[93:94]
	s_waitcnt vmcnt(0)
	v_add_f64 v[55:56], v[55:56], -v[89:90]
	buffer_store_dword v53, off, s[24:27], 0 ; 4-byte Folded Spill
	s_nop 0
	buffer_store_dword v54, off, s[24:27], 0 offset:4 ; 4-byte Folded Spill
	buffer_store_dword v55, off, s[24:27], 0 offset:8 ; 4-byte Folded Spill
	;; [unrolled: 1-line block ×3, first 2 shown]
	ds_read2_b64 v[89:92], v0 offset0:80 offset1:81
	s_waitcnt lgkmcnt(0)
	v_mul_f64 v[93:94], v[91:92], v[99:100]
	v_fma_f64 v[93:94], v[89:90], v[125:126], -v[93:94]
	v_mul_f64 v[89:90], v[89:90], v[99:100]
	v_add_f64 v[49:50], v[49:50], -v[93:94]
	v_fma_f64 v[89:90], v[91:92], v[125:126], v[89:90]
	v_add_f64 v[51:52], v[51:52], -v[89:90]
	ds_read2_b64 v[89:92], v0 offset0:82 offset1:83
	s_waitcnt lgkmcnt(0)
	v_mul_f64 v[93:94], v[91:92], v[99:100]
	v_fma_f64 v[93:94], v[89:90], v[125:126], -v[93:94]
	v_mul_f64 v[89:90], v[89:90], v[99:100]
	v_add_f64 v[45:46], v[45:46], -v[93:94]
	v_fma_f64 v[89:90], v[91:92], v[125:126], v[89:90]
	v_add_f64 v[47:48], v[47:48], -v[89:90]
	;; [unrolled: 8-line block ×12, first 2 shown]
	ds_read2_b64 v[89:92], v0 offset0:104 offset1:105
	s_waitcnt lgkmcnt(0)
	v_mul_f64 v[93:94], v[91:92], v[99:100]
	v_fma_f64 v[93:94], v[89:90], v[125:126], -v[93:94]
	v_mul_f64 v[89:90], v[89:90], v[99:100]
	v_add_f64 v[1:2], v[1:2], -v[93:94]
	v_fma_f64 v[89:90], v[91:92], v[125:126], v[89:90]
	ds_read2_b64 v[91:94], v0 offset0:106 offset1:107
	v_add_f64 v[3:4], v[3:4], -v[89:90]
	s_waitcnt lgkmcnt(0)
	v_mul_f64 v[89:90], v[93:94], v[99:100]
	v_fma_f64 v[89:90], v[91:92], v[125:126], -v[89:90]
	v_mul_f64 v[91:92], v[91:92], v[99:100]
	buffer_store_dword v97, off, s[24:27], 0 offset:336 ; 4-byte Folded Spill
	s_nop 0
	buffer_store_dword v98, off, s[24:27], 0 offset:340 ; 4-byte Folded Spill
	buffer_store_dword v99, off, s[24:27], 0 offset:344 ; 4-byte Folded Spill
	;; [unrolled: 1-line block ×3, first 2 shown]
	v_add_f64 v[121:122], v[121:122], -v[89:90]
	v_fma_f64 v[91:92], v[93:94], v[125:126], v[91:92]
	v_add_f64 v[123:124], v[123:124], -v[91:92]
.LBB106_188:
	s_or_b64 exec, exec, s[0:1]
	s_waitcnt vmcnt(0)
	s_barrier
	buffer_load_dword v53, off, s[24:27], 0 offset:320 ; 4-byte Folded Reload
	buffer_load_dword v54, off, s[24:27], 0 offset:324 ; 4-byte Folded Reload
	;; [unrolled: 1-line block ×4, first 2 shown]
	v_lshl_add_u32 v89, v96, 4, v0
	s_cmp_lt_i32 s3, 11
	s_waitcnt vmcnt(0)
	ds_write2_b64 v89, v[53:54], v[55:56] offset1:1
	s_waitcnt lgkmcnt(0)
	s_barrier
	ds_read2_b64 v[117:120], v0 offset0:18 offset1:19
	v_mov_b32_e32 v89, 9
	s_cbranch_scc1 .LBB106_191
; %bb.189:
	v_add_u32_e32 v90, 0xa0, v0
	s_mov_b32 s0, 10
	v_mov_b32_e32 v89, 9
.LBB106_190:                            ; =>This Inner Loop Header: Depth=1
	s_waitcnt lgkmcnt(0)
	v_cmp_gt_f64_e32 vcc, 0, v[117:118]
	v_xor_b32_e32 v97, 0x80000000, v118
	ds_read2_b64 v[91:94], v90 offset1:1
	v_xor_b32_e32 v99, 0x80000000, v120
	v_add_u32_e32 v90, 16, v90
	s_waitcnt lgkmcnt(0)
	v_xor_b32_e32 v101, 0x80000000, v94
	v_cndmask_b32_e32 v98, v118, v97, vcc
	v_cmp_gt_f64_e32 vcc, 0, v[119:120]
	v_mov_b32_e32 v97, v117
	v_cndmask_b32_e32 v100, v120, v99, vcc
	v_cmp_gt_f64_e32 vcc, 0, v[91:92]
	v_mov_b32_e32 v99, v119
	v_add_f64 v[97:98], v[97:98], v[99:100]
	v_xor_b32_e32 v99, 0x80000000, v92
	v_cndmask_b32_e32 v100, v92, v99, vcc
	v_cmp_gt_f64_e32 vcc, 0, v[93:94]
	v_mov_b32_e32 v99, v91
	v_cndmask_b32_e32 v102, v94, v101, vcc
	v_mov_b32_e32 v101, v93
	v_add_f64 v[99:100], v[99:100], v[101:102]
	v_cmp_lt_f64_e32 vcc, v[97:98], v[99:100]
	v_cndmask_b32_e32 v117, v117, v91, vcc
	v_mov_b32_e32 v91, s0
	s_add_i32 s0, s0, 1
	v_cndmask_b32_e32 v118, v118, v92, vcc
	v_cndmask_b32_e32 v120, v120, v94, vcc
	;; [unrolled: 1-line block ×4, first 2 shown]
	s_cmp_lg_u32 s3, s0
	s_cbranch_scc1 .LBB106_190
.LBB106_191:
	s_waitcnt lgkmcnt(0)
	v_cmp_eq_f64_e32 vcc, 0, v[117:118]
	v_cmp_eq_f64_e64 s[0:1], 0, v[119:120]
	s_and_b64 s[0:1], vcc, s[0:1]
	s_and_saveexec_b64 s[18:19], s[0:1]
	s_xor_b64 s[0:1], exec, s[18:19]
; %bb.192:
	v_cmp_ne_u32_e32 vcc, 0, v95
	v_cndmask_b32_e32 v95, 10, v95, vcc
; %bb.193:
	s_andn2_saveexec_b64 s[0:1], s[0:1]
	s_cbranch_execz .LBB106_199
; %bb.194:
	v_cmp_ngt_f64_e64 s[18:19], |v[117:118]|, |v[119:120]|
	s_and_saveexec_b64 s[20:21], s[18:19]
	s_xor_b64 s[18:19], exec, s[20:21]
	s_cbranch_execz .LBB106_196
; %bb.195:
	v_div_scale_f64 v[90:91], s[20:21], v[119:120], v[119:120], v[117:118]
	v_rcp_f64_e32 v[92:93], v[90:91]
	v_fma_f64 v[97:98], -v[90:91], v[92:93], 1.0
	v_fma_f64 v[92:93], v[92:93], v[97:98], v[92:93]
	v_div_scale_f64 v[97:98], vcc, v[117:118], v[119:120], v[117:118]
	v_fma_f64 v[99:100], -v[90:91], v[92:93], 1.0
	v_fma_f64 v[92:93], v[92:93], v[99:100], v[92:93]
	v_mul_f64 v[99:100], v[97:98], v[92:93]
	v_fma_f64 v[90:91], -v[90:91], v[99:100], v[97:98]
	v_div_fmas_f64 v[90:91], v[90:91], v[92:93], v[99:100]
	v_div_fixup_f64 v[90:91], v[90:91], v[119:120], v[117:118]
	v_fma_f64 v[92:93], v[117:118], v[90:91], v[119:120]
	v_div_scale_f64 v[97:98], s[20:21], v[92:93], v[92:93], 1.0
	v_div_scale_f64 v[103:104], vcc, 1.0, v[92:93], 1.0
	v_rcp_f64_e32 v[99:100], v[97:98]
	v_fma_f64 v[101:102], -v[97:98], v[99:100], 1.0
	v_fma_f64 v[99:100], v[99:100], v[101:102], v[99:100]
	v_fma_f64 v[101:102], -v[97:98], v[99:100], 1.0
	v_fma_f64 v[99:100], v[99:100], v[101:102], v[99:100]
	v_mul_f64 v[101:102], v[103:104], v[99:100]
	v_fma_f64 v[97:98], -v[97:98], v[101:102], v[103:104]
	v_div_fmas_f64 v[97:98], v[97:98], v[99:100], v[101:102]
	v_div_fixup_f64 v[119:120], v[97:98], v[92:93], 1.0
	v_mul_f64 v[117:118], v[90:91], v[119:120]
	v_xor_b32_e32 v120, 0x80000000, v120
.LBB106_196:
	s_andn2_saveexec_b64 s[18:19], s[18:19]
	s_cbranch_execz .LBB106_198
; %bb.197:
	v_div_scale_f64 v[90:91], s[20:21], v[117:118], v[117:118], v[119:120]
	v_rcp_f64_e32 v[92:93], v[90:91]
	v_fma_f64 v[97:98], -v[90:91], v[92:93], 1.0
	v_fma_f64 v[92:93], v[92:93], v[97:98], v[92:93]
	v_div_scale_f64 v[97:98], vcc, v[119:120], v[117:118], v[119:120]
	v_fma_f64 v[99:100], -v[90:91], v[92:93], 1.0
	v_fma_f64 v[92:93], v[92:93], v[99:100], v[92:93]
	v_mul_f64 v[99:100], v[97:98], v[92:93]
	v_fma_f64 v[90:91], -v[90:91], v[99:100], v[97:98]
	v_div_fmas_f64 v[90:91], v[90:91], v[92:93], v[99:100]
	v_div_fixup_f64 v[90:91], v[90:91], v[117:118], v[119:120]
	v_fma_f64 v[92:93], v[119:120], v[90:91], v[117:118]
	v_div_scale_f64 v[97:98], s[20:21], v[92:93], v[92:93], 1.0
	v_div_scale_f64 v[103:104], vcc, 1.0, v[92:93], 1.0
	v_rcp_f64_e32 v[99:100], v[97:98]
	v_fma_f64 v[101:102], -v[97:98], v[99:100], 1.0
	v_fma_f64 v[99:100], v[99:100], v[101:102], v[99:100]
	v_fma_f64 v[101:102], -v[97:98], v[99:100], 1.0
	v_fma_f64 v[99:100], v[99:100], v[101:102], v[99:100]
	v_mul_f64 v[101:102], v[103:104], v[99:100]
	v_fma_f64 v[97:98], -v[97:98], v[101:102], v[103:104]
	v_div_fmas_f64 v[97:98], v[97:98], v[99:100], v[101:102]
	v_div_fixup_f64 v[117:118], v[97:98], v[92:93], 1.0
	v_mul_f64 v[119:120], v[90:91], -v[117:118]
.LBB106_198:
	s_or_b64 exec, exec, s[18:19]
.LBB106_199:
	s_or_b64 exec, exec, s[0:1]
	v_cmp_ne_u32_e32 vcc, v96, v89
	s_and_saveexec_b64 s[0:1], vcc
	s_xor_b64 s[0:1], exec, s[0:1]
	s_cbranch_execz .LBB106_205
; %bb.200:
	v_cmp_eq_u32_e32 vcc, 9, v96
	s_and_saveexec_b64 s[18:19], vcc
	s_cbranch_execz .LBB106_204
; %bb.201:
	v_cmp_ne_u32_e32 vcc, 9, v89
	s_xor_b64 s[20:21], s[6:7], -1
	s_and_b64 s[22:23], s[20:21], vcc
	s_and_saveexec_b64 s[20:21], s[22:23]
	s_cbranch_execz .LBB106_203
; %bb.202:
	v_mov_b32_e32 v53, v81
	v_mov_b32_e32 v54, v82
	;; [unrolled: 1-line block ×4, first 2 shown]
	buffer_load_dword v81, off, s[24:27], 0 offset:436 ; 4-byte Folded Reload
	buffer_load_dword v82, off, s[24:27], 0 offset:440 ; 4-byte Folded Reload
	v_ashrrev_i32_e32 v90, 31, v89
	v_lshlrev_b64 v[90:91], 2, v[89:90]
	s_waitcnt vmcnt(1)
	v_add_co_u32_e32 v90, vcc, v81, v90
	s_waitcnt vmcnt(0)
	v_addc_co_u32_e32 v91, vcc, v82, v91, vcc
	global_load_dword v92, v[90:91], off
	global_load_dword v93, v[81:82], off offset:36
	s_waitcnt vmcnt(1)
	global_store_dword v[81:82], v92, off offset:36
	v_mov_b32_e32 v84, v56
	v_mov_b32_e32 v83, v55
	;; [unrolled: 1-line block ×4, first 2 shown]
	s_waitcnt vmcnt(1)
	global_store_dword v[90:91], v93, off
.LBB106_203:
	s_or_b64 exec, exec, s[20:21]
	v_mov_b32_e32 v96, v89
	v_mov_b32_e32 v53, v89
	buffer_store_dword v53, off, s[24:27], 0 offset:352 ; 4-byte Folded Spill
.LBB106_204:
	s_or_b64 exec, exec, s[18:19]
.LBB106_205:
	s_andn2_saveexec_b64 s[0:1], s[0:1]
	s_cbranch_execz .LBB106_207
; %bb.206:
	buffer_load_dword v53, off, s[24:27], 0 offset:304 ; 4-byte Folded Reload
	buffer_load_dword v54, off, s[24:27], 0 offset:308 ; 4-byte Folded Reload
	;; [unrolled: 1-line block ×4, first 2 shown]
	v_mov_b32_e32 v96, 9
	s_waitcnt vmcnt(0)
	ds_write2_b64 v0, v[53:54], v[55:56] offset0:20 offset1:21
	buffer_load_dword v53, off, s[24:27], 0 offset:288 ; 4-byte Folded Reload
	buffer_load_dword v54, off, s[24:27], 0 offset:292 ; 4-byte Folded Reload
	buffer_load_dword v55, off, s[24:27], 0 offset:296 ; 4-byte Folded Reload
	buffer_load_dword v56, off, s[24:27], 0 offset:300 ; 4-byte Folded Reload
	s_waitcnt vmcnt(0)
	ds_write2_b64 v0, v[53:54], v[55:56] offset0:22 offset1:23
	buffer_load_dword v53, off, s[24:27], 0 offset:272 ; 4-byte Folded Reload
	buffer_load_dword v54, off, s[24:27], 0 offset:276 ; 4-byte Folded Reload
	buffer_load_dword v55, off, s[24:27], 0 offset:280 ; 4-byte Folded Reload
	buffer_load_dword v56, off, s[24:27], 0 offset:284 ; 4-byte Folded Reload
	;; [unrolled: 6-line block ×18, first 2 shown]
	s_waitcnt vmcnt(0)
	ds_write2_b64 v0, v[53:54], v[55:56] offset0:56 offset1:57
	ds_write2_b64 v0, v[81:82], v[83:84] offset0:58 offset1:59
	;; [unrolled: 1-line block ×11, first 2 shown]
	buffer_load_dword v53, off, s[24:27], 0 ; 4-byte Folded Reload
	buffer_load_dword v54, off, s[24:27], 0 offset:4 ; 4-byte Folded Reload
	buffer_load_dword v55, off, s[24:27], 0 offset:8 ; 4-byte Folded Reload
	;; [unrolled: 1-line block ×3, first 2 shown]
	s_waitcnt vmcnt(0)
	ds_write2_b64 v0, v[53:54], v[55:56] offset0:78 offset1:79
	ds_write2_b64 v0, v[49:50], v[51:52] offset0:80 offset1:81
	;; [unrolled: 1-line block ×15, first 2 shown]
.LBB106_207:
	s_or_b64 exec, exec, s[0:1]
	v_cmp_lt_i32_e32 vcc, 9, v96
	s_waitcnt vmcnt(0) lgkmcnt(0)
	s_barrier
	s_and_saveexec_b64 s[0:1], vcc
	s_cbranch_execz .LBB106_209
; %bb.208:
	buffer_load_dword v97, off, s[24:27], 0 offset:320 ; 4-byte Folded Reload
	buffer_load_dword v98, off, s[24:27], 0 offset:324 ; 4-byte Folded Reload
	;; [unrolled: 1-line block ×4, first 2 shown]
	s_waitcnt vmcnt(0)
	v_mul_f64 v[89:90], v[119:120], v[99:100]
	v_fma_f64 v[125:126], v[117:118], v[97:98], -v[89:90]
	v_mul_f64 v[89:90], v[117:118], v[99:100]
	v_fma_f64 v[99:100], v[119:120], v[97:98], v[89:90]
	ds_read2_b64 v[89:92], v0 offset0:20 offset1:21
	buffer_load_dword v53, off, s[24:27], 0 offset:304 ; 4-byte Folded Reload
	buffer_load_dword v54, off, s[24:27], 0 offset:308 ; 4-byte Folded Reload
	;; [unrolled: 1-line block ×4, first 2 shown]
	v_mov_b32_e32 v97, v125
	v_mov_b32_e32 v98, v126
	s_waitcnt lgkmcnt(0)
	v_mul_f64 v[93:94], v[91:92], v[99:100]
	v_fma_f64 v[93:94], v[89:90], v[125:126], -v[93:94]
	v_mul_f64 v[89:90], v[89:90], v[99:100]
	v_fma_f64 v[89:90], v[91:92], v[125:126], v[89:90]
	s_waitcnt vmcnt(2)
	v_add_f64 v[53:54], v[53:54], -v[93:94]
	s_waitcnt vmcnt(0)
	v_add_f64 v[55:56], v[55:56], -v[89:90]
	buffer_store_dword v53, off, s[24:27], 0 offset:304 ; 4-byte Folded Spill
	s_nop 0
	buffer_store_dword v54, off, s[24:27], 0 offset:308 ; 4-byte Folded Spill
	buffer_store_dword v55, off, s[24:27], 0 offset:312 ; 4-byte Folded Spill
	buffer_store_dword v56, off, s[24:27], 0 offset:316 ; 4-byte Folded Spill
	ds_read2_b64 v[89:92], v0 offset0:22 offset1:23
	buffer_load_dword v53, off, s[24:27], 0 offset:288 ; 4-byte Folded Reload
	buffer_load_dword v54, off, s[24:27], 0 offset:292 ; 4-byte Folded Reload
	buffer_load_dword v55, off, s[24:27], 0 offset:296 ; 4-byte Folded Reload
	buffer_load_dword v56, off, s[24:27], 0 offset:300 ; 4-byte Folded Reload
	s_waitcnt lgkmcnt(0)
	v_mul_f64 v[93:94], v[91:92], v[99:100]
	v_fma_f64 v[93:94], v[89:90], v[125:126], -v[93:94]
	v_mul_f64 v[89:90], v[89:90], v[99:100]
	v_fma_f64 v[89:90], v[91:92], v[125:126], v[89:90]
	s_waitcnt vmcnt(2)
	v_add_f64 v[53:54], v[53:54], -v[93:94]
	s_waitcnt vmcnt(0)
	v_add_f64 v[55:56], v[55:56], -v[89:90]
	buffer_store_dword v53, off, s[24:27], 0 offset:288 ; 4-byte Folded Spill
	s_nop 0
	buffer_store_dword v54, off, s[24:27], 0 offset:292 ; 4-byte Folded Spill
	buffer_store_dword v55, off, s[24:27], 0 offset:296 ; 4-byte Folded Spill
	buffer_store_dword v56, off, s[24:27], 0 offset:300 ; 4-byte Folded Spill
	ds_read2_b64 v[89:92], v0 offset0:24 offset1:25
	buffer_load_dword v53, off, s[24:27], 0 offset:272 ; 4-byte Folded Reload
	buffer_load_dword v54, off, s[24:27], 0 offset:276 ; 4-byte Folded Reload
	buffer_load_dword v55, off, s[24:27], 0 offset:280 ; 4-byte Folded Reload
	buffer_load_dword v56, off, s[24:27], 0 offset:284 ; 4-byte Folded Reload
	;; [unrolled: 19-line block ×18, first 2 shown]
	s_waitcnt lgkmcnt(0)
	v_mul_f64 v[93:94], v[91:92], v[99:100]
	v_fma_f64 v[93:94], v[89:90], v[125:126], -v[93:94]
	v_mul_f64 v[89:90], v[89:90], v[99:100]
	v_fma_f64 v[89:90], v[91:92], v[125:126], v[89:90]
	s_waitcnt vmcnt(2)
	v_add_f64 v[53:54], v[53:54], -v[93:94]
	s_waitcnt vmcnt(0)
	v_add_f64 v[55:56], v[55:56], -v[89:90]
	buffer_store_dword v53, off, s[24:27], 0 offset:16 ; 4-byte Folded Spill
	s_nop 0
	buffer_store_dword v54, off, s[24:27], 0 offset:20 ; 4-byte Folded Spill
	buffer_store_dword v55, off, s[24:27], 0 offset:24 ; 4-byte Folded Spill
	;; [unrolled: 1-line block ×3, first 2 shown]
	ds_read2_b64 v[89:92], v0 offset0:58 offset1:59
	s_waitcnt lgkmcnt(0)
	v_mul_f64 v[93:94], v[91:92], v[99:100]
	v_fma_f64 v[93:94], v[89:90], v[125:126], -v[93:94]
	v_mul_f64 v[89:90], v[89:90], v[99:100]
	v_add_f64 v[81:82], v[81:82], -v[93:94]
	v_fma_f64 v[89:90], v[91:92], v[125:126], v[89:90]
	v_add_f64 v[83:84], v[83:84], -v[89:90]
	ds_read2_b64 v[89:92], v0 offset0:60 offset1:61
	s_waitcnt lgkmcnt(0)
	v_mul_f64 v[93:94], v[91:92], v[99:100]
	v_fma_f64 v[93:94], v[89:90], v[125:126], -v[93:94]
	v_mul_f64 v[89:90], v[89:90], v[99:100]
	v_add_f64 v[85:86], v[85:86], -v[93:94]
	v_fma_f64 v[89:90], v[91:92], v[125:126], v[89:90]
	v_add_f64 v[87:88], v[87:88], -v[89:90]
	;; [unrolled: 8-line block ×10, first 2 shown]
	ds_read2_b64 v[89:92], v0 offset0:78 offset1:79
	buffer_load_dword v53, off, s[24:27], 0 ; 4-byte Folded Reload
	buffer_load_dword v54, off, s[24:27], 0 offset:4 ; 4-byte Folded Reload
	buffer_load_dword v55, off, s[24:27], 0 offset:8 ; 4-byte Folded Reload
	;; [unrolled: 1-line block ×3, first 2 shown]
	s_waitcnt lgkmcnt(0)
	v_mul_f64 v[93:94], v[91:92], v[99:100]
	v_fma_f64 v[93:94], v[89:90], v[125:126], -v[93:94]
	v_mul_f64 v[89:90], v[89:90], v[99:100]
	v_fma_f64 v[89:90], v[91:92], v[125:126], v[89:90]
	s_waitcnt vmcnt(2)
	v_add_f64 v[53:54], v[53:54], -v[93:94]
	s_waitcnt vmcnt(0)
	v_add_f64 v[55:56], v[55:56], -v[89:90]
	buffer_store_dword v53, off, s[24:27], 0 ; 4-byte Folded Spill
	s_nop 0
	buffer_store_dword v54, off, s[24:27], 0 offset:4 ; 4-byte Folded Spill
	buffer_store_dword v55, off, s[24:27], 0 offset:8 ; 4-byte Folded Spill
	;; [unrolled: 1-line block ×3, first 2 shown]
	ds_read2_b64 v[89:92], v0 offset0:80 offset1:81
	s_waitcnt lgkmcnt(0)
	v_mul_f64 v[93:94], v[91:92], v[99:100]
	v_fma_f64 v[93:94], v[89:90], v[125:126], -v[93:94]
	v_mul_f64 v[89:90], v[89:90], v[99:100]
	v_add_f64 v[49:50], v[49:50], -v[93:94]
	v_fma_f64 v[89:90], v[91:92], v[125:126], v[89:90]
	v_add_f64 v[51:52], v[51:52], -v[89:90]
	ds_read2_b64 v[89:92], v0 offset0:82 offset1:83
	s_waitcnt lgkmcnt(0)
	v_mul_f64 v[93:94], v[91:92], v[99:100]
	v_fma_f64 v[93:94], v[89:90], v[125:126], -v[93:94]
	v_mul_f64 v[89:90], v[89:90], v[99:100]
	v_add_f64 v[45:46], v[45:46], -v[93:94]
	v_fma_f64 v[89:90], v[91:92], v[125:126], v[89:90]
	v_add_f64 v[47:48], v[47:48], -v[89:90]
	;; [unrolled: 8-line block ×12, first 2 shown]
	ds_read2_b64 v[89:92], v0 offset0:104 offset1:105
	s_waitcnt lgkmcnt(0)
	v_mul_f64 v[93:94], v[91:92], v[99:100]
	v_fma_f64 v[93:94], v[89:90], v[125:126], -v[93:94]
	v_mul_f64 v[89:90], v[89:90], v[99:100]
	v_add_f64 v[1:2], v[1:2], -v[93:94]
	v_fma_f64 v[89:90], v[91:92], v[125:126], v[89:90]
	ds_read2_b64 v[91:94], v0 offset0:106 offset1:107
	v_add_f64 v[3:4], v[3:4], -v[89:90]
	s_waitcnt lgkmcnt(0)
	v_mul_f64 v[89:90], v[93:94], v[99:100]
	v_fma_f64 v[89:90], v[91:92], v[125:126], -v[89:90]
	v_mul_f64 v[91:92], v[91:92], v[99:100]
	buffer_store_dword v97, off, s[24:27], 0 offset:320 ; 4-byte Folded Spill
	s_nop 0
	buffer_store_dword v98, off, s[24:27], 0 offset:324 ; 4-byte Folded Spill
	buffer_store_dword v99, off, s[24:27], 0 offset:328 ; 4-byte Folded Spill
	;; [unrolled: 1-line block ×3, first 2 shown]
	v_add_f64 v[121:122], v[121:122], -v[89:90]
	v_fma_f64 v[91:92], v[93:94], v[125:126], v[91:92]
	v_add_f64 v[123:124], v[123:124], -v[91:92]
.LBB106_209:
	s_or_b64 exec, exec, s[0:1]
	s_waitcnt vmcnt(0)
	s_barrier
	buffer_load_dword v53, off, s[24:27], 0 offset:304 ; 4-byte Folded Reload
	buffer_load_dword v54, off, s[24:27], 0 offset:308 ; 4-byte Folded Reload
	;; [unrolled: 1-line block ×4, first 2 shown]
	v_lshl_add_u32 v89, v96, 4, v0
	s_cmp_lt_i32 s3, 12
	s_waitcnt vmcnt(0)
	ds_write2_b64 v89, v[53:54], v[55:56] offset1:1
	s_waitcnt lgkmcnt(0)
	s_barrier
	ds_read2_b64 v[117:120], v0 offset0:20 offset1:21
	v_mov_b32_e32 v89, 10
	s_cbranch_scc1 .LBB106_212
; %bb.210:
	v_add_u32_e32 v90, 0xb0, v0
	s_mov_b32 s0, 11
	v_mov_b32_e32 v89, 10
.LBB106_211:                            ; =>This Inner Loop Header: Depth=1
	s_waitcnt lgkmcnt(0)
	v_cmp_gt_f64_e32 vcc, 0, v[117:118]
	v_xor_b32_e32 v97, 0x80000000, v118
	ds_read2_b64 v[91:94], v90 offset1:1
	v_xor_b32_e32 v99, 0x80000000, v120
	v_add_u32_e32 v90, 16, v90
	s_waitcnt lgkmcnt(0)
	v_xor_b32_e32 v101, 0x80000000, v94
	v_cndmask_b32_e32 v98, v118, v97, vcc
	v_cmp_gt_f64_e32 vcc, 0, v[119:120]
	v_mov_b32_e32 v97, v117
	v_cndmask_b32_e32 v100, v120, v99, vcc
	v_cmp_gt_f64_e32 vcc, 0, v[91:92]
	v_mov_b32_e32 v99, v119
	v_add_f64 v[97:98], v[97:98], v[99:100]
	v_xor_b32_e32 v99, 0x80000000, v92
	v_cndmask_b32_e32 v100, v92, v99, vcc
	v_cmp_gt_f64_e32 vcc, 0, v[93:94]
	v_mov_b32_e32 v99, v91
	v_cndmask_b32_e32 v102, v94, v101, vcc
	v_mov_b32_e32 v101, v93
	v_add_f64 v[99:100], v[99:100], v[101:102]
	v_cmp_lt_f64_e32 vcc, v[97:98], v[99:100]
	v_cndmask_b32_e32 v117, v117, v91, vcc
	v_mov_b32_e32 v91, s0
	s_add_i32 s0, s0, 1
	v_cndmask_b32_e32 v118, v118, v92, vcc
	v_cndmask_b32_e32 v120, v120, v94, vcc
	;; [unrolled: 1-line block ×4, first 2 shown]
	s_cmp_lg_u32 s3, s0
	s_cbranch_scc1 .LBB106_211
.LBB106_212:
	s_waitcnt lgkmcnt(0)
	v_cmp_eq_f64_e32 vcc, 0, v[117:118]
	v_cmp_eq_f64_e64 s[0:1], 0, v[119:120]
	s_and_b64 s[0:1], vcc, s[0:1]
	s_and_saveexec_b64 s[18:19], s[0:1]
	s_xor_b64 s[0:1], exec, s[18:19]
; %bb.213:
	v_cmp_ne_u32_e32 vcc, 0, v95
	v_cndmask_b32_e32 v95, 11, v95, vcc
; %bb.214:
	s_andn2_saveexec_b64 s[0:1], s[0:1]
	s_cbranch_execz .LBB106_220
; %bb.215:
	v_cmp_ngt_f64_e64 s[18:19], |v[117:118]|, |v[119:120]|
	s_and_saveexec_b64 s[20:21], s[18:19]
	s_xor_b64 s[18:19], exec, s[20:21]
	s_cbranch_execz .LBB106_217
; %bb.216:
	v_div_scale_f64 v[90:91], s[20:21], v[119:120], v[119:120], v[117:118]
	v_rcp_f64_e32 v[92:93], v[90:91]
	v_fma_f64 v[97:98], -v[90:91], v[92:93], 1.0
	v_fma_f64 v[92:93], v[92:93], v[97:98], v[92:93]
	v_div_scale_f64 v[97:98], vcc, v[117:118], v[119:120], v[117:118]
	v_fma_f64 v[99:100], -v[90:91], v[92:93], 1.0
	v_fma_f64 v[92:93], v[92:93], v[99:100], v[92:93]
	v_mul_f64 v[99:100], v[97:98], v[92:93]
	v_fma_f64 v[90:91], -v[90:91], v[99:100], v[97:98]
	v_div_fmas_f64 v[90:91], v[90:91], v[92:93], v[99:100]
	v_div_fixup_f64 v[90:91], v[90:91], v[119:120], v[117:118]
	v_fma_f64 v[92:93], v[117:118], v[90:91], v[119:120]
	v_div_scale_f64 v[97:98], s[20:21], v[92:93], v[92:93], 1.0
	v_div_scale_f64 v[103:104], vcc, 1.0, v[92:93], 1.0
	v_rcp_f64_e32 v[99:100], v[97:98]
	v_fma_f64 v[101:102], -v[97:98], v[99:100], 1.0
	v_fma_f64 v[99:100], v[99:100], v[101:102], v[99:100]
	v_fma_f64 v[101:102], -v[97:98], v[99:100], 1.0
	v_fma_f64 v[99:100], v[99:100], v[101:102], v[99:100]
	v_mul_f64 v[101:102], v[103:104], v[99:100]
	v_fma_f64 v[97:98], -v[97:98], v[101:102], v[103:104]
	v_div_fmas_f64 v[97:98], v[97:98], v[99:100], v[101:102]
	v_div_fixup_f64 v[119:120], v[97:98], v[92:93], 1.0
	v_mul_f64 v[117:118], v[90:91], v[119:120]
	v_xor_b32_e32 v120, 0x80000000, v120
.LBB106_217:
	s_andn2_saveexec_b64 s[18:19], s[18:19]
	s_cbranch_execz .LBB106_219
; %bb.218:
	v_div_scale_f64 v[90:91], s[20:21], v[117:118], v[117:118], v[119:120]
	v_rcp_f64_e32 v[92:93], v[90:91]
	v_fma_f64 v[97:98], -v[90:91], v[92:93], 1.0
	v_fma_f64 v[92:93], v[92:93], v[97:98], v[92:93]
	v_div_scale_f64 v[97:98], vcc, v[119:120], v[117:118], v[119:120]
	v_fma_f64 v[99:100], -v[90:91], v[92:93], 1.0
	v_fma_f64 v[92:93], v[92:93], v[99:100], v[92:93]
	v_mul_f64 v[99:100], v[97:98], v[92:93]
	v_fma_f64 v[90:91], -v[90:91], v[99:100], v[97:98]
	v_div_fmas_f64 v[90:91], v[90:91], v[92:93], v[99:100]
	v_div_fixup_f64 v[90:91], v[90:91], v[117:118], v[119:120]
	v_fma_f64 v[92:93], v[119:120], v[90:91], v[117:118]
	v_div_scale_f64 v[97:98], s[20:21], v[92:93], v[92:93], 1.0
	v_div_scale_f64 v[103:104], vcc, 1.0, v[92:93], 1.0
	v_rcp_f64_e32 v[99:100], v[97:98]
	v_fma_f64 v[101:102], -v[97:98], v[99:100], 1.0
	v_fma_f64 v[99:100], v[99:100], v[101:102], v[99:100]
	v_fma_f64 v[101:102], -v[97:98], v[99:100], 1.0
	v_fma_f64 v[99:100], v[99:100], v[101:102], v[99:100]
	v_mul_f64 v[101:102], v[103:104], v[99:100]
	v_fma_f64 v[97:98], -v[97:98], v[101:102], v[103:104]
	v_div_fmas_f64 v[97:98], v[97:98], v[99:100], v[101:102]
	v_div_fixup_f64 v[117:118], v[97:98], v[92:93], 1.0
	v_mul_f64 v[119:120], v[90:91], -v[117:118]
.LBB106_219:
	s_or_b64 exec, exec, s[18:19]
.LBB106_220:
	s_or_b64 exec, exec, s[0:1]
	v_cmp_ne_u32_e32 vcc, v96, v89
	s_and_saveexec_b64 s[0:1], vcc
	s_xor_b64 s[0:1], exec, s[0:1]
	s_cbranch_execz .LBB106_226
; %bb.221:
	v_cmp_eq_u32_e32 vcc, 10, v96
	s_and_saveexec_b64 s[18:19], vcc
	s_cbranch_execz .LBB106_225
; %bb.222:
	v_cmp_ne_u32_e32 vcc, 10, v89
	s_xor_b64 s[20:21], s[6:7], -1
	s_and_b64 s[22:23], s[20:21], vcc
	s_and_saveexec_b64 s[20:21], s[22:23]
	s_cbranch_execz .LBB106_224
; %bb.223:
	v_mov_b32_e32 v53, v81
	v_mov_b32_e32 v54, v82
	;; [unrolled: 1-line block ×4, first 2 shown]
	buffer_load_dword v81, off, s[24:27], 0 offset:436 ; 4-byte Folded Reload
	buffer_load_dword v82, off, s[24:27], 0 offset:440 ; 4-byte Folded Reload
	v_ashrrev_i32_e32 v90, 31, v89
	v_lshlrev_b64 v[90:91], 2, v[89:90]
	s_waitcnt vmcnt(1)
	v_add_co_u32_e32 v90, vcc, v81, v90
	s_waitcnt vmcnt(0)
	v_addc_co_u32_e32 v91, vcc, v82, v91, vcc
	global_load_dword v92, v[90:91], off
	global_load_dword v93, v[81:82], off offset:40
	s_waitcnt vmcnt(1)
	global_store_dword v[81:82], v92, off offset:40
	v_mov_b32_e32 v84, v56
	v_mov_b32_e32 v83, v55
	;; [unrolled: 1-line block ×4, first 2 shown]
	s_waitcnt vmcnt(1)
	global_store_dword v[90:91], v93, off
.LBB106_224:
	s_or_b64 exec, exec, s[20:21]
	v_mov_b32_e32 v96, v89
	v_mov_b32_e32 v53, v89
	buffer_store_dword v53, off, s[24:27], 0 offset:352 ; 4-byte Folded Spill
.LBB106_225:
	s_or_b64 exec, exec, s[18:19]
.LBB106_226:
	s_andn2_saveexec_b64 s[0:1], s[0:1]
	s_cbranch_execz .LBB106_228
; %bb.227:
	buffer_load_dword v53, off, s[24:27], 0 offset:288 ; 4-byte Folded Reload
	buffer_load_dword v54, off, s[24:27], 0 offset:292 ; 4-byte Folded Reload
	;; [unrolled: 1-line block ×4, first 2 shown]
	v_mov_b32_e32 v96, 10
	s_waitcnt vmcnt(0)
	ds_write2_b64 v0, v[53:54], v[55:56] offset0:22 offset1:23
	buffer_load_dword v53, off, s[24:27], 0 offset:272 ; 4-byte Folded Reload
	buffer_load_dword v54, off, s[24:27], 0 offset:276 ; 4-byte Folded Reload
	buffer_load_dword v55, off, s[24:27], 0 offset:280 ; 4-byte Folded Reload
	buffer_load_dword v56, off, s[24:27], 0 offset:284 ; 4-byte Folded Reload
	s_waitcnt vmcnt(0)
	ds_write2_b64 v0, v[53:54], v[55:56] offset0:24 offset1:25
	buffer_load_dword v53, off, s[24:27], 0 offset:256 ; 4-byte Folded Reload
	buffer_load_dword v54, off, s[24:27], 0 offset:260 ; 4-byte Folded Reload
	buffer_load_dword v55, off, s[24:27], 0 offset:264 ; 4-byte Folded Reload
	buffer_load_dword v56, off, s[24:27], 0 offset:268 ; 4-byte Folded Reload
	;; [unrolled: 6-line block ×17, first 2 shown]
	s_waitcnt vmcnt(0)
	ds_write2_b64 v0, v[53:54], v[55:56] offset0:56 offset1:57
	ds_write2_b64 v0, v[81:82], v[83:84] offset0:58 offset1:59
	;; [unrolled: 1-line block ×11, first 2 shown]
	buffer_load_dword v53, off, s[24:27], 0 ; 4-byte Folded Reload
	buffer_load_dword v54, off, s[24:27], 0 offset:4 ; 4-byte Folded Reload
	buffer_load_dword v55, off, s[24:27], 0 offset:8 ; 4-byte Folded Reload
	;; [unrolled: 1-line block ×3, first 2 shown]
	s_waitcnt vmcnt(0)
	ds_write2_b64 v0, v[53:54], v[55:56] offset0:78 offset1:79
	ds_write2_b64 v0, v[49:50], v[51:52] offset0:80 offset1:81
	;; [unrolled: 1-line block ×15, first 2 shown]
.LBB106_228:
	s_or_b64 exec, exec, s[0:1]
	v_cmp_lt_i32_e32 vcc, 10, v96
	s_waitcnt vmcnt(0) lgkmcnt(0)
	s_barrier
	s_and_saveexec_b64 s[0:1], vcc
	s_cbranch_execz .LBB106_230
; %bb.229:
	buffer_load_dword v97, off, s[24:27], 0 offset:304 ; 4-byte Folded Reload
	buffer_load_dword v98, off, s[24:27], 0 offset:308 ; 4-byte Folded Reload
	;; [unrolled: 1-line block ×4, first 2 shown]
	s_waitcnt vmcnt(0)
	v_mul_f64 v[89:90], v[119:120], v[99:100]
	v_fma_f64 v[125:126], v[117:118], v[97:98], -v[89:90]
	v_mul_f64 v[89:90], v[117:118], v[99:100]
	v_fma_f64 v[99:100], v[119:120], v[97:98], v[89:90]
	ds_read2_b64 v[89:92], v0 offset0:22 offset1:23
	buffer_load_dword v53, off, s[24:27], 0 offset:288 ; 4-byte Folded Reload
	buffer_load_dword v54, off, s[24:27], 0 offset:292 ; 4-byte Folded Reload
	;; [unrolled: 1-line block ×4, first 2 shown]
	v_mov_b32_e32 v97, v125
	v_mov_b32_e32 v98, v126
	s_waitcnt lgkmcnt(0)
	v_mul_f64 v[93:94], v[91:92], v[99:100]
	v_fma_f64 v[93:94], v[89:90], v[125:126], -v[93:94]
	v_mul_f64 v[89:90], v[89:90], v[99:100]
	v_fma_f64 v[89:90], v[91:92], v[125:126], v[89:90]
	s_waitcnt vmcnt(2)
	v_add_f64 v[53:54], v[53:54], -v[93:94]
	s_waitcnt vmcnt(0)
	v_add_f64 v[55:56], v[55:56], -v[89:90]
	buffer_store_dword v53, off, s[24:27], 0 offset:288 ; 4-byte Folded Spill
	s_nop 0
	buffer_store_dword v54, off, s[24:27], 0 offset:292 ; 4-byte Folded Spill
	buffer_store_dword v55, off, s[24:27], 0 offset:296 ; 4-byte Folded Spill
	buffer_store_dword v56, off, s[24:27], 0 offset:300 ; 4-byte Folded Spill
	ds_read2_b64 v[89:92], v0 offset0:24 offset1:25
	buffer_load_dword v53, off, s[24:27], 0 offset:272 ; 4-byte Folded Reload
	buffer_load_dword v54, off, s[24:27], 0 offset:276 ; 4-byte Folded Reload
	buffer_load_dword v55, off, s[24:27], 0 offset:280 ; 4-byte Folded Reload
	buffer_load_dword v56, off, s[24:27], 0 offset:284 ; 4-byte Folded Reload
	s_waitcnt lgkmcnt(0)
	v_mul_f64 v[93:94], v[91:92], v[99:100]
	v_fma_f64 v[93:94], v[89:90], v[125:126], -v[93:94]
	v_mul_f64 v[89:90], v[89:90], v[99:100]
	v_fma_f64 v[89:90], v[91:92], v[125:126], v[89:90]
	s_waitcnt vmcnt(2)
	v_add_f64 v[53:54], v[53:54], -v[93:94]
	s_waitcnt vmcnt(0)
	v_add_f64 v[55:56], v[55:56], -v[89:90]
	buffer_store_dword v53, off, s[24:27], 0 offset:272 ; 4-byte Folded Spill
	s_nop 0
	buffer_store_dword v54, off, s[24:27], 0 offset:276 ; 4-byte Folded Spill
	buffer_store_dword v55, off, s[24:27], 0 offset:280 ; 4-byte Folded Spill
	buffer_store_dword v56, off, s[24:27], 0 offset:284 ; 4-byte Folded Spill
	ds_read2_b64 v[89:92], v0 offset0:26 offset1:27
	buffer_load_dword v53, off, s[24:27], 0 offset:256 ; 4-byte Folded Reload
	buffer_load_dword v54, off, s[24:27], 0 offset:260 ; 4-byte Folded Reload
	buffer_load_dword v55, off, s[24:27], 0 offset:264 ; 4-byte Folded Reload
	buffer_load_dword v56, off, s[24:27], 0 offset:268 ; 4-byte Folded Reload
	;; [unrolled: 19-line block ×17, first 2 shown]
	s_waitcnt lgkmcnt(0)
	v_mul_f64 v[93:94], v[91:92], v[99:100]
	v_fma_f64 v[93:94], v[89:90], v[125:126], -v[93:94]
	v_mul_f64 v[89:90], v[89:90], v[99:100]
	v_fma_f64 v[89:90], v[91:92], v[125:126], v[89:90]
	s_waitcnt vmcnt(2)
	v_add_f64 v[53:54], v[53:54], -v[93:94]
	s_waitcnt vmcnt(0)
	v_add_f64 v[55:56], v[55:56], -v[89:90]
	buffer_store_dword v53, off, s[24:27], 0 offset:16 ; 4-byte Folded Spill
	s_nop 0
	buffer_store_dword v54, off, s[24:27], 0 offset:20 ; 4-byte Folded Spill
	buffer_store_dword v55, off, s[24:27], 0 offset:24 ; 4-byte Folded Spill
	;; [unrolled: 1-line block ×3, first 2 shown]
	ds_read2_b64 v[89:92], v0 offset0:58 offset1:59
	s_waitcnt lgkmcnt(0)
	v_mul_f64 v[93:94], v[91:92], v[99:100]
	v_fma_f64 v[93:94], v[89:90], v[125:126], -v[93:94]
	v_mul_f64 v[89:90], v[89:90], v[99:100]
	v_add_f64 v[81:82], v[81:82], -v[93:94]
	v_fma_f64 v[89:90], v[91:92], v[125:126], v[89:90]
	v_add_f64 v[83:84], v[83:84], -v[89:90]
	ds_read2_b64 v[89:92], v0 offset0:60 offset1:61
	s_waitcnt lgkmcnt(0)
	v_mul_f64 v[93:94], v[91:92], v[99:100]
	v_fma_f64 v[93:94], v[89:90], v[125:126], -v[93:94]
	v_mul_f64 v[89:90], v[89:90], v[99:100]
	v_add_f64 v[85:86], v[85:86], -v[93:94]
	v_fma_f64 v[89:90], v[91:92], v[125:126], v[89:90]
	v_add_f64 v[87:88], v[87:88], -v[89:90]
	;; [unrolled: 8-line block ×10, first 2 shown]
	ds_read2_b64 v[89:92], v0 offset0:78 offset1:79
	buffer_load_dword v53, off, s[24:27], 0 ; 4-byte Folded Reload
	buffer_load_dword v54, off, s[24:27], 0 offset:4 ; 4-byte Folded Reload
	buffer_load_dword v55, off, s[24:27], 0 offset:8 ; 4-byte Folded Reload
	;; [unrolled: 1-line block ×3, first 2 shown]
	s_waitcnt lgkmcnt(0)
	v_mul_f64 v[93:94], v[91:92], v[99:100]
	v_fma_f64 v[93:94], v[89:90], v[125:126], -v[93:94]
	v_mul_f64 v[89:90], v[89:90], v[99:100]
	v_fma_f64 v[89:90], v[91:92], v[125:126], v[89:90]
	s_waitcnt vmcnt(2)
	v_add_f64 v[53:54], v[53:54], -v[93:94]
	s_waitcnt vmcnt(0)
	v_add_f64 v[55:56], v[55:56], -v[89:90]
	buffer_store_dword v53, off, s[24:27], 0 ; 4-byte Folded Spill
	s_nop 0
	buffer_store_dword v54, off, s[24:27], 0 offset:4 ; 4-byte Folded Spill
	buffer_store_dword v55, off, s[24:27], 0 offset:8 ; 4-byte Folded Spill
	;; [unrolled: 1-line block ×3, first 2 shown]
	ds_read2_b64 v[89:92], v0 offset0:80 offset1:81
	s_waitcnt lgkmcnt(0)
	v_mul_f64 v[93:94], v[91:92], v[99:100]
	v_fma_f64 v[93:94], v[89:90], v[125:126], -v[93:94]
	v_mul_f64 v[89:90], v[89:90], v[99:100]
	v_add_f64 v[49:50], v[49:50], -v[93:94]
	v_fma_f64 v[89:90], v[91:92], v[125:126], v[89:90]
	v_add_f64 v[51:52], v[51:52], -v[89:90]
	ds_read2_b64 v[89:92], v0 offset0:82 offset1:83
	s_waitcnt lgkmcnt(0)
	v_mul_f64 v[93:94], v[91:92], v[99:100]
	v_fma_f64 v[93:94], v[89:90], v[125:126], -v[93:94]
	v_mul_f64 v[89:90], v[89:90], v[99:100]
	v_add_f64 v[45:46], v[45:46], -v[93:94]
	v_fma_f64 v[89:90], v[91:92], v[125:126], v[89:90]
	v_add_f64 v[47:48], v[47:48], -v[89:90]
	;; [unrolled: 8-line block ×12, first 2 shown]
	ds_read2_b64 v[89:92], v0 offset0:104 offset1:105
	s_waitcnt lgkmcnt(0)
	v_mul_f64 v[93:94], v[91:92], v[99:100]
	v_fma_f64 v[93:94], v[89:90], v[125:126], -v[93:94]
	v_mul_f64 v[89:90], v[89:90], v[99:100]
	v_add_f64 v[1:2], v[1:2], -v[93:94]
	v_fma_f64 v[89:90], v[91:92], v[125:126], v[89:90]
	ds_read2_b64 v[91:94], v0 offset0:106 offset1:107
	v_add_f64 v[3:4], v[3:4], -v[89:90]
	s_waitcnt lgkmcnt(0)
	v_mul_f64 v[89:90], v[93:94], v[99:100]
	v_fma_f64 v[89:90], v[91:92], v[125:126], -v[89:90]
	v_mul_f64 v[91:92], v[91:92], v[99:100]
	buffer_store_dword v97, off, s[24:27], 0 offset:304 ; 4-byte Folded Spill
	s_nop 0
	buffer_store_dword v98, off, s[24:27], 0 offset:308 ; 4-byte Folded Spill
	buffer_store_dword v99, off, s[24:27], 0 offset:312 ; 4-byte Folded Spill
	;; [unrolled: 1-line block ×3, first 2 shown]
	v_add_f64 v[121:122], v[121:122], -v[89:90]
	v_fma_f64 v[91:92], v[93:94], v[125:126], v[91:92]
	v_add_f64 v[123:124], v[123:124], -v[91:92]
.LBB106_230:
	s_or_b64 exec, exec, s[0:1]
	s_waitcnt vmcnt(0)
	s_barrier
	buffer_load_dword v53, off, s[24:27], 0 offset:288 ; 4-byte Folded Reload
	buffer_load_dword v54, off, s[24:27], 0 offset:292 ; 4-byte Folded Reload
	;; [unrolled: 1-line block ×4, first 2 shown]
	v_lshl_add_u32 v89, v96, 4, v0
	s_cmp_lt_i32 s3, 13
	s_waitcnt vmcnt(0)
	ds_write2_b64 v89, v[53:54], v[55:56] offset1:1
	s_waitcnt lgkmcnt(0)
	s_barrier
	ds_read2_b64 v[117:120], v0 offset0:22 offset1:23
	v_mov_b32_e32 v89, 11
	s_cbranch_scc1 .LBB106_233
; %bb.231:
	v_add_u32_e32 v90, 0xc0, v0
	s_mov_b32 s0, 12
	v_mov_b32_e32 v89, 11
.LBB106_232:                            ; =>This Inner Loop Header: Depth=1
	s_waitcnt lgkmcnt(0)
	v_cmp_gt_f64_e32 vcc, 0, v[117:118]
	v_xor_b32_e32 v97, 0x80000000, v118
	ds_read2_b64 v[91:94], v90 offset1:1
	v_xor_b32_e32 v99, 0x80000000, v120
	v_add_u32_e32 v90, 16, v90
	s_waitcnt lgkmcnt(0)
	v_xor_b32_e32 v101, 0x80000000, v94
	v_cndmask_b32_e32 v98, v118, v97, vcc
	v_cmp_gt_f64_e32 vcc, 0, v[119:120]
	v_mov_b32_e32 v97, v117
	v_cndmask_b32_e32 v100, v120, v99, vcc
	v_cmp_gt_f64_e32 vcc, 0, v[91:92]
	v_mov_b32_e32 v99, v119
	v_add_f64 v[97:98], v[97:98], v[99:100]
	v_xor_b32_e32 v99, 0x80000000, v92
	v_cndmask_b32_e32 v100, v92, v99, vcc
	v_cmp_gt_f64_e32 vcc, 0, v[93:94]
	v_mov_b32_e32 v99, v91
	v_cndmask_b32_e32 v102, v94, v101, vcc
	v_mov_b32_e32 v101, v93
	v_add_f64 v[99:100], v[99:100], v[101:102]
	v_cmp_lt_f64_e32 vcc, v[97:98], v[99:100]
	v_cndmask_b32_e32 v117, v117, v91, vcc
	v_mov_b32_e32 v91, s0
	s_add_i32 s0, s0, 1
	v_cndmask_b32_e32 v118, v118, v92, vcc
	v_cndmask_b32_e32 v120, v120, v94, vcc
	;; [unrolled: 1-line block ×4, first 2 shown]
	s_cmp_lg_u32 s3, s0
	s_cbranch_scc1 .LBB106_232
.LBB106_233:
	s_waitcnt lgkmcnt(0)
	v_cmp_eq_f64_e32 vcc, 0, v[117:118]
	v_cmp_eq_f64_e64 s[0:1], 0, v[119:120]
	s_and_b64 s[0:1], vcc, s[0:1]
	s_and_saveexec_b64 s[18:19], s[0:1]
	s_xor_b64 s[0:1], exec, s[18:19]
; %bb.234:
	v_cmp_ne_u32_e32 vcc, 0, v95
	v_cndmask_b32_e32 v95, 12, v95, vcc
; %bb.235:
	s_andn2_saveexec_b64 s[0:1], s[0:1]
	s_cbranch_execz .LBB106_241
; %bb.236:
	v_cmp_ngt_f64_e64 s[18:19], |v[117:118]|, |v[119:120]|
	s_and_saveexec_b64 s[20:21], s[18:19]
	s_xor_b64 s[18:19], exec, s[20:21]
	s_cbranch_execz .LBB106_238
; %bb.237:
	v_div_scale_f64 v[90:91], s[20:21], v[119:120], v[119:120], v[117:118]
	v_rcp_f64_e32 v[92:93], v[90:91]
	v_fma_f64 v[97:98], -v[90:91], v[92:93], 1.0
	v_fma_f64 v[92:93], v[92:93], v[97:98], v[92:93]
	v_div_scale_f64 v[97:98], vcc, v[117:118], v[119:120], v[117:118]
	v_fma_f64 v[99:100], -v[90:91], v[92:93], 1.0
	v_fma_f64 v[92:93], v[92:93], v[99:100], v[92:93]
	v_mul_f64 v[99:100], v[97:98], v[92:93]
	v_fma_f64 v[90:91], -v[90:91], v[99:100], v[97:98]
	v_div_fmas_f64 v[90:91], v[90:91], v[92:93], v[99:100]
	v_div_fixup_f64 v[90:91], v[90:91], v[119:120], v[117:118]
	v_fma_f64 v[92:93], v[117:118], v[90:91], v[119:120]
	v_div_scale_f64 v[97:98], s[20:21], v[92:93], v[92:93], 1.0
	v_div_scale_f64 v[103:104], vcc, 1.0, v[92:93], 1.0
	v_rcp_f64_e32 v[99:100], v[97:98]
	v_fma_f64 v[101:102], -v[97:98], v[99:100], 1.0
	v_fma_f64 v[99:100], v[99:100], v[101:102], v[99:100]
	v_fma_f64 v[101:102], -v[97:98], v[99:100], 1.0
	v_fma_f64 v[99:100], v[99:100], v[101:102], v[99:100]
	v_mul_f64 v[101:102], v[103:104], v[99:100]
	v_fma_f64 v[97:98], -v[97:98], v[101:102], v[103:104]
	v_div_fmas_f64 v[97:98], v[97:98], v[99:100], v[101:102]
	v_div_fixup_f64 v[119:120], v[97:98], v[92:93], 1.0
	v_mul_f64 v[117:118], v[90:91], v[119:120]
	v_xor_b32_e32 v120, 0x80000000, v120
.LBB106_238:
	s_andn2_saveexec_b64 s[18:19], s[18:19]
	s_cbranch_execz .LBB106_240
; %bb.239:
	v_div_scale_f64 v[90:91], s[20:21], v[117:118], v[117:118], v[119:120]
	v_rcp_f64_e32 v[92:93], v[90:91]
	v_fma_f64 v[97:98], -v[90:91], v[92:93], 1.0
	v_fma_f64 v[92:93], v[92:93], v[97:98], v[92:93]
	v_div_scale_f64 v[97:98], vcc, v[119:120], v[117:118], v[119:120]
	v_fma_f64 v[99:100], -v[90:91], v[92:93], 1.0
	v_fma_f64 v[92:93], v[92:93], v[99:100], v[92:93]
	v_mul_f64 v[99:100], v[97:98], v[92:93]
	v_fma_f64 v[90:91], -v[90:91], v[99:100], v[97:98]
	v_div_fmas_f64 v[90:91], v[90:91], v[92:93], v[99:100]
	v_div_fixup_f64 v[90:91], v[90:91], v[117:118], v[119:120]
	v_fma_f64 v[92:93], v[119:120], v[90:91], v[117:118]
	v_div_scale_f64 v[97:98], s[20:21], v[92:93], v[92:93], 1.0
	v_div_scale_f64 v[103:104], vcc, 1.0, v[92:93], 1.0
	v_rcp_f64_e32 v[99:100], v[97:98]
	v_fma_f64 v[101:102], -v[97:98], v[99:100], 1.0
	v_fma_f64 v[99:100], v[99:100], v[101:102], v[99:100]
	v_fma_f64 v[101:102], -v[97:98], v[99:100], 1.0
	v_fma_f64 v[99:100], v[99:100], v[101:102], v[99:100]
	v_mul_f64 v[101:102], v[103:104], v[99:100]
	v_fma_f64 v[97:98], -v[97:98], v[101:102], v[103:104]
	v_div_fmas_f64 v[97:98], v[97:98], v[99:100], v[101:102]
	v_div_fixup_f64 v[117:118], v[97:98], v[92:93], 1.0
	v_mul_f64 v[119:120], v[90:91], -v[117:118]
.LBB106_240:
	s_or_b64 exec, exec, s[18:19]
.LBB106_241:
	s_or_b64 exec, exec, s[0:1]
	v_cmp_ne_u32_e32 vcc, v96, v89
	s_and_saveexec_b64 s[0:1], vcc
	s_xor_b64 s[0:1], exec, s[0:1]
	s_cbranch_execz .LBB106_247
; %bb.242:
	v_cmp_eq_u32_e32 vcc, 11, v96
	s_and_saveexec_b64 s[18:19], vcc
	s_cbranch_execz .LBB106_246
; %bb.243:
	v_cmp_ne_u32_e32 vcc, 11, v89
	s_xor_b64 s[20:21], s[6:7], -1
	s_and_b64 s[22:23], s[20:21], vcc
	s_and_saveexec_b64 s[20:21], s[22:23]
	s_cbranch_execz .LBB106_245
; %bb.244:
	v_mov_b32_e32 v53, v81
	v_mov_b32_e32 v54, v82
	;; [unrolled: 1-line block ×4, first 2 shown]
	buffer_load_dword v81, off, s[24:27], 0 offset:436 ; 4-byte Folded Reload
	buffer_load_dword v82, off, s[24:27], 0 offset:440 ; 4-byte Folded Reload
	v_ashrrev_i32_e32 v90, 31, v89
	v_lshlrev_b64 v[90:91], 2, v[89:90]
	s_waitcnt vmcnt(1)
	v_add_co_u32_e32 v90, vcc, v81, v90
	s_waitcnt vmcnt(0)
	v_addc_co_u32_e32 v91, vcc, v82, v91, vcc
	global_load_dword v92, v[90:91], off
	global_load_dword v93, v[81:82], off offset:44
	s_waitcnt vmcnt(1)
	global_store_dword v[81:82], v92, off offset:44
	v_mov_b32_e32 v84, v56
	v_mov_b32_e32 v83, v55
	v_mov_b32_e32 v82, v54
	v_mov_b32_e32 v81, v53
	s_waitcnt vmcnt(1)
	global_store_dword v[90:91], v93, off
.LBB106_245:
	s_or_b64 exec, exec, s[20:21]
	v_mov_b32_e32 v96, v89
	v_mov_b32_e32 v53, v89
	buffer_store_dword v53, off, s[24:27], 0 offset:352 ; 4-byte Folded Spill
.LBB106_246:
	s_or_b64 exec, exec, s[18:19]
.LBB106_247:
	s_andn2_saveexec_b64 s[0:1], s[0:1]
	s_cbranch_execz .LBB106_249
; %bb.248:
	buffer_load_dword v53, off, s[24:27], 0 offset:272 ; 4-byte Folded Reload
	buffer_load_dword v54, off, s[24:27], 0 offset:276 ; 4-byte Folded Reload
	;; [unrolled: 1-line block ×4, first 2 shown]
	v_mov_b32_e32 v96, 11
	s_waitcnt vmcnt(0)
	ds_write2_b64 v0, v[53:54], v[55:56] offset0:24 offset1:25
	buffer_load_dword v53, off, s[24:27], 0 offset:256 ; 4-byte Folded Reload
	buffer_load_dword v54, off, s[24:27], 0 offset:260 ; 4-byte Folded Reload
	buffer_load_dword v55, off, s[24:27], 0 offset:264 ; 4-byte Folded Reload
	buffer_load_dword v56, off, s[24:27], 0 offset:268 ; 4-byte Folded Reload
	s_waitcnt vmcnt(0)
	ds_write2_b64 v0, v[53:54], v[55:56] offset0:26 offset1:27
	buffer_load_dword v53, off, s[24:27], 0 offset:240 ; 4-byte Folded Reload
	buffer_load_dword v54, off, s[24:27], 0 offset:244 ; 4-byte Folded Reload
	buffer_load_dword v55, off, s[24:27], 0 offset:248 ; 4-byte Folded Reload
	buffer_load_dword v56, off, s[24:27], 0 offset:252 ; 4-byte Folded Reload
	;; [unrolled: 6-line block ×16, first 2 shown]
	s_waitcnt vmcnt(0)
	ds_write2_b64 v0, v[53:54], v[55:56] offset0:56 offset1:57
	ds_write2_b64 v0, v[81:82], v[83:84] offset0:58 offset1:59
	;; [unrolled: 1-line block ×11, first 2 shown]
	buffer_load_dword v53, off, s[24:27], 0 ; 4-byte Folded Reload
	buffer_load_dword v54, off, s[24:27], 0 offset:4 ; 4-byte Folded Reload
	buffer_load_dword v55, off, s[24:27], 0 offset:8 ; 4-byte Folded Reload
	;; [unrolled: 1-line block ×3, first 2 shown]
	s_waitcnt vmcnt(0)
	ds_write2_b64 v0, v[53:54], v[55:56] offset0:78 offset1:79
	ds_write2_b64 v0, v[49:50], v[51:52] offset0:80 offset1:81
	;; [unrolled: 1-line block ×15, first 2 shown]
.LBB106_249:
	s_or_b64 exec, exec, s[0:1]
	v_cmp_lt_i32_e32 vcc, 11, v96
	s_waitcnt vmcnt(0) lgkmcnt(0)
	s_barrier
	s_and_saveexec_b64 s[0:1], vcc
	s_cbranch_execz .LBB106_251
; %bb.250:
	buffer_load_dword v97, off, s[24:27], 0 offset:288 ; 4-byte Folded Reload
	buffer_load_dword v98, off, s[24:27], 0 offset:292 ; 4-byte Folded Reload
	;; [unrolled: 1-line block ×4, first 2 shown]
	s_waitcnt vmcnt(0)
	v_mul_f64 v[89:90], v[119:120], v[99:100]
	v_fma_f64 v[125:126], v[117:118], v[97:98], -v[89:90]
	v_mul_f64 v[89:90], v[117:118], v[99:100]
	v_fma_f64 v[99:100], v[119:120], v[97:98], v[89:90]
	ds_read2_b64 v[89:92], v0 offset0:24 offset1:25
	buffer_load_dword v53, off, s[24:27], 0 offset:272 ; 4-byte Folded Reload
	buffer_load_dword v54, off, s[24:27], 0 offset:276 ; 4-byte Folded Reload
	;; [unrolled: 1-line block ×4, first 2 shown]
	v_mov_b32_e32 v97, v125
	v_mov_b32_e32 v98, v126
	s_waitcnt lgkmcnt(0)
	v_mul_f64 v[93:94], v[91:92], v[99:100]
	v_fma_f64 v[93:94], v[89:90], v[125:126], -v[93:94]
	v_mul_f64 v[89:90], v[89:90], v[99:100]
	v_fma_f64 v[89:90], v[91:92], v[125:126], v[89:90]
	s_waitcnt vmcnt(2)
	v_add_f64 v[53:54], v[53:54], -v[93:94]
	s_waitcnt vmcnt(0)
	v_add_f64 v[55:56], v[55:56], -v[89:90]
	buffer_store_dword v53, off, s[24:27], 0 offset:272 ; 4-byte Folded Spill
	s_nop 0
	buffer_store_dword v54, off, s[24:27], 0 offset:276 ; 4-byte Folded Spill
	buffer_store_dword v55, off, s[24:27], 0 offset:280 ; 4-byte Folded Spill
	buffer_store_dword v56, off, s[24:27], 0 offset:284 ; 4-byte Folded Spill
	ds_read2_b64 v[89:92], v0 offset0:26 offset1:27
	buffer_load_dword v53, off, s[24:27], 0 offset:256 ; 4-byte Folded Reload
	buffer_load_dword v54, off, s[24:27], 0 offset:260 ; 4-byte Folded Reload
	buffer_load_dword v55, off, s[24:27], 0 offset:264 ; 4-byte Folded Reload
	buffer_load_dword v56, off, s[24:27], 0 offset:268 ; 4-byte Folded Reload
	s_waitcnt lgkmcnt(0)
	v_mul_f64 v[93:94], v[91:92], v[99:100]
	v_fma_f64 v[93:94], v[89:90], v[125:126], -v[93:94]
	v_mul_f64 v[89:90], v[89:90], v[99:100]
	v_fma_f64 v[89:90], v[91:92], v[125:126], v[89:90]
	s_waitcnt vmcnt(2)
	v_add_f64 v[53:54], v[53:54], -v[93:94]
	s_waitcnt vmcnt(0)
	v_add_f64 v[55:56], v[55:56], -v[89:90]
	buffer_store_dword v53, off, s[24:27], 0 offset:256 ; 4-byte Folded Spill
	s_nop 0
	buffer_store_dword v54, off, s[24:27], 0 offset:260 ; 4-byte Folded Spill
	buffer_store_dword v55, off, s[24:27], 0 offset:264 ; 4-byte Folded Spill
	buffer_store_dword v56, off, s[24:27], 0 offset:268 ; 4-byte Folded Spill
	ds_read2_b64 v[89:92], v0 offset0:28 offset1:29
	buffer_load_dword v53, off, s[24:27], 0 offset:240 ; 4-byte Folded Reload
	buffer_load_dword v54, off, s[24:27], 0 offset:244 ; 4-byte Folded Reload
	buffer_load_dword v55, off, s[24:27], 0 offset:248 ; 4-byte Folded Reload
	buffer_load_dword v56, off, s[24:27], 0 offset:252 ; 4-byte Folded Reload
	;; [unrolled: 19-line block ×16, first 2 shown]
	s_waitcnt lgkmcnt(0)
	v_mul_f64 v[93:94], v[91:92], v[99:100]
	v_fma_f64 v[93:94], v[89:90], v[125:126], -v[93:94]
	v_mul_f64 v[89:90], v[89:90], v[99:100]
	v_fma_f64 v[89:90], v[91:92], v[125:126], v[89:90]
	s_waitcnt vmcnt(2)
	v_add_f64 v[53:54], v[53:54], -v[93:94]
	s_waitcnt vmcnt(0)
	v_add_f64 v[55:56], v[55:56], -v[89:90]
	buffer_store_dword v53, off, s[24:27], 0 offset:16 ; 4-byte Folded Spill
	s_nop 0
	buffer_store_dword v54, off, s[24:27], 0 offset:20 ; 4-byte Folded Spill
	buffer_store_dword v55, off, s[24:27], 0 offset:24 ; 4-byte Folded Spill
	buffer_store_dword v56, off, s[24:27], 0 offset:28 ; 4-byte Folded Spill
	ds_read2_b64 v[89:92], v0 offset0:58 offset1:59
	s_waitcnt lgkmcnt(0)
	v_mul_f64 v[93:94], v[91:92], v[99:100]
	v_fma_f64 v[93:94], v[89:90], v[125:126], -v[93:94]
	v_mul_f64 v[89:90], v[89:90], v[99:100]
	v_add_f64 v[81:82], v[81:82], -v[93:94]
	v_fma_f64 v[89:90], v[91:92], v[125:126], v[89:90]
	v_add_f64 v[83:84], v[83:84], -v[89:90]
	ds_read2_b64 v[89:92], v0 offset0:60 offset1:61
	s_waitcnt lgkmcnt(0)
	v_mul_f64 v[93:94], v[91:92], v[99:100]
	v_fma_f64 v[93:94], v[89:90], v[125:126], -v[93:94]
	v_mul_f64 v[89:90], v[89:90], v[99:100]
	v_add_f64 v[85:86], v[85:86], -v[93:94]
	v_fma_f64 v[89:90], v[91:92], v[125:126], v[89:90]
	v_add_f64 v[87:88], v[87:88], -v[89:90]
	ds_read2_b64 v[89:92], v0 offset0:62 offset1:63
	s_waitcnt lgkmcnt(0)
	v_mul_f64 v[93:94], v[91:92], v[99:100]
	v_fma_f64 v[93:94], v[89:90], v[125:126], -v[93:94]
	v_mul_f64 v[89:90], v[89:90], v[99:100]
	v_add_f64 v[109:110], v[109:110], -v[93:94]
	v_fma_f64 v[89:90], v[91:92], v[125:126], v[89:90]
	v_add_f64 v[111:112], v[111:112], -v[89:90]
	ds_read2_b64 v[89:92], v0 offset0:64 offset1:65
	s_waitcnt lgkmcnt(0)
	v_mul_f64 v[93:94], v[91:92], v[99:100]
	v_fma_f64 v[93:94], v[89:90], v[125:126], -v[93:94]
	v_mul_f64 v[89:90], v[89:90], v[99:100]
	v_add_f64 v[113:114], v[113:114], -v[93:94]
	v_fma_f64 v[89:90], v[91:92], v[125:126], v[89:90]
	v_add_f64 v[115:116], v[115:116], -v[89:90]
	ds_read2_b64 v[89:92], v0 offset0:66 offset1:67
	s_waitcnt lgkmcnt(0)
	v_mul_f64 v[93:94], v[91:92], v[99:100]
	v_fma_f64 v[93:94], v[89:90], v[125:126], -v[93:94]
	v_mul_f64 v[89:90], v[89:90], v[99:100]
	v_add_f64 v[77:78], v[77:78], -v[93:94]
	v_fma_f64 v[89:90], v[91:92], v[125:126], v[89:90]
	v_add_f64 v[79:80], v[79:80], -v[89:90]
	ds_read2_b64 v[89:92], v0 offset0:68 offset1:69
	s_waitcnt lgkmcnt(0)
	v_mul_f64 v[93:94], v[91:92], v[99:100]
	v_fma_f64 v[93:94], v[89:90], v[125:126], -v[93:94]
	v_mul_f64 v[89:90], v[89:90], v[99:100]
	v_add_f64 v[73:74], v[73:74], -v[93:94]
	v_fma_f64 v[89:90], v[91:92], v[125:126], v[89:90]
	v_add_f64 v[75:76], v[75:76], -v[89:90]
	ds_read2_b64 v[89:92], v0 offset0:70 offset1:71
	s_waitcnt lgkmcnt(0)
	v_mul_f64 v[93:94], v[91:92], v[99:100]
	v_fma_f64 v[93:94], v[89:90], v[125:126], -v[93:94]
	v_mul_f64 v[89:90], v[89:90], v[99:100]
	v_add_f64 v[69:70], v[69:70], -v[93:94]
	v_fma_f64 v[89:90], v[91:92], v[125:126], v[89:90]
	v_add_f64 v[71:72], v[71:72], -v[89:90]
	ds_read2_b64 v[89:92], v0 offset0:72 offset1:73
	s_waitcnt lgkmcnt(0)
	v_mul_f64 v[93:94], v[91:92], v[99:100]
	v_fma_f64 v[93:94], v[89:90], v[125:126], -v[93:94]
	v_mul_f64 v[89:90], v[89:90], v[99:100]
	v_add_f64 v[65:66], v[65:66], -v[93:94]
	v_fma_f64 v[89:90], v[91:92], v[125:126], v[89:90]
	v_add_f64 v[67:68], v[67:68], -v[89:90]
	ds_read2_b64 v[89:92], v0 offset0:74 offset1:75
	s_waitcnt lgkmcnt(0)
	v_mul_f64 v[93:94], v[91:92], v[99:100]
	v_fma_f64 v[93:94], v[89:90], v[125:126], -v[93:94]
	v_mul_f64 v[89:90], v[89:90], v[99:100]
	v_add_f64 v[61:62], v[61:62], -v[93:94]
	v_fma_f64 v[89:90], v[91:92], v[125:126], v[89:90]
	v_add_f64 v[63:64], v[63:64], -v[89:90]
	ds_read2_b64 v[89:92], v0 offset0:76 offset1:77
	s_waitcnt lgkmcnt(0)
	v_mul_f64 v[93:94], v[91:92], v[99:100]
	v_fma_f64 v[93:94], v[89:90], v[125:126], -v[93:94]
	v_mul_f64 v[89:90], v[89:90], v[99:100]
	v_add_f64 v[57:58], v[57:58], -v[93:94]
	v_fma_f64 v[89:90], v[91:92], v[125:126], v[89:90]
	v_add_f64 v[59:60], v[59:60], -v[89:90]
	ds_read2_b64 v[89:92], v0 offset0:78 offset1:79
	buffer_load_dword v53, off, s[24:27], 0 ; 4-byte Folded Reload
	buffer_load_dword v54, off, s[24:27], 0 offset:4 ; 4-byte Folded Reload
	buffer_load_dword v55, off, s[24:27], 0 offset:8 ; 4-byte Folded Reload
	;; [unrolled: 1-line block ×3, first 2 shown]
	s_waitcnt lgkmcnt(0)
	v_mul_f64 v[93:94], v[91:92], v[99:100]
	v_fma_f64 v[93:94], v[89:90], v[125:126], -v[93:94]
	v_mul_f64 v[89:90], v[89:90], v[99:100]
	v_fma_f64 v[89:90], v[91:92], v[125:126], v[89:90]
	s_waitcnt vmcnt(2)
	v_add_f64 v[53:54], v[53:54], -v[93:94]
	s_waitcnt vmcnt(0)
	v_add_f64 v[55:56], v[55:56], -v[89:90]
	buffer_store_dword v53, off, s[24:27], 0 ; 4-byte Folded Spill
	s_nop 0
	buffer_store_dword v54, off, s[24:27], 0 offset:4 ; 4-byte Folded Spill
	buffer_store_dword v55, off, s[24:27], 0 offset:8 ; 4-byte Folded Spill
	;; [unrolled: 1-line block ×3, first 2 shown]
	ds_read2_b64 v[89:92], v0 offset0:80 offset1:81
	s_waitcnt lgkmcnt(0)
	v_mul_f64 v[93:94], v[91:92], v[99:100]
	v_fma_f64 v[93:94], v[89:90], v[125:126], -v[93:94]
	v_mul_f64 v[89:90], v[89:90], v[99:100]
	v_add_f64 v[49:50], v[49:50], -v[93:94]
	v_fma_f64 v[89:90], v[91:92], v[125:126], v[89:90]
	v_add_f64 v[51:52], v[51:52], -v[89:90]
	ds_read2_b64 v[89:92], v0 offset0:82 offset1:83
	s_waitcnt lgkmcnt(0)
	v_mul_f64 v[93:94], v[91:92], v[99:100]
	v_fma_f64 v[93:94], v[89:90], v[125:126], -v[93:94]
	v_mul_f64 v[89:90], v[89:90], v[99:100]
	v_add_f64 v[45:46], v[45:46], -v[93:94]
	v_fma_f64 v[89:90], v[91:92], v[125:126], v[89:90]
	v_add_f64 v[47:48], v[47:48], -v[89:90]
	;; [unrolled: 8-line block ×13, first 2 shown]
	ds_read2_b64 v[89:92], v0 offset0:106 offset1:107
	s_waitcnt lgkmcnt(0)
	v_mul_f64 v[93:94], v[91:92], v[99:100]
	v_fma_f64 v[93:94], v[89:90], v[125:126], -v[93:94]
	v_mul_f64 v[89:90], v[89:90], v[99:100]
	buffer_store_dword v97, off, s[24:27], 0 offset:288 ; 4-byte Folded Spill
	s_nop 0
	buffer_store_dword v98, off, s[24:27], 0 offset:292 ; 4-byte Folded Spill
	buffer_store_dword v99, off, s[24:27], 0 offset:296 ; 4-byte Folded Spill
	;; [unrolled: 1-line block ×3, first 2 shown]
	v_add_f64 v[121:122], v[121:122], -v[93:94]
	v_fma_f64 v[89:90], v[91:92], v[125:126], v[89:90]
	v_add_f64 v[123:124], v[123:124], -v[89:90]
.LBB106_251:
	s_or_b64 exec, exec, s[0:1]
	s_waitcnt vmcnt(0)
	s_barrier
	buffer_load_dword v53, off, s[24:27], 0 offset:272 ; 4-byte Folded Reload
	buffer_load_dword v54, off, s[24:27], 0 offset:276 ; 4-byte Folded Reload
	;; [unrolled: 1-line block ×4, first 2 shown]
	v_lshl_add_u32 v89, v96, 4, v0
	s_cmp_lt_i32 s3, 14
	s_waitcnt vmcnt(0)
	ds_write2_b64 v89, v[53:54], v[55:56] offset1:1
	s_waitcnt lgkmcnt(0)
	s_barrier
	ds_read2_b64 v[117:120], v0 offset0:24 offset1:25
	v_mov_b32_e32 v89, 12
	s_cbranch_scc1 .LBB106_254
; %bb.252:
	v_add_u32_e32 v90, 0xd0, v0
	s_mov_b32 s0, 13
	v_mov_b32_e32 v89, 12
.LBB106_253:                            ; =>This Inner Loop Header: Depth=1
	s_waitcnt lgkmcnt(0)
	v_cmp_gt_f64_e32 vcc, 0, v[117:118]
	v_xor_b32_e32 v97, 0x80000000, v118
	ds_read2_b64 v[91:94], v90 offset1:1
	v_xor_b32_e32 v99, 0x80000000, v120
	v_add_u32_e32 v90, 16, v90
	s_waitcnt lgkmcnt(0)
	v_xor_b32_e32 v101, 0x80000000, v94
	v_cndmask_b32_e32 v98, v118, v97, vcc
	v_cmp_gt_f64_e32 vcc, 0, v[119:120]
	v_mov_b32_e32 v97, v117
	v_cndmask_b32_e32 v100, v120, v99, vcc
	v_cmp_gt_f64_e32 vcc, 0, v[91:92]
	v_mov_b32_e32 v99, v119
	v_add_f64 v[97:98], v[97:98], v[99:100]
	v_xor_b32_e32 v99, 0x80000000, v92
	v_cndmask_b32_e32 v100, v92, v99, vcc
	v_cmp_gt_f64_e32 vcc, 0, v[93:94]
	v_mov_b32_e32 v99, v91
	v_cndmask_b32_e32 v102, v94, v101, vcc
	v_mov_b32_e32 v101, v93
	v_add_f64 v[99:100], v[99:100], v[101:102]
	v_cmp_lt_f64_e32 vcc, v[97:98], v[99:100]
	v_cndmask_b32_e32 v117, v117, v91, vcc
	v_mov_b32_e32 v91, s0
	s_add_i32 s0, s0, 1
	v_cndmask_b32_e32 v118, v118, v92, vcc
	v_cndmask_b32_e32 v120, v120, v94, vcc
	;; [unrolled: 1-line block ×4, first 2 shown]
	s_cmp_lg_u32 s3, s0
	s_cbranch_scc1 .LBB106_253
.LBB106_254:
	s_waitcnt lgkmcnt(0)
	v_cmp_eq_f64_e32 vcc, 0, v[117:118]
	v_cmp_eq_f64_e64 s[0:1], 0, v[119:120]
	s_and_b64 s[0:1], vcc, s[0:1]
	s_and_saveexec_b64 s[18:19], s[0:1]
	s_xor_b64 s[0:1], exec, s[18:19]
; %bb.255:
	v_cmp_ne_u32_e32 vcc, 0, v95
	v_cndmask_b32_e32 v95, 13, v95, vcc
; %bb.256:
	s_andn2_saveexec_b64 s[0:1], s[0:1]
	s_cbranch_execz .LBB106_262
; %bb.257:
	v_cmp_ngt_f64_e64 s[18:19], |v[117:118]|, |v[119:120]|
	s_and_saveexec_b64 s[20:21], s[18:19]
	s_xor_b64 s[18:19], exec, s[20:21]
	s_cbranch_execz .LBB106_259
; %bb.258:
	v_div_scale_f64 v[90:91], s[20:21], v[119:120], v[119:120], v[117:118]
	v_rcp_f64_e32 v[92:93], v[90:91]
	v_fma_f64 v[97:98], -v[90:91], v[92:93], 1.0
	v_fma_f64 v[92:93], v[92:93], v[97:98], v[92:93]
	v_div_scale_f64 v[97:98], vcc, v[117:118], v[119:120], v[117:118]
	v_fma_f64 v[99:100], -v[90:91], v[92:93], 1.0
	v_fma_f64 v[92:93], v[92:93], v[99:100], v[92:93]
	v_mul_f64 v[99:100], v[97:98], v[92:93]
	v_fma_f64 v[90:91], -v[90:91], v[99:100], v[97:98]
	v_div_fmas_f64 v[90:91], v[90:91], v[92:93], v[99:100]
	v_div_fixup_f64 v[90:91], v[90:91], v[119:120], v[117:118]
	v_fma_f64 v[92:93], v[117:118], v[90:91], v[119:120]
	v_div_scale_f64 v[97:98], s[20:21], v[92:93], v[92:93], 1.0
	v_div_scale_f64 v[103:104], vcc, 1.0, v[92:93], 1.0
	v_rcp_f64_e32 v[99:100], v[97:98]
	v_fma_f64 v[101:102], -v[97:98], v[99:100], 1.0
	v_fma_f64 v[99:100], v[99:100], v[101:102], v[99:100]
	v_fma_f64 v[101:102], -v[97:98], v[99:100], 1.0
	v_fma_f64 v[99:100], v[99:100], v[101:102], v[99:100]
	v_mul_f64 v[101:102], v[103:104], v[99:100]
	v_fma_f64 v[97:98], -v[97:98], v[101:102], v[103:104]
	v_div_fmas_f64 v[97:98], v[97:98], v[99:100], v[101:102]
	v_div_fixup_f64 v[119:120], v[97:98], v[92:93], 1.0
	v_mul_f64 v[117:118], v[90:91], v[119:120]
	v_xor_b32_e32 v120, 0x80000000, v120
.LBB106_259:
	s_andn2_saveexec_b64 s[18:19], s[18:19]
	s_cbranch_execz .LBB106_261
; %bb.260:
	v_div_scale_f64 v[90:91], s[20:21], v[117:118], v[117:118], v[119:120]
	v_rcp_f64_e32 v[92:93], v[90:91]
	v_fma_f64 v[97:98], -v[90:91], v[92:93], 1.0
	v_fma_f64 v[92:93], v[92:93], v[97:98], v[92:93]
	v_div_scale_f64 v[97:98], vcc, v[119:120], v[117:118], v[119:120]
	v_fma_f64 v[99:100], -v[90:91], v[92:93], 1.0
	v_fma_f64 v[92:93], v[92:93], v[99:100], v[92:93]
	v_mul_f64 v[99:100], v[97:98], v[92:93]
	v_fma_f64 v[90:91], -v[90:91], v[99:100], v[97:98]
	v_div_fmas_f64 v[90:91], v[90:91], v[92:93], v[99:100]
	v_div_fixup_f64 v[90:91], v[90:91], v[117:118], v[119:120]
	v_fma_f64 v[92:93], v[119:120], v[90:91], v[117:118]
	v_div_scale_f64 v[97:98], s[20:21], v[92:93], v[92:93], 1.0
	v_div_scale_f64 v[103:104], vcc, 1.0, v[92:93], 1.0
	v_rcp_f64_e32 v[99:100], v[97:98]
	v_fma_f64 v[101:102], -v[97:98], v[99:100], 1.0
	v_fma_f64 v[99:100], v[99:100], v[101:102], v[99:100]
	v_fma_f64 v[101:102], -v[97:98], v[99:100], 1.0
	v_fma_f64 v[99:100], v[99:100], v[101:102], v[99:100]
	v_mul_f64 v[101:102], v[103:104], v[99:100]
	v_fma_f64 v[97:98], -v[97:98], v[101:102], v[103:104]
	v_div_fmas_f64 v[97:98], v[97:98], v[99:100], v[101:102]
	v_div_fixup_f64 v[117:118], v[97:98], v[92:93], 1.0
	v_mul_f64 v[119:120], v[90:91], -v[117:118]
.LBB106_261:
	s_or_b64 exec, exec, s[18:19]
.LBB106_262:
	s_or_b64 exec, exec, s[0:1]
	v_cmp_ne_u32_e32 vcc, v96, v89
	s_and_saveexec_b64 s[0:1], vcc
	s_xor_b64 s[0:1], exec, s[0:1]
	s_cbranch_execz .LBB106_268
; %bb.263:
	v_cmp_eq_u32_e32 vcc, 12, v96
	s_and_saveexec_b64 s[18:19], vcc
	s_cbranch_execz .LBB106_267
; %bb.264:
	v_cmp_ne_u32_e32 vcc, 12, v89
	s_xor_b64 s[20:21], s[6:7], -1
	s_and_b64 s[22:23], s[20:21], vcc
	s_and_saveexec_b64 s[20:21], s[22:23]
	s_cbranch_execz .LBB106_266
; %bb.265:
	v_mov_b32_e32 v53, v81
	v_mov_b32_e32 v54, v82
	;; [unrolled: 1-line block ×4, first 2 shown]
	buffer_load_dword v81, off, s[24:27], 0 offset:436 ; 4-byte Folded Reload
	buffer_load_dword v82, off, s[24:27], 0 offset:440 ; 4-byte Folded Reload
	v_ashrrev_i32_e32 v90, 31, v89
	v_lshlrev_b64 v[90:91], 2, v[89:90]
	s_waitcnt vmcnt(1)
	v_add_co_u32_e32 v90, vcc, v81, v90
	s_waitcnt vmcnt(0)
	v_addc_co_u32_e32 v91, vcc, v82, v91, vcc
	global_load_dword v92, v[90:91], off
	global_load_dword v93, v[81:82], off offset:48
	s_waitcnt vmcnt(1)
	global_store_dword v[81:82], v92, off offset:48
	v_mov_b32_e32 v84, v56
	v_mov_b32_e32 v83, v55
	;; [unrolled: 1-line block ×4, first 2 shown]
	s_waitcnt vmcnt(1)
	global_store_dword v[90:91], v93, off
.LBB106_266:
	s_or_b64 exec, exec, s[20:21]
	v_mov_b32_e32 v96, v89
	v_mov_b32_e32 v53, v89
	buffer_store_dword v53, off, s[24:27], 0 offset:352 ; 4-byte Folded Spill
.LBB106_267:
	s_or_b64 exec, exec, s[18:19]
.LBB106_268:
	s_andn2_saveexec_b64 s[0:1], s[0:1]
	s_cbranch_execz .LBB106_270
; %bb.269:
	buffer_load_dword v53, off, s[24:27], 0 offset:256 ; 4-byte Folded Reload
	buffer_load_dword v54, off, s[24:27], 0 offset:260 ; 4-byte Folded Reload
	;; [unrolled: 1-line block ×4, first 2 shown]
	v_mov_b32_e32 v96, 12
	s_waitcnt vmcnt(0)
	ds_write2_b64 v0, v[53:54], v[55:56] offset0:26 offset1:27
	buffer_load_dword v53, off, s[24:27], 0 offset:240 ; 4-byte Folded Reload
	buffer_load_dword v54, off, s[24:27], 0 offset:244 ; 4-byte Folded Reload
	buffer_load_dword v55, off, s[24:27], 0 offset:248 ; 4-byte Folded Reload
	buffer_load_dword v56, off, s[24:27], 0 offset:252 ; 4-byte Folded Reload
	s_waitcnt vmcnt(0)
	ds_write2_b64 v0, v[53:54], v[55:56] offset0:28 offset1:29
	buffer_load_dword v53, off, s[24:27], 0 offset:224 ; 4-byte Folded Reload
	buffer_load_dword v54, off, s[24:27], 0 offset:228 ; 4-byte Folded Reload
	buffer_load_dword v55, off, s[24:27], 0 offset:232 ; 4-byte Folded Reload
	buffer_load_dword v56, off, s[24:27], 0 offset:236 ; 4-byte Folded Reload
	s_waitcnt vmcnt(0)
	ds_write2_b64 v0, v[53:54], v[55:56] offset0:30 offset1:31
	buffer_load_dword v53, off, s[24:27], 0 offset:208 ; 4-byte Folded Reload
	buffer_load_dword v54, off, s[24:27], 0 offset:212 ; 4-byte Folded Reload
	buffer_load_dword v55, off, s[24:27], 0 offset:216 ; 4-byte Folded Reload
	buffer_load_dword v56, off, s[24:27], 0 offset:220 ; 4-byte Folded Reload
	s_waitcnt vmcnt(0)
	ds_write2_b64 v0, v[53:54], v[55:56] offset0:32 offset1:33
	buffer_load_dword v53, off, s[24:27], 0 offset:192 ; 4-byte Folded Reload
	buffer_load_dword v54, off, s[24:27], 0 offset:196 ; 4-byte Folded Reload
	buffer_load_dword v55, off, s[24:27], 0 offset:200 ; 4-byte Folded Reload
	buffer_load_dword v56, off, s[24:27], 0 offset:204 ; 4-byte Folded Reload
	s_waitcnt vmcnt(0)
	ds_write2_b64 v0, v[53:54], v[55:56] offset0:34 offset1:35
	buffer_load_dword v53, off, s[24:27], 0 offset:176 ; 4-byte Folded Reload
	buffer_load_dword v54, off, s[24:27], 0 offset:180 ; 4-byte Folded Reload
	buffer_load_dword v55, off, s[24:27], 0 offset:184 ; 4-byte Folded Reload
	buffer_load_dword v56, off, s[24:27], 0 offset:188 ; 4-byte Folded Reload
	s_waitcnt vmcnt(0)
	ds_write2_b64 v0, v[53:54], v[55:56] offset0:36 offset1:37
	buffer_load_dword v53, off, s[24:27], 0 offset:160 ; 4-byte Folded Reload
	buffer_load_dword v54, off, s[24:27], 0 offset:164 ; 4-byte Folded Reload
	buffer_load_dword v55, off, s[24:27], 0 offset:168 ; 4-byte Folded Reload
	buffer_load_dword v56, off, s[24:27], 0 offset:172 ; 4-byte Folded Reload
	s_waitcnt vmcnt(0)
	ds_write2_b64 v0, v[53:54], v[55:56] offset0:38 offset1:39
	buffer_load_dword v53, off, s[24:27], 0 offset:144 ; 4-byte Folded Reload
	buffer_load_dword v54, off, s[24:27], 0 offset:148 ; 4-byte Folded Reload
	buffer_load_dword v55, off, s[24:27], 0 offset:152 ; 4-byte Folded Reload
	buffer_load_dword v56, off, s[24:27], 0 offset:156 ; 4-byte Folded Reload
	s_waitcnt vmcnt(0)
	ds_write2_b64 v0, v[53:54], v[55:56] offset0:40 offset1:41
	buffer_load_dword v53, off, s[24:27], 0 offset:128 ; 4-byte Folded Reload
	buffer_load_dword v54, off, s[24:27], 0 offset:132 ; 4-byte Folded Reload
	buffer_load_dword v55, off, s[24:27], 0 offset:136 ; 4-byte Folded Reload
	buffer_load_dword v56, off, s[24:27], 0 offset:140 ; 4-byte Folded Reload
	s_waitcnt vmcnt(0)
	ds_write2_b64 v0, v[53:54], v[55:56] offset0:42 offset1:43
	buffer_load_dword v53, off, s[24:27], 0 offset:112 ; 4-byte Folded Reload
	buffer_load_dword v54, off, s[24:27], 0 offset:116 ; 4-byte Folded Reload
	buffer_load_dword v55, off, s[24:27], 0 offset:120 ; 4-byte Folded Reload
	buffer_load_dword v56, off, s[24:27], 0 offset:124 ; 4-byte Folded Reload
	s_waitcnt vmcnt(0)
	ds_write2_b64 v0, v[53:54], v[55:56] offset0:44 offset1:45
	buffer_load_dword v53, off, s[24:27], 0 offset:96 ; 4-byte Folded Reload
	buffer_load_dword v54, off, s[24:27], 0 offset:100 ; 4-byte Folded Reload
	buffer_load_dword v55, off, s[24:27], 0 offset:104 ; 4-byte Folded Reload
	buffer_load_dword v56, off, s[24:27], 0 offset:108 ; 4-byte Folded Reload
	s_waitcnt vmcnt(0)
	ds_write2_b64 v0, v[53:54], v[55:56] offset0:46 offset1:47
	buffer_load_dword v53, off, s[24:27], 0 offset:80 ; 4-byte Folded Reload
	buffer_load_dword v54, off, s[24:27], 0 offset:84 ; 4-byte Folded Reload
	buffer_load_dword v55, off, s[24:27], 0 offset:88 ; 4-byte Folded Reload
	buffer_load_dword v56, off, s[24:27], 0 offset:92 ; 4-byte Folded Reload
	s_waitcnt vmcnt(0)
	ds_write2_b64 v0, v[53:54], v[55:56] offset0:48 offset1:49
	buffer_load_dword v53, off, s[24:27], 0 offset:64 ; 4-byte Folded Reload
	buffer_load_dword v54, off, s[24:27], 0 offset:68 ; 4-byte Folded Reload
	buffer_load_dword v55, off, s[24:27], 0 offset:72 ; 4-byte Folded Reload
	buffer_load_dword v56, off, s[24:27], 0 offset:76 ; 4-byte Folded Reload
	s_waitcnt vmcnt(0)
	ds_write2_b64 v0, v[53:54], v[55:56] offset0:50 offset1:51
	buffer_load_dword v53, off, s[24:27], 0 offset:48 ; 4-byte Folded Reload
	buffer_load_dword v54, off, s[24:27], 0 offset:52 ; 4-byte Folded Reload
	buffer_load_dword v55, off, s[24:27], 0 offset:56 ; 4-byte Folded Reload
	buffer_load_dword v56, off, s[24:27], 0 offset:60 ; 4-byte Folded Reload
	s_waitcnt vmcnt(0)
	ds_write2_b64 v0, v[53:54], v[55:56] offset0:52 offset1:53
	buffer_load_dword v53, off, s[24:27], 0 offset:32 ; 4-byte Folded Reload
	buffer_load_dword v54, off, s[24:27], 0 offset:36 ; 4-byte Folded Reload
	buffer_load_dword v55, off, s[24:27], 0 offset:40 ; 4-byte Folded Reload
	buffer_load_dword v56, off, s[24:27], 0 offset:44 ; 4-byte Folded Reload
	s_waitcnt vmcnt(0)
	ds_write2_b64 v0, v[53:54], v[55:56] offset0:54 offset1:55
	buffer_load_dword v53, off, s[24:27], 0 offset:16 ; 4-byte Folded Reload
	buffer_load_dword v54, off, s[24:27], 0 offset:20 ; 4-byte Folded Reload
	buffer_load_dword v55, off, s[24:27], 0 offset:24 ; 4-byte Folded Reload
	buffer_load_dword v56, off, s[24:27], 0 offset:28 ; 4-byte Folded Reload
	s_waitcnt vmcnt(0)
	ds_write2_b64 v0, v[53:54], v[55:56] offset0:56 offset1:57
	ds_write2_b64 v0, v[81:82], v[83:84] offset0:58 offset1:59
	;; [unrolled: 1-line block ×11, first 2 shown]
	buffer_load_dword v53, off, s[24:27], 0 ; 4-byte Folded Reload
	buffer_load_dword v54, off, s[24:27], 0 offset:4 ; 4-byte Folded Reload
	buffer_load_dword v55, off, s[24:27], 0 offset:8 ; 4-byte Folded Reload
	buffer_load_dword v56, off, s[24:27], 0 offset:12 ; 4-byte Folded Reload
	s_waitcnt vmcnt(0)
	ds_write2_b64 v0, v[53:54], v[55:56] offset0:78 offset1:79
	ds_write2_b64 v0, v[49:50], v[51:52] offset0:80 offset1:81
	;; [unrolled: 1-line block ×15, first 2 shown]
.LBB106_270:
	s_or_b64 exec, exec, s[0:1]
	v_cmp_lt_i32_e32 vcc, 12, v96
	s_waitcnt vmcnt(0) lgkmcnt(0)
	s_barrier
	s_and_saveexec_b64 s[0:1], vcc
	s_cbranch_execz .LBB106_272
; %bb.271:
	buffer_load_dword v97, off, s[24:27], 0 offset:272 ; 4-byte Folded Reload
	buffer_load_dword v98, off, s[24:27], 0 offset:276 ; 4-byte Folded Reload
	;; [unrolled: 1-line block ×4, first 2 shown]
	s_waitcnt vmcnt(0)
	v_mul_f64 v[89:90], v[119:120], v[99:100]
	v_fma_f64 v[125:126], v[117:118], v[97:98], -v[89:90]
	v_mul_f64 v[89:90], v[117:118], v[99:100]
	v_fma_f64 v[99:100], v[119:120], v[97:98], v[89:90]
	ds_read2_b64 v[89:92], v0 offset0:26 offset1:27
	buffer_load_dword v53, off, s[24:27], 0 offset:256 ; 4-byte Folded Reload
	buffer_load_dword v54, off, s[24:27], 0 offset:260 ; 4-byte Folded Reload
	;; [unrolled: 1-line block ×4, first 2 shown]
	v_mov_b32_e32 v97, v125
	v_mov_b32_e32 v98, v126
	s_waitcnt lgkmcnt(0)
	v_mul_f64 v[93:94], v[91:92], v[99:100]
	v_fma_f64 v[93:94], v[89:90], v[125:126], -v[93:94]
	v_mul_f64 v[89:90], v[89:90], v[99:100]
	v_fma_f64 v[89:90], v[91:92], v[125:126], v[89:90]
	s_waitcnt vmcnt(2)
	v_add_f64 v[53:54], v[53:54], -v[93:94]
	s_waitcnt vmcnt(0)
	v_add_f64 v[55:56], v[55:56], -v[89:90]
	buffer_store_dword v53, off, s[24:27], 0 offset:256 ; 4-byte Folded Spill
	s_nop 0
	buffer_store_dword v54, off, s[24:27], 0 offset:260 ; 4-byte Folded Spill
	buffer_store_dword v55, off, s[24:27], 0 offset:264 ; 4-byte Folded Spill
	buffer_store_dword v56, off, s[24:27], 0 offset:268 ; 4-byte Folded Spill
	ds_read2_b64 v[89:92], v0 offset0:28 offset1:29
	buffer_load_dword v53, off, s[24:27], 0 offset:240 ; 4-byte Folded Reload
	buffer_load_dword v54, off, s[24:27], 0 offset:244 ; 4-byte Folded Reload
	buffer_load_dword v55, off, s[24:27], 0 offset:248 ; 4-byte Folded Reload
	buffer_load_dword v56, off, s[24:27], 0 offset:252 ; 4-byte Folded Reload
	s_waitcnt lgkmcnt(0)
	v_mul_f64 v[93:94], v[91:92], v[99:100]
	v_fma_f64 v[93:94], v[89:90], v[125:126], -v[93:94]
	v_mul_f64 v[89:90], v[89:90], v[99:100]
	v_fma_f64 v[89:90], v[91:92], v[125:126], v[89:90]
	s_waitcnt vmcnt(2)
	v_add_f64 v[53:54], v[53:54], -v[93:94]
	s_waitcnt vmcnt(0)
	v_add_f64 v[55:56], v[55:56], -v[89:90]
	buffer_store_dword v53, off, s[24:27], 0 offset:240 ; 4-byte Folded Spill
	s_nop 0
	buffer_store_dword v54, off, s[24:27], 0 offset:244 ; 4-byte Folded Spill
	buffer_store_dword v55, off, s[24:27], 0 offset:248 ; 4-byte Folded Spill
	buffer_store_dword v56, off, s[24:27], 0 offset:252 ; 4-byte Folded Spill
	ds_read2_b64 v[89:92], v0 offset0:30 offset1:31
	buffer_load_dword v53, off, s[24:27], 0 offset:224 ; 4-byte Folded Reload
	buffer_load_dword v54, off, s[24:27], 0 offset:228 ; 4-byte Folded Reload
	buffer_load_dword v55, off, s[24:27], 0 offset:232 ; 4-byte Folded Reload
	buffer_load_dword v56, off, s[24:27], 0 offset:236 ; 4-byte Folded Reload
	;; [unrolled: 19-line block ×15, first 2 shown]
	s_waitcnt lgkmcnt(0)
	v_mul_f64 v[93:94], v[91:92], v[99:100]
	v_fma_f64 v[93:94], v[89:90], v[125:126], -v[93:94]
	v_mul_f64 v[89:90], v[89:90], v[99:100]
	v_fma_f64 v[89:90], v[91:92], v[125:126], v[89:90]
	s_waitcnt vmcnt(2)
	v_add_f64 v[53:54], v[53:54], -v[93:94]
	s_waitcnt vmcnt(0)
	v_add_f64 v[55:56], v[55:56], -v[89:90]
	buffer_store_dword v53, off, s[24:27], 0 offset:16 ; 4-byte Folded Spill
	s_nop 0
	buffer_store_dword v54, off, s[24:27], 0 offset:20 ; 4-byte Folded Spill
	buffer_store_dword v55, off, s[24:27], 0 offset:24 ; 4-byte Folded Spill
	;; [unrolled: 1-line block ×3, first 2 shown]
	ds_read2_b64 v[89:92], v0 offset0:58 offset1:59
	s_waitcnt lgkmcnt(0)
	v_mul_f64 v[93:94], v[91:92], v[99:100]
	v_fma_f64 v[93:94], v[89:90], v[125:126], -v[93:94]
	v_mul_f64 v[89:90], v[89:90], v[99:100]
	v_add_f64 v[81:82], v[81:82], -v[93:94]
	v_fma_f64 v[89:90], v[91:92], v[125:126], v[89:90]
	v_add_f64 v[83:84], v[83:84], -v[89:90]
	ds_read2_b64 v[89:92], v0 offset0:60 offset1:61
	s_waitcnt lgkmcnt(0)
	v_mul_f64 v[93:94], v[91:92], v[99:100]
	v_fma_f64 v[93:94], v[89:90], v[125:126], -v[93:94]
	v_mul_f64 v[89:90], v[89:90], v[99:100]
	v_add_f64 v[85:86], v[85:86], -v[93:94]
	v_fma_f64 v[89:90], v[91:92], v[125:126], v[89:90]
	v_add_f64 v[87:88], v[87:88], -v[89:90]
	;; [unrolled: 8-line block ×10, first 2 shown]
	ds_read2_b64 v[89:92], v0 offset0:78 offset1:79
	buffer_load_dword v53, off, s[24:27], 0 ; 4-byte Folded Reload
	buffer_load_dword v54, off, s[24:27], 0 offset:4 ; 4-byte Folded Reload
	buffer_load_dword v55, off, s[24:27], 0 offset:8 ; 4-byte Folded Reload
	;; [unrolled: 1-line block ×3, first 2 shown]
	s_waitcnt lgkmcnt(0)
	v_mul_f64 v[93:94], v[91:92], v[99:100]
	v_fma_f64 v[93:94], v[89:90], v[125:126], -v[93:94]
	v_mul_f64 v[89:90], v[89:90], v[99:100]
	v_fma_f64 v[89:90], v[91:92], v[125:126], v[89:90]
	s_waitcnt vmcnt(2)
	v_add_f64 v[53:54], v[53:54], -v[93:94]
	s_waitcnt vmcnt(0)
	v_add_f64 v[55:56], v[55:56], -v[89:90]
	buffer_store_dword v53, off, s[24:27], 0 ; 4-byte Folded Spill
	s_nop 0
	buffer_store_dword v54, off, s[24:27], 0 offset:4 ; 4-byte Folded Spill
	buffer_store_dword v55, off, s[24:27], 0 offset:8 ; 4-byte Folded Spill
	;; [unrolled: 1-line block ×3, first 2 shown]
	ds_read2_b64 v[89:92], v0 offset0:80 offset1:81
	s_waitcnt lgkmcnt(0)
	v_mul_f64 v[93:94], v[91:92], v[99:100]
	v_fma_f64 v[93:94], v[89:90], v[125:126], -v[93:94]
	v_mul_f64 v[89:90], v[89:90], v[99:100]
	v_add_f64 v[49:50], v[49:50], -v[93:94]
	v_fma_f64 v[89:90], v[91:92], v[125:126], v[89:90]
	v_add_f64 v[51:52], v[51:52], -v[89:90]
	ds_read2_b64 v[89:92], v0 offset0:82 offset1:83
	s_waitcnt lgkmcnt(0)
	v_mul_f64 v[93:94], v[91:92], v[99:100]
	v_fma_f64 v[93:94], v[89:90], v[125:126], -v[93:94]
	v_mul_f64 v[89:90], v[89:90], v[99:100]
	v_add_f64 v[45:46], v[45:46], -v[93:94]
	v_fma_f64 v[89:90], v[91:92], v[125:126], v[89:90]
	v_add_f64 v[47:48], v[47:48], -v[89:90]
	;; [unrolled: 8-line block ×13, first 2 shown]
	ds_read2_b64 v[89:92], v0 offset0:106 offset1:107
	s_waitcnt lgkmcnt(0)
	v_mul_f64 v[93:94], v[91:92], v[99:100]
	v_fma_f64 v[93:94], v[89:90], v[125:126], -v[93:94]
	v_mul_f64 v[89:90], v[89:90], v[99:100]
	buffer_store_dword v97, off, s[24:27], 0 offset:272 ; 4-byte Folded Spill
	s_nop 0
	buffer_store_dword v98, off, s[24:27], 0 offset:276 ; 4-byte Folded Spill
	buffer_store_dword v99, off, s[24:27], 0 offset:280 ; 4-byte Folded Spill
	;; [unrolled: 1-line block ×3, first 2 shown]
	v_add_f64 v[121:122], v[121:122], -v[93:94]
	v_fma_f64 v[89:90], v[91:92], v[125:126], v[89:90]
	v_add_f64 v[123:124], v[123:124], -v[89:90]
.LBB106_272:
	s_or_b64 exec, exec, s[0:1]
	s_waitcnt vmcnt(0)
	s_barrier
	buffer_load_dword v53, off, s[24:27], 0 offset:256 ; 4-byte Folded Reload
	buffer_load_dword v54, off, s[24:27], 0 offset:260 ; 4-byte Folded Reload
	;; [unrolled: 1-line block ×4, first 2 shown]
	v_lshl_add_u32 v89, v96, 4, v0
	s_cmp_lt_i32 s3, 15
	s_waitcnt vmcnt(0)
	ds_write2_b64 v89, v[53:54], v[55:56] offset1:1
	s_waitcnt lgkmcnt(0)
	s_barrier
	ds_read2_b64 v[117:120], v0 offset0:26 offset1:27
	v_mov_b32_e32 v89, 13
	s_cbranch_scc1 .LBB106_275
; %bb.273:
	v_add_u32_e32 v90, 0xe0, v0
	s_mov_b32 s0, 14
	v_mov_b32_e32 v89, 13
.LBB106_274:                            ; =>This Inner Loop Header: Depth=1
	s_waitcnt lgkmcnt(0)
	v_cmp_gt_f64_e32 vcc, 0, v[117:118]
	v_xor_b32_e32 v97, 0x80000000, v118
	ds_read2_b64 v[91:94], v90 offset1:1
	v_xor_b32_e32 v99, 0x80000000, v120
	v_add_u32_e32 v90, 16, v90
	s_waitcnt lgkmcnt(0)
	v_xor_b32_e32 v101, 0x80000000, v94
	v_cndmask_b32_e32 v98, v118, v97, vcc
	v_cmp_gt_f64_e32 vcc, 0, v[119:120]
	v_mov_b32_e32 v97, v117
	v_cndmask_b32_e32 v100, v120, v99, vcc
	v_cmp_gt_f64_e32 vcc, 0, v[91:92]
	v_mov_b32_e32 v99, v119
	v_add_f64 v[97:98], v[97:98], v[99:100]
	v_xor_b32_e32 v99, 0x80000000, v92
	v_cndmask_b32_e32 v100, v92, v99, vcc
	v_cmp_gt_f64_e32 vcc, 0, v[93:94]
	v_mov_b32_e32 v99, v91
	v_cndmask_b32_e32 v102, v94, v101, vcc
	v_mov_b32_e32 v101, v93
	v_add_f64 v[99:100], v[99:100], v[101:102]
	v_cmp_lt_f64_e32 vcc, v[97:98], v[99:100]
	v_cndmask_b32_e32 v117, v117, v91, vcc
	v_mov_b32_e32 v91, s0
	s_add_i32 s0, s0, 1
	v_cndmask_b32_e32 v118, v118, v92, vcc
	v_cndmask_b32_e32 v120, v120, v94, vcc
	v_cndmask_b32_e32 v119, v119, v93, vcc
	v_cndmask_b32_e32 v89, v89, v91, vcc
	s_cmp_lg_u32 s3, s0
	s_cbranch_scc1 .LBB106_274
.LBB106_275:
	s_waitcnt lgkmcnt(0)
	v_cmp_eq_f64_e32 vcc, 0, v[117:118]
	v_cmp_eq_f64_e64 s[0:1], 0, v[119:120]
	s_and_b64 s[0:1], vcc, s[0:1]
	s_and_saveexec_b64 s[18:19], s[0:1]
	s_xor_b64 s[0:1], exec, s[18:19]
; %bb.276:
	v_cmp_ne_u32_e32 vcc, 0, v95
	v_cndmask_b32_e32 v95, 14, v95, vcc
; %bb.277:
	s_andn2_saveexec_b64 s[0:1], s[0:1]
	s_cbranch_execz .LBB106_283
; %bb.278:
	v_cmp_ngt_f64_e64 s[18:19], |v[117:118]|, |v[119:120]|
	s_and_saveexec_b64 s[20:21], s[18:19]
	s_xor_b64 s[18:19], exec, s[20:21]
	s_cbranch_execz .LBB106_280
; %bb.279:
	v_div_scale_f64 v[90:91], s[20:21], v[119:120], v[119:120], v[117:118]
	v_rcp_f64_e32 v[92:93], v[90:91]
	v_fma_f64 v[97:98], -v[90:91], v[92:93], 1.0
	v_fma_f64 v[92:93], v[92:93], v[97:98], v[92:93]
	v_div_scale_f64 v[97:98], vcc, v[117:118], v[119:120], v[117:118]
	v_fma_f64 v[99:100], -v[90:91], v[92:93], 1.0
	v_fma_f64 v[92:93], v[92:93], v[99:100], v[92:93]
	v_mul_f64 v[99:100], v[97:98], v[92:93]
	v_fma_f64 v[90:91], -v[90:91], v[99:100], v[97:98]
	v_div_fmas_f64 v[90:91], v[90:91], v[92:93], v[99:100]
	v_div_fixup_f64 v[90:91], v[90:91], v[119:120], v[117:118]
	v_fma_f64 v[92:93], v[117:118], v[90:91], v[119:120]
	v_div_scale_f64 v[97:98], s[20:21], v[92:93], v[92:93], 1.0
	v_div_scale_f64 v[103:104], vcc, 1.0, v[92:93], 1.0
	v_rcp_f64_e32 v[99:100], v[97:98]
	v_fma_f64 v[101:102], -v[97:98], v[99:100], 1.0
	v_fma_f64 v[99:100], v[99:100], v[101:102], v[99:100]
	v_fma_f64 v[101:102], -v[97:98], v[99:100], 1.0
	v_fma_f64 v[99:100], v[99:100], v[101:102], v[99:100]
	v_mul_f64 v[101:102], v[103:104], v[99:100]
	v_fma_f64 v[97:98], -v[97:98], v[101:102], v[103:104]
	v_div_fmas_f64 v[97:98], v[97:98], v[99:100], v[101:102]
	v_div_fixup_f64 v[119:120], v[97:98], v[92:93], 1.0
	v_mul_f64 v[117:118], v[90:91], v[119:120]
	v_xor_b32_e32 v120, 0x80000000, v120
.LBB106_280:
	s_andn2_saveexec_b64 s[18:19], s[18:19]
	s_cbranch_execz .LBB106_282
; %bb.281:
	v_div_scale_f64 v[90:91], s[20:21], v[117:118], v[117:118], v[119:120]
	v_rcp_f64_e32 v[92:93], v[90:91]
	v_fma_f64 v[97:98], -v[90:91], v[92:93], 1.0
	v_fma_f64 v[92:93], v[92:93], v[97:98], v[92:93]
	v_div_scale_f64 v[97:98], vcc, v[119:120], v[117:118], v[119:120]
	v_fma_f64 v[99:100], -v[90:91], v[92:93], 1.0
	v_fma_f64 v[92:93], v[92:93], v[99:100], v[92:93]
	v_mul_f64 v[99:100], v[97:98], v[92:93]
	v_fma_f64 v[90:91], -v[90:91], v[99:100], v[97:98]
	v_div_fmas_f64 v[90:91], v[90:91], v[92:93], v[99:100]
	v_div_fixup_f64 v[90:91], v[90:91], v[117:118], v[119:120]
	v_fma_f64 v[92:93], v[119:120], v[90:91], v[117:118]
	v_div_scale_f64 v[97:98], s[20:21], v[92:93], v[92:93], 1.0
	v_div_scale_f64 v[103:104], vcc, 1.0, v[92:93], 1.0
	v_rcp_f64_e32 v[99:100], v[97:98]
	v_fma_f64 v[101:102], -v[97:98], v[99:100], 1.0
	v_fma_f64 v[99:100], v[99:100], v[101:102], v[99:100]
	v_fma_f64 v[101:102], -v[97:98], v[99:100], 1.0
	v_fma_f64 v[99:100], v[99:100], v[101:102], v[99:100]
	v_mul_f64 v[101:102], v[103:104], v[99:100]
	v_fma_f64 v[97:98], -v[97:98], v[101:102], v[103:104]
	v_div_fmas_f64 v[97:98], v[97:98], v[99:100], v[101:102]
	v_div_fixup_f64 v[117:118], v[97:98], v[92:93], 1.0
	v_mul_f64 v[119:120], v[90:91], -v[117:118]
.LBB106_282:
	s_or_b64 exec, exec, s[18:19]
.LBB106_283:
	s_or_b64 exec, exec, s[0:1]
	v_cmp_ne_u32_e32 vcc, v96, v89
	s_and_saveexec_b64 s[0:1], vcc
	s_xor_b64 s[0:1], exec, s[0:1]
	s_cbranch_execz .LBB106_289
; %bb.284:
	v_cmp_eq_u32_e32 vcc, 13, v96
	s_and_saveexec_b64 s[18:19], vcc
	s_cbranch_execz .LBB106_288
; %bb.285:
	v_cmp_ne_u32_e32 vcc, 13, v89
	s_xor_b64 s[20:21], s[6:7], -1
	s_and_b64 s[22:23], s[20:21], vcc
	s_and_saveexec_b64 s[20:21], s[22:23]
	s_cbranch_execz .LBB106_287
; %bb.286:
	v_mov_b32_e32 v53, v81
	v_mov_b32_e32 v54, v82
	;; [unrolled: 1-line block ×4, first 2 shown]
	buffer_load_dword v81, off, s[24:27], 0 offset:436 ; 4-byte Folded Reload
	buffer_load_dword v82, off, s[24:27], 0 offset:440 ; 4-byte Folded Reload
	v_ashrrev_i32_e32 v90, 31, v89
	v_lshlrev_b64 v[90:91], 2, v[89:90]
	s_waitcnt vmcnt(1)
	v_add_co_u32_e32 v90, vcc, v81, v90
	s_waitcnt vmcnt(0)
	v_addc_co_u32_e32 v91, vcc, v82, v91, vcc
	global_load_dword v92, v[90:91], off
	global_load_dword v93, v[81:82], off offset:52
	s_waitcnt vmcnt(1)
	global_store_dword v[81:82], v92, off offset:52
	v_mov_b32_e32 v84, v56
	v_mov_b32_e32 v83, v55
	;; [unrolled: 1-line block ×4, first 2 shown]
	s_waitcnt vmcnt(1)
	global_store_dword v[90:91], v93, off
.LBB106_287:
	s_or_b64 exec, exec, s[20:21]
	v_mov_b32_e32 v96, v89
	v_mov_b32_e32 v53, v89
	buffer_store_dword v53, off, s[24:27], 0 offset:352 ; 4-byte Folded Spill
.LBB106_288:
	s_or_b64 exec, exec, s[18:19]
.LBB106_289:
	s_andn2_saveexec_b64 s[0:1], s[0:1]
	s_cbranch_execz .LBB106_291
; %bb.290:
	buffer_load_dword v53, off, s[24:27], 0 offset:240 ; 4-byte Folded Reload
	buffer_load_dword v54, off, s[24:27], 0 offset:244 ; 4-byte Folded Reload
	;; [unrolled: 1-line block ×4, first 2 shown]
	v_mov_b32_e32 v96, 13
	s_waitcnt vmcnt(0)
	ds_write2_b64 v0, v[53:54], v[55:56] offset0:28 offset1:29
	buffer_load_dword v53, off, s[24:27], 0 offset:224 ; 4-byte Folded Reload
	buffer_load_dword v54, off, s[24:27], 0 offset:228 ; 4-byte Folded Reload
	buffer_load_dword v55, off, s[24:27], 0 offset:232 ; 4-byte Folded Reload
	buffer_load_dword v56, off, s[24:27], 0 offset:236 ; 4-byte Folded Reload
	s_waitcnt vmcnt(0)
	ds_write2_b64 v0, v[53:54], v[55:56] offset0:30 offset1:31
	buffer_load_dword v53, off, s[24:27], 0 offset:208 ; 4-byte Folded Reload
	buffer_load_dword v54, off, s[24:27], 0 offset:212 ; 4-byte Folded Reload
	buffer_load_dword v55, off, s[24:27], 0 offset:216 ; 4-byte Folded Reload
	buffer_load_dword v56, off, s[24:27], 0 offset:220 ; 4-byte Folded Reload
	;; [unrolled: 6-line block ×14, first 2 shown]
	s_waitcnt vmcnt(0)
	ds_write2_b64 v0, v[53:54], v[55:56] offset0:56 offset1:57
	ds_write2_b64 v0, v[81:82], v[83:84] offset0:58 offset1:59
	;; [unrolled: 1-line block ×11, first 2 shown]
	buffer_load_dword v53, off, s[24:27], 0 ; 4-byte Folded Reload
	buffer_load_dword v54, off, s[24:27], 0 offset:4 ; 4-byte Folded Reload
	buffer_load_dword v55, off, s[24:27], 0 offset:8 ; 4-byte Folded Reload
	;; [unrolled: 1-line block ×3, first 2 shown]
	s_waitcnt vmcnt(0)
	ds_write2_b64 v0, v[53:54], v[55:56] offset0:78 offset1:79
	ds_write2_b64 v0, v[49:50], v[51:52] offset0:80 offset1:81
	;; [unrolled: 1-line block ×15, first 2 shown]
.LBB106_291:
	s_or_b64 exec, exec, s[0:1]
	v_cmp_lt_i32_e32 vcc, 13, v96
	s_waitcnt vmcnt(0) lgkmcnt(0)
	s_barrier
	s_and_saveexec_b64 s[0:1], vcc
	s_cbranch_execz .LBB106_293
; %bb.292:
	buffer_load_dword v97, off, s[24:27], 0 offset:256 ; 4-byte Folded Reload
	buffer_load_dword v98, off, s[24:27], 0 offset:260 ; 4-byte Folded Reload
	;; [unrolled: 1-line block ×4, first 2 shown]
	s_waitcnt vmcnt(0)
	v_mul_f64 v[89:90], v[119:120], v[99:100]
	v_fma_f64 v[125:126], v[117:118], v[97:98], -v[89:90]
	v_mul_f64 v[89:90], v[117:118], v[99:100]
	v_fma_f64 v[99:100], v[119:120], v[97:98], v[89:90]
	ds_read2_b64 v[89:92], v0 offset0:28 offset1:29
	buffer_load_dword v53, off, s[24:27], 0 offset:240 ; 4-byte Folded Reload
	buffer_load_dword v54, off, s[24:27], 0 offset:244 ; 4-byte Folded Reload
	buffer_load_dword v55, off, s[24:27], 0 offset:248 ; 4-byte Folded Reload
	buffer_load_dword v56, off, s[24:27], 0 offset:252 ; 4-byte Folded Reload
	v_mov_b32_e32 v97, v125
	v_mov_b32_e32 v98, v126
	s_waitcnt lgkmcnt(0)
	v_mul_f64 v[93:94], v[91:92], v[99:100]
	v_fma_f64 v[93:94], v[89:90], v[125:126], -v[93:94]
	v_mul_f64 v[89:90], v[89:90], v[99:100]
	v_fma_f64 v[89:90], v[91:92], v[125:126], v[89:90]
	s_waitcnt vmcnt(2)
	v_add_f64 v[53:54], v[53:54], -v[93:94]
	s_waitcnt vmcnt(0)
	v_add_f64 v[55:56], v[55:56], -v[89:90]
	buffer_store_dword v53, off, s[24:27], 0 offset:240 ; 4-byte Folded Spill
	s_nop 0
	buffer_store_dword v54, off, s[24:27], 0 offset:244 ; 4-byte Folded Spill
	buffer_store_dword v55, off, s[24:27], 0 offset:248 ; 4-byte Folded Spill
	buffer_store_dword v56, off, s[24:27], 0 offset:252 ; 4-byte Folded Spill
	ds_read2_b64 v[89:92], v0 offset0:30 offset1:31
	buffer_load_dword v53, off, s[24:27], 0 offset:224 ; 4-byte Folded Reload
	buffer_load_dword v54, off, s[24:27], 0 offset:228 ; 4-byte Folded Reload
	buffer_load_dword v55, off, s[24:27], 0 offset:232 ; 4-byte Folded Reload
	buffer_load_dword v56, off, s[24:27], 0 offset:236 ; 4-byte Folded Reload
	s_waitcnt lgkmcnt(0)
	v_mul_f64 v[93:94], v[91:92], v[99:100]
	v_fma_f64 v[93:94], v[89:90], v[125:126], -v[93:94]
	v_mul_f64 v[89:90], v[89:90], v[99:100]
	v_fma_f64 v[89:90], v[91:92], v[125:126], v[89:90]
	s_waitcnt vmcnt(2)
	v_add_f64 v[53:54], v[53:54], -v[93:94]
	s_waitcnt vmcnt(0)
	v_add_f64 v[55:56], v[55:56], -v[89:90]
	buffer_store_dword v53, off, s[24:27], 0 offset:224 ; 4-byte Folded Spill
	s_nop 0
	buffer_store_dword v54, off, s[24:27], 0 offset:228 ; 4-byte Folded Spill
	buffer_store_dword v55, off, s[24:27], 0 offset:232 ; 4-byte Folded Spill
	buffer_store_dword v56, off, s[24:27], 0 offset:236 ; 4-byte Folded Spill
	ds_read2_b64 v[89:92], v0 offset0:32 offset1:33
	buffer_load_dword v53, off, s[24:27], 0 offset:208 ; 4-byte Folded Reload
	buffer_load_dword v54, off, s[24:27], 0 offset:212 ; 4-byte Folded Reload
	buffer_load_dword v55, off, s[24:27], 0 offset:216 ; 4-byte Folded Reload
	buffer_load_dword v56, off, s[24:27], 0 offset:220 ; 4-byte Folded Reload
	;; [unrolled: 19-line block ×14, first 2 shown]
	s_waitcnt lgkmcnt(0)
	v_mul_f64 v[93:94], v[91:92], v[99:100]
	v_fma_f64 v[93:94], v[89:90], v[125:126], -v[93:94]
	v_mul_f64 v[89:90], v[89:90], v[99:100]
	v_fma_f64 v[89:90], v[91:92], v[125:126], v[89:90]
	s_waitcnt vmcnt(2)
	v_add_f64 v[53:54], v[53:54], -v[93:94]
	s_waitcnt vmcnt(0)
	v_add_f64 v[55:56], v[55:56], -v[89:90]
	buffer_store_dword v53, off, s[24:27], 0 offset:16 ; 4-byte Folded Spill
	s_nop 0
	buffer_store_dword v54, off, s[24:27], 0 offset:20 ; 4-byte Folded Spill
	buffer_store_dword v55, off, s[24:27], 0 offset:24 ; 4-byte Folded Spill
	;; [unrolled: 1-line block ×3, first 2 shown]
	ds_read2_b64 v[89:92], v0 offset0:58 offset1:59
	s_waitcnt lgkmcnt(0)
	v_mul_f64 v[93:94], v[91:92], v[99:100]
	v_fma_f64 v[93:94], v[89:90], v[125:126], -v[93:94]
	v_mul_f64 v[89:90], v[89:90], v[99:100]
	v_add_f64 v[81:82], v[81:82], -v[93:94]
	v_fma_f64 v[89:90], v[91:92], v[125:126], v[89:90]
	v_add_f64 v[83:84], v[83:84], -v[89:90]
	ds_read2_b64 v[89:92], v0 offset0:60 offset1:61
	s_waitcnt lgkmcnt(0)
	v_mul_f64 v[93:94], v[91:92], v[99:100]
	v_fma_f64 v[93:94], v[89:90], v[125:126], -v[93:94]
	v_mul_f64 v[89:90], v[89:90], v[99:100]
	v_add_f64 v[85:86], v[85:86], -v[93:94]
	v_fma_f64 v[89:90], v[91:92], v[125:126], v[89:90]
	v_add_f64 v[87:88], v[87:88], -v[89:90]
	;; [unrolled: 8-line block ×10, first 2 shown]
	ds_read2_b64 v[89:92], v0 offset0:78 offset1:79
	buffer_load_dword v53, off, s[24:27], 0 ; 4-byte Folded Reload
	buffer_load_dword v54, off, s[24:27], 0 offset:4 ; 4-byte Folded Reload
	buffer_load_dword v55, off, s[24:27], 0 offset:8 ; 4-byte Folded Reload
	;; [unrolled: 1-line block ×3, first 2 shown]
	s_waitcnt lgkmcnt(0)
	v_mul_f64 v[93:94], v[91:92], v[99:100]
	v_fma_f64 v[93:94], v[89:90], v[125:126], -v[93:94]
	v_mul_f64 v[89:90], v[89:90], v[99:100]
	v_fma_f64 v[89:90], v[91:92], v[125:126], v[89:90]
	s_waitcnt vmcnt(2)
	v_add_f64 v[53:54], v[53:54], -v[93:94]
	s_waitcnt vmcnt(0)
	v_add_f64 v[55:56], v[55:56], -v[89:90]
	buffer_store_dword v53, off, s[24:27], 0 ; 4-byte Folded Spill
	s_nop 0
	buffer_store_dword v54, off, s[24:27], 0 offset:4 ; 4-byte Folded Spill
	buffer_store_dword v55, off, s[24:27], 0 offset:8 ; 4-byte Folded Spill
	;; [unrolled: 1-line block ×3, first 2 shown]
	ds_read2_b64 v[89:92], v0 offset0:80 offset1:81
	s_waitcnt lgkmcnt(0)
	v_mul_f64 v[93:94], v[91:92], v[99:100]
	v_fma_f64 v[93:94], v[89:90], v[125:126], -v[93:94]
	v_mul_f64 v[89:90], v[89:90], v[99:100]
	v_add_f64 v[49:50], v[49:50], -v[93:94]
	v_fma_f64 v[89:90], v[91:92], v[125:126], v[89:90]
	v_add_f64 v[51:52], v[51:52], -v[89:90]
	ds_read2_b64 v[89:92], v0 offset0:82 offset1:83
	s_waitcnt lgkmcnt(0)
	v_mul_f64 v[93:94], v[91:92], v[99:100]
	v_fma_f64 v[93:94], v[89:90], v[125:126], -v[93:94]
	v_mul_f64 v[89:90], v[89:90], v[99:100]
	v_add_f64 v[45:46], v[45:46], -v[93:94]
	v_fma_f64 v[89:90], v[91:92], v[125:126], v[89:90]
	v_add_f64 v[47:48], v[47:48], -v[89:90]
	;; [unrolled: 8-line block ×13, first 2 shown]
	ds_read2_b64 v[89:92], v0 offset0:106 offset1:107
	s_waitcnt lgkmcnt(0)
	v_mul_f64 v[93:94], v[91:92], v[99:100]
	v_fma_f64 v[93:94], v[89:90], v[125:126], -v[93:94]
	v_mul_f64 v[89:90], v[89:90], v[99:100]
	buffer_store_dword v97, off, s[24:27], 0 offset:256 ; 4-byte Folded Spill
	s_nop 0
	buffer_store_dword v98, off, s[24:27], 0 offset:260 ; 4-byte Folded Spill
	buffer_store_dword v99, off, s[24:27], 0 offset:264 ; 4-byte Folded Spill
	;; [unrolled: 1-line block ×3, first 2 shown]
	v_add_f64 v[121:122], v[121:122], -v[93:94]
	v_fma_f64 v[89:90], v[91:92], v[125:126], v[89:90]
	v_add_f64 v[123:124], v[123:124], -v[89:90]
.LBB106_293:
	s_or_b64 exec, exec, s[0:1]
	s_waitcnt vmcnt(0)
	s_barrier
	buffer_load_dword v53, off, s[24:27], 0 offset:240 ; 4-byte Folded Reload
	buffer_load_dword v54, off, s[24:27], 0 offset:244 ; 4-byte Folded Reload
	;; [unrolled: 1-line block ×4, first 2 shown]
	v_lshl_add_u32 v89, v96, 4, v0
	s_cmp_lt_i32 s3, 16
	s_waitcnt vmcnt(0)
	ds_write2_b64 v89, v[53:54], v[55:56] offset1:1
	s_waitcnt lgkmcnt(0)
	s_barrier
	ds_read2_b64 v[117:120], v0 offset0:28 offset1:29
	v_mov_b32_e32 v89, 14
	s_cbranch_scc1 .LBB106_296
; %bb.294:
	v_add_u32_e32 v90, 0xf0, v0
	s_mov_b32 s0, 15
	v_mov_b32_e32 v89, 14
.LBB106_295:                            ; =>This Inner Loop Header: Depth=1
	s_waitcnt lgkmcnt(0)
	v_cmp_gt_f64_e32 vcc, 0, v[117:118]
	v_xor_b32_e32 v97, 0x80000000, v118
	ds_read2_b64 v[91:94], v90 offset1:1
	v_xor_b32_e32 v99, 0x80000000, v120
	v_add_u32_e32 v90, 16, v90
	s_waitcnt lgkmcnt(0)
	v_xor_b32_e32 v101, 0x80000000, v94
	v_cndmask_b32_e32 v98, v118, v97, vcc
	v_cmp_gt_f64_e32 vcc, 0, v[119:120]
	v_mov_b32_e32 v97, v117
	v_cndmask_b32_e32 v100, v120, v99, vcc
	v_cmp_gt_f64_e32 vcc, 0, v[91:92]
	v_mov_b32_e32 v99, v119
	v_add_f64 v[97:98], v[97:98], v[99:100]
	v_xor_b32_e32 v99, 0x80000000, v92
	v_cndmask_b32_e32 v100, v92, v99, vcc
	v_cmp_gt_f64_e32 vcc, 0, v[93:94]
	v_mov_b32_e32 v99, v91
	v_cndmask_b32_e32 v102, v94, v101, vcc
	v_mov_b32_e32 v101, v93
	v_add_f64 v[99:100], v[99:100], v[101:102]
	v_cmp_lt_f64_e32 vcc, v[97:98], v[99:100]
	v_cndmask_b32_e32 v117, v117, v91, vcc
	v_mov_b32_e32 v91, s0
	s_add_i32 s0, s0, 1
	v_cndmask_b32_e32 v118, v118, v92, vcc
	v_cndmask_b32_e32 v120, v120, v94, vcc
	;; [unrolled: 1-line block ×4, first 2 shown]
	s_cmp_lg_u32 s3, s0
	s_cbranch_scc1 .LBB106_295
.LBB106_296:
	s_waitcnt lgkmcnt(0)
	v_cmp_eq_f64_e32 vcc, 0, v[117:118]
	v_cmp_eq_f64_e64 s[0:1], 0, v[119:120]
	s_and_b64 s[0:1], vcc, s[0:1]
	s_and_saveexec_b64 s[18:19], s[0:1]
	s_xor_b64 s[0:1], exec, s[18:19]
; %bb.297:
	v_cmp_ne_u32_e32 vcc, 0, v95
	v_cndmask_b32_e32 v95, 15, v95, vcc
; %bb.298:
	s_andn2_saveexec_b64 s[0:1], s[0:1]
	s_cbranch_execz .LBB106_304
; %bb.299:
	v_cmp_ngt_f64_e64 s[18:19], |v[117:118]|, |v[119:120]|
	s_and_saveexec_b64 s[20:21], s[18:19]
	s_xor_b64 s[18:19], exec, s[20:21]
	s_cbranch_execz .LBB106_301
; %bb.300:
	v_div_scale_f64 v[90:91], s[20:21], v[119:120], v[119:120], v[117:118]
	v_rcp_f64_e32 v[92:93], v[90:91]
	v_fma_f64 v[97:98], -v[90:91], v[92:93], 1.0
	v_fma_f64 v[92:93], v[92:93], v[97:98], v[92:93]
	v_div_scale_f64 v[97:98], vcc, v[117:118], v[119:120], v[117:118]
	v_fma_f64 v[99:100], -v[90:91], v[92:93], 1.0
	v_fma_f64 v[92:93], v[92:93], v[99:100], v[92:93]
	v_mul_f64 v[99:100], v[97:98], v[92:93]
	v_fma_f64 v[90:91], -v[90:91], v[99:100], v[97:98]
	v_div_fmas_f64 v[90:91], v[90:91], v[92:93], v[99:100]
	v_div_fixup_f64 v[90:91], v[90:91], v[119:120], v[117:118]
	v_fma_f64 v[92:93], v[117:118], v[90:91], v[119:120]
	v_div_scale_f64 v[97:98], s[20:21], v[92:93], v[92:93], 1.0
	v_div_scale_f64 v[103:104], vcc, 1.0, v[92:93], 1.0
	v_rcp_f64_e32 v[99:100], v[97:98]
	v_fma_f64 v[101:102], -v[97:98], v[99:100], 1.0
	v_fma_f64 v[99:100], v[99:100], v[101:102], v[99:100]
	v_fma_f64 v[101:102], -v[97:98], v[99:100], 1.0
	v_fma_f64 v[99:100], v[99:100], v[101:102], v[99:100]
	v_mul_f64 v[101:102], v[103:104], v[99:100]
	v_fma_f64 v[97:98], -v[97:98], v[101:102], v[103:104]
	v_div_fmas_f64 v[97:98], v[97:98], v[99:100], v[101:102]
	v_div_fixup_f64 v[119:120], v[97:98], v[92:93], 1.0
	v_mul_f64 v[117:118], v[90:91], v[119:120]
	v_xor_b32_e32 v120, 0x80000000, v120
.LBB106_301:
	s_andn2_saveexec_b64 s[18:19], s[18:19]
	s_cbranch_execz .LBB106_303
; %bb.302:
	v_div_scale_f64 v[90:91], s[20:21], v[117:118], v[117:118], v[119:120]
	v_rcp_f64_e32 v[92:93], v[90:91]
	v_fma_f64 v[97:98], -v[90:91], v[92:93], 1.0
	v_fma_f64 v[92:93], v[92:93], v[97:98], v[92:93]
	v_div_scale_f64 v[97:98], vcc, v[119:120], v[117:118], v[119:120]
	v_fma_f64 v[99:100], -v[90:91], v[92:93], 1.0
	v_fma_f64 v[92:93], v[92:93], v[99:100], v[92:93]
	v_mul_f64 v[99:100], v[97:98], v[92:93]
	v_fma_f64 v[90:91], -v[90:91], v[99:100], v[97:98]
	v_div_fmas_f64 v[90:91], v[90:91], v[92:93], v[99:100]
	v_div_fixup_f64 v[90:91], v[90:91], v[117:118], v[119:120]
	v_fma_f64 v[92:93], v[119:120], v[90:91], v[117:118]
	v_div_scale_f64 v[97:98], s[20:21], v[92:93], v[92:93], 1.0
	v_div_scale_f64 v[103:104], vcc, 1.0, v[92:93], 1.0
	v_rcp_f64_e32 v[99:100], v[97:98]
	v_fma_f64 v[101:102], -v[97:98], v[99:100], 1.0
	v_fma_f64 v[99:100], v[99:100], v[101:102], v[99:100]
	v_fma_f64 v[101:102], -v[97:98], v[99:100], 1.0
	v_fma_f64 v[99:100], v[99:100], v[101:102], v[99:100]
	v_mul_f64 v[101:102], v[103:104], v[99:100]
	v_fma_f64 v[97:98], -v[97:98], v[101:102], v[103:104]
	v_div_fmas_f64 v[97:98], v[97:98], v[99:100], v[101:102]
	v_div_fixup_f64 v[117:118], v[97:98], v[92:93], 1.0
	v_mul_f64 v[119:120], v[90:91], -v[117:118]
.LBB106_303:
	s_or_b64 exec, exec, s[18:19]
.LBB106_304:
	s_or_b64 exec, exec, s[0:1]
	v_cmp_ne_u32_e32 vcc, v96, v89
	s_and_saveexec_b64 s[0:1], vcc
	s_xor_b64 s[0:1], exec, s[0:1]
	s_cbranch_execz .LBB106_310
; %bb.305:
	v_cmp_eq_u32_e32 vcc, 14, v96
	s_and_saveexec_b64 s[18:19], vcc
	s_cbranch_execz .LBB106_309
; %bb.306:
	v_cmp_ne_u32_e32 vcc, 14, v89
	s_xor_b64 s[20:21], s[6:7], -1
	s_and_b64 s[22:23], s[20:21], vcc
	s_and_saveexec_b64 s[20:21], s[22:23]
	s_cbranch_execz .LBB106_308
; %bb.307:
	v_mov_b32_e32 v53, v81
	v_mov_b32_e32 v54, v82
	;; [unrolled: 1-line block ×4, first 2 shown]
	buffer_load_dword v81, off, s[24:27], 0 offset:436 ; 4-byte Folded Reload
	buffer_load_dword v82, off, s[24:27], 0 offset:440 ; 4-byte Folded Reload
	v_ashrrev_i32_e32 v90, 31, v89
	v_lshlrev_b64 v[90:91], 2, v[89:90]
	s_waitcnt vmcnt(1)
	v_add_co_u32_e32 v90, vcc, v81, v90
	s_waitcnt vmcnt(0)
	v_addc_co_u32_e32 v91, vcc, v82, v91, vcc
	global_load_dword v92, v[90:91], off
	global_load_dword v93, v[81:82], off offset:56
	s_waitcnt vmcnt(1)
	global_store_dword v[81:82], v92, off offset:56
	v_mov_b32_e32 v84, v56
	v_mov_b32_e32 v83, v55
	;; [unrolled: 1-line block ×4, first 2 shown]
	s_waitcnt vmcnt(1)
	global_store_dword v[90:91], v93, off
.LBB106_308:
	s_or_b64 exec, exec, s[20:21]
	v_mov_b32_e32 v96, v89
	v_mov_b32_e32 v53, v89
	buffer_store_dword v53, off, s[24:27], 0 offset:352 ; 4-byte Folded Spill
.LBB106_309:
	s_or_b64 exec, exec, s[18:19]
.LBB106_310:
	s_andn2_saveexec_b64 s[0:1], s[0:1]
	s_cbranch_execz .LBB106_312
; %bb.311:
	buffer_load_dword v53, off, s[24:27], 0 offset:224 ; 4-byte Folded Reload
	buffer_load_dword v54, off, s[24:27], 0 offset:228 ; 4-byte Folded Reload
	;; [unrolled: 1-line block ×4, first 2 shown]
	v_mov_b32_e32 v96, 14
	s_waitcnt vmcnt(0)
	ds_write2_b64 v0, v[53:54], v[55:56] offset0:30 offset1:31
	buffer_load_dword v53, off, s[24:27], 0 offset:208 ; 4-byte Folded Reload
	buffer_load_dword v54, off, s[24:27], 0 offset:212 ; 4-byte Folded Reload
	buffer_load_dword v55, off, s[24:27], 0 offset:216 ; 4-byte Folded Reload
	buffer_load_dword v56, off, s[24:27], 0 offset:220 ; 4-byte Folded Reload
	s_waitcnt vmcnt(0)
	ds_write2_b64 v0, v[53:54], v[55:56] offset0:32 offset1:33
	buffer_load_dword v53, off, s[24:27], 0 offset:192 ; 4-byte Folded Reload
	buffer_load_dword v54, off, s[24:27], 0 offset:196 ; 4-byte Folded Reload
	buffer_load_dword v55, off, s[24:27], 0 offset:200 ; 4-byte Folded Reload
	buffer_load_dword v56, off, s[24:27], 0 offset:204 ; 4-byte Folded Reload
	;; [unrolled: 6-line block ×13, first 2 shown]
	s_waitcnt vmcnt(0)
	ds_write2_b64 v0, v[53:54], v[55:56] offset0:56 offset1:57
	ds_write2_b64 v0, v[81:82], v[83:84] offset0:58 offset1:59
	;; [unrolled: 1-line block ×11, first 2 shown]
	buffer_load_dword v53, off, s[24:27], 0 ; 4-byte Folded Reload
	buffer_load_dword v54, off, s[24:27], 0 offset:4 ; 4-byte Folded Reload
	buffer_load_dword v55, off, s[24:27], 0 offset:8 ; 4-byte Folded Reload
	;; [unrolled: 1-line block ×3, first 2 shown]
	s_waitcnt vmcnt(0)
	ds_write2_b64 v0, v[53:54], v[55:56] offset0:78 offset1:79
	ds_write2_b64 v0, v[49:50], v[51:52] offset0:80 offset1:81
	;; [unrolled: 1-line block ×15, first 2 shown]
.LBB106_312:
	s_or_b64 exec, exec, s[0:1]
	v_cmp_lt_i32_e32 vcc, 14, v96
	s_waitcnt vmcnt(0) lgkmcnt(0)
	s_barrier
	s_and_saveexec_b64 s[0:1], vcc
	s_cbranch_execz .LBB106_314
; %bb.313:
	buffer_load_dword v97, off, s[24:27], 0 offset:240 ; 4-byte Folded Reload
	buffer_load_dword v98, off, s[24:27], 0 offset:244 ; 4-byte Folded Reload
	;; [unrolled: 1-line block ×4, first 2 shown]
	s_waitcnt vmcnt(0)
	v_mul_f64 v[89:90], v[119:120], v[99:100]
	v_fma_f64 v[125:126], v[117:118], v[97:98], -v[89:90]
	v_mul_f64 v[89:90], v[117:118], v[99:100]
	v_fma_f64 v[99:100], v[119:120], v[97:98], v[89:90]
	ds_read2_b64 v[89:92], v0 offset0:30 offset1:31
	buffer_load_dword v53, off, s[24:27], 0 offset:224 ; 4-byte Folded Reload
	buffer_load_dword v54, off, s[24:27], 0 offset:228 ; 4-byte Folded Reload
	;; [unrolled: 1-line block ×4, first 2 shown]
	v_mov_b32_e32 v97, v125
	v_mov_b32_e32 v98, v126
	s_waitcnt lgkmcnt(0)
	v_mul_f64 v[93:94], v[91:92], v[99:100]
	v_fma_f64 v[93:94], v[89:90], v[125:126], -v[93:94]
	v_mul_f64 v[89:90], v[89:90], v[99:100]
	v_fma_f64 v[89:90], v[91:92], v[125:126], v[89:90]
	s_waitcnt vmcnt(2)
	v_add_f64 v[53:54], v[53:54], -v[93:94]
	s_waitcnt vmcnt(0)
	v_add_f64 v[55:56], v[55:56], -v[89:90]
	buffer_store_dword v53, off, s[24:27], 0 offset:224 ; 4-byte Folded Spill
	s_nop 0
	buffer_store_dword v54, off, s[24:27], 0 offset:228 ; 4-byte Folded Spill
	buffer_store_dword v55, off, s[24:27], 0 offset:232 ; 4-byte Folded Spill
	buffer_store_dword v56, off, s[24:27], 0 offset:236 ; 4-byte Folded Spill
	ds_read2_b64 v[89:92], v0 offset0:32 offset1:33
	buffer_load_dword v53, off, s[24:27], 0 offset:208 ; 4-byte Folded Reload
	buffer_load_dword v54, off, s[24:27], 0 offset:212 ; 4-byte Folded Reload
	buffer_load_dword v55, off, s[24:27], 0 offset:216 ; 4-byte Folded Reload
	buffer_load_dword v56, off, s[24:27], 0 offset:220 ; 4-byte Folded Reload
	s_waitcnt lgkmcnt(0)
	v_mul_f64 v[93:94], v[91:92], v[99:100]
	v_fma_f64 v[93:94], v[89:90], v[125:126], -v[93:94]
	v_mul_f64 v[89:90], v[89:90], v[99:100]
	v_fma_f64 v[89:90], v[91:92], v[125:126], v[89:90]
	s_waitcnt vmcnt(2)
	v_add_f64 v[53:54], v[53:54], -v[93:94]
	s_waitcnt vmcnt(0)
	v_add_f64 v[55:56], v[55:56], -v[89:90]
	buffer_store_dword v53, off, s[24:27], 0 offset:208 ; 4-byte Folded Spill
	s_nop 0
	buffer_store_dword v54, off, s[24:27], 0 offset:212 ; 4-byte Folded Spill
	buffer_store_dword v55, off, s[24:27], 0 offset:216 ; 4-byte Folded Spill
	buffer_store_dword v56, off, s[24:27], 0 offset:220 ; 4-byte Folded Spill
	ds_read2_b64 v[89:92], v0 offset0:34 offset1:35
	buffer_load_dword v53, off, s[24:27], 0 offset:192 ; 4-byte Folded Reload
	buffer_load_dword v54, off, s[24:27], 0 offset:196 ; 4-byte Folded Reload
	buffer_load_dword v55, off, s[24:27], 0 offset:200 ; 4-byte Folded Reload
	buffer_load_dword v56, off, s[24:27], 0 offset:204 ; 4-byte Folded Reload
	;; [unrolled: 19-line block ×13, first 2 shown]
	s_waitcnt lgkmcnt(0)
	v_mul_f64 v[93:94], v[91:92], v[99:100]
	v_fma_f64 v[93:94], v[89:90], v[125:126], -v[93:94]
	v_mul_f64 v[89:90], v[89:90], v[99:100]
	v_fma_f64 v[89:90], v[91:92], v[125:126], v[89:90]
	s_waitcnt vmcnt(2)
	v_add_f64 v[53:54], v[53:54], -v[93:94]
	s_waitcnt vmcnt(0)
	v_add_f64 v[55:56], v[55:56], -v[89:90]
	buffer_store_dword v53, off, s[24:27], 0 offset:16 ; 4-byte Folded Spill
	s_nop 0
	buffer_store_dword v54, off, s[24:27], 0 offset:20 ; 4-byte Folded Spill
	buffer_store_dword v55, off, s[24:27], 0 offset:24 ; 4-byte Folded Spill
	;; [unrolled: 1-line block ×3, first 2 shown]
	ds_read2_b64 v[89:92], v0 offset0:58 offset1:59
	s_waitcnt lgkmcnt(0)
	v_mul_f64 v[93:94], v[91:92], v[99:100]
	v_fma_f64 v[93:94], v[89:90], v[125:126], -v[93:94]
	v_mul_f64 v[89:90], v[89:90], v[99:100]
	v_add_f64 v[81:82], v[81:82], -v[93:94]
	v_fma_f64 v[89:90], v[91:92], v[125:126], v[89:90]
	v_add_f64 v[83:84], v[83:84], -v[89:90]
	ds_read2_b64 v[89:92], v0 offset0:60 offset1:61
	s_waitcnt lgkmcnt(0)
	v_mul_f64 v[93:94], v[91:92], v[99:100]
	v_fma_f64 v[93:94], v[89:90], v[125:126], -v[93:94]
	v_mul_f64 v[89:90], v[89:90], v[99:100]
	v_add_f64 v[85:86], v[85:86], -v[93:94]
	v_fma_f64 v[89:90], v[91:92], v[125:126], v[89:90]
	v_add_f64 v[87:88], v[87:88], -v[89:90]
	ds_read2_b64 v[89:92], v0 offset0:62 offset1:63
	s_waitcnt lgkmcnt(0)
	v_mul_f64 v[93:94], v[91:92], v[99:100]
	v_fma_f64 v[93:94], v[89:90], v[125:126], -v[93:94]
	v_mul_f64 v[89:90], v[89:90], v[99:100]
	v_add_f64 v[109:110], v[109:110], -v[93:94]
	v_fma_f64 v[89:90], v[91:92], v[125:126], v[89:90]
	v_add_f64 v[111:112], v[111:112], -v[89:90]
	ds_read2_b64 v[89:92], v0 offset0:64 offset1:65
	s_waitcnt lgkmcnt(0)
	v_mul_f64 v[93:94], v[91:92], v[99:100]
	v_fma_f64 v[93:94], v[89:90], v[125:126], -v[93:94]
	v_mul_f64 v[89:90], v[89:90], v[99:100]
	v_add_f64 v[113:114], v[113:114], -v[93:94]
	v_fma_f64 v[89:90], v[91:92], v[125:126], v[89:90]
	v_add_f64 v[115:116], v[115:116], -v[89:90]
	ds_read2_b64 v[89:92], v0 offset0:66 offset1:67
	s_waitcnt lgkmcnt(0)
	v_mul_f64 v[93:94], v[91:92], v[99:100]
	v_fma_f64 v[93:94], v[89:90], v[125:126], -v[93:94]
	v_mul_f64 v[89:90], v[89:90], v[99:100]
	v_add_f64 v[77:78], v[77:78], -v[93:94]
	v_fma_f64 v[89:90], v[91:92], v[125:126], v[89:90]
	v_add_f64 v[79:80], v[79:80], -v[89:90]
	ds_read2_b64 v[89:92], v0 offset0:68 offset1:69
	s_waitcnt lgkmcnt(0)
	v_mul_f64 v[93:94], v[91:92], v[99:100]
	v_fma_f64 v[93:94], v[89:90], v[125:126], -v[93:94]
	v_mul_f64 v[89:90], v[89:90], v[99:100]
	v_add_f64 v[73:74], v[73:74], -v[93:94]
	v_fma_f64 v[89:90], v[91:92], v[125:126], v[89:90]
	v_add_f64 v[75:76], v[75:76], -v[89:90]
	ds_read2_b64 v[89:92], v0 offset0:70 offset1:71
	s_waitcnt lgkmcnt(0)
	v_mul_f64 v[93:94], v[91:92], v[99:100]
	v_fma_f64 v[93:94], v[89:90], v[125:126], -v[93:94]
	v_mul_f64 v[89:90], v[89:90], v[99:100]
	v_add_f64 v[69:70], v[69:70], -v[93:94]
	v_fma_f64 v[89:90], v[91:92], v[125:126], v[89:90]
	v_add_f64 v[71:72], v[71:72], -v[89:90]
	ds_read2_b64 v[89:92], v0 offset0:72 offset1:73
	s_waitcnt lgkmcnt(0)
	v_mul_f64 v[93:94], v[91:92], v[99:100]
	v_fma_f64 v[93:94], v[89:90], v[125:126], -v[93:94]
	v_mul_f64 v[89:90], v[89:90], v[99:100]
	v_add_f64 v[65:66], v[65:66], -v[93:94]
	v_fma_f64 v[89:90], v[91:92], v[125:126], v[89:90]
	v_add_f64 v[67:68], v[67:68], -v[89:90]
	ds_read2_b64 v[89:92], v0 offset0:74 offset1:75
	s_waitcnt lgkmcnt(0)
	v_mul_f64 v[93:94], v[91:92], v[99:100]
	v_fma_f64 v[93:94], v[89:90], v[125:126], -v[93:94]
	v_mul_f64 v[89:90], v[89:90], v[99:100]
	v_add_f64 v[61:62], v[61:62], -v[93:94]
	v_fma_f64 v[89:90], v[91:92], v[125:126], v[89:90]
	v_add_f64 v[63:64], v[63:64], -v[89:90]
	ds_read2_b64 v[89:92], v0 offset0:76 offset1:77
	s_waitcnt lgkmcnt(0)
	v_mul_f64 v[93:94], v[91:92], v[99:100]
	v_fma_f64 v[93:94], v[89:90], v[125:126], -v[93:94]
	v_mul_f64 v[89:90], v[89:90], v[99:100]
	v_add_f64 v[57:58], v[57:58], -v[93:94]
	v_fma_f64 v[89:90], v[91:92], v[125:126], v[89:90]
	v_add_f64 v[59:60], v[59:60], -v[89:90]
	ds_read2_b64 v[89:92], v0 offset0:78 offset1:79
	buffer_load_dword v53, off, s[24:27], 0 ; 4-byte Folded Reload
	buffer_load_dword v54, off, s[24:27], 0 offset:4 ; 4-byte Folded Reload
	buffer_load_dword v55, off, s[24:27], 0 offset:8 ; 4-byte Folded Reload
	;; [unrolled: 1-line block ×3, first 2 shown]
	s_waitcnt lgkmcnt(0)
	v_mul_f64 v[93:94], v[91:92], v[99:100]
	v_fma_f64 v[93:94], v[89:90], v[125:126], -v[93:94]
	v_mul_f64 v[89:90], v[89:90], v[99:100]
	v_fma_f64 v[89:90], v[91:92], v[125:126], v[89:90]
	s_waitcnt vmcnt(2)
	v_add_f64 v[53:54], v[53:54], -v[93:94]
	s_waitcnt vmcnt(0)
	v_add_f64 v[55:56], v[55:56], -v[89:90]
	buffer_store_dword v53, off, s[24:27], 0 ; 4-byte Folded Spill
	s_nop 0
	buffer_store_dword v54, off, s[24:27], 0 offset:4 ; 4-byte Folded Spill
	buffer_store_dword v55, off, s[24:27], 0 offset:8 ; 4-byte Folded Spill
	;; [unrolled: 1-line block ×3, first 2 shown]
	ds_read2_b64 v[89:92], v0 offset0:80 offset1:81
	s_waitcnt lgkmcnt(0)
	v_mul_f64 v[93:94], v[91:92], v[99:100]
	v_fma_f64 v[93:94], v[89:90], v[125:126], -v[93:94]
	v_mul_f64 v[89:90], v[89:90], v[99:100]
	v_add_f64 v[49:50], v[49:50], -v[93:94]
	v_fma_f64 v[89:90], v[91:92], v[125:126], v[89:90]
	v_add_f64 v[51:52], v[51:52], -v[89:90]
	ds_read2_b64 v[89:92], v0 offset0:82 offset1:83
	s_waitcnt lgkmcnt(0)
	v_mul_f64 v[93:94], v[91:92], v[99:100]
	v_fma_f64 v[93:94], v[89:90], v[125:126], -v[93:94]
	v_mul_f64 v[89:90], v[89:90], v[99:100]
	v_add_f64 v[45:46], v[45:46], -v[93:94]
	v_fma_f64 v[89:90], v[91:92], v[125:126], v[89:90]
	v_add_f64 v[47:48], v[47:48], -v[89:90]
	;; [unrolled: 8-line block ×13, first 2 shown]
	ds_read2_b64 v[89:92], v0 offset0:106 offset1:107
	s_waitcnt lgkmcnt(0)
	v_mul_f64 v[93:94], v[91:92], v[99:100]
	v_fma_f64 v[93:94], v[89:90], v[125:126], -v[93:94]
	v_mul_f64 v[89:90], v[89:90], v[99:100]
	buffer_store_dword v97, off, s[24:27], 0 offset:240 ; 4-byte Folded Spill
	s_nop 0
	buffer_store_dword v98, off, s[24:27], 0 offset:244 ; 4-byte Folded Spill
	buffer_store_dword v99, off, s[24:27], 0 offset:248 ; 4-byte Folded Spill
	;; [unrolled: 1-line block ×3, first 2 shown]
	v_add_f64 v[121:122], v[121:122], -v[93:94]
	v_fma_f64 v[89:90], v[91:92], v[125:126], v[89:90]
	v_add_f64 v[123:124], v[123:124], -v[89:90]
.LBB106_314:
	s_or_b64 exec, exec, s[0:1]
	s_waitcnt vmcnt(0)
	s_barrier
	buffer_load_dword v53, off, s[24:27], 0 offset:224 ; 4-byte Folded Reload
	buffer_load_dword v54, off, s[24:27], 0 offset:228 ; 4-byte Folded Reload
	;; [unrolled: 1-line block ×4, first 2 shown]
	v_lshl_add_u32 v89, v96, 4, v0
	s_cmp_lt_i32 s3, 17
	s_waitcnt vmcnt(0)
	ds_write2_b64 v89, v[53:54], v[55:56] offset1:1
	s_waitcnt lgkmcnt(0)
	s_barrier
	ds_read2_b64 v[117:120], v0 offset0:30 offset1:31
	v_mov_b32_e32 v89, 15
	s_cbranch_scc1 .LBB106_317
; %bb.315:
	v_add_u32_e32 v90, 0x100, v0
	s_mov_b32 s0, 16
	v_mov_b32_e32 v89, 15
.LBB106_316:                            ; =>This Inner Loop Header: Depth=1
	s_waitcnt lgkmcnt(0)
	v_cmp_gt_f64_e32 vcc, 0, v[117:118]
	v_xor_b32_e32 v97, 0x80000000, v118
	ds_read2_b64 v[91:94], v90 offset1:1
	v_xor_b32_e32 v99, 0x80000000, v120
	v_add_u32_e32 v90, 16, v90
	s_waitcnt lgkmcnt(0)
	v_xor_b32_e32 v101, 0x80000000, v94
	v_cndmask_b32_e32 v98, v118, v97, vcc
	v_cmp_gt_f64_e32 vcc, 0, v[119:120]
	v_mov_b32_e32 v97, v117
	v_cndmask_b32_e32 v100, v120, v99, vcc
	v_cmp_gt_f64_e32 vcc, 0, v[91:92]
	v_mov_b32_e32 v99, v119
	v_add_f64 v[97:98], v[97:98], v[99:100]
	v_xor_b32_e32 v99, 0x80000000, v92
	v_cndmask_b32_e32 v100, v92, v99, vcc
	v_cmp_gt_f64_e32 vcc, 0, v[93:94]
	v_mov_b32_e32 v99, v91
	v_cndmask_b32_e32 v102, v94, v101, vcc
	v_mov_b32_e32 v101, v93
	v_add_f64 v[99:100], v[99:100], v[101:102]
	v_cmp_lt_f64_e32 vcc, v[97:98], v[99:100]
	v_cndmask_b32_e32 v117, v117, v91, vcc
	v_mov_b32_e32 v91, s0
	s_add_i32 s0, s0, 1
	v_cndmask_b32_e32 v118, v118, v92, vcc
	v_cndmask_b32_e32 v120, v120, v94, vcc
	;; [unrolled: 1-line block ×4, first 2 shown]
	s_cmp_lg_u32 s3, s0
	s_cbranch_scc1 .LBB106_316
.LBB106_317:
	s_waitcnt lgkmcnt(0)
	v_cmp_eq_f64_e32 vcc, 0, v[117:118]
	v_cmp_eq_f64_e64 s[0:1], 0, v[119:120]
	s_and_b64 s[0:1], vcc, s[0:1]
	s_and_saveexec_b64 s[18:19], s[0:1]
	s_xor_b64 s[0:1], exec, s[18:19]
; %bb.318:
	v_cmp_ne_u32_e32 vcc, 0, v95
	v_cndmask_b32_e32 v95, 16, v95, vcc
; %bb.319:
	s_andn2_saveexec_b64 s[0:1], s[0:1]
	s_cbranch_execz .LBB106_325
; %bb.320:
	v_cmp_ngt_f64_e64 s[18:19], |v[117:118]|, |v[119:120]|
	s_and_saveexec_b64 s[20:21], s[18:19]
	s_xor_b64 s[18:19], exec, s[20:21]
	s_cbranch_execz .LBB106_322
; %bb.321:
	v_div_scale_f64 v[90:91], s[20:21], v[119:120], v[119:120], v[117:118]
	v_rcp_f64_e32 v[92:93], v[90:91]
	v_fma_f64 v[97:98], -v[90:91], v[92:93], 1.0
	v_fma_f64 v[92:93], v[92:93], v[97:98], v[92:93]
	v_div_scale_f64 v[97:98], vcc, v[117:118], v[119:120], v[117:118]
	v_fma_f64 v[99:100], -v[90:91], v[92:93], 1.0
	v_fma_f64 v[92:93], v[92:93], v[99:100], v[92:93]
	v_mul_f64 v[99:100], v[97:98], v[92:93]
	v_fma_f64 v[90:91], -v[90:91], v[99:100], v[97:98]
	v_div_fmas_f64 v[90:91], v[90:91], v[92:93], v[99:100]
	v_div_fixup_f64 v[90:91], v[90:91], v[119:120], v[117:118]
	v_fma_f64 v[92:93], v[117:118], v[90:91], v[119:120]
	v_div_scale_f64 v[97:98], s[20:21], v[92:93], v[92:93], 1.0
	v_div_scale_f64 v[103:104], vcc, 1.0, v[92:93], 1.0
	v_rcp_f64_e32 v[99:100], v[97:98]
	v_fma_f64 v[101:102], -v[97:98], v[99:100], 1.0
	v_fma_f64 v[99:100], v[99:100], v[101:102], v[99:100]
	v_fma_f64 v[101:102], -v[97:98], v[99:100], 1.0
	v_fma_f64 v[99:100], v[99:100], v[101:102], v[99:100]
	v_mul_f64 v[101:102], v[103:104], v[99:100]
	v_fma_f64 v[97:98], -v[97:98], v[101:102], v[103:104]
	v_div_fmas_f64 v[97:98], v[97:98], v[99:100], v[101:102]
	v_div_fixup_f64 v[119:120], v[97:98], v[92:93], 1.0
	v_mul_f64 v[117:118], v[90:91], v[119:120]
	v_xor_b32_e32 v120, 0x80000000, v120
.LBB106_322:
	s_andn2_saveexec_b64 s[18:19], s[18:19]
	s_cbranch_execz .LBB106_324
; %bb.323:
	v_div_scale_f64 v[90:91], s[20:21], v[117:118], v[117:118], v[119:120]
	v_rcp_f64_e32 v[92:93], v[90:91]
	v_fma_f64 v[97:98], -v[90:91], v[92:93], 1.0
	v_fma_f64 v[92:93], v[92:93], v[97:98], v[92:93]
	v_div_scale_f64 v[97:98], vcc, v[119:120], v[117:118], v[119:120]
	v_fma_f64 v[99:100], -v[90:91], v[92:93], 1.0
	v_fma_f64 v[92:93], v[92:93], v[99:100], v[92:93]
	v_mul_f64 v[99:100], v[97:98], v[92:93]
	v_fma_f64 v[90:91], -v[90:91], v[99:100], v[97:98]
	v_div_fmas_f64 v[90:91], v[90:91], v[92:93], v[99:100]
	v_div_fixup_f64 v[90:91], v[90:91], v[117:118], v[119:120]
	v_fma_f64 v[92:93], v[119:120], v[90:91], v[117:118]
	v_div_scale_f64 v[97:98], s[20:21], v[92:93], v[92:93], 1.0
	v_div_scale_f64 v[103:104], vcc, 1.0, v[92:93], 1.0
	v_rcp_f64_e32 v[99:100], v[97:98]
	v_fma_f64 v[101:102], -v[97:98], v[99:100], 1.0
	v_fma_f64 v[99:100], v[99:100], v[101:102], v[99:100]
	v_fma_f64 v[101:102], -v[97:98], v[99:100], 1.0
	v_fma_f64 v[99:100], v[99:100], v[101:102], v[99:100]
	v_mul_f64 v[101:102], v[103:104], v[99:100]
	v_fma_f64 v[97:98], -v[97:98], v[101:102], v[103:104]
	v_div_fmas_f64 v[97:98], v[97:98], v[99:100], v[101:102]
	v_div_fixup_f64 v[117:118], v[97:98], v[92:93], 1.0
	v_mul_f64 v[119:120], v[90:91], -v[117:118]
.LBB106_324:
	s_or_b64 exec, exec, s[18:19]
.LBB106_325:
	s_or_b64 exec, exec, s[0:1]
	v_cmp_ne_u32_e32 vcc, v96, v89
	s_and_saveexec_b64 s[0:1], vcc
	s_xor_b64 s[0:1], exec, s[0:1]
	s_cbranch_execz .LBB106_331
; %bb.326:
	v_cmp_eq_u32_e32 vcc, 15, v96
	s_and_saveexec_b64 s[18:19], vcc
	s_cbranch_execz .LBB106_330
; %bb.327:
	v_cmp_ne_u32_e32 vcc, 15, v89
	s_xor_b64 s[20:21], s[6:7], -1
	s_and_b64 s[22:23], s[20:21], vcc
	s_and_saveexec_b64 s[20:21], s[22:23]
	s_cbranch_execz .LBB106_329
; %bb.328:
	v_mov_b32_e32 v53, v81
	v_mov_b32_e32 v54, v82
	;; [unrolled: 1-line block ×4, first 2 shown]
	buffer_load_dword v81, off, s[24:27], 0 offset:436 ; 4-byte Folded Reload
	buffer_load_dword v82, off, s[24:27], 0 offset:440 ; 4-byte Folded Reload
	v_ashrrev_i32_e32 v90, 31, v89
	v_lshlrev_b64 v[90:91], 2, v[89:90]
	s_waitcnt vmcnt(1)
	v_add_co_u32_e32 v90, vcc, v81, v90
	s_waitcnt vmcnt(0)
	v_addc_co_u32_e32 v91, vcc, v82, v91, vcc
	global_load_dword v92, v[90:91], off
	global_load_dword v93, v[81:82], off offset:60
	s_waitcnt vmcnt(1)
	global_store_dword v[81:82], v92, off offset:60
	v_mov_b32_e32 v84, v56
	v_mov_b32_e32 v83, v55
	;; [unrolled: 1-line block ×4, first 2 shown]
	s_waitcnt vmcnt(1)
	global_store_dword v[90:91], v93, off
.LBB106_329:
	s_or_b64 exec, exec, s[20:21]
	v_mov_b32_e32 v96, v89
	v_mov_b32_e32 v53, v89
	buffer_store_dword v53, off, s[24:27], 0 offset:352 ; 4-byte Folded Spill
.LBB106_330:
	s_or_b64 exec, exec, s[18:19]
.LBB106_331:
	s_andn2_saveexec_b64 s[0:1], s[0:1]
	s_cbranch_execz .LBB106_333
; %bb.332:
	buffer_load_dword v53, off, s[24:27], 0 offset:208 ; 4-byte Folded Reload
	buffer_load_dword v54, off, s[24:27], 0 offset:212 ; 4-byte Folded Reload
	buffer_load_dword v55, off, s[24:27], 0 offset:216 ; 4-byte Folded Reload
	buffer_load_dword v56, off, s[24:27], 0 offset:220 ; 4-byte Folded Reload
	v_mov_b32_e32 v96, 15
	s_waitcnt vmcnt(0)
	ds_write2_b64 v0, v[53:54], v[55:56] offset0:32 offset1:33
	buffer_load_dword v53, off, s[24:27], 0 offset:192 ; 4-byte Folded Reload
	buffer_load_dword v54, off, s[24:27], 0 offset:196 ; 4-byte Folded Reload
	buffer_load_dword v55, off, s[24:27], 0 offset:200 ; 4-byte Folded Reload
	buffer_load_dword v56, off, s[24:27], 0 offset:204 ; 4-byte Folded Reload
	s_waitcnt vmcnt(0)
	ds_write2_b64 v0, v[53:54], v[55:56] offset0:34 offset1:35
	buffer_load_dword v53, off, s[24:27], 0 offset:176 ; 4-byte Folded Reload
	buffer_load_dword v54, off, s[24:27], 0 offset:180 ; 4-byte Folded Reload
	buffer_load_dword v55, off, s[24:27], 0 offset:184 ; 4-byte Folded Reload
	buffer_load_dword v56, off, s[24:27], 0 offset:188 ; 4-byte Folded Reload
	;; [unrolled: 6-line block ×12, first 2 shown]
	s_waitcnt vmcnt(0)
	ds_write2_b64 v0, v[53:54], v[55:56] offset0:56 offset1:57
	ds_write2_b64 v0, v[81:82], v[83:84] offset0:58 offset1:59
	;; [unrolled: 1-line block ×11, first 2 shown]
	buffer_load_dword v53, off, s[24:27], 0 ; 4-byte Folded Reload
	buffer_load_dword v54, off, s[24:27], 0 offset:4 ; 4-byte Folded Reload
	buffer_load_dword v55, off, s[24:27], 0 offset:8 ; 4-byte Folded Reload
	;; [unrolled: 1-line block ×3, first 2 shown]
	s_waitcnt vmcnt(0)
	ds_write2_b64 v0, v[53:54], v[55:56] offset0:78 offset1:79
	ds_write2_b64 v0, v[49:50], v[51:52] offset0:80 offset1:81
	;; [unrolled: 1-line block ×15, first 2 shown]
.LBB106_333:
	s_or_b64 exec, exec, s[0:1]
	v_cmp_lt_i32_e32 vcc, 15, v96
	s_waitcnt vmcnt(0) lgkmcnt(0)
	s_barrier
	s_and_saveexec_b64 s[0:1], vcc
	s_cbranch_execz .LBB106_335
; %bb.334:
	buffer_load_dword v97, off, s[24:27], 0 offset:224 ; 4-byte Folded Reload
	buffer_load_dword v98, off, s[24:27], 0 offset:228 ; 4-byte Folded Reload
	;; [unrolled: 1-line block ×4, first 2 shown]
	s_waitcnt vmcnt(0)
	v_mul_f64 v[89:90], v[119:120], v[99:100]
	v_fma_f64 v[125:126], v[117:118], v[97:98], -v[89:90]
	v_mul_f64 v[89:90], v[117:118], v[99:100]
	v_fma_f64 v[99:100], v[119:120], v[97:98], v[89:90]
	ds_read2_b64 v[89:92], v0 offset0:32 offset1:33
	buffer_load_dword v53, off, s[24:27], 0 offset:208 ; 4-byte Folded Reload
	buffer_load_dword v54, off, s[24:27], 0 offset:212 ; 4-byte Folded Reload
	;; [unrolled: 1-line block ×4, first 2 shown]
	v_mov_b32_e32 v97, v125
	v_mov_b32_e32 v98, v126
	s_waitcnt lgkmcnt(0)
	v_mul_f64 v[93:94], v[91:92], v[99:100]
	v_fma_f64 v[93:94], v[89:90], v[125:126], -v[93:94]
	v_mul_f64 v[89:90], v[89:90], v[99:100]
	v_fma_f64 v[89:90], v[91:92], v[125:126], v[89:90]
	s_waitcnt vmcnt(2)
	v_add_f64 v[53:54], v[53:54], -v[93:94]
	s_waitcnt vmcnt(0)
	v_add_f64 v[55:56], v[55:56], -v[89:90]
	buffer_store_dword v53, off, s[24:27], 0 offset:208 ; 4-byte Folded Spill
	s_nop 0
	buffer_store_dword v54, off, s[24:27], 0 offset:212 ; 4-byte Folded Spill
	buffer_store_dword v55, off, s[24:27], 0 offset:216 ; 4-byte Folded Spill
	buffer_store_dword v56, off, s[24:27], 0 offset:220 ; 4-byte Folded Spill
	ds_read2_b64 v[89:92], v0 offset0:34 offset1:35
	buffer_load_dword v53, off, s[24:27], 0 offset:192 ; 4-byte Folded Reload
	buffer_load_dword v54, off, s[24:27], 0 offset:196 ; 4-byte Folded Reload
	buffer_load_dword v55, off, s[24:27], 0 offset:200 ; 4-byte Folded Reload
	buffer_load_dword v56, off, s[24:27], 0 offset:204 ; 4-byte Folded Reload
	s_waitcnt lgkmcnt(0)
	v_mul_f64 v[93:94], v[91:92], v[99:100]
	v_fma_f64 v[93:94], v[89:90], v[125:126], -v[93:94]
	v_mul_f64 v[89:90], v[89:90], v[99:100]
	v_fma_f64 v[89:90], v[91:92], v[125:126], v[89:90]
	s_waitcnt vmcnt(2)
	v_add_f64 v[53:54], v[53:54], -v[93:94]
	s_waitcnt vmcnt(0)
	v_add_f64 v[55:56], v[55:56], -v[89:90]
	buffer_store_dword v53, off, s[24:27], 0 offset:192 ; 4-byte Folded Spill
	s_nop 0
	buffer_store_dword v54, off, s[24:27], 0 offset:196 ; 4-byte Folded Spill
	buffer_store_dword v55, off, s[24:27], 0 offset:200 ; 4-byte Folded Spill
	buffer_store_dword v56, off, s[24:27], 0 offset:204 ; 4-byte Folded Spill
	ds_read2_b64 v[89:92], v0 offset0:36 offset1:37
	buffer_load_dword v53, off, s[24:27], 0 offset:176 ; 4-byte Folded Reload
	buffer_load_dword v54, off, s[24:27], 0 offset:180 ; 4-byte Folded Reload
	buffer_load_dword v55, off, s[24:27], 0 offset:184 ; 4-byte Folded Reload
	buffer_load_dword v56, off, s[24:27], 0 offset:188 ; 4-byte Folded Reload
	;; [unrolled: 19-line block ×12, first 2 shown]
	s_waitcnt lgkmcnt(0)
	v_mul_f64 v[93:94], v[91:92], v[99:100]
	v_fma_f64 v[93:94], v[89:90], v[125:126], -v[93:94]
	v_mul_f64 v[89:90], v[89:90], v[99:100]
	v_fma_f64 v[89:90], v[91:92], v[125:126], v[89:90]
	s_waitcnt vmcnt(2)
	v_add_f64 v[53:54], v[53:54], -v[93:94]
	s_waitcnt vmcnt(0)
	v_add_f64 v[55:56], v[55:56], -v[89:90]
	buffer_store_dword v53, off, s[24:27], 0 offset:16 ; 4-byte Folded Spill
	s_nop 0
	buffer_store_dword v54, off, s[24:27], 0 offset:20 ; 4-byte Folded Spill
	buffer_store_dword v55, off, s[24:27], 0 offset:24 ; 4-byte Folded Spill
	;; [unrolled: 1-line block ×3, first 2 shown]
	ds_read2_b64 v[89:92], v0 offset0:58 offset1:59
	s_waitcnt lgkmcnt(0)
	v_mul_f64 v[93:94], v[91:92], v[99:100]
	v_fma_f64 v[93:94], v[89:90], v[125:126], -v[93:94]
	v_mul_f64 v[89:90], v[89:90], v[99:100]
	v_add_f64 v[81:82], v[81:82], -v[93:94]
	v_fma_f64 v[89:90], v[91:92], v[125:126], v[89:90]
	v_add_f64 v[83:84], v[83:84], -v[89:90]
	ds_read2_b64 v[89:92], v0 offset0:60 offset1:61
	s_waitcnt lgkmcnt(0)
	v_mul_f64 v[93:94], v[91:92], v[99:100]
	v_fma_f64 v[93:94], v[89:90], v[125:126], -v[93:94]
	v_mul_f64 v[89:90], v[89:90], v[99:100]
	v_add_f64 v[85:86], v[85:86], -v[93:94]
	v_fma_f64 v[89:90], v[91:92], v[125:126], v[89:90]
	v_add_f64 v[87:88], v[87:88], -v[89:90]
	;; [unrolled: 8-line block ×10, first 2 shown]
	ds_read2_b64 v[89:92], v0 offset0:78 offset1:79
	buffer_load_dword v53, off, s[24:27], 0 ; 4-byte Folded Reload
	buffer_load_dword v54, off, s[24:27], 0 offset:4 ; 4-byte Folded Reload
	buffer_load_dword v55, off, s[24:27], 0 offset:8 ; 4-byte Folded Reload
	;; [unrolled: 1-line block ×3, first 2 shown]
	s_waitcnt lgkmcnt(0)
	v_mul_f64 v[93:94], v[91:92], v[99:100]
	v_fma_f64 v[93:94], v[89:90], v[125:126], -v[93:94]
	v_mul_f64 v[89:90], v[89:90], v[99:100]
	v_fma_f64 v[89:90], v[91:92], v[125:126], v[89:90]
	s_waitcnt vmcnt(2)
	v_add_f64 v[53:54], v[53:54], -v[93:94]
	s_waitcnt vmcnt(0)
	v_add_f64 v[55:56], v[55:56], -v[89:90]
	buffer_store_dword v53, off, s[24:27], 0 ; 4-byte Folded Spill
	s_nop 0
	buffer_store_dword v54, off, s[24:27], 0 offset:4 ; 4-byte Folded Spill
	buffer_store_dword v55, off, s[24:27], 0 offset:8 ; 4-byte Folded Spill
	;; [unrolled: 1-line block ×3, first 2 shown]
	ds_read2_b64 v[89:92], v0 offset0:80 offset1:81
	s_waitcnt lgkmcnt(0)
	v_mul_f64 v[93:94], v[91:92], v[99:100]
	v_fma_f64 v[93:94], v[89:90], v[125:126], -v[93:94]
	v_mul_f64 v[89:90], v[89:90], v[99:100]
	v_add_f64 v[49:50], v[49:50], -v[93:94]
	v_fma_f64 v[89:90], v[91:92], v[125:126], v[89:90]
	v_add_f64 v[51:52], v[51:52], -v[89:90]
	ds_read2_b64 v[89:92], v0 offset0:82 offset1:83
	s_waitcnt lgkmcnt(0)
	v_mul_f64 v[93:94], v[91:92], v[99:100]
	v_fma_f64 v[93:94], v[89:90], v[125:126], -v[93:94]
	v_mul_f64 v[89:90], v[89:90], v[99:100]
	v_add_f64 v[45:46], v[45:46], -v[93:94]
	v_fma_f64 v[89:90], v[91:92], v[125:126], v[89:90]
	v_add_f64 v[47:48], v[47:48], -v[89:90]
	;; [unrolled: 8-line block ×13, first 2 shown]
	ds_read2_b64 v[89:92], v0 offset0:106 offset1:107
	s_waitcnt lgkmcnt(0)
	v_mul_f64 v[93:94], v[91:92], v[99:100]
	v_fma_f64 v[93:94], v[89:90], v[125:126], -v[93:94]
	v_mul_f64 v[89:90], v[89:90], v[99:100]
	buffer_store_dword v97, off, s[24:27], 0 offset:224 ; 4-byte Folded Spill
	s_nop 0
	buffer_store_dword v98, off, s[24:27], 0 offset:228 ; 4-byte Folded Spill
	buffer_store_dword v99, off, s[24:27], 0 offset:232 ; 4-byte Folded Spill
	;; [unrolled: 1-line block ×3, first 2 shown]
	v_add_f64 v[121:122], v[121:122], -v[93:94]
	v_fma_f64 v[89:90], v[91:92], v[125:126], v[89:90]
	v_add_f64 v[123:124], v[123:124], -v[89:90]
.LBB106_335:
	s_or_b64 exec, exec, s[0:1]
	s_waitcnt vmcnt(0)
	s_barrier
	buffer_load_dword v53, off, s[24:27], 0 offset:208 ; 4-byte Folded Reload
	buffer_load_dword v54, off, s[24:27], 0 offset:212 ; 4-byte Folded Reload
	;; [unrolled: 1-line block ×4, first 2 shown]
	v_lshl_add_u32 v89, v96, 4, v0
	s_cmp_lt_i32 s3, 18
	s_waitcnt vmcnt(0)
	ds_write2_b64 v89, v[53:54], v[55:56] offset1:1
	s_waitcnt lgkmcnt(0)
	s_barrier
	ds_read2_b64 v[117:120], v0 offset0:32 offset1:33
	v_mov_b32_e32 v89, 16
	s_cbranch_scc1 .LBB106_338
; %bb.336:
	v_add_u32_e32 v90, 0x110, v0
	s_mov_b32 s0, 17
	v_mov_b32_e32 v89, 16
.LBB106_337:                            ; =>This Inner Loop Header: Depth=1
	s_waitcnt lgkmcnt(0)
	v_cmp_gt_f64_e32 vcc, 0, v[117:118]
	v_xor_b32_e32 v97, 0x80000000, v118
	ds_read2_b64 v[91:94], v90 offset1:1
	v_xor_b32_e32 v99, 0x80000000, v120
	v_add_u32_e32 v90, 16, v90
	s_waitcnt lgkmcnt(0)
	v_xor_b32_e32 v101, 0x80000000, v94
	v_cndmask_b32_e32 v98, v118, v97, vcc
	v_cmp_gt_f64_e32 vcc, 0, v[119:120]
	v_mov_b32_e32 v97, v117
	v_cndmask_b32_e32 v100, v120, v99, vcc
	v_cmp_gt_f64_e32 vcc, 0, v[91:92]
	v_mov_b32_e32 v99, v119
	v_add_f64 v[97:98], v[97:98], v[99:100]
	v_xor_b32_e32 v99, 0x80000000, v92
	v_cndmask_b32_e32 v100, v92, v99, vcc
	v_cmp_gt_f64_e32 vcc, 0, v[93:94]
	v_mov_b32_e32 v99, v91
	v_cndmask_b32_e32 v102, v94, v101, vcc
	v_mov_b32_e32 v101, v93
	v_add_f64 v[99:100], v[99:100], v[101:102]
	v_cmp_lt_f64_e32 vcc, v[97:98], v[99:100]
	v_cndmask_b32_e32 v117, v117, v91, vcc
	v_mov_b32_e32 v91, s0
	s_add_i32 s0, s0, 1
	v_cndmask_b32_e32 v118, v118, v92, vcc
	v_cndmask_b32_e32 v120, v120, v94, vcc
	;; [unrolled: 1-line block ×4, first 2 shown]
	s_cmp_lg_u32 s3, s0
	s_cbranch_scc1 .LBB106_337
.LBB106_338:
	s_waitcnt lgkmcnt(0)
	v_cmp_eq_f64_e32 vcc, 0, v[117:118]
	v_cmp_eq_f64_e64 s[0:1], 0, v[119:120]
	s_and_b64 s[0:1], vcc, s[0:1]
	s_and_saveexec_b64 s[18:19], s[0:1]
	s_xor_b64 s[0:1], exec, s[18:19]
; %bb.339:
	v_cmp_ne_u32_e32 vcc, 0, v95
	v_cndmask_b32_e32 v95, 17, v95, vcc
; %bb.340:
	s_andn2_saveexec_b64 s[0:1], s[0:1]
	s_cbranch_execz .LBB106_346
; %bb.341:
	v_cmp_ngt_f64_e64 s[18:19], |v[117:118]|, |v[119:120]|
	s_and_saveexec_b64 s[20:21], s[18:19]
	s_xor_b64 s[18:19], exec, s[20:21]
	s_cbranch_execz .LBB106_343
; %bb.342:
	v_div_scale_f64 v[90:91], s[20:21], v[119:120], v[119:120], v[117:118]
	v_rcp_f64_e32 v[92:93], v[90:91]
	v_fma_f64 v[97:98], -v[90:91], v[92:93], 1.0
	v_fma_f64 v[92:93], v[92:93], v[97:98], v[92:93]
	v_div_scale_f64 v[97:98], vcc, v[117:118], v[119:120], v[117:118]
	v_fma_f64 v[99:100], -v[90:91], v[92:93], 1.0
	v_fma_f64 v[92:93], v[92:93], v[99:100], v[92:93]
	v_mul_f64 v[99:100], v[97:98], v[92:93]
	v_fma_f64 v[90:91], -v[90:91], v[99:100], v[97:98]
	v_div_fmas_f64 v[90:91], v[90:91], v[92:93], v[99:100]
	v_div_fixup_f64 v[90:91], v[90:91], v[119:120], v[117:118]
	v_fma_f64 v[92:93], v[117:118], v[90:91], v[119:120]
	v_div_scale_f64 v[97:98], s[20:21], v[92:93], v[92:93], 1.0
	v_div_scale_f64 v[103:104], vcc, 1.0, v[92:93], 1.0
	v_rcp_f64_e32 v[99:100], v[97:98]
	v_fma_f64 v[101:102], -v[97:98], v[99:100], 1.0
	v_fma_f64 v[99:100], v[99:100], v[101:102], v[99:100]
	v_fma_f64 v[101:102], -v[97:98], v[99:100], 1.0
	v_fma_f64 v[99:100], v[99:100], v[101:102], v[99:100]
	v_mul_f64 v[101:102], v[103:104], v[99:100]
	v_fma_f64 v[97:98], -v[97:98], v[101:102], v[103:104]
	v_div_fmas_f64 v[97:98], v[97:98], v[99:100], v[101:102]
	v_div_fixup_f64 v[119:120], v[97:98], v[92:93], 1.0
	v_mul_f64 v[117:118], v[90:91], v[119:120]
	v_xor_b32_e32 v120, 0x80000000, v120
.LBB106_343:
	s_andn2_saveexec_b64 s[18:19], s[18:19]
	s_cbranch_execz .LBB106_345
; %bb.344:
	v_div_scale_f64 v[90:91], s[20:21], v[117:118], v[117:118], v[119:120]
	v_rcp_f64_e32 v[92:93], v[90:91]
	v_fma_f64 v[97:98], -v[90:91], v[92:93], 1.0
	v_fma_f64 v[92:93], v[92:93], v[97:98], v[92:93]
	v_div_scale_f64 v[97:98], vcc, v[119:120], v[117:118], v[119:120]
	v_fma_f64 v[99:100], -v[90:91], v[92:93], 1.0
	v_fma_f64 v[92:93], v[92:93], v[99:100], v[92:93]
	v_mul_f64 v[99:100], v[97:98], v[92:93]
	v_fma_f64 v[90:91], -v[90:91], v[99:100], v[97:98]
	v_div_fmas_f64 v[90:91], v[90:91], v[92:93], v[99:100]
	v_div_fixup_f64 v[90:91], v[90:91], v[117:118], v[119:120]
	v_fma_f64 v[92:93], v[119:120], v[90:91], v[117:118]
	v_div_scale_f64 v[97:98], s[20:21], v[92:93], v[92:93], 1.0
	v_div_scale_f64 v[103:104], vcc, 1.0, v[92:93], 1.0
	v_rcp_f64_e32 v[99:100], v[97:98]
	v_fma_f64 v[101:102], -v[97:98], v[99:100], 1.0
	v_fma_f64 v[99:100], v[99:100], v[101:102], v[99:100]
	v_fma_f64 v[101:102], -v[97:98], v[99:100], 1.0
	v_fma_f64 v[99:100], v[99:100], v[101:102], v[99:100]
	v_mul_f64 v[101:102], v[103:104], v[99:100]
	v_fma_f64 v[97:98], -v[97:98], v[101:102], v[103:104]
	v_div_fmas_f64 v[97:98], v[97:98], v[99:100], v[101:102]
	v_div_fixup_f64 v[117:118], v[97:98], v[92:93], 1.0
	v_mul_f64 v[119:120], v[90:91], -v[117:118]
.LBB106_345:
	s_or_b64 exec, exec, s[18:19]
.LBB106_346:
	s_or_b64 exec, exec, s[0:1]
	v_cmp_ne_u32_e32 vcc, v96, v89
	s_and_saveexec_b64 s[0:1], vcc
	s_xor_b64 s[0:1], exec, s[0:1]
	s_cbranch_execz .LBB106_352
; %bb.347:
	v_cmp_eq_u32_e32 vcc, 16, v96
	s_and_saveexec_b64 s[18:19], vcc
	s_cbranch_execz .LBB106_351
; %bb.348:
	v_cmp_ne_u32_e32 vcc, 16, v89
	s_xor_b64 s[20:21], s[6:7], -1
	s_and_b64 s[22:23], s[20:21], vcc
	s_and_saveexec_b64 s[20:21], s[22:23]
	s_cbranch_execz .LBB106_350
; %bb.349:
	v_mov_b32_e32 v53, v81
	v_mov_b32_e32 v54, v82
	;; [unrolled: 1-line block ×4, first 2 shown]
	buffer_load_dword v81, off, s[24:27], 0 offset:436 ; 4-byte Folded Reload
	buffer_load_dword v82, off, s[24:27], 0 offset:440 ; 4-byte Folded Reload
	v_ashrrev_i32_e32 v90, 31, v89
	v_lshlrev_b64 v[90:91], 2, v[89:90]
	s_waitcnt vmcnt(1)
	v_add_co_u32_e32 v90, vcc, v81, v90
	s_waitcnt vmcnt(0)
	v_addc_co_u32_e32 v91, vcc, v82, v91, vcc
	global_load_dword v92, v[90:91], off
	global_load_dword v93, v[81:82], off offset:64
	s_waitcnt vmcnt(1)
	global_store_dword v[81:82], v92, off offset:64
	v_mov_b32_e32 v84, v56
	v_mov_b32_e32 v83, v55
	;; [unrolled: 1-line block ×4, first 2 shown]
	s_waitcnt vmcnt(1)
	global_store_dword v[90:91], v93, off
.LBB106_350:
	s_or_b64 exec, exec, s[20:21]
	v_mov_b32_e32 v96, v89
	v_mov_b32_e32 v53, v89
	buffer_store_dword v53, off, s[24:27], 0 offset:352 ; 4-byte Folded Spill
.LBB106_351:
	s_or_b64 exec, exec, s[18:19]
.LBB106_352:
	s_andn2_saveexec_b64 s[0:1], s[0:1]
	s_cbranch_execz .LBB106_354
; %bb.353:
	buffer_load_dword v53, off, s[24:27], 0 offset:192 ; 4-byte Folded Reload
	buffer_load_dword v54, off, s[24:27], 0 offset:196 ; 4-byte Folded Reload
	;; [unrolled: 1-line block ×4, first 2 shown]
	v_mov_b32_e32 v96, 16
	s_waitcnt vmcnt(0)
	ds_write2_b64 v0, v[53:54], v[55:56] offset0:34 offset1:35
	buffer_load_dword v53, off, s[24:27], 0 offset:176 ; 4-byte Folded Reload
	buffer_load_dword v54, off, s[24:27], 0 offset:180 ; 4-byte Folded Reload
	buffer_load_dword v55, off, s[24:27], 0 offset:184 ; 4-byte Folded Reload
	buffer_load_dword v56, off, s[24:27], 0 offset:188 ; 4-byte Folded Reload
	s_waitcnt vmcnt(0)
	ds_write2_b64 v0, v[53:54], v[55:56] offset0:36 offset1:37
	buffer_load_dword v53, off, s[24:27], 0 offset:160 ; 4-byte Folded Reload
	buffer_load_dword v54, off, s[24:27], 0 offset:164 ; 4-byte Folded Reload
	buffer_load_dword v55, off, s[24:27], 0 offset:168 ; 4-byte Folded Reload
	buffer_load_dword v56, off, s[24:27], 0 offset:172 ; 4-byte Folded Reload
	;; [unrolled: 6-line block ×11, first 2 shown]
	s_waitcnt vmcnt(0)
	ds_write2_b64 v0, v[53:54], v[55:56] offset0:56 offset1:57
	ds_write2_b64 v0, v[81:82], v[83:84] offset0:58 offset1:59
	;; [unrolled: 1-line block ×11, first 2 shown]
	buffer_load_dword v53, off, s[24:27], 0 ; 4-byte Folded Reload
	buffer_load_dword v54, off, s[24:27], 0 offset:4 ; 4-byte Folded Reload
	buffer_load_dword v55, off, s[24:27], 0 offset:8 ; 4-byte Folded Reload
	;; [unrolled: 1-line block ×3, first 2 shown]
	s_waitcnt vmcnt(0)
	ds_write2_b64 v0, v[53:54], v[55:56] offset0:78 offset1:79
	ds_write2_b64 v0, v[49:50], v[51:52] offset0:80 offset1:81
	;; [unrolled: 1-line block ×15, first 2 shown]
.LBB106_354:
	s_or_b64 exec, exec, s[0:1]
	v_cmp_lt_i32_e32 vcc, 16, v96
	s_waitcnt vmcnt(0) lgkmcnt(0)
	s_barrier
	s_and_saveexec_b64 s[0:1], vcc
	s_cbranch_execz .LBB106_356
; %bb.355:
	buffer_load_dword v97, off, s[24:27], 0 offset:208 ; 4-byte Folded Reload
	buffer_load_dword v98, off, s[24:27], 0 offset:212 ; 4-byte Folded Reload
	;; [unrolled: 1-line block ×4, first 2 shown]
	s_waitcnt vmcnt(0)
	v_mul_f64 v[89:90], v[119:120], v[99:100]
	v_fma_f64 v[125:126], v[117:118], v[97:98], -v[89:90]
	v_mul_f64 v[89:90], v[117:118], v[99:100]
	v_fma_f64 v[99:100], v[119:120], v[97:98], v[89:90]
	ds_read2_b64 v[89:92], v0 offset0:34 offset1:35
	buffer_load_dword v53, off, s[24:27], 0 offset:192 ; 4-byte Folded Reload
	buffer_load_dword v54, off, s[24:27], 0 offset:196 ; 4-byte Folded Reload
	;; [unrolled: 1-line block ×4, first 2 shown]
	v_mov_b32_e32 v97, v125
	v_mov_b32_e32 v98, v126
	s_waitcnt lgkmcnt(0)
	v_mul_f64 v[93:94], v[91:92], v[99:100]
	v_fma_f64 v[93:94], v[89:90], v[125:126], -v[93:94]
	v_mul_f64 v[89:90], v[89:90], v[99:100]
	v_fma_f64 v[89:90], v[91:92], v[125:126], v[89:90]
	s_waitcnt vmcnt(2)
	v_add_f64 v[53:54], v[53:54], -v[93:94]
	s_waitcnt vmcnt(0)
	v_add_f64 v[55:56], v[55:56], -v[89:90]
	buffer_store_dword v53, off, s[24:27], 0 offset:192 ; 4-byte Folded Spill
	s_nop 0
	buffer_store_dword v54, off, s[24:27], 0 offset:196 ; 4-byte Folded Spill
	buffer_store_dword v55, off, s[24:27], 0 offset:200 ; 4-byte Folded Spill
	buffer_store_dword v56, off, s[24:27], 0 offset:204 ; 4-byte Folded Spill
	ds_read2_b64 v[89:92], v0 offset0:36 offset1:37
	buffer_load_dword v53, off, s[24:27], 0 offset:176 ; 4-byte Folded Reload
	buffer_load_dword v54, off, s[24:27], 0 offset:180 ; 4-byte Folded Reload
	buffer_load_dword v55, off, s[24:27], 0 offset:184 ; 4-byte Folded Reload
	buffer_load_dword v56, off, s[24:27], 0 offset:188 ; 4-byte Folded Reload
	s_waitcnt lgkmcnt(0)
	v_mul_f64 v[93:94], v[91:92], v[99:100]
	v_fma_f64 v[93:94], v[89:90], v[125:126], -v[93:94]
	v_mul_f64 v[89:90], v[89:90], v[99:100]
	v_fma_f64 v[89:90], v[91:92], v[125:126], v[89:90]
	s_waitcnt vmcnt(2)
	v_add_f64 v[53:54], v[53:54], -v[93:94]
	s_waitcnt vmcnt(0)
	v_add_f64 v[55:56], v[55:56], -v[89:90]
	buffer_store_dword v53, off, s[24:27], 0 offset:176 ; 4-byte Folded Spill
	s_nop 0
	buffer_store_dword v54, off, s[24:27], 0 offset:180 ; 4-byte Folded Spill
	buffer_store_dword v55, off, s[24:27], 0 offset:184 ; 4-byte Folded Spill
	buffer_store_dword v56, off, s[24:27], 0 offset:188 ; 4-byte Folded Spill
	ds_read2_b64 v[89:92], v0 offset0:38 offset1:39
	buffer_load_dword v53, off, s[24:27], 0 offset:160 ; 4-byte Folded Reload
	buffer_load_dword v54, off, s[24:27], 0 offset:164 ; 4-byte Folded Reload
	buffer_load_dword v55, off, s[24:27], 0 offset:168 ; 4-byte Folded Reload
	buffer_load_dword v56, off, s[24:27], 0 offset:172 ; 4-byte Folded Reload
	;; [unrolled: 19-line block ×11, first 2 shown]
	s_waitcnt lgkmcnt(0)
	v_mul_f64 v[93:94], v[91:92], v[99:100]
	v_fma_f64 v[93:94], v[89:90], v[125:126], -v[93:94]
	v_mul_f64 v[89:90], v[89:90], v[99:100]
	v_fma_f64 v[89:90], v[91:92], v[125:126], v[89:90]
	s_waitcnt vmcnt(2)
	v_add_f64 v[53:54], v[53:54], -v[93:94]
	s_waitcnt vmcnt(0)
	v_add_f64 v[55:56], v[55:56], -v[89:90]
	buffer_store_dword v53, off, s[24:27], 0 offset:16 ; 4-byte Folded Spill
	s_nop 0
	buffer_store_dword v54, off, s[24:27], 0 offset:20 ; 4-byte Folded Spill
	buffer_store_dword v55, off, s[24:27], 0 offset:24 ; 4-byte Folded Spill
	;; [unrolled: 1-line block ×3, first 2 shown]
	ds_read2_b64 v[89:92], v0 offset0:58 offset1:59
	s_waitcnt lgkmcnt(0)
	v_mul_f64 v[93:94], v[91:92], v[99:100]
	v_fma_f64 v[93:94], v[89:90], v[125:126], -v[93:94]
	v_mul_f64 v[89:90], v[89:90], v[99:100]
	v_add_f64 v[81:82], v[81:82], -v[93:94]
	v_fma_f64 v[89:90], v[91:92], v[125:126], v[89:90]
	v_add_f64 v[83:84], v[83:84], -v[89:90]
	ds_read2_b64 v[89:92], v0 offset0:60 offset1:61
	s_waitcnt lgkmcnt(0)
	v_mul_f64 v[93:94], v[91:92], v[99:100]
	v_fma_f64 v[93:94], v[89:90], v[125:126], -v[93:94]
	v_mul_f64 v[89:90], v[89:90], v[99:100]
	v_add_f64 v[85:86], v[85:86], -v[93:94]
	v_fma_f64 v[89:90], v[91:92], v[125:126], v[89:90]
	v_add_f64 v[87:88], v[87:88], -v[89:90]
	;; [unrolled: 8-line block ×10, first 2 shown]
	ds_read2_b64 v[89:92], v0 offset0:78 offset1:79
	buffer_load_dword v53, off, s[24:27], 0 ; 4-byte Folded Reload
	buffer_load_dword v54, off, s[24:27], 0 offset:4 ; 4-byte Folded Reload
	buffer_load_dword v55, off, s[24:27], 0 offset:8 ; 4-byte Folded Reload
	;; [unrolled: 1-line block ×3, first 2 shown]
	s_waitcnt lgkmcnt(0)
	v_mul_f64 v[93:94], v[91:92], v[99:100]
	v_fma_f64 v[93:94], v[89:90], v[125:126], -v[93:94]
	v_mul_f64 v[89:90], v[89:90], v[99:100]
	v_fma_f64 v[89:90], v[91:92], v[125:126], v[89:90]
	s_waitcnt vmcnt(2)
	v_add_f64 v[53:54], v[53:54], -v[93:94]
	s_waitcnt vmcnt(0)
	v_add_f64 v[55:56], v[55:56], -v[89:90]
	buffer_store_dword v53, off, s[24:27], 0 ; 4-byte Folded Spill
	s_nop 0
	buffer_store_dword v54, off, s[24:27], 0 offset:4 ; 4-byte Folded Spill
	buffer_store_dword v55, off, s[24:27], 0 offset:8 ; 4-byte Folded Spill
	;; [unrolled: 1-line block ×3, first 2 shown]
	ds_read2_b64 v[89:92], v0 offset0:80 offset1:81
	s_waitcnt lgkmcnt(0)
	v_mul_f64 v[93:94], v[91:92], v[99:100]
	v_fma_f64 v[93:94], v[89:90], v[125:126], -v[93:94]
	v_mul_f64 v[89:90], v[89:90], v[99:100]
	v_add_f64 v[49:50], v[49:50], -v[93:94]
	v_fma_f64 v[89:90], v[91:92], v[125:126], v[89:90]
	v_add_f64 v[51:52], v[51:52], -v[89:90]
	ds_read2_b64 v[89:92], v0 offset0:82 offset1:83
	s_waitcnt lgkmcnt(0)
	v_mul_f64 v[93:94], v[91:92], v[99:100]
	v_fma_f64 v[93:94], v[89:90], v[125:126], -v[93:94]
	v_mul_f64 v[89:90], v[89:90], v[99:100]
	v_add_f64 v[45:46], v[45:46], -v[93:94]
	v_fma_f64 v[89:90], v[91:92], v[125:126], v[89:90]
	v_add_f64 v[47:48], v[47:48], -v[89:90]
	;; [unrolled: 8-line block ×13, first 2 shown]
	ds_read2_b64 v[89:92], v0 offset0:106 offset1:107
	s_waitcnt lgkmcnt(0)
	v_mul_f64 v[93:94], v[91:92], v[99:100]
	v_fma_f64 v[93:94], v[89:90], v[125:126], -v[93:94]
	v_mul_f64 v[89:90], v[89:90], v[99:100]
	buffer_store_dword v97, off, s[24:27], 0 offset:208 ; 4-byte Folded Spill
	s_nop 0
	buffer_store_dword v98, off, s[24:27], 0 offset:212 ; 4-byte Folded Spill
	buffer_store_dword v99, off, s[24:27], 0 offset:216 ; 4-byte Folded Spill
	;; [unrolled: 1-line block ×3, first 2 shown]
	v_add_f64 v[121:122], v[121:122], -v[93:94]
	v_fma_f64 v[89:90], v[91:92], v[125:126], v[89:90]
	v_add_f64 v[123:124], v[123:124], -v[89:90]
.LBB106_356:
	s_or_b64 exec, exec, s[0:1]
	s_waitcnt vmcnt(0)
	s_barrier
	buffer_load_dword v53, off, s[24:27], 0 offset:192 ; 4-byte Folded Reload
	buffer_load_dword v54, off, s[24:27], 0 offset:196 ; 4-byte Folded Reload
	;; [unrolled: 1-line block ×4, first 2 shown]
	v_lshl_add_u32 v89, v96, 4, v0
	s_cmp_lt_i32 s3, 19
	s_waitcnt vmcnt(0)
	ds_write2_b64 v89, v[53:54], v[55:56] offset1:1
	s_waitcnt lgkmcnt(0)
	s_barrier
	ds_read2_b64 v[117:120], v0 offset0:34 offset1:35
	v_mov_b32_e32 v89, 17
	s_cbranch_scc1 .LBB106_359
; %bb.357:
	v_add_u32_e32 v90, 0x120, v0
	s_mov_b32 s0, 18
	v_mov_b32_e32 v89, 17
.LBB106_358:                            ; =>This Inner Loop Header: Depth=1
	s_waitcnt lgkmcnt(0)
	v_cmp_gt_f64_e32 vcc, 0, v[117:118]
	v_xor_b32_e32 v97, 0x80000000, v118
	ds_read2_b64 v[91:94], v90 offset1:1
	v_xor_b32_e32 v99, 0x80000000, v120
	v_add_u32_e32 v90, 16, v90
	s_waitcnt lgkmcnt(0)
	v_xor_b32_e32 v101, 0x80000000, v94
	v_cndmask_b32_e32 v98, v118, v97, vcc
	v_cmp_gt_f64_e32 vcc, 0, v[119:120]
	v_mov_b32_e32 v97, v117
	v_cndmask_b32_e32 v100, v120, v99, vcc
	v_cmp_gt_f64_e32 vcc, 0, v[91:92]
	v_mov_b32_e32 v99, v119
	v_add_f64 v[97:98], v[97:98], v[99:100]
	v_xor_b32_e32 v99, 0x80000000, v92
	v_cndmask_b32_e32 v100, v92, v99, vcc
	v_cmp_gt_f64_e32 vcc, 0, v[93:94]
	v_mov_b32_e32 v99, v91
	v_cndmask_b32_e32 v102, v94, v101, vcc
	v_mov_b32_e32 v101, v93
	v_add_f64 v[99:100], v[99:100], v[101:102]
	v_cmp_lt_f64_e32 vcc, v[97:98], v[99:100]
	v_cndmask_b32_e32 v117, v117, v91, vcc
	v_mov_b32_e32 v91, s0
	s_add_i32 s0, s0, 1
	v_cndmask_b32_e32 v118, v118, v92, vcc
	v_cndmask_b32_e32 v120, v120, v94, vcc
	;; [unrolled: 1-line block ×4, first 2 shown]
	s_cmp_lg_u32 s3, s0
	s_cbranch_scc1 .LBB106_358
.LBB106_359:
	s_waitcnt lgkmcnt(0)
	v_cmp_eq_f64_e32 vcc, 0, v[117:118]
	v_cmp_eq_f64_e64 s[0:1], 0, v[119:120]
	s_and_b64 s[0:1], vcc, s[0:1]
	s_and_saveexec_b64 s[18:19], s[0:1]
	s_xor_b64 s[0:1], exec, s[18:19]
; %bb.360:
	v_cmp_ne_u32_e32 vcc, 0, v95
	v_cndmask_b32_e32 v95, 18, v95, vcc
; %bb.361:
	s_andn2_saveexec_b64 s[0:1], s[0:1]
	s_cbranch_execz .LBB106_367
; %bb.362:
	v_cmp_ngt_f64_e64 s[18:19], |v[117:118]|, |v[119:120]|
	s_and_saveexec_b64 s[20:21], s[18:19]
	s_xor_b64 s[18:19], exec, s[20:21]
	s_cbranch_execz .LBB106_364
; %bb.363:
	v_div_scale_f64 v[90:91], s[20:21], v[119:120], v[119:120], v[117:118]
	v_rcp_f64_e32 v[92:93], v[90:91]
	v_fma_f64 v[97:98], -v[90:91], v[92:93], 1.0
	v_fma_f64 v[92:93], v[92:93], v[97:98], v[92:93]
	v_div_scale_f64 v[97:98], vcc, v[117:118], v[119:120], v[117:118]
	v_fma_f64 v[99:100], -v[90:91], v[92:93], 1.0
	v_fma_f64 v[92:93], v[92:93], v[99:100], v[92:93]
	v_mul_f64 v[99:100], v[97:98], v[92:93]
	v_fma_f64 v[90:91], -v[90:91], v[99:100], v[97:98]
	v_div_fmas_f64 v[90:91], v[90:91], v[92:93], v[99:100]
	v_div_fixup_f64 v[90:91], v[90:91], v[119:120], v[117:118]
	v_fma_f64 v[92:93], v[117:118], v[90:91], v[119:120]
	v_div_scale_f64 v[97:98], s[20:21], v[92:93], v[92:93], 1.0
	v_div_scale_f64 v[103:104], vcc, 1.0, v[92:93], 1.0
	v_rcp_f64_e32 v[99:100], v[97:98]
	v_fma_f64 v[101:102], -v[97:98], v[99:100], 1.0
	v_fma_f64 v[99:100], v[99:100], v[101:102], v[99:100]
	v_fma_f64 v[101:102], -v[97:98], v[99:100], 1.0
	v_fma_f64 v[99:100], v[99:100], v[101:102], v[99:100]
	v_mul_f64 v[101:102], v[103:104], v[99:100]
	v_fma_f64 v[97:98], -v[97:98], v[101:102], v[103:104]
	v_div_fmas_f64 v[97:98], v[97:98], v[99:100], v[101:102]
	v_div_fixup_f64 v[119:120], v[97:98], v[92:93], 1.0
	v_mul_f64 v[117:118], v[90:91], v[119:120]
	v_xor_b32_e32 v120, 0x80000000, v120
.LBB106_364:
	s_andn2_saveexec_b64 s[18:19], s[18:19]
	s_cbranch_execz .LBB106_366
; %bb.365:
	v_div_scale_f64 v[90:91], s[20:21], v[117:118], v[117:118], v[119:120]
	v_rcp_f64_e32 v[92:93], v[90:91]
	v_fma_f64 v[97:98], -v[90:91], v[92:93], 1.0
	v_fma_f64 v[92:93], v[92:93], v[97:98], v[92:93]
	v_div_scale_f64 v[97:98], vcc, v[119:120], v[117:118], v[119:120]
	v_fma_f64 v[99:100], -v[90:91], v[92:93], 1.0
	v_fma_f64 v[92:93], v[92:93], v[99:100], v[92:93]
	v_mul_f64 v[99:100], v[97:98], v[92:93]
	v_fma_f64 v[90:91], -v[90:91], v[99:100], v[97:98]
	v_div_fmas_f64 v[90:91], v[90:91], v[92:93], v[99:100]
	v_div_fixup_f64 v[90:91], v[90:91], v[117:118], v[119:120]
	v_fma_f64 v[92:93], v[119:120], v[90:91], v[117:118]
	v_div_scale_f64 v[97:98], s[20:21], v[92:93], v[92:93], 1.0
	v_div_scale_f64 v[103:104], vcc, 1.0, v[92:93], 1.0
	v_rcp_f64_e32 v[99:100], v[97:98]
	v_fma_f64 v[101:102], -v[97:98], v[99:100], 1.0
	v_fma_f64 v[99:100], v[99:100], v[101:102], v[99:100]
	v_fma_f64 v[101:102], -v[97:98], v[99:100], 1.0
	v_fma_f64 v[99:100], v[99:100], v[101:102], v[99:100]
	v_mul_f64 v[101:102], v[103:104], v[99:100]
	v_fma_f64 v[97:98], -v[97:98], v[101:102], v[103:104]
	v_div_fmas_f64 v[97:98], v[97:98], v[99:100], v[101:102]
	v_div_fixup_f64 v[117:118], v[97:98], v[92:93], 1.0
	v_mul_f64 v[119:120], v[90:91], -v[117:118]
.LBB106_366:
	s_or_b64 exec, exec, s[18:19]
.LBB106_367:
	s_or_b64 exec, exec, s[0:1]
	v_cmp_ne_u32_e32 vcc, v96, v89
	s_and_saveexec_b64 s[0:1], vcc
	s_xor_b64 s[0:1], exec, s[0:1]
	s_cbranch_execz .LBB106_373
; %bb.368:
	v_cmp_eq_u32_e32 vcc, 17, v96
	s_and_saveexec_b64 s[18:19], vcc
	s_cbranch_execz .LBB106_372
; %bb.369:
	v_cmp_ne_u32_e32 vcc, 17, v89
	s_xor_b64 s[20:21], s[6:7], -1
	s_and_b64 s[22:23], s[20:21], vcc
	s_and_saveexec_b64 s[20:21], s[22:23]
	s_cbranch_execz .LBB106_371
; %bb.370:
	v_mov_b32_e32 v53, v81
	v_mov_b32_e32 v54, v82
	;; [unrolled: 1-line block ×4, first 2 shown]
	buffer_load_dword v81, off, s[24:27], 0 offset:436 ; 4-byte Folded Reload
	buffer_load_dword v82, off, s[24:27], 0 offset:440 ; 4-byte Folded Reload
	v_ashrrev_i32_e32 v90, 31, v89
	v_lshlrev_b64 v[90:91], 2, v[89:90]
	s_waitcnt vmcnt(1)
	v_add_co_u32_e32 v90, vcc, v81, v90
	s_waitcnt vmcnt(0)
	v_addc_co_u32_e32 v91, vcc, v82, v91, vcc
	global_load_dword v92, v[90:91], off
	global_load_dword v93, v[81:82], off offset:68
	s_waitcnt vmcnt(1)
	global_store_dword v[81:82], v92, off offset:68
	v_mov_b32_e32 v84, v56
	v_mov_b32_e32 v83, v55
	;; [unrolled: 1-line block ×4, first 2 shown]
	s_waitcnt vmcnt(1)
	global_store_dword v[90:91], v93, off
.LBB106_371:
	s_or_b64 exec, exec, s[20:21]
	v_mov_b32_e32 v96, v89
	v_mov_b32_e32 v53, v89
	buffer_store_dword v53, off, s[24:27], 0 offset:352 ; 4-byte Folded Spill
.LBB106_372:
	s_or_b64 exec, exec, s[18:19]
.LBB106_373:
	s_andn2_saveexec_b64 s[0:1], s[0:1]
	s_cbranch_execz .LBB106_375
; %bb.374:
	buffer_load_dword v53, off, s[24:27], 0 offset:176 ; 4-byte Folded Reload
	buffer_load_dword v54, off, s[24:27], 0 offset:180 ; 4-byte Folded Reload
	;; [unrolled: 1-line block ×4, first 2 shown]
	v_mov_b32_e32 v96, 17
	s_waitcnt vmcnt(0)
	ds_write2_b64 v0, v[53:54], v[55:56] offset0:36 offset1:37
	buffer_load_dword v53, off, s[24:27], 0 offset:160 ; 4-byte Folded Reload
	buffer_load_dword v54, off, s[24:27], 0 offset:164 ; 4-byte Folded Reload
	buffer_load_dword v55, off, s[24:27], 0 offset:168 ; 4-byte Folded Reload
	buffer_load_dword v56, off, s[24:27], 0 offset:172 ; 4-byte Folded Reload
	s_waitcnt vmcnt(0)
	ds_write2_b64 v0, v[53:54], v[55:56] offset0:38 offset1:39
	buffer_load_dword v53, off, s[24:27], 0 offset:144 ; 4-byte Folded Reload
	buffer_load_dword v54, off, s[24:27], 0 offset:148 ; 4-byte Folded Reload
	buffer_load_dword v55, off, s[24:27], 0 offset:152 ; 4-byte Folded Reload
	buffer_load_dword v56, off, s[24:27], 0 offset:156 ; 4-byte Folded Reload
	;; [unrolled: 6-line block ×10, first 2 shown]
	s_waitcnt vmcnt(0)
	ds_write2_b64 v0, v[53:54], v[55:56] offset0:56 offset1:57
	ds_write2_b64 v0, v[81:82], v[83:84] offset0:58 offset1:59
	ds_write2_b64 v0, v[85:86], v[87:88] offset0:60 offset1:61
	ds_write2_b64 v0, v[109:110], v[111:112] offset0:62 offset1:63
	ds_write2_b64 v0, v[113:114], v[115:116] offset0:64 offset1:65
	ds_write2_b64 v0, v[77:78], v[79:80] offset0:66 offset1:67
	ds_write2_b64 v0, v[73:74], v[75:76] offset0:68 offset1:69
	ds_write2_b64 v0, v[69:70], v[71:72] offset0:70 offset1:71
	ds_write2_b64 v0, v[65:66], v[67:68] offset0:72 offset1:73
	ds_write2_b64 v0, v[61:62], v[63:64] offset0:74 offset1:75
	ds_write2_b64 v0, v[57:58], v[59:60] offset0:76 offset1:77
	buffer_load_dword v53, off, s[24:27], 0 ; 4-byte Folded Reload
	buffer_load_dword v54, off, s[24:27], 0 offset:4 ; 4-byte Folded Reload
	buffer_load_dword v55, off, s[24:27], 0 offset:8 ; 4-byte Folded Reload
	;; [unrolled: 1-line block ×3, first 2 shown]
	s_waitcnt vmcnt(0)
	ds_write2_b64 v0, v[53:54], v[55:56] offset0:78 offset1:79
	ds_write2_b64 v0, v[49:50], v[51:52] offset0:80 offset1:81
	;; [unrolled: 1-line block ×15, first 2 shown]
.LBB106_375:
	s_or_b64 exec, exec, s[0:1]
	v_cmp_lt_i32_e32 vcc, 17, v96
	s_waitcnt vmcnt(0) lgkmcnt(0)
	s_barrier
	s_and_saveexec_b64 s[0:1], vcc
	s_cbranch_execz .LBB106_377
; %bb.376:
	buffer_load_dword v97, off, s[24:27], 0 offset:192 ; 4-byte Folded Reload
	buffer_load_dword v98, off, s[24:27], 0 offset:196 ; 4-byte Folded Reload
	;; [unrolled: 1-line block ×4, first 2 shown]
	s_waitcnt vmcnt(0)
	v_mul_f64 v[89:90], v[119:120], v[99:100]
	v_fma_f64 v[125:126], v[117:118], v[97:98], -v[89:90]
	v_mul_f64 v[89:90], v[117:118], v[99:100]
	v_fma_f64 v[99:100], v[119:120], v[97:98], v[89:90]
	ds_read2_b64 v[89:92], v0 offset0:36 offset1:37
	buffer_load_dword v53, off, s[24:27], 0 offset:176 ; 4-byte Folded Reload
	buffer_load_dword v54, off, s[24:27], 0 offset:180 ; 4-byte Folded Reload
	;; [unrolled: 1-line block ×4, first 2 shown]
	v_mov_b32_e32 v97, v125
	v_mov_b32_e32 v98, v126
	s_waitcnt lgkmcnt(0)
	v_mul_f64 v[93:94], v[91:92], v[99:100]
	v_fma_f64 v[93:94], v[89:90], v[125:126], -v[93:94]
	v_mul_f64 v[89:90], v[89:90], v[99:100]
	v_fma_f64 v[89:90], v[91:92], v[125:126], v[89:90]
	s_waitcnt vmcnt(2)
	v_add_f64 v[53:54], v[53:54], -v[93:94]
	s_waitcnt vmcnt(0)
	v_add_f64 v[55:56], v[55:56], -v[89:90]
	buffer_store_dword v53, off, s[24:27], 0 offset:176 ; 4-byte Folded Spill
	s_nop 0
	buffer_store_dword v54, off, s[24:27], 0 offset:180 ; 4-byte Folded Spill
	buffer_store_dword v55, off, s[24:27], 0 offset:184 ; 4-byte Folded Spill
	buffer_store_dword v56, off, s[24:27], 0 offset:188 ; 4-byte Folded Spill
	ds_read2_b64 v[89:92], v0 offset0:38 offset1:39
	buffer_load_dword v53, off, s[24:27], 0 offset:160 ; 4-byte Folded Reload
	buffer_load_dword v54, off, s[24:27], 0 offset:164 ; 4-byte Folded Reload
	buffer_load_dword v55, off, s[24:27], 0 offset:168 ; 4-byte Folded Reload
	buffer_load_dword v56, off, s[24:27], 0 offset:172 ; 4-byte Folded Reload
	s_waitcnt lgkmcnt(0)
	v_mul_f64 v[93:94], v[91:92], v[99:100]
	v_fma_f64 v[93:94], v[89:90], v[125:126], -v[93:94]
	v_mul_f64 v[89:90], v[89:90], v[99:100]
	v_fma_f64 v[89:90], v[91:92], v[125:126], v[89:90]
	s_waitcnt vmcnt(2)
	v_add_f64 v[53:54], v[53:54], -v[93:94]
	s_waitcnt vmcnt(0)
	v_add_f64 v[55:56], v[55:56], -v[89:90]
	buffer_store_dword v53, off, s[24:27], 0 offset:160 ; 4-byte Folded Spill
	s_nop 0
	buffer_store_dword v54, off, s[24:27], 0 offset:164 ; 4-byte Folded Spill
	buffer_store_dword v55, off, s[24:27], 0 offset:168 ; 4-byte Folded Spill
	buffer_store_dword v56, off, s[24:27], 0 offset:172 ; 4-byte Folded Spill
	ds_read2_b64 v[89:92], v0 offset0:40 offset1:41
	buffer_load_dword v53, off, s[24:27], 0 offset:144 ; 4-byte Folded Reload
	buffer_load_dword v54, off, s[24:27], 0 offset:148 ; 4-byte Folded Reload
	buffer_load_dword v55, off, s[24:27], 0 offset:152 ; 4-byte Folded Reload
	buffer_load_dword v56, off, s[24:27], 0 offset:156 ; 4-byte Folded Reload
	;; [unrolled: 19-line block ×10, first 2 shown]
	s_waitcnt lgkmcnt(0)
	v_mul_f64 v[93:94], v[91:92], v[99:100]
	v_fma_f64 v[93:94], v[89:90], v[125:126], -v[93:94]
	v_mul_f64 v[89:90], v[89:90], v[99:100]
	v_fma_f64 v[89:90], v[91:92], v[125:126], v[89:90]
	s_waitcnt vmcnt(2)
	v_add_f64 v[53:54], v[53:54], -v[93:94]
	s_waitcnt vmcnt(0)
	v_add_f64 v[55:56], v[55:56], -v[89:90]
	buffer_store_dword v53, off, s[24:27], 0 offset:16 ; 4-byte Folded Spill
	s_nop 0
	buffer_store_dword v54, off, s[24:27], 0 offset:20 ; 4-byte Folded Spill
	buffer_store_dword v55, off, s[24:27], 0 offset:24 ; 4-byte Folded Spill
	;; [unrolled: 1-line block ×3, first 2 shown]
	ds_read2_b64 v[89:92], v0 offset0:58 offset1:59
	s_waitcnt lgkmcnt(0)
	v_mul_f64 v[93:94], v[91:92], v[99:100]
	v_fma_f64 v[93:94], v[89:90], v[125:126], -v[93:94]
	v_mul_f64 v[89:90], v[89:90], v[99:100]
	v_add_f64 v[81:82], v[81:82], -v[93:94]
	v_fma_f64 v[89:90], v[91:92], v[125:126], v[89:90]
	v_add_f64 v[83:84], v[83:84], -v[89:90]
	ds_read2_b64 v[89:92], v0 offset0:60 offset1:61
	s_waitcnt lgkmcnt(0)
	v_mul_f64 v[93:94], v[91:92], v[99:100]
	v_fma_f64 v[93:94], v[89:90], v[125:126], -v[93:94]
	v_mul_f64 v[89:90], v[89:90], v[99:100]
	v_add_f64 v[85:86], v[85:86], -v[93:94]
	v_fma_f64 v[89:90], v[91:92], v[125:126], v[89:90]
	v_add_f64 v[87:88], v[87:88], -v[89:90]
	;; [unrolled: 8-line block ×10, first 2 shown]
	ds_read2_b64 v[89:92], v0 offset0:78 offset1:79
	buffer_load_dword v53, off, s[24:27], 0 ; 4-byte Folded Reload
	buffer_load_dword v54, off, s[24:27], 0 offset:4 ; 4-byte Folded Reload
	buffer_load_dword v55, off, s[24:27], 0 offset:8 ; 4-byte Folded Reload
	;; [unrolled: 1-line block ×3, first 2 shown]
	s_waitcnt lgkmcnt(0)
	v_mul_f64 v[93:94], v[91:92], v[99:100]
	v_fma_f64 v[93:94], v[89:90], v[125:126], -v[93:94]
	v_mul_f64 v[89:90], v[89:90], v[99:100]
	v_fma_f64 v[89:90], v[91:92], v[125:126], v[89:90]
	s_waitcnt vmcnt(2)
	v_add_f64 v[53:54], v[53:54], -v[93:94]
	s_waitcnt vmcnt(0)
	v_add_f64 v[55:56], v[55:56], -v[89:90]
	buffer_store_dword v53, off, s[24:27], 0 ; 4-byte Folded Spill
	s_nop 0
	buffer_store_dword v54, off, s[24:27], 0 offset:4 ; 4-byte Folded Spill
	buffer_store_dword v55, off, s[24:27], 0 offset:8 ; 4-byte Folded Spill
	;; [unrolled: 1-line block ×3, first 2 shown]
	ds_read2_b64 v[89:92], v0 offset0:80 offset1:81
	s_waitcnt lgkmcnt(0)
	v_mul_f64 v[93:94], v[91:92], v[99:100]
	v_fma_f64 v[93:94], v[89:90], v[125:126], -v[93:94]
	v_mul_f64 v[89:90], v[89:90], v[99:100]
	v_add_f64 v[49:50], v[49:50], -v[93:94]
	v_fma_f64 v[89:90], v[91:92], v[125:126], v[89:90]
	v_add_f64 v[51:52], v[51:52], -v[89:90]
	ds_read2_b64 v[89:92], v0 offset0:82 offset1:83
	s_waitcnt lgkmcnt(0)
	v_mul_f64 v[93:94], v[91:92], v[99:100]
	v_fma_f64 v[93:94], v[89:90], v[125:126], -v[93:94]
	v_mul_f64 v[89:90], v[89:90], v[99:100]
	v_add_f64 v[45:46], v[45:46], -v[93:94]
	v_fma_f64 v[89:90], v[91:92], v[125:126], v[89:90]
	v_add_f64 v[47:48], v[47:48], -v[89:90]
	ds_read2_b64 v[89:92], v0 offset0:84 offset1:85
	s_waitcnt lgkmcnt(0)
	v_mul_f64 v[93:94], v[91:92], v[99:100]
	v_fma_f64 v[93:94], v[89:90], v[125:126], -v[93:94]
	v_mul_f64 v[89:90], v[89:90], v[99:100]
	v_add_f64 v[41:42], v[41:42], -v[93:94]
	v_fma_f64 v[89:90], v[91:92], v[125:126], v[89:90]
	v_add_f64 v[43:44], v[43:44], -v[89:90]
	ds_read2_b64 v[89:92], v0 offset0:86 offset1:87
	s_waitcnt lgkmcnt(0)
	v_mul_f64 v[93:94], v[91:92], v[99:100]
	v_fma_f64 v[93:94], v[89:90], v[125:126], -v[93:94]
	v_mul_f64 v[89:90], v[89:90], v[99:100]
	v_add_f64 v[37:38], v[37:38], -v[93:94]
	v_fma_f64 v[89:90], v[91:92], v[125:126], v[89:90]
	v_add_f64 v[39:40], v[39:40], -v[89:90]
	ds_read2_b64 v[89:92], v0 offset0:88 offset1:89
	s_waitcnt lgkmcnt(0)
	v_mul_f64 v[93:94], v[91:92], v[99:100]
	v_fma_f64 v[93:94], v[89:90], v[125:126], -v[93:94]
	v_mul_f64 v[89:90], v[89:90], v[99:100]
	v_add_f64 v[33:34], v[33:34], -v[93:94]
	v_fma_f64 v[89:90], v[91:92], v[125:126], v[89:90]
	v_add_f64 v[35:36], v[35:36], -v[89:90]
	ds_read2_b64 v[89:92], v0 offset0:90 offset1:91
	s_waitcnt lgkmcnt(0)
	v_mul_f64 v[93:94], v[91:92], v[99:100]
	v_fma_f64 v[93:94], v[89:90], v[125:126], -v[93:94]
	v_mul_f64 v[89:90], v[89:90], v[99:100]
	v_add_f64 v[29:30], v[29:30], -v[93:94]
	v_fma_f64 v[89:90], v[91:92], v[125:126], v[89:90]
	v_add_f64 v[31:32], v[31:32], -v[89:90]
	ds_read2_b64 v[89:92], v0 offset0:92 offset1:93
	s_waitcnt lgkmcnt(0)
	v_mul_f64 v[93:94], v[91:92], v[99:100]
	v_fma_f64 v[93:94], v[89:90], v[125:126], -v[93:94]
	v_mul_f64 v[89:90], v[89:90], v[99:100]
	v_add_f64 v[25:26], v[25:26], -v[93:94]
	v_fma_f64 v[89:90], v[91:92], v[125:126], v[89:90]
	v_add_f64 v[27:28], v[27:28], -v[89:90]
	ds_read2_b64 v[89:92], v0 offset0:94 offset1:95
	s_waitcnt lgkmcnt(0)
	v_mul_f64 v[93:94], v[91:92], v[99:100]
	v_fma_f64 v[93:94], v[89:90], v[125:126], -v[93:94]
	v_mul_f64 v[89:90], v[89:90], v[99:100]
	v_add_f64 v[21:22], v[21:22], -v[93:94]
	v_fma_f64 v[89:90], v[91:92], v[125:126], v[89:90]
	v_add_f64 v[23:24], v[23:24], -v[89:90]
	ds_read2_b64 v[89:92], v0 offset0:96 offset1:97
	s_waitcnt lgkmcnt(0)
	v_mul_f64 v[93:94], v[91:92], v[99:100]
	v_fma_f64 v[93:94], v[89:90], v[125:126], -v[93:94]
	v_mul_f64 v[89:90], v[89:90], v[99:100]
	v_add_f64 v[17:18], v[17:18], -v[93:94]
	v_fma_f64 v[89:90], v[91:92], v[125:126], v[89:90]
	v_add_f64 v[19:20], v[19:20], -v[89:90]
	ds_read2_b64 v[89:92], v0 offset0:98 offset1:99
	s_waitcnt lgkmcnt(0)
	v_mul_f64 v[93:94], v[91:92], v[99:100]
	v_fma_f64 v[93:94], v[89:90], v[125:126], -v[93:94]
	v_mul_f64 v[89:90], v[89:90], v[99:100]
	v_add_f64 v[13:14], v[13:14], -v[93:94]
	v_fma_f64 v[89:90], v[91:92], v[125:126], v[89:90]
	v_add_f64 v[15:16], v[15:16], -v[89:90]
	ds_read2_b64 v[89:92], v0 offset0:100 offset1:101
	s_waitcnt lgkmcnt(0)
	v_mul_f64 v[93:94], v[91:92], v[99:100]
	v_fma_f64 v[93:94], v[89:90], v[125:126], -v[93:94]
	v_mul_f64 v[89:90], v[89:90], v[99:100]
	v_add_f64 v[9:10], v[9:10], -v[93:94]
	v_fma_f64 v[89:90], v[91:92], v[125:126], v[89:90]
	v_add_f64 v[11:12], v[11:12], -v[89:90]
	ds_read2_b64 v[89:92], v0 offset0:102 offset1:103
	s_waitcnt lgkmcnt(0)
	v_mul_f64 v[93:94], v[91:92], v[99:100]
	v_fma_f64 v[93:94], v[89:90], v[125:126], -v[93:94]
	v_mul_f64 v[89:90], v[89:90], v[99:100]
	v_add_f64 v[5:6], v[5:6], -v[93:94]
	v_fma_f64 v[89:90], v[91:92], v[125:126], v[89:90]
	v_add_f64 v[7:8], v[7:8], -v[89:90]
	ds_read2_b64 v[89:92], v0 offset0:104 offset1:105
	s_waitcnt lgkmcnt(0)
	v_mul_f64 v[93:94], v[91:92], v[99:100]
	v_fma_f64 v[93:94], v[89:90], v[125:126], -v[93:94]
	v_mul_f64 v[89:90], v[89:90], v[99:100]
	v_add_f64 v[1:2], v[1:2], -v[93:94]
	v_fma_f64 v[89:90], v[91:92], v[125:126], v[89:90]
	v_add_f64 v[3:4], v[3:4], -v[89:90]
	ds_read2_b64 v[89:92], v0 offset0:106 offset1:107
	s_waitcnt lgkmcnt(0)
	v_mul_f64 v[93:94], v[91:92], v[99:100]
	v_fma_f64 v[93:94], v[89:90], v[125:126], -v[93:94]
	v_mul_f64 v[89:90], v[89:90], v[99:100]
	buffer_store_dword v97, off, s[24:27], 0 offset:192 ; 4-byte Folded Spill
	s_nop 0
	buffer_store_dword v98, off, s[24:27], 0 offset:196 ; 4-byte Folded Spill
	buffer_store_dword v99, off, s[24:27], 0 offset:200 ; 4-byte Folded Spill
	;; [unrolled: 1-line block ×3, first 2 shown]
	v_add_f64 v[121:122], v[121:122], -v[93:94]
	v_fma_f64 v[89:90], v[91:92], v[125:126], v[89:90]
	v_add_f64 v[123:124], v[123:124], -v[89:90]
.LBB106_377:
	s_or_b64 exec, exec, s[0:1]
	s_waitcnt vmcnt(0)
	s_barrier
	buffer_load_dword v53, off, s[24:27], 0 offset:176 ; 4-byte Folded Reload
	buffer_load_dword v54, off, s[24:27], 0 offset:180 ; 4-byte Folded Reload
	;; [unrolled: 1-line block ×4, first 2 shown]
	v_lshl_add_u32 v89, v96, 4, v0
	s_cmp_lt_i32 s3, 20
	s_waitcnt vmcnt(0)
	ds_write2_b64 v89, v[53:54], v[55:56] offset1:1
	s_waitcnt lgkmcnt(0)
	s_barrier
	ds_read2_b64 v[117:120], v0 offset0:36 offset1:37
	v_mov_b32_e32 v89, 18
	s_cbranch_scc1 .LBB106_380
; %bb.378:
	v_add_u32_e32 v90, 0x130, v0
	s_mov_b32 s0, 19
	v_mov_b32_e32 v89, 18
.LBB106_379:                            ; =>This Inner Loop Header: Depth=1
	s_waitcnt lgkmcnt(0)
	v_cmp_gt_f64_e32 vcc, 0, v[117:118]
	v_xor_b32_e32 v97, 0x80000000, v118
	ds_read2_b64 v[91:94], v90 offset1:1
	v_xor_b32_e32 v99, 0x80000000, v120
	v_add_u32_e32 v90, 16, v90
	s_waitcnt lgkmcnt(0)
	v_xor_b32_e32 v101, 0x80000000, v94
	v_cndmask_b32_e32 v98, v118, v97, vcc
	v_cmp_gt_f64_e32 vcc, 0, v[119:120]
	v_mov_b32_e32 v97, v117
	v_cndmask_b32_e32 v100, v120, v99, vcc
	v_cmp_gt_f64_e32 vcc, 0, v[91:92]
	v_mov_b32_e32 v99, v119
	v_add_f64 v[97:98], v[97:98], v[99:100]
	v_xor_b32_e32 v99, 0x80000000, v92
	v_cndmask_b32_e32 v100, v92, v99, vcc
	v_cmp_gt_f64_e32 vcc, 0, v[93:94]
	v_mov_b32_e32 v99, v91
	v_cndmask_b32_e32 v102, v94, v101, vcc
	v_mov_b32_e32 v101, v93
	v_add_f64 v[99:100], v[99:100], v[101:102]
	v_cmp_lt_f64_e32 vcc, v[97:98], v[99:100]
	v_cndmask_b32_e32 v117, v117, v91, vcc
	v_mov_b32_e32 v91, s0
	s_add_i32 s0, s0, 1
	v_cndmask_b32_e32 v118, v118, v92, vcc
	v_cndmask_b32_e32 v120, v120, v94, vcc
	;; [unrolled: 1-line block ×4, first 2 shown]
	s_cmp_lg_u32 s3, s0
	s_cbranch_scc1 .LBB106_379
.LBB106_380:
	s_waitcnt lgkmcnt(0)
	v_cmp_eq_f64_e32 vcc, 0, v[117:118]
	v_cmp_eq_f64_e64 s[0:1], 0, v[119:120]
	s_and_b64 s[0:1], vcc, s[0:1]
	s_and_saveexec_b64 s[18:19], s[0:1]
	s_xor_b64 s[0:1], exec, s[18:19]
; %bb.381:
	v_cmp_ne_u32_e32 vcc, 0, v95
	v_cndmask_b32_e32 v95, 19, v95, vcc
; %bb.382:
	s_andn2_saveexec_b64 s[0:1], s[0:1]
	s_cbranch_execz .LBB106_388
; %bb.383:
	v_cmp_ngt_f64_e64 s[18:19], |v[117:118]|, |v[119:120]|
	s_and_saveexec_b64 s[20:21], s[18:19]
	s_xor_b64 s[18:19], exec, s[20:21]
	s_cbranch_execz .LBB106_385
; %bb.384:
	v_div_scale_f64 v[90:91], s[20:21], v[119:120], v[119:120], v[117:118]
	v_rcp_f64_e32 v[92:93], v[90:91]
	v_fma_f64 v[97:98], -v[90:91], v[92:93], 1.0
	v_fma_f64 v[92:93], v[92:93], v[97:98], v[92:93]
	v_div_scale_f64 v[97:98], vcc, v[117:118], v[119:120], v[117:118]
	v_fma_f64 v[99:100], -v[90:91], v[92:93], 1.0
	v_fma_f64 v[92:93], v[92:93], v[99:100], v[92:93]
	v_mul_f64 v[99:100], v[97:98], v[92:93]
	v_fma_f64 v[90:91], -v[90:91], v[99:100], v[97:98]
	v_div_fmas_f64 v[90:91], v[90:91], v[92:93], v[99:100]
	v_div_fixup_f64 v[90:91], v[90:91], v[119:120], v[117:118]
	v_fma_f64 v[92:93], v[117:118], v[90:91], v[119:120]
	v_div_scale_f64 v[97:98], s[20:21], v[92:93], v[92:93], 1.0
	v_div_scale_f64 v[103:104], vcc, 1.0, v[92:93], 1.0
	v_rcp_f64_e32 v[99:100], v[97:98]
	v_fma_f64 v[101:102], -v[97:98], v[99:100], 1.0
	v_fma_f64 v[99:100], v[99:100], v[101:102], v[99:100]
	v_fma_f64 v[101:102], -v[97:98], v[99:100], 1.0
	v_fma_f64 v[99:100], v[99:100], v[101:102], v[99:100]
	v_mul_f64 v[101:102], v[103:104], v[99:100]
	v_fma_f64 v[97:98], -v[97:98], v[101:102], v[103:104]
	v_div_fmas_f64 v[97:98], v[97:98], v[99:100], v[101:102]
	v_div_fixup_f64 v[119:120], v[97:98], v[92:93], 1.0
	v_mul_f64 v[117:118], v[90:91], v[119:120]
	v_xor_b32_e32 v120, 0x80000000, v120
.LBB106_385:
	s_andn2_saveexec_b64 s[18:19], s[18:19]
	s_cbranch_execz .LBB106_387
; %bb.386:
	v_div_scale_f64 v[90:91], s[20:21], v[117:118], v[117:118], v[119:120]
	v_rcp_f64_e32 v[92:93], v[90:91]
	v_fma_f64 v[97:98], -v[90:91], v[92:93], 1.0
	v_fma_f64 v[92:93], v[92:93], v[97:98], v[92:93]
	v_div_scale_f64 v[97:98], vcc, v[119:120], v[117:118], v[119:120]
	v_fma_f64 v[99:100], -v[90:91], v[92:93], 1.0
	v_fma_f64 v[92:93], v[92:93], v[99:100], v[92:93]
	v_mul_f64 v[99:100], v[97:98], v[92:93]
	v_fma_f64 v[90:91], -v[90:91], v[99:100], v[97:98]
	v_div_fmas_f64 v[90:91], v[90:91], v[92:93], v[99:100]
	v_div_fixup_f64 v[90:91], v[90:91], v[117:118], v[119:120]
	v_fma_f64 v[92:93], v[119:120], v[90:91], v[117:118]
	v_div_scale_f64 v[97:98], s[20:21], v[92:93], v[92:93], 1.0
	v_div_scale_f64 v[103:104], vcc, 1.0, v[92:93], 1.0
	v_rcp_f64_e32 v[99:100], v[97:98]
	v_fma_f64 v[101:102], -v[97:98], v[99:100], 1.0
	v_fma_f64 v[99:100], v[99:100], v[101:102], v[99:100]
	v_fma_f64 v[101:102], -v[97:98], v[99:100], 1.0
	v_fma_f64 v[99:100], v[99:100], v[101:102], v[99:100]
	v_mul_f64 v[101:102], v[103:104], v[99:100]
	v_fma_f64 v[97:98], -v[97:98], v[101:102], v[103:104]
	v_div_fmas_f64 v[97:98], v[97:98], v[99:100], v[101:102]
	v_div_fixup_f64 v[117:118], v[97:98], v[92:93], 1.0
	v_mul_f64 v[119:120], v[90:91], -v[117:118]
.LBB106_387:
	s_or_b64 exec, exec, s[18:19]
.LBB106_388:
	s_or_b64 exec, exec, s[0:1]
	v_cmp_ne_u32_e32 vcc, v96, v89
	s_and_saveexec_b64 s[0:1], vcc
	s_xor_b64 s[0:1], exec, s[0:1]
	s_cbranch_execz .LBB106_394
; %bb.389:
	v_cmp_eq_u32_e32 vcc, 18, v96
	s_and_saveexec_b64 s[18:19], vcc
	s_cbranch_execz .LBB106_393
; %bb.390:
	v_cmp_ne_u32_e32 vcc, 18, v89
	s_xor_b64 s[20:21], s[6:7], -1
	s_and_b64 s[22:23], s[20:21], vcc
	s_and_saveexec_b64 s[20:21], s[22:23]
	s_cbranch_execz .LBB106_392
; %bb.391:
	v_mov_b32_e32 v53, v81
	v_mov_b32_e32 v54, v82
	;; [unrolled: 1-line block ×4, first 2 shown]
	buffer_load_dword v81, off, s[24:27], 0 offset:436 ; 4-byte Folded Reload
	buffer_load_dword v82, off, s[24:27], 0 offset:440 ; 4-byte Folded Reload
	v_ashrrev_i32_e32 v90, 31, v89
	v_lshlrev_b64 v[90:91], 2, v[89:90]
	s_waitcnt vmcnt(1)
	v_add_co_u32_e32 v90, vcc, v81, v90
	s_waitcnt vmcnt(0)
	v_addc_co_u32_e32 v91, vcc, v82, v91, vcc
	global_load_dword v92, v[90:91], off
	global_load_dword v93, v[81:82], off offset:72
	s_waitcnt vmcnt(1)
	global_store_dword v[81:82], v92, off offset:72
	v_mov_b32_e32 v84, v56
	v_mov_b32_e32 v83, v55
	;; [unrolled: 1-line block ×4, first 2 shown]
	s_waitcnt vmcnt(1)
	global_store_dword v[90:91], v93, off
.LBB106_392:
	s_or_b64 exec, exec, s[20:21]
	v_mov_b32_e32 v96, v89
	v_mov_b32_e32 v53, v89
	buffer_store_dword v53, off, s[24:27], 0 offset:352 ; 4-byte Folded Spill
.LBB106_393:
	s_or_b64 exec, exec, s[18:19]
.LBB106_394:
	s_andn2_saveexec_b64 s[0:1], s[0:1]
	s_cbranch_execz .LBB106_396
; %bb.395:
	buffer_load_dword v53, off, s[24:27], 0 offset:160 ; 4-byte Folded Reload
	buffer_load_dword v54, off, s[24:27], 0 offset:164 ; 4-byte Folded Reload
	;; [unrolled: 1-line block ×4, first 2 shown]
	v_mov_b32_e32 v96, 18
	s_waitcnt vmcnt(0)
	ds_write2_b64 v0, v[53:54], v[55:56] offset0:38 offset1:39
	buffer_load_dword v53, off, s[24:27], 0 offset:144 ; 4-byte Folded Reload
	buffer_load_dword v54, off, s[24:27], 0 offset:148 ; 4-byte Folded Reload
	buffer_load_dword v55, off, s[24:27], 0 offset:152 ; 4-byte Folded Reload
	buffer_load_dword v56, off, s[24:27], 0 offset:156 ; 4-byte Folded Reload
	s_waitcnt vmcnt(0)
	ds_write2_b64 v0, v[53:54], v[55:56] offset0:40 offset1:41
	buffer_load_dword v53, off, s[24:27], 0 offset:128 ; 4-byte Folded Reload
	buffer_load_dword v54, off, s[24:27], 0 offset:132 ; 4-byte Folded Reload
	buffer_load_dword v55, off, s[24:27], 0 offset:136 ; 4-byte Folded Reload
	buffer_load_dword v56, off, s[24:27], 0 offset:140 ; 4-byte Folded Reload
	;; [unrolled: 6-line block ×9, first 2 shown]
	s_waitcnt vmcnt(0)
	ds_write2_b64 v0, v[53:54], v[55:56] offset0:56 offset1:57
	ds_write2_b64 v0, v[81:82], v[83:84] offset0:58 offset1:59
	ds_write2_b64 v0, v[85:86], v[87:88] offset0:60 offset1:61
	ds_write2_b64 v0, v[109:110], v[111:112] offset0:62 offset1:63
	ds_write2_b64 v0, v[113:114], v[115:116] offset0:64 offset1:65
	ds_write2_b64 v0, v[77:78], v[79:80] offset0:66 offset1:67
	ds_write2_b64 v0, v[73:74], v[75:76] offset0:68 offset1:69
	ds_write2_b64 v0, v[69:70], v[71:72] offset0:70 offset1:71
	ds_write2_b64 v0, v[65:66], v[67:68] offset0:72 offset1:73
	ds_write2_b64 v0, v[61:62], v[63:64] offset0:74 offset1:75
	ds_write2_b64 v0, v[57:58], v[59:60] offset0:76 offset1:77
	buffer_load_dword v53, off, s[24:27], 0 ; 4-byte Folded Reload
	buffer_load_dword v54, off, s[24:27], 0 offset:4 ; 4-byte Folded Reload
	buffer_load_dword v55, off, s[24:27], 0 offset:8 ; 4-byte Folded Reload
	;; [unrolled: 1-line block ×3, first 2 shown]
	s_waitcnt vmcnt(0)
	ds_write2_b64 v0, v[53:54], v[55:56] offset0:78 offset1:79
	ds_write2_b64 v0, v[49:50], v[51:52] offset0:80 offset1:81
	;; [unrolled: 1-line block ×15, first 2 shown]
.LBB106_396:
	s_or_b64 exec, exec, s[0:1]
	v_cmp_lt_i32_e32 vcc, 18, v96
	s_waitcnt vmcnt(0) lgkmcnt(0)
	s_barrier
	s_and_saveexec_b64 s[0:1], vcc
	s_cbranch_execz .LBB106_398
; %bb.397:
	buffer_load_dword v97, off, s[24:27], 0 offset:176 ; 4-byte Folded Reload
	buffer_load_dword v98, off, s[24:27], 0 offset:180 ; 4-byte Folded Reload
	;; [unrolled: 1-line block ×4, first 2 shown]
	s_waitcnt vmcnt(0)
	v_mul_f64 v[89:90], v[119:120], v[99:100]
	v_fma_f64 v[125:126], v[117:118], v[97:98], -v[89:90]
	v_mul_f64 v[89:90], v[117:118], v[99:100]
	v_fma_f64 v[99:100], v[119:120], v[97:98], v[89:90]
	ds_read2_b64 v[89:92], v0 offset0:38 offset1:39
	buffer_load_dword v53, off, s[24:27], 0 offset:160 ; 4-byte Folded Reload
	buffer_load_dword v54, off, s[24:27], 0 offset:164 ; 4-byte Folded Reload
	;; [unrolled: 1-line block ×4, first 2 shown]
	v_mov_b32_e32 v97, v125
	v_mov_b32_e32 v98, v126
	s_waitcnt lgkmcnt(0)
	v_mul_f64 v[93:94], v[91:92], v[99:100]
	v_fma_f64 v[93:94], v[89:90], v[125:126], -v[93:94]
	v_mul_f64 v[89:90], v[89:90], v[99:100]
	v_fma_f64 v[89:90], v[91:92], v[125:126], v[89:90]
	s_waitcnt vmcnt(2)
	v_add_f64 v[53:54], v[53:54], -v[93:94]
	s_waitcnt vmcnt(0)
	v_add_f64 v[55:56], v[55:56], -v[89:90]
	buffer_store_dword v53, off, s[24:27], 0 offset:160 ; 4-byte Folded Spill
	s_nop 0
	buffer_store_dword v54, off, s[24:27], 0 offset:164 ; 4-byte Folded Spill
	buffer_store_dword v55, off, s[24:27], 0 offset:168 ; 4-byte Folded Spill
	buffer_store_dword v56, off, s[24:27], 0 offset:172 ; 4-byte Folded Spill
	ds_read2_b64 v[89:92], v0 offset0:40 offset1:41
	buffer_load_dword v53, off, s[24:27], 0 offset:144 ; 4-byte Folded Reload
	buffer_load_dword v54, off, s[24:27], 0 offset:148 ; 4-byte Folded Reload
	buffer_load_dword v55, off, s[24:27], 0 offset:152 ; 4-byte Folded Reload
	buffer_load_dword v56, off, s[24:27], 0 offset:156 ; 4-byte Folded Reload
	s_waitcnt lgkmcnt(0)
	v_mul_f64 v[93:94], v[91:92], v[99:100]
	v_fma_f64 v[93:94], v[89:90], v[125:126], -v[93:94]
	v_mul_f64 v[89:90], v[89:90], v[99:100]
	v_fma_f64 v[89:90], v[91:92], v[125:126], v[89:90]
	s_waitcnt vmcnt(2)
	v_add_f64 v[53:54], v[53:54], -v[93:94]
	s_waitcnt vmcnt(0)
	v_add_f64 v[55:56], v[55:56], -v[89:90]
	buffer_store_dword v53, off, s[24:27], 0 offset:144 ; 4-byte Folded Spill
	s_nop 0
	buffer_store_dword v54, off, s[24:27], 0 offset:148 ; 4-byte Folded Spill
	buffer_store_dword v55, off, s[24:27], 0 offset:152 ; 4-byte Folded Spill
	buffer_store_dword v56, off, s[24:27], 0 offset:156 ; 4-byte Folded Spill
	ds_read2_b64 v[89:92], v0 offset0:42 offset1:43
	buffer_load_dword v53, off, s[24:27], 0 offset:128 ; 4-byte Folded Reload
	buffer_load_dword v54, off, s[24:27], 0 offset:132 ; 4-byte Folded Reload
	buffer_load_dword v55, off, s[24:27], 0 offset:136 ; 4-byte Folded Reload
	buffer_load_dword v56, off, s[24:27], 0 offset:140 ; 4-byte Folded Reload
	;; [unrolled: 19-line block ×9, first 2 shown]
	s_waitcnt lgkmcnt(0)
	v_mul_f64 v[93:94], v[91:92], v[99:100]
	v_fma_f64 v[93:94], v[89:90], v[125:126], -v[93:94]
	v_mul_f64 v[89:90], v[89:90], v[99:100]
	v_fma_f64 v[89:90], v[91:92], v[125:126], v[89:90]
	s_waitcnt vmcnt(2)
	v_add_f64 v[53:54], v[53:54], -v[93:94]
	s_waitcnt vmcnt(0)
	v_add_f64 v[55:56], v[55:56], -v[89:90]
	buffer_store_dword v53, off, s[24:27], 0 offset:16 ; 4-byte Folded Spill
	s_nop 0
	buffer_store_dword v54, off, s[24:27], 0 offset:20 ; 4-byte Folded Spill
	buffer_store_dword v55, off, s[24:27], 0 offset:24 ; 4-byte Folded Spill
	;; [unrolled: 1-line block ×3, first 2 shown]
	ds_read2_b64 v[89:92], v0 offset0:58 offset1:59
	s_waitcnt lgkmcnt(0)
	v_mul_f64 v[93:94], v[91:92], v[99:100]
	v_fma_f64 v[93:94], v[89:90], v[125:126], -v[93:94]
	v_mul_f64 v[89:90], v[89:90], v[99:100]
	v_add_f64 v[81:82], v[81:82], -v[93:94]
	v_fma_f64 v[89:90], v[91:92], v[125:126], v[89:90]
	v_add_f64 v[83:84], v[83:84], -v[89:90]
	ds_read2_b64 v[89:92], v0 offset0:60 offset1:61
	s_waitcnt lgkmcnt(0)
	v_mul_f64 v[93:94], v[91:92], v[99:100]
	v_fma_f64 v[93:94], v[89:90], v[125:126], -v[93:94]
	v_mul_f64 v[89:90], v[89:90], v[99:100]
	v_add_f64 v[85:86], v[85:86], -v[93:94]
	v_fma_f64 v[89:90], v[91:92], v[125:126], v[89:90]
	v_add_f64 v[87:88], v[87:88], -v[89:90]
	;; [unrolled: 8-line block ×10, first 2 shown]
	ds_read2_b64 v[89:92], v0 offset0:78 offset1:79
	buffer_load_dword v53, off, s[24:27], 0 ; 4-byte Folded Reload
	buffer_load_dword v54, off, s[24:27], 0 offset:4 ; 4-byte Folded Reload
	buffer_load_dword v55, off, s[24:27], 0 offset:8 ; 4-byte Folded Reload
	;; [unrolled: 1-line block ×3, first 2 shown]
	s_waitcnt lgkmcnt(0)
	v_mul_f64 v[93:94], v[91:92], v[99:100]
	v_fma_f64 v[93:94], v[89:90], v[125:126], -v[93:94]
	v_mul_f64 v[89:90], v[89:90], v[99:100]
	v_fma_f64 v[89:90], v[91:92], v[125:126], v[89:90]
	s_waitcnt vmcnt(2)
	v_add_f64 v[53:54], v[53:54], -v[93:94]
	s_waitcnt vmcnt(0)
	v_add_f64 v[55:56], v[55:56], -v[89:90]
	buffer_store_dword v53, off, s[24:27], 0 ; 4-byte Folded Spill
	s_nop 0
	buffer_store_dword v54, off, s[24:27], 0 offset:4 ; 4-byte Folded Spill
	buffer_store_dword v55, off, s[24:27], 0 offset:8 ; 4-byte Folded Spill
	;; [unrolled: 1-line block ×3, first 2 shown]
	ds_read2_b64 v[89:92], v0 offset0:80 offset1:81
	s_waitcnt lgkmcnt(0)
	v_mul_f64 v[93:94], v[91:92], v[99:100]
	v_fma_f64 v[93:94], v[89:90], v[125:126], -v[93:94]
	v_mul_f64 v[89:90], v[89:90], v[99:100]
	v_add_f64 v[49:50], v[49:50], -v[93:94]
	v_fma_f64 v[89:90], v[91:92], v[125:126], v[89:90]
	v_add_f64 v[51:52], v[51:52], -v[89:90]
	ds_read2_b64 v[89:92], v0 offset0:82 offset1:83
	s_waitcnt lgkmcnt(0)
	v_mul_f64 v[93:94], v[91:92], v[99:100]
	v_fma_f64 v[93:94], v[89:90], v[125:126], -v[93:94]
	v_mul_f64 v[89:90], v[89:90], v[99:100]
	v_add_f64 v[45:46], v[45:46], -v[93:94]
	v_fma_f64 v[89:90], v[91:92], v[125:126], v[89:90]
	v_add_f64 v[47:48], v[47:48], -v[89:90]
	;; [unrolled: 8-line block ×13, first 2 shown]
	ds_read2_b64 v[89:92], v0 offset0:106 offset1:107
	s_waitcnt lgkmcnt(0)
	v_mul_f64 v[93:94], v[91:92], v[99:100]
	v_fma_f64 v[93:94], v[89:90], v[125:126], -v[93:94]
	v_mul_f64 v[89:90], v[89:90], v[99:100]
	buffer_store_dword v97, off, s[24:27], 0 offset:176 ; 4-byte Folded Spill
	s_nop 0
	buffer_store_dword v98, off, s[24:27], 0 offset:180 ; 4-byte Folded Spill
	buffer_store_dword v99, off, s[24:27], 0 offset:184 ; 4-byte Folded Spill
	;; [unrolled: 1-line block ×3, first 2 shown]
	v_add_f64 v[121:122], v[121:122], -v[93:94]
	v_fma_f64 v[89:90], v[91:92], v[125:126], v[89:90]
	v_add_f64 v[123:124], v[123:124], -v[89:90]
.LBB106_398:
	s_or_b64 exec, exec, s[0:1]
	s_waitcnt vmcnt(0)
	s_barrier
	buffer_load_dword v53, off, s[24:27], 0 offset:160 ; 4-byte Folded Reload
	buffer_load_dword v54, off, s[24:27], 0 offset:164 ; 4-byte Folded Reload
	;; [unrolled: 1-line block ×4, first 2 shown]
	v_lshl_add_u32 v89, v96, 4, v0
	s_cmp_lt_i32 s3, 21
	s_waitcnt vmcnt(0)
	ds_write2_b64 v89, v[53:54], v[55:56] offset1:1
	s_waitcnt lgkmcnt(0)
	s_barrier
	ds_read2_b64 v[117:120], v0 offset0:38 offset1:39
	v_mov_b32_e32 v89, 19
	s_cbranch_scc1 .LBB106_401
; %bb.399:
	v_add_u32_e32 v90, 0x140, v0
	s_mov_b32 s0, 20
	v_mov_b32_e32 v89, 19
.LBB106_400:                            ; =>This Inner Loop Header: Depth=1
	s_waitcnt lgkmcnt(0)
	v_cmp_gt_f64_e32 vcc, 0, v[117:118]
	v_xor_b32_e32 v97, 0x80000000, v118
	ds_read2_b64 v[91:94], v90 offset1:1
	v_xor_b32_e32 v99, 0x80000000, v120
	v_add_u32_e32 v90, 16, v90
	s_waitcnt lgkmcnt(0)
	v_xor_b32_e32 v101, 0x80000000, v94
	v_cndmask_b32_e32 v98, v118, v97, vcc
	v_cmp_gt_f64_e32 vcc, 0, v[119:120]
	v_mov_b32_e32 v97, v117
	v_cndmask_b32_e32 v100, v120, v99, vcc
	v_cmp_gt_f64_e32 vcc, 0, v[91:92]
	v_mov_b32_e32 v99, v119
	v_add_f64 v[97:98], v[97:98], v[99:100]
	v_xor_b32_e32 v99, 0x80000000, v92
	v_cndmask_b32_e32 v100, v92, v99, vcc
	v_cmp_gt_f64_e32 vcc, 0, v[93:94]
	v_mov_b32_e32 v99, v91
	v_cndmask_b32_e32 v102, v94, v101, vcc
	v_mov_b32_e32 v101, v93
	v_add_f64 v[99:100], v[99:100], v[101:102]
	v_cmp_lt_f64_e32 vcc, v[97:98], v[99:100]
	v_cndmask_b32_e32 v117, v117, v91, vcc
	v_mov_b32_e32 v91, s0
	s_add_i32 s0, s0, 1
	v_cndmask_b32_e32 v118, v118, v92, vcc
	v_cndmask_b32_e32 v120, v120, v94, vcc
	;; [unrolled: 1-line block ×4, first 2 shown]
	s_cmp_lg_u32 s3, s0
	s_cbranch_scc1 .LBB106_400
.LBB106_401:
	s_waitcnt lgkmcnt(0)
	v_cmp_eq_f64_e32 vcc, 0, v[117:118]
	v_cmp_eq_f64_e64 s[0:1], 0, v[119:120]
	s_and_b64 s[0:1], vcc, s[0:1]
	s_and_saveexec_b64 s[18:19], s[0:1]
	s_xor_b64 s[0:1], exec, s[18:19]
; %bb.402:
	v_cmp_ne_u32_e32 vcc, 0, v95
	v_cndmask_b32_e32 v95, 20, v95, vcc
; %bb.403:
	s_andn2_saveexec_b64 s[0:1], s[0:1]
	s_cbranch_execz .LBB106_409
; %bb.404:
	v_cmp_ngt_f64_e64 s[18:19], |v[117:118]|, |v[119:120]|
	s_and_saveexec_b64 s[20:21], s[18:19]
	s_xor_b64 s[18:19], exec, s[20:21]
	s_cbranch_execz .LBB106_406
; %bb.405:
	v_div_scale_f64 v[90:91], s[20:21], v[119:120], v[119:120], v[117:118]
	v_rcp_f64_e32 v[92:93], v[90:91]
	v_fma_f64 v[97:98], -v[90:91], v[92:93], 1.0
	v_fma_f64 v[92:93], v[92:93], v[97:98], v[92:93]
	v_div_scale_f64 v[97:98], vcc, v[117:118], v[119:120], v[117:118]
	v_fma_f64 v[99:100], -v[90:91], v[92:93], 1.0
	v_fma_f64 v[92:93], v[92:93], v[99:100], v[92:93]
	v_mul_f64 v[99:100], v[97:98], v[92:93]
	v_fma_f64 v[90:91], -v[90:91], v[99:100], v[97:98]
	v_div_fmas_f64 v[90:91], v[90:91], v[92:93], v[99:100]
	v_div_fixup_f64 v[90:91], v[90:91], v[119:120], v[117:118]
	v_fma_f64 v[92:93], v[117:118], v[90:91], v[119:120]
	v_div_scale_f64 v[97:98], s[20:21], v[92:93], v[92:93], 1.0
	v_div_scale_f64 v[103:104], vcc, 1.0, v[92:93], 1.0
	v_rcp_f64_e32 v[99:100], v[97:98]
	v_fma_f64 v[101:102], -v[97:98], v[99:100], 1.0
	v_fma_f64 v[99:100], v[99:100], v[101:102], v[99:100]
	v_fma_f64 v[101:102], -v[97:98], v[99:100], 1.0
	v_fma_f64 v[99:100], v[99:100], v[101:102], v[99:100]
	v_mul_f64 v[101:102], v[103:104], v[99:100]
	v_fma_f64 v[97:98], -v[97:98], v[101:102], v[103:104]
	v_div_fmas_f64 v[97:98], v[97:98], v[99:100], v[101:102]
	v_div_fixup_f64 v[119:120], v[97:98], v[92:93], 1.0
	v_mul_f64 v[117:118], v[90:91], v[119:120]
	v_xor_b32_e32 v120, 0x80000000, v120
.LBB106_406:
	s_andn2_saveexec_b64 s[18:19], s[18:19]
	s_cbranch_execz .LBB106_408
; %bb.407:
	v_div_scale_f64 v[90:91], s[20:21], v[117:118], v[117:118], v[119:120]
	v_rcp_f64_e32 v[92:93], v[90:91]
	v_fma_f64 v[97:98], -v[90:91], v[92:93], 1.0
	v_fma_f64 v[92:93], v[92:93], v[97:98], v[92:93]
	v_div_scale_f64 v[97:98], vcc, v[119:120], v[117:118], v[119:120]
	v_fma_f64 v[99:100], -v[90:91], v[92:93], 1.0
	v_fma_f64 v[92:93], v[92:93], v[99:100], v[92:93]
	v_mul_f64 v[99:100], v[97:98], v[92:93]
	v_fma_f64 v[90:91], -v[90:91], v[99:100], v[97:98]
	v_div_fmas_f64 v[90:91], v[90:91], v[92:93], v[99:100]
	v_div_fixup_f64 v[90:91], v[90:91], v[117:118], v[119:120]
	v_fma_f64 v[92:93], v[119:120], v[90:91], v[117:118]
	v_div_scale_f64 v[97:98], s[20:21], v[92:93], v[92:93], 1.0
	v_div_scale_f64 v[103:104], vcc, 1.0, v[92:93], 1.0
	v_rcp_f64_e32 v[99:100], v[97:98]
	v_fma_f64 v[101:102], -v[97:98], v[99:100], 1.0
	v_fma_f64 v[99:100], v[99:100], v[101:102], v[99:100]
	v_fma_f64 v[101:102], -v[97:98], v[99:100], 1.0
	v_fma_f64 v[99:100], v[99:100], v[101:102], v[99:100]
	v_mul_f64 v[101:102], v[103:104], v[99:100]
	v_fma_f64 v[97:98], -v[97:98], v[101:102], v[103:104]
	v_div_fmas_f64 v[97:98], v[97:98], v[99:100], v[101:102]
	v_div_fixup_f64 v[117:118], v[97:98], v[92:93], 1.0
	v_mul_f64 v[119:120], v[90:91], -v[117:118]
.LBB106_408:
	s_or_b64 exec, exec, s[18:19]
.LBB106_409:
	s_or_b64 exec, exec, s[0:1]
	v_cmp_ne_u32_e32 vcc, v96, v89
	s_and_saveexec_b64 s[0:1], vcc
	s_xor_b64 s[0:1], exec, s[0:1]
	s_cbranch_execz .LBB106_415
; %bb.410:
	v_cmp_eq_u32_e32 vcc, 19, v96
	s_and_saveexec_b64 s[18:19], vcc
	s_cbranch_execz .LBB106_414
; %bb.411:
	v_cmp_ne_u32_e32 vcc, 19, v89
	s_xor_b64 s[20:21], s[6:7], -1
	s_and_b64 s[22:23], s[20:21], vcc
	s_and_saveexec_b64 s[20:21], s[22:23]
	s_cbranch_execz .LBB106_413
; %bb.412:
	v_mov_b32_e32 v53, v81
	v_mov_b32_e32 v54, v82
	;; [unrolled: 1-line block ×4, first 2 shown]
	buffer_load_dword v81, off, s[24:27], 0 offset:436 ; 4-byte Folded Reload
	buffer_load_dword v82, off, s[24:27], 0 offset:440 ; 4-byte Folded Reload
	v_ashrrev_i32_e32 v90, 31, v89
	v_lshlrev_b64 v[90:91], 2, v[89:90]
	s_waitcnt vmcnt(1)
	v_add_co_u32_e32 v90, vcc, v81, v90
	s_waitcnt vmcnt(0)
	v_addc_co_u32_e32 v91, vcc, v82, v91, vcc
	global_load_dword v92, v[90:91], off
	global_load_dword v93, v[81:82], off offset:76
	s_waitcnt vmcnt(1)
	global_store_dword v[81:82], v92, off offset:76
	v_mov_b32_e32 v84, v56
	v_mov_b32_e32 v83, v55
	;; [unrolled: 1-line block ×4, first 2 shown]
	s_waitcnt vmcnt(1)
	global_store_dword v[90:91], v93, off
.LBB106_413:
	s_or_b64 exec, exec, s[20:21]
	v_mov_b32_e32 v96, v89
	v_mov_b32_e32 v53, v89
	buffer_store_dword v53, off, s[24:27], 0 offset:352 ; 4-byte Folded Spill
.LBB106_414:
	s_or_b64 exec, exec, s[18:19]
.LBB106_415:
	s_andn2_saveexec_b64 s[0:1], s[0:1]
	s_cbranch_execz .LBB106_417
; %bb.416:
	buffer_load_dword v53, off, s[24:27], 0 offset:144 ; 4-byte Folded Reload
	buffer_load_dword v54, off, s[24:27], 0 offset:148 ; 4-byte Folded Reload
	;; [unrolled: 1-line block ×4, first 2 shown]
	v_mov_b32_e32 v96, 19
	s_waitcnt vmcnt(0)
	ds_write2_b64 v0, v[53:54], v[55:56] offset0:40 offset1:41
	buffer_load_dword v53, off, s[24:27], 0 offset:128 ; 4-byte Folded Reload
	buffer_load_dword v54, off, s[24:27], 0 offset:132 ; 4-byte Folded Reload
	buffer_load_dword v55, off, s[24:27], 0 offset:136 ; 4-byte Folded Reload
	buffer_load_dword v56, off, s[24:27], 0 offset:140 ; 4-byte Folded Reload
	s_waitcnt vmcnt(0)
	ds_write2_b64 v0, v[53:54], v[55:56] offset0:42 offset1:43
	buffer_load_dword v53, off, s[24:27], 0 offset:112 ; 4-byte Folded Reload
	buffer_load_dword v54, off, s[24:27], 0 offset:116 ; 4-byte Folded Reload
	buffer_load_dword v55, off, s[24:27], 0 offset:120 ; 4-byte Folded Reload
	buffer_load_dword v56, off, s[24:27], 0 offset:124 ; 4-byte Folded Reload
	;; [unrolled: 6-line block ×8, first 2 shown]
	s_waitcnt vmcnt(0)
	ds_write2_b64 v0, v[53:54], v[55:56] offset0:56 offset1:57
	ds_write2_b64 v0, v[81:82], v[83:84] offset0:58 offset1:59
	;; [unrolled: 1-line block ×11, first 2 shown]
	buffer_load_dword v53, off, s[24:27], 0 ; 4-byte Folded Reload
	buffer_load_dword v54, off, s[24:27], 0 offset:4 ; 4-byte Folded Reload
	buffer_load_dword v55, off, s[24:27], 0 offset:8 ; 4-byte Folded Reload
	;; [unrolled: 1-line block ×3, first 2 shown]
	s_waitcnt vmcnt(0)
	ds_write2_b64 v0, v[53:54], v[55:56] offset0:78 offset1:79
	ds_write2_b64 v0, v[49:50], v[51:52] offset0:80 offset1:81
	;; [unrolled: 1-line block ×15, first 2 shown]
.LBB106_417:
	s_or_b64 exec, exec, s[0:1]
	v_cmp_lt_i32_e32 vcc, 19, v96
	s_waitcnt vmcnt(0) lgkmcnt(0)
	s_barrier
	s_and_saveexec_b64 s[0:1], vcc
	s_cbranch_execz .LBB106_419
; %bb.418:
	buffer_load_dword v97, off, s[24:27], 0 offset:160 ; 4-byte Folded Reload
	buffer_load_dword v98, off, s[24:27], 0 offset:164 ; 4-byte Folded Reload
	;; [unrolled: 1-line block ×4, first 2 shown]
	s_waitcnt vmcnt(0)
	v_mul_f64 v[89:90], v[119:120], v[99:100]
	v_fma_f64 v[125:126], v[117:118], v[97:98], -v[89:90]
	v_mul_f64 v[89:90], v[117:118], v[99:100]
	v_fma_f64 v[99:100], v[119:120], v[97:98], v[89:90]
	ds_read2_b64 v[89:92], v0 offset0:40 offset1:41
	buffer_load_dword v53, off, s[24:27], 0 offset:144 ; 4-byte Folded Reload
	buffer_load_dword v54, off, s[24:27], 0 offset:148 ; 4-byte Folded Reload
	;; [unrolled: 1-line block ×4, first 2 shown]
	v_mov_b32_e32 v97, v125
	v_mov_b32_e32 v98, v126
	s_waitcnt lgkmcnt(0)
	v_mul_f64 v[93:94], v[91:92], v[99:100]
	v_fma_f64 v[93:94], v[89:90], v[125:126], -v[93:94]
	v_mul_f64 v[89:90], v[89:90], v[99:100]
	v_fma_f64 v[89:90], v[91:92], v[125:126], v[89:90]
	s_waitcnt vmcnt(2)
	v_add_f64 v[53:54], v[53:54], -v[93:94]
	s_waitcnt vmcnt(0)
	v_add_f64 v[55:56], v[55:56], -v[89:90]
	buffer_store_dword v53, off, s[24:27], 0 offset:144 ; 4-byte Folded Spill
	s_nop 0
	buffer_store_dword v54, off, s[24:27], 0 offset:148 ; 4-byte Folded Spill
	buffer_store_dword v55, off, s[24:27], 0 offset:152 ; 4-byte Folded Spill
	buffer_store_dword v56, off, s[24:27], 0 offset:156 ; 4-byte Folded Spill
	ds_read2_b64 v[89:92], v0 offset0:42 offset1:43
	buffer_load_dword v53, off, s[24:27], 0 offset:128 ; 4-byte Folded Reload
	buffer_load_dword v54, off, s[24:27], 0 offset:132 ; 4-byte Folded Reload
	buffer_load_dword v55, off, s[24:27], 0 offset:136 ; 4-byte Folded Reload
	buffer_load_dword v56, off, s[24:27], 0 offset:140 ; 4-byte Folded Reload
	s_waitcnt lgkmcnt(0)
	v_mul_f64 v[93:94], v[91:92], v[99:100]
	v_fma_f64 v[93:94], v[89:90], v[125:126], -v[93:94]
	v_mul_f64 v[89:90], v[89:90], v[99:100]
	v_fma_f64 v[89:90], v[91:92], v[125:126], v[89:90]
	s_waitcnt vmcnt(2)
	v_add_f64 v[53:54], v[53:54], -v[93:94]
	s_waitcnt vmcnt(0)
	v_add_f64 v[55:56], v[55:56], -v[89:90]
	buffer_store_dword v53, off, s[24:27], 0 offset:128 ; 4-byte Folded Spill
	s_nop 0
	buffer_store_dword v54, off, s[24:27], 0 offset:132 ; 4-byte Folded Spill
	buffer_store_dword v55, off, s[24:27], 0 offset:136 ; 4-byte Folded Spill
	buffer_store_dword v56, off, s[24:27], 0 offset:140 ; 4-byte Folded Spill
	ds_read2_b64 v[89:92], v0 offset0:44 offset1:45
	buffer_load_dword v53, off, s[24:27], 0 offset:112 ; 4-byte Folded Reload
	buffer_load_dword v54, off, s[24:27], 0 offset:116 ; 4-byte Folded Reload
	buffer_load_dword v55, off, s[24:27], 0 offset:120 ; 4-byte Folded Reload
	buffer_load_dword v56, off, s[24:27], 0 offset:124 ; 4-byte Folded Reload
	;; [unrolled: 19-line block ×8, first 2 shown]
	s_waitcnt lgkmcnt(0)
	v_mul_f64 v[93:94], v[91:92], v[99:100]
	v_fma_f64 v[93:94], v[89:90], v[125:126], -v[93:94]
	v_mul_f64 v[89:90], v[89:90], v[99:100]
	v_fma_f64 v[89:90], v[91:92], v[125:126], v[89:90]
	s_waitcnt vmcnt(2)
	v_add_f64 v[53:54], v[53:54], -v[93:94]
	s_waitcnt vmcnt(0)
	v_add_f64 v[55:56], v[55:56], -v[89:90]
	buffer_store_dword v53, off, s[24:27], 0 offset:16 ; 4-byte Folded Spill
	s_nop 0
	buffer_store_dword v54, off, s[24:27], 0 offset:20 ; 4-byte Folded Spill
	buffer_store_dword v55, off, s[24:27], 0 offset:24 ; 4-byte Folded Spill
	;; [unrolled: 1-line block ×3, first 2 shown]
	ds_read2_b64 v[89:92], v0 offset0:58 offset1:59
	s_waitcnt lgkmcnt(0)
	v_mul_f64 v[93:94], v[91:92], v[99:100]
	v_fma_f64 v[93:94], v[89:90], v[125:126], -v[93:94]
	v_mul_f64 v[89:90], v[89:90], v[99:100]
	v_add_f64 v[81:82], v[81:82], -v[93:94]
	v_fma_f64 v[89:90], v[91:92], v[125:126], v[89:90]
	v_add_f64 v[83:84], v[83:84], -v[89:90]
	ds_read2_b64 v[89:92], v0 offset0:60 offset1:61
	s_waitcnt lgkmcnt(0)
	v_mul_f64 v[93:94], v[91:92], v[99:100]
	v_fma_f64 v[93:94], v[89:90], v[125:126], -v[93:94]
	v_mul_f64 v[89:90], v[89:90], v[99:100]
	v_add_f64 v[85:86], v[85:86], -v[93:94]
	v_fma_f64 v[89:90], v[91:92], v[125:126], v[89:90]
	v_add_f64 v[87:88], v[87:88], -v[89:90]
	;; [unrolled: 8-line block ×10, first 2 shown]
	ds_read2_b64 v[89:92], v0 offset0:78 offset1:79
	buffer_load_dword v53, off, s[24:27], 0 ; 4-byte Folded Reload
	buffer_load_dword v54, off, s[24:27], 0 offset:4 ; 4-byte Folded Reload
	buffer_load_dword v55, off, s[24:27], 0 offset:8 ; 4-byte Folded Reload
	;; [unrolled: 1-line block ×3, first 2 shown]
	s_waitcnt lgkmcnt(0)
	v_mul_f64 v[93:94], v[91:92], v[99:100]
	v_fma_f64 v[93:94], v[89:90], v[125:126], -v[93:94]
	v_mul_f64 v[89:90], v[89:90], v[99:100]
	v_fma_f64 v[89:90], v[91:92], v[125:126], v[89:90]
	s_waitcnt vmcnt(2)
	v_add_f64 v[53:54], v[53:54], -v[93:94]
	s_waitcnt vmcnt(0)
	v_add_f64 v[55:56], v[55:56], -v[89:90]
	buffer_store_dword v53, off, s[24:27], 0 ; 4-byte Folded Spill
	s_nop 0
	buffer_store_dword v54, off, s[24:27], 0 offset:4 ; 4-byte Folded Spill
	buffer_store_dword v55, off, s[24:27], 0 offset:8 ; 4-byte Folded Spill
	;; [unrolled: 1-line block ×3, first 2 shown]
	ds_read2_b64 v[89:92], v0 offset0:80 offset1:81
	s_waitcnt lgkmcnt(0)
	v_mul_f64 v[93:94], v[91:92], v[99:100]
	v_fma_f64 v[93:94], v[89:90], v[125:126], -v[93:94]
	v_mul_f64 v[89:90], v[89:90], v[99:100]
	v_add_f64 v[49:50], v[49:50], -v[93:94]
	v_fma_f64 v[89:90], v[91:92], v[125:126], v[89:90]
	v_add_f64 v[51:52], v[51:52], -v[89:90]
	ds_read2_b64 v[89:92], v0 offset0:82 offset1:83
	s_waitcnt lgkmcnt(0)
	v_mul_f64 v[93:94], v[91:92], v[99:100]
	v_fma_f64 v[93:94], v[89:90], v[125:126], -v[93:94]
	v_mul_f64 v[89:90], v[89:90], v[99:100]
	v_add_f64 v[45:46], v[45:46], -v[93:94]
	v_fma_f64 v[89:90], v[91:92], v[125:126], v[89:90]
	v_add_f64 v[47:48], v[47:48], -v[89:90]
	;; [unrolled: 8-line block ×13, first 2 shown]
	ds_read2_b64 v[89:92], v0 offset0:106 offset1:107
	s_waitcnt lgkmcnt(0)
	v_mul_f64 v[93:94], v[91:92], v[99:100]
	v_fma_f64 v[93:94], v[89:90], v[125:126], -v[93:94]
	v_mul_f64 v[89:90], v[89:90], v[99:100]
	buffer_store_dword v97, off, s[24:27], 0 offset:160 ; 4-byte Folded Spill
	s_nop 0
	buffer_store_dword v98, off, s[24:27], 0 offset:164 ; 4-byte Folded Spill
	buffer_store_dword v99, off, s[24:27], 0 offset:168 ; 4-byte Folded Spill
	;; [unrolled: 1-line block ×3, first 2 shown]
	v_add_f64 v[121:122], v[121:122], -v[93:94]
	v_fma_f64 v[89:90], v[91:92], v[125:126], v[89:90]
	v_add_f64 v[123:124], v[123:124], -v[89:90]
.LBB106_419:
	s_or_b64 exec, exec, s[0:1]
	s_waitcnt vmcnt(0)
	s_barrier
	buffer_load_dword v53, off, s[24:27], 0 offset:144 ; 4-byte Folded Reload
	buffer_load_dword v54, off, s[24:27], 0 offset:148 ; 4-byte Folded Reload
	;; [unrolled: 1-line block ×4, first 2 shown]
	v_lshl_add_u32 v89, v96, 4, v0
	s_cmp_lt_i32 s3, 22
	s_waitcnt vmcnt(0)
	ds_write2_b64 v89, v[53:54], v[55:56] offset1:1
	s_waitcnt lgkmcnt(0)
	s_barrier
	ds_read2_b64 v[117:120], v0 offset0:40 offset1:41
	v_mov_b32_e32 v89, 20
	s_cbranch_scc1 .LBB106_422
; %bb.420:
	v_add_u32_e32 v90, 0x150, v0
	s_mov_b32 s0, 21
	v_mov_b32_e32 v89, 20
.LBB106_421:                            ; =>This Inner Loop Header: Depth=1
	s_waitcnt lgkmcnt(0)
	v_cmp_gt_f64_e32 vcc, 0, v[117:118]
	v_xor_b32_e32 v97, 0x80000000, v118
	ds_read2_b64 v[91:94], v90 offset1:1
	v_xor_b32_e32 v99, 0x80000000, v120
	v_add_u32_e32 v90, 16, v90
	s_waitcnt lgkmcnt(0)
	v_xor_b32_e32 v101, 0x80000000, v94
	v_cndmask_b32_e32 v98, v118, v97, vcc
	v_cmp_gt_f64_e32 vcc, 0, v[119:120]
	v_mov_b32_e32 v97, v117
	v_cndmask_b32_e32 v100, v120, v99, vcc
	v_cmp_gt_f64_e32 vcc, 0, v[91:92]
	v_mov_b32_e32 v99, v119
	v_add_f64 v[97:98], v[97:98], v[99:100]
	v_xor_b32_e32 v99, 0x80000000, v92
	v_cndmask_b32_e32 v100, v92, v99, vcc
	v_cmp_gt_f64_e32 vcc, 0, v[93:94]
	v_mov_b32_e32 v99, v91
	v_cndmask_b32_e32 v102, v94, v101, vcc
	v_mov_b32_e32 v101, v93
	v_add_f64 v[99:100], v[99:100], v[101:102]
	v_cmp_lt_f64_e32 vcc, v[97:98], v[99:100]
	v_cndmask_b32_e32 v117, v117, v91, vcc
	v_mov_b32_e32 v91, s0
	s_add_i32 s0, s0, 1
	v_cndmask_b32_e32 v118, v118, v92, vcc
	v_cndmask_b32_e32 v120, v120, v94, vcc
	;; [unrolled: 1-line block ×4, first 2 shown]
	s_cmp_lg_u32 s3, s0
	s_cbranch_scc1 .LBB106_421
.LBB106_422:
	s_waitcnt lgkmcnt(0)
	v_cmp_eq_f64_e32 vcc, 0, v[117:118]
	v_cmp_eq_f64_e64 s[0:1], 0, v[119:120]
	s_and_b64 s[0:1], vcc, s[0:1]
	s_and_saveexec_b64 s[18:19], s[0:1]
	s_xor_b64 s[0:1], exec, s[18:19]
; %bb.423:
	v_cmp_ne_u32_e32 vcc, 0, v95
	v_cndmask_b32_e32 v95, 21, v95, vcc
; %bb.424:
	s_andn2_saveexec_b64 s[0:1], s[0:1]
	s_cbranch_execz .LBB106_430
; %bb.425:
	v_cmp_ngt_f64_e64 s[18:19], |v[117:118]|, |v[119:120]|
	s_and_saveexec_b64 s[20:21], s[18:19]
	s_xor_b64 s[18:19], exec, s[20:21]
	s_cbranch_execz .LBB106_427
; %bb.426:
	v_div_scale_f64 v[90:91], s[20:21], v[119:120], v[119:120], v[117:118]
	v_rcp_f64_e32 v[92:93], v[90:91]
	v_fma_f64 v[97:98], -v[90:91], v[92:93], 1.0
	v_fma_f64 v[92:93], v[92:93], v[97:98], v[92:93]
	v_div_scale_f64 v[97:98], vcc, v[117:118], v[119:120], v[117:118]
	v_fma_f64 v[99:100], -v[90:91], v[92:93], 1.0
	v_fma_f64 v[92:93], v[92:93], v[99:100], v[92:93]
	v_mul_f64 v[99:100], v[97:98], v[92:93]
	v_fma_f64 v[90:91], -v[90:91], v[99:100], v[97:98]
	v_div_fmas_f64 v[90:91], v[90:91], v[92:93], v[99:100]
	v_div_fixup_f64 v[90:91], v[90:91], v[119:120], v[117:118]
	v_fma_f64 v[92:93], v[117:118], v[90:91], v[119:120]
	v_div_scale_f64 v[97:98], s[20:21], v[92:93], v[92:93], 1.0
	v_div_scale_f64 v[103:104], vcc, 1.0, v[92:93], 1.0
	v_rcp_f64_e32 v[99:100], v[97:98]
	v_fma_f64 v[101:102], -v[97:98], v[99:100], 1.0
	v_fma_f64 v[99:100], v[99:100], v[101:102], v[99:100]
	v_fma_f64 v[101:102], -v[97:98], v[99:100], 1.0
	v_fma_f64 v[99:100], v[99:100], v[101:102], v[99:100]
	v_mul_f64 v[101:102], v[103:104], v[99:100]
	v_fma_f64 v[97:98], -v[97:98], v[101:102], v[103:104]
	v_div_fmas_f64 v[97:98], v[97:98], v[99:100], v[101:102]
	v_div_fixup_f64 v[119:120], v[97:98], v[92:93], 1.0
	v_mul_f64 v[117:118], v[90:91], v[119:120]
	v_xor_b32_e32 v120, 0x80000000, v120
.LBB106_427:
	s_andn2_saveexec_b64 s[18:19], s[18:19]
	s_cbranch_execz .LBB106_429
; %bb.428:
	v_div_scale_f64 v[90:91], s[20:21], v[117:118], v[117:118], v[119:120]
	v_rcp_f64_e32 v[92:93], v[90:91]
	v_fma_f64 v[97:98], -v[90:91], v[92:93], 1.0
	v_fma_f64 v[92:93], v[92:93], v[97:98], v[92:93]
	v_div_scale_f64 v[97:98], vcc, v[119:120], v[117:118], v[119:120]
	v_fma_f64 v[99:100], -v[90:91], v[92:93], 1.0
	v_fma_f64 v[92:93], v[92:93], v[99:100], v[92:93]
	v_mul_f64 v[99:100], v[97:98], v[92:93]
	v_fma_f64 v[90:91], -v[90:91], v[99:100], v[97:98]
	v_div_fmas_f64 v[90:91], v[90:91], v[92:93], v[99:100]
	v_div_fixup_f64 v[90:91], v[90:91], v[117:118], v[119:120]
	v_fma_f64 v[92:93], v[119:120], v[90:91], v[117:118]
	v_div_scale_f64 v[97:98], s[20:21], v[92:93], v[92:93], 1.0
	v_div_scale_f64 v[103:104], vcc, 1.0, v[92:93], 1.0
	v_rcp_f64_e32 v[99:100], v[97:98]
	v_fma_f64 v[101:102], -v[97:98], v[99:100], 1.0
	v_fma_f64 v[99:100], v[99:100], v[101:102], v[99:100]
	v_fma_f64 v[101:102], -v[97:98], v[99:100], 1.0
	v_fma_f64 v[99:100], v[99:100], v[101:102], v[99:100]
	v_mul_f64 v[101:102], v[103:104], v[99:100]
	v_fma_f64 v[97:98], -v[97:98], v[101:102], v[103:104]
	v_div_fmas_f64 v[97:98], v[97:98], v[99:100], v[101:102]
	v_div_fixup_f64 v[117:118], v[97:98], v[92:93], 1.0
	v_mul_f64 v[119:120], v[90:91], -v[117:118]
.LBB106_429:
	s_or_b64 exec, exec, s[18:19]
.LBB106_430:
	s_or_b64 exec, exec, s[0:1]
	v_cmp_ne_u32_e32 vcc, v96, v89
	s_and_saveexec_b64 s[0:1], vcc
	s_xor_b64 s[0:1], exec, s[0:1]
	s_cbranch_execz .LBB106_436
; %bb.431:
	v_cmp_eq_u32_e32 vcc, 20, v96
	s_and_saveexec_b64 s[18:19], vcc
	s_cbranch_execz .LBB106_435
; %bb.432:
	v_cmp_ne_u32_e32 vcc, 20, v89
	s_xor_b64 s[20:21], s[6:7], -1
	s_and_b64 s[22:23], s[20:21], vcc
	s_and_saveexec_b64 s[20:21], s[22:23]
	s_cbranch_execz .LBB106_434
; %bb.433:
	v_mov_b32_e32 v53, v81
	v_mov_b32_e32 v54, v82
	;; [unrolled: 1-line block ×4, first 2 shown]
	buffer_load_dword v81, off, s[24:27], 0 offset:436 ; 4-byte Folded Reload
	buffer_load_dword v82, off, s[24:27], 0 offset:440 ; 4-byte Folded Reload
	v_ashrrev_i32_e32 v90, 31, v89
	v_lshlrev_b64 v[90:91], 2, v[89:90]
	s_waitcnt vmcnt(1)
	v_add_co_u32_e32 v90, vcc, v81, v90
	s_waitcnt vmcnt(0)
	v_addc_co_u32_e32 v91, vcc, v82, v91, vcc
	global_load_dword v92, v[90:91], off
	global_load_dword v93, v[81:82], off offset:80
	s_waitcnt vmcnt(1)
	global_store_dword v[81:82], v92, off offset:80
	v_mov_b32_e32 v84, v56
	v_mov_b32_e32 v83, v55
	;; [unrolled: 1-line block ×4, first 2 shown]
	s_waitcnt vmcnt(1)
	global_store_dword v[90:91], v93, off
.LBB106_434:
	s_or_b64 exec, exec, s[20:21]
	v_mov_b32_e32 v96, v89
	v_mov_b32_e32 v53, v89
	buffer_store_dword v53, off, s[24:27], 0 offset:352 ; 4-byte Folded Spill
.LBB106_435:
	s_or_b64 exec, exec, s[18:19]
.LBB106_436:
	s_andn2_saveexec_b64 s[0:1], s[0:1]
	s_cbranch_execz .LBB106_438
; %bb.437:
	buffer_load_dword v53, off, s[24:27], 0 offset:128 ; 4-byte Folded Reload
	buffer_load_dword v54, off, s[24:27], 0 offset:132 ; 4-byte Folded Reload
	;; [unrolled: 1-line block ×4, first 2 shown]
	v_mov_b32_e32 v96, 20
	s_waitcnt vmcnt(0)
	ds_write2_b64 v0, v[53:54], v[55:56] offset0:42 offset1:43
	buffer_load_dword v53, off, s[24:27], 0 offset:112 ; 4-byte Folded Reload
	buffer_load_dword v54, off, s[24:27], 0 offset:116 ; 4-byte Folded Reload
	buffer_load_dword v55, off, s[24:27], 0 offset:120 ; 4-byte Folded Reload
	buffer_load_dword v56, off, s[24:27], 0 offset:124 ; 4-byte Folded Reload
	s_waitcnt vmcnt(0)
	ds_write2_b64 v0, v[53:54], v[55:56] offset0:44 offset1:45
	buffer_load_dword v53, off, s[24:27], 0 offset:96 ; 4-byte Folded Reload
	buffer_load_dword v54, off, s[24:27], 0 offset:100 ; 4-byte Folded Reload
	buffer_load_dword v55, off, s[24:27], 0 offset:104 ; 4-byte Folded Reload
	buffer_load_dword v56, off, s[24:27], 0 offset:108 ; 4-byte Folded Reload
	;; [unrolled: 6-line block ×7, first 2 shown]
	s_waitcnt vmcnt(0)
	ds_write2_b64 v0, v[53:54], v[55:56] offset0:56 offset1:57
	ds_write2_b64 v0, v[81:82], v[83:84] offset0:58 offset1:59
	;; [unrolled: 1-line block ×11, first 2 shown]
	buffer_load_dword v53, off, s[24:27], 0 ; 4-byte Folded Reload
	buffer_load_dword v54, off, s[24:27], 0 offset:4 ; 4-byte Folded Reload
	buffer_load_dword v55, off, s[24:27], 0 offset:8 ; 4-byte Folded Reload
	;; [unrolled: 1-line block ×3, first 2 shown]
	s_waitcnt vmcnt(0)
	ds_write2_b64 v0, v[53:54], v[55:56] offset0:78 offset1:79
	ds_write2_b64 v0, v[49:50], v[51:52] offset0:80 offset1:81
	;; [unrolled: 1-line block ×15, first 2 shown]
.LBB106_438:
	s_or_b64 exec, exec, s[0:1]
	v_cmp_lt_i32_e32 vcc, 20, v96
	s_waitcnt vmcnt(0) lgkmcnt(0)
	s_barrier
	s_and_saveexec_b64 s[0:1], vcc
	s_cbranch_execz .LBB106_440
; %bb.439:
	buffer_load_dword v97, off, s[24:27], 0 offset:144 ; 4-byte Folded Reload
	buffer_load_dword v98, off, s[24:27], 0 offset:148 ; 4-byte Folded Reload
	;; [unrolled: 1-line block ×4, first 2 shown]
	s_waitcnt vmcnt(0)
	v_mul_f64 v[89:90], v[119:120], v[99:100]
	v_fma_f64 v[125:126], v[117:118], v[97:98], -v[89:90]
	v_mul_f64 v[89:90], v[117:118], v[99:100]
	v_fma_f64 v[99:100], v[119:120], v[97:98], v[89:90]
	ds_read2_b64 v[89:92], v0 offset0:42 offset1:43
	buffer_load_dword v53, off, s[24:27], 0 offset:128 ; 4-byte Folded Reload
	buffer_load_dword v54, off, s[24:27], 0 offset:132 ; 4-byte Folded Reload
	;; [unrolled: 1-line block ×4, first 2 shown]
	v_mov_b32_e32 v97, v125
	v_mov_b32_e32 v98, v126
	s_waitcnt lgkmcnt(0)
	v_mul_f64 v[93:94], v[91:92], v[99:100]
	v_fma_f64 v[93:94], v[89:90], v[125:126], -v[93:94]
	v_mul_f64 v[89:90], v[89:90], v[99:100]
	v_fma_f64 v[89:90], v[91:92], v[125:126], v[89:90]
	s_waitcnt vmcnt(2)
	v_add_f64 v[53:54], v[53:54], -v[93:94]
	s_waitcnt vmcnt(0)
	v_add_f64 v[55:56], v[55:56], -v[89:90]
	buffer_store_dword v53, off, s[24:27], 0 offset:128 ; 4-byte Folded Spill
	s_nop 0
	buffer_store_dword v54, off, s[24:27], 0 offset:132 ; 4-byte Folded Spill
	buffer_store_dword v55, off, s[24:27], 0 offset:136 ; 4-byte Folded Spill
	buffer_store_dword v56, off, s[24:27], 0 offset:140 ; 4-byte Folded Spill
	ds_read2_b64 v[89:92], v0 offset0:44 offset1:45
	buffer_load_dword v53, off, s[24:27], 0 offset:112 ; 4-byte Folded Reload
	buffer_load_dword v54, off, s[24:27], 0 offset:116 ; 4-byte Folded Reload
	buffer_load_dword v55, off, s[24:27], 0 offset:120 ; 4-byte Folded Reload
	buffer_load_dword v56, off, s[24:27], 0 offset:124 ; 4-byte Folded Reload
	s_waitcnt lgkmcnt(0)
	v_mul_f64 v[93:94], v[91:92], v[99:100]
	v_fma_f64 v[93:94], v[89:90], v[125:126], -v[93:94]
	v_mul_f64 v[89:90], v[89:90], v[99:100]
	v_fma_f64 v[89:90], v[91:92], v[125:126], v[89:90]
	s_waitcnt vmcnt(2)
	v_add_f64 v[53:54], v[53:54], -v[93:94]
	s_waitcnt vmcnt(0)
	v_add_f64 v[55:56], v[55:56], -v[89:90]
	buffer_store_dword v53, off, s[24:27], 0 offset:112 ; 4-byte Folded Spill
	s_nop 0
	buffer_store_dword v54, off, s[24:27], 0 offset:116 ; 4-byte Folded Spill
	buffer_store_dword v55, off, s[24:27], 0 offset:120 ; 4-byte Folded Spill
	buffer_store_dword v56, off, s[24:27], 0 offset:124 ; 4-byte Folded Spill
	ds_read2_b64 v[89:92], v0 offset0:46 offset1:47
	buffer_load_dword v53, off, s[24:27], 0 offset:96 ; 4-byte Folded Reload
	buffer_load_dword v54, off, s[24:27], 0 offset:100 ; 4-byte Folded Reload
	buffer_load_dword v55, off, s[24:27], 0 offset:104 ; 4-byte Folded Reload
	buffer_load_dword v56, off, s[24:27], 0 offset:108 ; 4-byte Folded Reload
	;; [unrolled: 19-line block ×7, first 2 shown]
	s_waitcnt lgkmcnt(0)
	v_mul_f64 v[93:94], v[91:92], v[99:100]
	v_fma_f64 v[93:94], v[89:90], v[125:126], -v[93:94]
	v_mul_f64 v[89:90], v[89:90], v[99:100]
	v_fma_f64 v[89:90], v[91:92], v[125:126], v[89:90]
	s_waitcnt vmcnt(2)
	v_add_f64 v[53:54], v[53:54], -v[93:94]
	s_waitcnt vmcnt(0)
	v_add_f64 v[55:56], v[55:56], -v[89:90]
	buffer_store_dword v53, off, s[24:27], 0 offset:16 ; 4-byte Folded Spill
	s_nop 0
	buffer_store_dword v54, off, s[24:27], 0 offset:20 ; 4-byte Folded Spill
	buffer_store_dword v55, off, s[24:27], 0 offset:24 ; 4-byte Folded Spill
	;; [unrolled: 1-line block ×3, first 2 shown]
	ds_read2_b64 v[89:92], v0 offset0:58 offset1:59
	s_waitcnt lgkmcnt(0)
	v_mul_f64 v[93:94], v[91:92], v[99:100]
	v_fma_f64 v[93:94], v[89:90], v[125:126], -v[93:94]
	v_mul_f64 v[89:90], v[89:90], v[99:100]
	v_add_f64 v[81:82], v[81:82], -v[93:94]
	v_fma_f64 v[89:90], v[91:92], v[125:126], v[89:90]
	v_add_f64 v[83:84], v[83:84], -v[89:90]
	ds_read2_b64 v[89:92], v0 offset0:60 offset1:61
	s_waitcnt lgkmcnt(0)
	v_mul_f64 v[93:94], v[91:92], v[99:100]
	v_fma_f64 v[93:94], v[89:90], v[125:126], -v[93:94]
	v_mul_f64 v[89:90], v[89:90], v[99:100]
	v_add_f64 v[85:86], v[85:86], -v[93:94]
	v_fma_f64 v[89:90], v[91:92], v[125:126], v[89:90]
	v_add_f64 v[87:88], v[87:88], -v[89:90]
	;; [unrolled: 8-line block ×10, first 2 shown]
	ds_read2_b64 v[89:92], v0 offset0:78 offset1:79
	buffer_load_dword v53, off, s[24:27], 0 ; 4-byte Folded Reload
	buffer_load_dword v54, off, s[24:27], 0 offset:4 ; 4-byte Folded Reload
	buffer_load_dword v55, off, s[24:27], 0 offset:8 ; 4-byte Folded Reload
	;; [unrolled: 1-line block ×3, first 2 shown]
	s_waitcnt lgkmcnt(0)
	v_mul_f64 v[93:94], v[91:92], v[99:100]
	v_fma_f64 v[93:94], v[89:90], v[125:126], -v[93:94]
	v_mul_f64 v[89:90], v[89:90], v[99:100]
	v_fma_f64 v[89:90], v[91:92], v[125:126], v[89:90]
	s_waitcnt vmcnt(2)
	v_add_f64 v[53:54], v[53:54], -v[93:94]
	s_waitcnt vmcnt(0)
	v_add_f64 v[55:56], v[55:56], -v[89:90]
	buffer_store_dword v53, off, s[24:27], 0 ; 4-byte Folded Spill
	s_nop 0
	buffer_store_dword v54, off, s[24:27], 0 offset:4 ; 4-byte Folded Spill
	buffer_store_dword v55, off, s[24:27], 0 offset:8 ; 4-byte Folded Spill
	;; [unrolled: 1-line block ×3, first 2 shown]
	ds_read2_b64 v[89:92], v0 offset0:80 offset1:81
	s_waitcnt lgkmcnt(0)
	v_mul_f64 v[93:94], v[91:92], v[99:100]
	v_fma_f64 v[93:94], v[89:90], v[125:126], -v[93:94]
	v_mul_f64 v[89:90], v[89:90], v[99:100]
	v_add_f64 v[49:50], v[49:50], -v[93:94]
	v_fma_f64 v[89:90], v[91:92], v[125:126], v[89:90]
	v_add_f64 v[51:52], v[51:52], -v[89:90]
	ds_read2_b64 v[89:92], v0 offset0:82 offset1:83
	s_waitcnt lgkmcnt(0)
	v_mul_f64 v[93:94], v[91:92], v[99:100]
	v_fma_f64 v[93:94], v[89:90], v[125:126], -v[93:94]
	v_mul_f64 v[89:90], v[89:90], v[99:100]
	v_add_f64 v[45:46], v[45:46], -v[93:94]
	v_fma_f64 v[89:90], v[91:92], v[125:126], v[89:90]
	v_add_f64 v[47:48], v[47:48], -v[89:90]
	;; [unrolled: 8-line block ×13, first 2 shown]
	ds_read2_b64 v[89:92], v0 offset0:106 offset1:107
	s_waitcnt lgkmcnt(0)
	v_mul_f64 v[93:94], v[91:92], v[99:100]
	v_fma_f64 v[93:94], v[89:90], v[125:126], -v[93:94]
	v_mul_f64 v[89:90], v[89:90], v[99:100]
	buffer_store_dword v97, off, s[24:27], 0 offset:144 ; 4-byte Folded Spill
	s_nop 0
	buffer_store_dword v98, off, s[24:27], 0 offset:148 ; 4-byte Folded Spill
	buffer_store_dword v99, off, s[24:27], 0 offset:152 ; 4-byte Folded Spill
	;; [unrolled: 1-line block ×3, first 2 shown]
	v_add_f64 v[121:122], v[121:122], -v[93:94]
	v_fma_f64 v[89:90], v[91:92], v[125:126], v[89:90]
	v_add_f64 v[123:124], v[123:124], -v[89:90]
.LBB106_440:
	s_or_b64 exec, exec, s[0:1]
	s_waitcnt vmcnt(0)
	s_barrier
	buffer_load_dword v53, off, s[24:27], 0 offset:128 ; 4-byte Folded Reload
	buffer_load_dword v54, off, s[24:27], 0 offset:132 ; 4-byte Folded Reload
	;; [unrolled: 1-line block ×4, first 2 shown]
	v_lshl_add_u32 v89, v96, 4, v0
	s_cmp_lt_i32 s3, 23
	s_waitcnt vmcnt(0)
	ds_write2_b64 v89, v[53:54], v[55:56] offset1:1
	s_waitcnt lgkmcnt(0)
	s_barrier
	ds_read2_b64 v[117:120], v0 offset0:42 offset1:43
	v_mov_b32_e32 v89, 21
	s_cbranch_scc1 .LBB106_443
; %bb.441:
	v_add_u32_e32 v90, 0x160, v0
	s_mov_b32 s0, 22
	v_mov_b32_e32 v89, 21
.LBB106_442:                            ; =>This Inner Loop Header: Depth=1
	s_waitcnt lgkmcnt(0)
	v_cmp_gt_f64_e32 vcc, 0, v[117:118]
	v_xor_b32_e32 v97, 0x80000000, v118
	ds_read2_b64 v[91:94], v90 offset1:1
	v_xor_b32_e32 v99, 0x80000000, v120
	v_add_u32_e32 v90, 16, v90
	s_waitcnt lgkmcnt(0)
	v_xor_b32_e32 v101, 0x80000000, v94
	v_cndmask_b32_e32 v98, v118, v97, vcc
	v_cmp_gt_f64_e32 vcc, 0, v[119:120]
	v_mov_b32_e32 v97, v117
	v_cndmask_b32_e32 v100, v120, v99, vcc
	v_cmp_gt_f64_e32 vcc, 0, v[91:92]
	v_mov_b32_e32 v99, v119
	v_add_f64 v[97:98], v[97:98], v[99:100]
	v_xor_b32_e32 v99, 0x80000000, v92
	v_cndmask_b32_e32 v100, v92, v99, vcc
	v_cmp_gt_f64_e32 vcc, 0, v[93:94]
	v_mov_b32_e32 v99, v91
	v_cndmask_b32_e32 v102, v94, v101, vcc
	v_mov_b32_e32 v101, v93
	v_add_f64 v[99:100], v[99:100], v[101:102]
	v_cmp_lt_f64_e32 vcc, v[97:98], v[99:100]
	v_cndmask_b32_e32 v117, v117, v91, vcc
	v_mov_b32_e32 v91, s0
	s_add_i32 s0, s0, 1
	v_cndmask_b32_e32 v118, v118, v92, vcc
	v_cndmask_b32_e32 v120, v120, v94, vcc
	;; [unrolled: 1-line block ×4, first 2 shown]
	s_cmp_lg_u32 s3, s0
	s_cbranch_scc1 .LBB106_442
.LBB106_443:
	s_waitcnt lgkmcnt(0)
	v_cmp_eq_f64_e32 vcc, 0, v[117:118]
	v_cmp_eq_f64_e64 s[0:1], 0, v[119:120]
	s_and_b64 s[0:1], vcc, s[0:1]
	s_and_saveexec_b64 s[18:19], s[0:1]
	s_xor_b64 s[0:1], exec, s[18:19]
; %bb.444:
	v_cmp_ne_u32_e32 vcc, 0, v95
	v_cndmask_b32_e32 v95, 22, v95, vcc
; %bb.445:
	s_andn2_saveexec_b64 s[0:1], s[0:1]
	s_cbranch_execz .LBB106_451
; %bb.446:
	v_cmp_ngt_f64_e64 s[18:19], |v[117:118]|, |v[119:120]|
	s_and_saveexec_b64 s[20:21], s[18:19]
	s_xor_b64 s[18:19], exec, s[20:21]
	s_cbranch_execz .LBB106_448
; %bb.447:
	v_div_scale_f64 v[90:91], s[20:21], v[119:120], v[119:120], v[117:118]
	v_rcp_f64_e32 v[92:93], v[90:91]
	v_fma_f64 v[97:98], -v[90:91], v[92:93], 1.0
	v_fma_f64 v[92:93], v[92:93], v[97:98], v[92:93]
	v_div_scale_f64 v[97:98], vcc, v[117:118], v[119:120], v[117:118]
	v_fma_f64 v[99:100], -v[90:91], v[92:93], 1.0
	v_fma_f64 v[92:93], v[92:93], v[99:100], v[92:93]
	v_mul_f64 v[99:100], v[97:98], v[92:93]
	v_fma_f64 v[90:91], -v[90:91], v[99:100], v[97:98]
	v_div_fmas_f64 v[90:91], v[90:91], v[92:93], v[99:100]
	v_div_fixup_f64 v[90:91], v[90:91], v[119:120], v[117:118]
	v_fma_f64 v[92:93], v[117:118], v[90:91], v[119:120]
	v_div_scale_f64 v[97:98], s[20:21], v[92:93], v[92:93], 1.0
	v_div_scale_f64 v[103:104], vcc, 1.0, v[92:93], 1.0
	v_rcp_f64_e32 v[99:100], v[97:98]
	v_fma_f64 v[101:102], -v[97:98], v[99:100], 1.0
	v_fma_f64 v[99:100], v[99:100], v[101:102], v[99:100]
	v_fma_f64 v[101:102], -v[97:98], v[99:100], 1.0
	v_fma_f64 v[99:100], v[99:100], v[101:102], v[99:100]
	v_mul_f64 v[101:102], v[103:104], v[99:100]
	v_fma_f64 v[97:98], -v[97:98], v[101:102], v[103:104]
	v_div_fmas_f64 v[97:98], v[97:98], v[99:100], v[101:102]
	v_div_fixup_f64 v[119:120], v[97:98], v[92:93], 1.0
	v_mul_f64 v[117:118], v[90:91], v[119:120]
	v_xor_b32_e32 v120, 0x80000000, v120
.LBB106_448:
	s_andn2_saveexec_b64 s[18:19], s[18:19]
	s_cbranch_execz .LBB106_450
; %bb.449:
	v_div_scale_f64 v[90:91], s[20:21], v[117:118], v[117:118], v[119:120]
	v_rcp_f64_e32 v[92:93], v[90:91]
	v_fma_f64 v[97:98], -v[90:91], v[92:93], 1.0
	v_fma_f64 v[92:93], v[92:93], v[97:98], v[92:93]
	v_div_scale_f64 v[97:98], vcc, v[119:120], v[117:118], v[119:120]
	v_fma_f64 v[99:100], -v[90:91], v[92:93], 1.0
	v_fma_f64 v[92:93], v[92:93], v[99:100], v[92:93]
	v_mul_f64 v[99:100], v[97:98], v[92:93]
	v_fma_f64 v[90:91], -v[90:91], v[99:100], v[97:98]
	v_div_fmas_f64 v[90:91], v[90:91], v[92:93], v[99:100]
	v_div_fixup_f64 v[90:91], v[90:91], v[117:118], v[119:120]
	v_fma_f64 v[92:93], v[119:120], v[90:91], v[117:118]
	v_div_scale_f64 v[97:98], s[20:21], v[92:93], v[92:93], 1.0
	v_div_scale_f64 v[103:104], vcc, 1.0, v[92:93], 1.0
	v_rcp_f64_e32 v[99:100], v[97:98]
	v_fma_f64 v[101:102], -v[97:98], v[99:100], 1.0
	v_fma_f64 v[99:100], v[99:100], v[101:102], v[99:100]
	v_fma_f64 v[101:102], -v[97:98], v[99:100], 1.0
	v_fma_f64 v[99:100], v[99:100], v[101:102], v[99:100]
	v_mul_f64 v[101:102], v[103:104], v[99:100]
	v_fma_f64 v[97:98], -v[97:98], v[101:102], v[103:104]
	v_div_fmas_f64 v[97:98], v[97:98], v[99:100], v[101:102]
	v_div_fixup_f64 v[117:118], v[97:98], v[92:93], 1.0
	v_mul_f64 v[119:120], v[90:91], -v[117:118]
.LBB106_450:
	s_or_b64 exec, exec, s[18:19]
.LBB106_451:
	s_or_b64 exec, exec, s[0:1]
	v_cmp_ne_u32_e32 vcc, v96, v89
	s_and_saveexec_b64 s[0:1], vcc
	s_xor_b64 s[0:1], exec, s[0:1]
	s_cbranch_execz .LBB106_457
; %bb.452:
	v_cmp_eq_u32_e32 vcc, 21, v96
	s_and_saveexec_b64 s[18:19], vcc
	s_cbranch_execz .LBB106_456
; %bb.453:
	v_cmp_ne_u32_e32 vcc, 21, v89
	s_xor_b64 s[20:21], s[6:7], -1
	s_and_b64 s[22:23], s[20:21], vcc
	s_and_saveexec_b64 s[20:21], s[22:23]
	s_cbranch_execz .LBB106_455
; %bb.454:
	v_mov_b32_e32 v53, v81
	v_mov_b32_e32 v54, v82
	;; [unrolled: 1-line block ×4, first 2 shown]
	buffer_load_dword v81, off, s[24:27], 0 offset:436 ; 4-byte Folded Reload
	buffer_load_dword v82, off, s[24:27], 0 offset:440 ; 4-byte Folded Reload
	v_ashrrev_i32_e32 v90, 31, v89
	v_lshlrev_b64 v[90:91], 2, v[89:90]
	s_waitcnt vmcnt(1)
	v_add_co_u32_e32 v90, vcc, v81, v90
	s_waitcnt vmcnt(0)
	v_addc_co_u32_e32 v91, vcc, v82, v91, vcc
	global_load_dword v92, v[90:91], off
	global_load_dword v93, v[81:82], off offset:84
	s_waitcnt vmcnt(1)
	global_store_dword v[81:82], v92, off offset:84
	v_mov_b32_e32 v84, v56
	v_mov_b32_e32 v83, v55
	;; [unrolled: 1-line block ×4, first 2 shown]
	s_waitcnt vmcnt(1)
	global_store_dword v[90:91], v93, off
.LBB106_455:
	s_or_b64 exec, exec, s[20:21]
	v_mov_b32_e32 v96, v89
	v_mov_b32_e32 v53, v89
	buffer_store_dword v53, off, s[24:27], 0 offset:352 ; 4-byte Folded Spill
.LBB106_456:
	s_or_b64 exec, exec, s[18:19]
.LBB106_457:
	s_andn2_saveexec_b64 s[0:1], s[0:1]
	s_cbranch_execz .LBB106_459
; %bb.458:
	buffer_load_dword v53, off, s[24:27], 0 offset:112 ; 4-byte Folded Reload
	buffer_load_dword v54, off, s[24:27], 0 offset:116 ; 4-byte Folded Reload
	;; [unrolled: 1-line block ×4, first 2 shown]
	v_mov_b32_e32 v96, 21
	s_waitcnt vmcnt(0)
	ds_write2_b64 v0, v[53:54], v[55:56] offset0:44 offset1:45
	buffer_load_dword v53, off, s[24:27], 0 offset:96 ; 4-byte Folded Reload
	buffer_load_dword v54, off, s[24:27], 0 offset:100 ; 4-byte Folded Reload
	buffer_load_dword v55, off, s[24:27], 0 offset:104 ; 4-byte Folded Reload
	buffer_load_dword v56, off, s[24:27], 0 offset:108 ; 4-byte Folded Reload
	s_waitcnt vmcnt(0)
	ds_write2_b64 v0, v[53:54], v[55:56] offset0:46 offset1:47
	buffer_load_dword v53, off, s[24:27], 0 offset:80 ; 4-byte Folded Reload
	buffer_load_dword v54, off, s[24:27], 0 offset:84 ; 4-byte Folded Reload
	buffer_load_dword v55, off, s[24:27], 0 offset:88 ; 4-byte Folded Reload
	buffer_load_dword v56, off, s[24:27], 0 offset:92 ; 4-byte Folded Reload
	;; [unrolled: 6-line block ×6, first 2 shown]
	s_waitcnt vmcnt(0)
	ds_write2_b64 v0, v[53:54], v[55:56] offset0:56 offset1:57
	ds_write2_b64 v0, v[81:82], v[83:84] offset0:58 offset1:59
	;; [unrolled: 1-line block ×11, first 2 shown]
	buffer_load_dword v53, off, s[24:27], 0 ; 4-byte Folded Reload
	buffer_load_dword v54, off, s[24:27], 0 offset:4 ; 4-byte Folded Reload
	buffer_load_dword v55, off, s[24:27], 0 offset:8 ; 4-byte Folded Reload
	;; [unrolled: 1-line block ×3, first 2 shown]
	s_waitcnt vmcnt(0)
	ds_write2_b64 v0, v[53:54], v[55:56] offset0:78 offset1:79
	ds_write2_b64 v0, v[49:50], v[51:52] offset0:80 offset1:81
	;; [unrolled: 1-line block ×15, first 2 shown]
.LBB106_459:
	s_or_b64 exec, exec, s[0:1]
	v_cmp_lt_i32_e32 vcc, 21, v96
	s_waitcnt vmcnt(0) lgkmcnt(0)
	s_barrier
	s_and_saveexec_b64 s[0:1], vcc
	s_cbranch_execz .LBB106_461
; %bb.460:
	buffer_load_dword v97, off, s[24:27], 0 offset:128 ; 4-byte Folded Reload
	buffer_load_dword v98, off, s[24:27], 0 offset:132 ; 4-byte Folded Reload
	;; [unrolled: 1-line block ×4, first 2 shown]
	s_waitcnt vmcnt(0)
	v_mul_f64 v[89:90], v[119:120], v[99:100]
	v_fma_f64 v[125:126], v[117:118], v[97:98], -v[89:90]
	v_mul_f64 v[89:90], v[117:118], v[99:100]
	v_fma_f64 v[99:100], v[119:120], v[97:98], v[89:90]
	ds_read2_b64 v[89:92], v0 offset0:44 offset1:45
	buffer_load_dword v53, off, s[24:27], 0 offset:112 ; 4-byte Folded Reload
	buffer_load_dword v54, off, s[24:27], 0 offset:116 ; 4-byte Folded Reload
	;; [unrolled: 1-line block ×4, first 2 shown]
	v_mov_b32_e32 v97, v125
	v_mov_b32_e32 v98, v126
	s_waitcnt lgkmcnt(0)
	v_mul_f64 v[93:94], v[91:92], v[99:100]
	v_fma_f64 v[93:94], v[89:90], v[125:126], -v[93:94]
	v_mul_f64 v[89:90], v[89:90], v[99:100]
	v_fma_f64 v[89:90], v[91:92], v[125:126], v[89:90]
	s_waitcnt vmcnt(2)
	v_add_f64 v[53:54], v[53:54], -v[93:94]
	s_waitcnt vmcnt(0)
	v_add_f64 v[55:56], v[55:56], -v[89:90]
	buffer_store_dword v53, off, s[24:27], 0 offset:112 ; 4-byte Folded Spill
	s_nop 0
	buffer_store_dword v54, off, s[24:27], 0 offset:116 ; 4-byte Folded Spill
	buffer_store_dword v55, off, s[24:27], 0 offset:120 ; 4-byte Folded Spill
	buffer_store_dword v56, off, s[24:27], 0 offset:124 ; 4-byte Folded Spill
	ds_read2_b64 v[89:92], v0 offset0:46 offset1:47
	buffer_load_dword v53, off, s[24:27], 0 offset:96 ; 4-byte Folded Reload
	buffer_load_dword v54, off, s[24:27], 0 offset:100 ; 4-byte Folded Reload
	buffer_load_dword v55, off, s[24:27], 0 offset:104 ; 4-byte Folded Reload
	buffer_load_dword v56, off, s[24:27], 0 offset:108 ; 4-byte Folded Reload
	s_waitcnt lgkmcnt(0)
	v_mul_f64 v[93:94], v[91:92], v[99:100]
	v_fma_f64 v[93:94], v[89:90], v[125:126], -v[93:94]
	v_mul_f64 v[89:90], v[89:90], v[99:100]
	v_fma_f64 v[89:90], v[91:92], v[125:126], v[89:90]
	s_waitcnt vmcnt(2)
	v_add_f64 v[53:54], v[53:54], -v[93:94]
	s_waitcnt vmcnt(0)
	v_add_f64 v[55:56], v[55:56], -v[89:90]
	buffer_store_dword v53, off, s[24:27], 0 offset:96 ; 4-byte Folded Spill
	s_nop 0
	buffer_store_dword v54, off, s[24:27], 0 offset:100 ; 4-byte Folded Spill
	buffer_store_dword v55, off, s[24:27], 0 offset:104 ; 4-byte Folded Spill
	buffer_store_dword v56, off, s[24:27], 0 offset:108 ; 4-byte Folded Spill
	ds_read2_b64 v[89:92], v0 offset0:48 offset1:49
	buffer_load_dword v53, off, s[24:27], 0 offset:80 ; 4-byte Folded Reload
	buffer_load_dword v54, off, s[24:27], 0 offset:84 ; 4-byte Folded Reload
	buffer_load_dword v55, off, s[24:27], 0 offset:88 ; 4-byte Folded Reload
	buffer_load_dword v56, off, s[24:27], 0 offset:92 ; 4-byte Folded Reload
	;; [unrolled: 19-line block ×6, first 2 shown]
	s_waitcnt lgkmcnt(0)
	v_mul_f64 v[93:94], v[91:92], v[99:100]
	v_fma_f64 v[93:94], v[89:90], v[125:126], -v[93:94]
	v_mul_f64 v[89:90], v[89:90], v[99:100]
	v_fma_f64 v[89:90], v[91:92], v[125:126], v[89:90]
	s_waitcnt vmcnt(2)
	v_add_f64 v[53:54], v[53:54], -v[93:94]
	s_waitcnt vmcnt(0)
	v_add_f64 v[55:56], v[55:56], -v[89:90]
	buffer_store_dword v53, off, s[24:27], 0 offset:16 ; 4-byte Folded Spill
	s_nop 0
	buffer_store_dword v54, off, s[24:27], 0 offset:20 ; 4-byte Folded Spill
	buffer_store_dword v55, off, s[24:27], 0 offset:24 ; 4-byte Folded Spill
	;; [unrolled: 1-line block ×3, first 2 shown]
	ds_read2_b64 v[89:92], v0 offset0:58 offset1:59
	s_waitcnt lgkmcnt(0)
	v_mul_f64 v[93:94], v[91:92], v[99:100]
	v_fma_f64 v[93:94], v[89:90], v[125:126], -v[93:94]
	v_mul_f64 v[89:90], v[89:90], v[99:100]
	v_add_f64 v[81:82], v[81:82], -v[93:94]
	v_fma_f64 v[89:90], v[91:92], v[125:126], v[89:90]
	v_add_f64 v[83:84], v[83:84], -v[89:90]
	ds_read2_b64 v[89:92], v0 offset0:60 offset1:61
	s_waitcnt lgkmcnt(0)
	v_mul_f64 v[93:94], v[91:92], v[99:100]
	v_fma_f64 v[93:94], v[89:90], v[125:126], -v[93:94]
	v_mul_f64 v[89:90], v[89:90], v[99:100]
	v_add_f64 v[85:86], v[85:86], -v[93:94]
	v_fma_f64 v[89:90], v[91:92], v[125:126], v[89:90]
	v_add_f64 v[87:88], v[87:88], -v[89:90]
	ds_read2_b64 v[89:92], v0 offset0:62 offset1:63
	s_waitcnt lgkmcnt(0)
	v_mul_f64 v[93:94], v[91:92], v[99:100]
	v_fma_f64 v[93:94], v[89:90], v[125:126], -v[93:94]
	v_mul_f64 v[89:90], v[89:90], v[99:100]
	v_add_f64 v[109:110], v[109:110], -v[93:94]
	v_fma_f64 v[89:90], v[91:92], v[125:126], v[89:90]
	v_add_f64 v[111:112], v[111:112], -v[89:90]
	ds_read2_b64 v[89:92], v0 offset0:64 offset1:65
	s_waitcnt lgkmcnt(0)
	v_mul_f64 v[93:94], v[91:92], v[99:100]
	v_fma_f64 v[93:94], v[89:90], v[125:126], -v[93:94]
	v_mul_f64 v[89:90], v[89:90], v[99:100]
	v_add_f64 v[113:114], v[113:114], -v[93:94]
	v_fma_f64 v[89:90], v[91:92], v[125:126], v[89:90]
	v_add_f64 v[115:116], v[115:116], -v[89:90]
	ds_read2_b64 v[89:92], v0 offset0:66 offset1:67
	s_waitcnt lgkmcnt(0)
	v_mul_f64 v[93:94], v[91:92], v[99:100]
	v_fma_f64 v[93:94], v[89:90], v[125:126], -v[93:94]
	v_mul_f64 v[89:90], v[89:90], v[99:100]
	v_add_f64 v[77:78], v[77:78], -v[93:94]
	v_fma_f64 v[89:90], v[91:92], v[125:126], v[89:90]
	v_add_f64 v[79:80], v[79:80], -v[89:90]
	ds_read2_b64 v[89:92], v0 offset0:68 offset1:69
	s_waitcnt lgkmcnt(0)
	v_mul_f64 v[93:94], v[91:92], v[99:100]
	v_fma_f64 v[93:94], v[89:90], v[125:126], -v[93:94]
	v_mul_f64 v[89:90], v[89:90], v[99:100]
	v_add_f64 v[73:74], v[73:74], -v[93:94]
	v_fma_f64 v[89:90], v[91:92], v[125:126], v[89:90]
	v_add_f64 v[75:76], v[75:76], -v[89:90]
	ds_read2_b64 v[89:92], v0 offset0:70 offset1:71
	s_waitcnt lgkmcnt(0)
	v_mul_f64 v[93:94], v[91:92], v[99:100]
	v_fma_f64 v[93:94], v[89:90], v[125:126], -v[93:94]
	v_mul_f64 v[89:90], v[89:90], v[99:100]
	v_add_f64 v[69:70], v[69:70], -v[93:94]
	v_fma_f64 v[89:90], v[91:92], v[125:126], v[89:90]
	v_add_f64 v[71:72], v[71:72], -v[89:90]
	ds_read2_b64 v[89:92], v0 offset0:72 offset1:73
	s_waitcnt lgkmcnt(0)
	v_mul_f64 v[93:94], v[91:92], v[99:100]
	v_fma_f64 v[93:94], v[89:90], v[125:126], -v[93:94]
	v_mul_f64 v[89:90], v[89:90], v[99:100]
	v_add_f64 v[65:66], v[65:66], -v[93:94]
	v_fma_f64 v[89:90], v[91:92], v[125:126], v[89:90]
	v_add_f64 v[67:68], v[67:68], -v[89:90]
	ds_read2_b64 v[89:92], v0 offset0:74 offset1:75
	s_waitcnt lgkmcnt(0)
	v_mul_f64 v[93:94], v[91:92], v[99:100]
	v_fma_f64 v[93:94], v[89:90], v[125:126], -v[93:94]
	v_mul_f64 v[89:90], v[89:90], v[99:100]
	v_add_f64 v[61:62], v[61:62], -v[93:94]
	v_fma_f64 v[89:90], v[91:92], v[125:126], v[89:90]
	v_add_f64 v[63:64], v[63:64], -v[89:90]
	ds_read2_b64 v[89:92], v0 offset0:76 offset1:77
	s_waitcnt lgkmcnt(0)
	v_mul_f64 v[93:94], v[91:92], v[99:100]
	v_fma_f64 v[93:94], v[89:90], v[125:126], -v[93:94]
	v_mul_f64 v[89:90], v[89:90], v[99:100]
	v_add_f64 v[57:58], v[57:58], -v[93:94]
	v_fma_f64 v[89:90], v[91:92], v[125:126], v[89:90]
	v_add_f64 v[59:60], v[59:60], -v[89:90]
	ds_read2_b64 v[89:92], v0 offset0:78 offset1:79
	buffer_load_dword v53, off, s[24:27], 0 ; 4-byte Folded Reload
	buffer_load_dword v54, off, s[24:27], 0 offset:4 ; 4-byte Folded Reload
	buffer_load_dword v55, off, s[24:27], 0 offset:8 ; 4-byte Folded Reload
	buffer_load_dword v56, off, s[24:27], 0 offset:12 ; 4-byte Folded Reload
	s_waitcnt lgkmcnt(0)
	v_mul_f64 v[93:94], v[91:92], v[99:100]
	v_fma_f64 v[93:94], v[89:90], v[125:126], -v[93:94]
	v_mul_f64 v[89:90], v[89:90], v[99:100]
	v_fma_f64 v[89:90], v[91:92], v[125:126], v[89:90]
	s_waitcnt vmcnt(2)
	v_add_f64 v[53:54], v[53:54], -v[93:94]
	s_waitcnt vmcnt(0)
	v_add_f64 v[55:56], v[55:56], -v[89:90]
	buffer_store_dword v53, off, s[24:27], 0 ; 4-byte Folded Spill
	s_nop 0
	buffer_store_dword v54, off, s[24:27], 0 offset:4 ; 4-byte Folded Spill
	buffer_store_dword v55, off, s[24:27], 0 offset:8 ; 4-byte Folded Spill
	;; [unrolled: 1-line block ×3, first 2 shown]
	ds_read2_b64 v[89:92], v0 offset0:80 offset1:81
	s_waitcnt lgkmcnt(0)
	v_mul_f64 v[93:94], v[91:92], v[99:100]
	v_fma_f64 v[93:94], v[89:90], v[125:126], -v[93:94]
	v_mul_f64 v[89:90], v[89:90], v[99:100]
	v_add_f64 v[49:50], v[49:50], -v[93:94]
	v_fma_f64 v[89:90], v[91:92], v[125:126], v[89:90]
	v_add_f64 v[51:52], v[51:52], -v[89:90]
	ds_read2_b64 v[89:92], v0 offset0:82 offset1:83
	s_waitcnt lgkmcnt(0)
	v_mul_f64 v[93:94], v[91:92], v[99:100]
	v_fma_f64 v[93:94], v[89:90], v[125:126], -v[93:94]
	v_mul_f64 v[89:90], v[89:90], v[99:100]
	v_add_f64 v[45:46], v[45:46], -v[93:94]
	v_fma_f64 v[89:90], v[91:92], v[125:126], v[89:90]
	v_add_f64 v[47:48], v[47:48], -v[89:90]
	;; [unrolled: 8-line block ×13, first 2 shown]
	ds_read2_b64 v[89:92], v0 offset0:106 offset1:107
	s_waitcnt lgkmcnt(0)
	v_mul_f64 v[93:94], v[91:92], v[99:100]
	v_fma_f64 v[93:94], v[89:90], v[125:126], -v[93:94]
	v_mul_f64 v[89:90], v[89:90], v[99:100]
	buffer_store_dword v97, off, s[24:27], 0 offset:128 ; 4-byte Folded Spill
	s_nop 0
	buffer_store_dword v98, off, s[24:27], 0 offset:132 ; 4-byte Folded Spill
	buffer_store_dword v99, off, s[24:27], 0 offset:136 ; 4-byte Folded Spill
	;; [unrolled: 1-line block ×3, first 2 shown]
	v_add_f64 v[121:122], v[121:122], -v[93:94]
	v_fma_f64 v[89:90], v[91:92], v[125:126], v[89:90]
	v_add_f64 v[123:124], v[123:124], -v[89:90]
.LBB106_461:
	s_or_b64 exec, exec, s[0:1]
	s_waitcnt vmcnt(0)
	s_barrier
	buffer_load_dword v53, off, s[24:27], 0 offset:112 ; 4-byte Folded Reload
	buffer_load_dword v54, off, s[24:27], 0 offset:116 ; 4-byte Folded Reload
	;; [unrolled: 1-line block ×4, first 2 shown]
	v_lshl_add_u32 v89, v96, 4, v0
	s_cmp_lt_i32 s3, 24
	s_waitcnt vmcnt(0)
	ds_write2_b64 v89, v[53:54], v[55:56] offset1:1
	s_waitcnt lgkmcnt(0)
	s_barrier
	ds_read2_b64 v[117:120], v0 offset0:44 offset1:45
	v_mov_b32_e32 v89, 22
	s_cbranch_scc1 .LBB106_464
; %bb.462:
	v_add_u32_e32 v90, 0x170, v0
	s_mov_b32 s0, 23
	v_mov_b32_e32 v89, 22
.LBB106_463:                            ; =>This Inner Loop Header: Depth=1
	s_waitcnt lgkmcnt(0)
	v_cmp_gt_f64_e32 vcc, 0, v[117:118]
	v_xor_b32_e32 v97, 0x80000000, v118
	ds_read2_b64 v[91:94], v90 offset1:1
	v_xor_b32_e32 v99, 0x80000000, v120
	v_add_u32_e32 v90, 16, v90
	s_waitcnt lgkmcnt(0)
	v_xor_b32_e32 v101, 0x80000000, v94
	v_cndmask_b32_e32 v98, v118, v97, vcc
	v_cmp_gt_f64_e32 vcc, 0, v[119:120]
	v_mov_b32_e32 v97, v117
	v_cndmask_b32_e32 v100, v120, v99, vcc
	v_cmp_gt_f64_e32 vcc, 0, v[91:92]
	v_mov_b32_e32 v99, v119
	v_add_f64 v[97:98], v[97:98], v[99:100]
	v_xor_b32_e32 v99, 0x80000000, v92
	v_cndmask_b32_e32 v100, v92, v99, vcc
	v_cmp_gt_f64_e32 vcc, 0, v[93:94]
	v_mov_b32_e32 v99, v91
	v_cndmask_b32_e32 v102, v94, v101, vcc
	v_mov_b32_e32 v101, v93
	v_add_f64 v[99:100], v[99:100], v[101:102]
	v_cmp_lt_f64_e32 vcc, v[97:98], v[99:100]
	v_cndmask_b32_e32 v117, v117, v91, vcc
	v_mov_b32_e32 v91, s0
	s_add_i32 s0, s0, 1
	v_cndmask_b32_e32 v118, v118, v92, vcc
	v_cndmask_b32_e32 v120, v120, v94, vcc
	;; [unrolled: 1-line block ×4, first 2 shown]
	s_cmp_lg_u32 s3, s0
	s_cbranch_scc1 .LBB106_463
.LBB106_464:
	s_waitcnt lgkmcnt(0)
	v_cmp_eq_f64_e32 vcc, 0, v[117:118]
	v_cmp_eq_f64_e64 s[0:1], 0, v[119:120]
	s_and_b64 s[0:1], vcc, s[0:1]
	s_and_saveexec_b64 s[18:19], s[0:1]
	s_xor_b64 s[0:1], exec, s[18:19]
; %bb.465:
	v_cmp_ne_u32_e32 vcc, 0, v95
	v_cndmask_b32_e32 v95, 23, v95, vcc
; %bb.466:
	s_andn2_saveexec_b64 s[0:1], s[0:1]
	s_cbranch_execz .LBB106_472
; %bb.467:
	v_cmp_ngt_f64_e64 s[18:19], |v[117:118]|, |v[119:120]|
	s_and_saveexec_b64 s[20:21], s[18:19]
	s_xor_b64 s[18:19], exec, s[20:21]
	s_cbranch_execz .LBB106_469
; %bb.468:
	v_div_scale_f64 v[90:91], s[20:21], v[119:120], v[119:120], v[117:118]
	v_rcp_f64_e32 v[92:93], v[90:91]
	v_fma_f64 v[97:98], -v[90:91], v[92:93], 1.0
	v_fma_f64 v[92:93], v[92:93], v[97:98], v[92:93]
	v_div_scale_f64 v[97:98], vcc, v[117:118], v[119:120], v[117:118]
	v_fma_f64 v[99:100], -v[90:91], v[92:93], 1.0
	v_fma_f64 v[92:93], v[92:93], v[99:100], v[92:93]
	v_mul_f64 v[99:100], v[97:98], v[92:93]
	v_fma_f64 v[90:91], -v[90:91], v[99:100], v[97:98]
	v_div_fmas_f64 v[90:91], v[90:91], v[92:93], v[99:100]
	v_div_fixup_f64 v[90:91], v[90:91], v[119:120], v[117:118]
	v_fma_f64 v[92:93], v[117:118], v[90:91], v[119:120]
	v_div_scale_f64 v[97:98], s[20:21], v[92:93], v[92:93], 1.0
	v_div_scale_f64 v[103:104], vcc, 1.0, v[92:93], 1.0
	v_rcp_f64_e32 v[99:100], v[97:98]
	v_fma_f64 v[101:102], -v[97:98], v[99:100], 1.0
	v_fma_f64 v[99:100], v[99:100], v[101:102], v[99:100]
	v_fma_f64 v[101:102], -v[97:98], v[99:100], 1.0
	v_fma_f64 v[99:100], v[99:100], v[101:102], v[99:100]
	v_mul_f64 v[101:102], v[103:104], v[99:100]
	v_fma_f64 v[97:98], -v[97:98], v[101:102], v[103:104]
	v_div_fmas_f64 v[97:98], v[97:98], v[99:100], v[101:102]
	v_div_fixup_f64 v[119:120], v[97:98], v[92:93], 1.0
	v_mul_f64 v[117:118], v[90:91], v[119:120]
	v_xor_b32_e32 v120, 0x80000000, v120
.LBB106_469:
	s_andn2_saveexec_b64 s[18:19], s[18:19]
	s_cbranch_execz .LBB106_471
; %bb.470:
	v_div_scale_f64 v[90:91], s[20:21], v[117:118], v[117:118], v[119:120]
	v_rcp_f64_e32 v[92:93], v[90:91]
	v_fma_f64 v[97:98], -v[90:91], v[92:93], 1.0
	v_fma_f64 v[92:93], v[92:93], v[97:98], v[92:93]
	v_div_scale_f64 v[97:98], vcc, v[119:120], v[117:118], v[119:120]
	v_fma_f64 v[99:100], -v[90:91], v[92:93], 1.0
	v_fma_f64 v[92:93], v[92:93], v[99:100], v[92:93]
	v_mul_f64 v[99:100], v[97:98], v[92:93]
	v_fma_f64 v[90:91], -v[90:91], v[99:100], v[97:98]
	v_div_fmas_f64 v[90:91], v[90:91], v[92:93], v[99:100]
	v_div_fixup_f64 v[90:91], v[90:91], v[117:118], v[119:120]
	v_fma_f64 v[92:93], v[119:120], v[90:91], v[117:118]
	v_div_scale_f64 v[97:98], s[20:21], v[92:93], v[92:93], 1.0
	v_div_scale_f64 v[103:104], vcc, 1.0, v[92:93], 1.0
	v_rcp_f64_e32 v[99:100], v[97:98]
	v_fma_f64 v[101:102], -v[97:98], v[99:100], 1.0
	v_fma_f64 v[99:100], v[99:100], v[101:102], v[99:100]
	v_fma_f64 v[101:102], -v[97:98], v[99:100], 1.0
	v_fma_f64 v[99:100], v[99:100], v[101:102], v[99:100]
	v_mul_f64 v[101:102], v[103:104], v[99:100]
	v_fma_f64 v[97:98], -v[97:98], v[101:102], v[103:104]
	v_div_fmas_f64 v[97:98], v[97:98], v[99:100], v[101:102]
	v_div_fixup_f64 v[117:118], v[97:98], v[92:93], 1.0
	v_mul_f64 v[119:120], v[90:91], -v[117:118]
.LBB106_471:
	s_or_b64 exec, exec, s[18:19]
.LBB106_472:
	s_or_b64 exec, exec, s[0:1]
	v_cmp_ne_u32_e32 vcc, v96, v89
	s_and_saveexec_b64 s[0:1], vcc
	s_xor_b64 s[0:1], exec, s[0:1]
	s_cbranch_execz .LBB106_478
; %bb.473:
	v_cmp_eq_u32_e32 vcc, 22, v96
	s_and_saveexec_b64 s[18:19], vcc
	s_cbranch_execz .LBB106_477
; %bb.474:
	v_cmp_ne_u32_e32 vcc, 22, v89
	s_xor_b64 s[20:21], s[6:7], -1
	s_and_b64 s[22:23], s[20:21], vcc
	s_and_saveexec_b64 s[20:21], s[22:23]
	s_cbranch_execz .LBB106_476
; %bb.475:
	v_mov_b32_e32 v53, v81
	v_mov_b32_e32 v54, v82
	v_mov_b32_e32 v55, v83
	v_mov_b32_e32 v56, v84
	buffer_load_dword v81, off, s[24:27], 0 offset:436 ; 4-byte Folded Reload
	buffer_load_dword v82, off, s[24:27], 0 offset:440 ; 4-byte Folded Reload
	v_ashrrev_i32_e32 v90, 31, v89
	v_lshlrev_b64 v[90:91], 2, v[89:90]
	s_waitcnt vmcnt(1)
	v_add_co_u32_e32 v90, vcc, v81, v90
	s_waitcnt vmcnt(0)
	v_addc_co_u32_e32 v91, vcc, v82, v91, vcc
	global_load_dword v92, v[90:91], off
	global_load_dword v93, v[81:82], off offset:88
	s_waitcnt vmcnt(1)
	global_store_dword v[81:82], v92, off offset:88
	v_mov_b32_e32 v84, v56
	v_mov_b32_e32 v83, v55
	v_mov_b32_e32 v82, v54
	v_mov_b32_e32 v81, v53
	s_waitcnt vmcnt(1)
	global_store_dword v[90:91], v93, off
.LBB106_476:
	s_or_b64 exec, exec, s[20:21]
	v_mov_b32_e32 v96, v89
	v_mov_b32_e32 v53, v89
	buffer_store_dword v53, off, s[24:27], 0 offset:352 ; 4-byte Folded Spill
.LBB106_477:
	s_or_b64 exec, exec, s[18:19]
.LBB106_478:
	s_andn2_saveexec_b64 s[0:1], s[0:1]
	s_cbranch_execz .LBB106_480
; %bb.479:
	buffer_load_dword v53, off, s[24:27], 0 offset:96 ; 4-byte Folded Reload
	buffer_load_dword v54, off, s[24:27], 0 offset:100 ; 4-byte Folded Reload
	buffer_load_dword v55, off, s[24:27], 0 offset:104 ; 4-byte Folded Reload
	buffer_load_dword v56, off, s[24:27], 0 offset:108 ; 4-byte Folded Reload
	v_mov_b32_e32 v96, 22
	s_waitcnt vmcnt(0)
	ds_write2_b64 v0, v[53:54], v[55:56] offset0:46 offset1:47
	buffer_load_dword v53, off, s[24:27], 0 offset:80 ; 4-byte Folded Reload
	buffer_load_dword v54, off, s[24:27], 0 offset:84 ; 4-byte Folded Reload
	buffer_load_dword v55, off, s[24:27], 0 offset:88 ; 4-byte Folded Reload
	buffer_load_dword v56, off, s[24:27], 0 offset:92 ; 4-byte Folded Reload
	s_waitcnt vmcnt(0)
	ds_write2_b64 v0, v[53:54], v[55:56] offset0:48 offset1:49
	buffer_load_dword v53, off, s[24:27], 0 offset:64 ; 4-byte Folded Reload
	buffer_load_dword v54, off, s[24:27], 0 offset:68 ; 4-byte Folded Reload
	buffer_load_dword v55, off, s[24:27], 0 offset:72 ; 4-byte Folded Reload
	buffer_load_dword v56, off, s[24:27], 0 offset:76 ; 4-byte Folded Reload
	;; [unrolled: 6-line block ×5, first 2 shown]
	s_waitcnt vmcnt(0)
	ds_write2_b64 v0, v[53:54], v[55:56] offset0:56 offset1:57
	ds_write2_b64 v0, v[81:82], v[83:84] offset0:58 offset1:59
	ds_write2_b64 v0, v[85:86], v[87:88] offset0:60 offset1:61
	ds_write2_b64 v0, v[109:110], v[111:112] offset0:62 offset1:63
	ds_write2_b64 v0, v[113:114], v[115:116] offset0:64 offset1:65
	ds_write2_b64 v0, v[77:78], v[79:80] offset0:66 offset1:67
	ds_write2_b64 v0, v[73:74], v[75:76] offset0:68 offset1:69
	ds_write2_b64 v0, v[69:70], v[71:72] offset0:70 offset1:71
	ds_write2_b64 v0, v[65:66], v[67:68] offset0:72 offset1:73
	ds_write2_b64 v0, v[61:62], v[63:64] offset0:74 offset1:75
	ds_write2_b64 v0, v[57:58], v[59:60] offset0:76 offset1:77
	buffer_load_dword v53, off, s[24:27], 0 ; 4-byte Folded Reload
	buffer_load_dword v54, off, s[24:27], 0 offset:4 ; 4-byte Folded Reload
	buffer_load_dword v55, off, s[24:27], 0 offset:8 ; 4-byte Folded Reload
	;; [unrolled: 1-line block ×3, first 2 shown]
	s_waitcnt vmcnt(0)
	ds_write2_b64 v0, v[53:54], v[55:56] offset0:78 offset1:79
	ds_write2_b64 v0, v[49:50], v[51:52] offset0:80 offset1:81
	;; [unrolled: 1-line block ×15, first 2 shown]
.LBB106_480:
	s_or_b64 exec, exec, s[0:1]
	v_cmp_lt_i32_e32 vcc, 22, v96
	s_waitcnt vmcnt(0) lgkmcnt(0)
	s_barrier
	s_and_saveexec_b64 s[0:1], vcc
	s_cbranch_execz .LBB106_482
; %bb.481:
	buffer_load_dword v97, off, s[24:27], 0 offset:112 ; 4-byte Folded Reload
	buffer_load_dword v98, off, s[24:27], 0 offset:116 ; 4-byte Folded Reload
	buffer_load_dword v99, off, s[24:27], 0 offset:120 ; 4-byte Folded Reload
	buffer_load_dword v100, off, s[24:27], 0 offset:124 ; 4-byte Folded Reload
	s_waitcnt vmcnt(0)
	v_mul_f64 v[89:90], v[119:120], v[99:100]
	v_fma_f64 v[125:126], v[117:118], v[97:98], -v[89:90]
	v_mul_f64 v[89:90], v[117:118], v[99:100]
	v_fma_f64 v[99:100], v[119:120], v[97:98], v[89:90]
	ds_read2_b64 v[89:92], v0 offset0:46 offset1:47
	buffer_load_dword v53, off, s[24:27], 0 offset:96 ; 4-byte Folded Reload
	buffer_load_dword v54, off, s[24:27], 0 offset:100 ; 4-byte Folded Reload
	;; [unrolled: 1-line block ×4, first 2 shown]
	v_mov_b32_e32 v97, v125
	v_mov_b32_e32 v98, v126
	s_waitcnt lgkmcnt(0)
	v_mul_f64 v[93:94], v[91:92], v[99:100]
	v_fma_f64 v[93:94], v[89:90], v[125:126], -v[93:94]
	v_mul_f64 v[89:90], v[89:90], v[99:100]
	v_fma_f64 v[89:90], v[91:92], v[125:126], v[89:90]
	s_waitcnt vmcnt(2)
	v_add_f64 v[53:54], v[53:54], -v[93:94]
	s_waitcnt vmcnt(0)
	v_add_f64 v[55:56], v[55:56], -v[89:90]
	buffer_store_dword v53, off, s[24:27], 0 offset:96 ; 4-byte Folded Spill
	s_nop 0
	buffer_store_dword v54, off, s[24:27], 0 offset:100 ; 4-byte Folded Spill
	buffer_store_dword v55, off, s[24:27], 0 offset:104 ; 4-byte Folded Spill
	buffer_store_dword v56, off, s[24:27], 0 offset:108 ; 4-byte Folded Spill
	ds_read2_b64 v[89:92], v0 offset0:48 offset1:49
	buffer_load_dword v53, off, s[24:27], 0 offset:80 ; 4-byte Folded Reload
	buffer_load_dword v54, off, s[24:27], 0 offset:84 ; 4-byte Folded Reload
	buffer_load_dword v55, off, s[24:27], 0 offset:88 ; 4-byte Folded Reload
	buffer_load_dword v56, off, s[24:27], 0 offset:92 ; 4-byte Folded Reload
	s_waitcnt lgkmcnt(0)
	v_mul_f64 v[93:94], v[91:92], v[99:100]
	v_fma_f64 v[93:94], v[89:90], v[125:126], -v[93:94]
	v_mul_f64 v[89:90], v[89:90], v[99:100]
	v_fma_f64 v[89:90], v[91:92], v[125:126], v[89:90]
	s_waitcnt vmcnt(2)
	v_add_f64 v[53:54], v[53:54], -v[93:94]
	s_waitcnt vmcnt(0)
	v_add_f64 v[55:56], v[55:56], -v[89:90]
	buffer_store_dword v53, off, s[24:27], 0 offset:80 ; 4-byte Folded Spill
	s_nop 0
	buffer_store_dword v54, off, s[24:27], 0 offset:84 ; 4-byte Folded Spill
	buffer_store_dword v55, off, s[24:27], 0 offset:88 ; 4-byte Folded Spill
	buffer_store_dword v56, off, s[24:27], 0 offset:92 ; 4-byte Folded Spill
	ds_read2_b64 v[89:92], v0 offset0:50 offset1:51
	buffer_load_dword v53, off, s[24:27], 0 offset:64 ; 4-byte Folded Reload
	buffer_load_dword v54, off, s[24:27], 0 offset:68 ; 4-byte Folded Reload
	buffer_load_dword v55, off, s[24:27], 0 offset:72 ; 4-byte Folded Reload
	buffer_load_dword v56, off, s[24:27], 0 offset:76 ; 4-byte Folded Reload
	s_waitcnt lgkmcnt(0)
	v_mul_f64 v[93:94], v[91:92], v[99:100]
	v_fma_f64 v[93:94], v[89:90], v[125:126], -v[93:94]
	v_mul_f64 v[89:90], v[89:90], v[99:100]
	v_fma_f64 v[89:90], v[91:92], v[125:126], v[89:90]
	s_waitcnt vmcnt(2)
	v_add_f64 v[53:54], v[53:54], -v[93:94]
	s_waitcnt vmcnt(0)
	v_add_f64 v[55:56], v[55:56], -v[89:90]
	buffer_store_dword v53, off, s[24:27], 0 offset:64 ; 4-byte Folded Spill
	s_nop 0
	buffer_store_dword v54, off, s[24:27], 0 offset:68 ; 4-byte Folded Spill
	buffer_store_dword v55, off, s[24:27], 0 offset:72 ; 4-byte Folded Spill
	buffer_store_dword v56, off, s[24:27], 0 offset:76 ; 4-byte Folded Spill
	ds_read2_b64 v[89:92], v0 offset0:52 offset1:53
	buffer_load_dword v53, off, s[24:27], 0 offset:48 ; 4-byte Folded Reload
	buffer_load_dword v54, off, s[24:27], 0 offset:52 ; 4-byte Folded Reload
	buffer_load_dword v55, off, s[24:27], 0 offset:56 ; 4-byte Folded Reload
	buffer_load_dword v56, off, s[24:27], 0 offset:60 ; 4-byte Folded Reload
	s_waitcnt lgkmcnt(0)
	v_mul_f64 v[93:94], v[91:92], v[99:100]
	v_fma_f64 v[93:94], v[89:90], v[125:126], -v[93:94]
	v_mul_f64 v[89:90], v[89:90], v[99:100]
	v_fma_f64 v[89:90], v[91:92], v[125:126], v[89:90]
	s_waitcnt vmcnt(2)
	v_add_f64 v[53:54], v[53:54], -v[93:94]
	s_waitcnt vmcnt(0)
	v_add_f64 v[55:56], v[55:56], -v[89:90]
	buffer_store_dword v53, off, s[24:27], 0 offset:48 ; 4-byte Folded Spill
	s_nop 0
	buffer_store_dword v54, off, s[24:27], 0 offset:52 ; 4-byte Folded Spill
	buffer_store_dword v55, off, s[24:27], 0 offset:56 ; 4-byte Folded Spill
	buffer_store_dword v56, off, s[24:27], 0 offset:60 ; 4-byte Folded Spill
	ds_read2_b64 v[89:92], v0 offset0:54 offset1:55
	buffer_load_dword v53, off, s[24:27], 0 offset:32 ; 4-byte Folded Reload
	buffer_load_dword v54, off, s[24:27], 0 offset:36 ; 4-byte Folded Reload
	buffer_load_dword v55, off, s[24:27], 0 offset:40 ; 4-byte Folded Reload
	buffer_load_dword v56, off, s[24:27], 0 offset:44 ; 4-byte Folded Reload
	s_waitcnt lgkmcnt(0)
	v_mul_f64 v[93:94], v[91:92], v[99:100]
	v_fma_f64 v[93:94], v[89:90], v[125:126], -v[93:94]
	v_mul_f64 v[89:90], v[89:90], v[99:100]
	v_fma_f64 v[89:90], v[91:92], v[125:126], v[89:90]
	s_waitcnt vmcnt(2)
	v_add_f64 v[53:54], v[53:54], -v[93:94]
	s_waitcnt vmcnt(0)
	v_add_f64 v[55:56], v[55:56], -v[89:90]
	buffer_store_dword v53, off, s[24:27], 0 offset:32 ; 4-byte Folded Spill
	s_nop 0
	buffer_store_dword v54, off, s[24:27], 0 offset:36 ; 4-byte Folded Spill
	buffer_store_dword v55, off, s[24:27], 0 offset:40 ; 4-byte Folded Spill
	buffer_store_dword v56, off, s[24:27], 0 offset:44 ; 4-byte Folded Spill
	ds_read2_b64 v[89:92], v0 offset0:56 offset1:57
	buffer_load_dword v53, off, s[24:27], 0 offset:16 ; 4-byte Folded Reload
	buffer_load_dword v54, off, s[24:27], 0 offset:20 ; 4-byte Folded Reload
	buffer_load_dword v55, off, s[24:27], 0 offset:24 ; 4-byte Folded Reload
	buffer_load_dword v56, off, s[24:27], 0 offset:28 ; 4-byte Folded Reload
	s_waitcnt lgkmcnt(0)
	v_mul_f64 v[93:94], v[91:92], v[99:100]
	v_fma_f64 v[93:94], v[89:90], v[125:126], -v[93:94]
	v_mul_f64 v[89:90], v[89:90], v[99:100]
	v_fma_f64 v[89:90], v[91:92], v[125:126], v[89:90]
	s_waitcnt vmcnt(2)
	v_add_f64 v[53:54], v[53:54], -v[93:94]
	s_waitcnt vmcnt(0)
	v_add_f64 v[55:56], v[55:56], -v[89:90]
	buffer_store_dword v53, off, s[24:27], 0 offset:16 ; 4-byte Folded Spill
	s_nop 0
	buffer_store_dword v54, off, s[24:27], 0 offset:20 ; 4-byte Folded Spill
	buffer_store_dword v55, off, s[24:27], 0 offset:24 ; 4-byte Folded Spill
	;; [unrolled: 1-line block ×3, first 2 shown]
	ds_read2_b64 v[89:92], v0 offset0:58 offset1:59
	s_waitcnt lgkmcnt(0)
	v_mul_f64 v[93:94], v[91:92], v[99:100]
	v_fma_f64 v[93:94], v[89:90], v[125:126], -v[93:94]
	v_mul_f64 v[89:90], v[89:90], v[99:100]
	v_add_f64 v[81:82], v[81:82], -v[93:94]
	v_fma_f64 v[89:90], v[91:92], v[125:126], v[89:90]
	v_add_f64 v[83:84], v[83:84], -v[89:90]
	ds_read2_b64 v[89:92], v0 offset0:60 offset1:61
	s_waitcnt lgkmcnt(0)
	v_mul_f64 v[93:94], v[91:92], v[99:100]
	v_fma_f64 v[93:94], v[89:90], v[125:126], -v[93:94]
	v_mul_f64 v[89:90], v[89:90], v[99:100]
	v_add_f64 v[85:86], v[85:86], -v[93:94]
	v_fma_f64 v[89:90], v[91:92], v[125:126], v[89:90]
	v_add_f64 v[87:88], v[87:88], -v[89:90]
	;; [unrolled: 8-line block ×10, first 2 shown]
	ds_read2_b64 v[89:92], v0 offset0:78 offset1:79
	buffer_load_dword v53, off, s[24:27], 0 ; 4-byte Folded Reload
	buffer_load_dword v54, off, s[24:27], 0 offset:4 ; 4-byte Folded Reload
	buffer_load_dword v55, off, s[24:27], 0 offset:8 ; 4-byte Folded Reload
	buffer_load_dword v56, off, s[24:27], 0 offset:12 ; 4-byte Folded Reload
	s_waitcnt lgkmcnt(0)
	v_mul_f64 v[93:94], v[91:92], v[99:100]
	v_fma_f64 v[93:94], v[89:90], v[125:126], -v[93:94]
	v_mul_f64 v[89:90], v[89:90], v[99:100]
	v_fma_f64 v[89:90], v[91:92], v[125:126], v[89:90]
	s_waitcnt vmcnt(2)
	v_add_f64 v[53:54], v[53:54], -v[93:94]
	s_waitcnt vmcnt(0)
	v_add_f64 v[55:56], v[55:56], -v[89:90]
	buffer_store_dword v53, off, s[24:27], 0 ; 4-byte Folded Spill
	s_nop 0
	buffer_store_dword v54, off, s[24:27], 0 offset:4 ; 4-byte Folded Spill
	buffer_store_dword v55, off, s[24:27], 0 offset:8 ; 4-byte Folded Spill
	buffer_store_dword v56, off, s[24:27], 0 offset:12 ; 4-byte Folded Spill
	ds_read2_b64 v[89:92], v0 offset0:80 offset1:81
	s_waitcnt lgkmcnt(0)
	v_mul_f64 v[93:94], v[91:92], v[99:100]
	v_fma_f64 v[93:94], v[89:90], v[125:126], -v[93:94]
	v_mul_f64 v[89:90], v[89:90], v[99:100]
	v_add_f64 v[49:50], v[49:50], -v[93:94]
	v_fma_f64 v[89:90], v[91:92], v[125:126], v[89:90]
	v_add_f64 v[51:52], v[51:52], -v[89:90]
	ds_read2_b64 v[89:92], v0 offset0:82 offset1:83
	s_waitcnt lgkmcnt(0)
	v_mul_f64 v[93:94], v[91:92], v[99:100]
	v_fma_f64 v[93:94], v[89:90], v[125:126], -v[93:94]
	v_mul_f64 v[89:90], v[89:90], v[99:100]
	v_add_f64 v[45:46], v[45:46], -v[93:94]
	v_fma_f64 v[89:90], v[91:92], v[125:126], v[89:90]
	v_add_f64 v[47:48], v[47:48], -v[89:90]
	ds_read2_b64 v[89:92], v0 offset0:84 offset1:85
	s_waitcnt lgkmcnt(0)
	v_mul_f64 v[93:94], v[91:92], v[99:100]
	v_fma_f64 v[93:94], v[89:90], v[125:126], -v[93:94]
	v_mul_f64 v[89:90], v[89:90], v[99:100]
	v_add_f64 v[41:42], v[41:42], -v[93:94]
	v_fma_f64 v[89:90], v[91:92], v[125:126], v[89:90]
	v_add_f64 v[43:44], v[43:44], -v[89:90]
	ds_read2_b64 v[89:92], v0 offset0:86 offset1:87
	s_waitcnt lgkmcnt(0)
	v_mul_f64 v[93:94], v[91:92], v[99:100]
	v_fma_f64 v[93:94], v[89:90], v[125:126], -v[93:94]
	v_mul_f64 v[89:90], v[89:90], v[99:100]
	v_add_f64 v[37:38], v[37:38], -v[93:94]
	v_fma_f64 v[89:90], v[91:92], v[125:126], v[89:90]
	v_add_f64 v[39:40], v[39:40], -v[89:90]
	ds_read2_b64 v[89:92], v0 offset0:88 offset1:89
	s_waitcnt lgkmcnt(0)
	v_mul_f64 v[93:94], v[91:92], v[99:100]
	v_fma_f64 v[93:94], v[89:90], v[125:126], -v[93:94]
	v_mul_f64 v[89:90], v[89:90], v[99:100]
	v_add_f64 v[33:34], v[33:34], -v[93:94]
	v_fma_f64 v[89:90], v[91:92], v[125:126], v[89:90]
	v_add_f64 v[35:36], v[35:36], -v[89:90]
	ds_read2_b64 v[89:92], v0 offset0:90 offset1:91
	s_waitcnt lgkmcnt(0)
	v_mul_f64 v[93:94], v[91:92], v[99:100]
	v_fma_f64 v[93:94], v[89:90], v[125:126], -v[93:94]
	v_mul_f64 v[89:90], v[89:90], v[99:100]
	v_add_f64 v[29:30], v[29:30], -v[93:94]
	v_fma_f64 v[89:90], v[91:92], v[125:126], v[89:90]
	v_add_f64 v[31:32], v[31:32], -v[89:90]
	ds_read2_b64 v[89:92], v0 offset0:92 offset1:93
	s_waitcnt lgkmcnt(0)
	v_mul_f64 v[93:94], v[91:92], v[99:100]
	v_fma_f64 v[93:94], v[89:90], v[125:126], -v[93:94]
	v_mul_f64 v[89:90], v[89:90], v[99:100]
	v_add_f64 v[25:26], v[25:26], -v[93:94]
	v_fma_f64 v[89:90], v[91:92], v[125:126], v[89:90]
	v_add_f64 v[27:28], v[27:28], -v[89:90]
	ds_read2_b64 v[89:92], v0 offset0:94 offset1:95
	s_waitcnt lgkmcnt(0)
	v_mul_f64 v[93:94], v[91:92], v[99:100]
	v_fma_f64 v[93:94], v[89:90], v[125:126], -v[93:94]
	v_mul_f64 v[89:90], v[89:90], v[99:100]
	v_add_f64 v[21:22], v[21:22], -v[93:94]
	v_fma_f64 v[89:90], v[91:92], v[125:126], v[89:90]
	v_add_f64 v[23:24], v[23:24], -v[89:90]
	ds_read2_b64 v[89:92], v0 offset0:96 offset1:97
	s_waitcnt lgkmcnt(0)
	v_mul_f64 v[93:94], v[91:92], v[99:100]
	v_fma_f64 v[93:94], v[89:90], v[125:126], -v[93:94]
	v_mul_f64 v[89:90], v[89:90], v[99:100]
	v_add_f64 v[17:18], v[17:18], -v[93:94]
	v_fma_f64 v[89:90], v[91:92], v[125:126], v[89:90]
	v_add_f64 v[19:20], v[19:20], -v[89:90]
	ds_read2_b64 v[89:92], v0 offset0:98 offset1:99
	s_waitcnt lgkmcnt(0)
	v_mul_f64 v[93:94], v[91:92], v[99:100]
	v_fma_f64 v[93:94], v[89:90], v[125:126], -v[93:94]
	v_mul_f64 v[89:90], v[89:90], v[99:100]
	v_add_f64 v[13:14], v[13:14], -v[93:94]
	v_fma_f64 v[89:90], v[91:92], v[125:126], v[89:90]
	v_add_f64 v[15:16], v[15:16], -v[89:90]
	ds_read2_b64 v[89:92], v0 offset0:100 offset1:101
	s_waitcnt lgkmcnt(0)
	v_mul_f64 v[93:94], v[91:92], v[99:100]
	v_fma_f64 v[93:94], v[89:90], v[125:126], -v[93:94]
	v_mul_f64 v[89:90], v[89:90], v[99:100]
	v_add_f64 v[9:10], v[9:10], -v[93:94]
	v_fma_f64 v[89:90], v[91:92], v[125:126], v[89:90]
	v_add_f64 v[11:12], v[11:12], -v[89:90]
	ds_read2_b64 v[89:92], v0 offset0:102 offset1:103
	s_waitcnt lgkmcnt(0)
	v_mul_f64 v[93:94], v[91:92], v[99:100]
	v_fma_f64 v[93:94], v[89:90], v[125:126], -v[93:94]
	v_mul_f64 v[89:90], v[89:90], v[99:100]
	v_add_f64 v[5:6], v[5:6], -v[93:94]
	v_fma_f64 v[89:90], v[91:92], v[125:126], v[89:90]
	v_add_f64 v[7:8], v[7:8], -v[89:90]
	ds_read2_b64 v[89:92], v0 offset0:104 offset1:105
	s_waitcnt lgkmcnt(0)
	v_mul_f64 v[93:94], v[91:92], v[99:100]
	v_fma_f64 v[93:94], v[89:90], v[125:126], -v[93:94]
	v_mul_f64 v[89:90], v[89:90], v[99:100]
	v_add_f64 v[1:2], v[1:2], -v[93:94]
	v_fma_f64 v[89:90], v[91:92], v[125:126], v[89:90]
	v_add_f64 v[3:4], v[3:4], -v[89:90]
	ds_read2_b64 v[89:92], v0 offset0:106 offset1:107
	s_waitcnt lgkmcnt(0)
	v_mul_f64 v[93:94], v[91:92], v[99:100]
	v_fma_f64 v[93:94], v[89:90], v[125:126], -v[93:94]
	v_mul_f64 v[89:90], v[89:90], v[99:100]
	buffer_store_dword v97, off, s[24:27], 0 offset:112 ; 4-byte Folded Spill
	s_nop 0
	buffer_store_dword v98, off, s[24:27], 0 offset:116 ; 4-byte Folded Spill
	buffer_store_dword v99, off, s[24:27], 0 offset:120 ; 4-byte Folded Spill
	;; [unrolled: 1-line block ×3, first 2 shown]
	v_add_f64 v[121:122], v[121:122], -v[93:94]
	v_fma_f64 v[89:90], v[91:92], v[125:126], v[89:90]
	v_add_f64 v[123:124], v[123:124], -v[89:90]
.LBB106_482:
	s_or_b64 exec, exec, s[0:1]
	s_waitcnt vmcnt(0)
	s_barrier
	buffer_load_dword v53, off, s[24:27], 0 offset:96 ; 4-byte Folded Reload
	buffer_load_dword v54, off, s[24:27], 0 offset:100 ; 4-byte Folded Reload
	;; [unrolled: 1-line block ×4, first 2 shown]
	v_lshl_add_u32 v89, v96, 4, v0
	s_cmp_lt_i32 s3, 25
	s_waitcnt vmcnt(0)
	ds_write2_b64 v89, v[53:54], v[55:56] offset1:1
	s_waitcnt lgkmcnt(0)
	s_barrier
	ds_read2_b64 v[117:120], v0 offset0:46 offset1:47
	v_mov_b32_e32 v89, 23
	s_cbranch_scc1 .LBB106_485
; %bb.483:
	v_add_u32_e32 v90, 0x180, v0
	s_mov_b32 s0, 24
	v_mov_b32_e32 v89, 23
.LBB106_484:                            ; =>This Inner Loop Header: Depth=1
	s_waitcnt lgkmcnt(0)
	v_cmp_gt_f64_e32 vcc, 0, v[117:118]
	v_xor_b32_e32 v97, 0x80000000, v118
	ds_read2_b64 v[91:94], v90 offset1:1
	v_xor_b32_e32 v99, 0x80000000, v120
	v_add_u32_e32 v90, 16, v90
	s_waitcnt lgkmcnt(0)
	v_xor_b32_e32 v101, 0x80000000, v94
	v_cndmask_b32_e32 v98, v118, v97, vcc
	v_cmp_gt_f64_e32 vcc, 0, v[119:120]
	v_mov_b32_e32 v97, v117
	v_cndmask_b32_e32 v100, v120, v99, vcc
	v_cmp_gt_f64_e32 vcc, 0, v[91:92]
	v_mov_b32_e32 v99, v119
	v_add_f64 v[97:98], v[97:98], v[99:100]
	v_xor_b32_e32 v99, 0x80000000, v92
	v_cndmask_b32_e32 v100, v92, v99, vcc
	v_cmp_gt_f64_e32 vcc, 0, v[93:94]
	v_mov_b32_e32 v99, v91
	v_cndmask_b32_e32 v102, v94, v101, vcc
	v_mov_b32_e32 v101, v93
	v_add_f64 v[99:100], v[99:100], v[101:102]
	v_cmp_lt_f64_e32 vcc, v[97:98], v[99:100]
	v_cndmask_b32_e32 v117, v117, v91, vcc
	v_mov_b32_e32 v91, s0
	s_add_i32 s0, s0, 1
	v_cndmask_b32_e32 v118, v118, v92, vcc
	v_cndmask_b32_e32 v120, v120, v94, vcc
	v_cndmask_b32_e32 v119, v119, v93, vcc
	v_cndmask_b32_e32 v89, v89, v91, vcc
	s_cmp_lg_u32 s3, s0
	s_cbranch_scc1 .LBB106_484
.LBB106_485:
	s_waitcnt lgkmcnt(0)
	v_cmp_eq_f64_e32 vcc, 0, v[117:118]
	v_cmp_eq_f64_e64 s[0:1], 0, v[119:120]
	s_and_b64 s[0:1], vcc, s[0:1]
	s_and_saveexec_b64 s[18:19], s[0:1]
	s_xor_b64 s[0:1], exec, s[18:19]
; %bb.486:
	v_cmp_ne_u32_e32 vcc, 0, v95
	v_cndmask_b32_e32 v95, 24, v95, vcc
; %bb.487:
	s_andn2_saveexec_b64 s[0:1], s[0:1]
	s_cbranch_execz .LBB106_493
; %bb.488:
	v_cmp_ngt_f64_e64 s[18:19], |v[117:118]|, |v[119:120]|
	s_and_saveexec_b64 s[20:21], s[18:19]
	s_xor_b64 s[18:19], exec, s[20:21]
	s_cbranch_execz .LBB106_490
; %bb.489:
	v_div_scale_f64 v[90:91], s[20:21], v[119:120], v[119:120], v[117:118]
	v_rcp_f64_e32 v[92:93], v[90:91]
	v_fma_f64 v[97:98], -v[90:91], v[92:93], 1.0
	v_fma_f64 v[92:93], v[92:93], v[97:98], v[92:93]
	v_div_scale_f64 v[97:98], vcc, v[117:118], v[119:120], v[117:118]
	v_fma_f64 v[99:100], -v[90:91], v[92:93], 1.0
	v_fma_f64 v[92:93], v[92:93], v[99:100], v[92:93]
	v_mul_f64 v[99:100], v[97:98], v[92:93]
	v_fma_f64 v[90:91], -v[90:91], v[99:100], v[97:98]
	v_div_fmas_f64 v[90:91], v[90:91], v[92:93], v[99:100]
	v_div_fixup_f64 v[90:91], v[90:91], v[119:120], v[117:118]
	v_fma_f64 v[92:93], v[117:118], v[90:91], v[119:120]
	v_div_scale_f64 v[97:98], s[20:21], v[92:93], v[92:93], 1.0
	v_div_scale_f64 v[103:104], vcc, 1.0, v[92:93], 1.0
	v_rcp_f64_e32 v[99:100], v[97:98]
	v_fma_f64 v[101:102], -v[97:98], v[99:100], 1.0
	v_fma_f64 v[99:100], v[99:100], v[101:102], v[99:100]
	v_fma_f64 v[101:102], -v[97:98], v[99:100], 1.0
	v_fma_f64 v[99:100], v[99:100], v[101:102], v[99:100]
	v_mul_f64 v[101:102], v[103:104], v[99:100]
	v_fma_f64 v[97:98], -v[97:98], v[101:102], v[103:104]
	v_div_fmas_f64 v[97:98], v[97:98], v[99:100], v[101:102]
	v_div_fixup_f64 v[119:120], v[97:98], v[92:93], 1.0
	v_mul_f64 v[117:118], v[90:91], v[119:120]
	v_xor_b32_e32 v120, 0x80000000, v120
.LBB106_490:
	s_andn2_saveexec_b64 s[18:19], s[18:19]
	s_cbranch_execz .LBB106_492
; %bb.491:
	v_div_scale_f64 v[90:91], s[20:21], v[117:118], v[117:118], v[119:120]
	v_rcp_f64_e32 v[92:93], v[90:91]
	v_fma_f64 v[97:98], -v[90:91], v[92:93], 1.0
	v_fma_f64 v[92:93], v[92:93], v[97:98], v[92:93]
	v_div_scale_f64 v[97:98], vcc, v[119:120], v[117:118], v[119:120]
	v_fma_f64 v[99:100], -v[90:91], v[92:93], 1.0
	v_fma_f64 v[92:93], v[92:93], v[99:100], v[92:93]
	v_mul_f64 v[99:100], v[97:98], v[92:93]
	v_fma_f64 v[90:91], -v[90:91], v[99:100], v[97:98]
	v_div_fmas_f64 v[90:91], v[90:91], v[92:93], v[99:100]
	v_div_fixup_f64 v[90:91], v[90:91], v[117:118], v[119:120]
	v_fma_f64 v[92:93], v[119:120], v[90:91], v[117:118]
	v_div_scale_f64 v[97:98], s[20:21], v[92:93], v[92:93], 1.0
	v_div_scale_f64 v[103:104], vcc, 1.0, v[92:93], 1.0
	v_rcp_f64_e32 v[99:100], v[97:98]
	v_fma_f64 v[101:102], -v[97:98], v[99:100], 1.0
	v_fma_f64 v[99:100], v[99:100], v[101:102], v[99:100]
	v_fma_f64 v[101:102], -v[97:98], v[99:100], 1.0
	v_fma_f64 v[99:100], v[99:100], v[101:102], v[99:100]
	v_mul_f64 v[101:102], v[103:104], v[99:100]
	v_fma_f64 v[97:98], -v[97:98], v[101:102], v[103:104]
	v_div_fmas_f64 v[97:98], v[97:98], v[99:100], v[101:102]
	v_div_fixup_f64 v[117:118], v[97:98], v[92:93], 1.0
	v_mul_f64 v[119:120], v[90:91], -v[117:118]
.LBB106_492:
	s_or_b64 exec, exec, s[18:19]
.LBB106_493:
	s_or_b64 exec, exec, s[0:1]
	v_cmp_ne_u32_e32 vcc, v96, v89
	s_and_saveexec_b64 s[0:1], vcc
	s_xor_b64 s[0:1], exec, s[0:1]
	s_cbranch_execz .LBB106_499
; %bb.494:
	v_cmp_eq_u32_e32 vcc, 23, v96
	s_and_saveexec_b64 s[18:19], vcc
	s_cbranch_execz .LBB106_498
; %bb.495:
	v_cmp_ne_u32_e32 vcc, 23, v89
	s_xor_b64 s[20:21], s[6:7], -1
	s_and_b64 s[22:23], s[20:21], vcc
	s_and_saveexec_b64 s[20:21], s[22:23]
	s_cbranch_execz .LBB106_497
; %bb.496:
	v_mov_b32_e32 v53, v81
	v_mov_b32_e32 v54, v82
	;; [unrolled: 1-line block ×4, first 2 shown]
	buffer_load_dword v81, off, s[24:27], 0 offset:436 ; 4-byte Folded Reload
	buffer_load_dword v82, off, s[24:27], 0 offset:440 ; 4-byte Folded Reload
	v_ashrrev_i32_e32 v90, 31, v89
	v_lshlrev_b64 v[90:91], 2, v[89:90]
	s_waitcnt vmcnt(1)
	v_add_co_u32_e32 v90, vcc, v81, v90
	s_waitcnt vmcnt(0)
	v_addc_co_u32_e32 v91, vcc, v82, v91, vcc
	global_load_dword v92, v[90:91], off
	global_load_dword v93, v[81:82], off offset:92
	s_waitcnt vmcnt(1)
	global_store_dword v[81:82], v92, off offset:92
	v_mov_b32_e32 v84, v56
	v_mov_b32_e32 v83, v55
	;; [unrolled: 1-line block ×4, first 2 shown]
	s_waitcnt vmcnt(1)
	global_store_dword v[90:91], v93, off
.LBB106_497:
	s_or_b64 exec, exec, s[20:21]
	v_mov_b32_e32 v96, v89
	v_mov_b32_e32 v53, v89
	buffer_store_dword v53, off, s[24:27], 0 offset:352 ; 4-byte Folded Spill
.LBB106_498:
	s_or_b64 exec, exec, s[18:19]
.LBB106_499:
	s_andn2_saveexec_b64 s[0:1], s[0:1]
	s_cbranch_execz .LBB106_501
; %bb.500:
	buffer_load_dword v53, off, s[24:27], 0 offset:80 ; 4-byte Folded Reload
	buffer_load_dword v54, off, s[24:27], 0 offset:84 ; 4-byte Folded Reload
	;; [unrolled: 1-line block ×4, first 2 shown]
	v_mov_b32_e32 v96, 23
	s_waitcnt vmcnt(0)
	ds_write2_b64 v0, v[53:54], v[55:56] offset0:48 offset1:49
	buffer_load_dword v53, off, s[24:27], 0 offset:64 ; 4-byte Folded Reload
	buffer_load_dword v54, off, s[24:27], 0 offset:68 ; 4-byte Folded Reload
	buffer_load_dword v55, off, s[24:27], 0 offset:72 ; 4-byte Folded Reload
	buffer_load_dword v56, off, s[24:27], 0 offset:76 ; 4-byte Folded Reload
	s_waitcnt vmcnt(0)
	ds_write2_b64 v0, v[53:54], v[55:56] offset0:50 offset1:51
	buffer_load_dword v53, off, s[24:27], 0 offset:48 ; 4-byte Folded Reload
	buffer_load_dword v54, off, s[24:27], 0 offset:52 ; 4-byte Folded Reload
	buffer_load_dword v55, off, s[24:27], 0 offset:56 ; 4-byte Folded Reload
	buffer_load_dword v56, off, s[24:27], 0 offset:60 ; 4-byte Folded Reload
	;; [unrolled: 6-line block ×4, first 2 shown]
	s_waitcnt vmcnt(0)
	ds_write2_b64 v0, v[53:54], v[55:56] offset0:56 offset1:57
	ds_write2_b64 v0, v[81:82], v[83:84] offset0:58 offset1:59
	;; [unrolled: 1-line block ×11, first 2 shown]
	buffer_load_dword v53, off, s[24:27], 0 ; 4-byte Folded Reload
	buffer_load_dword v54, off, s[24:27], 0 offset:4 ; 4-byte Folded Reload
	buffer_load_dword v55, off, s[24:27], 0 offset:8 ; 4-byte Folded Reload
	;; [unrolled: 1-line block ×3, first 2 shown]
	s_waitcnt vmcnt(0)
	ds_write2_b64 v0, v[53:54], v[55:56] offset0:78 offset1:79
	ds_write2_b64 v0, v[49:50], v[51:52] offset0:80 offset1:81
	ds_write2_b64 v0, v[45:46], v[47:48] offset0:82 offset1:83
	ds_write2_b64 v0, v[41:42], v[43:44] offset0:84 offset1:85
	ds_write2_b64 v0, v[37:38], v[39:40] offset0:86 offset1:87
	ds_write2_b64 v0, v[33:34], v[35:36] offset0:88 offset1:89
	ds_write2_b64 v0, v[29:30], v[31:32] offset0:90 offset1:91
	ds_write2_b64 v0, v[25:26], v[27:28] offset0:92 offset1:93
	ds_write2_b64 v0, v[21:22], v[23:24] offset0:94 offset1:95
	ds_write2_b64 v0, v[17:18], v[19:20] offset0:96 offset1:97
	ds_write2_b64 v0, v[13:14], v[15:16] offset0:98 offset1:99
	ds_write2_b64 v0, v[9:10], v[11:12] offset0:100 offset1:101
	ds_write2_b64 v0, v[5:6], v[7:8] offset0:102 offset1:103
	ds_write2_b64 v0, v[1:2], v[3:4] offset0:104 offset1:105
	ds_write2_b64 v0, v[121:122], v[123:124] offset0:106 offset1:107
.LBB106_501:
	s_or_b64 exec, exec, s[0:1]
	v_cmp_lt_i32_e32 vcc, 23, v96
	s_waitcnt vmcnt(0) lgkmcnt(0)
	s_barrier
	s_and_saveexec_b64 s[0:1], vcc
	s_cbranch_execz .LBB106_503
; %bb.502:
	buffer_load_dword v101, off, s[24:27], 0 offset:96 ; 4-byte Folded Reload
	buffer_load_dword v102, off, s[24:27], 0 offset:100 ; 4-byte Folded Reload
	;; [unrolled: 1-line block ×4, first 2 shown]
	v_mov_b32_e32 v100, v84
	v_mov_b32_e32 v99, v83
	;; [unrolled: 1-line block ×8, first 2 shown]
	s_waitcnt vmcnt(0)
	v_mul_f64 v[89:90], v[119:120], v[103:104]
	v_fma_f64 v[113:114], v[117:118], v[101:102], -v[89:90]
	v_mul_f64 v[89:90], v[117:118], v[103:104]
	v_fma_f64 v[103:104], v[119:120], v[101:102], v[89:90]
	ds_read2_b64 v[89:92], v0 offset0:48 offset1:49
	buffer_load_dword v53, off, s[24:27], 0 offset:80 ; 4-byte Folded Reload
	buffer_load_dword v54, off, s[24:27], 0 offset:84 ; 4-byte Folded Reload
	buffer_load_dword v55, off, s[24:27], 0 offset:88 ; 4-byte Folded Reload
	buffer_load_dword v56, off, s[24:27], 0 offset:92 ; 4-byte Folded Reload
	v_mov_b32_e32 v101, v113
	v_mov_b32_e32 v102, v114
	s_waitcnt lgkmcnt(0)
	v_mul_f64 v[93:94], v[91:92], v[103:104]
	v_fma_f64 v[93:94], v[89:90], v[113:114], -v[93:94]
	v_mul_f64 v[89:90], v[89:90], v[103:104]
	v_fma_f64 v[89:90], v[91:92], v[113:114], v[89:90]
	s_waitcnt vmcnt(2)
	v_add_f64 v[53:54], v[53:54], -v[93:94]
	s_waitcnt vmcnt(0)
	v_add_f64 v[55:56], v[55:56], -v[89:90]
	buffer_store_dword v53, off, s[24:27], 0 offset:80 ; 4-byte Folded Spill
	s_nop 0
	buffer_store_dword v54, off, s[24:27], 0 offset:84 ; 4-byte Folded Spill
	buffer_store_dword v55, off, s[24:27], 0 offset:88 ; 4-byte Folded Spill
	buffer_store_dword v56, off, s[24:27], 0 offset:92 ; 4-byte Folded Spill
	ds_read2_b64 v[89:92], v0 offset0:50 offset1:51
	buffer_load_dword v53, off, s[24:27], 0 offset:64 ; 4-byte Folded Reload
	buffer_load_dword v54, off, s[24:27], 0 offset:68 ; 4-byte Folded Reload
	buffer_load_dword v55, off, s[24:27], 0 offset:72 ; 4-byte Folded Reload
	buffer_load_dword v56, off, s[24:27], 0 offset:76 ; 4-byte Folded Reload
	s_waitcnt lgkmcnt(0)
	v_mul_f64 v[93:94], v[91:92], v[103:104]
	v_fma_f64 v[93:94], v[89:90], v[113:114], -v[93:94]
	v_mul_f64 v[89:90], v[89:90], v[103:104]
	v_fma_f64 v[89:90], v[91:92], v[113:114], v[89:90]
	s_waitcnt vmcnt(2)
	v_add_f64 v[53:54], v[53:54], -v[93:94]
	s_waitcnt vmcnt(0)
	v_add_f64 v[55:56], v[55:56], -v[89:90]
	buffer_store_dword v53, off, s[24:27], 0 offset:64 ; 4-byte Folded Spill
	s_nop 0
	buffer_store_dword v54, off, s[24:27], 0 offset:68 ; 4-byte Folded Spill
	buffer_store_dword v55, off, s[24:27], 0 offset:72 ; 4-byte Folded Spill
	buffer_store_dword v56, off, s[24:27], 0 offset:76 ; 4-byte Folded Spill
	ds_read2_b64 v[89:92], v0 offset0:52 offset1:53
	buffer_load_dword v53, off, s[24:27], 0 offset:48 ; 4-byte Folded Reload
	buffer_load_dword v54, off, s[24:27], 0 offset:52 ; 4-byte Folded Reload
	buffer_load_dword v55, off, s[24:27], 0 offset:56 ; 4-byte Folded Reload
	buffer_load_dword v56, off, s[24:27], 0 offset:60 ; 4-byte Folded Reload
	;; [unrolled: 19-line block ×4, first 2 shown]
	s_waitcnt lgkmcnt(0)
	v_mul_f64 v[93:94], v[91:92], v[103:104]
	v_fma_f64 v[93:94], v[89:90], v[113:114], -v[93:94]
	v_mul_f64 v[89:90], v[89:90], v[103:104]
	v_fma_f64 v[89:90], v[91:92], v[113:114], v[89:90]
	s_waitcnt vmcnt(2)
	v_add_f64 v[53:54], v[53:54], -v[93:94]
	s_waitcnt vmcnt(0)
	v_add_f64 v[55:56], v[55:56], -v[89:90]
	buffer_store_dword v53, off, s[24:27], 0 offset:16 ; 4-byte Folded Spill
	s_nop 0
	buffer_store_dword v54, off, s[24:27], 0 offset:20 ; 4-byte Folded Spill
	buffer_store_dword v55, off, s[24:27], 0 offset:24 ; 4-byte Folded Spill
	;; [unrolled: 1-line block ×3, first 2 shown]
	ds_read2_b64 v[89:92], v0 offset0:58 offset1:59
	s_waitcnt lgkmcnt(0)
	v_mul_f64 v[93:94], v[91:92], v[103:104]
	v_fma_f64 v[93:94], v[89:90], v[113:114], -v[93:94]
	v_mul_f64 v[89:90], v[89:90], v[103:104]
	v_add_f64 v[97:98], v[97:98], -v[93:94]
	v_fma_f64 v[89:90], v[91:92], v[113:114], v[89:90]
	v_add_f64 v[99:100], v[99:100], -v[89:90]
	ds_read2_b64 v[89:92], v0 offset0:60 offset1:61
	s_waitcnt lgkmcnt(0)
	v_mul_f64 v[93:94], v[91:92], v[103:104]
	v_fma_f64 v[93:94], v[89:90], v[113:114], -v[93:94]
	v_mul_f64 v[89:90], v[89:90], v[103:104]
	v_add_f64 v[85:86], v[85:86], -v[93:94]
	v_fma_f64 v[89:90], v[91:92], v[113:114], v[89:90]
	v_add_f64 v[87:88], v[87:88], -v[89:90]
	;; [unrolled: 8-line block ×10, first 2 shown]
	ds_read2_b64 v[89:92], v0 offset0:78 offset1:79
	buffer_load_dword v53, off, s[24:27], 0 ; 4-byte Folded Reload
	buffer_load_dword v54, off, s[24:27], 0 offset:4 ; 4-byte Folded Reload
	buffer_load_dword v55, off, s[24:27], 0 offset:8 ; 4-byte Folded Reload
	buffer_load_dword v56, off, s[24:27], 0 offset:12 ; 4-byte Folded Reload
	s_waitcnt lgkmcnt(0)
	v_mul_f64 v[93:94], v[91:92], v[103:104]
	v_fma_f64 v[93:94], v[89:90], v[113:114], -v[93:94]
	v_mul_f64 v[89:90], v[89:90], v[103:104]
	v_fma_f64 v[89:90], v[91:92], v[113:114], v[89:90]
	s_waitcnt vmcnt(2)
	v_add_f64 v[53:54], v[53:54], -v[93:94]
	s_waitcnt vmcnt(0)
	v_add_f64 v[55:56], v[55:56], -v[89:90]
	buffer_store_dword v53, off, s[24:27], 0 ; 4-byte Folded Spill
	s_nop 0
	buffer_store_dword v54, off, s[24:27], 0 offset:4 ; 4-byte Folded Spill
	buffer_store_dword v55, off, s[24:27], 0 offset:8 ; 4-byte Folded Spill
	;; [unrolled: 1-line block ×3, first 2 shown]
	ds_read2_b64 v[89:92], v0 offset0:80 offset1:81
	s_waitcnt lgkmcnt(0)
	v_mul_f64 v[93:94], v[91:92], v[103:104]
	v_fma_f64 v[93:94], v[89:90], v[113:114], -v[93:94]
	v_mul_f64 v[89:90], v[89:90], v[103:104]
	v_add_f64 v[49:50], v[49:50], -v[93:94]
	v_fma_f64 v[89:90], v[91:92], v[113:114], v[89:90]
	v_add_f64 v[51:52], v[51:52], -v[89:90]
	ds_read2_b64 v[89:92], v0 offset0:82 offset1:83
	s_waitcnt lgkmcnt(0)
	v_mul_f64 v[93:94], v[91:92], v[103:104]
	v_fma_f64 v[93:94], v[89:90], v[113:114], -v[93:94]
	v_mul_f64 v[89:90], v[89:90], v[103:104]
	v_add_f64 v[45:46], v[45:46], -v[93:94]
	v_fma_f64 v[89:90], v[91:92], v[113:114], v[89:90]
	v_add_f64 v[47:48], v[47:48], -v[89:90]
	;; [unrolled: 8-line block ×13, first 2 shown]
	ds_read2_b64 v[89:92], v0 offset0:106 offset1:107
	s_waitcnt lgkmcnt(0)
	v_mul_f64 v[93:94], v[91:92], v[103:104]
	v_fma_f64 v[93:94], v[89:90], v[113:114], -v[93:94]
	v_mul_f64 v[89:90], v[89:90], v[103:104]
	buffer_store_dword v101, off, s[24:27], 0 offset:96 ; 4-byte Folded Spill
	s_nop 0
	buffer_store_dword v102, off, s[24:27], 0 offset:100 ; 4-byte Folded Spill
	buffer_store_dword v103, off, s[24:27], 0 offset:104 ; 4-byte Folded Spill
	;; [unrolled: 1-line block ×3, first 2 shown]
	v_add_f64 v[121:122], v[121:122], -v[93:94]
	v_fma_f64 v[89:90], v[91:92], v[113:114], v[89:90]
	v_mov_b32_e32 v116, v84
	v_mov_b32_e32 v115, v83
	v_mov_b32_e32 v114, v82
	v_mov_b32_e32 v113, v81
	v_mov_b32_e32 v81, v97
	v_mov_b32_e32 v82, v98
	v_mov_b32_e32 v83, v99
	v_add_f64 v[123:124], v[123:124], -v[89:90]
	v_mov_b32_e32 v84, v100
.LBB106_503:
	s_or_b64 exec, exec, s[0:1]
	s_waitcnt vmcnt(0)
	s_barrier
	buffer_load_dword v53, off, s[24:27], 0 offset:80 ; 4-byte Folded Reload
	buffer_load_dword v54, off, s[24:27], 0 offset:84 ; 4-byte Folded Reload
	;; [unrolled: 1-line block ×4, first 2 shown]
	v_lshl_add_u32 v89, v96, 4, v0
	s_cmp_lt_i32 s3, 26
	s_waitcnt vmcnt(0)
	ds_write2_b64 v89, v[53:54], v[55:56] offset1:1
	s_waitcnt lgkmcnt(0)
	s_barrier
	ds_read2_b64 v[117:120], v0 offset0:48 offset1:49
	v_mov_b32_e32 v89, 24
	s_cbranch_scc1 .LBB106_506
; %bb.504:
	v_add_u32_e32 v90, 0x190, v0
	s_mov_b32 s0, 25
	v_mov_b32_e32 v89, 24
.LBB106_505:                            ; =>This Inner Loop Header: Depth=1
	s_waitcnt lgkmcnt(0)
	v_cmp_gt_f64_e32 vcc, 0, v[117:118]
	v_xor_b32_e32 v97, 0x80000000, v118
	ds_read2_b64 v[91:94], v90 offset1:1
	v_xor_b32_e32 v99, 0x80000000, v120
	v_add_u32_e32 v90, 16, v90
	s_waitcnt lgkmcnt(0)
	v_xor_b32_e32 v101, 0x80000000, v94
	v_cndmask_b32_e32 v98, v118, v97, vcc
	v_cmp_gt_f64_e32 vcc, 0, v[119:120]
	v_mov_b32_e32 v97, v117
	v_cndmask_b32_e32 v100, v120, v99, vcc
	v_cmp_gt_f64_e32 vcc, 0, v[91:92]
	v_mov_b32_e32 v99, v119
	v_add_f64 v[97:98], v[97:98], v[99:100]
	v_xor_b32_e32 v99, 0x80000000, v92
	v_cndmask_b32_e32 v100, v92, v99, vcc
	v_cmp_gt_f64_e32 vcc, 0, v[93:94]
	v_mov_b32_e32 v99, v91
	v_cndmask_b32_e32 v102, v94, v101, vcc
	v_mov_b32_e32 v101, v93
	v_add_f64 v[99:100], v[99:100], v[101:102]
	v_cmp_lt_f64_e32 vcc, v[97:98], v[99:100]
	v_cndmask_b32_e32 v117, v117, v91, vcc
	v_mov_b32_e32 v91, s0
	s_add_i32 s0, s0, 1
	v_cndmask_b32_e32 v118, v118, v92, vcc
	v_cndmask_b32_e32 v120, v120, v94, vcc
	;; [unrolled: 1-line block ×4, first 2 shown]
	s_cmp_lg_u32 s3, s0
	s_cbranch_scc1 .LBB106_505
.LBB106_506:
	s_waitcnt lgkmcnt(0)
	v_cmp_eq_f64_e32 vcc, 0, v[117:118]
	v_cmp_eq_f64_e64 s[0:1], 0, v[119:120]
	s_and_b64 s[0:1], vcc, s[0:1]
	s_and_saveexec_b64 s[18:19], s[0:1]
	s_xor_b64 s[0:1], exec, s[18:19]
; %bb.507:
	v_cmp_ne_u32_e32 vcc, 0, v95
	v_cndmask_b32_e32 v95, 25, v95, vcc
; %bb.508:
	s_andn2_saveexec_b64 s[0:1], s[0:1]
	s_cbranch_execz .LBB106_514
; %bb.509:
	v_cmp_ngt_f64_e64 s[18:19], |v[117:118]|, |v[119:120]|
	s_and_saveexec_b64 s[20:21], s[18:19]
	s_xor_b64 s[18:19], exec, s[20:21]
	s_cbranch_execz .LBB106_511
; %bb.510:
	v_div_scale_f64 v[90:91], s[20:21], v[119:120], v[119:120], v[117:118]
	v_rcp_f64_e32 v[92:93], v[90:91]
	v_fma_f64 v[97:98], -v[90:91], v[92:93], 1.0
	v_fma_f64 v[92:93], v[92:93], v[97:98], v[92:93]
	v_div_scale_f64 v[97:98], vcc, v[117:118], v[119:120], v[117:118]
	v_fma_f64 v[99:100], -v[90:91], v[92:93], 1.0
	v_fma_f64 v[92:93], v[92:93], v[99:100], v[92:93]
	v_mul_f64 v[99:100], v[97:98], v[92:93]
	v_fma_f64 v[90:91], -v[90:91], v[99:100], v[97:98]
	v_div_fmas_f64 v[90:91], v[90:91], v[92:93], v[99:100]
	v_div_fixup_f64 v[90:91], v[90:91], v[119:120], v[117:118]
	v_fma_f64 v[92:93], v[117:118], v[90:91], v[119:120]
	v_div_scale_f64 v[97:98], s[20:21], v[92:93], v[92:93], 1.0
	v_div_scale_f64 v[103:104], vcc, 1.0, v[92:93], 1.0
	v_rcp_f64_e32 v[99:100], v[97:98]
	v_fma_f64 v[101:102], -v[97:98], v[99:100], 1.0
	v_fma_f64 v[99:100], v[99:100], v[101:102], v[99:100]
	v_fma_f64 v[101:102], -v[97:98], v[99:100], 1.0
	v_fma_f64 v[99:100], v[99:100], v[101:102], v[99:100]
	v_mul_f64 v[101:102], v[103:104], v[99:100]
	v_fma_f64 v[97:98], -v[97:98], v[101:102], v[103:104]
	v_div_fmas_f64 v[97:98], v[97:98], v[99:100], v[101:102]
	v_div_fixup_f64 v[119:120], v[97:98], v[92:93], 1.0
	v_mul_f64 v[117:118], v[90:91], v[119:120]
	v_xor_b32_e32 v120, 0x80000000, v120
.LBB106_511:
	s_andn2_saveexec_b64 s[18:19], s[18:19]
	s_cbranch_execz .LBB106_513
; %bb.512:
	v_div_scale_f64 v[90:91], s[20:21], v[117:118], v[117:118], v[119:120]
	v_rcp_f64_e32 v[92:93], v[90:91]
	v_fma_f64 v[97:98], -v[90:91], v[92:93], 1.0
	v_fma_f64 v[92:93], v[92:93], v[97:98], v[92:93]
	v_div_scale_f64 v[97:98], vcc, v[119:120], v[117:118], v[119:120]
	v_fma_f64 v[99:100], -v[90:91], v[92:93], 1.0
	v_fma_f64 v[92:93], v[92:93], v[99:100], v[92:93]
	v_mul_f64 v[99:100], v[97:98], v[92:93]
	v_fma_f64 v[90:91], -v[90:91], v[99:100], v[97:98]
	v_div_fmas_f64 v[90:91], v[90:91], v[92:93], v[99:100]
	v_div_fixup_f64 v[90:91], v[90:91], v[117:118], v[119:120]
	v_fma_f64 v[92:93], v[119:120], v[90:91], v[117:118]
	v_div_scale_f64 v[97:98], s[20:21], v[92:93], v[92:93], 1.0
	v_div_scale_f64 v[103:104], vcc, 1.0, v[92:93], 1.0
	v_rcp_f64_e32 v[99:100], v[97:98]
	v_fma_f64 v[101:102], -v[97:98], v[99:100], 1.0
	v_fma_f64 v[99:100], v[99:100], v[101:102], v[99:100]
	v_fma_f64 v[101:102], -v[97:98], v[99:100], 1.0
	v_fma_f64 v[99:100], v[99:100], v[101:102], v[99:100]
	v_mul_f64 v[101:102], v[103:104], v[99:100]
	v_fma_f64 v[97:98], -v[97:98], v[101:102], v[103:104]
	v_div_fmas_f64 v[97:98], v[97:98], v[99:100], v[101:102]
	v_div_fixup_f64 v[117:118], v[97:98], v[92:93], 1.0
	v_mul_f64 v[119:120], v[90:91], -v[117:118]
.LBB106_513:
	s_or_b64 exec, exec, s[18:19]
.LBB106_514:
	s_or_b64 exec, exec, s[0:1]
	v_cmp_ne_u32_e32 vcc, v96, v89
	s_and_saveexec_b64 s[0:1], vcc
	s_xor_b64 s[0:1], exec, s[0:1]
	s_cbranch_execz .LBB106_520
; %bb.515:
	v_cmp_eq_u32_e32 vcc, 24, v96
	s_and_saveexec_b64 s[18:19], vcc
	s_cbranch_execz .LBB106_519
; %bb.516:
	v_cmp_ne_u32_e32 vcc, 24, v89
	s_xor_b64 s[20:21], s[6:7], -1
	s_and_b64 s[22:23], s[20:21], vcc
	s_and_saveexec_b64 s[20:21], s[22:23]
	s_cbranch_execz .LBB106_518
; %bb.517:
	v_mov_b32_e32 v53, v81
	v_mov_b32_e32 v54, v82
	;; [unrolled: 1-line block ×4, first 2 shown]
	buffer_load_dword v81, off, s[24:27], 0 offset:436 ; 4-byte Folded Reload
	buffer_load_dword v82, off, s[24:27], 0 offset:440 ; 4-byte Folded Reload
	v_ashrrev_i32_e32 v90, 31, v89
	v_lshlrev_b64 v[90:91], 2, v[89:90]
	s_waitcnt vmcnt(1)
	v_add_co_u32_e32 v90, vcc, v81, v90
	s_waitcnt vmcnt(0)
	v_addc_co_u32_e32 v91, vcc, v82, v91, vcc
	global_load_dword v92, v[90:91], off
	global_load_dword v93, v[81:82], off offset:96
	s_waitcnt vmcnt(1)
	global_store_dword v[81:82], v92, off offset:96
	v_mov_b32_e32 v84, v56
	v_mov_b32_e32 v83, v55
	;; [unrolled: 1-line block ×4, first 2 shown]
	s_waitcnt vmcnt(1)
	global_store_dword v[90:91], v93, off
.LBB106_518:
	s_or_b64 exec, exec, s[20:21]
	v_mov_b32_e32 v96, v89
	v_mov_b32_e32 v53, v89
	buffer_store_dword v53, off, s[24:27], 0 offset:352 ; 4-byte Folded Spill
.LBB106_519:
	s_or_b64 exec, exec, s[18:19]
.LBB106_520:
	s_andn2_saveexec_b64 s[0:1], s[0:1]
	s_cbranch_execz .LBB106_522
; %bb.521:
	buffer_load_dword v53, off, s[24:27], 0 offset:64 ; 4-byte Folded Reload
	buffer_load_dword v54, off, s[24:27], 0 offset:68 ; 4-byte Folded Reload
	;; [unrolled: 1-line block ×4, first 2 shown]
	v_mov_b32_e32 v96, 24
	s_waitcnt vmcnt(0)
	ds_write2_b64 v0, v[53:54], v[55:56] offset0:50 offset1:51
	buffer_load_dword v53, off, s[24:27], 0 offset:48 ; 4-byte Folded Reload
	buffer_load_dword v54, off, s[24:27], 0 offset:52 ; 4-byte Folded Reload
	buffer_load_dword v55, off, s[24:27], 0 offset:56 ; 4-byte Folded Reload
	buffer_load_dword v56, off, s[24:27], 0 offset:60 ; 4-byte Folded Reload
	s_waitcnt vmcnt(0)
	ds_write2_b64 v0, v[53:54], v[55:56] offset0:52 offset1:53
	buffer_load_dword v53, off, s[24:27], 0 offset:32 ; 4-byte Folded Reload
	buffer_load_dword v54, off, s[24:27], 0 offset:36 ; 4-byte Folded Reload
	buffer_load_dword v55, off, s[24:27], 0 offset:40 ; 4-byte Folded Reload
	buffer_load_dword v56, off, s[24:27], 0 offset:44 ; 4-byte Folded Reload
	;; [unrolled: 6-line block ×3, first 2 shown]
	s_waitcnt vmcnt(0)
	ds_write2_b64 v0, v[53:54], v[55:56] offset0:56 offset1:57
	ds_write2_b64 v0, v[81:82], v[83:84] offset0:58 offset1:59
	;; [unrolled: 1-line block ×11, first 2 shown]
	buffer_load_dword v53, off, s[24:27], 0 ; 4-byte Folded Reload
	buffer_load_dword v54, off, s[24:27], 0 offset:4 ; 4-byte Folded Reload
	buffer_load_dword v55, off, s[24:27], 0 offset:8 ; 4-byte Folded Reload
	;; [unrolled: 1-line block ×3, first 2 shown]
	s_waitcnt vmcnt(0)
	ds_write2_b64 v0, v[53:54], v[55:56] offset0:78 offset1:79
	ds_write2_b64 v0, v[49:50], v[51:52] offset0:80 offset1:81
	;; [unrolled: 1-line block ×15, first 2 shown]
.LBB106_522:
	s_or_b64 exec, exec, s[0:1]
	v_cmp_lt_i32_e32 vcc, 24, v96
	s_waitcnt vmcnt(0) lgkmcnt(0)
	s_barrier
	s_and_saveexec_b64 s[0:1], vcc
	s_cbranch_execz .LBB106_524
; %bb.523:
	buffer_load_dword v97, off, s[24:27], 0 offset:80 ; 4-byte Folded Reload
	buffer_load_dword v98, off, s[24:27], 0 offset:84 ; 4-byte Folded Reload
	;; [unrolled: 1-line block ×4, first 2 shown]
	s_waitcnt vmcnt(0)
	v_mul_f64 v[89:90], v[119:120], v[99:100]
	v_fma_f64 v[93:94], v[117:118], v[97:98], -v[89:90]
	v_mul_f64 v[89:90], v[117:118], v[99:100]
	v_fma_f64 v[99:100], v[119:120], v[97:98], v[89:90]
	ds_read2_b64 v[89:92], v0 offset0:50 offset1:51
	buffer_load_dword v53, off, s[24:27], 0 offset:64 ; 4-byte Folded Reload
	buffer_load_dword v54, off, s[24:27], 0 offset:68 ; 4-byte Folded Reload
	buffer_load_dword v55, off, s[24:27], 0 offset:72 ; 4-byte Folded Reload
	buffer_load_dword v56, off, s[24:27], 0 offset:76 ; 4-byte Folded Reload
	s_waitcnt lgkmcnt(0)
	v_mul_f64 v[97:98], v[91:92], v[99:100]
	v_fma_f64 v[97:98], v[89:90], v[93:94], -v[97:98]
	v_mul_f64 v[89:90], v[89:90], v[99:100]
	v_fma_f64 v[89:90], v[91:92], v[93:94], v[89:90]
	s_waitcnt vmcnt(2)
	v_add_f64 v[53:54], v[53:54], -v[97:98]
	s_waitcnt vmcnt(0)
	v_add_f64 v[55:56], v[55:56], -v[89:90]
	buffer_store_dword v53, off, s[24:27], 0 offset:64 ; 4-byte Folded Spill
	s_nop 0
	buffer_store_dword v54, off, s[24:27], 0 offset:68 ; 4-byte Folded Spill
	buffer_store_dword v55, off, s[24:27], 0 offset:72 ; 4-byte Folded Spill
	buffer_store_dword v56, off, s[24:27], 0 offset:76 ; 4-byte Folded Spill
	ds_read2_b64 v[89:92], v0 offset0:52 offset1:53
	buffer_load_dword v53, off, s[24:27], 0 offset:48 ; 4-byte Folded Reload
	buffer_load_dword v54, off, s[24:27], 0 offset:52 ; 4-byte Folded Reload
	buffer_load_dword v55, off, s[24:27], 0 offset:56 ; 4-byte Folded Reload
	buffer_load_dword v56, off, s[24:27], 0 offset:60 ; 4-byte Folded Reload
	s_waitcnt lgkmcnt(0)
	v_mul_f64 v[97:98], v[91:92], v[99:100]
	v_fma_f64 v[97:98], v[89:90], v[93:94], -v[97:98]
	v_mul_f64 v[89:90], v[89:90], v[99:100]
	v_fma_f64 v[89:90], v[91:92], v[93:94], v[89:90]
	s_waitcnt vmcnt(2)
	v_add_f64 v[53:54], v[53:54], -v[97:98]
	s_waitcnt vmcnt(0)
	v_add_f64 v[55:56], v[55:56], -v[89:90]
	buffer_store_dword v53, off, s[24:27], 0 offset:48 ; 4-byte Folded Spill
	s_nop 0
	buffer_store_dword v54, off, s[24:27], 0 offset:52 ; 4-byte Folded Spill
	buffer_store_dword v55, off, s[24:27], 0 offset:56 ; 4-byte Folded Spill
	buffer_store_dword v56, off, s[24:27], 0 offset:60 ; 4-byte Folded Spill
	;; [unrolled: 19-line block ×4, first 2 shown]
	ds_read2_b64 v[89:92], v0 offset0:58 offset1:59
	s_waitcnt lgkmcnt(0)
	v_mul_f64 v[97:98], v[91:92], v[99:100]
	v_fma_f64 v[97:98], v[89:90], v[93:94], -v[97:98]
	v_mul_f64 v[89:90], v[89:90], v[99:100]
	v_add_f64 v[81:82], v[81:82], -v[97:98]
	v_fma_f64 v[89:90], v[91:92], v[93:94], v[89:90]
	v_add_f64 v[83:84], v[83:84], -v[89:90]
	ds_read2_b64 v[89:92], v0 offset0:60 offset1:61
	s_waitcnt lgkmcnt(0)
	v_mul_f64 v[97:98], v[91:92], v[99:100]
	v_fma_f64 v[97:98], v[89:90], v[93:94], -v[97:98]
	v_mul_f64 v[89:90], v[89:90], v[99:100]
	v_add_f64 v[85:86], v[85:86], -v[97:98]
	v_fma_f64 v[89:90], v[91:92], v[93:94], v[89:90]
	v_add_f64 v[87:88], v[87:88], -v[89:90]
	;; [unrolled: 8-line block ×10, first 2 shown]
	ds_read2_b64 v[89:92], v0 offset0:78 offset1:79
	buffer_load_dword v53, off, s[24:27], 0 ; 4-byte Folded Reload
	buffer_load_dword v54, off, s[24:27], 0 offset:4 ; 4-byte Folded Reload
	buffer_load_dword v55, off, s[24:27], 0 offset:8 ; 4-byte Folded Reload
	buffer_load_dword v56, off, s[24:27], 0 offset:12 ; 4-byte Folded Reload
	s_waitcnt lgkmcnt(0)
	v_mul_f64 v[97:98], v[91:92], v[99:100]
	v_fma_f64 v[97:98], v[89:90], v[93:94], -v[97:98]
	v_mul_f64 v[89:90], v[89:90], v[99:100]
	v_fma_f64 v[89:90], v[91:92], v[93:94], v[89:90]
	s_waitcnt vmcnt(2)
	v_add_f64 v[53:54], v[53:54], -v[97:98]
	s_waitcnt vmcnt(0)
	v_add_f64 v[55:56], v[55:56], -v[89:90]
	buffer_store_dword v53, off, s[24:27], 0 ; 4-byte Folded Spill
	s_nop 0
	buffer_store_dword v54, off, s[24:27], 0 offset:4 ; 4-byte Folded Spill
	buffer_store_dword v55, off, s[24:27], 0 offset:8 ; 4-byte Folded Spill
	;; [unrolled: 1-line block ×3, first 2 shown]
	ds_read2_b64 v[89:92], v0 offset0:80 offset1:81
	s_waitcnt lgkmcnt(0)
	v_mul_f64 v[97:98], v[91:92], v[99:100]
	v_fma_f64 v[97:98], v[89:90], v[93:94], -v[97:98]
	v_mul_f64 v[89:90], v[89:90], v[99:100]
	v_add_f64 v[49:50], v[49:50], -v[97:98]
	v_fma_f64 v[89:90], v[91:92], v[93:94], v[89:90]
	v_add_f64 v[51:52], v[51:52], -v[89:90]
	ds_read2_b64 v[89:92], v0 offset0:82 offset1:83
	s_waitcnt lgkmcnt(0)
	v_mul_f64 v[97:98], v[91:92], v[99:100]
	v_fma_f64 v[97:98], v[89:90], v[93:94], -v[97:98]
	v_mul_f64 v[89:90], v[89:90], v[99:100]
	v_add_f64 v[45:46], v[45:46], -v[97:98]
	v_fma_f64 v[89:90], v[91:92], v[93:94], v[89:90]
	v_add_f64 v[47:48], v[47:48], -v[89:90]
	;; [unrolled: 8-line block ×13, first 2 shown]
	ds_read2_b64 v[89:92], v0 offset0:106 offset1:107
	s_waitcnt lgkmcnt(0)
	v_mul_f64 v[97:98], v[91:92], v[99:100]
	v_fma_f64 v[97:98], v[89:90], v[93:94], -v[97:98]
	v_mul_f64 v[89:90], v[89:90], v[99:100]
	v_add_f64 v[121:122], v[121:122], -v[97:98]
	v_fma_f64 v[89:90], v[91:92], v[93:94], v[89:90]
	v_mov_b32_e32 v98, v94
	v_mov_b32_e32 v97, v93
	buffer_store_dword v97, off, s[24:27], 0 offset:80 ; 4-byte Folded Spill
	s_nop 0
	buffer_store_dword v98, off, s[24:27], 0 offset:84 ; 4-byte Folded Spill
	buffer_store_dword v99, off, s[24:27], 0 offset:88 ; 4-byte Folded Spill
	;; [unrolled: 1-line block ×3, first 2 shown]
	v_add_f64 v[123:124], v[123:124], -v[89:90]
.LBB106_524:
	s_or_b64 exec, exec, s[0:1]
	s_waitcnt vmcnt(0)
	s_barrier
	buffer_load_dword v53, off, s[24:27], 0 offset:64 ; 4-byte Folded Reload
	buffer_load_dword v54, off, s[24:27], 0 offset:68 ; 4-byte Folded Reload
	;; [unrolled: 1-line block ×4, first 2 shown]
	v_lshl_add_u32 v89, v96, 4, v0
	s_cmp_lt_i32 s3, 27
	s_waitcnt vmcnt(0)
	ds_write2_b64 v89, v[53:54], v[55:56] offset1:1
	s_waitcnt lgkmcnt(0)
	s_barrier
	ds_read2_b64 v[117:120], v0 offset0:50 offset1:51
	v_mov_b32_e32 v89, 25
	s_cbranch_scc1 .LBB106_527
; %bb.525:
	v_add_u32_e32 v90, 0x1a0, v0
	s_mov_b32 s0, 26
	v_mov_b32_e32 v89, 25
.LBB106_526:                            ; =>This Inner Loop Header: Depth=1
	s_waitcnt lgkmcnt(0)
	v_cmp_gt_f64_e32 vcc, 0, v[117:118]
	v_xor_b32_e32 v97, 0x80000000, v118
	ds_read2_b64 v[91:94], v90 offset1:1
	v_xor_b32_e32 v99, 0x80000000, v120
	v_add_u32_e32 v90, 16, v90
	s_waitcnt lgkmcnt(0)
	v_xor_b32_e32 v101, 0x80000000, v94
	v_cndmask_b32_e32 v98, v118, v97, vcc
	v_cmp_gt_f64_e32 vcc, 0, v[119:120]
	v_mov_b32_e32 v97, v117
	v_cndmask_b32_e32 v100, v120, v99, vcc
	v_cmp_gt_f64_e32 vcc, 0, v[91:92]
	v_mov_b32_e32 v99, v119
	v_add_f64 v[97:98], v[97:98], v[99:100]
	v_xor_b32_e32 v99, 0x80000000, v92
	v_cndmask_b32_e32 v100, v92, v99, vcc
	v_cmp_gt_f64_e32 vcc, 0, v[93:94]
	v_mov_b32_e32 v99, v91
	v_cndmask_b32_e32 v102, v94, v101, vcc
	v_mov_b32_e32 v101, v93
	v_add_f64 v[99:100], v[99:100], v[101:102]
	v_cmp_lt_f64_e32 vcc, v[97:98], v[99:100]
	v_cndmask_b32_e32 v117, v117, v91, vcc
	v_mov_b32_e32 v91, s0
	s_add_i32 s0, s0, 1
	v_cndmask_b32_e32 v118, v118, v92, vcc
	v_cndmask_b32_e32 v120, v120, v94, vcc
	v_cndmask_b32_e32 v119, v119, v93, vcc
	v_cndmask_b32_e32 v89, v89, v91, vcc
	s_cmp_lg_u32 s3, s0
	s_cbranch_scc1 .LBB106_526
.LBB106_527:
	s_waitcnt lgkmcnt(0)
	v_cmp_eq_f64_e32 vcc, 0, v[117:118]
	v_cmp_eq_f64_e64 s[0:1], 0, v[119:120]
	s_and_b64 s[0:1], vcc, s[0:1]
	s_and_saveexec_b64 s[18:19], s[0:1]
	s_xor_b64 s[0:1], exec, s[18:19]
; %bb.528:
	v_cmp_ne_u32_e32 vcc, 0, v95
	v_cndmask_b32_e32 v95, 26, v95, vcc
; %bb.529:
	s_andn2_saveexec_b64 s[0:1], s[0:1]
	s_cbranch_execz .LBB106_535
; %bb.530:
	v_cmp_ngt_f64_e64 s[18:19], |v[117:118]|, |v[119:120]|
	s_and_saveexec_b64 s[20:21], s[18:19]
	s_xor_b64 s[18:19], exec, s[20:21]
	s_cbranch_execz .LBB106_532
; %bb.531:
	v_div_scale_f64 v[90:91], s[20:21], v[119:120], v[119:120], v[117:118]
	v_rcp_f64_e32 v[92:93], v[90:91]
	v_fma_f64 v[97:98], -v[90:91], v[92:93], 1.0
	v_fma_f64 v[92:93], v[92:93], v[97:98], v[92:93]
	v_div_scale_f64 v[97:98], vcc, v[117:118], v[119:120], v[117:118]
	v_fma_f64 v[99:100], -v[90:91], v[92:93], 1.0
	v_fma_f64 v[92:93], v[92:93], v[99:100], v[92:93]
	v_mul_f64 v[99:100], v[97:98], v[92:93]
	v_fma_f64 v[90:91], -v[90:91], v[99:100], v[97:98]
	v_div_fmas_f64 v[90:91], v[90:91], v[92:93], v[99:100]
	v_div_fixup_f64 v[90:91], v[90:91], v[119:120], v[117:118]
	v_fma_f64 v[92:93], v[117:118], v[90:91], v[119:120]
	v_div_scale_f64 v[97:98], s[20:21], v[92:93], v[92:93], 1.0
	v_div_scale_f64 v[103:104], vcc, 1.0, v[92:93], 1.0
	v_rcp_f64_e32 v[99:100], v[97:98]
	v_fma_f64 v[101:102], -v[97:98], v[99:100], 1.0
	v_fma_f64 v[99:100], v[99:100], v[101:102], v[99:100]
	v_fma_f64 v[101:102], -v[97:98], v[99:100], 1.0
	v_fma_f64 v[99:100], v[99:100], v[101:102], v[99:100]
	v_mul_f64 v[101:102], v[103:104], v[99:100]
	v_fma_f64 v[97:98], -v[97:98], v[101:102], v[103:104]
	v_div_fmas_f64 v[97:98], v[97:98], v[99:100], v[101:102]
	v_div_fixup_f64 v[119:120], v[97:98], v[92:93], 1.0
	v_mul_f64 v[117:118], v[90:91], v[119:120]
	v_xor_b32_e32 v120, 0x80000000, v120
.LBB106_532:
	s_andn2_saveexec_b64 s[18:19], s[18:19]
	s_cbranch_execz .LBB106_534
; %bb.533:
	v_div_scale_f64 v[90:91], s[20:21], v[117:118], v[117:118], v[119:120]
	v_rcp_f64_e32 v[92:93], v[90:91]
	v_fma_f64 v[97:98], -v[90:91], v[92:93], 1.0
	v_fma_f64 v[92:93], v[92:93], v[97:98], v[92:93]
	v_div_scale_f64 v[97:98], vcc, v[119:120], v[117:118], v[119:120]
	v_fma_f64 v[99:100], -v[90:91], v[92:93], 1.0
	v_fma_f64 v[92:93], v[92:93], v[99:100], v[92:93]
	v_mul_f64 v[99:100], v[97:98], v[92:93]
	v_fma_f64 v[90:91], -v[90:91], v[99:100], v[97:98]
	v_div_fmas_f64 v[90:91], v[90:91], v[92:93], v[99:100]
	v_div_fixup_f64 v[90:91], v[90:91], v[117:118], v[119:120]
	v_fma_f64 v[92:93], v[119:120], v[90:91], v[117:118]
	v_div_scale_f64 v[97:98], s[20:21], v[92:93], v[92:93], 1.0
	v_div_scale_f64 v[103:104], vcc, 1.0, v[92:93], 1.0
	v_rcp_f64_e32 v[99:100], v[97:98]
	v_fma_f64 v[101:102], -v[97:98], v[99:100], 1.0
	v_fma_f64 v[99:100], v[99:100], v[101:102], v[99:100]
	v_fma_f64 v[101:102], -v[97:98], v[99:100], 1.0
	v_fma_f64 v[99:100], v[99:100], v[101:102], v[99:100]
	v_mul_f64 v[101:102], v[103:104], v[99:100]
	v_fma_f64 v[97:98], -v[97:98], v[101:102], v[103:104]
	v_div_fmas_f64 v[97:98], v[97:98], v[99:100], v[101:102]
	v_div_fixup_f64 v[117:118], v[97:98], v[92:93], 1.0
	v_mul_f64 v[119:120], v[90:91], -v[117:118]
.LBB106_534:
	s_or_b64 exec, exec, s[18:19]
.LBB106_535:
	s_or_b64 exec, exec, s[0:1]
	v_cmp_ne_u32_e32 vcc, v96, v89
	s_and_saveexec_b64 s[0:1], vcc
	s_xor_b64 s[0:1], exec, s[0:1]
	s_cbranch_execz .LBB106_541
; %bb.536:
	v_cmp_eq_u32_e32 vcc, 25, v96
	s_and_saveexec_b64 s[18:19], vcc
	s_cbranch_execz .LBB106_540
; %bb.537:
	v_cmp_ne_u32_e32 vcc, 25, v89
	s_xor_b64 s[20:21], s[6:7], -1
	s_and_b64 s[22:23], s[20:21], vcc
	s_and_saveexec_b64 s[20:21], s[22:23]
	s_cbranch_execz .LBB106_539
; %bb.538:
	v_mov_b32_e32 v53, v81
	v_mov_b32_e32 v54, v82
	;; [unrolled: 1-line block ×4, first 2 shown]
	buffer_load_dword v81, off, s[24:27], 0 offset:436 ; 4-byte Folded Reload
	buffer_load_dword v82, off, s[24:27], 0 offset:440 ; 4-byte Folded Reload
	v_ashrrev_i32_e32 v90, 31, v89
	v_lshlrev_b64 v[90:91], 2, v[89:90]
	s_waitcnt vmcnt(1)
	v_add_co_u32_e32 v90, vcc, v81, v90
	s_waitcnt vmcnt(0)
	v_addc_co_u32_e32 v91, vcc, v82, v91, vcc
	global_load_dword v92, v[90:91], off
	global_load_dword v93, v[81:82], off offset:100
	s_waitcnt vmcnt(1)
	global_store_dword v[81:82], v92, off offset:100
	v_mov_b32_e32 v84, v56
	v_mov_b32_e32 v83, v55
	;; [unrolled: 1-line block ×4, first 2 shown]
	s_waitcnt vmcnt(1)
	global_store_dword v[90:91], v93, off
.LBB106_539:
	s_or_b64 exec, exec, s[20:21]
	v_mov_b32_e32 v96, v89
	v_mov_b32_e32 v53, v89
	buffer_store_dword v53, off, s[24:27], 0 offset:352 ; 4-byte Folded Spill
.LBB106_540:
	s_or_b64 exec, exec, s[18:19]
.LBB106_541:
	s_andn2_saveexec_b64 s[0:1], s[0:1]
	s_cbranch_execz .LBB106_543
; %bb.542:
	buffer_load_dword v53, off, s[24:27], 0 offset:48 ; 4-byte Folded Reload
	buffer_load_dword v54, off, s[24:27], 0 offset:52 ; 4-byte Folded Reload
	;; [unrolled: 1-line block ×4, first 2 shown]
	v_mov_b32_e32 v96, 25
	s_waitcnt vmcnt(0)
	ds_write2_b64 v0, v[53:54], v[55:56] offset0:52 offset1:53
	buffer_load_dword v53, off, s[24:27], 0 offset:32 ; 4-byte Folded Reload
	buffer_load_dword v54, off, s[24:27], 0 offset:36 ; 4-byte Folded Reload
	;; [unrolled: 1-line block ×4, first 2 shown]
	s_waitcnt vmcnt(0)
	ds_write2_b64 v0, v[53:54], v[55:56] offset0:54 offset1:55
	buffer_load_dword v53, off, s[24:27], 0 offset:16 ; 4-byte Folded Reload
	buffer_load_dword v54, off, s[24:27], 0 offset:20 ; 4-byte Folded Reload
	;; [unrolled: 1-line block ×4, first 2 shown]
	s_waitcnt vmcnt(0)
	ds_write2_b64 v0, v[53:54], v[55:56] offset0:56 offset1:57
	ds_write2_b64 v0, v[81:82], v[83:84] offset0:58 offset1:59
	;; [unrolled: 1-line block ×11, first 2 shown]
	buffer_load_dword v53, off, s[24:27], 0 ; 4-byte Folded Reload
	buffer_load_dword v54, off, s[24:27], 0 offset:4 ; 4-byte Folded Reload
	buffer_load_dword v55, off, s[24:27], 0 offset:8 ; 4-byte Folded Reload
	buffer_load_dword v56, off, s[24:27], 0 offset:12 ; 4-byte Folded Reload
	s_waitcnt vmcnt(0)
	ds_write2_b64 v0, v[53:54], v[55:56] offset0:78 offset1:79
	ds_write2_b64 v0, v[49:50], v[51:52] offset0:80 offset1:81
	;; [unrolled: 1-line block ×15, first 2 shown]
.LBB106_543:
	s_or_b64 exec, exec, s[0:1]
	v_cmp_lt_i32_e32 vcc, 25, v96
	s_waitcnt vmcnt(0) lgkmcnt(0)
	s_barrier
	s_and_saveexec_b64 s[0:1], vcc
	s_cbranch_execz .LBB106_545
; %bb.544:
	buffer_load_dword v97, off, s[24:27], 0 offset:64 ; 4-byte Folded Reload
	buffer_load_dword v98, off, s[24:27], 0 offset:68 ; 4-byte Folded Reload
	;; [unrolled: 1-line block ×4, first 2 shown]
	s_waitcnt vmcnt(0)
	v_mul_f64 v[91:92], v[117:118], v[99:100]
	v_mul_f64 v[89:90], v[119:120], v[99:100]
	v_fma_f64 v[99:100], v[119:120], v[97:98], v[91:92]
	ds_read2_b64 v[91:94], v0 offset0:52 offset1:53
	buffer_load_dword v53, off, s[24:27], 0 offset:48 ; 4-byte Folded Reload
	buffer_load_dword v54, off, s[24:27], 0 offset:52 ; 4-byte Folded Reload
	;; [unrolled: 1-line block ×4, first 2 shown]
	v_fma_f64 v[89:90], v[117:118], v[97:98], -v[89:90]
	s_waitcnt lgkmcnt(0)
	v_mul_f64 v[97:98], v[93:94], v[99:100]
	v_fma_f64 v[97:98], v[91:92], v[89:90], -v[97:98]
	v_mul_f64 v[91:92], v[91:92], v[99:100]
	v_fma_f64 v[91:92], v[93:94], v[89:90], v[91:92]
	s_waitcnt vmcnt(2)
	v_add_f64 v[53:54], v[53:54], -v[97:98]
	s_waitcnt vmcnt(0)
	v_add_f64 v[55:56], v[55:56], -v[91:92]
	buffer_store_dword v53, off, s[24:27], 0 offset:48 ; 4-byte Folded Spill
	s_nop 0
	buffer_store_dword v54, off, s[24:27], 0 offset:52 ; 4-byte Folded Spill
	buffer_store_dword v55, off, s[24:27], 0 offset:56 ; 4-byte Folded Spill
	;; [unrolled: 1-line block ×3, first 2 shown]
	ds_read2_b64 v[91:94], v0 offset0:54 offset1:55
	buffer_load_dword v53, off, s[24:27], 0 offset:32 ; 4-byte Folded Reload
	buffer_load_dword v54, off, s[24:27], 0 offset:36 ; 4-byte Folded Reload
	;; [unrolled: 1-line block ×4, first 2 shown]
	s_waitcnt lgkmcnt(0)
	v_mul_f64 v[97:98], v[93:94], v[99:100]
	v_fma_f64 v[97:98], v[91:92], v[89:90], -v[97:98]
	v_mul_f64 v[91:92], v[91:92], v[99:100]
	v_fma_f64 v[91:92], v[93:94], v[89:90], v[91:92]
	s_waitcnt vmcnt(2)
	v_add_f64 v[53:54], v[53:54], -v[97:98]
	s_waitcnt vmcnt(0)
	v_add_f64 v[55:56], v[55:56], -v[91:92]
	buffer_store_dword v53, off, s[24:27], 0 offset:32 ; 4-byte Folded Spill
	s_nop 0
	buffer_store_dword v54, off, s[24:27], 0 offset:36 ; 4-byte Folded Spill
	buffer_store_dword v55, off, s[24:27], 0 offset:40 ; 4-byte Folded Spill
	;; [unrolled: 1-line block ×3, first 2 shown]
	ds_read2_b64 v[91:94], v0 offset0:56 offset1:57
	buffer_load_dword v53, off, s[24:27], 0 offset:16 ; 4-byte Folded Reload
	buffer_load_dword v54, off, s[24:27], 0 offset:20 ; 4-byte Folded Reload
	;; [unrolled: 1-line block ×4, first 2 shown]
	s_waitcnt lgkmcnt(0)
	v_mul_f64 v[97:98], v[93:94], v[99:100]
	v_fma_f64 v[97:98], v[91:92], v[89:90], -v[97:98]
	v_mul_f64 v[91:92], v[91:92], v[99:100]
	v_fma_f64 v[91:92], v[93:94], v[89:90], v[91:92]
	s_waitcnt vmcnt(2)
	v_add_f64 v[53:54], v[53:54], -v[97:98]
	s_waitcnt vmcnt(0)
	v_add_f64 v[55:56], v[55:56], -v[91:92]
	buffer_store_dword v53, off, s[24:27], 0 offset:16 ; 4-byte Folded Spill
	s_nop 0
	buffer_store_dword v54, off, s[24:27], 0 offset:20 ; 4-byte Folded Spill
	buffer_store_dword v55, off, s[24:27], 0 offset:24 ; 4-byte Folded Spill
	;; [unrolled: 1-line block ×3, first 2 shown]
	ds_read2_b64 v[91:94], v0 offset0:58 offset1:59
	s_waitcnt lgkmcnt(0)
	v_mul_f64 v[97:98], v[93:94], v[99:100]
	v_fma_f64 v[97:98], v[91:92], v[89:90], -v[97:98]
	v_mul_f64 v[91:92], v[91:92], v[99:100]
	v_add_f64 v[81:82], v[81:82], -v[97:98]
	v_fma_f64 v[91:92], v[93:94], v[89:90], v[91:92]
	v_add_f64 v[83:84], v[83:84], -v[91:92]
	ds_read2_b64 v[91:94], v0 offset0:60 offset1:61
	s_waitcnt lgkmcnt(0)
	v_mul_f64 v[97:98], v[93:94], v[99:100]
	v_fma_f64 v[97:98], v[91:92], v[89:90], -v[97:98]
	v_mul_f64 v[91:92], v[91:92], v[99:100]
	v_add_f64 v[85:86], v[85:86], -v[97:98]
	v_fma_f64 v[91:92], v[93:94], v[89:90], v[91:92]
	v_add_f64 v[87:88], v[87:88], -v[91:92]
	ds_read2_b64 v[91:94], v0 offset0:62 offset1:63
	s_waitcnt lgkmcnt(0)
	v_mul_f64 v[97:98], v[93:94], v[99:100]
	v_fma_f64 v[97:98], v[91:92], v[89:90], -v[97:98]
	v_mul_f64 v[91:92], v[91:92], v[99:100]
	v_add_f64 v[109:110], v[109:110], -v[97:98]
	v_fma_f64 v[91:92], v[93:94], v[89:90], v[91:92]
	v_add_f64 v[111:112], v[111:112], -v[91:92]
	ds_read2_b64 v[91:94], v0 offset0:64 offset1:65
	s_waitcnt lgkmcnt(0)
	v_mul_f64 v[97:98], v[93:94], v[99:100]
	v_fma_f64 v[97:98], v[91:92], v[89:90], -v[97:98]
	v_mul_f64 v[91:92], v[91:92], v[99:100]
	v_add_f64 v[113:114], v[113:114], -v[97:98]
	v_fma_f64 v[91:92], v[93:94], v[89:90], v[91:92]
	v_add_f64 v[115:116], v[115:116], -v[91:92]
	ds_read2_b64 v[91:94], v0 offset0:66 offset1:67
	s_waitcnt lgkmcnt(0)
	v_mul_f64 v[97:98], v[93:94], v[99:100]
	v_fma_f64 v[97:98], v[91:92], v[89:90], -v[97:98]
	v_mul_f64 v[91:92], v[91:92], v[99:100]
	v_add_f64 v[77:78], v[77:78], -v[97:98]
	v_fma_f64 v[91:92], v[93:94], v[89:90], v[91:92]
	v_add_f64 v[79:80], v[79:80], -v[91:92]
	ds_read2_b64 v[91:94], v0 offset0:68 offset1:69
	s_waitcnt lgkmcnt(0)
	v_mul_f64 v[97:98], v[93:94], v[99:100]
	v_fma_f64 v[97:98], v[91:92], v[89:90], -v[97:98]
	v_mul_f64 v[91:92], v[91:92], v[99:100]
	v_add_f64 v[73:74], v[73:74], -v[97:98]
	v_fma_f64 v[91:92], v[93:94], v[89:90], v[91:92]
	v_add_f64 v[75:76], v[75:76], -v[91:92]
	ds_read2_b64 v[91:94], v0 offset0:70 offset1:71
	s_waitcnt lgkmcnt(0)
	v_mul_f64 v[97:98], v[93:94], v[99:100]
	v_fma_f64 v[97:98], v[91:92], v[89:90], -v[97:98]
	v_mul_f64 v[91:92], v[91:92], v[99:100]
	v_add_f64 v[69:70], v[69:70], -v[97:98]
	v_fma_f64 v[91:92], v[93:94], v[89:90], v[91:92]
	v_add_f64 v[71:72], v[71:72], -v[91:92]
	ds_read2_b64 v[91:94], v0 offset0:72 offset1:73
	s_waitcnt lgkmcnt(0)
	v_mul_f64 v[97:98], v[93:94], v[99:100]
	v_fma_f64 v[97:98], v[91:92], v[89:90], -v[97:98]
	v_mul_f64 v[91:92], v[91:92], v[99:100]
	v_add_f64 v[65:66], v[65:66], -v[97:98]
	v_fma_f64 v[91:92], v[93:94], v[89:90], v[91:92]
	v_add_f64 v[67:68], v[67:68], -v[91:92]
	ds_read2_b64 v[91:94], v0 offset0:74 offset1:75
	s_waitcnt lgkmcnt(0)
	v_mul_f64 v[97:98], v[93:94], v[99:100]
	v_fma_f64 v[97:98], v[91:92], v[89:90], -v[97:98]
	v_mul_f64 v[91:92], v[91:92], v[99:100]
	v_add_f64 v[61:62], v[61:62], -v[97:98]
	v_fma_f64 v[91:92], v[93:94], v[89:90], v[91:92]
	v_add_f64 v[63:64], v[63:64], -v[91:92]
	ds_read2_b64 v[91:94], v0 offset0:76 offset1:77
	s_waitcnt lgkmcnt(0)
	v_mul_f64 v[97:98], v[93:94], v[99:100]
	v_fma_f64 v[97:98], v[91:92], v[89:90], -v[97:98]
	v_mul_f64 v[91:92], v[91:92], v[99:100]
	v_add_f64 v[57:58], v[57:58], -v[97:98]
	v_fma_f64 v[91:92], v[93:94], v[89:90], v[91:92]
	v_add_f64 v[59:60], v[59:60], -v[91:92]
	ds_read2_b64 v[91:94], v0 offset0:78 offset1:79
	buffer_load_dword v53, off, s[24:27], 0 ; 4-byte Folded Reload
	buffer_load_dword v54, off, s[24:27], 0 offset:4 ; 4-byte Folded Reload
	buffer_load_dword v55, off, s[24:27], 0 offset:8 ; 4-byte Folded Reload
	;; [unrolled: 1-line block ×3, first 2 shown]
	s_waitcnt lgkmcnt(0)
	v_mul_f64 v[97:98], v[93:94], v[99:100]
	v_fma_f64 v[97:98], v[91:92], v[89:90], -v[97:98]
	v_mul_f64 v[91:92], v[91:92], v[99:100]
	v_fma_f64 v[91:92], v[93:94], v[89:90], v[91:92]
	s_waitcnt vmcnt(2)
	v_add_f64 v[53:54], v[53:54], -v[97:98]
	s_waitcnt vmcnt(0)
	v_add_f64 v[55:56], v[55:56], -v[91:92]
	buffer_store_dword v53, off, s[24:27], 0 ; 4-byte Folded Spill
	s_nop 0
	buffer_store_dword v54, off, s[24:27], 0 offset:4 ; 4-byte Folded Spill
	buffer_store_dword v55, off, s[24:27], 0 offset:8 ; 4-byte Folded Spill
	;; [unrolled: 1-line block ×3, first 2 shown]
	ds_read2_b64 v[91:94], v0 offset0:80 offset1:81
	s_waitcnt lgkmcnt(0)
	v_mul_f64 v[97:98], v[93:94], v[99:100]
	v_fma_f64 v[97:98], v[91:92], v[89:90], -v[97:98]
	v_mul_f64 v[91:92], v[91:92], v[99:100]
	v_add_f64 v[49:50], v[49:50], -v[97:98]
	v_fma_f64 v[91:92], v[93:94], v[89:90], v[91:92]
	v_add_f64 v[51:52], v[51:52], -v[91:92]
	ds_read2_b64 v[91:94], v0 offset0:82 offset1:83
	s_waitcnt lgkmcnt(0)
	v_mul_f64 v[97:98], v[93:94], v[99:100]
	v_fma_f64 v[97:98], v[91:92], v[89:90], -v[97:98]
	v_mul_f64 v[91:92], v[91:92], v[99:100]
	v_add_f64 v[45:46], v[45:46], -v[97:98]
	v_fma_f64 v[91:92], v[93:94], v[89:90], v[91:92]
	v_add_f64 v[47:48], v[47:48], -v[91:92]
	;; [unrolled: 8-line block ×13, first 2 shown]
	ds_read2_b64 v[91:94], v0 offset0:106 offset1:107
	s_waitcnt lgkmcnt(0)
	v_mul_f64 v[97:98], v[93:94], v[99:100]
	v_fma_f64 v[97:98], v[91:92], v[89:90], -v[97:98]
	v_mul_f64 v[91:92], v[91:92], v[99:100]
	v_add_f64 v[121:122], v[121:122], -v[97:98]
	v_fma_f64 v[91:92], v[93:94], v[89:90], v[91:92]
	v_mov_b32_e32 v98, v90
	v_mov_b32_e32 v97, v89
	buffer_store_dword v97, off, s[24:27], 0 offset:64 ; 4-byte Folded Spill
	s_nop 0
	buffer_store_dword v98, off, s[24:27], 0 offset:68 ; 4-byte Folded Spill
	buffer_store_dword v99, off, s[24:27], 0 offset:72 ; 4-byte Folded Spill
	;; [unrolled: 1-line block ×3, first 2 shown]
	v_add_f64 v[123:124], v[123:124], -v[91:92]
.LBB106_545:
	s_or_b64 exec, exec, s[0:1]
	s_waitcnt vmcnt(0)
	s_barrier
	buffer_load_dword v53, off, s[24:27], 0 offset:48 ; 4-byte Folded Reload
	buffer_load_dword v54, off, s[24:27], 0 offset:52 ; 4-byte Folded Reload
	buffer_load_dword v55, off, s[24:27], 0 offset:56 ; 4-byte Folded Reload
	buffer_load_dword v56, off, s[24:27], 0 offset:60 ; 4-byte Folded Reload
	v_lshl_add_u32 v89, v96, 4, v0
	s_cmp_lt_i32 s3, 28
	s_waitcnt vmcnt(0)
	ds_write2_b64 v89, v[53:54], v[55:56] offset1:1
	s_waitcnt lgkmcnt(0)
	s_barrier
	ds_read2_b64 v[117:120], v0 offset0:52 offset1:53
	v_mov_b32_e32 v89, 26
	s_cbranch_scc1 .LBB106_548
; %bb.546:
	v_add_u32_e32 v90, 0x1b0, v0
	s_mov_b32 s0, 27
	v_mov_b32_e32 v89, 26
.LBB106_547:                            ; =>This Inner Loop Header: Depth=1
	s_waitcnt lgkmcnt(0)
	v_cmp_gt_f64_e32 vcc, 0, v[117:118]
	v_xor_b32_e32 v97, 0x80000000, v118
	ds_read2_b64 v[91:94], v90 offset1:1
	v_xor_b32_e32 v99, 0x80000000, v120
	v_add_u32_e32 v90, 16, v90
	s_waitcnt lgkmcnt(0)
	v_xor_b32_e32 v101, 0x80000000, v94
	v_cndmask_b32_e32 v98, v118, v97, vcc
	v_cmp_gt_f64_e32 vcc, 0, v[119:120]
	v_mov_b32_e32 v97, v117
	v_cndmask_b32_e32 v100, v120, v99, vcc
	v_cmp_gt_f64_e32 vcc, 0, v[91:92]
	v_mov_b32_e32 v99, v119
	v_add_f64 v[97:98], v[97:98], v[99:100]
	v_xor_b32_e32 v99, 0x80000000, v92
	v_cndmask_b32_e32 v100, v92, v99, vcc
	v_cmp_gt_f64_e32 vcc, 0, v[93:94]
	v_mov_b32_e32 v99, v91
	v_cndmask_b32_e32 v102, v94, v101, vcc
	v_mov_b32_e32 v101, v93
	v_add_f64 v[99:100], v[99:100], v[101:102]
	v_cmp_lt_f64_e32 vcc, v[97:98], v[99:100]
	v_cndmask_b32_e32 v117, v117, v91, vcc
	v_mov_b32_e32 v91, s0
	s_add_i32 s0, s0, 1
	v_cndmask_b32_e32 v118, v118, v92, vcc
	v_cndmask_b32_e32 v120, v120, v94, vcc
	;; [unrolled: 1-line block ×4, first 2 shown]
	s_cmp_lg_u32 s3, s0
	s_cbranch_scc1 .LBB106_547
.LBB106_548:
	s_waitcnt lgkmcnt(0)
	v_cmp_eq_f64_e32 vcc, 0, v[117:118]
	v_cmp_eq_f64_e64 s[0:1], 0, v[119:120]
	s_and_b64 s[0:1], vcc, s[0:1]
	s_and_saveexec_b64 s[18:19], s[0:1]
	s_xor_b64 s[0:1], exec, s[18:19]
; %bb.549:
	v_cmp_ne_u32_e32 vcc, 0, v95
	v_cndmask_b32_e32 v95, 27, v95, vcc
; %bb.550:
	s_andn2_saveexec_b64 s[0:1], s[0:1]
	s_cbranch_execz .LBB106_556
; %bb.551:
	v_cmp_ngt_f64_e64 s[18:19], |v[117:118]|, |v[119:120]|
	s_and_saveexec_b64 s[20:21], s[18:19]
	s_xor_b64 s[18:19], exec, s[20:21]
	s_cbranch_execz .LBB106_553
; %bb.552:
	v_div_scale_f64 v[90:91], s[20:21], v[119:120], v[119:120], v[117:118]
	v_rcp_f64_e32 v[92:93], v[90:91]
	v_fma_f64 v[97:98], -v[90:91], v[92:93], 1.0
	v_fma_f64 v[92:93], v[92:93], v[97:98], v[92:93]
	v_div_scale_f64 v[97:98], vcc, v[117:118], v[119:120], v[117:118]
	v_fma_f64 v[99:100], -v[90:91], v[92:93], 1.0
	v_fma_f64 v[92:93], v[92:93], v[99:100], v[92:93]
	v_mul_f64 v[99:100], v[97:98], v[92:93]
	v_fma_f64 v[90:91], -v[90:91], v[99:100], v[97:98]
	v_div_fmas_f64 v[90:91], v[90:91], v[92:93], v[99:100]
	v_div_fixup_f64 v[90:91], v[90:91], v[119:120], v[117:118]
	v_fma_f64 v[92:93], v[117:118], v[90:91], v[119:120]
	v_div_scale_f64 v[97:98], s[20:21], v[92:93], v[92:93], 1.0
	v_div_scale_f64 v[103:104], vcc, 1.0, v[92:93], 1.0
	v_rcp_f64_e32 v[99:100], v[97:98]
	v_fma_f64 v[101:102], -v[97:98], v[99:100], 1.0
	v_fma_f64 v[99:100], v[99:100], v[101:102], v[99:100]
	v_fma_f64 v[101:102], -v[97:98], v[99:100], 1.0
	v_fma_f64 v[99:100], v[99:100], v[101:102], v[99:100]
	v_mul_f64 v[101:102], v[103:104], v[99:100]
	v_fma_f64 v[97:98], -v[97:98], v[101:102], v[103:104]
	v_div_fmas_f64 v[97:98], v[97:98], v[99:100], v[101:102]
	v_div_fixup_f64 v[119:120], v[97:98], v[92:93], 1.0
	v_mul_f64 v[117:118], v[90:91], v[119:120]
	v_xor_b32_e32 v120, 0x80000000, v120
.LBB106_553:
	s_andn2_saveexec_b64 s[18:19], s[18:19]
	s_cbranch_execz .LBB106_555
; %bb.554:
	v_div_scale_f64 v[90:91], s[20:21], v[117:118], v[117:118], v[119:120]
	v_rcp_f64_e32 v[92:93], v[90:91]
	v_fma_f64 v[97:98], -v[90:91], v[92:93], 1.0
	v_fma_f64 v[92:93], v[92:93], v[97:98], v[92:93]
	v_div_scale_f64 v[97:98], vcc, v[119:120], v[117:118], v[119:120]
	v_fma_f64 v[99:100], -v[90:91], v[92:93], 1.0
	v_fma_f64 v[92:93], v[92:93], v[99:100], v[92:93]
	v_mul_f64 v[99:100], v[97:98], v[92:93]
	v_fma_f64 v[90:91], -v[90:91], v[99:100], v[97:98]
	v_div_fmas_f64 v[90:91], v[90:91], v[92:93], v[99:100]
	v_div_fixup_f64 v[90:91], v[90:91], v[117:118], v[119:120]
	v_fma_f64 v[92:93], v[119:120], v[90:91], v[117:118]
	v_div_scale_f64 v[97:98], s[20:21], v[92:93], v[92:93], 1.0
	v_div_scale_f64 v[103:104], vcc, 1.0, v[92:93], 1.0
	v_rcp_f64_e32 v[99:100], v[97:98]
	v_fma_f64 v[101:102], -v[97:98], v[99:100], 1.0
	v_fma_f64 v[99:100], v[99:100], v[101:102], v[99:100]
	v_fma_f64 v[101:102], -v[97:98], v[99:100], 1.0
	v_fma_f64 v[99:100], v[99:100], v[101:102], v[99:100]
	v_mul_f64 v[101:102], v[103:104], v[99:100]
	v_fma_f64 v[97:98], -v[97:98], v[101:102], v[103:104]
	v_div_fmas_f64 v[97:98], v[97:98], v[99:100], v[101:102]
	v_div_fixup_f64 v[117:118], v[97:98], v[92:93], 1.0
	v_mul_f64 v[119:120], v[90:91], -v[117:118]
.LBB106_555:
	s_or_b64 exec, exec, s[18:19]
.LBB106_556:
	s_or_b64 exec, exec, s[0:1]
	v_cmp_ne_u32_e32 vcc, v96, v89
	s_and_saveexec_b64 s[0:1], vcc
	s_xor_b64 s[0:1], exec, s[0:1]
	s_cbranch_execz .LBB106_562
; %bb.557:
	v_cmp_eq_u32_e32 vcc, 26, v96
	s_and_saveexec_b64 s[18:19], vcc
	s_cbranch_execz .LBB106_561
; %bb.558:
	v_cmp_ne_u32_e32 vcc, 26, v89
	s_xor_b64 s[20:21], s[6:7], -1
	s_and_b64 s[22:23], s[20:21], vcc
	s_and_saveexec_b64 s[20:21], s[22:23]
	s_cbranch_execz .LBB106_560
; %bb.559:
	v_mov_b32_e32 v53, v81
	v_mov_b32_e32 v54, v82
	;; [unrolled: 1-line block ×4, first 2 shown]
	buffer_load_dword v81, off, s[24:27], 0 offset:436 ; 4-byte Folded Reload
	buffer_load_dword v82, off, s[24:27], 0 offset:440 ; 4-byte Folded Reload
	v_ashrrev_i32_e32 v90, 31, v89
	v_lshlrev_b64 v[90:91], 2, v[89:90]
	s_waitcnt vmcnt(1)
	v_add_co_u32_e32 v90, vcc, v81, v90
	s_waitcnt vmcnt(0)
	v_addc_co_u32_e32 v91, vcc, v82, v91, vcc
	global_load_dword v92, v[90:91], off
	global_load_dword v93, v[81:82], off offset:104
	s_waitcnt vmcnt(1)
	global_store_dword v[81:82], v92, off offset:104
	v_mov_b32_e32 v84, v56
	v_mov_b32_e32 v83, v55
	;; [unrolled: 1-line block ×4, first 2 shown]
	s_waitcnt vmcnt(1)
	global_store_dword v[90:91], v93, off
.LBB106_560:
	s_or_b64 exec, exec, s[20:21]
	v_mov_b32_e32 v96, v89
	v_mov_b32_e32 v53, v89
	buffer_store_dword v53, off, s[24:27], 0 offset:352 ; 4-byte Folded Spill
.LBB106_561:
	s_or_b64 exec, exec, s[18:19]
.LBB106_562:
	s_andn2_saveexec_b64 s[0:1], s[0:1]
	s_cbranch_execz .LBB106_564
; %bb.563:
	buffer_load_dword v53, off, s[24:27], 0 offset:32 ; 4-byte Folded Reload
	buffer_load_dword v54, off, s[24:27], 0 offset:36 ; 4-byte Folded Reload
	;; [unrolled: 1-line block ×4, first 2 shown]
	v_mov_b32_e32 v96, 26
	s_waitcnt vmcnt(0)
	ds_write2_b64 v0, v[53:54], v[55:56] offset0:54 offset1:55
	buffer_load_dword v53, off, s[24:27], 0 offset:16 ; 4-byte Folded Reload
	buffer_load_dword v54, off, s[24:27], 0 offset:20 ; 4-byte Folded Reload
	;; [unrolled: 1-line block ×4, first 2 shown]
	s_waitcnt vmcnt(0)
	ds_write2_b64 v0, v[53:54], v[55:56] offset0:56 offset1:57
	ds_write2_b64 v0, v[81:82], v[83:84] offset0:58 offset1:59
	;; [unrolled: 1-line block ×11, first 2 shown]
	buffer_load_dword v53, off, s[24:27], 0 ; 4-byte Folded Reload
	buffer_load_dword v54, off, s[24:27], 0 offset:4 ; 4-byte Folded Reload
	buffer_load_dword v55, off, s[24:27], 0 offset:8 ; 4-byte Folded Reload
	;; [unrolled: 1-line block ×3, first 2 shown]
	s_waitcnt vmcnt(0)
	ds_write2_b64 v0, v[53:54], v[55:56] offset0:78 offset1:79
	ds_write2_b64 v0, v[49:50], v[51:52] offset0:80 offset1:81
	;; [unrolled: 1-line block ×15, first 2 shown]
.LBB106_564:
	s_or_b64 exec, exec, s[0:1]
	v_cmp_lt_i32_e32 vcc, 26, v96
	s_waitcnt vmcnt(0) lgkmcnt(0)
	s_barrier
	s_and_saveexec_b64 s[0:1], vcc
	s_cbranch_execz .LBB106_566
; %bb.565:
	buffer_load_dword v97, off, s[24:27], 0 offset:48 ; 4-byte Folded Reload
	buffer_load_dword v98, off, s[24:27], 0 offset:52 ; 4-byte Folded Reload
	;; [unrolled: 1-line block ×4, first 2 shown]
	s_waitcnt vmcnt(0)
	v_mul_f64 v[91:92], v[117:118], v[99:100]
	v_mul_f64 v[89:90], v[119:120], v[99:100]
	v_fma_f64 v[99:100], v[119:120], v[97:98], v[91:92]
	ds_read2_b64 v[91:94], v0 offset0:54 offset1:55
	buffer_load_dword v53, off, s[24:27], 0 offset:32 ; 4-byte Folded Reload
	buffer_load_dword v54, off, s[24:27], 0 offset:36 ; 4-byte Folded Reload
	;; [unrolled: 1-line block ×4, first 2 shown]
	v_fma_f64 v[89:90], v[117:118], v[97:98], -v[89:90]
	s_waitcnt lgkmcnt(0)
	v_mul_f64 v[97:98], v[93:94], v[99:100]
	v_fma_f64 v[97:98], v[91:92], v[89:90], -v[97:98]
	v_mul_f64 v[91:92], v[91:92], v[99:100]
	v_fma_f64 v[91:92], v[93:94], v[89:90], v[91:92]
	s_waitcnt vmcnt(2)
	v_add_f64 v[53:54], v[53:54], -v[97:98]
	s_waitcnt vmcnt(0)
	v_add_f64 v[55:56], v[55:56], -v[91:92]
	buffer_store_dword v53, off, s[24:27], 0 offset:32 ; 4-byte Folded Spill
	s_nop 0
	buffer_store_dword v54, off, s[24:27], 0 offset:36 ; 4-byte Folded Spill
	buffer_store_dword v55, off, s[24:27], 0 offset:40 ; 4-byte Folded Spill
	;; [unrolled: 1-line block ×3, first 2 shown]
	ds_read2_b64 v[91:94], v0 offset0:56 offset1:57
	buffer_load_dword v53, off, s[24:27], 0 offset:16 ; 4-byte Folded Reload
	buffer_load_dword v54, off, s[24:27], 0 offset:20 ; 4-byte Folded Reload
	;; [unrolled: 1-line block ×4, first 2 shown]
	s_waitcnt lgkmcnt(0)
	v_mul_f64 v[97:98], v[93:94], v[99:100]
	v_fma_f64 v[97:98], v[91:92], v[89:90], -v[97:98]
	v_mul_f64 v[91:92], v[91:92], v[99:100]
	v_fma_f64 v[91:92], v[93:94], v[89:90], v[91:92]
	s_waitcnt vmcnt(2)
	v_add_f64 v[53:54], v[53:54], -v[97:98]
	s_waitcnt vmcnt(0)
	v_add_f64 v[55:56], v[55:56], -v[91:92]
	buffer_store_dword v53, off, s[24:27], 0 offset:16 ; 4-byte Folded Spill
	s_nop 0
	buffer_store_dword v54, off, s[24:27], 0 offset:20 ; 4-byte Folded Spill
	buffer_store_dword v55, off, s[24:27], 0 offset:24 ; 4-byte Folded Spill
	;; [unrolled: 1-line block ×3, first 2 shown]
	ds_read2_b64 v[91:94], v0 offset0:58 offset1:59
	s_waitcnt lgkmcnt(0)
	v_mul_f64 v[97:98], v[93:94], v[99:100]
	v_fma_f64 v[97:98], v[91:92], v[89:90], -v[97:98]
	v_mul_f64 v[91:92], v[91:92], v[99:100]
	v_add_f64 v[81:82], v[81:82], -v[97:98]
	v_fma_f64 v[91:92], v[93:94], v[89:90], v[91:92]
	v_add_f64 v[83:84], v[83:84], -v[91:92]
	ds_read2_b64 v[91:94], v0 offset0:60 offset1:61
	s_waitcnt lgkmcnt(0)
	v_mul_f64 v[97:98], v[93:94], v[99:100]
	v_fma_f64 v[97:98], v[91:92], v[89:90], -v[97:98]
	v_mul_f64 v[91:92], v[91:92], v[99:100]
	v_add_f64 v[85:86], v[85:86], -v[97:98]
	v_fma_f64 v[91:92], v[93:94], v[89:90], v[91:92]
	v_add_f64 v[87:88], v[87:88], -v[91:92]
	;; [unrolled: 8-line block ×10, first 2 shown]
	ds_read2_b64 v[91:94], v0 offset0:78 offset1:79
	buffer_load_dword v53, off, s[24:27], 0 ; 4-byte Folded Reload
	buffer_load_dword v54, off, s[24:27], 0 offset:4 ; 4-byte Folded Reload
	buffer_load_dword v55, off, s[24:27], 0 offset:8 ; 4-byte Folded Reload
	;; [unrolled: 1-line block ×3, first 2 shown]
	s_waitcnt lgkmcnt(0)
	v_mul_f64 v[97:98], v[93:94], v[99:100]
	v_fma_f64 v[97:98], v[91:92], v[89:90], -v[97:98]
	v_mul_f64 v[91:92], v[91:92], v[99:100]
	v_fma_f64 v[91:92], v[93:94], v[89:90], v[91:92]
	s_waitcnt vmcnt(2)
	v_add_f64 v[53:54], v[53:54], -v[97:98]
	s_waitcnt vmcnt(0)
	v_add_f64 v[55:56], v[55:56], -v[91:92]
	buffer_store_dword v53, off, s[24:27], 0 ; 4-byte Folded Spill
	s_nop 0
	buffer_store_dword v54, off, s[24:27], 0 offset:4 ; 4-byte Folded Spill
	buffer_store_dword v55, off, s[24:27], 0 offset:8 ; 4-byte Folded Spill
	;; [unrolled: 1-line block ×3, first 2 shown]
	ds_read2_b64 v[91:94], v0 offset0:80 offset1:81
	s_waitcnt lgkmcnt(0)
	v_mul_f64 v[97:98], v[93:94], v[99:100]
	v_fma_f64 v[97:98], v[91:92], v[89:90], -v[97:98]
	v_mul_f64 v[91:92], v[91:92], v[99:100]
	v_add_f64 v[49:50], v[49:50], -v[97:98]
	v_fma_f64 v[91:92], v[93:94], v[89:90], v[91:92]
	v_add_f64 v[51:52], v[51:52], -v[91:92]
	ds_read2_b64 v[91:94], v0 offset0:82 offset1:83
	s_waitcnt lgkmcnt(0)
	v_mul_f64 v[97:98], v[93:94], v[99:100]
	v_fma_f64 v[97:98], v[91:92], v[89:90], -v[97:98]
	v_mul_f64 v[91:92], v[91:92], v[99:100]
	v_add_f64 v[45:46], v[45:46], -v[97:98]
	v_fma_f64 v[91:92], v[93:94], v[89:90], v[91:92]
	v_add_f64 v[47:48], v[47:48], -v[91:92]
	;; [unrolled: 8-line block ×13, first 2 shown]
	ds_read2_b64 v[91:94], v0 offset0:106 offset1:107
	s_waitcnt lgkmcnt(0)
	v_mul_f64 v[97:98], v[93:94], v[99:100]
	v_fma_f64 v[97:98], v[91:92], v[89:90], -v[97:98]
	v_mul_f64 v[91:92], v[91:92], v[99:100]
	v_add_f64 v[121:122], v[121:122], -v[97:98]
	v_fma_f64 v[91:92], v[93:94], v[89:90], v[91:92]
	v_mov_b32_e32 v98, v90
	v_mov_b32_e32 v97, v89
	buffer_store_dword v97, off, s[24:27], 0 offset:48 ; 4-byte Folded Spill
	s_nop 0
	buffer_store_dword v98, off, s[24:27], 0 offset:52 ; 4-byte Folded Spill
	buffer_store_dword v99, off, s[24:27], 0 offset:56 ; 4-byte Folded Spill
	buffer_store_dword v100, off, s[24:27], 0 offset:60 ; 4-byte Folded Spill
	v_add_f64 v[123:124], v[123:124], -v[91:92]
.LBB106_566:
	s_or_b64 exec, exec, s[0:1]
	s_waitcnt vmcnt(0)
	s_barrier
	buffer_load_dword v53, off, s[24:27], 0 offset:32 ; 4-byte Folded Reload
	buffer_load_dword v54, off, s[24:27], 0 offset:36 ; 4-byte Folded Reload
	;; [unrolled: 1-line block ×4, first 2 shown]
	v_lshl_add_u32 v89, v96, 4, v0
	s_cmp_lt_i32 s3, 29
	s_waitcnt vmcnt(0)
	ds_write2_b64 v89, v[53:54], v[55:56] offset1:1
	s_waitcnt lgkmcnt(0)
	s_barrier
	ds_read2_b64 v[117:120], v0 offset0:54 offset1:55
	v_mov_b32_e32 v89, 27
	s_cbranch_scc1 .LBB106_569
; %bb.567:
	v_add_u32_e32 v90, 0x1c0, v0
	s_mov_b32 s0, 28
	v_mov_b32_e32 v89, 27
.LBB106_568:                            ; =>This Inner Loop Header: Depth=1
	s_waitcnt lgkmcnt(0)
	v_cmp_gt_f64_e32 vcc, 0, v[117:118]
	v_xor_b32_e32 v97, 0x80000000, v118
	ds_read2_b64 v[91:94], v90 offset1:1
	v_xor_b32_e32 v99, 0x80000000, v120
	v_add_u32_e32 v90, 16, v90
	s_waitcnt lgkmcnt(0)
	v_xor_b32_e32 v101, 0x80000000, v94
	v_cndmask_b32_e32 v98, v118, v97, vcc
	v_cmp_gt_f64_e32 vcc, 0, v[119:120]
	v_mov_b32_e32 v97, v117
	v_cndmask_b32_e32 v100, v120, v99, vcc
	v_cmp_gt_f64_e32 vcc, 0, v[91:92]
	v_mov_b32_e32 v99, v119
	v_add_f64 v[97:98], v[97:98], v[99:100]
	v_xor_b32_e32 v99, 0x80000000, v92
	v_cndmask_b32_e32 v100, v92, v99, vcc
	v_cmp_gt_f64_e32 vcc, 0, v[93:94]
	v_mov_b32_e32 v99, v91
	v_cndmask_b32_e32 v102, v94, v101, vcc
	v_mov_b32_e32 v101, v93
	v_add_f64 v[99:100], v[99:100], v[101:102]
	v_cmp_lt_f64_e32 vcc, v[97:98], v[99:100]
	v_cndmask_b32_e32 v117, v117, v91, vcc
	v_mov_b32_e32 v91, s0
	s_add_i32 s0, s0, 1
	v_cndmask_b32_e32 v118, v118, v92, vcc
	v_cndmask_b32_e32 v120, v120, v94, vcc
	;; [unrolled: 1-line block ×4, first 2 shown]
	s_cmp_lg_u32 s3, s0
	s_cbranch_scc1 .LBB106_568
.LBB106_569:
	s_waitcnt lgkmcnt(0)
	v_cmp_eq_f64_e32 vcc, 0, v[117:118]
	v_cmp_eq_f64_e64 s[0:1], 0, v[119:120]
	s_and_b64 s[0:1], vcc, s[0:1]
	s_and_saveexec_b64 s[18:19], s[0:1]
	s_xor_b64 s[0:1], exec, s[18:19]
; %bb.570:
	v_cmp_ne_u32_e32 vcc, 0, v95
	v_cndmask_b32_e32 v95, 28, v95, vcc
; %bb.571:
	s_andn2_saveexec_b64 s[0:1], s[0:1]
	s_cbranch_execz .LBB106_577
; %bb.572:
	v_cmp_ngt_f64_e64 s[18:19], |v[117:118]|, |v[119:120]|
	s_and_saveexec_b64 s[20:21], s[18:19]
	s_xor_b64 s[18:19], exec, s[20:21]
	s_cbranch_execz .LBB106_574
; %bb.573:
	v_div_scale_f64 v[90:91], s[20:21], v[119:120], v[119:120], v[117:118]
	v_rcp_f64_e32 v[92:93], v[90:91]
	v_fma_f64 v[97:98], -v[90:91], v[92:93], 1.0
	v_fma_f64 v[92:93], v[92:93], v[97:98], v[92:93]
	v_div_scale_f64 v[97:98], vcc, v[117:118], v[119:120], v[117:118]
	v_fma_f64 v[99:100], -v[90:91], v[92:93], 1.0
	v_fma_f64 v[92:93], v[92:93], v[99:100], v[92:93]
	v_mul_f64 v[99:100], v[97:98], v[92:93]
	v_fma_f64 v[90:91], -v[90:91], v[99:100], v[97:98]
	v_div_fmas_f64 v[90:91], v[90:91], v[92:93], v[99:100]
	v_div_fixup_f64 v[90:91], v[90:91], v[119:120], v[117:118]
	v_fma_f64 v[92:93], v[117:118], v[90:91], v[119:120]
	v_div_scale_f64 v[97:98], s[20:21], v[92:93], v[92:93], 1.0
	v_div_scale_f64 v[103:104], vcc, 1.0, v[92:93], 1.0
	v_rcp_f64_e32 v[99:100], v[97:98]
	v_fma_f64 v[101:102], -v[97:98], v[99:100], 1.0
	v_fma_f64 v[99:100], v[99:100], v[101:102], v[99:100]
	v_fma_f64 v[101:102], -v[97:98], v[99:100], 1.0
	v_fma_f64 v[99:100], v[99:100], v[101:102], v[99:100]
	v_mul_f64 v[101:102], v[103:104], v[99:100]
	v_fma_f64 v[97:98], -v[97:98], v[101:102], v[103:104]
	v_div_fmas_f64 v[97:98], v[97:98], v[99:100], v[101:102]
	v_div_fixup_f64 v[119:120], v[97:98], v[92:93], 1.0
	v_mul_f64 v[117:118], v[90:91], v[119:120]
	v_xor_b32_e32 v120, 0x80000000, v120
.LBB106_574:
	s_andn2_saveexec_b64 s[18:19], s[18:19]
	s_cbranch_execz .LBB106_576
; %bb.575:
	v_div_scale_f64 v[90:91], s[20:21], v[117:118], v[117:118], v[119:120]
	v_rcp_f64_e32 v[92:93], v[90:91]
	v_fma_f64 v[97:98], -v[90:91], v[92:93], 1.0
	v_fma_f64 v[92:93], v[92:93], v[97:98], v[92:93]
	v_div_scale_f64 v[97:98], vcc, v[119:120], v[117:118], v[119:120]
	v_fma_f64 v[99:100], -v[90:91], v[92:93], 1.0
	v_fma_f64 v[92:93], v[92:93], v[99:100], v[92:93]
	v_mul_f64 v[99:100], v[97:98], v[92:93]
	v_fma_f64 v[90:91], -v[90:91], v[99:100], v[97:98]
	v_div_fmas_f64 v[90:91], v[90:91], v[92:93], v[99:100]
	v_div_fixup_f64 v[90:91], v[90:91], v[117:118], v[119:120]
	v_fma_f64 v[92:93], v[119:120], v[90:91], v[117:118]
	v_div_scale_f64 v[97:98], s[20:21], v[92:93], v[92:93], 1.0
	v_div_scale_f64 v[103:104], vcc, 1.0, v[92:93], 1.0
	v_rcp_f64_e32 v[99:100], v[97:98]
	v_fma_f64 v[101:102], -v[97:98], v[99:100], 1.0
	v_fma_f64 v[99:100], v[99:100], v[101:102], v[99:100]
	v_fma_f64 v[101:102], -v[97:98], v[99:100], 1.0
	v_fma_f64 v[99:100], v[99:100], v[101:102], v[99:100]
	v_mul_f64 v[101:102], v[103:104], v[99:100]
	v_fma_f64 v[97:98], -v[97:98], v[101:102], v[103:104]
	v_div_fmas_f64 v[97:98], v[97:98], v[99:100], v[101:102]
	v_div_fixup_f64 v[117:118], v[97:98], v[92:93], 1.0
	v_mul_f64 v[119:120], v[90:91], -v[117:118]
.LBB106_576:
	s_or_b64 exec, exec, s[18:19]
.LBB106_577:
	s_or_b64 exec, exec, s[0:1]
	v_cmp_ne_u32_e32 vcc, v96, v89
	s_and_saveexec_b64 s[0:1], vcc
	s_xor_b64 s[0:1], exec, s[0:1]
	s_cbranch_execz .LBB106_583
; %bb.578:
	v_cmp_eq_u32_e32 vcc, 27, v96
	s_and_saveexec_b64 s[18:19], vcc
	s_cbranch_execz .LBB106_582
; %bb.579:
	v_cmp_ne_u32_e32 vcc, 27, v89
	s_xor_b64 s[20:21], s[6:7], -1
	s_and_b64 s[22:23], s[20:21], vcc
	s_and_saveexec_b64 s[20:21], s[22:23]
	s_cbranch_execz .LBB106_581
; %bb.580:
	v_mov_b32_e32 v53, v81
	v_mov_b32_e32 v54, v82
	v_mov_b32_e32 v55, v83
	v_mov_b32_e32 v56, v84
	buffer_load_dword v81, off, s[24:27], 0 offset:436 ; 4-byte Folded Reload
	buffer_load_dword v82, off, s[24:27], 0 offset:440 ; 4-byte Folded Reload
	v_ashrrev_i32_e32 v90, 31, v89
	v_lshlrev_b64 v[90:91], 2, v[89:90]
	s_waitcnt vmcnt(1)
	v_add_co_u32_e32 v90, vcc, v81, v90
	s_waitcnt vmcnt(0)
	v_addc_co_u32_e32 v91, vcc, v82, v91, vcc
	global_load_dword v92, v[90:91], off
	global_load_dword v93, v[81:82], off offset:108
	s_waitcnt vmcnt(1)
	global_store_dword v[81:82], v92, off offset:108
	v_mov_b32_e32 v84, v56
	v_mov_b32_e32 v83, v55
	;; [unrolled: 1-line block ×4, first 2 shown]
	s_waitcnt vmcnt(1)
	global_store_dword v[90:91], v93, off
.LBB106_581:
	s_or_b64 exec, exec, s[20:21]
	v_mov_b32_e32 v96, v89
	v_mov_b32_e32 v53, v89
	buffer_store_dword v53, off, s[24:27], 0 offset:352 ; 4-byte Folded Spill
.LBB106_582:
	s_or_b64 exec, exec, s[18:19]
.LBB106_583:
	s_andn2_saveexec_b64 s[0:1], s[0:1]
	s_cbranch_execz .LBB106_585
; %bb.584:
	buffer_load_dword v53, off, s[24:27], 0 offset:16 ; 4-byte Folded Reload
	buffer_load_dword v54, off, s[24:27], 0 offset:20 ; 4-byte Folded Reload
	;; [unrolled: 1-line block ×4, first 2 shown]
	v_mov_b32_e32 v96, 27
	s_waitcnt vmcnt(0)
	ds_write2_b64 v0, v[53:54], v[55:56] offset0:56 offset1:57
	ds_write2_b64 v0, v[81:82], v[83:84] offset0:58 offset1:59
	;; [unrolled: 1-line block ×11, first 2 shown]
	buffer_load_dword v53, off, s[24:27], 0 ; 4-byte Folded Reload
	buffer_load_dword v54, off, s[24:27], 0 offset:4 ; 4-byte Folded Reload
	buffer_load_dword v55, off, s[24:27], 0 offset:8 ; 4-byte Folded Reload
	;; [unrolled: 1-line block ×3, first 2 shown]
	s_waitcnt vmcnt(0)
	ds_write2_b64 v0, v[53:54], v[55:56] offset0:78 offset1:79
	ds_write2_b64 v0, v[49:50], v[51:52] offset0:80 offset1:81
	;; [unrolled: 1-line block ×15, first 2 shown]
.LBB106_585:
	s_or_b64 exec, exec, s[0:1]
	v_cmp_lt_i32_e32 vcc, 27, v96
	s_waitcnt vmcnt(0) lgkmcnt(0)
	s_barrier
	s_and_saveexec_b64 s[0:1], vcc
	s_cbranch_execz .LBB106_587
; %bb.586:
	buffer_load_dword v97, off, s[24:27], 0 offset:32 ; 4-byte Folded Reload
	buffer_load_dword v98, off, s[24:27], 0 offset:36 ; 4-byte Folded Reload
	buffer_load_dword v99, off, s[24:27], 0 offset:40 ; 4-byte Folded Reload
	buffer_load_dword v100, off, s[24:27], 0 offset:44 ; 4-byte Folded Reload
	s_waitcnt vmcnt(0)
	v_mul_f64 v[91:92], v[117:118], v[99:100]
	v_mul_f64 v[89:90], v[119:120], v[99:100]
	v_fma_f64 v[99:100], v[119:120], v[97:98], v[91:92]
	ds_read2_b64 v[91:94], v0 offset0:56 offset1:57
	buffer_load_dword v53, off, s[24:27], 0 offset:16 ; 4-byte Folded Reload
	buffer_load_dword v54, off, s[24:27], 0 offset:20 ; 4-byte Folded Reload
	;; [unrolled: 1-line block ×4, first 2 shown]
	v_fma_f64 v[89:90], v[117:118], v[97:98], -v[89:90]
	s_waitcnt lgkmcnt(0)
	v_mul_f64 v[97:98], v[93:94], v[99:100]
	v_fma_f64 v[97:98], v[91:92], v[89:90], -v[97:98]
	v_mul_f64 v[91:92], v[91:92], v[99:100]
	v_fma_f64 v[91:92], v[93:94], v[89:90], v[91:92]
	s_waitcnt vmcnt(2)
	v_add_f64 v[53:54], v[53:54], -v[97:98]
	s_waitcnt vmcnt(0)
	v_add_f64 v[55:56], v[55:56], -v[91:92]
	buffer_store_dword v53, off, s[24:27], 0 offset:16 ; 4-byte Folded Spill
	s_nop 0
	buffer_store_dword v54, off, s[24:27], 0 offset:20 ; 4-byte Folded Spill
	buffer_store_dword v55, off, s[24:27], 0 offset:24 ; 4-byte Folded Spill
	;; [unrolled: 1-line block ×3, first 2 shown]
	ds_read2_b64 v[91:94], v0 offset0:58 offset1:59
	s_waitcnt lgkmcnt(0)
	v_mul_f64 v[97:98], v[93:94], v[99:100]
	v_fma_f64 v[97:98], v[91:92], v[89:90], -v[97:98]
	v_mul_f64 v[91:92], v[91:92], v[99:100]
	v_add_f64 v[81:82], v[81:82], -v[97:98]
	v_fma_f64 v[91:92], v[93:94], v[89:90], v[91:92]
	v_add_f64 v[83:84], v[83:84], -v[91:92]
	ds_read2_b64 v[91:94], v0 offset0:60 offset1:61
	s_waitcnt lgkmcnt(0)
	v_mul_f64 v[97:98], v[93:94], v[99:100]
	v_fma_f64 v[97:98], v[91:92], v[89:90], -v[97:98]
	v_mul_f64 v[91:92], v[91:92], v[99:100]
	v_add_f64 v[85:86], v[85:86], -v[97:98]
	v_fma_f64 v[91:92], v[93:94], v[89:90], v[91:92]
	v_add_f64 v[87:88], v[87:88], -v[91:92]
	;; [unrolled: 8-line block ×10, first 2 shown]
	ds_read2_b64 v[91:94], v0 offset0:78 offset1:79
	buffer_load_dword v53, off, s[24:27], 0 ; 4-byte Folded Reload
	buffer_load_dword v54, off, s[24:27], 0 offset:4 ; 4-byte Folded Reload
	buffer_load_dword v55, off, s[24:27], 0 offset:8 ; 4-byte Folded Reload
	;; [unrolled: 1-line block ×3, first 2 shown]
	s_waitcnt lgkmcnt(0)
	v_mul_f64 v[97:98], v[93:94], v[99:100]
	v_fma_f64 v[97:98], v[91:92], v[89:90], -v[97:98]
	v_mul_f64 v[91:92], v[91:92], v[99:100]
	v_fma_f64 v[91:92], v[93:94], v[89:90], v[91:92]
	s_waitcnt vmcnt(2)
	v_add_f64 v[53:54], v[53:54], -v[97:98]
	s_waitcnt vmcnt(0)
	v_add_f64 v[55:56], v[55:56], -v[91:92]
	buffer_store_dword v53, off, s[24:27], 0 ; 4-byte Folded Spill
	s_nop 0
	buffer_store_dword v54, off, s[24:27], 0 offset:4 ; 4-byte Folded Spill
	buffer_store_dword v55, off, s[24:27], 0 offset:8 ; 4-byte Folded Spill
	;; [unrolled: 1-line block ×3, first 2 shown]
	ds_read2_b64 v[91:94], v0 offset0:80 offset1:81
	s_waitcnt lgkmcnt(0)
	v_mul_f64 v[97:98], v[93:94], v[99:100]
	v_fma_f64 v[97:98], v[91:92], v[89:90], -v[97:98]
	v_mul_f64 v[91:92], v[91:92], v[99:100]
	v_add_f64 v[49:50], v[49:50], -v[97:98]
	v_fma_f64 v[91:92], v[93:94], v[89:90], v[91:92]
	v_add_f64 v[51:52], v[51:52], -v[91:92]
	ds_read2_b64 v[91:94], v0 offset0:82 offset1:83
	s_waitcnt lgkmcnt(0)
	v_mul_f64 v[97:98], v[93:94], v[99:100]
	v_fma_f64 v[97:98], v[91:92], v[89:90], -v[97:98]
	v_mul_f64 v[91:92], v[91:92], v[99:100]
	v_add_f64 v[45:46], v[45:46], -v[97:98]
	v_fma_f64 v[91:92], v[93:94], v[89:90], v[91:92]
	v_add_f64 v[47:48], v[47:48], -v[91:92]
	;; [unrolled: 8-line block ×13, first 2 shown]
	ds_read2_b64 v[91:94], v0 offset0:106 offset1:107
	s_waitcnt lgkmcnt(0)
	v_mul_f64 v[97:98], v[93:94], v[99:100]
	v_fma_f64 v[97:98], v[91:92], v[89:90], -v[97:98]
	v_mul_f64 v[91:92], v[91:92], v[99:100]
	v_add_f64 v[121:122], v[121:122], -v[97:98]
	v_fma_f64 v[91:92], v[93:94], v[89:90], v[91:92]
	v_mov_b32_e32 v98, v90
	v_mov_b32_e32 v97, v89
	buffer_store_dword v97, off, s[24:27], 0 offset:32 ; 4-byte Folded Spill
	s_nop 0
	buffer_store_dword v98, off, s[24:27], 0 offset:36 ; 4-byte Folded Spill
	buffer_store_dword v99, off, s[24:27], 0 offset:40 ; 4-byte Folded Spill
	;; [unrolled: 1-line block ×3, first 2 shown]
	v_add_f64 v[123:124], v[123:124], -v[91:92]
.LBB106_587:
	s_or_b64 exec, exec, s[0:1]
	s_waitcnt vmcnt(0)
	s_barrier
	buffer_load_dword v53, off, s[24:27], 0 offset:16 ; 4-byte Folded Reload
	buffer_load_dword v54, off, s[24:27], 0 offset:20 ; 4-byte Folded Reload
	;; [unrolled: 1-line block ×4, first 2 shown]
	v_lshl_add_u32 v89, v96, 4, v0
	s_cmp_lt_i32 s3, 30
	s_waitcnt vmcnt(0)
	ds_write2_b64 v89, v[53:54], v[55:56] offset1:1
	s_waitcnt lgkmcnt(0)
	s_barrier
	ds_read2_b64 v[117:120], v0 offset0:56 offset1:57
	v_mov_b32_e32 v89, 28
	s_cbranch_scc1 .LBB106_590
; %bb.588:
	v_add_u32_e32 v90, 0x1d0, v0
	s_mov_b32 s0, 29
	v_mov_b32_e32 v89, 28
.LBB106_589:                            ; =>This Inner Loop Header: Depth=1
	s_waitcnt lgkmcnt(0)
	v_cmp_gt_f64_e32 vcc, 0, v[117:118]
	v_xor_b32_e32 v97, 0x80000000, v118
	ds_read2_b64 v[91:94], v90 offset1:1
	v_xor_b32_e32 v99, 0x80000000, v120
	v_add_u32_e32 v90, 16, v90
	s_waitcnt lgkmcnt(0)
	v_xor_b32_e32 v101, 0x80000000, v94
	v_cndmask_b32_e32 v98, v118, v97, vcc
	v_cmp_gt_f64_e32 vcc, 0, v[119:120]
	v_mov_b32_e32 v97, v117
	v_cndmask_b32_e32 v100, v120, v99, vcc
	v_cmp_gt_f64_e32 vcc, 0, v[91:92]
	v_mov_b32_e32 v99, v119
	v_add_f64 v[97:98], v[97:98], v[99:100]
	v_xor_b32_e32 v99, 0x80000000, v92
	v_cndmask_b32_e32 v100, v92, v99, vcc
	v_cmp_gt_f64_e32 vcc, 0, v[93:94]
	v_mov_b32_e32 v99, v91
	v_cndmask_b32_e32 v102, v94, v101, vcc
	v_mov_b32_e32 v101, v93
	v_add_f64 v[99:100], v[99:100], v[101:102]
	v_cmp_lt_f64_e32 vcc, v[97:98], v[99:100]
	v_cndmask_b32_e32 v117, v117, v91, vcc
	v_mov_b32_e32 v91, s0
	s_add_i32 s0, s0, 1
	v_cndmask_b32_e32 v118, v118, v92, vcc
	v_cndmask_b32_e32 v120, v120, v94, vcc
	;; [unrolled: 1-line block ×4, first 2 shown]
	s_cmp_lg_u32 s3, s0
	s_cbranch_scc1 .LBB106_589
.LBB106_590:
	s_waitcnt lgkmcnt(0)
	v_cmp_eq_f64_e32 vcc, 0, v[117:118]
	v_cmp_eq_f64_e64 s[0:1], 0, v[119:120]
	s_and_b64 s[0:1], vcc, s[0:1]
	s_and_saveexec_b64 s[18:19], s[0:1]
	s_xor_b64 s[0:1], exec, s[18:19]
; %bb.591:
	v_cmp_ne_u32_e32 vcc, 0, v95
	v_cndmask_b32_e32 v95, 29, v95, vcc
; %bb.592:
	s_andn2_saveexec_b64 s[0:1], s[0:1]
	s_cbranch_execz .LBB106_598
; %bb.593:
	v_cmp_ngt_f64_e64 s[18:19], |v[117:118]|, |v[119:120]|
	s_and_saveexec_b64 s[20:21], s[18:19]
	s_xor_b64 s[18:19], exec, s[20:21]
	s_cbranch_execz .LBB106_595
; %bb.594:
	v_div_scale_f64 v[90:91], s[20:21], v[119:120], v[119:120], v[117:118]
	v_rcp_f64_e32 v[92:93], v[90:91]
	v_fma_f64 v[97:98], -v[90:91], v[92:93], 1.0
	v_fma_f64 v[92:93], v[92:93], v[97:98], v[92:93]
	v_div_scale_f64 v[97:98], vcc, v[117:118], v[119:120], v[117:118]
	v_fma_f64 v[99:100], -v[90:91], v[92:93], 1.0
	v_fma_f64 v[92:93], v[92:93], v[99:100], v[92:93]
	v_mul_f64 v[99:100], v[97:98], v[92:93]
	v_fma_f64 v[90:91], -v[90:91], v[99:100], v[97:98]
	v_div_fmas_f64 v[90:91], v[90:91], v[92:93], v[99:100]
	v_div_fixup_f64 v[90:91], v[90:91], v[119:120], v[117:118]
	v_fma_f64 v[92:93], v[117:118], v[90:91], v[119:120]
	v_div_scale_f64 v[97:98], s[20:21], v[92:93], v[92:93], 1.0
	v_div_scale_f64 v[103:104], vcc, 1.0, v[92:93], 1.0
	v_rcp_f64_e32 v[99:100], v[97:98]
	v_fma_f64 v[101:102], -v[97:98], v[99:100], 1.0
	v_fma_f64 v[99:100], v[99:100], v[101:102], v[99:100]
	v_fma_f64 v[101:102], -v[97:98], v[99:100], 1.0
	v_fma_f64 v[99:100], v[99:100], v[101:102], v[99:100]
	v_mul_f64 v[101:102], v[103:104], v[99:100]
	v_fma_f64 v[97:98], -v[97:98], v[101:102], v[103:104]
	v_div_fmas_f64 v[97:98], v[97:98], v[99:100], v[101:102]
	v_div_fixup_f64 v[119:120], v[97:98], v[92:93], 1.0
	v_mul_f64 v[117:118], v[90:91], v[119:120]
	v_xor_b32_e32 v120, 0x80000000, v120
.LBB106_595:
	s_andn2_saveexec_b64 s[18:19], s[18:19]
	s_cbranch_execz .LBB106_597
; %bb.596:
	v_div_scale_f64 v[90:91], s[20:21], v[117:118], v[117:118], v[119:120]
	v_rcp_f64_e32 v[92:93], v[90:91]
	v_fma_f64 v[97:98], -v[90:91], v[92:93], 1.0
	v_fma_f64 v[92:93], v[92:93], v[97:98], v[92:93]
	v_div_scale_f64 v[97:98], vcc, v[119:120], v[117:118], v[119:120]
	v_fma_f64 v[99:100], -v[90:91], v[92:93], 1.0
	v_fma_f64 v[92:93], v[92:93], v[99:100], v[92:93]
	v_mul_f64 v[99:100], v[97:98], v[92:93]
	v_fma_f64 v[90:91], -v[90:91], v[99:100], v[97:98]
	v_div_fmas_f64 v[90:91], v[90:91], v[92:93], v[99:100]
	v_div_fixup_f64 v[90:91], v[90:91], v[117:118], v[119:120]
	v_fma_f64 v[92:93], v[119:120], v[90:91], v[117:118]
	v_div_scale_f64 v[97:98], s[20:21], v[92:93], v[92:93], 1.0
	v_div_scale_f64 v[103:104], vcc, 1.0, v[92:93], 1.0
	v_rcp_f64_e32 v[99:100], v[97:98]
	v_fma_f64 v[101:102], -v[97:98], v[99:100], 1.0
	v_fma_f64 v[99:100], v[99:100], v[101:102], v[99:100]
	v_fma_f64 v[101:102], -v[97:98], v[99:100], 1.0
	v_fma_f64 v[99:100], v[99:100], v[101:102], v[99:100]
	v_mul_f64 v[101:102], v[103:104], v[99:100]
	v_fma_f64 v[97:98], -v[97:98], v[101:102], v[103:104]
	v_div_fmas_f64 v[97:98], v[97:98], v[99:100], v[101:102]
	v_div_fixup_f64 v[117:118], v[97:98], v[92:93], 1.0
	v_mul_f64 v[119:120], v[90:91], -v[117:118]
.LBB106_597:
	s_or_b64 exec, exec, s[18:19]
.LBB106_598:
	s_or_b64 exec, exec, s[0:1]
	v_cmp_ne_u32_e32 vcc, v96, v89
	s_and_saveexec_b64 s[0:1], vcc
	s_xor_b64 s[0:1], exec, s[0:1]
	s_cbranch_execz .LBB106_604
; %bb.599:
	v_cmp_eq_u32_e32 vcc, 28, v96
	s_and_saveexec_b64 s[18:19], vcc
	s_cbranch_execz .LBB106_603
; %bb.600:
	v_cmp_ne_u32_e32 vcc, 28, v89
	s_xor_b64 s[20:21], s[6:7], -1
	s_and_b64 s[22:23], s[20:21], vcc
	s_and_saveexec_b64 s[20:21], s[22:23]
	s_cbranch_execz .LBB106_602
; %bb.601:
	v_mov_b32_e32 v53, v81
	v_mov_b32_e32 v54, v82
	;; [unrolled: 1-line block ×4, first 2 shown]
	buffer_load_dword v81, off, s[24:27], 0 offset:436 ; 4-byte Folded Reload
	buffer_load_dword v82, off, s[24:27], 0 offset:440 ; 4-byte Folded Reload
	v_ashrrev_i32_e32 v90, 31, v89
	v_lshlrev_b64 v[90:91], 2, v[89:90]
	s_waitcnt vmcnt(1)
	v_add_co_u32_e32 v90, vcc, v81, v90
	s_waitcnt vmcnt(0)
	v_addc_co_u32_e32 v91, vcc, v82, v91, vcc
	global_load_dword v92, v[90:91], off
	global_load_dword v93, v[81:82], off offset:112
	s_waitcnt vmcnt(1)
	global_store_dword v[81:82], v92, off offset:112
	v_mov_b32_e32 v84, v56
	v_mov_b32_e32 v83, v55
	;; [unrolled: 1-line block ×4, first 2 shown]
	s_waitcnt vmcnt(1)
	global_store_dword v[90:91], v93, off
.LBB106_602:
	s_or_b64 exec, exec, s[20:21]
	v_mov_b32_e32 v96, v89
	v_mov_b32_e32 v53, v89
	buffer_store_dword v53, off, s[24:27], 0 offset:352 ; 4-byte Folded Spill
.LBB106_603:
	s_or_b64 exec, exec, s[18:19]
.LBB106_604:
	s_andn2_saveexec_b64 s[0:1], s[0:1]
	s_cbranch_execz .LBB106_606
; %bb.605:
	ds_write2_b64 v0, v[81:82], v[83:84] offset0:58 offset1:59
	ds_write2_b64 v0, v[85:86], v[87:88] offset0:60 offset1:61
	;; [unrolled: 1-line block ×10, first 2 shown]
	buffer_load_dword v53, off, s[24:27], 0 ; 4-byte Folded Reload
	buffer_load_dword v54, off, s[24:27], 0 offset:4 ; 4-byte Folded Reload
	buffer_load_dword v55, off, s[24:27], 0 offset:8 ; 4-byte Folded Reload
	;; [unrolled: 1-line block ×3, first 2 shown]
	v_mov_b32_e32 v96, 28
	s_waitcnt vmcnt(0)
	ds_write2_b64 v0, v[53:54], v[55:56] offset0:78 offset1:79
	ds_write2_b64 v0, v[49:50], v[51:52] offset0:80 offset1:81
	;; [unrolled: 1-line block ×15, first 2 shown]
.LBB106_606:
	s_or_b64 exec, exec, s[0:1]
	v_cmp_lt_i32_e32 vcc, 28, v96
	s_waitcnt vmcnt(0) lgkmcnt(0)
	s_barrier
	s_and_saveexec_b64 s[0:1], vcc
	s_cbranch_execz .LBB106_608
; %bb.607:
	buffer_load_dword v97, off, s[24:27], 0 offset:16 ; 4-byte Folded Reload
	buffer_load_dword v98, off, s[24:27], 0 offset:20 ; 4-byte Folded Reload
	;; [unrolled: 1-line block ×4, first 2 shown]
	s_waitcnt vmcnt(0)
	v_mul_f64 v[91:92], v[117:118], v[99:100]
	v_mul_f64 v[89:90], v[119:120], v[99:100]
	v_fma_f64 v[99:100], v[119:120], v[97:98], v[91:92]
	ds_read2_b64 v[91:94], v0 offset0:58 offset1:59
	v_fma_f64 v[89:90], v[117:118], v[97:98], -v[89:90]
	s_waitcnt lgkmcnt(0)
	v_mul_f64 v[97:98], v[93:94], v[99:100]
	v_fma_f64 v[97:98], v[91:92], v[89:90], -v[97:98]
	v_mul_f64 v[91:92], v[91:92], v[99:100]
	v_add_f64 v[81:82], v[81:82], -v[97:98]
	v_fma_f64 v[91:92], v[93:94], v[89:90], v[91:92]
	v_add_f64 v[83:84], v[83:84], -v[91:92]
	ds_read2_b64 v[91:94], v0 offset0:60 offset1:61
	s_waitcnt lgkmcnt(0)
	v_mul_f64 v[97:98], v[93:94], v[99:100]
	v_fma_f64 v[97:98], v[91:92], v[89:90], -v[97:98]
	v_mul_f64 v[91:92], v[91:92], v[99:100]
	v_add_f64 v[85:86], v[85:86], -v[97:98]
	v_fma_f64 v[91:92], v[93:94], v[89:90], v[91:92]
	v_add_f64 v[87:88], v[87:88], -v[91:92]
	ds_read2_b64 v[91:94], v0 offset0:62 offset1:63
	;; [unrolled: 8-line block ×10, first 2 shown]
	buffer_load_dword v53, off, s[24:27], 0 ; 4-byte Folded Reload
	buffer_load_dword v54, off, s[24:27], 0 offset:4 ; 4-byte Folded Reload
	buffer_load_dword v55, off, s[24:27], 0 offset:8 ; 4-byte Folded Reload
	;; [unrolled: 1-line block ×3, first 2 shown]
	s_waitcnt lgkmcnt(0)
	v_mul_f64 v[97:98], v[93:94], v[99:100]
	v_fma_f64 v[97:98], v[91:92], v[89:90], -v[97:98]
	v_mul_f64 v[91:92], v[91:92], v[99:100]
	v_fma_f64 v[91:92], v[93:94], v[89:90], v[91:92]
	s_waitcnt vmcnt(2)
	v_add_f64 v[53:54], v[53:54], -v[97:98]
	s_waitcnt vmcnt(0)
	v_add_f64 v[55:56], v[55:56], -v[91:92]
	buffer_store_dword v53, off, s[24:27], 0 ; 4-byte Folded Spill
	s_nop 0
	buffer_store_dword v54, off, s[24:27], 0 offset:4 ; 4-byte Folded Spill
	buffer_store_dword v55, off, s[24:27], 0 offset:8 ; 4-byte Folded Spill
	;; [unrolled: 1-line block ×3, first 2 shown]
	ds_read2_b64 v[91:94], v0 offset0:80 offset1:81
	s_waitcnt lgkmcnt(0)
	v_mul_f64 v[97:98], v[93:94], v[99:100]
	v_fma_f64 v[97:98], v[91:92], v[89:90], -v[97:98]
	v_mul_f64 v[91:92], v[91:92], v[99:100]
	v_add_f64 v[49:50], v[49:50], -v[97:98]
	v_fma_f64 v[91:92], v[93:94], v[89:90], v[91:92]
	v_add_f64 v[51:52], v[51:52], -v[91:92]
	ds_read2_b64 v[91:94], v0 offset0:82 offset1:83
	s_waitcnt lgkmcnt(0)
	v_mul_f64 v[97:98], v[93:94], v[99:100]
	v_fma_f64 v[97:98], v[91:92], v[89:90], -v[97:98]
	v_mul_f64 v[91:92], v[91:92], v[99:100]
	v_add_f64 v[45:46], v[45:46], -v[97:98]
	v_fma_f64 v[91:92], v[93:94], v[89:90], v[91:92]
	v_add_f64 v[47:48], v[47:48], -v[91:92]
	;; [unrolled: 8-line block ×13, first 2 shown]
	ds_read2_b64 v[91:94], v0 offset0:106 offset1:107
	s_waitcnt lgkmcnt(0)
	v_mul_f64 v[97:98], v[93:94], v[99:100]
	v_fma_f64 v[97:98], v[91:92], v[89:90], -v[97:98]
	v_mul_f64 v[91:92], v[91:92], v[99:100]
	v_add_f64 v[121:122], v[121:122], -v[97:98]
	v_fma_f64 v[91:92], v[93:94], v[89:90], v[91:92]
	v_mov_b32_e32 v98, v90
	v_mov_b32_e32 v97, v89
	buffer_store_dword v97, off, s[24:27], 0 offset:16 ; 4-byte Folded Spill
	s_nop 0
	buffer_store_dword v98, off, s[24:27], 0 offset:20 ; 4-byte Folded Spill
	buffer_store_dword v99, off, s[24:27], 0 offset:24 ; 4-byte Folded Spill
	;; [unrolled: 1-line block ×3, first 2 shown]
	v_add_f64 v[123:124], v[123:124], -v[91:92]
.LBB106_608:
	s_or_b64 exec, exec, s[0:1]
	v_lshl_add_u32 v89, v96, 4, v0
	s_waitcnt vmcnt(0)
	s_barrier
	ds_write2_b64 v89, v[81:82], v[83:84] offset1:1
	s_waitcnt lgkmcnt(0)
	s_barrier
	ds_read2_b64 v[117:120], v0 offset0:58 offset1:59
	s_cmp_lt_i32 s3, 31
	v_mov_b32_e32 v89, 29
	s_cbranch_scc1 .LBB106_611
; %bb.609:
	v_add_u32_e32 v90, 0x1e0, v0
	s_mov_b32 s0, 30
	v_mov_b32_e32 v89, 29
.LBB106_610:                            ; =>This Inner Loop Header: Depth=1
	s_waitcnt lgkmcnt(0)
	v_cmp_gt_f64_e32 vcc, 0, v[117:118]
	v_xor_b32_e32 v97, 0x80000000, v118
	ds_read2_b64 v[91:94], v90 offset1:1
	v_xor_b32_e32 v99, 0x80000000, v120
	v_add_u32_e32 v90, 16, v90
	s_waitcnt lgkmcnt(0)
	v_xor_b32_e32 v101, 0x80000000, v94
	v_cndmask_b32_e32 v98, v118, v97, vcc
	v_cmp_gt_f64_e32 vcc, 0, v[119:120]
	v_mov_b32_e32 v97, v117
	v_cndmask_b32_e32 v100, v120, v99, vcc
	v_cmp_gt_f64_e32 vcc, 0, v[91:92]
	v_mov_b32_e32 v99, v119
	v_add_f64 v[97:98], v[97:98], v[99:100]
	v_xor_b32_e32 v99, 0x80000000, v92
	v_cndmask_b32_e32 v100, v92, v99, vcc
	v_cmp_gt_f64_e32 vcc, 0, v[93:94]
	v_mov_b32_e32 v99, v91
	v_cndmask_b32_e32 v102, v94, v101, vcc
	v_mov_b32_e32 v101, v93
	v_add_f64 v[99:100], v[99:100], v[101:102]
	v_cmp_lt_f64_e32 vcc, v[97:98], v[99:100]
	v_cndmask_b32_e32 v117, v117, v91, vcc
	v_mov_b32_e32 v91, s0
	s_add_i32 s0, s0, 1
	v_cndmask_b32_e32 v118, v118, v92, vcc
	v_cndmask_b32_e32 v120, v120, v94, vcc
	;; [unrolled: 1-line block ×4, first 2 shown]
	s_cmp_lg_u32 s3, s0
	s_cbranch_scc1 .LBB106_610
.LBB106_611:
	s_waitcnt lgkmcnt(0)
	v_cmp_eq_f64_e32 vcc, 0, v[117:118]
	v_cmp_eq_f64_e64 s[0:1], 0, v[119:120]
	s_and_b64 s[0:1], vcc, s[0:1]
	s_and_saveexec_b64 s[18:19], s[0:1]
	s_xor_b64 s[0:1], exec, s[18:19]
; %bb.612:
	v_cmp_ne_u32_e32 vcc, 0, v95
	v_cndmask_b32_e32 v95, 30, v95, vcc
; %bb.613:
	s_andn2_saveexec_b64 s[0:1], s[0:1]
	s_cbranch_execz .LBB106_619
; %bb.614:
	v_cmp_ngt_f64_e64 s[18:19], |v[117:118]|, |v[119:120]|
	s_and_saveexec_b64 s[20:21], s[18:19]
	s_xor_b64 s[18:19], exec, s[20:21]
	s_cbranch_execz .LBB106_616
; %bb.615:
	v_div_scale_f64 v[90:91], s[20:21], v[119:120], v[119:120], v[117:118]
	v_rcp_f64_e32 v[92:93], v[90:91]
	v_fma_f64 v[97:98], -v[90:91], v[92:93], 1.0
	v_fma_f64 v[92:93], v[92:93], v[97:98], v[92:93]
	v_div_scale_f64 v[97:98], vcc, v[117:118], v[119:120], v[117:118]
	v_fma_f64 v[99:100], -v[90:91], v[92:93], 1.0
	v_fma_f64 v[92:93], v[92:93], v[99:100], v[92:93]
	v_mul_f64 v[99:100], v[97:98], v[92:93]
	v_fma_f64 v[90:91], -v[90:91], v[99:100], v[97:98]
	v_div_fmas_f64 v[90:91], v[90:91], v[92:93], v[99:100]
	v_div_fixup_f64 v[90:91], v[90:91], v[119:120], v[117:118]
	v_fma_f64 v[92:93], v[117:118], v[90:91], v[119:120]
	v_div_scale_f64 v[97:98], s[20:21], v[92:93], v[92:93], 1.0
	v_div_scale_f64 v[103:104], vcc, 1.0, v[92:93], 1.0
	v_rcp_f64_e32 v[99:100], v[97:98]
	v_fma_f64 v[101:102], -v[97:98], v[99:100], 1.0
	v_fma_f64 v[99:100], v[99:100], v[101:102], v[99:100]
	v_fma_f64 v[101:102], -v[97:98], v[99:100], 1.0
	v_fma_f64 v[99:100], v[99:100], v[101:102], v[99:100]
	v_mul_f64 v[101:102], v[103:104], v[99:100]
	v_fma_f64 v[97:98], -v[97:98], v[101:102], v[103:104]
	v_div_fmas_f64 v[97:98], v[97:98], v[99:100], v[101:102]
	v_div_fixup_f64 v[119:120], v[97:98], v[92:93], 1.0
	v_mul_f64 v[117:118], v[90:91], v[119:120]
	v_xor_b32_e32 v120, 0x80000000, v120
.LBB106_616:
	s_andn2_saveexec_b64 s[18:19], s[18:19]
	s_cbranch_execz .LBB106_618
; %bb.617:
	v_div_scale_f64 v[90:91], s[20:21], v[117:118], v[117:118], v[119:120]
	v_rcp_f64_e32 v[92:93], v[90:91]
	v_fma_f64 v[97:98], -v[90:91], v[92:93], 1.0
	v_fma_f64 v[92:93], v[92:93], v[97:98], v[92:93]
	v_div_scale_f64 v[97:98], vcc, v[119:120], v[117:118], v[119:120]
	v_fma_f64 v[99:100], -v[90:91], v[92:93], 1.0
	v_fma_f64 v[92:93], v[92:93], v[99:100], v[92:93]
	v_mul_f64 v[99:100], v[97:98], v[92:93]
	v_fma_f64 v[90:91], -v[90:91], v[99:100], v[97:98]
	v_div_fmas_f64 v[90:91], v[90:91], v[92:93], v[99:100]
	v_div_fixup_f64 v[90:91], v[90:91], v[117:118], v[119:120]
	v_fma_f64 v[92:93], v[119:120], v[90:91], v[117:118]
	v_div_scale_f64 v[97:98], s[20:21], v[92:93], v[92:93], 1.0
	v_div_scale_f64 v[103:104], vcc, 1.0, v[92:93], 1.0
	v_rcp_f64_e32 v[99:100], v[97:98]
	v_fma_f64 v[101:102], -v[97:98], v[99:100], 1.0
	v_fma_f64 v[99:100], v[99:100], v[101:102], v[99:100]
	v_fma_f64 v[101:102], -v[97:98], v[99:100], 1.0
	v_fma_f64 v[99:100], v[99:100], v[101:102], v[99:100]
	v_mul_f64 v[101:102], v[103:104], v[99:100]
	v_fma_f64 v[97:98], -v[97:98], v[101:102], v[103:104]
	v_div_fmas_f64 v[97:98], v[97:98], v[99:100], v[101:102]
	v_div_fixup_f64 v[117:118], v[97:98], v[92:93], 1.0
	v_mul_f64 v[119:120], v[90:91], -v[117:118]
.LBB106_618:
	s_or_b64 exec, exec, s[18:19]
.LBB106_619:
	s_or_b64 exec, exec, s[0:1]
	v_cmp_ne_u32_e32 vcc, v96, v89
	s_and_saveexec_b64 s[0:1], vcc
	s_xor_b64 s[0:1], exec, s[0:1]
	s_cbranch_execz .LBB106_625
; %bb.620:
	v_cmp_eq_u32_e32 vcc, 29, v96
	s_and_saveexec_b64 s[18:19], vcc
	s_cbranch_execz .LBB106_624
; %bb.621:
	v_cmp_ne_u32_e32 vcc, 29, v89
	s_xor_b64 s[20:21], s[6:7], -1
	s_and_b64 s[22:23], s[20:21], vcc
	s_and_saveexec_b64 s[20:21], s[22:23]
	s_cbranch_execz .LBB106_623
; %bb.622:
	v_mov_b32_e32 v53, v81
	v_mov_b32_e32 v54, v82
	;; [unrolled: 1-line block ×4, first 2 shown]
	buffer_load_dword v81, off, s[24:27], 0 offset:436 ; 4-byte Folded Reload
	buffer_load_dword v82, off, s[24:27], 0 offset:440 ; 4-byte Folded Reload
	v_ashrrev_i32_e32 v90, 31, v89
	v_lshlrev_b64 v[90:91], 2, v[89:90]
	s_waitcnt vmcnt(1)
	v_add_co_u32_e32 v90, vcc, v81, v90
	s_waitcnt vmcnt(0)
	v_addc_co_u32_e32 v91, vcc, v82, v91, vcc
	global_load_dword v92, v[90:91], off
	global_load_dword v93, v[81:82], off offset:116
	s_waitcnt vmcnt(1)
	global_store_dword v[81:82], v92, off offset:116
	v_mov_b32_e32 v84, v56
	v_mov_b32_e32 v83, v55
	;; [unrolled: 1-line block ×4, first 2 shown]
	s_waitcnt vmcnt(1)
	global_store_dword v[90:91], v93, off
.LBB106_623:
	s_or_b64 exec, exec, s[20:21]
	v_mov_b32_e32 v96, v89
	v_mov_b32_e32 v53, v89
	buffer_store_dword v53, off, s[24:27], 0 offset:352 ; 4-byte Folded Spill
.LBB106_624:
	s_or_b64 exec, exec, s[18:19]
.LBB106_625:
	s_andn2_saveexec_b64 s[0:1], s[0:1]
	s_cbranch_execz .LBB106_627
; %bb.626:
	ds_write2_b64 v0, v[85:86], v[87:88] offset0:60 offset1:61
	ds_write2_b64 v0, v[109:110], v[111:112] offset0:62 offset1:63
	;; [unrolled: 1-line block ×9, first 2 shown]
	buffer_load_dword v53, off, s[24:27], 0 ; 4-byte Folded Reload
	buffer_load_dword v54, off, s[24:27], 0 offset:4 ; 4-byte Folded Reload
	buffer_load_dword v55, off, s[24:27], 0 offset:8 ; 4-byte Folded Reload
	;; [unrolled: 1-line block ×3, first 2 shown]
	v_mov_b32_e32 v96, 29
	s_waitcnt vmcnt(0)
	ds_write2_b64 v0, v[53:54], v[55:56] offset0:78 offset1:79
	ds_write2_b64 v0, v[49:50], v[51:52] offset0:80 offset1:81
	;; [unrolled: 1-line block ×15, first 2 shown]
.LBB106_627:
	s_or_b64 exec, exec, s[0:1]
	v_cmp_lt_i32_e32 vcc, 29, v96
	s_waitcnt vmcnt(0) lgkmcnt(0)
	s_barrier
	s_and_saveexec_b64 s[0:1], vcc
	s_cbranch_execz .LBB106_629
; %bb.628:
	v_mul_f64 v[91:92], v[117:118], v[83:84]
	v_mul_f64 v[89:90], v[119:120], v[83:84]
	v_fma_f64 v[83:84], v[119:120], v[81:82], v[91:92]
	ds_read2_b64 v[91:94], v0 offset0:60 offset1:61
	v_fma_f64 v[89:90], v[117:118], v[81:82], -v[89:90]
	s_waitcnt lgkmcnt(0)
	v_mul_f64 v[97:98], v[93:94], v[83:84]
	v_mov_b32_e32 v81, v89
	v_mov_b32_e32 v82, v90
	v_fma_f64 v[97:98], v[91:92], v[89:90], -v[97:98]
	v_mul_f64 v[91:92], v[91:92], v[83:84]
	v_add_f64 v[85:86], v[85:86], -v[97:98]
	v_fma_f64 v[91:92], v[93:94], v[89:90], v[91:92]
	v_add_f64 v[87:88], v[87:88], -v[91:92]
	ds_read2_b64 v[91:94], v0 offset0:62 offset1:63
	s_waitcnt lgkmcnt(0)
	v_mul_f64 v[97:98], v[93:94], v[83:84]
	v_fma_f64 v[97:98], v[91:92], v[89:90], -v[97:98]
	v_mul_f64 v[91:92], v[91:92], v[83:84]
	v_add_f64 v[109:110], v[109:110], -v[97:98]
	v_fma_f64 v[91:92], v[93:94], v[89:90], v[91:92]
	v_add_f64 v[111:112], v[111:112], -v[91:92]
	ds_read2_b64 v[91:94], v0 offset0:64 offset1:65
	s_waitcnt lgkmcnt(0)
	v_mul_f64 v[97:98], v[93:94], v[83:84]
	;; [unrolled: 8-line block ×8, first 2 shown]
	v_fma_f64 v[97:98], v[91:92], v[89:90], -v[97:98]
	v_mul_f64 v[91:92], v[91:92], v[83:84]
	v_add_f64 v[57:58], v[57:58], -v[97:98]
	v_fma_f64 v[91:92], v[93:94], v[89:90], v[91:92]
	v_add_f64 v[59:60], v[59:60], -v[91:92]
	ds_read2_b64 v[91:94], v0 offset0:78 offset1:79
	buffer_load_dword v53, off, s[24:27], 0 ; 4-byte Folded Reload
	buffer_load_dword v54, off, s[24:27], 0 offset:4 ; 4-byte Folded Reload
	buffer_load_dword v55, off, s[24:27], 0 offset:8 ; 4-byte Folded Reload
	;; [unrolled: 1-line block ×3, first 2 shown]
	s_waitcnt lgkmcnt(0)
	v_mul_f64 v[97:98], v[93:94], v[83:84]
	v_fma_f64 v[97:98], v[91:92], v[89:90], -v[97:98]
	v_mul_f64 v[91:92], v[91:92], v[83:84]
	v_fma_f64 v[91:92], v[93:94], v[89:90], v[91:92]
	s_waitcnt vmcnt(2)
	v_add_f64 v[53:54], v[53:54], -v[97:98]
	s_waitcnt vmcnt(0)
	v_add_f64 v[55:56], v[55:56], -v[91:92]
	buffer_store_dword v53, off, s[24:27], 0 ; 4-byte Folded Spill
	s_nop 0
	buffer_store_dword v54, off, s[24:27], 0 offset:4 ; 4-byte Folded Spill
	buffer_store_dword v55, off, s[24:27], 0 offset:8 ; 4-byte Folded Spill
	;; [unrolled: 1-line block ×3, first 2 shown]
	ds_read2_b64 v[91:94], v0 offset0:80 offset1:81
	s_waitcnt lgkmcnt(0)
	v_mul_f64 v[97:98], v[93:94], v[83:84]
	v_fma_f64 v[97:98], v[91:92], v[89:90], -v[97:98]
	v_mul_f64 v[91:92], v[91:92], v[83:84]
	v_add_f64 v[49:50], v[49:50], -v[97:98]
	v_fma_f64 v[91:92], v[93:94], v[89:90], v[91:92]
	v_add_f64 v[51:52], v[51:52], -v[91:92]
	ds_read2_b64 v[91:94], v0 offset0:82 offset1:83
	s_waitcnt lgkmcnt(0)
	v_mul_f64 v[97:98], v[93:94], v[83:84]
	v_fma_f64 v[97:98], v[91:92], v[89:90], -v[97:98]
	v_mul_f64 v[91:92], v[91:92], v[83:84]
	v_add_f64 v[45:46], v[45:46], -v[97:98]
	v_fma_f64 v[91:92], v[93:94], v[89:90], v[91:92]
	v_add_f64 v[47:48], v[47:48], -v[91:92]
	;; [unrolled: 8-line block ×14, first 2 shown]
.LBB106_629:
	s_or_b64 exec, exec, s[0:1]
	v_lshl_add_u32 v89, v96, 4, v0
	s_waitcnt vmcnt(0)
	s_barrier
	ds_write2_b64 v89, v[85:86], v[87:88] offset1:1
	s_waitcnt lgkmcnt(0)
	s_barrier
	ds_read2_b64 v[117:120], v0 offset0:60 offset1:61
	s_cmp_lt_i32 s3, 32
	v_mov_b32_e32 v89, 30
	s_cbranch_scc1 .LBB106_632
; %bb.630:
	v_add_u32_e32 v90, 0x1f0, v0
	s_mov_b32 s0, 31
	v_mov_b32_e32 v89, 30
.LBB106_631:                            ; =>This Inner Loop Header: Depth=1
	s_waitcnt lgkmcnt(0)
	v_cmp_gt_f64_e32 vcc, 0, v[117:118]
	v_xor_b32_e32 v97, 0x80000000, v118
	ds_read2_b64 v[91:94], v90 offset1:1
	v_xor_b32_e32 v99, 0x80000000, v120
	v_add_u32_e32 v90, 16, v90
	s_waitcnt lgkmcnt(0)
	v_xor_b32_e32 v101, 0x80000000, v94
	v_cndmask_b32_e32 v98, v118, v97, vcc
	v_cmp_gt_f64_e32 vcc, 0, v[119:120]
	v_mov_b32_e32 v97, v117
	v_cndmask_b32_e32 v100, v120, v99, vcc
	v_cmp_gt_f64_e32 vcc, 0, v[91:92]
	v_mov_b32_e32 v99, v119
	v_add_f64 v[97:98], v[97:98], v[99:100]
	v_xor_b32_e32 v99, 0x80000000, v92
	v_cndmask_b32_e32 v100, v92, v99, vcc
	v_cmp_gt_f64_e32 vcc, 0, v[93:94]
	v_mov_b32_e32 v99, v91
	v_cndmask_b32_e32 v102, v94, v101, vcc
	v_mov_b32_e32 v101, v93
	v_add_f64 v[99:100], v[99:100], v[101:102]
	v_cmp_lt_f64_e32 vcc, v[97:98], v[99:100]
	v_cndmask_b32_e32 v117, v117, v91, vcc
	v_mov_b32_e32 v91, s0
	s_add_i32 s0, s0, 1
	v_cndmask_b32_e32 v118, v118, v92, vcc
	v_cndmask_b32_e32 v120, v120, v94, vcc
	;; [unrolled: 1-line block ×4, first 2 shown]
	s_cmp_lg_u32 s3, s0
	s_cbranch_scc1 .LBB106_631
.LBB106_632:
	s_waitcnt lgkmcnt(0)
	v_cmp_eq_f64_e32 vcc, 0, v[117:118]
	v_cmp_eq_f64_e64 s[0:1], 0, v[119:120]
	s_and_b64 s[0:1], vcc, s[0:1]
	s_and_saveexec_b64 s[18:19], s[0:1]
	s_xor_b64 s[0:1], exec, s[18:19]
; %bb.633:
	v_cmp_ne_u32_e32 vcc, 0, v95
	v_cndmask_b32_e32 v95, 31, v95, vcc
; %bb.634:
	s_andn2_saveexec_b64 s[0:1], s[0:1]
	s_cbranch_execz .LBB106_640
; %bb.635:
	v_cmp_ngt_f64_e64 s[18:19], |v[117:118]|, |v[119:120]|
	s_and_saveexec_b64 s[20:21], s[18:19]
	s_xor_b64 s[18:19], exec, s[20:21]
	s_cbranch_execz .LBB106_637
; %bb.636:
	v_div_scale_f64 v[90:91], s[20:21], v[119:120], v[119:120], v[117:118]
	v_rcp_f64_e32 v[92:93], v[90:91]
	v_fma_f64 v[97:98], -v[90:91], v[92:93], 1.0
	v_fma_f64 v[92:93], v[92:93], v[97:98], v[92:93]
	v_div_scale_f64 v[97:98], vcc, v[117:118], v[119:120], v[117:118]
	v_fma_f64 v[99:100], -v[90:91], v[92:93], 1.0
	v_fma_f64 v[92:93], v[92:93], v[99:100], v[92:93]
	v_mul_f64 v[99:100], v[97:98], v[92:93]
	v_fma_f64 v[90:91], -v[90:91], v[99:100], v[97:98]
	v_div_fmas_f64 v[90:91], v[90:91], v[92:93], v[99:100]
	v_div_fixup_f64 v[90:91], v[90:91], v[119:120], v[117:118]
	v_fma_f64 v[92:93], v[117:118], v[90:91], v[119:120]
	v_div_scale_f64 v[97:98], s[20:21], v[92:93], v[92:93], 1.0
	v_div_scale_f64 v[103:104], vcc, 1.0, v[92:93], 1.0
	v_rcp_f64_e32 v[99:100], v[97:98]
	v_fma_f64 v[101:102], -v[97:98], v[99:100], 1.0
	v_fma_f64 v[99:100], v[99:100], v[101:102], v[99:100]
	v_fma_f64 v[101:102], -v[97:98], v[99:100], 1.0
	v_fma_f64 v[99:100], v[99:100], v[101:102], v[99:100]
	v_mul_f64 v[101:102], v[103:104], v[99:100]
	v_fma_f64 v[97:98], -v[97:98], v[101:102], v[103:104]
	v_div_fmas_f64 v[97:98], v[97:98], v[99:100], v[101:102]
	v_div_fixup_f64 v[119:120], v[97:98], v[92:93], 1.0
	v_mul_f64 v[117:118], v[90:91], v[119:120]
	v_xor_b32_e32 v120, 0x80000000, v120
.LBB106_637:
	s_andn2_saveexec_b64 s[18:19], s[18:19]
	s_cbranch_execz .LBB106_639
; %bb.638:
	v_div_scale_f64 v[90:91], s[20:21], v[117:118], v[117:118], v[119:120]
	v_rcp_f64_e32 v[92:93], v[90:91]
	v_fma_f64 v[97:98], -v[90:91], v[92:93], 1.0
	v_fma_f64 v[92:93], v[92:93], v[97:98], v[92:93]
	v_div_scale_f64 v[97:98], vcc, v[119:120], v[117:118], v[119:120]
	v_fma_f64 v[99:100], -v[90:91], v[92:93], 1.0
	v_fma_f64 v[92:93], v[92:93], v[99:100], v[92:93]
	v_mul_f64 v[99:100], v[97:98], v[92:93]
	v_fma_f64 v[90:91], -v[90:91], v[99:100], v[97:98]
	v_div_fmas_f64 v[90:91], v[90:91], v[92:93], v[99:100]
	v_div_fixup_f64 v[90:91], v[90:91], v[117:118], v[119:120]
	v_fma_f64 v[92:93], v[119:120], v[90:91], v[117:118]
	v_div_scale_f64 v[97:98], s[20:21], v[92:93], v[92:93], 1.0
	v_div_scale_f64 v[103:104], vcc, 1.0, v[92:93], 1.0
	v_rcp_f64_e32 v[99:100], v[97:98]
	v_fma_f64 v[101:102], -v[97:98], v[99:100], 1.0
	v_fma_f64 v[99:100], v[99:100], v[101:102], v[99:100]
	v_fma_f64 v[101:102], -v[97:98], v[99:100], 1.0
	v_fma_f64 v[99:100], v[99:100], v[101:102], v[99:100]
	v_mul_f64 v[101:102], v[103:104], v[99:100]
	v_fma_f64 v[97:98], -v[97:98], v[101:102], v[103:104]
	v_div_fmas_f64 v[97:98], v[97:98], v[99:100], v[101:102]
	v_div_fixup_f64 v[117:118], v[97:98], v[92:93], 1.0
	v_mul_f64 v[119:120], v[90:91], -v[117:118]
.LBB106_639:
	s_or_b64 exec, exec, s[18:19]
.LBB106_640:
	s_or_b64 exec, exec, s[0:1]
	v_cmp_ne_u32_e32 vcc, v96, v89
	s_mov_b64 s[0:1], exec
	s_and_b64 s[18:19], s[0:1], vcc
	v_mov_b32_e32 v108, v84
	s_xor_b64 s[0:1], s[18:19], s[0:1]
	v_mov_b32_e32 v107, v83
	v_mov_b32_e32 v106, v82
	;; [unrolled: 1-line block ×3, first 2 shown]
	s_mov_b64 exec, s[18:19]
	s_cbranch_execz .LBB106_646
; %bb.641:
	v_cmp_eq_u32_e32 vcc, 30, v96
	s_and_saveexec_b64 s[18:19], vcc
	s_cbranch_execz .LBB106_645
; %bb.642:
	v_cmp_ne_u32_e32 vcc, 30, v89
	s_xor_b64 s[20:21], s[6:7], -1
	s_and_b64 s[22:23], s[20:21], vcc
	s_and_saveexec_b64 s[20:21], s[22:23]
	s_cbranch_execz .LBB106_644
; %bb.643:
	buffer_load_dword v81, off, s[24:27], 0 offset:436 ; 4-byte Folded Reload
	buffer_load_dword v82, off, s[24:27], 0 offset:440 ; 4-byte Folded Reload
	v_ashrrev_i32_e32 v90, 31, v89
	v_lshlrev_b64 v[90:91], 2, v[89:90]
	s_waitcnt vmcnt(1)
	v_add_co_u32_e32 v90, vcc, v81, v90
	s_waitcnt vmcnt(0)
	v_addc_co_u32_e32 v91, vcc, v82, v91, vcc
	global_load_dword v92, v[90:91], off
	global_load_dword v93, v[81:82], off offset:120
	s_waitcnt vmcnt(1)
	global_store_dword v[81:82], v92, off offset:120
	v_mov_b32_e32 v81, v105
	v_mov_b32_e32 v82, v106
	;; [unrolled: 1-line block ×4, first 2 shown]
	s_waitcnt vmcnt(1)
	global_store_dword v[90:91], v93, off
.LBB106_644:
	s_or_b64 exec, exec, s[20:21]
	v_mov_b32_e32 v96, v89
	v_mov_b32_e32 v53, v89
	buffer_store_dword v53, off, s[24:27], 0 offset:352 ; 4-byte Folded Spill
.LBB106_645:
	s_or_b64 exec, exec, s[18:19]
.LBB106_646:
	s_andn2_saveexec_b64 s[0:1], s[0:1]
	s_cbranch_execz .LBB106_648
; %bb.647:
	ds_write2_b64 v0, v[109:110], v[111:112] offset0:62 offset1:63
	ds_write2_b64 v0, v[113:114], v[115:116] offset0:64 offset1:65
	;; [unrolled: 1-line block ×8, first 2 shown]
	buffer_load_dword v53, off, s[24:27], 0 ; 4-byte Folded Reload
	buffer_load_dword v54, off, s[24:27], 0 offset:4 ; 4-byte Folded Reload
	buffer_load_dword v55, off, s[24:27], 0 offset:8 ; 4-byte Folded Reload
	;; [unrolled: 1-line block ×3, first 2 shown]
	v_mov_b32_e32 v96, 30
	s_waitcnt vmcnt(0)
	ds_write2_b64 v0, v[53:54], v[55:56] offset0:78 offset1:79
	ds_write2_b64 v0, v[49:50], v[51:52] offset0:80 offset1:81
	;; [unrolled: 1-line block ×15, first 2 shown]
.LBB106_648:
	s_or_b64 exec, exec, s[0:1]
	v_cmp_lt_i32_e32 vcc, 30, v96
	s_waitcnt vmcnt(0) lgkmcnt(0)
	s_barrier
	s_and_saveexec_b64 s[0:1], vcc
	s_cbranch_execz .LBB106_650
; %bb.649:
	v_mul_f64 v[91:92], v[117:118], v[87:88]
	v_mul_f64 v[89:90], v[119:120], v[87:88]
	v_fma_f64 v[87:88], v[119:120], v[85:86], v[91:92]
	ds_read2_b64 v[91:94], v0 offset0:62 offset1:63
	v_fma_f64 v[89:90], v[117:118], v[85:86], -v[89:90]
	s_waitcnt lgkmcnt(0)
	v_mul_f64 v[97:98], v[93:94], v[87:88]
	v_mov_b32_e32 v85, v89
	v_mov_b32_e32 v86, v90
	v_fma_f64 v[97:98], v[91:92], v[89:90], -v[97:98]
	v_mul_f64 v[91:92], v[91:92], v[87:88]
	v_add_f64 v[109:110], v[109:110], -v[97:98]
	v_fma_f64 v[91:92], v[93:94], v[89:90], v[91:92]
	v_add_f64 v[111:112], v[111:112], -v[91:92]
	ds_read2_b64 v[91:94], v0 offset0:64 offset1:65
	s_waitcnt lgkmcnt(0)
	v_mul_f64 v[97:98], v[93:94], v[87:88]
	v_fma_f64 v[97:98], v[91:92], v[89:90], -v[97:98]
	v_mul_f64 v[91:92], v[91:92], v[87:88]
	v_add_f64 v[113:114], v[113:114], -v[97:98]
	v_fma_f64 v[91:92], v[93:94], v[89:90], v[91:92]
	v_add_f64 v[115:116], v[115:116], -v[91:92]
	ds_read2_b64 v[91:94], v0 offset0:66 offset1:67
	s_waitcnt lgkmcnt(0)
	v_mul_f64 v[97:98], v[93:94], v[87:88]
	;; [unrolled: 8-line block ×7, first 2 shown]
	v_fma_f64 v[97:98], v[91:92], v[89:90], -v[97:98]
	v_mul_f64 v[91:92], v[91:92], v[87:88]
	v_add_f64 v[57:58], v[57:58], -v[97:98]
	v_fma_f64 v[91:92], v[93:94], v[89:90], v[91:92]
	v_add_f64 v[59:60], v[59:60], -v[91:92]
	ds_read2_b64 v[91:94], v0 offset0:78 offset1:79
	buffer_load_dword v53, off, s[24:27], 0 ; 4-byte Folded Reload
	buffer_load_dword v54, off, s[24:27], 0 offset:4 ; 4-byte Folded Reload
	buffer_load_dword v55, off, s[24:27], 0 offset:8 ; 4-byte Folded Reload
	;; [unrolled: 1-line block ×3, first 2 shown]
	s_waitcnt lgkmcnt(0)
	v_mul_f64 v[97:98], v[93:94], v[87:88]
	v_fma_f64 v[97:98], v[91:92], v[89:90], -v[97:98]
	v_mul_f64 v[91:92], v[91:92], v[87:88]
	v_fma_f64 v[91:92], v[93:94], v[89:90], v[91:92]
	s_waitcnt vmcnt(2)
	v_add_f64 v[53:54], v[53:54], -v[97:98]
	s_waitcnt vmcnt(0)
	v_add_f64 v[55:56], v[55:56], -v[91:92]
	buffer_store_dword v53, off, s[24:27], 0 ; 4-byte Folded Spill
	s_nop 0
	buffer_store_dword v54, off, s[24:27], 0 offset:4 ; 4-byte Folded Spill
	buffer_store_dword v55, off, s[24:27], 0 offset:8 ; 4-byte Folded Spill
	;; [unrolled: 1-line block ×3, first 2 shown]
	ds_read2_b64 v[91:94], v0 offset0:80 offset1:81
	s_waitcnt lgkmcnt(0)
	v_mul_f64 v[97:98], v[93:94], v[87:88]
	v_fma_f64 v[97:98], v[91:92], v[89:90], -v[97:98]
	v_mul_f64 v[91:92], v[91:92], v[87:88]
	v_add_f64 v[49:50], v[49:50], -v[97:98]
	v_fma_f64 v[91:92], v[93:94], v[89:90], v[91:92]
	v_add_f64 v[51:52], v[51:52], -v[91:92]
	ds_read2_b64 v[91:94], v0 offset0:82 offset1:83
	s_waitcnt lgkmcnt(0)
	v_mul_f64 v[97:98], v[93:94], v[87:88]
	v_fma_f64 v[97:98], v[91:92], v[89:90], -v[97:98]
	v_mul_f64 v[91:92], v[91:92], v[87:88]
	v_add_f64 v[45:46], v[45:46], -v[97:98]
	v_fma_f64 v[91:92], v[93:94], v[89:90], v[91:92]
	v_add_f64 v[47:48], v[47:48], -v[91:92]
	;; [unrolled: 8-line block ×14, first 2 shown]
.LBB106_650:
	s_or_b64 exec, exec, s[0:1]
	v_lshl_add_u32 v89, v96, 4, v0
	s_waitcnt vmcnt(0)
	s_barrier
	ds_write2_b64 v89, v[109:110], v[111:112] offset1:1
	s_waitcnt lgkmcnt(0)
	s_barrier
	ds_read2_b64 v[117:120], v0 offset0:62 offset1:63
	s_cmp_lt_i32 s3, 33
	v_mov_b32_e32 v89, 31
	s_cbranch_scc1 .LBB106_653
; %bb.651:
	v_add_u32_e32 v90, 0x200, v0
	s_mov_b32 s0, 32
	v_mov_b32_e32 v89, 31
.LBB106_652:                            ; =>This Inner Loop Header: Depth=1
	s_waitcnt lgkmcnt(0)
	v_cmp_gt_f64_e32 vcc, 0, v[117:118]
	v_xor_b32_e32 v97, 0x80000000, v118
	ds_read2_b64 v[91:94], v90 offset1:1
	v_xor_b32_e32 v99, 0x80000000, v120
	v_add_u32_e32 v90, 16, v90
	s_waitcnt lgkmcnt(0)
	v_xor_b32_e32 v101, 0x80000000, v94
	v_cndmask_b32_e32 v98, v118, v97, vcc
	v_cmp_gt_f64_e32 vcc, 0, v[119:120]
	v_mov_b32_e32 v97, v117
	v_cndmask_b32_e32 v100, v120, v99, vcc
	v_cmp_gt_f64_e32 vcc, 0, v[91:92]
	v_mov_b32_e32 v99, v119
	v_add_f64 v[97:98], v[97:98], v[99:100]
	v_xor_b32_e32 v99, 0x80000000, v92
	v_cndmask_b32_e32 v100, v92, v99, vcc
	v_cmp_gt_f64_e32 vcc, 0, v[93:94]
	v_mov_b32_e32 v99, v91
	v_cndmask_b32_e32 v102, v94, v101, vcc
	v_mov_b32_e32 v101, v93
	v_add_f64 v[99:100], v[99:100], v[101:102]
	v_cmp_lt_f64_e32 vcc, v[97:98], v[99:100]
	v_cndmask_b32_e32 v117, v117, v91, vcc
	v_mov_b32_e32 v91, s0
	s_add_i32 s0, s0, 1
	v_cndmask_b32_e32 v118, v118, v92, vcc
	v_cndmask_b32_e32 v120, v120, v94, vcc
	;; [unrolled: 1-line block ×4, first 2 shown]
	s_cmp_lg_u32 s3, s0
	s_cbranch_scc1 .LBB106_652
.LBB106_653:
	s_waitcnt lgkmcnt(0)
	v_cmp_eq_f64_e32 vcc, 0, v[117:118]
	v_cmp_eq_f64_e64 s[0:1], 0, v[119:120]
	s_and_b64 s[0:1], vcc, s[0:1]
	s_and_saveexec_b64 s[18:19], s[0:1]
	s_xor_b64 s[0:1], exec, s[18:19]
; %bb.654:
	v_cmp_ne_u32_e32 vcc, 0, v95
	v_cndmask_b32_e32 v95, 32, v95, vcc
; %bb.655:
	s_andn2_saveexec_b64 s[0:1], s[0:1]
	s_cbranch_execz .LBB106_661
; %bb.656:
	v_cmp_ngt_f64_e64 s[18:19], |v[117:118]|, |v[119:120]|
	s_and_saveexec_b64 s[20:21], s[18:19]
	s_xor_b64 s[18:19], exec, s[20:21]
	s_cbranch_execz .LBB106_658
; %bb.657:
	v_div_scale_f64 v[90:91], s[20:21], v[119:120], v[119:120], v[117:118]
	v_rcp_f64_e32 v[92:93], v[90:91]
	v_fma_f64 v[97:98], -v[90:91], v[92:93], 1.0
	v_fma_f64 v[92:93], v[92:93], v[97:98], v[92:93]
	v_div_scale_f64 v[97:98], vcc, v[117:118], v[119:120], v[117:118]
	v_fma_f64 v[99:100], -v[90:91], v[92:93], 1.0
	v_fma_f64 v[92:93], v[92:93], v[99:100], v[92:93]
	v_mul_f64 v[99:100], v[97:98], v[92:93]
	v_fma_f64 v[90:91], -v[90:91], v[99:100], v[97:98]
	v_div_fmas_f64 v[90:91], v[90:91], v[92:93], v[99:100]
	v_div_fixup_f64 v[90:91], v[90:91], v[119:120], v[117:118]
	v_fma_f64 v[92:93], v[117:118], v[90:91], v[119:120]
	v_div_scale_f64 v[97:98], s[20:21], v[92:93], v[92:93], 1.0
	v_div_scale_f64 v[103:104], vcc, 1.0, v[92:93], 1.0
	v_rcp_f64_e32 v[99:100], v[97:98]
	v_fma_f64 v[101:102], -v[97:98], v[99:100], 1.0
	v_fma_f64 v[99:100], v[99:100], v[101:102], v[99:100]
	v_fma_f64 v[101:102], -v[97:98], v[99:100], 1.0
	v_fma_f64 v[99:100], v[99:100], v[101:102], v[99:100]
	v_mul_f64 v[101:102], v[103:104], v[99:100]
	v_fma_f64 v[97:98], -v[97:98], v[101:102], v[103:104]
	v_div_fmas_f64 v[97:98], v[97:98], v[99:100], v[101:102]
	v_div_fixup_f64 v[119:120], v[97:98], v[92:93], 1.0
	v_mul_f64 v[117:118], v[90:91], v[119:120]
	v_xor_b32_e32 v120, 0x80000000, v120
.LBB106_658:
	s_andn2_saveexec_b64 s[18:19], s[18:19]
	s_cbranch_execz .LBB106_660
; %bb.659:
	v_div_scale_f64 v[90:91], s[20:21], v[117:118], v[117:118], v[119:120]
	v_rcp_f64_e32 v[92:93], v[90:91]
	v_fma_f64 v[97:98], -v[90:91], v[92:93], 1.0
	v_fma_f64 v[92:93], v[92:93], v[97:98], v[92:93]
	v_div_scale_f64 v[97:98], vcc, v[119:120], v[117:118], v[119:120]
	v_fma_f64 v[99:100], -v[90:91], v[92:93], 1.0
	v_fma_f64 v[92:93], v[92:93], v[99:100], v[92:93]
	v_mul_f64 v[99:100], v[97:98], v[92:93]
	v_fma_f64 v[90:91], -v[90:91], v[99:100], v[97:98]
	v_div_fmas_f64 v[90:91], v[90:91], v[92:93], v[99:100]
	v_div_fixup_f64 v[90:91], v[90:91], v[117:118], v[119:120]
	v_fma_f64 v[92:93], v[119:120], v[90:91], v[117:118]
	v_div_scale_f64 v[97:98], s[20:21], v[92:93], v[92:93], 1.0
	v_div_scale_f64 v[103:104], vcc, 1.0, v[92:93], 1.0
	v_rcp_f64_e32 v[99:100], v[97:98]
	v_fma_f64 v[101:102], -v[97:98], v[99:100], 1.0
	v_fma_f64 v[99:100], v[99:100], v[101:102], v[99:100]
	v_fma_f64 v[101:102], -v[97:98], v[99:100], 1.0
	v_fma_f64 v[99:100], v[99:100], v[101:102], v[99:100]
	v_mul_f64 v[101:102], v[103:104], v[99:100]
	v_fma_f64 v[97:98], -v[97:98], v[101:102], v[103:104]
	v_div_fmas_f64 v[97:98], v[97:98], v[99:100], v[101:102]
	v_div_fixup_f64 v[117:118], v[97:98], v[92:93], 1.0
	v_mul_f64 v[119:120], v[90:91], -v[117:118]
.LBB106_660:
	s_or_b64 exec, exec, s[18:19]
.LBB106_661:
	s_or_b64 exec, exec, s[0:1]
	v_cmp_ne_u32_e32 vcc, v96, v89
	s_and_saveexec_b64 s[0:1], vcc
	s_xor_b64 s[0:1], exec, s[0:1]
	s_cbranch_execz .LBB106_667
; %bb.662:
	v_cmp_eq_u32_e32 vcc, 31, v96
	s_and_saveexec_b64 s[18:19], vcc
	s_cbranch_execz .LBB106_666
; %bb.663:
	v_cmp_ne_u32_e32 vcc, 31, v89
	s_xor_b64 s[20:21], s[6:7], -1
	s_and_b64 s[22:23], s[20:21], vcc
	s_and_saveexec_b64 s[20:21], s[22:23]
	s_cbranch_execz .LBB106_665
; %bb.664:
	buffer_load_dword v81, off, s[24:27], 0 offset:436 ; 4-byte Folded Reload
	buffer_load_dword v82, off, s[24:27], 0 offset:440 ; 4-byte Folded Reload
	v_ashrrev_i32_e32 v90, 31, v89
	v_lshlrev_b64 v[90:91], 2, v[89:90]
	s_waitcnt vmcnt(1)
	v_add_co_u32_e32 v90, vcc, v81, v90
	s_waitcnt vmcnt(0)
	v_addc_co_u32_e32 v91, vcc, v82, v91, vcc
	global_load_dword v92, v[90:91], off
	global_load_dword v93, v[81:82], off offset:124
	s_waitcnt vmcnt(1)
	global_store_dword v[81:82], v92, off offset:124
	v_mov_b32_e32 v81, v105
	v_mov_b32_e32 v82, v106
	;; [unrolled: 1-line block ×4, first 2 shown]
	s_waitcnt vmcnt(1)
	global_store_dword v[90:91], v93, off
.LBB106_665:
	s_or_b64 exec, exec, s[20:21]
	v_mov_b32_e32 v96, v89
	v_mov_b32_e32 v53, v89
	buffer_store_dword v53, off, s[24:27], 0 offset:352 ; 4-byte Folded Spill
.LBB106_666:
	s_or_b64 exec, exec, s[18:19]
.LBB106_667:
	s_andn2_saveexec_b64 s[0:1], s[0:1]
	s_cbranch_execz .LBB106_669
; %bb.668:
	ds_write2_b64 v0, v[113:114], v[115:116] offset0:64 offset1:65
	ds_write2_b64 v0, v[77:78], v[79:80] offset0:66 offset1:67
	;; [unrolled: 1-line block ×7, first 2 shown]
	buffer_load_dword v53, off, s[24:27], 0 ; 4-byte Folded Reload
	buffer_load_dword v54, off, s[24:27], 0 offset:4 ; 4-byte Folded Reload
	buffer_load_dword v55, off, s[24:27], 0 offset:8 ; 4-byte Folded Reload
	;; [unrolled: 1-line block ×3, first 2 shown]
	v_mov_b32_e32 v96, 31
	s_waitcnt vmcnt(0)
	ds_write2_b64 v0, v[53:54], v[55:56] offset0:78 offset1:79
	ds_write2_b64 v0, v[49:50], v[51:52] offset0:80 offset1:81
	;; [unrolled: 1-line block ×15, first 2 shown]
.LBB106_669:
	s_or_b64 exec, exec, s[0:1]
	v_cmp_lt_i32_e32 vcc, 31, v96
	s_waitcnt vmcnt(0) lgkmcnt(0)
	s_barrier
	s_and_saveexec_b64 s[0:1], vcc
	s_cbranch_execz .LBB106_671
; %bb.670:
	v_mov_b32_e32 v91, v109
	v_mov_b32_e32 v93, v111
	;; [unrolled: 1-line block ×7, first 2 shown]
	v_mul_f64 v[87:88], v[117:118], v[93:94]
	v_mul_f64 v[89:90], v[119:120], v[111:112]
	v_mov_b32_e32 v92, v110
	v_fma_f64 v[93:94], v[119:120], v[91:92], v[87:88]
	v_fma_f64 v[109:110], v[117:118], v[91:92], -v[89:90]
	ds_read2_b64 v[89:92], v0 offset0:64 offset1:65
	s_waitcnt lgkmcnt(0)
	v_mul_f64 v[85:86], v[91:92], v[93:94]
	v_fma_f64 v[85:86], v[89:90], v[109:110], -v[85:86]
	v_mul_f64 v[89:90], v[89:90], v[93:94]
	v_add_f64 v[113:114], v[113:114], -v[85:86]
	v_fma_f64 v[89:90], v[91:92], v[109:110], v[89:90]
	v_add_f64 v[115:116], v[115:116], -v[89:90]
	ds_read2_b64 v[89:92], v0 offset0:66 offset1:67
	s_waitcnt lgkmcnt(0)
	v_mul_f64 v[85:86], v[91:92], v[93:94]
	v_fma_f64 v[85:86], v[89:90], v[109:110], -v[85:86]
	v_mul_f64 v[89:90], v[89:90], v[93:94]
	v_add_f64 v[77:78], v[77:78], -v[85:86]
	v_fma_f64 v[89:90], v[91:92], v[109:110], v[89:90]
	v_add_f64 v[79:80], v[79:80], -v[89:90]
	;; [unrolled: 8-line block ×7, first 2 shown]
	ds_read2_b64 v[89:92], v0 offset0:78 offset1:79
	buffer_load_dword v53, off, s[24:27], 0 ; 4-byte Folded Reload
	buffer_load_dword v54, off, s[24:27], 0 offset:4 ; 4-byte Folded Reload
	buffer_load_dword v55, off, s[24:27], 0 offset:8 ; 4-byte Folded Reload
	buffer_load_dword v56, off, s[24:27], 0 offset:12 ; 4-byte Folded Reload
	s_waitcnt lgkmcnt(0)
	v_mul_f64 v[85:86], v[91:92], v[93:94]
	v_fma_f64 v[85:86], v[89:90], v[109:110], -v[85:86]
	v_mul_f64 v[89:90], v[89:90], v[93:94]
	v_fma_f64 v[89:90], v[91:92], v[109:110], v[89:90]
	s_waitcnt vmcnt(2)
	v_add_f64 v[53:54], v[53:54], -v[85:86]
	s_waitcnt vmcnt(0)
	v_add_f64 v[55:56], v[55:56], -v[89:90]
	buffer_store_dword v53, off, s[24:27], 0 ; 4-byte Folded Spill
	s_nop 0
	buffer_store_dword v54, off, s[24:27], 0 offset:4 ; 4-byte Folded Spill
	buffer_store_dword v55, off, s[24:27], 0 offset:8 ; 4-byte Folded Spill
	;; [unrolled: 1-line block ×3, first 2 shown]
	ds_read2_b64 v[89:92], v0 offset0:80 offset1:81
	s_waitcnt lgkmcnt(0)
	v_mul_f64 v[85:86], v[91:92], v[93:94]
	v_fma_f64 v[85:86], v[89:90], v[109:110], -v[85:86]
	v_mul_f64 v[89:90], v[89:90], v[93:94]
	v_add_f64 v[49:50], v[49:50], -v[85:86]
	v_fma_f64 v[89:90], v[91:92], v[109:110], v[89:90]
	v_add_f64 v[51:52], v[51:52], -v[89:90]
	ds_read2_b64 v[89:92], v0 offset0:82 offset1:83
	s_waitcnt lgkmcnt(0)
	v_mul_f64 v[85:86], v[91:92], v[93:94]
	v_fma_f64 v[85:86], v[89:90], v[109:110], -v[85:86]
	v_mul_f64 v[89:90], v[89:90], v[93:94]
	v_add_f64 v[45:46], v[45:46], -v[85:86]
	v_fma_f64 v[89:90], v[91:92], v[109:110], v[89:90]
	v_add_f64 v[47:48], v[47:48], -v[89:90]
	;; [unrolled: 8-line block ×13, first 2 shown]
	ds_read2_b64 v[89:92], v0 offset0:106 offset1:107
	s_waitcnt lgkmcnt(0)
	v_mul_f64 v[85:86], v[91:92], v[93:94]
	v_fma_f64 v[85:86], v[89:90], v[109:110], -v[85:86]
	v_mul_f64 v[89:90], v[89:90], v[93:94]
	v_add_f64 v[121:122], v[121:122], -v[85:86]
	v_fma_f64 v[89:90], v[91:92], v[109:110], v[89:90]
	v_mov_b32_e32 v88, v84
	v_mov_b32_e32 v91, v109
	;; [unrolled: 1-line block ×7, first 2 shown]
	v_add_f64 v[123:124], v[123:124], -v[89:90]
	v_mov_b32_e32 v112, v94
	v_mov_b32_e32 v82, v106
	;; [unrolled: 1-line block ×7, first 2 shown]
.LBB106_671:
	s_or_b64 exec, exec, s[0:1]
	v_lshl_add_u32 v89, v96, 4, v0
	s_waitcnt vmcnt(0)
	s_barrier
	ds_write2_b64 v89, v[113:114], v[115:116] offset1:1
	s_waitcnt lgkmcnt(0)
	s_barrier
	ds_read2_b64 v[117:120], v0 offset0:64 offset1:65
	s_cmp_lt_i32 s3, 34
	v_mov_b32_e32 v89, 32
	s_cbranch_scc1 .LBB106_674
; %bb.672:
	v_add_u32_e32 v90, 0x210, v0
	s_mov_b32 s0, 33
	v_mov_b32_e32 v89, 32
.LBB106_673:                            ; =>This Inner Loop Header: Depth=1
	s_waitcnt lgkmcnt(0)
	v_cmp_gt_f64_e32 vcc, 0, v[117:118]
	v_xor_b32_e32 v97, 0x80000000, v118
	ds_read2_b64 v[91:94], v90 offset1:1
	v_xor_b32_e32 v99, 0x80000000, v120
	v_add_u32_e32 v90, 16, v90
	s_waitcnt lgkmcnt(0)
	v_xor_b32_e32 v101, 0x80000000, v94
	v_cndmask_b32_e32 v98, v118, v97, vcc
	v_cmp_gt_f64_e32 vcc, 0, v[119:120]
	v_mov_b32_e32 v97, v117
	v_cndmask_b32_e32 v100, v120, v99, vcc
	v_cmp_gt_f64_e32 vcc, 0, v[91:92]
	v_mov_b32_e32 v99, v119
	v_add_f64 v[97:98], v[97:98], v[99:100]
	v_xor_b32_e32 v99, 0x80000000, v92
	v_cndmask_b32_e32 v100, v92, v99, vcc
	v_cmp_gt_f64_e32 vcc, 0, v[93:94]
	v_mov_b32_e32 v99, v91
	v_cndmask_b32_e32 v102, v94, v101, vcc
	v_mov_b32_e32 v101, v93
	v_add_f64 v[99:100], v[99:100], v[101:102]
	v_cmp_lt_f64_e32 vcc, v[97:98], v[99:100]
	v_cndmask_b32_e32 v117, v117, v91, vcc
	v_mov_b32_e32 v91, s0
	s_add_i32 s0, s0, 1
	v_cndmask_b32_e32 v118, v118, v92, vcc
	v_cndmask_b32_e32 v120, v120, v94, vcc
	v_cndmask_b32_e32 v119, v119, v93, vcc
	v_cndmask_b32_e32 v89, v89, v91, vcc
	s_cmp_lg_u32 s3, s0
	s_cbranch_scc1 .LBB106_673
.LBB106_674:
	s_waitcnt lgkmcnt(0)
	v_cmp_eq_f64_e32 vcc, 0, v[117:118]
	v_cmp_eq_f64_e64 s[0:1], 0, v[119:120]
	s_and_b64 s[0:1], vcc, s[0:1]
	s_and_saveexec_b64 s[18:19], s[0:1]
	s_xor_b64 s[0:1], exec, s[18:19]
; %bb.675:
	v_cmp_ne_u32_e32 vcc, 0, v95
	v_cndmask_b32_e32 v95, 33, v95, vcc
; %bb.676:
	s_andn2_saveexec_b64 s[0:1], s[0:1]
	s_cbranch_execz .LBB106_682
; %bb.677:
	v_cmp_ngt_f64_e64 s[18:19], |v[117:118]|, |v[119:120]|
	s_and_saveexec_b64 s[20:21], s[18:19]
	s_xor_b64 s[18:19], exec, s[20:21]
	s_cbranch_execz .LBB106_679
; %bb.678:
	v_div_scale_f64 v[90:91], s[20:21], v[119:120], v[119:120], v[117:118]
	v_rcp_f64_e32 v[92:93], v[90:91]
	v_fma_f64 v[97:98], -v[90:91], v[92:93], 1.0
	v_fma_f64 v[92:93], v[92:93], v[97:98], v[92:93]
	v_div_scale_f64 v[97:98], vcc, v[117:118], v[119:120], v[117:118]
	v_fma_f64 v[99:100], -v[90:91], v[92:93], 1.0
	v_fma_f64 v[92:93], v[92:93], v[99:100], v[92:93]
	v_mul_f64 v[99:100], v[97:98], v[92:93]
	v_fma_f64 v[90:91], -v[90:91], v[99:100], v[97:98]
	v_div_fmas_f64 v[90:91], v[90:91], v[92:93], v[99:100]
	v_div_fixup_f64 v[90:91], v[90:91], v[119:120], v[117:118]
	v_fma_f64 v[92:93], v[117:118], v[90:91], v[119:120]
	v_div_scale_f64 v[97:98], s[20:21], v[92:93], v[92:93], 1.0
	v_div_scale_f64 v[103:104], vcc, 1.0, v[92:93], 1.0
	v_rcp_f64_e32 v[99:100], v[97:98]
	v_fma_f64 v[101:102], -v[97:98], v[99:100], 1.0
	v_fma_f64 v[99:100], v[99:100], v[101:102], v[99:100]
	v_fma_f64 v[101:102], -v[97:98], v[99:100], 1.0
	v_fma_f64 v[99:100], v[99:100], v[101:102], v[99:100]
	v_mul_f64 v[101:102], v[103:104], v[99:100]
	v_fma_f64 v[97:98], -v[97:98], v[101:102], v[103:104]
	v_div_fmas_f64 v[97:98], v[97:98], v[99:100], v[101:102]
	v_div_fixup_f64 v[119:120], v[97:98], v[92:93], 1.0
	v_mul_f64 v[117:118], v[90:91], v[119:120]
	v_xor_b32_e32 v120, 0x80000000, v120
.LBB106_679:
	s_andn2_saveexec_b64 s[18:19], s[18:19]
	s_cbranch_execz .LBB106_681
; %bb.680:
	v_div_scale_f64 v[90:91], s[20:21], v[117:118], v[117:118], v[119:120]
	v_rcp_f64_e32 v[92:93], v[90:91]
	v_fma_f64 v[97:98], -v[90:91], v[92:93], 1.0
	v_fma_f64 v[92:93], v[92:93], v[97:98], v[92:93]
	v_div_scale_f64 v[97:98], vcc, v[119:120], v[117:118], v[119:120]
	v_fma_f64 v[99:100], -v[90:91], v[92:93], 1.0
	v_fma_f64 v[92:93], v[92:93], v[99:100], v[92:93]
	v_mul_f64 v[99:100], v[97:98], v[92:93]
	v_fma_f64 v[90:91], -v[90:91], v[99:100], v[97:98]
	v_div_fmas_f64 v[90:91], v[90:91], v[92:93], v[99:100]
	v_div_fixup_f64 v[90:91], v[90:91], v[117:118], v[119:120]
	v_fma_f64 v[92:93], v[119:120], v[90:91], v[117:118]
	v_div_scale_f64 v[97:98], s[20:21], v[92:93], v[92:93], 1.0
	v_div_scale_f64 v[103:104], vcc, 1.0, v[92:93], 1.0
	v_rcp_f64_e32 v[99:100], v[97:98]
	v_fma_f64 v[101:102], -v[97:98], v[99:100], 1.0
	v_fma_f64 v[99:100], v[99:100], v[101:102], v[99:100]
	v_fma_f64 v[101:102], -v[97:98], v[99:100], 1.0
	v_fma_f64 v[99:100], v[99:100], v[101:102], v[99:100]
	v_mul_f64 v[101:102], v[103:104], v[99:100]
	v_fma_f64 v[97:98], -v[97:98], v[101:102], v[103:104]
	v_div_fmas_f64 v[97:98], v[97:98], v[99:100], v[101:102]
	v_div_fixup_f64 v[117:118], v[97:98], v[92:93], 1.0
	v_mul_f64 v[119:120], v[90:91], -v[117:118]
.LBB106_681:
	s_or_b64 exec, exec, s[18:19]
.LBB106_682:
	s_or_b64 exec, exec, s[0:1]
	v_cmp_ne_u32_e32 vcc, v96, v89
	s_and_saveexec_b64 s[0:1], vcc
	s_xor_b64 s[0:1], exec, s[0:1]
	s_cbranch_execz .LBB106_688
; %bb.683:
	v_cmp_eq_u32_e32 vcc, 32, v96
	s_and_saveexec_b64 s[18:19], vcc
	s_cbranch_execz .LBB106_687
; %bb.684:
	v_cmp_ne_u32_e32 vcc, 32, v89
	s_xor_b64 s[20:21], s[6:7], -1
	s_and_b64 s[22:23], s[20:21], vcc
	s_and_saveexec_b64 s[20:21], s[22:23]
	s_cbranch_execz .LBB106_686
; %bb.685:
	buffer_load_dword v81, off, s[24:27], 0 offset:436 ; 4-byte Folded Reload
	buffer_load_dword v82, off, s[24:27], 0 offset:440 ; 4-byte Folded Reload
	v_ashrrev_i32_e32 v90, 31, v89
	v_lshlrev_b64 v[90:91], 2, v[89:90]
	s_waitcnt vmcnt(1)
	v_add_co_u32_e32 v90, vcc, v81, v90
	s_waitcnt vmcnt(0)
	v_addc_co_u32_e32 v91, vcc, v82, v91, vcc
	global_load_dword v92, v[90:91], off
	global_load_dword v93, v[81:82], off offset:128
	s_waitcnt vmcnt(1)
	global_store_dword v[81:82], v92, off offset:128
	v_mov_b32_e32 v81, v105
	v_mov_b32_e32 v82, v106
	;; [unrolled: 1-line block ×4, first 2 shown]
	s_waitcnt vmcnt(1)
	global_store_dword v[90:91], v93, off
.LBB106_686:
	s_or_b64 exec, exec, s[20:21]
	v_mov_b32_e32 v96, v89
	v_mov_b32_e32 v53, v89
	buffer_store_dword v53, off, s[24:27], 0 offset:352 ; 4-byte Folded Spill
.LBB106_687:
	s_or_b64 exec, exec, s[18:19]
.LBB106_688:
	s_andn2_saveexec_b64 s[0:1], s[0:1]
	s_cbranch_execz .LBB106_690
; %bb.689:
	ds_write2_b64 v0, v[77:78], v[79:80] offset0:66 offset1:67
	ds_write2_b64 v0, v[73:74], v[75:76] offset0:68 offset1:69
	;; [unrolled: 1-line block ×6, first 2 shown]
	buffer_load_dword v53, off, s[24:27], 0 ; 4-byte Folded Reload
	buffer_load_dword v54, off, s[24:27], 0 offset:4 ; 4-byte Folded Reload
	buffer_load_dword v55, off, s[24:27], 0 offset:8 ; 4-byte Folded Reload
	;; [unrolled: 1-line block ×3, first 2 shown]
	v_mov_b32_e32 v96, 32
	s_waitcnt vmcnt(0)
	ds_write2_b64 v0, v[53:54], v[55:56] offset0:78 offset1:79
	ds_write2_b64 v0, v[49:50], v[51:52] offset0:80 offset1:81
	;; [unrolled: 1-line block ×15, first 2 shown]
.LBB106_690:
	s_or_b64 exec, exec, s[0:1]
	v_cmp_lt_i32_e32 vcc, 32, v96
	s_waitcnt vmcnt(0) lgkmcnt(0)
	s_barrier
	s_and_saveexec_b64 s[0:1], vcc
	s_cbranch_execz .LBB106_692
; %bb.691:
	v_mul_f64 v[83:84], v[117:118], v[115:116]
	v_mul_f64 v[89:90], v[119:120], v[115:116]
	v_fma_f64 v[115:116], v[119:120], v[113:114], v[83:84]
	v_fma_f64 v[101:102], v[117:118], v[113:114], -v[89:90]
	ds_read2_b64 v[89:92], v0 offset0:66 offset1:67
	s_waitcnt lgkmcnt(0)
	v_mul_f64 v[81:82], v[91:92], v[115:116]
	v_mov_b32_e32 v114, v102
	v_mov_b32_e32 v113, v101
	v_fma_f64 v[81:82], v[89:90], v[101:102], -v[81:82]
	v_mul_f64 v[89:90], v[89:90], v[115:116]
	v_add_f64 v[77:78], v[77:78], -v[81:82]
	v_fma_f64 v[89:90], v[91:92], v[101:102], v[89:90]
	v_add_f64 v[79:80], v[79:80], -v[89:90]
	ds_read2_b64 v[89:92], v0 offset0:68 offset1:69
	s_waitcnt lgkmcnt(0)
	v_mul_f64 v[81:82], v[91:92], v[115:116]
	v_fma_f64 v[81:82], v[89:90], v[101:102], -v[81:82]
	v_mul_f64 v[89:90], v[89:90], v[115:116]
	v_add_f64 v[73:74], v[73:74], -v[81:82]
	v_fma_f64 v[89:90], v[91:92], v[101:102], v[89:90]
	v_add_f64 v[75:76], v[75:76], -v[89:90]
	ds_read2_b64 v[89:92], v0 offset0:70 offset1:71
	s_waitcnt lgkmcnt(0)
	v_mul_f64 v[81:82], v[91:92], v[115:116]
	;; [unrolled: 8-line block ×5, first 2 shown]
	v_fma_f64 v[81:82], v[89:90], v[101:102], -v[81:82]
	v_mul_f64 v[89:90], v[89:90], v[115:116]
	v_add_f64 v[57:58], v[57:58], -v[81:82]
	v_fma_f64 v[89:90], v[91:92], v[101:102], v[89:90]
	v_add_f64 v[59:60], v[59:60], -v[89:90]
	ds_read2_b64 v[89:92], v0 offset0:78 offset1:79
	buffer_load_dword v53, off, s[24:27], 0 ; 4-byte Folded Reload
	buffer_load_dword v54, off, s[24:27], 0 offset:4 ; 4-byte Folded Reload
	buffer_load_dword v55, off, s[24:27], 0 offset:8 ; 4-byte Folded Reload
	;; [unrolled: 1-line block ×3, first 2 shown]
	s_waitcnt lgkmcnt(0)
	v_mul_f64 v[81:82], v[91:92], v[115:116]
	v_fma_f64 v[81:82], v[89:90], v[101:102], -v[81:82]
	v_mul_f64 v[89:90], v[89:90], v[115:116]
	v_fma_f64 v[89:90], v[91:92], v[101:102], v[89:90]
	s_waitcnt vmcnt(2)
	v_add_f64 v[53:54], v[53:54], -v[81:82]
	s_waitcnt vmcnt(0)
	v_add_f64 v[55:56], v[55:56], -v[89:90]
	buffer_store_dword v53, off, s[24:27], 0 ; 4-byte Folded Spill
	s_nop 0
	buffer_store_dword v54, off, s[24:27], 0 offset:4 ; 4-byte Folded Spill
	buffer_store_dword v55, off, s[24:27], 0 offset:8 ; 4-byte Folded Spill
	;; [unrolled: 1-line block ×3, first 2 shown]
	ds_read2_b64 v[89:92], v0 offset0:80 offset1:81
	s_waitcnt lgkmcnt(0)
	v_mul_f64 v[81:82], v[91:92], v[115:116]
	v_fma_f64 v[81:82], v[89:90], v[101:102], -v[81:82]
	v_mul_f64 v[89:90], v[89:90], v[115:116]
	v_add_f64 v[49:50], v[49:50], -v[81:82]
	v_fma_f64 v[89:90], v[91:92], v[101:102], v[89:90]
	v_add_f64 v[51:52], v[51:52], -v[89:90]
	ds_read2_b64 v[89:92], v0 offset0:82 offset1:83
	s_waitcnt lgkmcnt(0)
	v_mul_f64 v[81:82], v[91:92], v[115:116]
	v_fma_f64 v[81:82], v[89:90], v[101:102], -v[81:82]
	v_mul_f64 v[89:90], v[89:90], v[115:116]
	v_add_f64 v[45:46], v[45:46], -v[81:82]
	v_fma_f64 v[89:90], v[91:92], v[101:102], v[89:90]
	v_add_f64 v[47:48], v[47:48], -v[89:90]
	;; [unrolled: 8-line block ×13, first 2 shown]
	ds_read2_b64 v[89:92], v0 offset0:106 offset1:107
	s_waitcnt lgkmcnt(0)
	v_mul_f64 v[81:82], v[91:92], v[115:116]
	v_fma_f64 v[81:82], v[89:90], v[101:102], -v[81:82]
	v_mul_f64 v[89:90], v[89:90], v[115:116]
	v_add_f64 v[121:122], v[121:122], -v[81:82]
	v_fma_f64 v[89:90], v[91:92], v[101:102], v[89:90]
	v_mov_b32_e32 v81, v105
	v_mov_b32_e32 v82, v106
	;; [unrolled: 1-line block ×4, first 2 shown]
	v_add_f64 v[123:124], v[123:124], -v[89:90]
.LBB106_692:
	s_or_b64 exec, exec, s[0:1]
	v_lshl_add_u32 v89, v96, 4, v0
	s_waitcnt vmcnt(0)
	s_barrier
	ds_write2_b64 v89, v[77:78], v[79:80] offset1:1
	s_waitcnt lgkmcnt(0)
	s_barrier
	ds_read2_b64 v[117:120], v0 offset0:66 offset1:67
	s_cmp_lt_i32 s3, 35
	v_mov_b32_e32 v89, 33
	s_cbranch_scc1 .LBB106_695
; %bb.693:
	v_add_u32_e32 v90, 0x220, v0
	s_mov_b32 s0, 34
	v_mov_b32_e32 v89, 33
.LBB106_694:                            ; =>This Inner Loop Header: Depth=1
	s_waitcnt lgkmcnt(0)
	v_cmp_gt_f64_e32 vcc, 0, v[117:118]
	v_xor_b32_e32 v97, 0x80000000, v118
	ds_read2_b64 v[91:94], v90 offset1:1
	v_xor_b32_e32 v99, 0x80000000, v120
	v_add_u32_e32 v90, 16, v90
	s_waitcnt lgkmcnt(0)
	v_xor_b32_e32 v101, 0x80000000, v94
	v_cndmask_b32_e32 v98, v118, v97, vcc
	v_cmp_gt_f64_e32 vcc, 0, v[119:120]
	v_mov_b32_e32 v97, v117
	v_cndmask_b32_e32 v100, v120, v99, vcc
	v_cmp_gt_f64_e32 vcc, 0, v[91:92]
	v_mov_b32_e32 v99, v119
	v_add_f64 v[97:98], v[97:98], v[99:100]
	v_xor_b32_e32 v99, 0x80000000, v92
	v_cndmask_b32_e32 v100, v92, v99, vcc
	v_cmp_gt_f64_e32 vcc, 0, v[93:94]
	v_mov_b32_e32 v99, v91
	v_cndmask_b32_e32 v102, v94, v101, vcc
	v_mov_b32_e32 v101, v93
	v_add_f64 v[99:100], v[99:100], v[101:102]
	v_cmp_lt_f64_e32 vcc, v[97:98], v[99:100]
	v_cndmask_b32_e32 v117, v117, v91, vcc
	v_mov_b32_e32 v91, s0
	s_add_i32 s0, s0, 1
	v_cndmask_b32_e32 v118, v118, v92, vcc
	v_cndmask_b32_e32 v120, v120, v94, vcc
	v_cndmask_b32_e32 v119, v119, v93, vcc
	v_cndmask_b32_e32 v89, v89, v91, vcc
	s_cmp_lg_u32 s3, s0
	s_cbranch_scc1 .LBB106_694
.LBB106_695:
	s_waitcnt lgkmcnt(0)
	v_cmp_eq_f64_e32 vcc, 0, v[117:118]
	v_cmp_eq_f64_e64 s[0:1], 0, v[119:120]
	s_and_b64 s[0:1], vcc, s[0:1]
	s_and_saveexec_b64 s[18:19], s[0:1]
	s_xor_b64 s[0:1], exec, s[18:19]
; %bb.696:
	v_cmp_ne_u32_e32 vcc, 0, v95
	v_cndmask_b32_e32 v95, 34, v95, vcc
; %bb.697:
	s_andn2_saveexec_b64 s[0:1], s[0:1]
	s_cbranch_execz .LBB106_703
; %bb.698:
	v_cmp_ngt_f64_e64 s[18:19], |v[117:118]|, |v[119:120]|
	s_and_saveexec_b64 s[20:21], s[18:19]
	s_xor_b64 s[18:19], exec, s[20:21]
	s_cbranch_execz .LBB106_700
; %bb.699:
	v_div_scale_f64 v[90:91], s[20:21], v[119:120], v[119:120], v[117:118]
	v_rcp_f64_e32 v[92:93], v[90:91]
	v_fma_f64 v[97:98], -v[90:91], v[92:93], 1.0
	v_fma_f64 v[92:93], v[92:93], v[97:98], v[92:93]
	v_div_scale_f64 v[97:98], vcc, v[117:118], v[119:120], v[117:118]
	v_fma_f64 v[99:100], -v[90:91], v[92:93], 1.0
	v_fma_f64 v[92:93], v[92:93], v[99:100], v[92:93]
	v_mul_f64 v[99:100], v[97:98], v[92:93]
	v_fma_f64 v[90:91], -v[90:91], v[99:100], v[97:98]
	v_div_fmas_f64 v[90:91], v[90:91], v[92:93], v[99:100]
	v_div_fixup_f64 v[90:91], v[90:91], v[119:120], v[117:118]
	v_fma_f64 v[92:93], v[117:118], v[90:91], v[119:120]
	v_div_scale_f64 v[97:98], s[20:21], v[92:93], v[92:93], 1.0
	v_div_scale_f64 v[103:104], vcc, 1.0, v[92:93], 1.0
	v_rcp_f64_e32 v[99:100], v[97:98]
	v_fma_f64 v[101:102], -v[97:98], v[99:100], 1.0
	v_fma_f64 v[99:100], v[99:100], v[101:102], v[99:100]
	v_fma_f64 v[101:102], -v[97:98], v[99:100], 1.0
	v_fma_f64 v[99:100], v[99:100], v[101:102], v[99:100]
	v_mul_f64 v[101:102], v[103:104], v[99:100]
	v_fma_f64 v[97:98], -v[97:98], v[101:102], v[103:104]
	v_div_fmas_f64 v[97:98], v[97:98], v[99:100], v[101:102]
	v_div_fixup_f64 v[119:120], v[97:98], v[92:93], 1.0
	v_mul_f64 v[117:118], v[90:91], v[119:120]
	v_xor_b32_e32 v120, 0x80000000, v120
.LBB106_700:
	s_andn2_saveexec_b64 s[18:19], s[18:19]
	s_cbranch_execz .LBB106_702
; %bb.701:
	v_div_scale_f64 v[90:91], s[20:21], v[117:118], v[117:118], v[119:120]
	v_rcp_f64_e32 v[92:93], v[90:91]
	v_fma_f64 v[97:98], -v[90:91], v[92:93], 1.0
	v_fma_f64 v[92:93], v[92:93], v[97:98], v[92:93]
	v_div_scale_f64 v[97:98], vcc, v[119:120], v[117:118], v[119:120]
	v_fma_f64 v[99:100], -v[90:91], v[92:93], 1.0
	v_fma_f64 v[92:93], v[92:93], v[99:100], v[92:93]
	v_mul_f64 v[99:100], v[97:98], v[92:93]
	v_fma_f64 v[90:91], -v[90:91], v[99:100], v[97:98]
	v_div_fmas_f64 v[90:91], v[90:91], v[92:93], v[99:100]
	v_div_fixup_f64 v[90:91], v[90:91], v[117:118], v[119:120]
	v_fma_f64 v[92:93], v[119:120], v[90:91], v[117:118]
	v_div_scale_f64 v[97:98], s[20:21], v[92:93], v[92:93], 1.0
	v_div_scale_f64 v[103:104], vcc, 1.0, v[92:93], 1.0
	v_rcp_f64_e32 v[99:100], v[97:98]
	v_fma_f64 v[101:102], -v[97:98], v[99:100], 1.0
	v_fma_f64 v[99:100], v[99:100], v[101:102], v[99:100]
	v_fma_f64 v[101:102], -v[97:98], v[99:100], 1.0
	v_fma_f64 v[99:100], v[99:100], v[101:102], v[99:100]
	v_mul_f64 v[101:102], v[103:104], v[99:100]
	v_fma_f64 v[97:98], -v[97:98], v[101:102], v[103:104]
	v_div_fmas_f64 v[97:98], v[97:98], v[99:100], v[101:102]
	v_div_fixup_f64 v[117:118], v[97:98], v[92:93], 1.0
	v_mul_f64 v[119:120], v[90:91], -v[117:118]
.LBB106_702:
	s_or_b64 exec, exec, s[18:19]
.LBB106_703:
	s_or_b64 exec, exec, s[0:1]
	v_cmp_ne_u32_e32 vcc, v96, v89
	s_and_saveexec_b64 s[0:1], vcc
	s_xor_b64 s[0:1], exec, s[0:1]
	s_cbranch_execz .LBB106_709
; %bb.704:
	v_cmp_eq_u32_e32 vcc, 33, v96
	s_and_saveexec_b64 s[18:19], vcc
	s_cbranch_execz .LBB106_708
; %bb.705:
	v_cmp_ne_u32_e32 vcc, 33, v89
	s_xor_b64 s[20:21], s[6:7], -1
	s_and_b64 s[22:23], s[20:21], vcc
	s_and_saveexec_b64 s[20:21], s[22:23]
	s_cbranch_execz .LBB106_707
; %bb.706:
	buffer_load_dword v81, off, s[24:27], 0 offset:436 ; 4-byte Folded Reload
	buffer_load_dword v82, off, s[24:27], 0 offset:440 ; 4-byte Folded Reload
	v_ashrrev_i32_e32 v90, 31, v89
	v_lshlrev_b64 v[90:91], 2, v[89:90]
	s_waitcnt vmcnt(1)
	v_add_co_u32_e32 v90, vcc, v81, v90
	s_waitcnt vmcnt(0)
	v_addc_co_u32_e32 v91, vcc, v82, v91, vcc
	global_load_dword v92, v[90:91], off
	global_load_dword v93, v[81:82], off offset:132
	s_waitcnt vmcnt(1)
	global_store_dword v[81:82], v92, off offset:132
	v_mov_b32_e32 v81, v105
	v_mov_b32_e32 v82, v106
	v_mov_b32_e32 v83, v107
	v_mov_b32_e32 v84, v108
	s_waitcnt vmcnt(1)
	global_store_dword v[90:91], v93, off
.LBB106_707:
	s_or_b64 exec, exec, s[20:21]
	v_mov_b32_e32 v96, v89
	v_mov_b32_e32 v53, v89
	buffer_store_dword v53, off, s[24:27], 0 offset:352 ; 4-byte Folded Spill
.LBB106_708:
	s_or_b64 exec, exec, s[18:19]
.LBB106_709:
	s_andn2_saveexec_b64 s[0:1], s[0:1]
	s_cbranch_execz .LBB106_711
; %bb.710:
	ds_write2_b64 v0, v[73:74], v[75:76] offset0:68 offset1:69
	ds_write2_b64 v0, v[69:70], v[71:72] offset0:70 offset1:71
	;; [unrolled: 1-line block ×5, first 2 shown]
	buffer_load_dword v53, off, s[24:27], 0 ; 4-byte Folded Reload
	buffer_load_dword v54, off, s[24:27], 0 offset:4 ; 4-byte Folded Reload
	buffer_load_dword v55, off, s[24:27], 0 offset:8 ; 4-byte Folded Reload
	;; [unrolled: 1-line block ×3, first 2 shown]
	v_mov_b32_e32 v96, 33
	s_waitcnt vmcnt(0)
	ds_write2_b64 v0, v[53:54], v[55:56] offset0:78 offset1:79
	ds_write2_b64 v0, v[49:50], v[51:52] offset0:80 offset1:81
	ds_write2_b64 v0, v[45:46], v[47:48] offset0:82 offset1:83
	ds_write2_b64 v0, v[41:42], v[43:44] offset0:84 offset1:85
	ds_write2_b64 v0, v[37:38], v[39:40] offset0:86 offset1:87
	ds_write2_b64 v0, v[33:34], v[35:36] offset0:88 offset1:89
	ds_write2_b64 v0, v[29:30], v[31:32] offset0:90 offset1:91
	ds_write2_b64 v0, v[25:26], v[27:28] offset0:92 offset1:93
	ds_write2_b64 v0, v[21:22], v[23:24] offset0:94 offset1:95
	ds_write2_b64 v0, v[17:18], v[19:20] offset0:96 offset1:97
	ds_write2_b64 v0, v[13:14], v[15:16] offset0:98 offset1:99
	ds_write2_b64 v0, v[9:10], v[11:12] offset0:100 offset1:101
	ds_write2_b64 v0, v[5:6], v[7:8] offset0:102 offset1:103
	ds_write2_b64 v0, v[1:2], v[3:4] offset0:104 offset1:105
	ds_write2_b64 v0, v[121:122], v[123:124] offset0:106 offset1:107
.LBB106_711:
	s_or_b64 exec, exec, s[0:1]
	v_cmp_lt_i32_e32 vcc, 33, v96
	s_waitcnt vmcnt(0) lgkmcnt(0)
	s_barrier
	s_and_saveexec_b64 s[0:1], vcc
	s_cbranch_execz .LBB106_713
; %bb.712:
	v_mul_f64 v[89:90], v[119:120], v[79:80]
	v_mul_f64 v[79:80], v[117:118], v[79:80]
	ds_read2_b64 v[91:94], v0 offset0:68 offset1:69
	v_fma_f64 v[89:90], v[117:118], v[77:78], -v[89:90]
	v_fma_f64 v[79:80], v[119:120], v[77:78], v[79:80]
	s_waitcnt lgkmcnt(0)
	v_mul_f64 v[77:78], v[93:94], v[79:80]
	v_fma_f64 v[77:78], v[91:92], v[89:90], -v[77:78]
	v_mul_f64 v[91:92], v[91:92], v[79:80]
	v_add_f64 v[73:74], v[73:74], -v[77:78]
	v_fma_f64 v[91:92], v[93:94], v[89:90], v[91:92]
	v_add_f64 v[75:76], v[75:76], -v[91:92]
	ds_read2_b64 v[91:94], v0 offset0:70 offset1:71
	s_waitcnt lgkmcnt(0)
	v_mul_f64 v[77:78], v[93:94], v[79:80]
	v_fma_f64 v[77:78], v[91:92], v[89:90], -v[77:78]
	v_mul_f64 v[91:92], v[91:92], v[79:80]
	v_add_f64 v[69:70], v[69:70], -v[77:78]
	v_fma_f64 v[91:92], v[93:94], v[89:90], v[91:92]
	v_add_f64 v[71:72], v[71:72], -v[91:92]
	ds_read2_b64 v[91:94], v0 offset0:72 offset1:73
	;; [unrolled: 8-line block ×5, first 2 shown]
	buffer_load_dword v53, off, s[24:27], 0 ; 4-byte Folded Reload
	buffer_load_dword v54, off, s[24:27], 0 offset:4 ; 4-byte Folded Reload
	buffer_load_dword v55, off, s[24:27], 0 offset:8 ; 4-byte Folded Reload
	;; [unrolled: 1-line block ×3, first 2 shown]
	s_waitcnt lgkmcnt(0)
	v_mul_f64 v[77:78], v[93:94], v[79:80]
	v_fma_f64 v[77:78], v[91:92], v[89:90], -v[77:78]
	v_mul_f64 v[91:92], v[91:92], v[79:80]
	v_fma_f64 v[91:92], v[93:94], v[89:90], v[91:92]
	s_waitcnt vmcnt(2)
	v_add_f64 v[53:54], v[53:54], -v[77:78]
	s_waitcnt vmcnt(0)
	v_add_f64 v[55:56], v[55:56], -v[91:92]
	buffer_store_dword v53, off, s[24:27], 0 ; 4-byte Folded Spill
	s_nop 0
	buffer_store_dword v54, off, s[24:27], 0 offset:4 ; 4-byte Folded Spill
	buffer_store_dword v55, off, s[24:27], 0 offset:8 ; 4-byte Folded Spill
	;; [unrolled: 1-line block ×3, first 2 shown]
	ds_read2_b64 v[91:94], v0 offset0:80 offset1:81
	s_waitcnt lgkmcnt(0)
	v_mul_f64 v[77:78], v[93:94], v[79:80]
	v_fma_f64 v[77:78], v[91:92], v[89:90], -v[77:78]
	v_mul_f64 v[91:92], v[91:92], v[79:80]
	v_add_f64 v[49:50], v[49:50], -v[77:78]
	v_fma_f64 v[91:92], v[93:94], v[89:90], v[91:92]
	v_add_f64 v[51:52], v[51:52], -v[91:92]
	ds_read2_b64 v[91:94], v0 offset0:82 offset1:83
	s_waitcnt lgkmcnt(0)
	v_mul_f64 v[77:78], v[93:94], v[79:80]
	v_fma_f64 v[77:78], v[91:92], v[89:90], -v[77:78]
	v_mul_f64 v[91:92], v[91:92], v[79:80]
	v_add_f64 v[45:46], v[45:46], -v[77:78]
	v_fma_f64 v[91:92], v[93:94], v[89:90], v[91:92]
	v_add_f64 v[47:48], v[47:48], -v[91:92]
	;; [unrolled: 8-line block ×13, first 2 shown]
	ds_read2_b64 v[91:94], v0 offset0:106 offset1:107
	s_waitcnt lgkmcnt(0)
	v_mul_f64 v[77:78], v[93:94], v[79:80]
	v_fma_f64 v[77:78], v[91:92], v[89:90], -v[77:78]
	v_mul_f64 v[91:92], v[91:92], v[79:80]
	v_add_f64 v[121:122], v[121:122], -v[77:78]
	v_fma_f64 v[91:92], v[93:94], v[89:90], v[91:92]
	v_mov_b32_e32 v77, v89
	v_mov_b32_e32 v78, v90
	v_add_f64 v[123:124], v[123:124], -v[91:92]
.LBB106_713:
	s_or_b64 exec, exec, s[0:1]
	v_lshl_add_u32 v89, v96, 4, v0
	s_waitcnt vmcnt(0)
	s_barrier
	ds_write2_b64 v89, v[73:74], v[75:76] offset1:1
	s_waitcnt lgkmcnt(0)
	s_barrier
	ds_read2_b64 v[117:120], v0 offset0:68 offset1:69
	s_cmp_lt_i32 s3, 36
	v_mov_b32_e32 v89, 34
	s_cbranch_scc1 .LBB106_716
; %bb.714:
	v_add_u32_e32 v90, 0x230, v0
	s_mov_b32 s0, 35
	v_mov_b32_e32 v89, 34
.LBB106_715:                            ; =>This Inner Loop Header: Depth=1
	s_waitcnt lgkmcnt(0)
	v_cmp_gt_f64_e32 vcc, 0, v[117:118]
	v_xor_b32_e32 v97, 0x80000000, v118
	ds_read2_b64 v[91:94], v90 offset1:1
	v_xor_b32_e32 v99, 0x80000000, v120
	v_add_u32_e32 v90, 16, v90
	s_waitcnt lgkmcnt(0)
	v_xor_b32_e32 v101, 0x80000000, v94
	v_cndmask_b32_e32 v98, v118, v97, vcc
	v_cmp_gt_f64_e32 vcc, 0, v[119:120]
	v_mov_b32_e32 v97, v117
	v_cndmask_b32_e32 v100, v120, v99, vcc
	v_cmp_gt_f64_e32 vcc, 0, v[91:92]
	v_mov_b32_e32 v99, v119
	v_add_f64 v[97:98], v[97:98], v[99:100]
	v_xor_b32_e32 v99, 0x80000000, v92
	v_cndmask_b32_e32 v100, v92, v99, vcc
	v_cmp_gt_f64_e32 vcc, 0, v[93:94]
	v_mov_b32_e32 v99, v91
	v_cndmask_b32_e32 v102, v94, v101, vcc
	v_mov_b32_e32 v101, v93
	v_add_f64 v[99:100], v[99:100], v[101:102]
	v_cmp_lt_f64_e32 vcc, v[97:98], v[99:100]
	v_cndmask_b32_e32 v117, v117, v91, vcc
	v_mov_b32_e32 v91, s0
	s_add_i32 s0, s0, 1
	v_cndmask_b32_e32 v118, v118, v92, vcc
	v_cndmask_b32_e32 v120, v120, v94, vcc
	;; [unrolled: 1-line block ×4, first 2 shown]
	s_cmp_lg_u32 s3, s0
	s_cbranch_scc1 .LBB106_715
.LBB106_716:
	s_waitcnt lgkmcnt(0)
	v_cmp_eq_f64_e32 vcc, 0, v[117:118]
	v_cmp_eq_f64_e64 s[0:1], 0, v[119:120]
	s_and_b64 s[0:1], vcc, s[0:1]
	s_and_saveexec_b64 s[18:19], s[0:1]
	s_xor_b64 s[0:1], exec, s[18:19]
; %bb.717:
	v_cmp_ne_u32_e32 vcc, 0, v95
	v_cndmask_b32_e32 v95, 35, v95, vcc
; %bb.718:
	s_andn2_saveexec_b64 s[0:1], s[0:1]
	s_cbranch_execz .LBB106_724
; %bb.719:
	v_cmp_ngt_f64_e64 s[18:19], |v[117:118]|, |v[119:120]|
	s_and_saveexec_b64 s[20:21], s[18:19]
	s_xor_b64 s[18:19], exec, s[20:21]
	s_cbranch_execz .LBB106_721
; %bb.720:
	v_div_scale_f64 v[90:91], s[20:21], v[119:120], v[119:120], v[117:118]
	v_rcp_f64_e32 v[92:93], v[90:91]
	v_fma_f64 v[97:98], -v[90:91], v[92:93], 1.0
	v_fma_f64 v[92:93], v[92:93], v[97:98], v[92:93]
	v_div_scale_f64 v[97:98], vcc, v[117:118], v[119:120], v[117:118]
	v_fma_f64 v[99:100], -v[90:91], v[92:93], 1.0
	v_fma_f64 v[92:93], v[92:93], v[99:100], v[92:93]
	v_mul_f64 v[99:100], v[97:98], v[92:93]
	v_fma_f64 v[90:91], -v[90:91], v[99:100], v[97:98]
	v_div_fmas_f64 v[90:91], v[90:91], v[92:93], v[99:100]
	v_div_fixup_f64 v[90:91], v[90:91], v[119:120], v[117:118]
	v_fma_f64 v[92:93], v[117:118], v[90:91], v[119:120]
	v_div_scale_f64 v[97:98], s[20:21], v[92:93], v[92:93], 1.0
	v_div_scale_f64 v[103:104], vcc, 1.0, v[92:93], 1.0
	v_rcp_f64_e32 v[99:100], v[97:98]
	v_fma_f64 v[101:102], -v[97:98], v[99:100], 1.0
	v_fma_f64 v[99:100], v[99:100], v[101:102], v[99:100]
	v_fma_f64 v[101:102], -v[97:98], v[99:100], 1.0
	v_fma_f64 v[99:100], v[99:100], v[101:102], v[99:100]
	v_mul_f64 v[101:102], v[103:104], v[99:100]
	v_fma_f64 v[97:98], -v[97:98], v[101:102], v[103:104]
	v_div_fmas_f64 v[97:98], v[97:98], v[99:100], v[101:102]
	v_div_fixup_f64 v[119:120], v[97:98], v[92:93], 1.0
	v_mul_f64 v[117:118], v[90:91], v[119:120]
	v_xor_b32_e32 v120, 0x80000000, v120
.LBB106_721:
	s_andn2_saveexec_b64 s[18:19], s[18:19]
	s_cbranch_execz .LBB106_723
; %bb.722:
	v_div_scale_f64 v[90:91], s[20:21], v[117:118], v[117:118], v[119:120]
	v_rcp_f64_e32 v[92:93], v[90:91]
	v_fma_f64 v[97:98], -v[90:91], v[92:93], 1.0
	v_fma_f64 v[92:93], v[92:93], v[97:98], v[92:93]
	v_div_scale_f64 v[97:98], vcc, v[119:120], v[117:118], v[119:120]
	v_fma_f64 v[99:100], -v[90:91], v[92:93], 1.0
	v_fma_f64 v[92:93], v[92:93], v[99:100], v[92:93]
	v_mul_f64 v[99:100], v[97:98], v[92:93]
	v_fma_f64 v[90:91], -v[90:91], v[99:100], v[97:98]
	v_div_fmas_f64 v[90:91], v[90:91], v[92:93], v[99:100]
	v_div_fixup_f64 v[90:91], v[90:91], v[117:118], v[119:120]
	v_fma_f64 v[92:93], v[119:120], v[90:91], v[117:118]
	v_div_scale_f64 v[97:98], s[20:21], v[92:93], v[92:93], 1.0
	v_div_scale_f64 v[103:104], vcc, 1.0, v[92:93], 1.0
	v_rcp_f64_e32 v[99:100], v[97:98]
	v_fma_f64 v[101:102], -v[97:98], v[99:100], 1.0
	v_fma_f64 v[99:100], v[99:100], v[101:102], v[99:100]
	v_fma_f64 v[101:102], -v[97:98], v[99:100], 1.0
	v_fma_f64 v[99:100], v[99:100], v[101:102], v[99:100]
	v_mul_f64 v[101:102], v[103:104], v[99:100]
	v_fma_f64 v[97:98], -v[97:98], v[101:102], v[103:104]
	v_div_fmas_f64 v[97:98], v[97:98], v[99:100], v[101:102]
	v_div_fixup_f64 v[117:118], v[97:98], v[92:93], 1.0
	v_mul_f64 v[119:120], v[90:91], -v[117:118]
.LBB106_723:
	s_or_b64 exec, exec, s[18:19]
.LBB106_724:
	s_or_b64 exec, exec, s[0:1]
	v_cmp_ne_u32_e32 vcc, v96, v89
	s_and_saveexec_b64 s[0:1], vcc
	s_xor_b64 s[0:1], exec, s[0:1]
	s_cbranch_execz .LBB106_730
; %bb.725:
	v_cmp_eq_u32_e32 vcc, 34, v96
	s_and_saveexec_b64 s[18:19], vcc
	s_cbranch_execz .LBB106_729
; %bb.726:
	v_cmp_ne_u32_e32 vcc, 34, v89
	s_xor_b64 s[20:21], s[6:7], -1
	s_and_b64 s[22:23], s[20:21], vcc
	s_and_saveexec_b64 s[20:21], s[22:23]
	s_cbranch_execz .LBB106_728
; %bb.727:
	buffer_load_dword v81, off, s[24:27], 0 offset:436 ; 4-byte Folded Reload
	buffer_load_dword v82, off, s[24:27], 0 offset:440 ; 4-byte Folded Reload
	v_ashrrev_i32_e32 v90, 31, v89
	v_lshlrev_b64 v[90:91], 2, v[89:90]
	s_waitcnt vmcnt(1)
	v_add_co_u32_e32 v90, vcc, v81, v90
	s_waitcnt vmcnt(0)
	v_addc_co_u32_e32 v91, vcc, v82, v91, vcc
	global_load_dword v92, v[90:91], off
	global_load_dword v93, v[81:82], off offset:136
	s_waitcnt vmcnt(1)
	global_store_dword v[81:82], v92, off offset:136
	v_mov_b32_e32 v81, v105
	v_mov_b32_e32 v82, v106
	;; [unrolled: 1-line block ×4, first 2 shown]
	s_waitcnt vmcnt(1)
	global_store_dword v[90:91], v93, off
.LBB106_728:
	s_or_b64 exec, exec, s[20:21]
	v_mov_b32_e32 v96, v89
	v_mov_b32_e32 v53, v89
	buffer_store_dword v53, off, s[24:27], 0 offset:352 ; 4-byte Folded Spill
.LBB106_729:
	s_or_b64 exec, exec, s[18:19]
.LBB106_730:
	s_andn2_saveexec_b64 s[0:1], s[0:1]
	s_cbranch_execz .LBB106_732
; %bb.731:
	ds_write2_b64 v0, v[69:70], v[71:72] offset0:70 offset1:71
	ds_write2_b64 v0, v[65:66], v[67:68] offset0:72 offset1:73
	;; [unrolled: 1-line block ×4, first 2 shown]
	buffer_load_dword v53, off, s[24:27], 0 ; 4-byte Folded Reload
	buffer_load_dword v54, off, s[24:27], 0 offset:4 ; 4-byte Folded Reload
	buffer_load_dword v55, off, s[24:27], 0 offset:8 ; 4-byte Folded Reload
	;; [unrolled: 1-line block ×3, first 2 shown]
	v_mov_b32_e32 v96, 34
	s_waitcnt vmcnt(0)
	ds_write2_b64 v0, v[53:54], v[55:56] offset0:78 offset1:79
	ds_write2_b64 v0, v[49:50], v[51:52] offset0:80 offset1:81
	ds_write2_b64 v0, v[45:46], v[47:48] offset0:82 offset1:83
	ds_write2_b64 v0, v[41:42], v[43:44] offset0:84 offset1:85
	ds_write2_b64 v0, v[37:38], v[39:40] offset0:86 offset1:87
	ds_write2_b64 v0, v[33:34], v[35:36] offset0:88 offset1:89
	ds_write2_b64 v0, v[29:30], v[31:32] offset0:90 offset1:91
	ds_write2_b64 v0, v[25:26], v[27:28] offset0:92 offset1:93
	ds_write2_b64 v0, v[21:22], v[23:24] offset0:94 offset1:95
	ds_write2_b64 v0, v[17:18], v[19:20] offset0:96 offset1:97
	ds_write2_b64 v0, v[13:14], v[15:16] offset0:98 offset1:99
	ds_write2_b64 v0, v[9:10], v[11:12] offset0:100 offset1:101
	ds_write2_b64 v0, v[5:6], v[7:8] offset0:102 offset1:103
	ds_write2_b64 v0, v[1:2], v[3:4] offset0:104 offset1:105
	ds_write2_b64 v0, v[121:122], v[123:124] offset0:106 offset1:107
.LBB106_732:
	s_or_b64 exec, exec, s[0:1]
	v_cmp_lt_i32_e32 vcc, 34, v96
	s_waitcnt vmcnt(0) lgkmcnt(0)
	s_barrier
	s_and_saveexec_b64 s[0:1], vcc
	s_cbranch_execz .LBB106_734
; %bb.733:
	v_mul_f64 v[89:90], v[119:120], v[75:76]
	v_mul_f64 v[75:76], v[117:118], v[75:76]
	ds_read2_b64 v[91:94], v0 offset0:70 offset1:71
	v_fma_f64 v[89:90], v[117:118], v[73:74], -v[89:90]
	v_fma_f64 v[75:76], v[119:120], v[73:74], v[75:76]
	s_waitcnt lgkmcnt(0)
	v_mul_f64 v[73:74], v[93:94], v[75:76]
	v_fma_f64 v[73:74], v[91:92], v[89:90], -v[73:74]
	v_mul_f64 v[91:92], v[91:92], v[75:76]
	v_add_f64 v[69:70], v[69:70], -v[73:74]
	v_fma_f64 v[91:92], v[93:94], v[89:90], v[91:92]
	v_add_f64 v[71:72], v[71:72], -v[91:92]
	ds_read2_b64 v[91:94], v0 offset0:72 offset1:73
	s_waitcnt lgkmcnt(0)
	v_mul_f64 v[73:74], v[93:94], v[75:76]
	v_fma_f64 v[73:74], v[91:92], v[89:90], -v[73:74]
	v_mul_f64 v[91:92], v[91:92], v[75:76]
	v_add_f64 v[65:66], v[65:66], -v[73:74]
	v_fma_f64 v[91:92], v[93:94], v[89:90], v[91:92]
	v_add_f64 v[67:68], v[67:68], -v[91:92]
	ds_read2_b64 v[91:94], v0 offset0:74 offset1:75
	s_waitcnt lgkmcnt(0)
	v_mul_f64 v[73:74], v[93:94], v[75:76]
	v_fma_f64 v[73:74], v[91:92], v[89:90], -v[73:74]
	v_mul_f64 v[91:92], v[91:92], v[75:76]
	v_add_f64 v[61:62], v[61:62], -v[73:74]
	v_fma_f64 v[91:92], v[93:94], v[89:90], v[91:92]
	v_add_f64 v[63:64], v[63:64], -v[91:92]
	ds_read2_b64 v[91:94], v0 offset0:76 offset1:77
	s_waitcnt lgkmcnt(0)
	v_mul_f64 v[73:74], v[93:94], v[75:76]
	v_fma_f64 v[73:74], v[91:92], v[89:90], -v[73:74]
	v_mul_f64 v[91:92], v[91:92], v[75:76]
	v_add_f64 v[57:58], v[57:58], -v[73:74]
	v_fma_f64 v[91:92], v[93:94], v[89:90], v[91:92]
	v_add_f64 v[59:60], v[59:60], -v[91:92]
	ds_read2_b64 v[91:94], v0 offset0:78 offset1:79
	buffer_load_dword v53, off, s[24:27], 0 ; 4-byte Folded Reload
	buffer_load_dword v54, off, s[24:27], 0 offset:4 ; 4-byte Folded Reload
	buffer_load_dword v55, off, s[24:27], 0 offset:8 ; 4-byte Folded Reload
	;; [unrolled: 1-line block ×3, first 2 shown]
	s_waitcnt lgkmcnt(0)
	v_mul_f64 v[73:74], v[93:94], v[75:76]
	v_fma_f64 v[73:74], v[91:92], v[89:90], -v[73:74]
	v_mul_f64 v[91:92], v[91:92], v[75:76]
	v_fma_f64 v[91:92], v[93:94], v[89:90], v[91:92]
	s_waitcnt vmcnt(2)
	v_add_f64 v[53:54], v[53:54], -v[73:74]
	s_waitcnt vmcnt(0)
	v_add_f64 v[55:56], v[55:56], -v[91:92]
	buffer_store_dword v53, off, s[24:27], 0 ; 4-byte Folded Spill
	s_nop 0
	buffer_store_dword v54, off, s[24:27], 0 offset:4 ; 4-byte Folded Spill
	buffer_store_dword v55, off, s[24:27], 0 offset:8 ; 4-byte Folded Spill
	;; [unrolled: 1-line block ×3, first 2 shown]
	ds_read2_b64 v[91:94], v0 offset0:80 offset1:81
	s_waitcnt lgkmcnt(0)
	v_mul_f64 v[73:74], v[93:94], v[75:76]
	v_fma_f64 v[73:74], v[91:92], v[89:90], -v[73:74]
	v_mul_f64 v[91:92], v[91:92], v[75:76]
	v_add_f64 v[49:50], v[49:50], -v[73:74]
	v_fma_f64 v[91:92], v[93:94], v[89:90], v[91:92]
	v_add_f64 v[51:52], v[51:52], -v[91:92]
	ds_read2_b64 v[91:94], v0 offset0:82 offset1:83
	s_waitcnt lgkmcnt(0)
	v_mul_f64 v[73:74], v[93:94], v[75:76]
	v_fma_f64 v[73:74], v[91:92], v[89:90], -v[73:74]
	v_mul_f64 v[91:92], v[91:92], v[75:76]
	v_add_f64 v[45:46], v[45:46], -v[73:74]
	v_fma_f64 v[91:92], v[93:94], v[89:90], v[91:92]
	v_add_f64 v[47:48], v[47:48], -v[91:92]
	;; [unrolled: 8-line block ×13, first 2 shown]
	ds_read2_b64 v[91:94], v0 offset0:106 offset1:107
	s_waitcnt lgkmcnt(0)
	v_mul_f64 v[73:74], v[93:94], v[75:76]
	v_fma_f64 v[73:74], v[91:92], v[89:90], -v[73:74]
	v_mul_f64 v[91:92], v[91:92], v[75:76]
	v_add_f64 v[121:122], v[121:122], -v[73:74]
	v_fma_f64 v[91:92], v[93:94], v[89:90], v[91:92]
	v_mov_b32_e32 v73, v89
	v_mov_b32_e32 v74, v90
	v_add_f64 v[123:124], v[123:124], -v[91:92]
.LBB106_734:
	s_or_b64 exec, exec, s[0:1]
	v_lshl_add_u32 v89, v96, 4, v0
	s_waitcnt vmcnt(0)
	s_barrier
	ds_write2_b64 v89, v[69:70], v[71:72] offset1:1
	s_waitcnt lgkmcnt(0)
	s_barrier
	ds_read2_b64 v[117:120], v0 offset0:70 offset1:71
	s_cmp_lt_i32 s3, 37
	v_mov_b32_e32 v89, 35
	s_cbranch_scc1 .LBB106_737
; %bb.735:
	v_add_u32_e32 v90, 0x240, v0
	s_mov_b32 s0, 36
	v_mov_b32_e32 v89, 35
.LBB106_736:                            ; =>This Inner Loop Header: Depth=1
	s_waitcnt lgkmcnt(0)
	v_cmp_gt_f64_e32 vcc, 0, v[117:118]
	v_xor_b32_e32 v97, 0x80000000, v118
	ds_read2_b64 v[91:94], v90 offset1:1
	v_xor_b32_e32 v99, 0x80000000, v120
	v_add_u32_e32 v90, 16, v90
	s_waitcnt lgkmcnt(0)
	v_xor_b32_e32 v101, 0x80000000, v94
	v_cndmask_b32_e32 v98, v118, v97, vcc
	v_cmp_gt_f64_e32 vcc, 0, v[119:120]
	v_mov_b32_e32 v97, v117
	v_cndmask_b32_e32 v100, v120, v99, vcc
	v_cmp_gt_f64_e32 vcc, 0, v[91:92]
	v_mov_b32_e32 v99, v119
	v_add_f64 v[97:98], v[97:98], v[99:100]
	v_xor_b32_e32 v99, 0x80000000, v92
	v_cndmask_b32_e32 v100, v92, v99, vcc
	v_cmp_gt_f64_e32 vcc, 0, v[93:94]
	v_mov_b32_e32 v99, v91
	v_cndmask_b32_e32 v102, v94, v101, vcc
	v_mov_b32_e32 v101, v93
	v_add_f64 v[99:100], v[99:100], v[101:102]
	v_cmp_lt_f64_e32 vcc, v[97:98], v[99:100]
	v_cndmask_b32_e32 v117, v117, v91, vcc
	v_mov_b32_e32 v91, s0
	s_add_i32 s0, s0, 1
	v_cndmask_b32_e32 v118, v118, v92, vcc
	v_cndmask_b32_e32 v120, v120, v94, vcc
	;; [unrolled: 1-line block ×4, first 2 shown]
	s_cmp_lg_u32 s3, s0
	s_cbranch_scc1 .LBB106_736
.LBB106_737:
	s_waitcnt lgkmcnt(0)
	v_cmp_eq_f64_e32 vcc, 0, v[117:118]
	v_cmp_eq_f64_e64 s[0:1], 0, v[119:120]
	s_and_b64 s[0:1], vcc, s[0:1]
	s_and_saveexec_b64 s[18:19], s[0:1]
	s_xor_b64 s[0:1], exec, s[18:19]
; %bb.738:
	v_cmp_ne_u32_e32 vcc, 0, v95
	v_cndmask_b32_e32 v95, 36, v95, vcc
; %bb.739:
	s_andn2_saveexec_b64 s[0:1], s[0:1]
	s_cbranch_execz .LBB106_745
; %bb.740:
	v_cmp_ngt_f64_e64 s[18:19], |v[117:118]|, |v[119:120]|
	s_and_saveexec_b64 s[20:21], s[18:19]
	s_xor_b64 s[18:19], exec, s[20:21]
	s_cbranch_execz .LBB106_742
; %bb.741:
	v_div_scale_f64 v[90:91], s[20:21], v[119:120], v[119:120], v[117:118]
	v_rcp_f64_e32 v[92:93], v[90:91]
	v_fma_f64 v[97:98], -v[90:91], v[92:93], 1.0
	v_fma_f64 v[92:93], v[92:93], v[97:98], v[92:93]
	v_div_scale_f64 v[97:98], vcc, v[117:118], v[119:120], v[117:118]
	v_fma_f64 v[99:100], -v[90:91], v[92:93], 1.0
	v_fma_f64 v[92:93], v[92:93], v[99:100], v[92:93]
	v_mul_f64 v[99:100], v[97:98], v[92:93]
	v_fma_f64 v[90:91], -v[90:91], v[99:100], v[97:98]
	v_div_fmas_f64 v[90:91], v[90:91], v[92:93], v[99:100]
	v_div_fixup_f64 v[90:91], v[90:91], v[119:120], v[117:118]
	v_fma_f64 v[92:93], v[117:118], v[90:91], v[119:120]
	v_div_scale_f64 v[97:98], s[20:21], v[92:93], v[92:93], 1.0
	v_div_scale_f64 v[103:104], vcc, 1.0, v[92:93], 1.0
	v_rcp_f64_e32 v[99:100], v[97:98]
	v_fma_f64 v[101:102], -v[97:98], v[99:100], 1.0
	v_fma_f64 v[99:100], v[99:100], v[101:102], v[99:100]
	v_fma_f64 v[101:102], -v[97:98], v[99:100], 1.0
	v_fma_f64 v[99:100], v[99:100], v[101:102], v[99:100]
	v_mul_f64 v[101:102], v[103:104], v[99:100]
	v_fma_f64 v[97:98], -v[97:98], v[101:102], v[103:104]
	v_div_fmas_f64 v[97:98], v[97:98], v[99:100], v[101:102]
	v_div_fixup_f64 v[119:120], v[97:98], v[92:93], 1.0
	v_mul_f64 v[117:118], v[90:91], v[119:120]
	v_xor_b32_e32 v120, 0x80000000, v120
.LBB106_742:
	s_andn2_saveexec_b64 s[18:19], s[18:19]
	s_cbranch_execz .LBB106_744
; %bb.743:
	v_div_scale_f64 v[90:91], s[20:21], v[117:118], v[117:118], v[119:120]
	v_rcp_f64_e32 v[92:93], v[90:91]
	v_fma_f64 v[97:98], -v[90:91], v[92:93], 1.0
	v_fma_f64 v[92:93], v[92:93], v[97:98], v[92:93]
	v_div_scale_f64 v[97:98], vcc, v[119:120], v[117:118], v[119:120]
	v_fma_f64 v[99:100], -v[90:91], v[92:93], 1.0
	v_fma_f64 v[92:93], v[92:93], v[99:100], v[92:93]
	v_mul_f64 v[99:100], v[97:98], v[92:93]
	v_fma_f64 v[90:91], -v[90:91], v[99:100], v[97:98]
	v_div_fmas_f64 v[90:91], v[90:91], v[92:93], v[99:100]
	v_div_fixup_f64 v[90:91], v[90:91], v[117:118], v[119:120]
	v_fma_f64 v[92:93], v[119:120], v[90:91], v[117:118]
	v_div_scale_f64 v[97:98], s[20:21], v[92:93], v[92:93], 1.0
	v_div_scale_f64 v[103:104], vcc, 1.0, v[92:93], 1.0
	v_rcp_f64_e32 v[99:100], v[97:98]
	v_fma_f64 v[101:102], -v[97:98], v[99:100], 1.0
	v_fma_f64 v[99:100], v[99:100], v[101:102], v[99:100]
	v_fma_f64 v[101:102], -v[97:98], v[99:100], 1.0
	v_fma_f64 v[99:100], v[99:100], v[101:102], v[99:100]
	v_mul_f64 v[101:102], v[103:104], v[99:100]
	v_fma_f64 v[97:98], -v[97:98], v[101:102], v[103:104]
	v_div_fmas_f64 v[97:98], v[97:98], v[99:100], v[101:102]
	v_div_fixup_f64 v[117:118], v[97:98], v[92:93], 1.0
	v_mul_f64 v[119:120], v[90:91], -v[117:118]
.LBB106_744:
	s_or_b64 exec, exec, s[18:19]
.LBB106_745:
	s_or_b64 exec, exec, s[0:1]
	v_cmp_ne_u32_e32 vcc, v96, v89
	s_and_saveexec_b64 s[0:1], vcc
	s_xor_b64 s[0:1], exec, s[0:1]
	s_cbranch_execz .LBB106_751
; %bb.746:
	v_cmp_eq_u32_e32 vcc, 35, v96
	s_and_saveexec_b64 s[18:19], vcc
	s_cbranch_execz .LBB106_750
; %bb.747:
	v_cmp_ne_u32_e32 vcc, 35, v89
	s_xor_b64 s[20:21], s[6:7], -1
	s_and_b64 s[22:23], s[20:21], vcc
	s_and_saveexec_b64 s[20:21], s[22:23]
	s_cbranch_execz .LBB106_749
; %bb.748:
	buffer_load_dword v81, off, s[24:27], 0 offset:436 ; 4-byte Folded Reload
	buffer_load_dword v82, off, s[24:27], 0 offset:440 ; 4-byte Folded Reload
	v_ashrrev_i32_e32 v90, 31, v89
	v_lshlrev_b64 v[90:91], 2, v[89:90]
	s_waitcnt vmcnt(1)
	v_add_co_u32_e32 v90, vcc, v81, v90
	s_waitcnt vmcnt(0)
	v_addc_co_u32_e32 v91, vcc, v82, v91, vcc
	global_load_dword v92, v[90:91], off
	global_load_dword v93, v[81:82], off offset:140
	s_waitcnt vmcnt(1)
	global_store_dword v[81:82], v92, off offset:140
	v_mov_b32_e32 v81, v105
	v_mov_b32_e32 v82, v106
	;; [unrolled: 1-line block ×4, first 2 shown]
	s_waitcnt vmcnt(1)
	global_store_dword v[90:91], v93, off
.LBB106_749:
	s_or_b64 exec, exec, s[20:21]
	v_mov_b32_e32 v96, v89
	v_mov_b32_e32 v53, v89
	buffer_store_dword v53, off, s[24:27], 0 offset:352 ; 4-byte Folded Spill
.LBB106_750:
	s_or_b64 exec, exec, s[18:19]
.LBB106_751:
	s_andn2_saveexec_b64 s[0:1], s[0:1]
	s_cbranch_execz .LBB106_753
; %bb.752:
	ds_write2_b64 v0, v[65:66], v[67:68] offset0:72 offset1:73
	ds_write2_b64 v0, v[61:62], v[63:64] offset0:74 offset1:75
	;; [unrolled: 1-line block ×3, first 2 shown]
	buffer_load_dword v53, off, s[24:27], 0 ; 4-byte Folded Reload
	buffer_load_dword v54, off, s[24:27], 0 offset:4 ; 4-byte Folded Reload
	buffer_load_dword v55, off, s[24:27], 0 offset:8 ; 4-byte Folded Reload
	;; [unrolled: 1-line block ×3, first 2 shown]
	v_mov_b32_e32 v96, 35
	s_waitcnt vmcnt(0)
	ds_write2_b64 v0, v[53:54], v[55:56] offset0:78 offset1:79
	ds_write2_b64 v0, v[49:50], v[51:52] offset0:80 offset1:81
	;; [unrolled: 1-line block ×15, first 2 shown]
.LBB106_753:
	s_or_b64 exec, exec, s[0:1]
	v_cmp_lt_i32_e32 vcc, 35, v96
	s_waitcnt vmcnt(0) lgkmcnt(0)
	s_barrier
	s_and_saveexec_b64 s[0:1], vcc
	s_cbranch_execz .LBB106_755
; %bb.754:
	v_mul_f64 v[89:90], v[119:120], v[71:72]
	v_mul_f64 v[71:72], v[117:118], v[71:72]
	ds_read2_b64 v[91:94], v0 offset0:72 offset1:73
	v_fma_f64 v[89:90], v[117:118], v[69:70], -v[89:90]
	v_fma_f64 v[71:72], v[119:120], v[69:70], v[71:72]
	s_waitcnt lgkmcnt(0)
	v_mul_f64 v[69:70], v[93:94], v[71:72]
	v_fma_f64 v[69:70], v[91:92], v[89:90], -v[69:70]
	v_mul_f64 v[91:92], v[91:92], v[71:72]
	v_add_f64 v[65:66], v[65:66], -v[69:70]
	v_fma_f64 v[91:92], v[93:94], v[89:90], v[91:92]
	v_add_f64 v[67:68], v[67:68], -v[91:92]
	ds_read2_b64 v[91:94], v0 offset0:74 offset1:75
	s_waitcnt lgkmcnt(0)
	v_mul_f64 v[69:70], v[93:94], v[71:72]
	v_fma_f64 v[69:70], v[91:92], v[89:90], -v[69:70]
	v_mul_f64 v[91:92], v[91:92], v[71:72]
	v_add_f64 v[61:62], v[61:62], -v[69:70]
	v_fma_f64 v[91:92], v[93:94], v[89:90], v[91:92]
	v_add_f64 v[63:64], v[63:64], -v[91:92]
	ds_read2_b64 v[91:94], v0 offset0:76 offset1:77
	s_waitcnt lgkmcnt(0)
	v_mul_f64 v[69:70], v[93:94], v[71:72]
	v_fma_f64 v[69:70], v[91:92], v[89:90], -v[69:70]
	v_mul_f64 v[91:92], v[91:92], v[71:72]
	v_add_f64 v[57:58], v[57:58], -v[69:70]
	v_fma_f64 v[91:92], v[93:94], v[89:90], v[91:92]
	v_add_f64 v[59:60], v[59:60], -v[91:92]
	ds_read2_b64 v[91:94], v0 offset0:78 offset1:79
	buffer_load_dword v53, off, s[24:27], 0 ; 4-byte Folded Reload
	buffer_load_dword v54, off, s[24:27], 0 offset:4 ; 4-byte Folded Reload
	buffer_load_dword v55, off, s[24:27], 0 offset:8 ; 4-byte Folded Reload
	;; [unrolled: 1-line block ×3, first 2 shown]
	s_waitcnt lgkmcnt(0)
	v_mul_f64 v[69:70], v[93:94], v[71:72]
	v_fma_f64 v[69:70], v[91:92], v[89:90], -v[69:70]
	v_mul_f64 v[91:92], v[91:92], v[71:72]
	v_fma_f64 v[91:92], v[93:94], v[89:90], v[91:92]
	s_waitcnt vmcnt(2)
	v_add_f64 v[53:54], v[53:54], -v[69:70]
	s_waitcnt vmcnt(0)
	v_add_f64 v[55:56], v[55:56], -v[91:92]
	buffer_store_dword v53, off, s[24:27], 0 ; 4-byte Folded Spill
	s_nop 0
	buffer_store_dword v54, off, s[24:27], 0 offset:4 ; 4-byte Folded Spill
	buffer_store_dword v55, off, s[24:27], 0 offset:8 ; 4-byte Folded Spill
	buffer_store_dword v56, off, s[24:27], 0 offset:12 ; 4-byte Folded Spill
	ds_read2_b64 v[91:94], v0 offset0:80 offset1:81
	s_waitcnt lgkmcnt(0)
	v_mul_f64 v[69:70], v[93:94], v[71:72]
	v_fma_f64 v[69:70], v[91:92], v[89:90], -v[69:70]
	v_mul_f64 v[91:92], v[91:92], v[71:72]
	v_add_f64 v[49:50], v[49:50], -v[69:70]
	v_fma_f64 v[91:92], v[93:94], v[89:90], v[91:92]
	v_add_f64 v[51:52], v[51:52], -v[91:92]
	ds_read2_b64 v[91:94], v0 offset0:82 offset1:83
	s_waitcnt lgkmcnt(0)
	v_mul_f64 v[69:70], v[93:94], v[71:72]
	v_fma_f64 v[69:70], v[91:92], v[89:90], -v[69:70]
	v_mul_f64 v[91:92], v[91:92], v[71:72]
	v_add_f64 v[45:46], v[45:46], -v[69:70]
	v_fma_f64 v[91:92], v[93:94], v[89:90], v[91:92]
	v_add_f64 v[47:48], v[47:48], -v[91:92]
	;; [unrolled: 8-line block ×13, first 2 shown]
	ds_read2_b64 v[91:94], v0 offset0:106 offset1:107
	s_waitcnt lgkmcnt(0)
	v_mul_f64 v[69:70], v[93:94], v[71:72]
	v_fma_f64 v[69:70], v[91:92], v[89:90], -v[69:70]
	v_mul_f64 v[91:92], v[91:92], v[71:72]
	v_add_f64 v[121:122], v[121:122], -v[69:70]
	v_fma_f64 v[91:92], v[93:94], v[89:90], v[91:92]
	v_mov_b32_e32 v69, v89
	v_mov_b32_e32 v70, v90
	v_add_f64 v[123:124], v[123:124], -v[91:92]
.LBB106_755:
	s_or_b64 exec, exec, s[0:1]
	v_lshl_add_u32 v89, v96, 4, v0
	s_waitcnt vmcnt(0)
	s_barrier
	ds_write2_b64 v89, v[65:66], v[67:68] offset1:1
	s_waitcnt lgkmcnt(0)
	s_barrier
	ds_read2_b64 v[117:120], v0 offset0:72 offset1:73
	s_cmp_lt_i32 s3, 38
	v_mov_b32_e32 v89, 36
	s_cbranch_scc1 .LBB106_758
; %bb.756:
	v_add_u32_e32 v90, 0x250, v0
	s_mov_b32 s0, 37
	v_mov_b32_e32 v89, 36
.LBB106_757:                            ; =>This Inner Loop Header: Depth=1
	s_waitcnt lgkmcnt(0)
	v_cmp_gt_f64_e32 vcc, 0, v[117:118]
	v_xor_b32_e32 v97, 0x80000000, v118
	ds_read2_b64 v[91:94], v90 offset1:1
	v_xor_b32_e32 v99, 0x80000000, v120
	v_add_u32_e32 v90, 16, v90
	s_waitcnt lgkmcnt(0)
	v_xor_b32_e32 v101, 0x80000000, v94
	v_cndmask_b32_e32 v98, v118, v97, vcc
	v_cmp_gt_f64_e32 vcc, 0, v[119:120]
	v_mov_b32_e32 v97, v117
	v_cndmask_b32_e32 v100, v120, v99, vcc
	v_cmp_gt_f64_e32 vcc, 0, v[91:92]
	v_mov_b32_e32 v99, v119
	v_add_f64 v[97:98], v[97:98], v[99:100]
	v_xor_b32_e32 v99, 0x80000000, v92
	v_cndmask_b32_e32 v100, v92, v99, vcc
	v_cmp_gt_f64_e32 vcc, 0, v[93:94]
	v_mov_b32_e32 v99, v91
	v_cndmask_b32_e32 v102, v94, v101, vcc
	v_mov_b32_e32 v101, v93
	v_add_f64 v[99:100], v[99:100], v[101:102]
	v_cmp_lt_f64_e32 vcc, v[97:98], v[99:100]
	v_cndmask_b32_e32 v117, v117, v91, vcc
	v_mov_b32_e32 v91, s0
	s_add_i32 s0, s0, 1
	v_cndmask_b32_e32 v118, v118, v92, vcc
	v_cndmask_b32_e32 v120, v120, v94, vcc
	;; [unrolled: 1-line block ×4, first 2 shown]
	s_cmp_lg_u32 s3, s0
	s_cbranch_scc1 .LBB106_757
.LBB106_758:
	s_waitcnt lgkmcnt(0)
	v_cmp_eq_f64_e32 vcc, 0, v[117:118]
	v_cmp_eq_f64_e64 s[0:1], 0, v[119:120]
	s_and_b64 s[0:1], vcc, s[0:1]
	s_and_saveexec_b64 s[18:19], s[0:1]
	s_xor_b64 s[0:1], exec, s[18:19]
; %bb.759:
	v_cmp_ne_u32_e32 vcc, 0, v95
	v_cndmask_b32_e32 v95, 37, v95, vcc
; %bb.760:
	s_andn2_saveexec_b64 s[0:1], s[0:1]
	s_cbranch_execz .LBB106_766
; %bb.761:
	v_cmp_ngt_f64_e64 s[18:19], |v[117:118]|, |v[119:120]|
	s_and_saveexec_b64 s[20:21], s[18:19]
	s_xor_b64 s[18:19], exec, s[20:21]
	s_cbranch_execz .LBB106_763
; %bb.762:
	v_div_scale_f64 v[90:91], s[20:21], v[119:120], v[119:120], v[117:118]
	v_rcp_f64_e32 v[92:93], v[90:91]
	v_fma_f64 v[97:98], -v[90:91], v[92:93], 1.0
	v_fma_f64 v[92:93], v[92:93], v[97:98], v[92:93]
	v_div_scale_f64 v[97:98], vcc, v[117:118], v[119:120], v[117:118]
	v_fma_f64 v[99:100], -v[90:91], v[92:93], 1.0
	v_fma_f64 v[92:93], v[92:93], v[99:100], v[92:93]
	v_mul_f64 v[99:100], v[97:98], v[92:93]
	v_fma_f64 v[90:91], -v[90:91], v[99:100], v[97:98]
	v_div_fmas_f64 v[90:91], v[90:91], v[92:93], v[99:100]
	v_div_fixup_f64 v[90:91], v[90:91], v[119:120], v[117:118]
	v_fma_f64 v[92:93], v[117:118], v[90:91], v[119:120]
	v_div_scale_f64 v[97:98], s[20:21], v[92:93], v[92:93], 1.0
	v_div_scale_f64 v[103:104], vcc, 1.0, v[92:93], 1.0
	v_rcp_f64_e32 v[99:100], v[97:98]
	v_fma_f64 v[101:102], -v[97:98], v[99:100], 1.0
	v_fma_f64 v[99:100], v[99:100], v[101:102], v[99:100]
	v_fma_f64 v[101:102], -v[97:98], v[99:100], 1.0
	v_fma_f64 v[99:100], v[99:100], v[101:102], v[99:100]
	v_mul_f64 v[101:102], v[103:104], v[99:100]
	v_fma_f64 v[97:98], -v[97:98], v[101:102], v[103:104]
	v_div_fmas_f64 v[97:98], v[97:98], v[99:100], v[101:102]
	v_div_fixup_f64 v[119:120], v[97:98], v[92:93], 1.0
	v_mul_f64 v[117:118], v[90:91], v[119:120]
	v_xor_b32_e32 v120, 0x80000000, v120
.LBB106_763:
	s_andn2_saveexec_b64 s[18:19], s[18:19]
	s_cbranch_execz .LBB106_765
; %bb.764:
	v_div_scale_f64 v[90:91], s[20:21], v[117:118], v[117:118], v[119:120]
	v_rcp_f64_e32 v[92:93], v[90:91]
	v_fma_f64 v[97:98], -v[90:91], v[92:93], 1.0
	v_fma_f64 v[92:93], v[92:93], v[97:98], v[92:93]
	v_div_scale_f64 v[97:98], vcc, v[119:120], v[117:118], v[119:120]
	v_fma_f64 v[99:100], -v[90:91], v[92:93], 1.0
	v_fma_f64 v[92:93], v[92:93], v[99:100], v[92:93]
	v_mul_f64 v[99:100], v[97:98], v[92:93]
	v_fma_f64 v[90:91], -v[90:91], v[99:100], v[97:98]
	v_div_fmas_f64 v[90:91], v[90:91], v[92:93], v[99:100]
	v_div_fixup_f64 v[90:91], v[90:91], v[117:118], v[119:120]
	v_fma_f64 v[92:93], v[119:120], v[90:91], v[117:118]
	v_div_scale_f64 v[97:98], s[20:21], v[92:93], v[92:93], 1.0
	v_div_scale_f64 v[103:104], vcc, 1.0, v[92:93], 1.0
	v_rcp_f64_e32 v[99:100], v[97:98]
	v_fma_f64 v[101:102], -v[97:98], v[99:100], 1.0
	v_fma_f64 v[99:100], v[99:100], v[101:102], v[99:100]
	v_fma_f64 v[101:102], -v[97:98], v[99:100], 1.0
	v_fma_f64 v[99:100], v[99:100], v[101:102], v[99:100]
	v_mul_f64 v[101:102], v[103:104], v[99:100]
	v_fma_f64 v[97:98], -v[97:98], v[101:102], v[103:104]
	v_div_fmas_f64 v[97:98], v[97:98], v[99:100], v[101:102]
	v_div_fixup_f64 v[117:118], v[97:98], v[92:93], 1.0
	v_mul_f64 v[119:120], v[90:91], -v[117:118]
.LBB106_765:
	s_or_b64 exec, exec, s[18:19]
.LBB106_766:
	s_or_b64 exec, exec, s[0:1]
	v_cmp_ne_u32_e32 vcc, v96, v89
	s_and_saveexec_b64 s[0:1], vcc
	s_xor_b64 s[0:1], exec, s[0:1]
	s_cbranch_execz .LBB106_772
; %bb.767:
	v_cmp_eq_u32_e32 vcc, 36, v96
	s_and_saveexec_b64 s[18:19], vcc
	s_cbranch_execz .LBB106_771
; %bb.768:
	v_cmp_ne_u32_e32 vcc, 36, v89
	s_xor_b64 s[20:21], s[6:7], -1
	s_and_b64 s[22:23], s[20:21], vcc
	s_and_saveexec_b64 s[20:21], s[22:23]
	s_cbranch_execz .LBB106_770
; %bb.769:
	buffer_load_dword v81, off, s[24:27], 0 offset:436 ; 4-byte Folded Reload
	buffer_load_dword v82, off, s[24:27], 0 offset:440 ; 4-byte Folded Reload
	v_ashrrev_i32_e32 v90, 31, v89
	v_lshlrev_b64 v[90:91], 2, v[89:90]
	s_waitcnt vmcnt(1)
	v_add_co_u32_e32 v90, vcc, v81, v90
	s_waitcnt vmcnt(0)
	v_addc_co_u32_e32 v91, vcc, v82, v91, vcc
	global_load_dword v92, v[90:91], off
	global_load_dword v93, v[81:82], off offset:144
	s_waitcnt vmcnt(1)
	global_store_dword v[81:82], v92, off offset:144
	v_mov_b32_e32 v81, v105
	v_mov_b32_e32 v82, v106
	;; [unrolled: 1-line block ×4, first 2 shown]
	s_waitcnt vmcnt(1)
	global_store_dword v[90:91], v93, off
.LBB106_770:
	s_or_b64 exec, exec, s[20:21]
	v_mov_b32_e32 v96, v89
	v_mov_b32_e32 v53, v89
	buffer_store_dword v53, off, s[24:27], 0 offset:352 ; 4-byte Folded Spill
.LBB106_771:
	s_or_b64 exec, exec, s[18:19]
.LBB106_772:
	s_andn2_saveexec_b64 s[0:1], s[0:1]
	s_cbranch_execz .LBB106_774
; %bb.773:
	ds_write2_b64 v0, v[61:62], v[63:64] offset0:74 offset1:75
	ds_write2_b64 v0, v[57:58], v[59:60] offset0:76 offset1:77
	buffer_load_dword v53, off, s[24:27], 0 ; 4-byte Folded Reload
	buffer_load_dword v54, off, s[24:27], 0 offset:4 ; 4-byte Folded Reload
	buffer_load_dword v55, off, s[24:27], 0 offset:8 ; 4-byte Folded Reload
	buffer_load_dword v56, off, s[24:27], 0 offset:12 ; 4-byte Folded Reload
	v_mov_b32_e32 v96, 36
	s_waitcnt vmcnt(0)
	ds_write2_b64 v0, v[53:54], v[55:56] offset0:78 offset1:79
	ds_write2_b64 v0, v[49:50], v[51:52] offset0:80 offset1:81
	;; [unrolled: 1-line block ×15, first 2 shown]
.LBB106_774:
	s_or_b64 exec, exec, s[0:1]
	v_cmp_lt_i32_e32 vcc, 36, v96
	s_waitcnt vmcnt(0) lgkmcnt(0)
	s_barrier
	s_and_saveexec_b64 s[0:1], vcc
	s_cbranch_execz .LBB106_776
; %bb.775:
	v_mul_f64 v[89:90], v[119:120], v[67:68]
	v_mul_f64 v[67:68], v[117:118], v[67:68]
	ds_read2_b64 v[91:94], v0 offset0:74 offset1:75
	v_fma_f64 v[89:90], v[117:118], v[65:66], -v[89:90]
	v_fma_f64 v[67:68], v[119:120], v[65:66], v[67:68]
	s_waitcnt lgkmcnt(0)
	v_mul_f64 v[65:66], v[93:94], v[67:68]
	v_fma_f64 v[65:66], v[91:92], v[89:90], -v[65:66]
	v_mul_f64 v[91:92], v[91:92], v[67:68]
	v_add_f64 v[61:62], v[61:62], -v[65:66]
	v_fma_f64 v[91:92], v[93:94], v[89:90], v[91:92]
	v_add_f64 v[63:64], v[63:64], -v[91:92]
	ds_read2_b64 v[91:94], v0 offset0:76 offset1:77
	s_waitcnt lgkmcnt(0)
	v_mul_f64 v[65:66], v[93:94], v[67:68]
	v_fma_f64 v[65:66], v[91:92], v[89:90], -v[65:66]
	v_mul_f64 v[91:92], v[91:92], v[67:68]
	v_add_f64 v[57:58], v[57:58], -v[65:66]
	v_fma_f64 v[91:92], v[93:94], v[89:90], v[91:92]
	v_add_f64 v[59:60], v[59:60], -v[91:92]
	ds_read2_b64 v[91:94], v0 offset0:78 offset1:79
	buffer_load_dword v53, off, s[24:27], 0 ; 4-byte Folded Reload
	buffer_load_dword v54, off, s[24:27], 0 offset:4 ; 4-byte Folded Reload
	buffer_load_dword v55, off, s[24:27], 0 offset:8 ; 4-byte Folded Reload
	;; [unrolled: 1-line block ×3, first 2 shown]
	s_waitcnt lgkmcnt(0)
	v_mul_f64 v[65:66], v[93:94], v[67:68]
	v_fma_f64 v[65:66], v[91:92], v[89:90], -v[65:66]
	v_mul_f64 v[91:92], v[91:92], v[67:68]
	v_fma_f64 v[91:92], v[93:94], v[89:90], v[91:92]
	s_waitcnt vmcnt(2)
	v_add_f64 v[53:54], v[53:54], -v[65:66]
	s_waitcnt vmcnt(0)
	v_add_f64 v[55:56], v[55:56], -v[91:92]
	buffer_store_dword v53, off, s[24:27], 0 ; 4-byte Folded Spill
	s_nop 0
	buffer_store_dword v54, off, s[24:27], 0 offset:4 ; 4-byte Folded Spill
	buffer_store_dword v55, off, s[24:27], 0 offset:8 ; 4-byte Folded Spill
	;; [unrolled: 1-line block ×3, first 2 shown]
	ds_read2_b64 v[91:94], v0 offset0:80 offset1:81
	s_waitcnt lgkmcnt(0)
	v_mul_f64 v[65:66], v[93:94], v[67:68]
	v_fma_f64 v[65:66], v[91:92], v[89:90], -v[65:66]
	v_mul_f64 v[91:92], v[91:92], v[67:68]
	v_add_f64 v[49:50], v[49:50], -v[65:66]
	v_fma_f64 v[91:92], v[93:94], v[89:90], v[91:92]
	v_add_f64 v[51:52], v[51:52], -v[91:92]
	ds_read2_b64 v[91:94], v0 offset0:82 offset1:83
	s_waitcnt lgkmcnt(0)
	v_mul_f64 v[65:66], v[93:94], v[67:68]
	v_fma_f64 v[65:66], v[91:92], v[89:90], -v[65:66]
	v_mul_f64 v[91:92], v[91:92], v[67:68]
	v_add_f64 v[45:46], v[45:46], -v[65:66]
	v_fma_f64 v[91:92], v[93:94], v[89:90], v[91:92]
	v_add_f64 v[47:48], v[47:48], -v[91:92]
	;; [unrolled: 8-line block ×13, first 2 shown]
	ds_read2_b64 v[91:94], v0 offset0:106 offset1:107
	s_waitcnt lgkmcnt(0)
	v_mul_f64 v[65:66], v[93:94], v[67:68]
	v_fma_f64 v[65:66], v[91:92], v[89:90], -v[65:66]
	v_mul_f64 v[91:92], v[91:92], v[67:68]
	v_add_f64 v[121:122], v[121:122], -v[65:66]
	v_fma_f64 v[91:92], v[93:94], v[89:90], v[91:92]
	v_mov_b32_e32 v65, v89
	v_mov_b32_e32 v66, v90
	v_add_f64 v[123:124], v[123:124], -v[91:92]
.LBB106_776:
	s_or_b64 exec, exec, s[0:1]
	v_lshl_add_u32 v89, v96, 4, v0
	s_waitcnt vmcnt(0)
	s_barrier
	ds_write2_b64 v89, v[61:62], v[63:64] offset1:1
	s_waitcnt lgkmcnt(0)
	s_barrier
	ds_read2_b64 v[117:120], v0 offset0:74 offset1:75
	s_cmp_lt_i32 s3, 39
	v_mov_b32_e32 v89, 37
	s_cbranch_scc1 .LBB106_779
; %bb.777:
	v_add_u32_e32 v90, 0x260, v0
	s_mov_b32 s0, 38
	v_mov_b32_e32 v89, 37
.LBB106_778:                            ; =>This Inner Loop Header: Depth=1
	s_waitcnt lgkmcnt(0)
	v_cmp_gt_f64_e32 vcc, 0, v[117:118]
	v_xor_b32_e32 v97, 0x80000000, v118
	ds_read2_b64 v[91:94], v90 offset1:1
	v_xor_b32_e32 v99, 0x80000000, v120
	v_add_u32_e32 v90, 16, v90
	s_waitcnt lgkmcnt(0)
	v_xor_b32_e32 v101, 0x80000000, v94
	v_cndmask_b32_e32 v98, v118, v97, vcc
	v_cmp_gt_f64_e32 vcc, 0, v[119:120]
	v_mov_b32_e32 v97, v117
	v_cndmask_b32_e32 v100, v120, v99, vcc
	v_cmp_gt_f64_e32 vcc, 0, v[91:92]
	v_mov_b32_e32 v99, v119
	v_add_f64 v[97:98], v[97:98], v[99:100]
	v_xor_b32_e32 v99, 0x80000000, v92
	v_cndmask_b32_e32 v100, v92, v99, vcc
	v_cmp_gt_f64_e32 vcc, 0, v[93:94]
	v_mov_b32_e32 v99, v91
	v_cndmask_b32_e32 v102, v94, v101, vcc
	v_mov_b32_e32 v101, v93
	v_add_f64 v[99:100], v[99:100], v[101:102]
	v_cmp_lt_f64_e32 vcc, v[97:98], v[99:100]
	v_cndmask_b32_e32 v117, v117, v91, vcc
	v_mov_b32_e32 v91, s0
	s_add_i32 s0, s0, 1
	v_cndmask_b32_e32 v118, v118, v92, vcc
	v_cndmask_b32_e32 v120, v120, v94, vcc
	;; [unrolled: 1-line block ×4, first 2 shown]
	s_cmp_lg_u32 s3, s0
	s_cbranch_scc1 .LBB106_778
.LBB106_779:
	s_waitcnt lgkmcnt(0)
	v_cmp_eq_f64_e32 vcc, 0, v[117:118]
	v_cmp_eq_f64_e64 s[0:1], 0, v[119:120]
	s_and_b64 s[0:1], vcc, s[0:1]
	s_and_saveexec_b64 s[18:19], s[0:1]
	s_xor_b64 s[0:1], exec, s[18:19]
; %bb.780:
	v_cmp_ne_u32_e32 vcc, 0, v95
	v_cndmask_b32_e32 v95, 38, v95, vcc
; %bb.781:
	s_andn2_saveexec_b64 s[0:1], s[0:1]
	s_cbranch_execz .LBB106_787
; %bb.782:
	v_cmp_ngt_f64_e64 s[18:19], |v[117:118]|, |v[119:120]|
	s_and_saveexec_b64 s[20:21], s[18:19]
	s_xor_b64 s[18:19], exec, s[20:21]
	s_cbranch_execz .LBB106_784
; %bb.783:
	v_div_scale_f64 v[90:91], s[20:21], v[119:120], v[119:120], v[117:118]
	v_rcp_f64_e32 v[92:93], v[90:91]
	v_fma_f64 v[97:98], -v[90:91], v[92:93], 1.0
	v_fma_f64 v[92:93], v[92:93], v[97:98], v[92:93]
	v_div_scale_f64 v[97:98], vcc, v[117:118], v[119:120], v[117:118]
	v_fma_f64 v[99:100], -v[90:91], v[92:93], 1.0
	v_fma_f64 v[92:93], v[92:93], v[99:100], v[92:93]
	v_mul_f64 v[99:100], v[97:98], v[92:93]
	v_fma_f64 v[90:91], -v[90:91], v[99:100], v[97:98]
	v_div_fmas_f64 v[90:91], v[90:91], v[92:93], v[99:100]
	v_div_fixup_f64 v[90:91], v[90:91], v[119:120], v[117:118]
	v_fma_f64 v[92:93], v[117:118], v[90:91], v[119:120]
	v_div_scale_f64 v[97:98], s[20:21], v[92:93], v[92:93], 1.0
	v_div_scale_f64 v[103:104], vcc, 1.0, v[92:93], 1.0
	v_rcp_f64_e32 v[99:100], v[97:98]
	v_fma_f64 v[101:102], -v[97:98], v[99:100], 1.0
	v_fma_f64 v[99:100], v[99:100], v[101:102], v[99:100]
	v_fma_f64 v[101:102], -v[97:98], v[99:100], 1.0
	v_fma_f64 v[99:100], v[99:100], v[101:102], v[99:100]
	v_mul_f64 v[101:102], v[103:104], v[99:100]
	v_fma_f64 v[97:98], -v[97:98], v[101:102], v[103:104]
	v_div_fmas_f64 v[97:98], v[97:98], v[99:100], v[101:102]
	v_div_fixup_f64 v[119:120], v[97:98], v[92:93], 1.0
	v_mul_f64 v[117:118], v[90:91], v[119:120]
	v_xor_b32_e32 v120, 0x80000000, v120
.LBB106_784:
	s_andn2_saveexec_b64 s[18:19], s[18:19]
	s_cbranch_execz .LBB106_786
; %bb.785:
	v_div_scale_f64 v[90:91], s[20:21], v[117:118], v[117:118], v[119:120]
	v_rcp_f64_e32 v[92:93], v[90:91]
	v_fma_f64 v[97:98], -v[90:91], v[92:93], 1.0
	v_fma_f64 v[92:93], v[92:93], v[97:98], v[92:93]
	v_div_scale_f64 v[97:98], vcc, v[119:120], v[117:118], v[119:120]
	v_fma_f64 v[99:100], -v[90:91], v[92:93], 1.0
	v_fma_f64 v[92:93], v[92:93], v[99:100], v[92:93]
	v_mul_f64 v[99:100], v[97:98], v[92:93]
	v_fma_f64 v[90:91], -v[90:91], v[99:100], v[97:98]
	v_div_fmas_f64 v[90:91], v[90:91], v[92:93], v[99:100]
	v_div_fixup_f64 v[90:91], v[90:91], v[117:118], v[119:120]
	v_fma_f64 v[92:93], v[119:120], v[90:91], v[117:118]
	v_div_scale_f64 v[97:98], s[20:21], v[92:93], v[92:93], 1.0
	v_div_scale_f64 v[103:104], vcc, 1.0, v[92:93], 1.0
	v_rcp_f64_e32 v[99:100], v[97:98]
	v_fma_f64 v[101:102], -v[97:98], v[99:100], 1.0
	v_fma_f64 v[99:100], v[99:100], v[101:102], v[99:100]
	v_fma_f64 v[101:102], -v[97:98], v[99:100], 1.0
	v_fma_f64 v[99:100], v[99:100], v[101:102], v[99:100]
	v_mul_f64 v[101:102], v[103:104], v[99:100]
	v_fma_f64 v[97:98], -v[97:98], v[101:102], v[103:104]
	v_div_fmas_f64 v[97:98], v[97:98], v[99:100], v[101:102]
	v_div_fixup_f64 v[117:118], v[97:98], v[92:93], 1.0
	v_mul_f64 v[119:120], v[90:91], -v[117:118]
.LBB106_786:
	s_or_b64 exec, exec, s[18:19]
.LBB106_787:
	s_or_b64 exec, exec, s[0:1]
	v_cmp_ne_u32_e32 vcc, v96, v89
	s_and_saveexec_b64 s[0:1], vcc
	s_xor_b64 s[0:1], exec, s[0:1]
	s_cbranch_execz .LBB106_793
; %bb.788:
	v_cmp_eq_u32_e32 vcc, 37, v96
	s_and_saveexec_b64 s[18:19], vcc
	s_cbranch_execz .LBB106_792
; %bb.789:
	v_cmp_ne_u32_e32 vcc, 37, v89
	s_xor_b64 s[20:21], s[6:7], -1
	s_and_b64 s[22:23], s[20:21], vcc
	s_and_saveexec_b64 s[20:21], s[22:23]
	s_cbranch_execz .LBB106_791
; %bb.790:
	buffer_load_dword v81, off, s[24:27], 0 offset:436 ; 4-byte Folded Reload
	buffer_load_dword v82, off, s[24:27], 0 offset:440 ; 4-byte Folded Reload
	v_ashrrev_i32_e32 v90, 31, v89
	v_lshlrev_b64 v[90:91], 2, v[89:90]
	s_waitcnt vmcnt(1)
	v_add_co_u32_e32 v90, vcc, v81, v90
	s_waitcnt vmcnt(0)
	v_addc_co_u32_e32 v91, vcc, v82, v91, vcc
	global_load_dword v92, v[90:91], off
	global_load_dword v93, v[81:82], off offset:148
	s_waitcnt vmcnt(1)
	global_store_dword v[81:82], v92, off offset:148
	v_mov_b32_e32 v81, v105
	v_mov_b32_e32 v82, v106
	;; [unrolled: 1-line block ×4, first 2 shown]
	s_waitcnt vmcnt(1)
	global_store_dword v[90:91], v93, off
.LBB106_791:
	s_or_b64 exec, exec, s[20:21]
	v_mov_b32_e32 v96, v89
	v_mov_b32_e32 v53, v89
	buffer_store_dword v53, off, s[24:27], 0 offset:352 ; 4-byte Folded Spill
.LBB106_792:
	s_or_b64 exec, exec, s[18:19]
.LBB106_793:
	s_andn2_saveexec_b64 s[0:1], s[0:1]
	s_cbranch_execz .LBB106_795
; %bb.794:
	ds_write2_b64 v0, v[57:58], v[59:60] offset0:76 offset1:77
	buffer_load_dword v53, off, s[24:27], 0 ; 4-byte Folded Reload
	buffer_load_dword v54, off, s[24:27], 0 offset:4 ; 4-byte Folded Reload
	buffer_load_dword v55, off, s[24:27], 0 offset:8 ; 4-byte Folded Reload
	;; [unrolled: 1-line block ×3, first 2 shown]
	v_mov_b32_e32 v96, 37
	s_waitcnt vmcnt(0)
	ds_write2_b64 v0, v[53:54], v[55:56] offset0:78 offset1:79
	ds_write2_b64 v0, v[49:50], v[51:52] offset0:80 offset1:81
	;; [unrolled: 1-line block ×15, first 2 shown]
.LBB106_795:
	s_or_b64 exec, exec, s[0:1]
	v_cmp_lt_i32_e32 vcc, 37, v96
	s_waitcnt vmcnt(0) lgkmcnt(0)
	s_barrier
	s_and_saveexec_b64 s[0:1], vcc
	s_cbranch_execz .LBB106_797
; %bb.796:
	v_mul_f64 v[89:90], v[117:118], v[63:64]
	v_mul_f64 v[63:64], v[119:120], v[63:64]
	ds_read2_b64 v[91:94], v0 offset0:76 offset1:77
	v_fma_f64 v[89:90], v[119:120], v[61:62], v[89:90]
	v_fma_f64 v[61:62], v[117:118], v[61:62], -v[63:64]
	s_waitcnt lgkmcnt(0)
	v_mul_f64 v[63:64], v[93:94], v[89:90]
	v_fma_f64 v[63:64], v[91:92], v[61:62], -v[63:64]
	v_mul_f64 v[91:92], v[91:92], v[89:90]
	v_add_f64 v[57:58], v[57:58], -v[63:64]
	v_fma_f64 v[91:92], v[93:94], v[61:62], v[91:92]
	v_add_f64 v[59:60], v[59:60], -v[91:92]
	ds_read2_b64 v[91:94], v0 offset0:78 offset1:79
	buffer_load_dword v53, off, s[24:27], 0 ; 4-byte Folded Reload
	buffer_load_dword v54, off, s[24:27], 0 offset:4 ; 4-byte Folded Reload
	buffer_load_dword v55, off, s[24:27], 0 offset:8 ; 4-byte Folded Reload
	;; [unrolled: 1-line block ×3, first 2 shown]
	s_waitcnt lgkmcnt(0)
	v_mul_f64 v[63:64], v[93:94], v[89:90]
	v_fma_f64 v[63:64], v[91:92], v[61:62], -v[63:64]
	v_mul_f64 v[91:92], v[91:92], v[89:90]
	v_fma_f64 v[91:92], v[93:94], v[61:62], v[91:92]
	s_waitcnt vmcnt(2)
	v_add_f64 v[53:54], v[53:54], -v[63:64]
	s_waitcnt vmcnt(0)
	v_add_f64 v[55:56], v[55:56], -v[91:92]
	buffer_store_dword v53, off, s[24:27], 0 ; 4-byte Folded Spill
	s_nop 0
	buffer_store_dword v54, off, s[24:27], 0 offset:4 ; 4-byte Folded Spill
	buffer_store_dword v55, off, s[24:27], 0 offset:8 ; 4-byte Folded Spill
	;; [unrolled: 1-line block ×3, first 2 shown]
	ds_read2_b64 v[91:94], v0 offset0:80 offset1:81
	s_waitcnt lgkmcnt(0)
	v_mul_f64 v[63:64], v[93:94], v[89:90]
	v_fma_f64 v[63:64], v[91:92], v[61:62], -v[63:64]
	v_mul_f64 v[91:92], v[91:92], v[89:90]
	v_add_f64 v[49:50], v[49:50], -v[63:64]
	v_fma_f64 v[91:92], v[93:94], v[61:62], v[91:92]
	v_add_f64 v[51:52], v[51:52], -v[91:92]
	ds_read2_b64 v[91:94], v0 offset0:82 offset1:83
	s_waitcnt lgkmcnt(0)
	v_mul_f64 v[63:64], v[93:94], v[89:90]
	v_fma_f64 v[63:64], v[91:92], v[61:62], -v[63:64]
	v_mul_f64 v[91:92], v[91:92], v[89:90]
	v_add_f64 v[45:46], v[45:46], -v[63:64]
	v_fma_f64 v[91:92], v[93:94], v[61:62], v[91:92]
	v_add_f64 v[47:48], v[47:48], -v[91:92]
	;; [unrolled: 8-line block ×13, first 2 shown]
	ds_read2_b64 v[91:94], v0 offset0:106 offset1:107
	s_waitcnt lgkmcnt(0)
	v_mul_f64 v[63:64], v[93:94], v[89:90]
	v_fma_f64 v[63:64], v[91:92], v[61:62], -v[63:64]
	v_mul_f64 v[91:92], v[91:92], v[89:90]
	v_add_f64 v[121:122], v[121:122], -v[63:64]
	v_fma_f64 v[91:92], v[93:94], v[61:62], v[91:92]
	v_mov_b32_e32 v63, v89
	v_mov_b32_e32 v64, v90
	v_add_f64 v[123:124], v[123:124], -v[91:92]
.LBB106_797:
	s_or_b64 exec, exec, s[0:1]
	v_lshl_add_u32 v89, v96, 4, v0
	s_waitcnt vmcnt(0)
	s_barrier
	ds_write2_b64 v89, v[57:58], v[59:60] offset1:1
	s_waitcnt lgkmcnt(0)
	s_barrier
	ds_read2_b64 v[117:120], v0 offset0:76 offset1:77
	s_cmp_lt_i32 s3, 40
	v_mov_b32_e32 v89, 38
	s_cbranch_scc1 .LBB106_800
; %bb.798:
	v_add_u32_e32 v90, 0x270, v0
	s_mov_b32 s0, 39
	v_mov_b32_e32 v89, 38
.LBB106_799:                            ; =>This Inner Loop Header: Depth=1
	s_waitcnt lgkmcnt(0)
	v_cmp_gt_f64_e32 vcc, 0, v[117:118]
	v_xor_b32_e32 v97, 0x80000000, v118
	ds_read2_b64 v[91:94], v90 offset1:1
	v_xor_b32_e32 v99, 0x80000000, v120
	v_add_u32_e32 v90, 16, v90
	s_waitcnt lgkmcnt(0)
	v_xor_b32_e32 v101, 0x80000000, v94
	v_cndmask_b32_e32 v98, v118, v97, vcc
	v_cmp_gt_f64_e32 vcc, 0, v[119:120]
	v_mov_b32_e32 v97, v117
	v_cndmask_b32_e32 v100, v120, v99, vcc
	v_cmp_gt_f64_e32 vcc, 0, v[91:92]
	v_mov_b32_e32 v99, v119
	v_add_f64 v[97:98], v[97:98], v[99:100]
	v_xor_b32_e32 v99, 0x80000000, v92
	v_cndmask_b32_e32 v100, v92, v99, vcc
	v_cmp_gt_f64_e32 vcc, 0, v[93:94]
	v_mov_b32_e32 v99, v91
	v_cndmask_b32_e32 v102, v94, v101, vcc
	v_mov_b32_e32 v101, v93
	v_add_f64 v[99:100], v[99:100], v[101:102]
	v_cmp_lt_f64_e32 vcc, v[97:98], v[99:100]
	v_cndmask_b32_e32 v117, v117, v91, vcc
	v_mov_b32_e32 v91, s0
	s_add_i32 s0, s0, 1
	v_cndmask_b32_e32 v118, v118, v92, vcc
	v_cndmask_b32_e32 v120, v120, v94, vcc
	;; [unrolled: 1-line block ×4, first 2 shown]
	s_cmp_lg_u32 s3, s0
	s_cbranch_scc1 .LBB106_799
.LBB106_800:
	s_waitcnt lgkmcnt(0)
	v_cmp_eq_f64_e32 vcc, 0, v[117:118]
	v_cmp_eq_f64_e64 s[0:1], 0, v[119:120]
	s_and_b64 s[0:1], vcc, s[0:1]
	s_and_saveexec_b64 s[18:19], s[0:1]
	s_xor_b64 s[0:1], exec, s[18:19]
; %bb.801:
	v_cmp_ne_u32_e32 vcc, 0, v95
	v_cndmask_b32_e32 v95, 39, v95, vcc
; %bb.802:
	s_andn2_saveexec_b64 s[0:1], s[0:1]
	s_cbranch_execz .LBB106_808
; %bb.803:
	v_cmp_ngt_f64_e64 s[18:19], |v[117:118]|, |v[119:120]|
	s_and_saveexec_b64 s[20:21], s[18:19]
	s_xor_b64 s[18:19], exec, s[20:21]
	s_cbranch_execz .LBB106_805
; %bb.804:
	v_div_scale_f64 v[90:91], s[20:21], v[119:120], v[119:120], v[117:118]
	v_rcp_f64_e32 v[92:93], v[90:91]
	v_fma_f64 v[97:98], -v[90:91], v[92:93], 1.0
	v_fma_f64 v[92:93], v[92:93], v[97:98], v[92:93]
	v_div_scale_f64 v[97:98], vcc, v[117:118], v[119:120], v[117:118]
	v_fma_f64 v[99:100], -v[90:91], v[92:93], 1.0
	v_fma_f64 v[92:93], v[92:93], v[99:100], v[92:93]
	v_mul_f64 v[99:100], v[97:98], v[92:93]
	v_fma_f64 v[90:91], -v[90:91], v[99:100], v[97:98]
	v_div_fmas_f64 v[90:91], v[90:91], v[92:93], v[99:100]
	v_div_fixup_f64 v[90:91], v[90:91], v[119:120], v[117:118]
	v_fma_f64 v[92:93], v[117:118], v[90:91], v[119:120]
	v_div_scale_f64 v[97:98], s[20:21], v[92:93], v[92:93], 1.0
	v_div_scale_f64 v[103:104], vcc, 1.0, v[92:93], 1.0
	v_rcp_f64_e32 v[99:100], v[97:98]
	v_fma_f64 v[101:102], -v[97:98], v[99:100], 1.0
	v_fma_f64 v[99:100], v[99:100], v[101:102], v[99:100]
	v_fma_f64 v[101:102], -v[97:98], v[99:100], 1.0
	v_fma_f64 v[99:100], v[99:100], v[101:102], v[99:100]
	v_mul_f64 v[101:102], v[103:104], v[99:100]
	v_fma_f64 v[97:98], -v[97:98], v[101:102], v[103:104]
	v_div_fmas_f64 v[97:98], v[97:98], v[99:100], v[101:102]
	v_div_fixup_f64 v[119:120], v[97:98], v[92:93], 1.0
	v_mul_f64 v[117:118], v[90:91], v[119:120]
	v_xor_b32_e32 v120, 0x80000000, v120
.LBB106_805:
	s_andn2_saveexec_b64 s[18:19], s[18:19]
	s_cbranch_execz .LBB106_807
; %bb.806:
	v_div_scale_f64 v[90:91], s[20:21], v[117:118], v[117:118], v[119:120]
	v_rcp_f64_e32 v[92:93], v[90:91]
	v_fma_f64 v[97:98], -v[90:91], v[92:93], 1.0
	v_fma_f64 v[92:93], v[92:93], v[97:98], v[92:93]
	v_div_scale_f64 v[97:98], vcc, v[119:120], v[117:118], v[119:120]
	v_fma_f64 v[99:100], -v[90:91], v[92:93], 1.0
	v_fma_f64 v[92:93], v[92:93], v[99:100], v[92:93]
	v_mul_f64 v[99:100], v[97:98], v[92:93]
	v_fma_f64 v[90:91], -v[90:91], v[99:100], v[97:98]
	v_div_fmas_f64 v[90:91], v[90:91], v[92:93], v[99:100]
	v_div_fixup_f64 v[90:91], v[90:91], v[117:118], v[119:120]
	v_fma_f64 v[92:93], v[119:120], v[90:91], v[117:118]
	v_div_scale_f64 v[97:98], s[20:21], v[92:93], v[92:93], 1.0
	v_div_scale_f64 v[103:104], vcc, 1.0, v[92:93], 1.0
	v_rcp_f64_e32 v[99:100], v[97:98]
	v_fma_f64 v[101:102], -v[97:98], v[99:100], 1.0
	v_fma_f64 v[99:100], v[99:100], v[101:102], v[99:100]
	v_fma_f64 v[101:102], -v[97:98], v[99:100], 1.0
	v_fma_f64 v[99:100], v[99:100], v[101:102], v[99:100]
	v_mul_f64 v[101:102], v[103:104], v[99:100]
	v_fma_f64 v[97:98], -v[97:98], v[101:102], v[103:104]
	v_div_fmas_f64 v[97:98], v[97:98], v[99:100], v[101:102]
	v_div_fixup_f64 v[117:118], v[97:98], v[92:93], 1.0
	v_mul_f64 v[119:120], v[90:91], -v[117:118]
.LBB106_807:
	s_or_b64 exec, exec, s[18:19]
.LBB106_808:
	s_or_b64 exec, exec, s[0:1]
	v_cmp_ne_u32_e32 vcc, v96, v89
	s_and_saveexec_b64 s[0:1], vcc
	s_xor_b64 s[0:1], exec, s[0:1]
	s_cbranch_execz .LBB106_814
; %bb.809:
	v_cmp_eq_u32_e32 vcc, 38, v96
	s_and_saveexec_b64 s[18:19], vcc
	s_cbranch_execz .LBB106_813
; %bb.810:
	v_cmp_ne_u32_e32 vcc, 38, v89
	s_xor_b64 s[20:21], s[6:7], -1
	s_and_b64 s[22:23], s[20:21], vcc
	s_and_saveexec_b64 s[20:21], s[22:23]
	s_cbranch_execz .LBB106_812
; %bb.811:
	buffer_load_dword v81, off, s[24:27], 0 offset:436 ; 4-byte Folded Reload
	buffer_load_dword v82, off, s[24:27], 0 offset:440 ; 4-byte Folded Reload
	v_ashrrev_i32_e32 v90, 31, v89
	v_lshlrev_b64 v[90:91], 2, v[89:90]
	s_waitcnt vmcnt(1)
	v_add_co_u32_e32 v90, vcc, v81, v90
	s_waitcnt vmcnt(0)
	v_addc_co_u32_e32 v91, vcc, v82, v91, vcc
	global_load_dword v92, v[90:91], off
	global_load_dword v93, v[81:82], off offset:152
	s_waitcnt vmcnt(1)
	global_store_dword v[81:82], v92, off offset:152
	v_mov_b32_e32 v81, v105
	v_mov_b32_e32 v82, v106
	v_mov_b32_e32 v83, v107
	v_mov_b32_e32 v84, v108
	s_waitcnt vmcnt(1)
	global_store_dword v[90:91], v93, off
.LBB106_812:
	s_or_b64 exec, exec, s[20:21]
	v_mov_b32_e32 v96, v89
	v_mov_b32_e32 v53, v89
	buffer_store_dword v53, off, s[24:27], 0 offset:352 ; 4-byte Folded Spill
.LBB106_813:
	s_or_b64 exec, exec, s[18:19]
.LBB106_814:
	s_andn2_saveexec_b64 s[0:1], s[0:1]
	s_cbranch_execz .LBB106_816
; %bb.815:
	buffer_load_dword v53, off, s[24:27], 0 ; 4-byte Folded Reload
	buffer_load_dword v54, off, s[24:27], 0 offset:4 ; 4-byte Folded Reload
	buffer_load_dword v55, off, s[24:27], 0 offset:8 ; 4-byte Folded Reload
	buffer_load_dword v56, off, s[24:27], 0 offset:12 ; 4-byte Folded Reload
	v_mov_b32_e32 v96, 38
	s_waitcnt vmcnt(0)
	ds_write2_b64 v0, v[53:54], v[55:56] offset0:78 offset1:79
	ds_write2_b64 v0, v[49:50], v[51:52] offset0:80 offset1:81
	;; [unrolled: 1-line block ×15, first 2 shown]
.LBB106_816:
	s_or_b64 exec, exec, s[0:1]
	v_cmp_lt_i32_e32 vcc, 38, v96
	s_waitcnt vmcnt(0) lgkmcnt(0)
	s_barrier
	s_and_saveexec_b64 s[0:1], vcc
	s_cbranch_execz .LBB106_818
; %bb.817:
	ds_read2_b64 v[91:94], v0 offset0:78 offset1:79
	buffer_load_dword v53, off, s[24:27], 0 ; 4-byte Folded Reload
	buffer_load_dword v54, off, s[24:27], 0 offset:4 ; 4-byte Folded Reload
	buffer_load_dword v55, off, s[24:27], 0 offset:8 ; 4-byte Folded Reload
	;; [unrolled: 1-line block ×3, first 2 shown]
	v_mul_f64 v[89:90], v[117:118], v[59:60]
	v_mul_f64 v[59:60], v[119:120], v[59:60]
	v_fma_f64 v[89:90], v[119:120], v[57:58], v[89:90]
	v_fma_f64 v[57:58], v[117:118], v[57:58], -v[59:60]
	s_waitcnt lgkmcnt(0)
	v_mul_f64 v[59:60], v[93:94], v[89:90]
	v_fma_f64 v[59:60], v[91:92], v[57:58], -v[59:60]
	v_mul_f64 v[91:92], v[91:92], v[89:90]
	v_fma_f64 v[91:92], v[93:94], v[57:58], v[91:92]
	s_waitcnt vmcnt(2)
	v_add_f64 v[53:54], v[53:54], -v[59:60]
	s_waitcnt vmcnt(0)
	v_add_f64 v[55:56], v[55:56], -v[91:92]
	buffer_store_dword v53, off, s[24:27], 0 ; 4-byte Folded Spill
	s_nop 0
	buffer_store_dword v54, off, s[24:27], 0 offset:4 ; 4-byte Folded Spill
	buffer_store_dword v55, off, s[24:27], 0 offset:8 ; 4-byte Folded Spill
	;; [unrolled: 1-line block ×3, first 2 shown]
	ds_read2_b64 v[91:94], v0 offset0:80 offset1:81
	s_waitcnt lgkmcnt(0)
	v_mul_f64 v[59:60], v[93:94], v[89:90]
	v_fma_f64 v[59:60], v[91:92], v[57:58], -v[59:60]
	v_mul_f64 v[91:92], v[91:92], v[89:90]
	v_add_f64 v[49:50], v[49:50], -v[59:60]
	v_fma_f64 v[91:92], v[93:94], v[57:58], v[91:92]
	v_add_f64 v[51:52], v[51:52], -v[91:92]
	ds_read2_b64 v[91:94], v0 offset0:82 offset1:83
	s_waitcnt lgkmcnt(0)
	v_mul_f64 v[59:60], v[93:94], v[89:90]
	v_fma_f64 v[59:60], v[91:92], v[57:58], -v[59:60]
	v_mul_f64 v[91:92], v[91:92], v[89:90]
	v_add_f64 v[45:46], v[45:46], -v[59:60]
	v_fma_f64 v[91:92], v[93:94], v[57:58], v[91:92]
	v_add_f64 v[47:48], v[47:48], -v[91:92]
	;; [unrolled: 8-line block ×13, first 2 shown]
	ds_read2_b64 v[91:94], v0 offset0:106 offset1:107
	s_waitcnt lgkmcnt(0)
	v_mul_f64 v[59:60], v[93:94], v[89:90]
	v_fma_f64 v[59:60], v[91:92], v[57:58], -v[59:60]
	v_mul_f64 v[91:92], v[91:92], v[89:90]
	v_add_f64 v[121:122], v[121:122], -v[59:60]
	v_fma_f64 v[91:92], v[93:94], v[57:58], v[91:92]
	v_mov_b32_e32 v59, v89
	v_mov_b32_e32 v60, v90
	v_add_f64 v[123:124], v[123:124], -v[91:92]
.LBB106_818:
	s_or_b64 exec, exec, s[0:1]
	s_waitcnt vmcnt(0)
	s_barrier
	buffer_load_dword v53, off, s[24:27], 0 ; 4-byte Folded Reload
	buffer_load_dword v54, off, s[24:27], 0 offset:4 ; 4-byte Folded Reload
	buffer_load_dword v55, off, s[24:27], 0 offset:8 ; 4-byte Folded Reload
	;; [unrolled: 1-line block ×3, first 2 shown]
	v_lshl_add_u32 v89, v96, 4, v0
	s_cmp_lt_i32 s3, 41
	s_waitcnt vmcnt(0)
	ds_write2_b64 v89, v[53:54], v[55:56] offset1:1
	s_waitcnt lgkmcnt(0)
	s_barrier
	ds_read2_b64 v[117:120], v0 offset0:78 offset1:79
	v_mov_b32_e32 v89, 39
	s_cbranch_scc1 .LBB106_821
; %bb.819:
	v_add_u32_e32 v90, 0x280, v0
	s_mov_b32 s0, 40
	v_mov_b32_e32 v89, 39
.LBB106_820:                            ; =>This Inner Loop Header: Depth=1
	s_waitcnt lgkmcnt(0)
	v_cmp_gt_f64_e32 vcc, 0, v[117:118]
	v_xor_b32_e32 v97, 0x80000000, v118
	ds_read2_b64 v[91:94], v90 offset1:1
	v_xor_b32_e32 v99, 0x80000000, v120
	v_add_u32_e32 v90, 16, v90
	s_waitcnt lgkmcnt(0)
	v_xor_b32_e32 v101, 0x80000000, v94
	v_cndmask_b32_e32 v98, v118, v97, vcc
	v_cmp_gt_f64_e32 vcc, 0, v[119:120]
	v_mov_b32_e32 v97, v117
	v_cndmask_b32_e32 v100, v120, v99, vcc
	v_cmp_gt_f64_e32 vcc, 0, v[91:92]
	v_mov_b32_e32 v99, v119
	v_add_f64 v[97:98], v[97:98], v[99:100]
	v_xor_b32_e32 v99, 0x80000000, v92
	v_cndmask_b32_e32 v100, v92, v99, vcc
	v_cmp_gt_f64_e32 vcc, 0, v[93:94]
	v_mov_b32_e32 v99, v91
	v_cndmask_b32_e32 v102, v94, v101, vcc
	v_mov_b32_e32 v101, v93
	v_add_f64 v[99:100], v[99:100], v[101:102]
	v_cmp_lt_f64_e32 vcc, v[97:98], v[99:100]
	v_cndmask_b32_e32 v117, v117, v91, vcc
	v_mov_b32_e32 v91, s0
	s_add_i32 s0, s0, 1
	v_cndmask_b32_e32 v118, v118, v92, vcc
	v_cndmask_b32_e32 v120, v120, v94, vcc
	;; [unrolled: 1-line block ×4, first 2 shown]
	s_cmp_lg_u32 s3, s0
	s_cbranch_scc1 .LBB106_820
.LBB106_821:
	s_waitcnt lgkmcnt(0)
	v_cmp_eq_f64_e32 vcc, 0, v[117:118]
	v_cmp_eq_f64_e64 s[0:1], 0, v[119:120]
	s_and_b64 s[0:1], vcc, s[0:1]
	s_and_saveexec_b64 s[18:19], s[0:1]
	s_xor_b64 s[0:1], exec, s[18:19]
; %bb.822:
	v_cmp_ne_u32_e32 vcc, 0, v95
	v_cndmask_b32_e32 v95, 40, v95, vcc
; %bb.823:
	s_andn2_saveexec_b64 s[0:1], s[0:1]
	s_cbranch_execz .LBB106_829
; %bb.824:
	v_cmp_ngt_f64_e64 s[18:19], |v[117:118]|, |v[119:120]|
	s_and_saveexec_b64 s[20:21], s[18:19]
	s_xor_b64 s[18:19], exec, s[20:21]
	s_cbranch_execz .LBB106_826
; %bb.825:
	v_div_scale_f64 v[90:91], s[20:21], v[119:120], v[119:120], v[117:118]
	v_rcp_f64_e32 v[92:93], v[90:91]
	v_fma_f64 v[97:98], -v[90:91], v[92:93], 1.0
	v_fma_f64 v[92:93], v[92:93], v[97:98], v[92:93]
	v_div_scale_f64 v[97:98], vcc, v[117:118], v[119:120], v[117:118]
	v_fma_f64 v[99:100], -v[90:91], v[92:93], 1.0
	v_fma_f64 v[92:93], v[92:93], v[99:100], v[92:93]
	v_mul_f64 v[99:100], v[97:98], v[92:93]
	v_fma_f64 v[90:91], -v[90:91], v[99:100], v[97:98]
	v_div_fmas_f64 v[90:91], v[90:91], v[92:93], v[99:100]
	v_div_fixup_f64 v[90:91], v[90:91], v[119:120], v[117:118]
	v_fma_f64 v[92:93], v[117:118], v[90:91], v[119:120]
	v_div_scale_f64 v[97:98], s[20:21], v[92:93], v[92:93], 1.0
	v_div_scale_f64 v[103:104], vcc, 1.0, v[92:93], 1.0
	v_rcp_f64_e32 v[99:100], v[97:98]
	v_fma_f64 v[101:102], -v[97:98], v[99:100], 1.0
	v_fma_f64 v[99:100], v[99:100], v[101:102], v[99:100]
	v_fma_f64 v[101:102], -v[97:98], v[99:100], 1.0
	v_fma_f64 v[99:100], v[99:100], v[101:102], v[99:100]
	v_mul_f64 v[101:102], v[103:104], v[99:100]
	v_fma_f64 v[97:98], -v[97:98], v[101:102], v[103:104]
	v_div_fmas_f64 v[97:98], v[97:98], v[99:100], v[101:102]
	v_div_fixup_f64 v[119:120], v[97:98], v[92:93], 1.0
	v_mul_f64 v[117:118], v[90:91], v[119:120]
	v_xor_b32_e32 v120, 0x80000000, v120
.LBB106_826:
	s_andn2_saveexec_b64 s[18:19], s[18:19]
	s_cbranch_execz .LBB106_828
; %bb.827:
	v_div_scale_f64 v[90:91], s[20:21], v[117:118], v[117:118], v[119:120]
	v_rcp_f64_e32 v[92:93], v[90:91]
	v_fma_f64 v[97:98], -v[90:91], v[92:93], 1.0
	v_fma_f64 v[92:93], v[92:93], v[97:98], v[92:93]
	v_div_scale_f64 v[97:98], vcc, v[119:120], v[117:118], v[119:120]
	v_fma_f64 v[99:100], -v[90:91], v[92:93], 1.0
	v_fma_f64 v[92:93], v[92:93], v[99:100], v[92:93]
	v_mul_f64 v[99:100], v[97:98], v[92:93]
	v_fma_f64 v[90:91], -v[90:91], v[99:100], v[97:98]
	v_div_fmas_f64 v[90:91], v[90:91], v[92:93], v[99:100]
	v_div_fixup_f64 v[90:91], v[90:91], v[117:118], v[119:120]
	v_fma_f64 v[92:93], v[119:120], v[90:91], v[117:118]
	v_div_scale_f64 v[97:98], s[20:21], v[92:93], v[92:93], 1.0
	v_div_scale_f64 v[103:104], vcc, 1.0, v[92:93], 1.0
	v_rcp_f64_e32 v[99:100], v[97:98]
	v_fma_f64 v[101:102], -v[97:98], v[99:100], 1.0
	v_fma_f64 v[99:100], v[99:100], v[101:102], v[99:100]
	v_fma_f64 v[101:102], -v[97:98], v[99:100], 1.0
	v_fma_f64 v[99:100], v[99:100], v[101:102], v[99:100]
	v_mul_f64 v[101:102], v[103:104], v[99:100]
	v_fma_f64 v[97:98], -v[97:98], v[101:102], v[103:104]
	v_div_fmas_f64 v[97:98], v[97:98], v[99:100], v[101:102]
	v_div_fixup_f64 v[117:118], v[97:98], v[92:93], 1.0
	v_mul_f64 v[119:120], v[90:91], -v[117:118]
.LBB106_828:
	s_or_b64 exec, exec, s[18:19]
.LBB106_829:
	s_or_b64 exec, exec, s[0:1]
	v_cmp_ne_u32_e32 vcc, v96, v89
	s_and_saveexec_b64 s[0:1], vcc
	s_xor_b64 s[0:1], exec, s[0:1]
	s_cbranch_execz .LBB106_835
; %bb.830:
	v_cmp_eq_u32_e32 vcc, 39, v96
	s_and_saveexec_b64 s[18:19], vcc
	s_cbranch_execz .LBB106_834
; %bb.831:
	v_cmp_ne_u32_e32 vcc, 39, v89
	s_xor_b64 s[20:21], s[6:7], -1
	s_and_b64 s[22:23], s[20:21], vcc
	s_and_saveexec_b64 s[20:21], s[22:23]
	s_cbranch_execz .LBB106_833
; %bb.832:
	buffer_load_dword v81, off, s[24:27], 0 offset:436 ; 4-byte Folded Reload
	buffer_load_dword v82, off, s[24:27], 0 offset:440 ; 4-byte Folded Reload
	v_ashrrev_i32_e32 v90, 31, v89
	v_lshlrev_b64 v[90:91], 2, v[89:90]
	s_waitcnt vmcnt(1)
	v_add_co_u32_e32 v90, vcc, v81, v90
	s_waitcnt vmcnt(0)
	v_addc_co_u32_e32 v91, vcc, v82, v91, vcc
	global_load_dword v92, v[90:91], off
	global_load_dword v93, v[81:82], off offset:156
	s_waitcnt vmcnt(1)
	global_store_dword v[81:82], v92, off offset:156
	v_mov_b32_e32 v81, v105
	v_mov_b32_e32 v82, v106
	;; [unrolled: 1-line block ×4, first 2 shown]
	s_waitcnt vmcnt(1)
	global_store_dword v[90:91], v93, off
.LBB106_833:
	s_or_b64 exec, exec, s[20:21]
	v_mov_b32_e32 v96, v89
	v_mov_b32_e32 v53, v89
	buffer_store_dword v53, off, s[24:27], 0 offset:352 ; 4-byte Folded Spill
.LBB106_834:
	s_or_b64 exec, exec, s[18:19]
.LBB106_835:
	s_andn2_saveexec_b64 s[0:1], s[0:1]
	s_cbranch_execz .LBB106_837
; %bb.836:
	v_mov_b32_e32 v96, 39
	ds_write2_b64 v0, v[49:50], v[51:52] offset0:80 offset1:81
	ds_write2_b64 v0, v[45:46], v[47:48] offset0:82 offset1:83
	;; [unrolled: 1-line block ×14, first 2 shown]
.LBB106_837:
	s_or_b64 exec, exec, s[0:1]
	v_cmp_lt_i32_e32 vcc, 39, v96
	s_waitcnt vmcnt(0) lgkmcnt(0)
	s_barrier
	s_and_saveexec_b64 s[0:1], vcc
	s_cbranch_execz .LBB106_839
; %bb.838:
	buffer_load_dword v53, off, s[24:27], 0 ; 4-byte Folded Reload
	buffer_load_dword v54, off, s[24:27], 0 offset:4 ; 4-byte Folded Reload
	buffer_load_dword v55, off, s[24:27], 0 offset:8 ; 4-byte Folded Reload
	;; [unrolled: 1-line block ×3, first 2 shown]
	ds_read2_b64 v[91:94], v0 offset0:80 offset1:81
	s_waitcnt vmcnt(0)
	v_mul_f64 v[89:90], v[117:118], v[55:56]
	v_mul_f64 v[55:56], v[119:120], v[55:56]
	v_fma_f64 v[89:90], v[119:120], v[53:54], v[89:90]
	v_fma_f64 v[53:54], v[117:118], v[53:54], -v[55:56]
	s_waitcnt lgkmcnt(0)
	v_mul_f64 v[55:56], v[93:94], v[89:90]
	v_fma_f64 v[55:56], v[91:92], v[53:54], -v[55:56]
	v_mul_f64 v[91:92], v[91:92], v[89:90]
	v_add_f64 v[49:50], v[49:50], -v[55:56]
	v_fma_f64 v[91:92], v[93:94], v[53:54], v[91:92]
	v_add_f64 v[51:52], v[51:52], -v[91:92]
	ds_read2_b64 v[91:94], v0 offset0:82 offset1:83
	s_waitcnt lgkmcnt(0)
	v_mul_f64 v[55:56], v[93:94], v[89:90]
	v_fma_f64 v[55:56], v[91:92], v[53:54], -v[55:56]
	v_mul_f64 v[91:92], v[91:92], v[89:90]
	v_add_f64 v[45:46], v[45:46], -v[55:56]
	v_fma_f64 v[91:92], v[93:94], v[53:54], v[91:92]
	v_add_f64 v[47:48], v[47:48], -v[91:92]
	ds_read2_b64 v[91:94], v0 offset0:84 offset1:85
	;; [unrolled: 8-line block ×13, first 2 shown]
	s_waitcnt lgkmcnt(0)
	v_mul_f64 v[55:56], v[93:94], v[89:90]
	v_fma_f64 v[55:56], v[91:92], v[53:54], -v[55:56]
	v_mul_f64 v[91:92], v[91:92], v[89:90]
	v_add_f64 v[121:122], v[121:122], -v[55:56]
	v_fma_f64 v[91:92], v[93:94], v[53:54], v[91:92]
	v_mov_b32_e32 v55, v89
	v_mov_b32_e32 v56, v90
	buffer_store_dword v53, off, s[24:27], 0 ; 4-byte Folded Spill
	s_nop 0
	buffer_store_dword v54, off, s[24:27], 0 offset:4 ; 4-byte Folded Spill
	buffer_store_dword v55, off, s[24:27], 0 offset:8 ; 4-byte Folded Spill
	;; [unrolled: 1-line block ×3, first 2 shown]
	v_add_f64 v[123:124], v[123:124], -v[91:92]
.LBB106_839:
	s_or_b64 exec, exec, s[0:1]
	v_lshl_add_u32 v89, v96, 4, v0
	s_waitcnt vmcnt(0)
	s_barrier
	ds_write2_b64 v89, v[49:50], v[51:52] offset1:1
	s_waitcnt lgkmcnt(0)
	s_barrier
	ds_read2_b64 v[117:120], v0 offset0:80 offset1:81
	s_cmp_lt_i32 s3, 42
	v_mov_b32_e32 v89, 40
	s_cbranch_scc1 .LBB106_842
; %bb.840:
	v_add_u32_e32 v90, 0x290, v0
	s_mov_b32 s0, 41
	v_mov_b32_e32 v89, 40
.LBB106_841:                            ; =>This Inner Loop Header: Depth=1
	s_waitcnt lgkmcnt(0)
	v_cmp_gt_f64_e32 vcc, 0, v[117:118]
	v_xor_b32_e32 v97, 0x80000000, v118
	ds_read2_b64 v[91:94], v90 offset1:1
	v_xor_b32_e32 v99, 0x80000000, v120
	v_add_u32_e32 v90, 16, v90
	s_waitcnt lgkmcnt(0)
	v_xor_b32_e32 v101, 0x80000000, v94
	v_cndmask_b32_e32 v98, v118, v97, vcc
	v_cmp_gt_f64_e32 vcc, 0, v[119:120]
	v_mov_b32_e32 v97, v117
	v_cndmask_b32_e32 v100, v120, v99, vcc
	v_cmp_gt_f64_e32 vcc, 0, v[91:92]
	v_mov_b32_e32 v99, v119
	v_add_f64 v[97:98], v[97:98], v[99:100]
	v_xor_b32_e32 v99, 0x80000000, v92
	v_cndmask_b32_e32 v100, v92, v99, vcc
	v_cmp_gt_f64_e32 vcc, 0, v[93:94]
	v_mov_b32_e32 v99, v91
	v_cndmask_b32_e32 v102, v94, v101, vcc
	v_mov_b32_e32 v101, v93
	v_add_f64 v[99:100], v[99:100], v[101:102]
	v_cmp_lt_f64_e32 vcc, v[97:98], v[99:100]
	v_cndmask_b32_e32 v117, v117, v91, vcc
	v_mov_b32_e32 v91, s0
	s_add_i32 s0, s0, 1
	v_cndmask_b32_e32 v118, v118, v92, vcc
	v_cndmask_b32_e32 v120, v120, v94, vcc
	;; [unrolled: 1-line block ×4, first 2 shown]
	s_cmp_lg_u32 s3, s0
	s_cbranch_scc1 .LBB106_841
.LBB106_842:
	s_waitcnt lgkmcnt(0)
	v_cmp_eq_f64_e32 vcc, 0, v[117:118]
	v_cmp_eq_f64_e64 s[0:1], 0, v[119:120]
	s_and_b64 s[0:1], vcc, s[0:1]
	s_and_saveexec_b64 s[18:19], s[0:1]
	s_xor_b64 s[0:1], exec, s[18:19]
; %bb.843:
	v_cmp_ne_u32_e32 vcc, 0, v95
	v_cndmask_b32_e32 v95, 41, v95, vcc
; %bb.844:
	s_andn2_saveexec_b64 s[0:1], s[0:1]
	s_cbranch_execz .LBB106_850
; %bb.845:
	v_cmp_ngt_f64_e64 s[18:19], |v[117:118]|, |v[119:120]|
	s_and_saveexec_b64 s[20:21], s[18:19]
	s_xor_b64 s[18:19], exec, s[20:21]
	s_cbranch_execz .LBB106_847
; %bb.846:
	v_div_scale_f64 v[90:91], s[20:21], v[119:120], v[119:120], v[117:118]
	v_rcp_f64_e32 v[92:93], v[90:91]
	v_fma_f64 v[97:98], -v[90:91], v[92:93], 1.0
	v_fma_f64 v[92:93], v[92:93], v[97:98], v[92:93]
	v_div_scale_f64 v[97:98], vcc, v[117:118], v[119:120], v[117:118]
	v_fma_f64 v[99:100], -v[90:91], v[92:93], 1.0
	v_fma_f64 v[92:93], v[92:93], v[99:100], v[92:93]
	v_mul_f64 v[99:100], v[97:98], v[92:93]
	v_fma_f64 v[90:91], -v[90:91], v[99:100], v[97:98]
	v_div_fmas_f64 v[90:91], v[90:91], v[92:93], v[99:100]
	v_div_fixup_f64 v[90:91], v[90:91], v[119:120], v[117:118]
	v_fma_f64 v[92:93], v[117:118], v[90:91], v[119:120]
	v_div_scale_f64 v[97:98], s[20:21], v[92:93], v[92:93], 1.0
	v_div_scale_f64 v[103:104], vcc, 1.0, v[92:93], 1.0
	v_rcp_f64_e32 v[99:100], v[97:98]
	v_fma_f64 v[101:102], -v[97:98], v[99:100], 1.0
	v_fma_f64 v[99:100], v[99:100], v[101:102], v[99:100]
	v_fma_f64 v[101:102], -v[97:98], v[99:100], 1.0
	v_fma_f64 v[99:100], v[99:100], v[101:102], v[99:100]
	v_mul_f64 v[101:102], v[103:104], v[99:100]
	v_fma_f64 v[97:98], -v[97:98], v[101:102], v[103:104]
	v_div_fmas_f64 v[97:98], v[97:98], v[99:100], v[101:102]
	v_div_fixup_f64 v[119:120], v[97:98], v[92:93], 1.0
	v_mul_f64 v[117:118], v[90:91], v[119:120]
	v_xor_b32_e32 v120, 0x80000000, v120
.LBB106_847:
	s_andn2_saveexec_b64 s[18:19], s[18:19]
	s_cbranch_execz .LBB106_849
; %bb.848:
	v_div_scale_f64 v[90:91], s[20:21], v[117:118], v[117:118], v[119:120]
	v_rcp_f64_e32 v[92:93], v[90:91]
	v_fma_f64 v[97:98], -v[90:91], v[92:93], 1.0
	v_fma_f64 v[92:93], v[92:93], v[97:98], v[92:93]
	v_div_scale_f64 v[97:98], vcc, v[119:120], v[117:118], v[119:120]
	v_fma_f64 v[99:100], -v[90:91], v[92:93], 1.0
	v_fma_f64 v[92:93], v[92:93], v[99:100], v[92:93]
	v_mul_f64 v[99:100], v[97:98], v[92:93]
	v_fma_f64 v[90:91], -v[90:91], v[99:100], v[97:98]
	v_div_fmas_f64 v[90:91], v[90:91], v[92:93], v[99:100]
	v_div_fixup_f64 v[90:91], v[90:91], v[117:118], v[119:120]
	v_fma_f64 v[92:93], v[119:120], v[90:91], v[117:118]
	v_div_scale_f64 v[97:98], s[20:21], v[92:93], v[92:93], 1.0
	v_div_scale_f64 v[103:104], vcc, 1.0, v[92:93], 1.0
	v_rcp_f64_e32 v[99:100], v[97:98]
	v_fma_f64 v[101:102], -v[97:98], v[99:100], 1.0
	v_fma_f64 v[99:100], v[99:100], v[101:102], v[99:100]
	v_fma_f64 v[101:102], -v[97:98], v[99:100], 1.0
	v_fma_f64 v[99:100], v[99:100], v[101:102], v[99:100]
	v_mul_f64 v[101:102], v[103:104], v[99:100]
	v_fma_f64 v[97:98], -v[97:98], v[101:102], v[103:104]
	v_div_fmas_f64 v[97:98], v[97:98], v[99:100], v[101:102]
	v_div_fixup_f64 v[117:118], v[97:98], v[92:93], 1.0
	v_mul_f64 v[119:120], v[90:91], -v[117:118]
.LBB106_849:
	s_or_b64 exec, exec, s[18:19]
.LBB106_850:
	s_or_b64 exec, exec, s[0:1]
	v_cmp_ne_u32_e32 vcc, v96, v89
	s_and_saveexec_b64 s[0:1], vcc
	s_xor_b64 s[0:1], exec, s[0:1]
	s_cbranch_execz .LBB106_856
; %bb.851:
	v_cmp_eq_u32_e32 vcc, 40, v96
	s_and_saveexec_b64 s[18:19], vcc
	s_cbranch_execz .LBB106_855
; %bb.852:
	v_cmp_ne_u32_e32 vcc, 40, v89
	s_xor_b64 s[20:21], s[6:7], -1
	s_and_b64 s[22:23], s[20:21], vcc
	s_and_saveexec_b64 s[20:21], s[22:23]
	s_cbranch_execz .LBB106_854
; %bb.853:
	buffer_load_dword v81, off, s[24:27], 0 offset:436 ; 4-byte Folded Reload
	buffer_load_dword v82, off, s[24:27], 0 offset:440 ; 4-byte Folded Reload
	v_ashrrev_i32_e32 v90, 31, v89
	v_lshlrev_b64 v[90:91], 2, v[89:90]
	s_waitcnt vmcnt(1)
	v_add_co_u32_e32 v90, vcc, v81, v90
	s_waitcnt vmcnt(0)
	v_addc_co_u32_e32 v91, vcc, v82, v91, vcc
	global_load_dword v92, v[90:91], off
	global_load_dword v93, v[81:82], off offset:160
	s_waitcnt vmcnt(1)
	global_store_dword v[81:82], v92, off offset:160
	v_mov_b32_e32 v81, v105
	v_mov_b32_e32 v82, v106
	;; [unrolled: 1-line block ×4, first 2 shown]
	s_waitcnt vmcnt(1)
	global_store_dword v[90:91], v93, off
.LBB106_854:
	s_or_b64 exec, exec, s[20:21]
	v_mov_b32_e32 v96, v89
	v_mov_b32_e32 v53, v89
	buffer_store_dword v53, off, s[24:27], 0 offset:352 ; 4-byte Folded Spill
.LBB106_855:
	s_or_b64 exec, exec, s[18:19]
.LBB106_856:
	s_andn2_saveexec_b64 s[0:1], s[0:1]
	s_cbranch_execz .LBB106_858
; %bb.857:
	v_mov_b32_e32 v96, 40
	ds_write2_b64 v0, v[45:46], v[47:48] offset0:82 offset1:83
	ds_write2_b64 v0, v[41:42], v[43:44] offset0:84 offset1:85
	;; [unrolled: 1-line block ×13, first 2 shown]
.LBB106_858:
	s_or_b64 exec, exec, s[0:1]
	v_cmp_lt_i32_e32 vcc, 40, v96
	s_waitcnt vmcnt(0) lgkmcnt(0)
	s_barrier
	s_and_saveexec_b64 s[0:1], vcc
	s_cbranch_execz .LBB106_860
; %bb.859:
	v_mul_f64 v[89:90], v[117:118], v[51:52]
	v_mul_f64 v[51:52], v[119:120], v[51:52]
	ds_read2_b64 v[91:94], v0 offset0:82 offset1:83
	v_fma_f64 v[89:90], v[119:120], v[49:50], v[89:90]
	v_fma_f64 v[49:50], v[117:118], v[49:50], -v[51:52]
	s_waitcnt lgkmcnt(0)
	v_mul_f64 v[51:52], v[93:94], v[89:90]
	v_fma_f64 v[51:52], v[91:92], v[49:50], -v[51:52]
	v_mul_f64 v[91:92], v[91:92], v[89:90]
	v_add_f64 v[45:46], v[45:46], -v[51:52]
	v_fma_f64 v[91:92], v[93:94], v[49:50], v[91:92]
	v_add_f64 v[47:48], v[47:48], -v[91:92]
	ds_read2_b64 v[91:94], v0 offset0:84 offset1:85
	s_waitcnt lgkmcnt(0)
	v_mul_f64 v[51:52], v[93:94], v[89:90]
	v_fma_f64 v[51:52], v[91:92], v[49:50], -v[51:52]
	v_mul_f64 v[91:92], v[91:92], v[89:90]
	v_add_f64 v[41:42], v[41:42], -v[51:52]
	v_fma_f64 v[91:92], v[93:94], v[49:50], v[91:92]
	v_add_f64 v[43:44], v[43:44], -v[91:92]
	ds_read2_b64 v[91:94], v0 offset0:86 offset1:87
	;; [unrolled: 8-line block ×12, first 2 shown]
	s_waitcnt lgkmcnt(0)
	v_mul_f64 v[51:52], v[93:94], v[89:90]
	v_fma_f64 v[51:52], v[91:92], v[49:50], -v[51:52]
	v_mul_f64 v[91:92], v[91:92], v[89:90]
	v_add_f64 v[121:122], v[121:122], -v[51:52]
	v_fma_f64 v[91:92], v[93:94], v[49:50], v[91:92]
	v_mov_b32_e32 v51, v89
	v_mov_b32_e32 v52, v90
	v_add_f64 v[123:124], v[123:124], -v[91:92]
.LBB106_860:
	s_or_b64 exec, exec, s[0:1]
	v_lshl_add_u32 v89, v96, 4, v0
	s_barrier
	ds_write2_b64 v89, v[45:46], v[47:48] offset1:1
	s_waitcnt lgkmcnt(0)
	s_barrier
	ds_read2_b64 v[117:120], v0 offset0:82 offset1:83
	s_cmp_lt_i32 s3, 43
	v_mov_b32_e32 v89, 41
	s_cbranch_scc1 .LBB106_863
; %bb.861:
	v_add_u32_e32 v90, 0x2a0, v0
	s_mov_b32 s0, 42
	v_mov_b32_e32 v89, 41
.LBB106_862:                            ; =>This Inner Loop Header: Depth=1
	s_waitcnt lgkmcnt(0)
	v_cmp_gt_f64_e32 vcc, 0, v[117:118]
	v_xor_b32_e32 v97, 0x80000000, v118
	ds_read2_b64 v[91:94], v90 offset1:1
	v_xor_b32_e32 v99, 0x80000000, v120
	v_add_u32_e32 v90, 16, v90
	s_waitcnt lgkmcnt(0)
	v_xor_b32_e32 v101, 0x80000000, v94
	v_cndmask_b32_e32 v98, v118, v97, vcc
	v_cmp_gt_f64_e32 vcc, 0, v[119:120]
	v_mov_b32_e32 v97, v117
	v_cndmask_b32_e32 v100, v120, v99, vcc
	v_cmp_gt_f64_e32 vcc, 0, v[91:92]
	v_mov_b32_e32 v99, v119
	v_add_f64 v[97:98], v[97:98], v[99:100]
	v_xor_b32_e32 v99, 0x80000000, v92
	v_cndmask_b32_e32 v100, v92, v99, vcc
	v_cmp_gt_f64_e32 vcc, 0, v[93:94]
	v_mov_b32_e32 v99, v91
	v_cndmask_b32_e32 v102, v94, v101, vcc
	v_mov_b32_e32 v101, v93
	v_add_f64 v[99:100], v[99:100], v[101:102]
	v_cmp_lt_f64_e32 vcc, v[97:98], v[99:100]
	v_cndmask_b32_e32 v117, v117, v91, vcc
	v_mov_b32_e32 v91, s0
	s_add_i32 s0, s0, 1
	v_cndmask_b32_e32 v118, v118, v92, vcc
	v_cndmask_b32_e32 v120, v120, v94, vcc
	;; [unrolled: 1-line block ×4, first 2 shown]
	s_cmp_lg_u32 s3, s0
	s_cbranch_scc1 .LBB106_862
.LBB106_863:
	s_waitcnt lgkmcnt(0)
	v_cmp_eq_f64_e32 vcc, 0, v[117:118]
	v_cmp_eq_f64_e64 s[0:1], 0, v[119:120]
	s_and_b64 s[0:1], vcc, s[0:1]
	s_and_saveexec_b64 s[18:19], s[0:1]
	s_xor_b64 s[0:1], exec, s[18:19]
; %bb.864:
	v_cmp_ne_u32_e32 vcc, 0, v95
	v_cndmask_b32_e32 v95, 42, v95, vcc
; %bb.865:
	s_andn2_saveexec_b64 s[0:1], s[0:1]
	s_cbranch_execz .LBB106_871
; %bb.866:
	v_cmp_ngt_f64_e64 s[18:19], |v[117:118]|, |v[119:120]|
	s_and_saveexec_b64 s[20:21], s[18:19]
	s_xor_b64 s[18:19], exec, s[20:21]
	s_cbranch_execz .LBB106_868
; %bb.867:
	v_div_scale_f64 v[90:91], s[20:21], v[119:120], v[119:120], v[117:118]
	v_rcp_f64_e32 v[92:93], v[90:91]
	v_fma_f64 v[97:98], -v[90:91], v[92:93], 1.0
	v_fma_f64 v[92:93], v[92:93], v[97:98], v[92:93]
	v_div_scale_f64 v[97:98], vcc, v[117:118], v[119:120], v[117:118]
	v_fma_f64 v[99:100], -v[90:91], v[92:93], 1.0
	v_fma_f64 v[92:93], v[92:93], v[99:100], v[92:93]
	v_mul_f64 v[99:100], v[97:98], v[92:93]
	v_fma_f64 v[90:91], -v[90:91], v[99:100], v[97:98]
	v_div_fmas_f64 v[90:91], v[90:91], v[92:93], v[99:100]
	v_div_fixup_f64 v[90:91], v[90:91], v[119:120], v[117:118]
	v_fma_f64 v[92:93], v[117:118], v[90:91], v[119:120]
	v_div_scale_f64 v[97:98], s[20:21], v[92:93], v[92:93], 1.0
	v_div_scale_f64 v[103:104], vcc, 1.0, v[92:93], 1.0
	v_rcp_f64_e32 v[99:100], v[97:98]
	v_fma_f64 v[101:102], -v[97:98], v[99:100], 1.0
	v_fma_f64 v[99:100], v[99:100], v[101:102], v[99:100]
	v_fma_f64 v[101:102], -v[97:98], v[99:100], 1.0
	v_fma_f64 v[99:100], v[99:100], v[101:102], v[99:100]
	v_mul_f64 v[101:102], v[103:104], v[99:100]
	v_fma_f64 v[97:98], -v[97:98], v[101:102], v[103:104]
	v_div_fmas_f64 v[97:98], v[97:98], v[99:100], v[101:102]
	v_div_fixup_f64 v[119:120], v[97:98], v[92:93], 1.0
	v_mul_f64 v[117:118], v[90:91], v[119:120]
	v_xor_b32_e32 v120, 0x80000000, v120
.LBB106_868:
	s_andn2_saveexec_b64 s[18:19], s[18:19]
	s_cbranch_execz .LBB106_870
; %bb.869:
	v_div_scale_f64 v[90:91], s[20:21], v[117:118], v[117:118], v[119:120]
	v_rcp_f64_e32 v[92:93], v[90:91]
	v_fma_f64 v[97:98], -v[90:91], v[92:93], 1.0
	v_fma_f64 v[92:93], v[92:93], v[97:98], v[92:93]
	v_div_scale_f64 v[97:98], vcc, v[119:120], v[117:118], v[119:120]
	v_fma_f64 v[99:100], -v[90:91], v[92:93], 1.0
	v_fma_f64 v[92:93], v[92:93], v[99:100], v[92:93]
	v_mul_f64 v[99:100], v[97:98], v[92:93]
	v_fma_f64 v[90:91], -v[90:91], v[99:100], v[97:98]
	v_div_fmas_f64 v[90:91], v[90:91], v[92:93], v[99:100]
	v_div_fixup_f64 v[90:91], v[90:91], v[117:118], v[119:120]
	v_fma_f64 v[92:93], v[119:120], v[90:91], v[117:118]
	v_div_scale_f64 v[97:98], s[20:21], v[92:93], v[92:93], 1.0
	v_div_scale_f64 v[103:104], vcc, 1.0, v[92:93], 1.0
	v_rcp_f64_e32 v[99:100], v[97:98]
	v_fma_f64 v[101:102], -v[97:98], v[99:100], 1.0
	v_fma_f64 v[99:100], v[99:100], v[101:102], v[99:100]
	v_fma_f64 v[101:102], -v[97:98], v[99:100], 1.0
	v_fma_f64 v[99:100], v[99:100], v[101:102], v[99:100]
	v_mul_f64 v[101:102], v[103:104], v[99:100]
	v_fma_f64 v[97:98], -v[97:98], v[101:102], v[103:104]
	v_div_fmas_f64 v[97:98], v[97:98], v[99:100], v[101:102]
	v_div_fixup_f64 v[117:118], v[97:98], v[92:93], 1.0
	v_mul_f64 v[119:120], v[90:91], -v[117:118]
.LBB106_870:
	s_or_b64 exec, exec, s[18:19]
.LBB106_871:
	s_or_b64 exec, exec, s[0:1]
	v_cmp_ne_u32_e32 vcc, v96, v89
	s_and_saveexec_b64 s[0:1], vcc
	s_xor_b64 s[0:1], exec, s[0:1]
	s_cbranch_execz .LBB106_877
; %bb.872:
	v_cmp_eq_u32_e32 vcc, 41, v96
	s_and_saveexec_b64 s[18:19], vcc
	s_cbranch_execz .LBB106_876
; %bb.873:
	v_cmp_ne_u32_e32 vcc, 41, v89
	s_xor_b64 s[20:21], s[6:7], -1
	s_and_b64 s[22:23], s[20:21], vcc
	s_and_saveexec_b64 s[20:21], s[22:23]
	s_cbranch_execz .LBB106_875
; %bb.874:
	buffer_load_dword v81, off, s[24:27], 0 offset:436 ; 4-byte Folded Reload
	buffer_load_dword v82, off, s[24:27], 0 offset:440 ; 4-byte Folded Reload
	v_ashrrev_i32_e32 v90, 31, v89
	v_lshlrev_b64 v[90:91], 2, v[89:90]
	s_waitcnt vmcnt(1)
	v_add_co_u32_e32 v90, vcc, v81, v90
	s_waitcnt vmcnt(0)
	v_addc_co_u32_e32 v91, vcc, v82, v91, vcc
	global_load_dword v92, v[90:91], off
	global_load_dword v93, v[81:82], off offset:164
	s_waitcnt vmcnt(1)
	global_store_dword v[81:82], v92, off offset:164
	v_mov_b32_e32 v81, v105
	v_mov_b32_e32 v82, v106
	;; [unrolled: 1-line block ×4, first 2 shown]
	s_waitcnt vmcnt(1)
	global_store_dword v[90:91], v93, off
.LBB106_875:
	s_or_b64 exec, exec, s[20:21]
	v_mov_b32_e32 v96, v89
	v_mov_b32_e32 v53, v89
	buffer_store_dword v53, off, s[24:27], 0 offset:352 ; 4-byte Folded Spill
.LBB106_876:
	s_or_b64 exec, exec, s[18:19]
.LBB106_877:
	s_andn2_saveexec_b64 s[0:1], s[0:1]
	s_cbranch_execz .LBB106_879
; %bb.878:
	v_mov_b32_e32 v96, 41
	ds_write2_b64 v0, v[41:42], v[43:44] offset0:84 offset1:85
	ds_write2_b64 v0, v[37:38], v[39:40] offset0:86 offset1:87
	;; [unrolled: 1-line block ×12, first 2 shown]
.LBB106_879:
	s_or_b64 exec, exec, s[0:1]
	v_cmp_lt_i32_e32 vcc, 41, v96
	s_waitcnt vmcnt(0) lgkmcnt(0)
	s_barrier
	s_and_saveexec_b64 s[0:1], vcc
	s_cbranch_execz .LBB106_881
; %bb.880:
	v_mul_f64 v[89:90], v[117:118], v[47:48]
	v_mul_f64 v[47:48], v[119:120], v[47:48]
	ds_read2_b64 v[91:94], v0 offset0:84 offset1:85
	v_fma_f64 v[89:90], v[119:120], v[45:46], v[89:90]
	v_fma_f64 v[45:46], v[117:118], v[45:46], -v[47:48]
	s_waitcnt lgkmcnt(0)
	v_mul_f64 v[47:48], v[93:94], v[89:90]
	v_fma_f64 v[47:48], v[91:92], v[45:46], -v[47:48]
	v_mul_f64 v[91:92], v[91:92], v[89:90]
	v_add_f64 v[41:42], v[41:42], -v[47:48]
	v_fma_f64 v[91:92], v[93:94], v[45:46], v[91:92]
	v_add_f64 v[43:44], v[43:44], -v[91:92]
	ds_read2_b64 v[91:94], v0 offset0:86 offset1:87
	s_waitcnt lgkmcnt(0)
	v_mul_f64 v[47:48], v[93:94], v[89:90]
	v_fma_f64 v[47:48], v[91:92], v[45:46], -v[47:48]
	v_mul_f64 v[91:92], v[91:92], v[89:90]
	v_add_f64 v[37:38], v[37:38], -v[47:48]
	v_fma_f64 v[91:92], v[93:94], v[45:46], v[91:92]
	v_add_f64 v[39:40], v[39:40], -v[91:92]
	ds_read2_b64 v[91:94], v0 offset0:88 offset1:89
	;; [unrolled: 8-line block ×11, first 2 shown]
	s_waitcnt lgkmcnt(0)
	v_mul_f64 v[47:48], v[93:94], v[89:90]
	v_fma_f64 v[47:48], v[91:92], v[45:46], -v[47:48]
	v_mul_f64 v[91:92], v[91:92], v[89:90]
	v_add_f64 v[121:122], v[121:122], -v[47:48]
	v_fma_f64 v[91:92], v[93:94], v[45:46], v[91:92]
	v_mov_b32_e32 v47, v89
	v_mov_b32_e32 v48, v90
	v_add_f64 v[123:124], v[123:124], -v[91:92]
.LBB106_881:
	s_or_b64 exec, exec, s[0:1]
	v_lshl_add_u32 v89, v96, 4, v0
	s_barrier
	ds_write2_b64 v89, v[41:42], v[43:44] offset1:1
	s_waitcnt lgkmcnt(0)
	s_barrier
	ds_read2_b64 v[117:120], v0 offset0:84 offset1:85
	s_cmp_lt_i32 s3, 44
	v_mov_b32_e32 v89, 42
	s_cbranch_scc1 .LBB106_884
; %bb.882:
	v_add_u32_e32 v90, 0x2b0, v0
	s_mov_b32 s0, 43
	v_mov_b32_e32 v89, 42
.LBB106_883:                            ; =>This Inner Loop Header: Depth=1
	s_waitcnt lgkmcnt(0)
	v_cmp_gt_f64_e32 vcc, 0, v[117:118]
	v_xor_b32_e32 v97, 0x80000000, v118
	ds_read2_b64 v[91:94], v90 offset1:1
	v_xor_b32_e32 v99, 0x80000000, v120
	v_add_u32_e32 v90, 16, v90
	s_waitcnt lgkmcnt(0)
	v_xor_b32_e32 v101, 0x80000000, v94
	v_cndmask_b32_e32 v98, v118, v97, vcc
	v_cmp_gt_f64_e32 vcc, 0, v[119:120]
	v_mov_b32_e32 v97, v117
	v_cndmask_b32_e32 v100, v120, v99, vcc
	v_cmp_gt_f64_e32 vcc, 0, v[91:92]
	v_mov_b32_e32 v99, v119
	v_add_f64 v[97:98], v[97:98], v[99:100]
	v_xor_b32_e32 v99, 0x80000000, v92
	v_cndmask_b32_e32 v100, v92, v99, vcc
	v_cmp_gt_f64_e32 vcc, 0, v[93:94]
	v_mov_b32_e32 v99, v91
	v_cndmask_b32_e32 v102, v94, v101, vcc
	v_mov_b32_e32 v101, v93
	v_add_f64 v[99:100], v[99:100], v[101:102]
	v_cmp_lt_f64_e32 vcc, v[97:98], v[99:100]
	v_cndmask_b32_e32 v117, v117, v91, vcc
	v_mov_b32_e32 v91, s0
	s_add_i32 s0, s0, 1
	v_cndmask_b32_e32 v118, v118, v92, vcc
	v_cndmask_b32_e32 v120, v120, v94, vcc
	v_cndmask_b32_e32 v119, v119, v93, vcc
	v_cndmask_b32_e32 v89, v89, v91, vcc
	s_cmp_lg_u32 s3, s0
	s_cbranch_scc1 .LBB106_883
.LBB106_884:
	s_waitcnt lgkmcnt(0)
	v_cmp_eq_f64_e32 vcc, 0, v[117:118]
	v_cmp_eq_f64_e64 s[0:1], 0, v[119:120]
	s_and_b64 s[0:1], vcc, s[0:1]
	s_and_saveexec_b64 s[18:19], s[0:1]
	s_xor_b64 s[0:1], exec, s[18:19]
; %bb.885:
	v_cmp_ne_u32_e32 vcc, 0, v95
	v_cndmask_b32_e32 v95, 43, v95, vcc
; %bb.886:
	s_andn2_saveexec_b64 s[0:1], s[0:1]
	s_cbranch_execz .LBB106_892
; %bb.887:
	v_cmp_ngt_f64_e64 s[18:19], |v[117:118]|, |v[119:120]|
	s_and_saveexec_b64 s[20:21], s[18:19]
	s_xor_b64 s[18:19], exec, s[20:21]
	s_cbranch_execz .LBB106_889
; %bb.888:
	v_div_scale_f64 v[90:91], s[20:21], v[119:120], v[119:120], v[117:118]
	v_rcp_f64_e32 v[92:93], v[90:91]
	v_fma_f64 v[97:98], -v[90:91], v[92:93], 1.0
	v_fma_f64 v[92:93], v[92:93], v[97:98], v[92:93]
	v_div_scale_f64 v[97:98], vcc, v[117:118], v[119:120], v[117:118]
	v_fma_f64 v[99:100], -v[90:91], v[92:93], 1.0
	v_fma_f64 v[92:93], v[92:93], v[99:100], v[92:93]
	v_mul_f64 v[99:100], v[97:98], v[92:93]
	v_fma_f64 v[90:91], -v[90:91], v[99:100], v[97:98]
	v_div_fmas_f64 v[90:91], v[90:91], v[92:93], v[99:100]
	v_div_fixup_f64 v[90:91], v[90:91], v[119:120], v[117:118]
	v_fma_f64 v[92:93], v[117:118], v[90:91], v[119:120]
	v_div_scale_f64 v[97:98], s[20:21], v[92:93], v[92:93], 1.0
	v_div_scale_f64 v[103:104], vcc, 1.0, v[92:93], 1.0
	v_rcp_f64_e32 v[99:100], v[97:98]
	v_fma_f64 v[101:102], -v[97:98], v[99:100], 1.0
	v_fma_f64 v[99:100], v[99:100], v[101:102], v[99:100]
	v_fma_f64 v[101:102], -v[97:98], v[99:100], 1.0
	v_fma_f64 v[99:100], v[99:100], v[101:102], v[99:100]
	v_mul_f64 v[101:102], v[103:104], v[99:100]
	v_fma_f64 v[97:98], -v[97:98], v[101:102], v[103:104]
	v_div_fmas_f64 v[97:98], v[97:98], v[99:100], v[101:102]
	v_div_fixup_f64 v[119:120], v[97:98], v[92:93], 1.0
	v_mul_f64 v[117:118], v[90:91], v[119:120]
	v_xor_b32_e32 v120, 0x80000000, v120
.LBB106_889:
	s_andn2_saveexec_b64 s[18:19], s[18:19]
	s_cbranch_execz .LBB106_891
; %bb.890:
	v_div_scale_f64 v[90:91], s[20:21], v[117:118], v[117:118], v[119:120]
	v_rcp_f64_e32 v[92:93], v[90:91]
	v_fma_f64 v[97:98], -v[90:91], v[92:93], 1.0
	v_fma_f64 v[92:93], v[92:93], v[97:98], v[92:93]
	v_div_scale_f64 v[97:98], vcc, v[119:120], v[117:118], v[119:120]
	v_fma_f64 v[99:100], -v[90:91], v[92:93], 1.0
	v_fma_f64 v[92:93], v[92:93], v[99:100], v[92:93]
	v_mul_f64 v[99:100], v[97:98], v[92:93]
	v_fma_f64 v[90:91], -v[90:91], v[99:100], v[97:98]
	v_div_fmas_f64 v[90:91], v[90:91], v[92:93], v[99:100]
	v_div_fixup_f64 v[90:91], v[90:91], v[117:118], v[119:120]
	v_fma_f64 v[92:93], v[119:120], v[90:91], v[117:118]
	v_div_scale_f64 v[97:98], s[20:21], v[92:93], v[92:93], 1.0
	v_div_scale_f64 v[103:104], vcc, 1.0, v[92:93], 1.0
	v_rcp_f64_e32 v[99:100], v[97:98]
	v_fma_f64 v[101:102], -v[97:98], v[99:100], 1.0
	v_fma_f64 v[99:100], v[99:100], v[101:102], v[99:100]
	v_fma_f64 v[101:102], -v[97:98], v[99:100], 1.0
	v_fma_f64 v[99:100], v[99:100], v[101:102], v[99:100]
	v_mul_f64 v[101:102], v[103:104], v[99:100]
	v_fma_f64 v[97:98], -v[97:98], v[101:102], v[103:104]
	v_div_fmas_f64 v[97:98], v[97:98], v[99:100], v[101:102]
	v_div_fixup_f64 v[117:118], v[97:98], v[92:93], 1.0
	v_mul_f64 v[119:120], v[90:91], -v[117:118]
.LBB106_891:
	s_or_b64 exec, exec, s[18:19]
.LBB106_892:
	s_or_b64 exec, exec, s[0:1]
	v_cmp_ne_u32_e32 vcc, v96, v89
	s_and_saveexec_b64 s[0:1], vcc
	s_xor_b64 s[0:1], exec, s[0:1]
	s_cbranch_execz .LBB106_898
; %bb.893:
	v_cmp_eq_u32_e32 vcc, 42, v96
	s_and_saveexec_b64 s[18:19], vcc
	s_cbranch_execz .LBB106_897
; %bb.894:
	v_cmp_ne_u32_e32 vcc, 42, v89
	s_xor_b64 s[20:21], s[6:7], -1
	s_and_b64 s[22:23], s[20:21], vcc
	s_and_saveexec_b64 s[20:21], s[22:23]
	s_cbranch_execz .LBB106_896
; %bb.895:
	buffer_load_dword v81, off, s[24:27], 0 offset:436 ; 4-byte Folded Reload
	buffer_load_dword v82, off, s[24:27], 0 offset:440 ; 4-byte Folded Reload
	v_ashrrev_i32_e32 v90, 31, v89
	v_lshlrev_b64 v[90:91], 2, v[89:90]
	s_waitcnt vmcnt(1)
	v_add_co_u32_e32 v90, vcc, v81, v90
	s_waitcnt vmcnt(0)
	v_addc_co_u32_e32 v91, vcc, v82, v91, vcc
	global_load_dword v92, v[90:91], off
	global_load_dword v93, v[81:82], off offset:168
	s_waitcnt vmcnt(1)
	global_store_dword v[81:82], v92, off offset:168
	v_mov_b32_e32 v81, v105
	v_mov_b32_e32 v82, v106
	;; [unrolled: 1-line block ×4, first 2 shown]
	s_waitcnt vmcnt(1)
	global_store_dword v[90:91], v93, off
.LBB106_896:
	s_or_b64 exec, exec, s[20:21]
	v_mov_b32_e32 v96, v89
	v_mov_b32_e32 v53, v89
	buffer_store_dword v53, off, s[24:27], 0 offset:352 ; 4-byte Folded Spill
.LBB106_897:
	s_or_b64 exec, exec, s[18:19]
.LBB106_898:
	s_andn2_saveexec_b64 s[0:1], s[0:1]
	s_cbranch_execz .LBB106_900
; %bb.899:
	v_mov_b32_e32 v96, 42
	ds_write2_b64 v0, v[37:38], v[39:40] offset0:86 offset1:87
	ds_write2_b64 v0, v[33:34], v[35:36] offset0:88 offset1:89
	;; [unrolled: 1-line block ×11, first 2 shown]
.LBB106_900:
	s_or_b64 exec, exec, s[0:1]
	v_cmp_lt_i32_e32 vcc, 42, v96
	s_waitcnt vmcnt(0) lgkmcnt(0)
	s_barrier
	s_and_saveexec_b64 s[0:1], vcc
	s_cbranch_execz .LBB106_902
; %bb.901:
	v_mul_f64 v[89:90], v[117:118], v[43:44]
	v_mul_f64 v[43:44], v[119:120], v[43:44]
	ds_read2_b64 v[91:94], v0 offset0:86 offset1:87
	v_fma_f64 v[89:90], v[119:120], v[41:42], v[89:90]
	v_fma_f64 v[41:42], v[117:118], v[41:42], -v[43:44]
	s_waitcnt lgkmcnt(0)
	v_mul_f64 v[43:44], v[93:94], v[89:90]
	v_fma_f64 v[43:44], v[91:92], v[41:42], -v[43:44]
	v_mul_f64 v[91:92], v[91:92], v[89:90]
	v_add_f64 v[37:38], v[37:38], -v[43:44]
	v_fma_f64 v[91:92], v[93:94], v[41:42], v[91:92]
	v_add_f64 v[39:40], v[39:40], -v[91:92]
	ds_read2_b64 v[91:94], v0 offset0:88 offset1:89
	s_waitcnt lgkmcnt(0)
	v_mul_f64 v[43:44], v[93:94], v[89:90]
	v_fma_f64 v[43:44], v[91:92], v[41:42], -v[43:44]
	v_mul_f64 v[91:92], v[91:92], v[89:90]
	v_add_f64 v[33:34], v[33:34], -v[43:44]
	v_fma_f64 v[91:92], v[93:94], v[41:42], v[91:92]
	v_add_f64 v[35:36], v[35:36], -v[91:92]
	ds_read2_b64 v[91:94], v0 offset0:90 offset1:91
	s_waitcnt lgkmcnt(0)
	v_mul_f64 v[43:44], v[93:94], v[89:90]
	v_fma_f64 v[43:44], v[91:92], v[41:42], -v[43:44]
	v_mul_f64 v[91:92], v[91:92], v[89:90]
	v_add_f64 v[29:30], v[29:30], -v[43:44]
	v_fma_f64 v[91:92], v[93:94], v[41:42], v[91:92]
	v_add_f64 v[31:32], v[31:32], -v[91:92]
	ds_read2_b64 v[91:94], v0 offset0:92 offset1:93
	s_waitcnt lgkmcnt(0)
	v_mul_f64 v[43:44], v[93:94], v[89:90]
	v_fma_f64 v[43:44], v[91:92], v[41:42], -v[43:44]
	v_mul_f64 v[91:92], v[91:92], v[89:90]
	v_add_f64 v[25:26], v[25:26], -v[43:44]
	v_fma_f64 v[91:92], v[93:94], v[41:42], v[91:92]
	v_add_f64 v[27:28], v[27:28], -v[91:92]
	ds_read2_b64 v[91:94], v0 offset0:94 offset1:95
	s_waitcnt lgkmcnt(0)
	v_mul_f64 v[43:44], v[93:94], v[89:90]
	v_fma_f64 v[43:44], v[91:92], v[41:42], -v[43:44]
	v_mul_f64 v[91:92], v[91:92], v[89:90]
	v_add_f64 v[21:22], v[21:22], -v[43:44]
	v_fma_f64 v[91:92], v[93:94], v[41:42], v[91:92]
	v_add_f64 v[23:24], v[23:24], -v[91:92]
	ds_read2_b64 v[91:94], v0 offset0:96 offset1:97
	s_waitcnt lgkmcnt(0)
	v_mul_f64 v[43:44], v[93:94], v[89:90]
	v_fma_f64 v[43:44], v[91:92], v[41:42], -v[43:44]
	v_mul_f64 v[91:92], v[91:92], v[89:90]
	v_add_f64 v[17:18], v[17:18], -v[43:44]
	v_fma_f64 v[91:92], v[93:94], v[41:42], v[91:92]
	v_add_f64 v[19:20], v[19:20], -v[91:92]
	ds_read2_b64 v[91:94], v0 offset0:98 offset1:99
	s_waitcnt lgkmcnt(0)
	v_mul_f64 v[43:44], v[93:94], v[89:90]
	v_fma_f64 v[43:44], v[91:92], v[41:42], -v[43:44]
	v_mul_f64 v[91:92], v[91:92], v[89:90]
	v_add_f64 v[13:14], v[13:14], -v[43:44]
	v_fma_f64 v[91:92], v[93:94], v[41:42], v[91:92]
	v_add_f64 v[15:16], v[15:16], -v[91:92]
	ds_read2_b64 v[91:94], v0 offset0:100 offset1:101
	s_waitcnt lgkmcnt(0)
	v_mul_f64 v[43:44], v[93:94], v[89:90]
	v_fma_f64 v[43:44], v[91:92], v[41:42], -v[43:44]
	v_mul_f64 v[91:92], v[91:92], v[89:90]
	v_add_f64 v[9:10], v[9:10], -v[43:44]
	v_fma_f64 v[91:92], v[93:94], v[41:42], v[91:92]
	v_add_f64 v[11:12], v[11:12], -v[91:92]
	ds_read2_b64 v[91:94], v0 offset0:102 offset1:103
	s_waitcnt lgkmcnt(0)
	v_mul_f64 v[43:44], v[93:94], v[89:90]
	v_fma_f64 v[43:44], v[91:92], v[41:42], -v[43:44]
	v_mul_f64 v[91:92], v[91:92], v[89:90]
	v_add_f64 v[5:6], v[5:6], -v[43:44]
	v_fma_f64 v[91:92], v[93:94], v[41:42], v[91:92]
	v_add_f64 v[7:8], v[7:8], -v[91:92]
	ds_read2_b64 v[91:94], v0 offset0:104 offset1:105
	s_waitcnt lgkmcnt(0)
	v_mul_f64 v[43:44], v[93:94], v[89:90]
	v_fma_f64 v[43:44], v[91:92], v[41:42], -v[43:44]
	v_mul_f64 v[91:92], v[91:92], v[89:90]
	v_add_f64 v[1:2], v[1:2], -v[43:44]
	v_fma_f64 v[91:92], v[93:94], v[41:42], v[91:92]
	v_add_f64 v[3:4], v[3:4], -v[91:92]
	ds_read2_b64 v[91:94], v0 offset0:106 offset1:107
	s_waitcnt lgkmcnt(0)
	v_mul_f64 v[43:44], v[93:94], v[89:90]
	v_fma_f64 v[43:44], v[91:92], v[41:42], -v[43:44]
	v_mul_f64 v[91:92], v[91:92], v[89:90]
	v_add_f64 v[121:122], v[121:122], -v[43:44]
	v_fma_f64 v[91:92], v[93:94], v[41:42], v[91:92]
	v_mov_b32_e32 v43, v89
	v_mov_b32_e32 v44, v90
	v_add_f64 v[123:124], v[123:124], -v[91:92]
.LBB106_902:
	s_or_b64 exec, exec, s[0:1]
	v_lshl_add_u32 v89, v96, 4, v0
	s_barrier
	ds_write2_b64 v89, v[37:38], v[39:40] offset1:1
	s_waitcnt lgkmcnt(0)
	s_barrier
	ds_read2_b64 v[117:120], v0 offset0:86 offset1:87
	s_cmp_lt_i32 s3, 45
	v_mov_b32_e32 v89, 43
	s_cbranch_scc1 .LBB106_905
; %bb.903:
	v_add_u32_e32 v90, 0x2c0, v0
	s_mov_b32 s0, 44
	v_mov_b32_e32 v89, 43
.LBB106_904:                            ; =>This Inner Loop Header: Depth=1
	s_waitcnt lgkmcnt(0)
	v_cmp_gt_f64_e32 vcc, 0, v[117:118]
	v_xor_b32_e32 v97, 0x80000000, v118
	ds_read2_b64 v[91:94], v90 offset1:1
	v_xor_b32_e32 v99, 0x80000000, v120
	v_add_u32_e32 v90, 16, v90
	s_waitcnt lgkmcnt(0)
	v_xor_b32_e32 v101, 0x80000000, v94
	v_cndmask_b32_e32 v98, v118, v97, vcc
	v_cmp_gt_f64_e32 vcc, 0, v[119:120]
	v_mov_b32_e32 v97, v117
	v_cndmask_b32_e32 v100, v120, v99, vcc
	v_cmp_gt_f64_e32 vcc, 0, v[91:92]
	v_mov_b32_e32 v99, v119
	v_add_f64 v[97:98], v[97:98], v[99:100]
	v_xor_b32_e32 v99, 0x80000000, v92
	v_cndmask_b32_e32 v100, v92, v99, vcc
	v_cmp_gt_f64_e32 vcc, 0, v[93:94]
	v_mov_b32_e32 v99, v91
	v_cndmask_b32_e32 v102, v94, v101, vcc
	v_mov_b32_e32 v101, v93
	v_add_f64 v[99:100], v[99:100], v[101:102]
	v_cmp_lt_f64_e32 vcc, v[97:98], v[99:100]
	v_cndmask_b32_e32 v117, v117, v91, vcc
	v_mov_b32_e32 v91, s0
	s_add_i32 s0, s0, 1
	v_cndmask_b32_e32 v118, v118, v92, vcc
	v_cndmask_b32_e32 v120, v120, v94, vcc
	;; [unrolled: 1-line block ×4, first 2 shown]
	s_cmp_lg_u32 s3, s0
	s_cbranch_scc1 .LBB106_904
.LBB106_905:
	s_waitcnt lgkmcnt(0)
	v_cmp_eq_f64_e32 vcc, 0, v[117:118]
	v_cmp_eq_f64_e64 s[0:1], 0, v[119:120]
	s_and_b64 s[0:1], vcc, s[0:1]
	s_and_saveexec_b64 s[18:19], s[0:1]
	s_xor_b64 s[0:1], exec, s[18:19]
; %bb.906:
	v_cmp_ne_u32_e32 vcc, 0, v95
	v_cndmask_b32_e32 v95, 44, v95, vcc
; %bb.907:
	s_andn2_saveexec_b64 s[0:1], s[0:1]
	s_cbranch_execz .LBB106_913
; %bb.908:
	v_cmp_ngt_f64_e64 s[18:19], |v[117:118]|, |v[119:120]|
	s_and_saveexec_b64 s[20:21], s[18:19]
	s_xor_b64 s[18:19], exec, s[20:21]
	s_cbranch_execz .LBB106_910
; %bb.909:
	v_div_scale_f64 v[90:91], s[20:21], v[119:120], v[119:120], v[117:118]
	v_rcp_f64_e32 v[92:93], v[90:91]
	v_fma_f64 v[97:98], -v[90:91], v[92:93], 1.0
	v_fma_f64 v[92:93], v[92:93], v[97:98], v[92:93]
	v_div_scale_f64 v[97:98], vcc, v[117:118], v[119:120], v[117:118]
	v_fma_f64 v[99:100], -v[90:91], v[92:93], 1.0
	v_fma_f64 v[92:93], v[92:93], v[99:100], v[92:93]
	v_mul_f64 v[99:100], v[97:98], v[92:93]
	v_fma_f64 v[90:91], -v[90:91], v[99:100], v[97:98]
	v_div_fmas_f64 v[90:91], v[90:91], v[92:93], v[99:100]
	v_div_fixup_f64 v[90:91], v[90:91], v[119:120], v[117:118]
	v_fma_f64 v[92:93], v[117:118], v[90:91], v[119:120]
	v_div_scale_f64 v[97:98], s[20:21], v[92:93], v[92:93], 1.0
	v_div_scale_f64 v[103:104], vcc, 1.0, v[92:93], 1.0
	v_rcp_f64_e32 v[99:100], v[97:98]
	v_fma_f64 v[101:102], -v[97:98], v[99:100], 1.0
	v_fma_f64 v[99:100], v[99:100], v[101:102], v[99:100]
	v_fma_f64 v[101:102], -v[97:98], v[99:100], 1.0
	v_fma_f64 v[99:100], v[99:100], v[101:102], v[99:100]
	v_mul_f64 v[101:102], v[103:104], v[99:100]
	v_fma_f64 v[97:98], -v[97:98], v[101:102], v[103:104]
	v_div_fmas_f64 v[97:98], v[97:98], v[99:100], v[101:102]
	v_div_fixup_f64 v[119:120], v[97:98], v[92:93], 1.0
	v_mul_f64 v[117:118], v[90:91], v[119:120]
	v_xor_b32_e32 v120, 0x80000000, v120
.LBB106_910:
	s_andn2_saveexec_b64 s[18:19], s[18:19]
	s_cbranch_execz .LBB106_912
; %bb.911:
	v_div_scale_f64 v[90:91], s[20:21], v[117:118], v[117:118], v[119:120]
	v_rcp_f64_e32 v[92:93], v[90:91]
	v_fma_f64 v[97:98], -v[90:91], v[92:93], 1.0
	v_fma_f64 v[92:93], v[92:93], v[97:98], v[92:93]
	v_div_scale_f64 v[97:98], vcc, v[119:120], v[117:118], v[119:120]
	v_fma_f64 v[99:100], -v[90:91], v[92:93], 1.0
	v_fma_f64 v[92:93], v[92:93], v[99:100], v[92:93]
	v_mul_f64 v[99:100], v[97:98], v[92:93]
	v_fma_f64 v[90:91], -v[90:91], v[99:100], v[97:98]
	v_div_fmas_f64 v[90:91], v[90:91], v[92:93], v[99:100]
	v_div_fixup_f64 v[90:91], v[90:91], v[117:118], v[119:120]
	v_fma_f64 v[92:93], v[119:120], v[90:91], v[117:118]
	v_div_scale_f64 v[97:98], s[20:21], v[92:93], v[92:93], 1.0
	v_div_scale_f64 v[103:104], vcc, 1.0, v[92:93], 1.0
	v_rcp_f64_e32 v[99:100], v[97:98]
	v_fma_f64 v[101:102], -v[97:98], v[99:100], 1.0
	v_fma_f64 v[99:100], v[99:100], v[101:102], v[99:100]
	v_fma_f64 v[101:102], -v[97:98], v[99:100], 1.0
	v_fma_f64 v[99:100], v[99:100], v[101:102], v[99:100]
	v_mul_f64 v[101:102], v[103:104], v[99:100]
	v_fma_f64 v[97:98], -v[97:98], v[101:102], v[103:104]
	v_div_fmas_f64 v[97:98], v[97:98], v[99:100], v[101:102]
	v_div_fixup_f64 v[117:118], v[97:98], v[92:93], 1.0
	v_mul_f64 v[119:120], v[90:91], -v[117:118]
.LBB106_912:
	s_or_b64 exec, exec, s[18:19]
.LBB106_913:
	s_or_b64 exec, exec, s[0:1]
	v_cmp_ne_u32_e32 vcc, v96, v89
	s_and_saveexec_b64 s[0:1], vcc
	s_xor_b64 s[0:1], exec, s[0:1]
	s_cbranch_execz .LBB106_919
; %bb.914:
	v_cmp_eq_u32_e32 vcc, 43, v96
	s_and_saveexec_b64 s[18:19], vcc
	s_cbranch_execz .LBB106_918
; %bb.915:
	v_cmp_ne_u32_e32 vcc, 43, v89
	s_xor_b64 s[20:21], s[6:7], -1
	s_and_b64 s[22:23], s[20:21], vcc
	s_and_saveexec_b64 s[20:21], s[22:23]
	s_cbranch_execz .LBB106_917
; %bb.916:
	buffer_load_dword v81, off, s[24:27], 0 offset:436 ; 4-byte Folded Reload
	buffer_load_dword v82, off, s[24:27], 0 offset:440 ; 4-byte Folded Reload
	v_ashrrev_i32_e32 v90, 31, v89
	v_lshlrev_b64 v[90:91], 2, v[89:90]
	s_waitcnt vmcnt(1)
	v_add_co_u32_e32 v90, vcc, v81, v90
	s_waitcnt vmcnt(0)
	v_addc_co_u32_e32 v91, vcc, v82, v91, vcc
	global_load_dword v92, v[90:91], off
	global_load_dword v93, v[81:82], off offset:172
	s_waitcnt vmcnt(1)
	global_store_dword v[81:82], v92, off offset:172
	v_mov_b32_e32 v81, v105
	v_mov_b32_e32 v82, v106
	;; [unrolled: 1-line block ×4, first 2 shown]
	s_waitcnt vmcnt(1)
	global_store_dword v[90:91], v93, off
.LBB106_917:
	s_or_b64 exec, exec, s[20:21]
	v_mov_b32_e32 v96, v89
	v_mov_b32_e32 v53, v89
	buffer_store_dword v53, off, s[24:27], 0 offset:352 ; 4-byte Folded Spill
.LBB106_918:
	s_or_b64 exec, exec, s[18:19]
.LBB106_919:
	s_andn2_saveexec_b64 s[0:1], s[0:1]
	s_cbranch_execz .LBB106_921
; %bb.920:
	v_mov_b32_e32 v96, 43
	ds_write2_b64 v0, v[33:34], v[35:36] offset0:88 offset1:89
	ds_write2_b64 v0, v[29:30], v[31:32] offset0:90 offset1:91
	;; [unrolled: 1-line block ×10, first 2 shown]
.LBB106_921:
	s_or_b64 exec, exec, s[0:1]
	v_cmp_lt_i32_e32 vcc, 43, v96
	s_waitcnt vmcnt(0) lgkmcnt(0)
	s_barrier
	s_and_saveexec_b64 s[0:1], vcc
	s_cbranch_execz .LBB106_923
; %bb.922:
	v_mul_f64 v[89:90], v[117:118], v[39:40]
	v_mul_f64 v[39:40], v[119:120], v[39:40]
	ds_read2_b64 v[91:94], v0 offset0:88 offset1:89
	v_fma_f64 v[89:90], v[119:120], v[37:38], v[89:90]
	v_fma_f64 v[37:38], v[117:118], v[37:38], -v[39:40]
	s_waitcnt lgkmcnt(0)
	v_mul_f64 v[39:40], v[93:94], v[89:90]
	v_fma_f64 v[39:40], v[91:92], v[37:38], -v[39:40]
	v_mul_f64 v[91:92], v[91:92], v[89:90]
	v_add_f64 v[33:34], v[33:34], -v[39:40]
	v_fma_f64 v[91:92], v[93:94], v[37:38], v[91:92]
	v_add_f64 v[35:36], v[35:36], -v[91:92]
	ds_read2_b64 v[91:94], v0 offset0:90 offset1:91
	s_waitcnt lgkmcnt(0)
	v_mul_f64 v[39:40], v[93:94], v[89:90]
	v_fma_f64 v[39:40], v[91:92], v[37:38], -v[39:40]
	v_mul_f64 v[91:92], v[91:92], v[89:90]
	v_add_f64 v[29:30], v[29:30], -v[39:40]
	v_fma_f64 v[91:92], v[93:94], v[37:38], v[91:92]
	v_add_f64 v[31:32], v[31:32], -v[91:92]
	ds_read2_b64 v[91:94], v0 offset0:92 offset1:93
	;; [unrolled: 8-line block ×9, first 2 shown]
	s_waitcnt lgkmcnt(0)
	v_mul_f64 v[39:40], v[93:94], v[89:90]
	v_fma_f64 v[39:40], v[91:92], v[37:38], -v[39:40]
	v_mul_f64 v[91:92], v[91:92], v[89:90]
	v_add_f64 v[121:122], v[121:122], -v[39:40]
	v_fma_f64 v[91:92], v[93:94], v[37:38], v[91:92]
	v_mov_b32_e32 v39, v89
	v_mov_b32_e32 v40, v90
	v_add_f64 v[123:124], v[123:124], -v[91:92]
.LBB106_923:
	s_or_b64 exec, exec, s[0:1]
	v_lshl_add_u32 v89, v96, 4, v0
	s_barrier
	ds_write2_b64 v89, v[33:34], v[35:36] offset1:1
	s_waitcnt lgkmcnt(0)
	s_barrier
	ds_read2_b64 v[117:120], v0 offset0:88 offset1:89
	s_cmp_lt_i32 s3, 46
	v_mov_b32_e32 v89, 44
	s_cbranch_scc1 .LBB106_926
; %bb.924:
	v_add_u32_e32 v90, 0x2d0, v0
	s_mov_b32 s0, 45
	v_mov_b32_e32 v89, 44
.LBB106_925:                            ; =>This Inner Loop Header: Depth=1
	s_waitcnt lgkmcnt(0)
	v_cmp_gt_f64_e32 vcc, 0, v[117:118]
	v_xor_b32_e32 v97, 0x80000000, v118
	ds_read2_b64 v[91:94], v90 offset1:1
	v_xor_b32_e32 v99, 0x80000000, v120
	v_add_u32_e32 v90, 16, v90
	s_waitcnt lgkmcnt(0)
	v_xor_b32_e32 v101, 0x80000000, v94
	v_cndmask_b32_e32 v98, v118, v97, vcc
	v_cmp_gt_f64_e32 vcc, 0, v[119:120]
	v_mov_b32_e32 v97, v117
	v_cndmask_b32_e32 v100, v120, v99, vcc
	v_cmp_gt_f64_e32 vcc, 0, v[91:92]
	v_mov_b32_e32 v99, v119
	v_add_f64 v[97:98], v[97:98], v[99:100]
	v_xor_b32_e32 v99, 0x80000000, v92
	v_cndmask_b32_e32 v100, v92, v99, vcc
	v_cmp_gt_f64_e32 vcc, 0, v[93:94]
	v_mov_b32_e32 v99, v91
	v_cndmask_b32_e32 v102, v94, v101, vcc
	v_mov_b32_e32 v101, v93
	v_add_f64 v[99:100], v[99:100], v[101:102]
	v_cmp_lt_f64_e32 vcc, v[97:98], v[99:100]
	v_cndmask_b32_e32 v117, v117, v91, vcc
	v_mov_b32_e32 v91, s0
	s_add_i32 s0, s0, 1
	v_cndmask_b32_e32 v118, v118, v92, vcc
	v_cndmask_b32_e32 v120, v120, v94, vcc
	;; [unrolled: 1-line block ×4, first 2 shown]
	s_cmp_lg_u32 s3, s0
	s_cbranch_scc1 .LBB106_925
.LBB106_926:
	s_waitcnt lgkmcnt(0)
	v_cmp_eq_f64_e32 vcc, 0, v[117:118]
	v_cmp_eq_f64_e64 s[0:1], 0, v[119:120]
	s_and_b64 s[0:1], vcc, s[0:1]
	s_and_saveexec_b64 s[18:19], s[0:1]
	s_xor_b64 s[0:1], exec, s[18:19]
; %bb.927:
	v_cmp_ne_u32_e32 vcc, 0, v95
	v_cndmask_b32_e32 v95, 45, v95, vcc
; %bb.928:
	s_andn2_saveexec_b64 s[0:1], s[0:1]
	s_cbranch_execz .LBB106_934
; %bb.929:
	v_cmp_ngt_f64_e64 s[18:19], |v[117:118]|, |v[119:120]|
	s_and_saveexec_b64 s[20:21], s[18:19]
	s_xor_b64 s[18:19], exec, s[20:21]
	s_cbranch_execz .LBB106_931
; %bb.930:
	v_div_scale_f64 v[90:91], s[20:21], v[119:120], v[119:120], v[117:118]
	v_rcp_f64_e32 v[92:93], v[90:91]
	v_fma_f64 v[97:98], -v[90:91], v[92:93], 1.0
	v_fma_f64 v[92:93], v[92:93], v[97:98], v[92:93]
	v_div_scale_f64 v[97:98], vcc, v[117:118], v[119:120], v[117:118]
	v_fma_f64 v[99:100], -v[90:91], v[92:93], 1.0
	v_fma_f64 v[92:93], v[92:93], v[99:100], v[92:93]
	v_mul_f64 v[99:100], v[97:98], v[92:93]
	v_fma_f64 v[90:91], -v[90:91], v[99:100], v[97:98]
	v_div_fmas_f64 v[90:91], v[90:91], v[92:93], v[99:100]
	v_div_fixup_f64 v[90:91], v[90:91], v[119:120], v[117:118]
	v_fma_f64 v[92:93], v[117:118], v[90:91], v[119:120]
	v_div_scale_f64 v[97:98], s[20:21], v[92:93], v[92:93], 1.0
	v_div_scale_f64 v[103:104], vcc, 1.0, v[92:93], 1.0
	v_rcp_f64_e32 v[99:100], v[97:98]
	v_fma_f64 v[101:102], -v[97:98], v[99:100], 1.0
	v_fma_f64 v[99:100], v[99:100], v[101:102], v[99:100]
	v_fma_f64 v[101:102], -v[97:98], v[99:100], 1.0
	v_fma_f64 v[99:100], v[99:100], v[101:102], v[99:100]
	v_mul_f64 v[101:102], v[103:104], v[99:100]
	v_fma_f64 v[97:98], -v[97:98], v[101:102], v[103:104]
	v_div_fmas_f64 v[97:98], v[97:98], v[99:100], v[101:102]
	v_div_fixup_f64 v[119:120], v[97:98], v[92:93], 1.0
	v_mul_f64 v[117:118], v[90:91], v[119:120]
	v_xor_b32_e32 v120, 0x80000000, v120
.LBB106_931:
	s_andn2_saveexec_b64 s[18:19], s[18:19]
	s_cbranch_execz .LBB106_933
; %bb.932:
	v_div_scale_f64 v[90:91], s[20:21], v[117:118], v[117:118], v[119:120]
	v_rcp_f64_e32 v[92:93], v[90:91]
	v_fma_f64 v[97:98], -v[90:91], v[92:93], 1.0
	v_fma_f64 v[92:93], v[92:93], v[97:98], v[92:93]
	v_div_scale_f64 v[97:98], vcc, v[119:120], v[117:118], v[119:120]
	v_fma_f64 v[99:100], -v[90:91], v[92:93], 1.0
	v_fma_f64 v[92:93], v[92:93], v[99:100], v[92:93]
	v_mul_f64 v[99:100], v[97:98], v[92:93]
	v_fma_f64 v[90:91], -v[90:91], v[99:100], v[97:98]
	v_div_fmas_f64 v[90:91], v[90:91], v[92:93], v[99:100]
	v_div_fixup_f64 v[90:91], v[90:91], v[117:118], v[119:120]
	v_fma_f64 v[92:93], v[119:120], v[90:91], v[117:118]
	v_div_scale_f64 v[97:98], s[20:21], v[92:93], v[92:93], 1.0
	v_div_scale_f64 v[103:104], vcc, 1.0, v[92:93], 1.0
	v_rcp_f64_e32 v[99:100], v[97:98]
	v_fma_f64 v[101:102], -v[97:98], v[99:100], 1.0
	v_fma_f64 v[99:100], v[99:100], v[101:102], v[99:100]
	v_fma_f64 v[101:102], -v[97:98], v[99:100], 1.0
	v_fma_f64 v[99:100], v[99:100], v[101:102], v[99:100]
	v_mul_f64 v[101:102], v[103:104], v[99:100]
	v_fma_f64 v[97:98], -v[97:98], v[101:102], v[103:104]
	v_div_fmas_f64 v[97:98], v[97:98], v[99:100], v[101:102]
	v_div_fixup_f64 v[117:118], v[97:98], v[92:93], 1.0
	v_mul_f64 v[119:120], v[90:91], -v[117:118]
.LBB106_933:
	s_or_b64 exec, exec, s[18:19]
.LBB106_934:
	s_or_b64 exec, exec, s[0:1]
	v_cmp_ne_u32_e32 vcc, v96, v89
	s_and_saveexec_b64 s[0:1], vcc
	s_xor_b64 s[0:1], exec, s[0:1]
	s_cbranch_execz .LBB106_940
; %bb.935:
	v_cmp_eq_u32_e32 vcc, 44, v96
	s_and_saveexec_b64 s[18:19], vcc
	s_cbranch_execz .LBB106_939
; %bb.936:
	v_cmp_ne_u32_e32 vcc, 44, v89
	s_xor_b64 s[20:21], s[6:7], -1
	s_and_b64 s[22:23], s[20:21], vcc
	s_and_saveexec_b64 s[20:21], s[22:23]
	s_cbranch_execz .LBB106_938
; %bb.937:
	buffer_load_dword v81, off, s[24:27], 0 offset:436 ; 4-byte Folded Reload
	buffer_load_dword v82, off, s[24:27], 0 offset:440 ; 4-byte Folded Reload
	v_ashrrev_i32_e32 v90, 31, v89
	v_lshlrev_b64 v[90:91], 2, v[89:90]
	s_waitcnt vmcnt(1)
	v_add_co_u32_e32 v90, vcc, v81, v90
	s_waitcnt vmcnt(0)
	v_addc_co_u32_e32 v91, vcc, v82, v91, vcc
	global_load_dword v92, v[90:91], off
	global_load_dword v93, v[81:82], off offset:176
	s_waitcnt vmcnt(1)
	global_store_dword v[81:82], v92, off offset:176
	v_mov_b32_e32 v81, v105
	v_mov_b32_e32 v82, v106
	;; [unrolled: 1-line block ×4, first 2 shown]
	s_waitcnt vmcnt(1)
	global_store_dword v[90:91], v93, off
.LBB106_938:
	s_or_b64 exec, exec, s[20:21]
	v_mov_b32_e32 v96, v89
	v_mov_b32_e32 v53, v89
	buffer_store_dword v53, off, s[24:27], 0 offset:352 ; 4-byte Folded Spill
.LBB106_939:
	s_or_b64 exec, exec, s[18:19]
.LBB106_940:
	s_andn2_saveexec_b64 s[0:1], s[0:1]
	s_cbranch_execz .LBB106_942
; %bb.941:
	v_mov_b32_e32 v96, 44
	ds_write2_b64 v0, v[29:30], v[31:32] offset0:90 offset1:91
	ds_write2_b64 v0, v[25:26], v[27:28] offset0:92 offset1:93
	;; [unrolled: 1-line block ×9, first 2 shown]
.LBB106_942:
	s_or_b64 exec, exec, s[0:1]
	v_cmp_lt_i32_e32 vcc, 44, v96
	s_waitcnt vmcnt(0) lgkmcnt(0)
	s_barrier
	s_and_saveexec_b64 s[0:1], vcc
	s_cbranch_execz .LBB106_944
; %bb.943:
	v_mul_f64 v[89:90], v[117:118], v[35:36]
	v_mul_f64 v[35:36], v[119:120], v[35:36]
	ds_read2_b64 v[91:94], v0 offset0:90 offset1:91
	v_fma_f64 v[89:90], v[119:120], v[33:34], v[89:90]
	v_fma_f64 v[33:34], v[117:118], v[33:34], -v[35:36]
	s_waitcnt lgkmcnt(0)
	v_mul_f64 v[35:36], v[93:94], v[89:90]
	v_fma_f64 v[35:36], v[91:92], v[33:34], -v[35:36]
	v_mul_f64 v[91:92], v[91:92], v[89:90]
	v_add_f64 v[29:30], v[29:30], -v[35:36]
	v_fma_f64 v[91:92], v[93:94], v[33:34], v[91:92]
	v_add_f64 v[31:32], v[31:32], -v[91:92]
	ds_read2_b64 v[91:94], v0 offset0:92 offset1:93
	s_waitcnt lgkmcnt(0)
	v_mul_f64 v[35:36], v[93:94], v[89:90]
	v_fma_f64 v[35:36], v[91:92], v[33:34], -v[35:36]
	v_mul_f64 v[91:92], v[91:92], v[89:90]
	v_add_f64 v[25:26], v[25:26], -v[35:36]
	v_fma_f64 v[91:92], v[93:94], v[33:34], v[91:92]
	v_add_f64 v[27:28], v[27:28], -v[91:92]
	ds_read2_b64 v[91:94], v0 offset0:94 offset1:95
	;; [unrolled: 8-line block ×8, first 2 shown]
	s_waitcnt lgkmcnt(0)
	v_mul_f64 v[35:36], v[93:94], v[89:90]
	v_fma_f64 v[35:36], v[91:92], v[33:34], -v[35:36]
	v_mul_f64 v[91:92], v[91:92], v[89:90]
	v_add_f64 v[121:122], v[121:122], -v[35:36]
	v_fma_f64 v[91:92], v[93:94], v[33:34], v[91:92]
	v_mov_b32_e32 v35, v89
	v_mov_b32_e32 v36, v90
	v_add_f64 v[123:124], v[123:124], -v[91:92]
.LBB106_944:
	s_or_b64 exec, exec, s[0:1]
	v_lshl_add_u32 v89, v96, 4, v0
	s_barrier
	ds_write2_b64 v89, v[29:30], v[31:32] offset1:1
	s_waitcnt lgkmcnt(0)
	s_barrier
	ds_read2_b64 v[117:120], v0 offset0:90 offset1:91
	s_cmp_lt_i32 s3, 47
	v_mov_b32_e32 v89, 45
	s_cbranch_scc1 .LBB106_947
; %bb.945:
	v_add_u32_e32 v90, 0x2e0, v0
	s_mov_b32 s0, 46
	v_mov_b32_e32 v89, 45
.LBB106_946:                            ; =>This Inner Loop Header: Depth=1
	s_waitcnt lgkmcnt(0)
	v_cmp_gt_f64_e32 vcc, 0, v[117:118]
	v_xor_b32_e32 v97, 0x80000000, v118
	ds_read2_b64 v[91:94], v90 offset1:1
	v_xor_b32_e32 v99, 0x80000000, v120
	v_add_u32_e32 v90, 16, v90
	s_waitcnt lgkmcnt(0)
	v_xor_b32_e32 v101, 0x80000000, v94
	v_cndmask_b32_e32 v98, v118, v97, vcc
	v_cmp_gt_f64_e32 vcc, 0, v[119:120]
	v_mov_b32_e32 v97, v117
	v_cndmask_b32_e32 v100, v120, v99, vcc
	v_cmp_gt_f64_e32 vcc, 0, v[91:92]
	v_mov_b32_e32 v99, v119
	v_add_f64 v[97:98], v[97:98], v[99:100]
	v_xor_b32_e32 v99, 0x80000000, v92
	v_cndmask_b32_e32 v100, v92, v99, vcc
	v_cmp_gt_f64_e32 vcc, 0, v[93:94]
	v_mov_b32_e32 v99, v91
	v_cndmask_b32_e32 v102, v94, v101, vcc
	v_mov_b32_e32 v101, v93
	v_add_f64 v[99:100], v[99:100], v[101:102]
	v_cmp_lt_f64_e32 vcc, v[97:98], v[99:100]
	v_cndmask_b32_e32 v117, v117, v91, vcc
	v_mov_b32_e32 v91, s0
	s_add_i32 s0, s0, 1
	v_cndmask_b32_e32 v118, v118, v92, vcc
	v_cndmask_b32_e32 v120, v120, v94, vcc
	;; [unrolled: 1-line block ×4, first 2 shown]
	s_cmp_lg_u32 s3, s0
	s_cbranch_scc1 .LBB106_946
.LBB106_947:
	s_waitcnt lgkmcnt(0)
	v_cmp_eq_f64_e32 vcc, 0, v[117:118]
	v_cmp_eq_f64_e64 s[0:1], 0, v[119:120]
	s_and_b64 s[0:1], vcc, s[0:1]
	s_and_saveexec_b64 s[18:19], s[0:1]
	s_xor_b64 s[0:1], exec, s[18:19]
; %bb.948:
	v_cmp_ne_u32_e32 vcc, 0, v95
	v_cndmask_b32_e32 v95, 46, v95, vcc
; %bb.949:
	s_andn2_saveexec_b64 s[0:1], s[0:1]
	s_cbranch_execz .LBB106_955
; %bb.950:
	v_cmp_ngt_f64_e64 s[18:19], |v[117:118]|, |v[119:120]|
	s_and_saveexec_b64 s[20:21], s[18:19]
	s_xor_b64 s[18:19], exec, s[20:21]
	s_cbranch_execz .LBB106_952
; %bb.951:
	v_div_scale_f64 v[90:91], s[20:21], v[119:120], v[119:120], v[117:118]
	v_rcp_f64_e32 v[92:93], v[90:91]
	v_fma_f64 v[97:98], -v[90:91], v[92:93], 1.0
	v_fma_f64 v[92:93], v[92:93], v[97:98], v[92:93]
	v_div_scale_f64 v[97:98], vcc, v[117:118], v[119:120], v[117:118]
	v_fma_f64 v[99:100], -v[90:91], v[92:93], 1.0
	v_fma_f64 v[92:93], v[92:93], v[99:100], v[92:93]
	v_mul_f64 v[99:100], v[97:98], v[92:93]
	v_fma_f64 v[90:91], -v[90:91], v[99:100], v[97:98]
	v_div_fmas_f64 v[90:91], v[90:91], v[92:93], v[99:100]
	v_div_fixup_f64 v[90:91], v[90:91], v[119:120], v[117:118]
	v_fma_f64 v[92:93], v[117:118], v[90:91], v[119:120]
	v_div_scale_f64 v[97:98], s[20:21], v[92:93], v[92:93], 1.0
	v_div_scale_f64 v[103:104], vcc, 1.0, v[92:93], 1.0
	v_rcp_f64_e32 v[99:100], v[97:98]
	v_fma_f64 v[101:102], -v[97:98], v[99:100], 1.0
	v_fma_f64 v[99:100], v[99:100], v[101:102], v[99:100]
	v_fma_f64 v[101:102], -v[97:98], v[99:100], 1.0
	v_fma_f64 v[99:100], v[99:100], v[101:102], v[99:100]
	v_mul_f64 v[101:102], v[103:104], v[99:100]
	v_fma_f64 v[97:98], -v[97:98], v[101:102], v[103:104]
	v_div_fmas_f64 v[97:98], v[97:98], v[99:100], v[101:102]
	v_div_fixup_f64 v[119:120], v[97:98], v[92:93], 1.0
	v_mul_f64 v[117:118], v[90:91], v[119:120]
	v_xor_b32_e32 v120, 0x80000000, v120
.LBB106_952:
	s_andn2_saveexec_b64 s[18:19], s[18:19]
	s_cbranch_execz .LBB106_954
; %bb.953:
	v_div_scale_f64 v[90:91], s[20:21], v[117:118], v[117:118], v[119:120]
	v_rcp_f64_e32 v[92:93], v[90:91]
	v_fma_f64 v[97:98], -v[90:91], v[92:93], 1.0
	v_fma_f64 v[92:93], v[92:93], v[97:98], v[92:93]
	v_div_scale_f64 v[97:98], vcc, v[119:120], v[117:118], v[119:120]
	v_fma_f64 v[99:100], -v[90:91], v[92:93], 1.0
	v_fma_f64 v[92:93], v[92:93], v[99:100], v[92:93]
	v_mul_f64 v[99:100], v[97:98], v[92:93]
	v_fma_f64 v[90:91], -v[90:91], v[99:100], v[97:98]
	v_div_fmas_f64 v[90:91], v[90:91], v[92:93], v[99:100]
	v_div_fixup_f64 v[90:91], v[90:91], v[117:118], v[119:120]
	v_fma_f64 v[92:93], v[119:120], v[90:91], v[117:118]
	v_div_scale_f64 v[97:98], s[20:21], v[92:93], v[92:93], 1.0
	v_div_scale_f64 v[103:104], vcc, 1.0, v[92:93], 1.0
	v_rcp_f64_e32 v[99:100], v[97:98]
	v_fma_f64 v[101:102], -v[97:98], v[99:100], 1.0
	v_fma_f64 v[99:100], v[99:100], v[101:102], v[99:100]
	v_fma_f64 v[101:102], -v[97:98], v[99:100], 1.0
	v_fma_f64 v[99:100], v[99:100], v[101:102], v[99:100]
	v_mul_f64 v[101:102], v[103:104], v[99:100]
	v_fma_f64 v[97:98], -v[97:98], v[101:102], v[103:104]
	v_div_fmas_f64 v[97:98], v[97:98], v[99:100], v[101:102]
	v_div_fixup_f64 v[117:118], v[97:98], v[92:93], 1.0
	v_mul_f64 v[119:120], v[90:91], -v[117:118]
.LBB106_954:
	s_or_b64 exec, exec, s[18:19]
.LBB106_955:
	s_or_b64 exec, exec, s[0:1]
	v_cmp_ne_u32_e32 vcc, v96, v89
	s_and_saveexec_b64 s[0:1], vcc
	s_xor_b64 s[0:1], exec, s[0:1]
	s_cbranch_execz .LBB106_961
; %bb.956:
	v_cmp_eq_u32_e32 vcc, 45, v96
	s_and_saveexec_b64 s[18:19], vcc
	s_cbranch_execz .LBB106_960
; %bb.957:
	v_cmp_ne_u32_e32 vcc, 45, v89
	s_xor_b64 s[20:21], s[6:7], -1
	s_and_b64 s[22:23], s[20:21], vcc
	s_and_saveexec_b64 s[20:21], s[22:23]
	s_cbranch_execz .LBB106_959
; %bb.958:
	buffer_load_dword v81, off, s[24:27], 0 offset:436 ; 4-byte Folded Reload
	buffer_load_dword v82, off, s[24:27], 0 offset:440 ; 4-byte Folded Reload
	v_ashrrev_i32_e32 v90, 31, v89
	v_lshlrev_b64 v[90:91], 2, v[89:90]
	s_waitcnt vmcnt(1)
	v_add_co_u32_e32 v90, vcc, v81, v90
	s_waitcnt vmcnt(0)
	v_addc_co_u32_e32 v91, vcc, v82, v91, vcc
	global_load_dword v92, v[90:91], off
	global_load_dword v93, v[81:82], off offset:180
	s_waitcnt vmcnt(1)
	global_store_dword v[81:82], v92, off offset:180
	v_mov_b32_e32 v81, v105
	v_mov_b32_e32 v82, v106
	;; [unrolled: 1-line block ×4, first 2 shown]
	s_waitcnt vmcnt(1)
	global_store_dword v[90:91], v93, off
.LBB106_959:
	s_or_b64 exec, exec, s[20:21]
	v_mov_b32_e32 v96, v89
	v_mov_b32_e32 v53, v89
	buffer_store_dword v53, off, s[24:27], 0 offset:352 ; 4-byte Folded Spill
.LBB106_960:
	s_or_b64 exec, exec, s[18:19]
.LBB106_961:
	s_andn2_saveexec_b64 s[0:1], s[0:1]
	s_cbranch_execz .LBB106_963
; %bb.962:
	v_mov_b32_e32 v96, 45
	ds_write2_b64 v0, v[25:26], v[27:28] offset0:92 offset1:93
	ds_write2_b64 v0, v[21:22], v[23:24] offset0:94 offset1:95
	;; [unrolled: 1-line block ×8, first 2 shown]
.LBB106_963:
	s_or_b64 exec, exec, s[0:1]
	v_cmp_lt_i32_e32 vcc, 45, v96
	s_waitcnt vmcnt(0) lgkmcnt(0)
	s_barrier
	s_and_saveexec_b64 s[0:1], vcc
	s_cbranch_execz .LBB106_965
; %bb.964:
	v_mul_f64 v[89:90], v[117:118], v[31:32]
	v_mul_f64 v[31:32], v[119:120], v[31:32]
	ds_read2_b64 v[91:94], v0 offset0:92 offset1:93
	v_fma_f64 v[89:90], v[119:120], v[29:30], v[89:90]
	v_fma_f64 v[29:30], v[117:118], v[29:30], -v[31:32]
	s_waitcnt lgkmcnt(0)
	v_mul_f64 v[31:32], v[93:94], v[89:90]
	v_fma_f64 v[31:32], v[91:92], v[29:30], -v[31:32]
	v_mul_f64 v[91:92], v[91:92], v[89:90]
	v_add_f64 v[25:26], v[25:26], -v[31:32]
	v_fma_f64 v[91:92], v[93:94], v[29:30], v[91:92]
	v_add_f64 v[27:28], v[27:28], -v[91:92]
	ds_read2_b64 v[91:94], v0 offset0:94 offset1:95
	s_waitcnt lgkmcnt(0)
	v_mul_f64 v[31:32], v[93:94], v[89:90]
	v_fma_f64 v[31:32], v[91:92], v[29:30], -v[31:32]
	v_mul_f64 v[91:92], v[91:92], v[89:90]
	v_add_f64 v[21:22], v[21:22], -v[31:32]
	v_fma_f64 v[91:92], v[93:94], v[29:30], v[91:92]
	v_add_f64 v[23:24], v[23:24], -v[91:92]
	ds_read2_b64 v[91:94], v0 offset0:96 offset1:97
	s_waitcnt lgkmcnt(0)
	v_mul_f64 v[31:32], v[93:94], v[89:90]
	v_fma_f64 v[31:32], v[91:92], v[29:30], -v[31:32]
	v_mul_f64 v[91:92], v[91:92], v[89:90]
	v_add_f64 v[17:18], v[17:18], -v[31:32]
	v_fma_f64 v[91:92], v[93:94], v[29:30], v[91:92]
	v_add_f64 v[19:20], v[19:20], -v[91:92]
	ds_read2_b64 v[91:94], v0 offset0:98 offset1:99
	s_waitcnt lgkmcnt(0)
	v_mul_f64 v[31:32], v[93:94], v[89:90]
	v_fma_f64 v[31:32], v[91:92], v[29:30], -v[31:32]
	v_mul_f64 v[91:92], v[91:92], v[89:90]
	v_add_f64 v[13:14], v[13:14], -v[31:32]
	v_fma_f64 v[91:92], v[93:94], v[29:30], v[91:92]
	v_add_f64 v[15:16], v[15:16], -v[91:92]
	ds_read2_b64 v[91:94], v0 offset0:100 offset1:101
	s_waitcnt lgkmcnt(0)
	v_mul_f64 v[31:32], v[93:94], v[89:90]
	v_fma_f64 v[31:32], v[91:92], v[29:30], -v[31:32]
	v_mul_f64 v[91:92], v[91:92], v[89:90]
	v_add_f64 v[9:10], v[9:10], -v[31:32]
	v_fma_f64 v[91:92], v[93:94], v[29:30], v[91:92]
	v_add_f64 v[11:12], v[11:12], -v[91:92]
	ds_read2_b64 v[91:94], v0 offset0:102 offset1:103
	s_waitcnt lgkmcnt(0)
	v_mul_f64 v[31:32], v[93:94], v[89:90]
	v_fma_f64 v[31:32], v[91:92], v[29:30], -v[31:32]
	v_mul_f64 v[91:92], v[91:92], v[89:90]
	v_add_f64 v[5:6], v[5:6], -v[31:32]
	v_fma_f64 v[91:92], v[93:94], v[29:30], v[91:92]
	v_add_f64 v[7:8], v[7:8], -v[91:92]
	ds_read2_b64 v[91:94], v0 offset0:104 offset1:105
	s_waitcnt lgkmcnt(0)
	v_mul_f64 v[31:32], v[93:94], v[89:90]
	v_fma_f64 v[31:32], v[91:92], v[29:30], -v[31:32]
	v_mul_f64 v[91:92], v[91:92], v[89:90]
	v_add_f64 v[1:2], v[1:2], -v[31:32]
	v_fma_f64 v[91:92], v[93:94], v[29:30], v[91:92]
	v_add_f64 v[3:4], v[3:4], -v[91:92]
	ds_read2_b64 v[91:94], v0 offset0:106 offset1:107
	s_waitcnt lgkmcnt(0)
	v_mul_f64 v[31:32], v[93:94], v[89:90]
	v_fma_f64 v[31:32], v[91:92], v[29:30], -v[31:32]
	v_mul_f64 v[91:92], v[91:92], v[89:90]
	v_add_f64 v[121:122], v[121:122], -v[31:32]
	v_fma_f64 v[91:92], v[93:94], v[29:30], v[91:92]
	v_mov_b32_e32 v31, v89
	v_mov_b32_e32 v32, v90
	v_add_f64 v[123:124], v[123:124], -v[91:92]
.LBB106_965:
	s_or_b64 exec, exec, s[0:1]
	v_lshl_add_u32 v89, v96, 4, v0
	s_barrier
	ds_write2_b64 v89, v[25:26], v[27:28] offset1:1
	s_waitcnt lgkmcnt(0)
	s_barrier
	ds_read2_b64 v[117:120], v0 offset0:92 offset1:93
	s_cmp_lt_i32 s3, 48
	v_mov_b32_e32 v89, 46
	s_cbranch_scc1 .LBB106_968
; %bb.966:
	v_add_u32_e32 v90, 0x2f0, v0
	s_mov_b32 s0, 47
	v_mov_b32_e32 v89, 46
.LBB106_967:                            ; =>This Inner Loop Header: Depth=1
	s_waitcnt lgkmcnt(0)
	v_cmp_gt_f64_e32 vcc, 0, v[117:118]
	v_xor_b32_e32 v97, 0x80000000, v118
	ds_read2_b64 v[91:94], v90 offset1:1
	v_xor_b32_e32 v99, 0x80000000, v120
	v_add_u32_e32 v90, 16, v90
	s_waitcnt lgkmcnt(0)
	v_xor_b32_e32 v101, 0x80000000, v94
	v_cndmask_b32_e32 v98, v118, v97, vcc
	v_cmp_gt_f64_e32 vcc, 0, v[119:120]
	v_mov_b32_e32 v97, v117
	v_cndmask_b32_e32 v100, v120, v99, vcc
	v_cmp_gt_f64_e32 vcc, 0, v[91:92]
	v_mov_b32_e32 v99, v119
	v_add_f64 v[97:98], v[97:98], v[99:100]
	v_xor_b32_e32 v99, 0x80000000, v92
	v_cndmask_b32_e32 v100, v92, v99, vcc
	v_cmp_gt_f64_e32 vcc, 0, v[93:94]
	v_mov_b32_e32 v99, v91
	v_cndmask_b32_e32 v102, v94, v101, vcc
	v_mov_b32_e32 v101, v93
	v_add_f64 v[99:100], v[99:100], v[101:102]
	v_cmp_lt_f64_e32 vcc, v[97:98], v[99:100]
	v_cndmask_b32_e32 v117, v117, v91, vcc
	v_mov_b32_e32 v91, s0
	s_add_i32 s0, s0, 1
	v_cndmask_b32_e32 v118, v118, v92, vcc
	v_cndmask_b32_e32 v120, v120, v94, vcc
	;; [unrolled: 1-line block ×4, first 2 shown]
	s_cmp_lg_u32 s3, s0
	s_cbranch_scc1 .LBB106_967
.LBB106_968:
	s_waitcnt lgkmcnt(0)
	v_cmp_eq_f64_e32 vcc, 0, v[117:118]
	v_cmp_eq_f64_e64 s[0:1], 0, v[119:120]
	s_and_b64 s[0:1], vcc, s[0:1]
	s_and_saveexec_b64 s[18:19], s[0:1]
	s_xor_b64 s[0:1], exec, s[18:19]
; %bb.969:
	v_cmp_ne_u32_e32 vcc, 0, v95
	v_cndmask_b32_e32 v95, 47, v95, vcc
; %bb.970:
	s_andn2_saveexec_b64 s[0:1], s[0:1]
	s_cbranch_execz .LBB106_976
; %bb.971:
	v_cmp_ngt_f64_e64 s[18:19], |v[117:118]|, |v[119:120]|
	s_and_saveexec_b64 s[20:21], s[18:19]
	s_xor_b64 s[18:19], exec, s[20:21]
	s_cbranch_execz .LBB106_973
; %bb.972:
	v_div_scale_f64 v[90:91], s[20:21], v[119:120], v[119:120], v[117:118]
	v_rcp_f64_e32 v[92:93], v[90:91]
	v_fma_f64 v[97:98], -v[90:91], v[92:93], 1.0
	v_fma_f64 v[92:93], v[92:93], v[97:98], v[92:93]
	v_div_scale_f64 v[97:98], vcc, v[117:118], v[119:120], v[117:118]
	v_fma_f64 v[99:100], -v[90:91], v[92:93], 1.0
	v_fma_f64 v[92:93], v[92:93], v[99:100], v[92:93]
	v_mul_f64 v[99:100], v[97:98], v[92:93]
	v_fma_f64 v[90:91], -v[90:91], v[99:100], v[97:98]
	v_div_fmas_f64 v[90:91], v[90:91], v[92:93], v[99:100]
	v_div_fixup_f64 v[90:91], v[90:91], v[119:120], v[117:118]
	v_fma_f64 v[92:93], v[117:118], v[90:91], v[119:120]
	v_div_scale_f64 v[97:98], s[20:21], v[92:93], v[92:93], 1.0
	v_div_scale_f64 v[103:104], vcc, 1.0, v[92:93], 1.0
	v_rcp_f64_e32 v[99:100], v[97:98]
	v_fma_f64 v[101:102], -v[97:98], v[99:100], 1.0
	v_fma_f64 v[99:100], v[99:100], v[101:102], v[99:100]
	v_fma_f64 v[101:102], -v[97:98], v[99:100], 1.0
	v_fma_f64 v[99:100], v[99:100], v[101:102], v[99:100]
	v_mul_f64 v[101:102], v[103:104], v[99:100]
	v_fma_f64 v[97:98], -v[97:98], v[101:102], v[103:104]
	v_div_fmas_f64 v[97:98], v[97:98], v[99:100], v[101:102]
	v_div_fixup_f64 v[119:120], v[97:98], v[92:93], 1.0
	v_mul_f64 v[117:118], v[90:91], v[119:120]
	v_xor_b32_e32 v120, 0x80000000, v120
.LBB106_973:
	s_andn2_saveexec_b64 s[18:19], s[18:19]
	s_cbranch_execz .LBB106_975
; %bb.974:
	v_div_scale_f64 v[90:91], s[20:21], v[117:118], v[117:118], v[119:120]
	v_rcp_f64_e32 v[92:93], v[90:91]
	v_fma_f64 v[97:98], -v[90:91], v[92:93], 1.0
	v_fma_f64 v[92:93], v[92:93], v[97:98], v[92:93]
	v_div_scale_f64 v[97:98], vcc, v[119:120], v[117:118], v[119:120]
	v_fma_f64 v[99:100], -v[90:91], v[92:93], 1.0
	v_fma_f64 v[92:93], v[92:93], v[99:100], v[92:93]
	v_mul_f64 v[99:100], v[97:98], v[92:93]
	v_fma_f64 v[90:91], -v[90:91], v[99:100], v[97:98]
	v_div_fmas_f64 v[90:91], v[90:91], v[92:93], v[99:100]
	v_div_fixup_f64 v[90:91], v[90:91], v[117:118], v[119:120]
	v_fma_f64 v[92:93], v[119:120], v[90:91], v[117:118]
	v_div_scale_f64 v[97:98], s[20:21], v[92:93], v[92:93], 1.0
	v_div_scale_f64 v[103:104], vcc, 1.0, v[92:93], 1.0
	v_rcp_f64_e32 v[99:100], v[97:98]
	v_fma_f64 v[101:102], -v[97:98], v[99:100], 1.0
	v_fma_f64 v[99:100], v[99:100], v[101:102], v[99:100]
	v_fma_f64 v[101:102], -v[97:98], v[99:100], 1.0
	v_fma_f64 v[99:100], v[99:100], v[101:102], v[99:100]
	v_mul_f64 v[101:102], v[103:104], v[99:100]
	v_fma_f64 v[97:98], -v[97:98], v[101:102], v[103:104]
	v_div_fmas_f64 v[97:98], v[97:98], v[99:100], v[101:102]
	v_div_fixup_f64 v[117:118], v[97:98], v[92:93], 1.0
	v_mul_f64 v[119:120], v[90:91], -v[117:118]
.LBB106_975:
	s_or_b64 exec, exec, s[18:19]
.LBB106_976:
	s_or_b64 exec, exec, s[0:1]
	v_cmp_ne_u32_e32 vcc, v96, v89
	s_and_saveexec_b64 s[0:1], vcc
	s_xor_b64 s[0:1], exec, s[0:1]
	s_cbranch_execz .LBB106_982
; %bb.977:
	v_cmp_eq_u32_e32 vcc, 46, v96
	s_and_saveexec_b64 s[18:19], vcc
	s_cbranch_execz .LBB106_981
; %bb.978:
	v_cmp_ne_u32_e32 vcc, 46, v89
	s_xor_b64 s[20:21], s[6:7], -1
	s_and_b64 s[22:23], s[20:21], vcc
	s_and_saveexec_b64 s[20:21], s[22:23]
	s_cbranch_execz .LBB106_980
; %bb.979:
	buffer_load_dword v81, off, s[24:27], 0 offset:436 ; 4-byte Folded Reload
	buffer_load_dword v82, off, s[24:27], 0 offset:440 ; 4-byte Folded Reload
	v_ashrrev_i32_e32 v90, 31, v89
	v_lshlrev_b64 v[90:91], 2, v[89:90]
	s_waitcnt vmcnt(1)
	v_add_co_u32_e32 v90, vcc, v81, v90
	s_waitcnt vmcnt(0)
	v_addc_co_u32_e32 v91, vcc, v82, v91, vcc
	global_load_dword v92, v[90:91], off
	global_load_dword v93, v[81:82], off offset:184
	s_waitcnt vmcnt(1)
	global_store_dword v[81:82], v92, off offset:184
	v_mov_b32_e32 v81, v105
	v_mov_b32_e32 v82, v106
	;; [unrolled: 1-line block ×4, first 2 shown]
	s_waitcnt vmcnt(1)
	global_store_dword v[90:91], v93, off
.LBB106_980:
	s_or_b64 exec, exec, s[20:21]
	v_mov_b32_e32 v96, v89
	v_mov_b32_e32 v53, v89
	buffer_store_dword v53, off, s[24:27], 0 offset:352 ; 4-byte Folded Spill
.LBB106_981:
	s_or_b64 exec, exec, s[18:19]
.LBB106_982:
	s_andn2_saveexec_b64 s[0:1], s[0:1]
	s_cbranch_execz .LBB106_984
; %bb.983:
	v_mov_b32_e32 v96, 46
	ds_write2_b64 v0, v[21:22], v[23:24] offset0:94 offset1:95
	ds_write2_b64 v0, v[17:18], v[19:20] offset0:96 offset1:97
	;; [unrolled: 1-line block ×7, first 2 shown]
.LBB106_984:
	s_or_b64 exec, exec, s[0:1]
	v_cmp_lt_i32_e32 vcc, 46, v96
	s_waitcnt vmcnt(0) lgkmcnt(0)
	s_barrier
	s_and_saveexec_b64 s[0:1], vcc
	s_cbranch_execz .LBB106_986
; %bb.985:
	v_mul_f64 v[89:90], v[117:118], v[27:28]
	v_mul_f64 v[27:28], v[119:120], v[27:28]
	ds_read2_b64 v[91:94], v0 offset0:94 offset1:95
	v_fma_f64 v[89:90], v[119:120], v[25:26], v[89:90]
	v_fma_f64 v[25:26], v[117:118], v[25:26], -v[27:28]
	s_waitcnt lgkmcnt(0)
	v_mul_f64 v[27:28], v[93:94], v[89:90]
	v_fma_f64 v[27:28], v[91:92], v[25:26], -v[27:28]
	v_mul_f64 v[91:92], v[91:92], v[89:90]
	v_add_f64 v[21:22], v[21:22], -v[27:28]
	v_fma_f64 v[91:92], v[93:94], v[25:26], v[91:92]
	v_add_f64 v[23:24], v[23:24], -v[91:92]
	ds_read2_b64 v[91:94], v0 offset0:96 offset1:97
	s_waitcnt lgkmcnt(0)
	v_mul_f64 v[27:28], v[93:94], v[89:90]
	v_fma_f64 v[27:28], v[91:92], v[25:26], -v[27:28]
	v_mul_f64 v[91:92], v[91:92], v[89:90]
	v_add_f64 v[17:18], v[17:18], -v[27:28]
	v_fma_f64 v[91:92], v[93:94], v[25:26], v[91:92]
	v_add_f64 v[19:20], v[19:20], -v[91:92]
	ds_read2_b64 v[91:94], v0 offset0:98 offset1:99
	;; [unrolled: 8-line block ×6, first 2 shown]
	s_waitcnt lgkmcnt(0)
	v_mul_f64 v[27:28], v[93:94], v[89:90]
	v_fma_f64 v[27:28], v[91:92], v[25:26], -v[27:28]
	v_mul_f64 v[91:92], v[91:92], v[89:90]
	v_add_f64 v[121:122], v[121:122], -v[27:28]
	v_fma_f64 v[91:92], v[93:94], v[25:26], v[91:92]
	v_mov_b32_e32 v27, v89
	v_mov_b32_e32 v28, v90
	v_add_f64 v[123:124], v[123:124], -v[91:92]
.LBB106_986:
	s_or_b64 exec, exec, s[0:1]
	v_lshl_add_u32 v89, v96, 4, v0
	s_barrier
	ds_write2_b64 v89, v[21:22], v[23:24] offset1:1
	s_waitcnt lgkmcnt(0)
	s_barrier
	ds_read2_b64 v[117:120], v0 offset0:94 offset1:95
	s_cmp_lt_i32 s3, 49
	v_mov_b32_e32 v89, 47
	s_cbranch_scc1 .LBB106_989
; %bb.987:
	v_add_u32_e32 v90, 0x300, v0
	s_mov_b32 s0, 48
	v_mov_b32_e32 v89, 47
.LBB106_988:                            ; =>This Inner Loop Header: Depth=1
	s_waitcnt lgkmcnt(0)
	v_cmp_gt_f64_e32 vcc, 0, v[117:118]
	v_xor_b32_e32 v97, 0x80000000, v118
	ds_read2_b64 v[91:94], v90 offset1:1
	v_xor_b32_e32 v99, 0x80000000, v120
	v_add_u32_e32 v90, 16, v90
	s_waitcnt lgkmcnt(0)
	v_xor_b32_e32 v101, 0x80000000, v94
	v_cndmask_b32_e32 v98, v118, v97, vcc
	v_cmp_gt_f64_e32 vcc, 0, v[119:120]
	v_mov_b32_e32 v97, v117
	v_cndmask_b32_e32 v100, v120, v99, vcc
	v_cmp_gt_f64_e32 vcc, 0, v[91:92]
	v_mov_b32_e32 v99, v119
	v_add_f64 v[97:98], v[97:98], v[99:100]
	v_xor_b32_e32 v99, 0x80000000, v92
	v_cndmask_b32_e32 v100, v92, v99, vcc
	v_cmp_gt_f64_e32 vcc, 0, v[93:94]
	v_mov_b32_e32 v99, v91
	v_cndmask_b32_e32 v102, v94, v101, vcc
	v_mov_b32_e32 v101, v93
	v_add_f64 v[99:100], v[99:100], v[101:102]
	v_cmp_lt_f64_e32 vcc, v[97:98], v[99:100]
	v_cndmask_b32_e32 v117, v117, v91, vcc
	v_mov_b32_e32 v91, s0
	s_add_i32 s0, s0, 1
	v_cndmask_b32_e32 v118, v118, v92, vcc
	v_cndmask_b32_e32 v120, v120, v94, vcc
	;; [unrolled: 1-line block ×4, first 2 shown]
	s_cmp_lg_u32 s3, s0
	s_cbranch_scc1 .LBB106_988
.LBB106_989:
	s_waitcnt lgkmcnt(0)
	v_cmp_eq_f64_e32 vcc, 0, v[117:118]
	v_cmp_eq_f64_e64 s[0:1], 0, v[119:120]
	s_and_b64 s[0:1], vcc, s[0:1]
	s_and_saveexec_b64 s[18:19], s[0:1]
	s_xor_b64 s[0:1], exec, s[18:19]
; %bb.990:
	v_cmp_ne_u32_e32 vcc, 0, v95
	v_cndmask_b32_e32 v95, 48, v95, vcc
; %bb.991:
	s_andn2_saveexec_b64 s[0:1], s[0:1]
	s_cbranch_execz .LBB106_997
; %bb.992:
	v_cmp_ngt_f64_e64 s[18:19], |v[117:118]|, |v[119:120]|
	s_and_saveexec_b64 s[20:21], s[18:19]
	s_xor_b64 s[18:19], exec, s[20:21]
	s_cbranch_execz .LBB106_994
; %bb.993:
	v_div_scale_f64 v[90:91], s[20:21], v[119:120], v[119:120], v[117:118]
	v_rcp_f64_e32 v[92:93], v[90:91]
	v_fma_f64 v[97:98], -v[90:91], v[92:93], 1.0
	v_fma_f64 v[92:93], v[92:93], v[97:98], v[92:93]
	v_div_scale_f64 v[97:98], vcc, v[117:118], v[119:120], v[117:118]
	v_fma_f64 v[99:100], -v[90:91], v[92:93], 1.0
	v_fma_f64 v[92:93], v[92:93], v[99:100], v[92:93]
	v_mul_f64 v[99:100], v[97:98], v[92:93]
	v_fma_f64 v[90:91], -v[90:91], v[99:100], v[97:98]
	v_div_fmas_f64 v[90:91], v[90:91], v[92:93], v[99:100]
	v_div_fixup_f64 v[90:91], v[90:91], v[119:120], v[117:118]
	v_fma_f64 v[92:93], v[117:118], v[90:91], v[119:120]
	v_div_scale_f64 v[97:98], s[20:21], v[92:93], v[92:93], 1.0
	v_div_scale_f64 v[103:104], vcc, 1.0, v[92:93], 1.0
	v_rcp_f64_e32 v[99:100], v[97:98]
	v_fma_f64 v[101:102], -v[97:98], v[99:100], 1.0
	v_fma_f64 v[99:100], v[99:100], v[101:102], v[99:100]
	v_fma_f64 v[101:102], -v[97:98], v[99:100], 1.0
	v_fma_f64 v[99:100], v[99:100], v[101:102], v[99:100]
	v_mul_f64 v[101:102], v[103:104], v[99:100]
	v_fma_f64 v[97:98], -v[97:98], v[101:102], v[103:104]
	v_div_fmas_f64 v[97:98], v[97:98], v[99:100], v[101:102]
	v_div_fixup_f64 v[119:120], v[97:98], v[92:93], 1.0
	v_mul_f64 v[117:118], v[90:91], v[119:120]
	v_xor_b32_e32 v120, 0x80000000, v120
.LBB106_994:
	s_andn2_saveexec_b64 s[18:19], s[18:19]
	s_cbranch_execz .LBB106_996
; %bb.995:
	v_div_scale_f64 v[90:91], s[20:21], v[117:118], v[117:118], v[119:120]
	v_rcp_f64_e32 v[92:93], v[90:91]
	v_fma_f64 v[97:98], -v[90:91], v[92:93], 1.0
	v_fma_f64 v[92:93], v[92:93], v[97:98], v[92:93]
	v_div_scale_f64 v[97:98], vcc, v[119:120], v[117:118], v[119:120]
	v_fma_f64 v[99:100], -v[90:91], v[92:93], 1.0
	v_fma_f64 v[92:93], v[92:93], v[99:100], v[92:93]
	v_mul_f64 v[99:100], v[97:98], v[92:93]
	v_fma_f64 v[90:91], -v[90:91], v[99:100], v[97:98]
	v_div_fmas_f64 v[90:91], v[90:91], v[92:93], v[99:100]
	v_div_fixup_f64 v[90:91], v[90:91], v[117:118], v[119:120]
	v_fma_f64 v[92:93], v[119:120], v[90:91], v[117:118]
	v_div_scale_f64 v[97:98], s[20:21], v[92:93], v[92:93], 1.0
	v_div_scale_f64 v[103:104], vcc, 1.0, v[92:93], 1.0
	v_rcp_f64_e32 v[99:100], v[97:98]
	v_fma_f64 v[101:102], -v[97:98], v[99:100], 1.0
	v_fma_f64 v[99:100], v[99:100], v[101:102], v[99:100]
	v_fma_f64 v[101:102], -v[97:98], v[99:100], 1.0
	v_fma_f64 v[99:100], v[99:100], v[101:102], v[99:100]
	v_mul_f64 v[101:102], v[103:104], v[99:100]
	v_fma_f64 v[97:98], -v[97:98], v[101:102], v[103:104]
	v_div_fmas_f64 v[97:98], v[97:98], v[99:100], v[101:102]
	v_div_fixup_f64 v[117:118], v[97:98], v[92:93], 1.0
	v_mul_f64 v[119:120], v[90:91], -v[117:118]
.LBB106_996:
	s_or_b64 exec, exec, s[18:19]
.LBB106_997:
	s_or_b64 exec, exec, s[0:1]
	v_cmp_ne_u32_e32 vcc, v96, v89
	s_and_saveexec_b64 s[0:1], vcc
	s_xor_b64 s[0:1], exec, s[0:1]
	s_cbranch_execz .LBB106_1003
; %bb.998:
	v_cmp_eq_u32_e32 vcc, 47, v96
	s_and_saveexec_b64 s[18:19], vcc
	s_cbranch_execz .LBB106_1002
; %bb.999:
	v_cmp_ne_u32_e32 vcc, 47, v89
	s_xor_b64 s[20:21], s[6:7], -1
	s_and_b64 s[22:23], s[20:21], vcc
	s_and_saveexec_b64 s[20:21], s[22:23]
	s_cbranch_execz .LBB106_1001
; %bb.1000:
	buffer_load_dword v81, off, s[24:27], 0 offset:436 ; 4-byte Folded Reload
	buffer_load_dword v82, off, s[24:27], 0 offset:440 ; 4-byte Folded Reload
	v_ashrrev_i32_e32 v90, 31, v89
	v_lshlrev_b64 v[90:91], 2, v[89:90]
	s_waitcnt vmcnt(1)
	v_add_co_u32_e32 v90, vcc, v81, v90
	s_waitcnt vmcnt(0)
	v_addc_co_u32_e32 v91, vcc, v82, v91, vcc
	global_load_dword v92, v[90:91], off
	global_load_dword v93, v[81:82], off offset:188
	s_waitcnt vmcnt(1)
	global_store_dword v[81:82], v92, off offset:188
	v_mov_b32_e32 v81, v105
	v_mov_b32_e32 v82, v106
	;; [unrolled: 1-line block ×4, first 2 shown]
	s_waitcnt vmcnt(1)
	global_store_dword v[90:91], v93, off
.LBB106_1001:
	s_or_b64 exec, exec, s[20:21]
	v_mov_b32_e32 v96, v89
	v_mov_b32_e32 v53, v89
	buffer_store_dword v53, off, s[24:27], 0 offset:352 ; 4-byte Folded Spill
.LBB106_1002:
	s_or_b64 exec, exec, s[18:19]
.LBB106_1003:
	s_andn2_saveexec_b64 s[0:1], s[0:1]
	s_cbranch_execz .LBB106_1005
; %bb.1004:
	v_mov_b32_e32 v96, 47
	ds_write2_b64 v0, v[17:18], v[19:20] offset0:96 offset1:97
	ds_write2_b64 v0, v[13:14], v[15:16] offset0:98 offset1:99
	;; [unrolled: 1-line block ×6, first 2 shown]
.LBB106_1005:
	s_or_b64 exec, exec, s[0:1]
	v_cmp_lt_i32_e32 vcc, 47, v96
	s_waitcnt vmcnt(0) lgkmcnt(0)
	s_barrier
	s_and_saveexec_b64 s[0:1], vcc
	s_cbranch_execz .LBB106_1007
; %bb.1006:
	v_mul_f64 v[89:90], v[117:118], v[23:24]
	v_mul_f64 v[23:24], v[119:120], v[23:24]
	ds_read2_b64 v[91:94], v0 offset0:96 offset1:97
	v_fma_f64 v[89:90], v[119:120], v[21:22], v[89:90]
	v_fma_f64 v[21:22], v[117:118], v[21:22], -v[23:24]
	s_waitcnt lgkmcnt(0)
	v_mul_f64 v[23:24], v[93:94], v[89:90]
	v_fma_f64 v[23:24], v[91:92], v[21:22], -v[23:24]
	v_mul_f64 v[91:92], v[91:92], v[89:90]
	v_add_f64 v[17:18], v[17:18], -v[23:24]
	v_fma_f64 v[91:92], v[93:94], v[21:22], v[91:92]
	v_add_f64 v[19:20], v[19:20], -v[91:92]
	ds_read2_b64 v[91:94], v0 offset0:98 offset1:99
	s_waitcnt lgkmcnt(0)
	v_mul_f64 v[23:24], v[93:94], v[89:90]
	v_fma_f64 v[23:24], v[91:92], v[21:22], -v[23:24]
	v_mul_f64 v[91:92], v[91:92], v[89:90]
	v_add_f64 v[13:14], v[13:14], -v[23:24]
	v_fma_f64 v[91:92], v[93:94], v[21:22], v[91:92]
	v_add_f64 v[15:16], v[15:16], -v[91:92]
	ds_read2_b64 v[91:94], v0 offset0:100 offset1:101
	;; [unrolled: 8-line block ×5, first 2 shown]
	s_waitcnt lgkmcnt(0)
	v_mul_f64 v[23:24], v[93:94], v[89:90]
	v_fma_f64 v[23:24], v[91:92], v[21:22], -v[23:24]
	v_mul_f64 v[91:92], v[91:92], v[89:90]
	v_add_f64 v[121:122], v[121:122], -v[23:24]
	v_fma_f64 v[91:92], v[93:94], v[21:22], v[91:92]
	v_mov_b32_e32 v23, v89
	v_mov_b32_e32 v24, v90
	v_add_f64 v[123:124], v[123:124], -v[91:92]
.LBB106_1007:
	s_or_b64 exec, exec, s[0:1]
	v_lshl_add_u32 v89, v96, 4, v0
	s_barrier
	ds_write2_b64 v89, v[17:18], v[19:20] offset1:1
	s_waitcnt lgkmcnt(0)
	s_barrier
	ds_read2_b64 v[117:120], v0 offset0:96 offset1:97
	s_cmp_lt_i32 s3, 50
	v_mov_b32_e32 v89, 48
	s_cbranch_scc1 .LBB106_1010
; %bb.1008:
	v_add_u32_e32 v90, 0x310, v0
	s_mov_b32 s0, 49
	v_mov_b32_e32 v89, 48
.LBB106_1009:                           ; =>This Inner Loop Header: Depth=1
	s_waitcnt lgkmcnt(0)
	v_cmp_gt_f64_e32 vcc, 0, v[117:118]
	v_xor_b32_e32 v97, 0x80000000, v118
	ds_read2_b64 v[91:94], v90 offset1:1
	v_xor_b32_e32 v99, 0x80000000, v120
	v_add_u32_e32 v90, 16, v90
	s_waitcnt lgkmcnt(0)
	v_xor_b32_e32 v101, 0x80000000, v94
	v_cndmask_b32_e32 v98, v118, v97, vcc
	v_cmp_gt_f64_e32 vcc, 0, v[119:120]
	v_mov_b32_e32 v97, v117
	v_cndmask_b32_e32 v100, v120, v99, vcc
	v_cmp_gt_f64_e32 vcc, 0, v[91:92]
	v_mov_b32_e32 v99, v119
	v_add_f64 v[97:98], v[97:98], v[99:100]
	v_xor_b32_e32 v99, 0x80000000, v92
	v_cndmask_b32_e32 v100, v92, v99, vcc
	v_cmp_gt_f64_e32 vcc, 0, v[93:94]
	v_mov_b32_e32 v99, v91
	v_cndmask_b32_e32 v102, v94, v101, vcc
	v_mov_b32_e32 v101, v93
	v_add_f64 v[99:100], v[99:100], v[101:102]
	v_cmp_lt_f64_e32 vcc, v[97:98], v[99:100]
	v_cndmask_b32_e32 v117, v117, v91, vcc
	v_mov_b32_e32 v91, s0
	s_add_i32 s0, s0, 1
	v_cndmask_b32_e32 v118, v118, v92, vcc
	v_cndmask_b32_e32 v120, v120, v94, vcc
	v_cndmask_b32_e32 v119, v119, v93, vcc
	v_cndmask_b32_e32 v89, v89, v91, vcc
	s_cmp_lg_u32 s3, s0
	s_cbranch_scc1 .LBB106_1009
.LBB106_1010:
	s_waitcnt lgkmcnt(0)
	v_cmp_eq_f64_e32 vcc, 0, v[117:118]
	v_cmp_eq_f64_e64 s[0:1], 0, v[119:120]
	s_and_b64 s[0:1], vcc, s[0:1]
	s_and_saveexec_b64 s[18:19], s[0:1]
	s_xor_b64 s[0:1], exec, s[18:19]
; %bb.1011:
	v_cmp_ne_u32_e32 vcc, 0, v95
	v_cndmask_b32_e32 v95, 49, v95, vcc
; %bb.1012:
	s_andn2_saveexec_b64 s[0:1], s[0:1]
	s_cbranch_execz .LBB106_1018
; %bb.1013:
	v_cmp_ngt_f64_e64 s[18:19], |v[117:118]|, |v[119:120]|
	s_and_saveexec_b64 s[20:21], s[18:19]
	s_xor_b64 s[18:19], exec, s[20:21]
	s_cbranch_execz .LBB106_1015
; %bb.1014:
	v_div_scale_f64 v[90:91], s[20:21], v[119:120], v[119:120], v[117:118]
	v_rcp_f64_e32 v[92:93], v[90:91]
	v_fma_f64 v[97:98], -v[90:91], v[92:93], 1.0
	v_fma_f64 v[92:93], v[92:93], v[97:98], v[92:93]
	v_div_scale_f64 v[97:98], vcc, v[117:118], v[119:120], v[117:118]
	v_fma_f64 v[99:100], -v[90:91], v[92:93], 1.0
	v_fma_f64 v[92:93], v[92:93], v[99:100], v[92:93]
	v_mul_f64 v[99:100], v[97:98], v[92:93]
	v_fma_f64 v[90:91], -v[90:91], v[99:100], v[97:98]
	v_div_fmas_f64 v[90:91], v[90:91], v[92:93], v[99:100]
	v_div_fixup_f64 v[90:91], v[90:91], v[119:120], v[117:118]
	v_fma_f64 v[92:93], v[117:118], v[90:91], v[119:120]
	v_div_scale_f64 v[97:98], s[20:21], v[92:93], v[92:93], 1.0
	v_div_scale_f64 v[103:104], vcc, 1.0, v[92:93], 1.0
	v_rcp_f64_e32 v[99:100], v[97:98]
	v_fma_f64 v[101:102], -v[97:98], v[99:100], 1.0
	v_fma_f64 v[99:100], v[99:100], v[101:102], v[99:100]
	v_fma_f64 v[101:102], -v[97:98], v[99:100], 1.0
	v_fma_f64 v[99:100], v[99:100], v[101:102], v[99:100]
	v_mul_f64 v[101:102], v[103:104], v[99:100]
	v_fma_f64 v[97:98], -v[97:98], v[101:102], v[103:104]
	v_div_fmas_f64 v[97:98], v[97:98], v[99:100], v[101:102]
	v_div_fixup_f64 v[119:120], v[97:98], v[92:93], 1.0
	v_mul_f64 v[117:118], v[90:91], v[119:120]
	v_xor_b32_e32 v120, 0x80000000, v120
.LBB106_1015:
	s_andn2_saveexec_b64 s[18:19], s[18:19]
	s_cbranch_execz .LBB106_1017
; %bb.1016:
	v_div_scale_f64 v[90:91], s[20:21], v[117:118], v[117:118], v[119:120]
	v_rcp_f64_e32 v[92:93], v[90:91]
	v_fma_f64 v[97:98], -v[90:91], v[92:93], 1.0
	v_fma_f64 v[92:93], v[92:93], v[97:98], v[92:93]
	v_div_scale_f64 v[97:98], vcc, v[119:120], v[117:118], v[119:120]
	v_fma_f64 v[99:100], -v[90:91], v[92:93], 1.0
	v_fma_f64 v[92:93], v[92:93], v[99:100], v[92:93]
	v_mul_f64 v[99:100], v[97:98], v[92:93]
	v_fma_f64 v[90:91], -v[90:91], v[99:100], v[97:98]
	v_div_fmas_f64 v[90:91], v[90:91], v[92:93], v[99:100]
	v_div_fixup_f64 v[90:91], v[90:91], v[117:118], v[119:120]
	v_fma_f64 v[92:93], v[119:120], v[90:91], v[117:118]
	v_div_scale_f64 v[97:98], s[20:21], v[92:93], v[92:93], 1.0
	v_div_scale_f64 v[103:104], vcc, 1.0, v[92:93], 1.0
	v_rcp_f64_e32 v[99:100], v[97:98]
	v_fma_f64 v[101:102], -v[97:98], v[99:100], 1.0
	v_fma_f64 v[99:100], v[99:100], v[101:102], v[99:100]
	v_fma_f64 v[101:102], -v[97:98], v[99:100], 1.0
	v_fma_f64 v[99:100], v[99:100], v[101:102], v[99:100]
	v_mul_f64 v[101:102], v[103:104], v[99:100]
	v_fma_f64 v[97:98], -v[97:98], v[101:102], v[103:104]
	v_div_fmas_f64 v[97:98], v[97:98], v[99:100], v[101:102]
	v_div_fixup_f64 v[117:118], v[97:98], v[92:93], 1.0
	v_mul_f64 v[119:120], v[90:91], -v[117:118]
.LBB106_1017:
	s_or_b64 exec, exec, s[18:19]
.LBB106_1018:
	s_or_b64 exec, exec, s[0:1]
	v_cmp_ne_u32_e32 vcc, v96, v89
	s_and_saveexec_b64 s[0:1], vcc
	s_xor_b64 s[0:1], exec, s[0:1]
	s_cbranch_execz .LBB106_1024
; %bb.1019:
	v_cmp_eq_u32_e32 vcc, 48, v96
	s_and_saveexec_b64 s[18:19], vcc
	s_cbranch_execz .LBB106_1023
; %bb.1020:
	v_cmp_ne_u32_e32 vcc, 48, v89
	s_xor_b64 s[20:21], s[6:7], -1
	s_and_b64 s[22:23], s[20:21], vcc
	s_and_saveexec_b64 s[20:21], s[22:23]
	s_cbranch_execz .LBB106_1022
; %bb.1021:
	buffer_load_dword v81, off, s[24:27], 0 offset:436 ; 4-byte Folded Reload
	buffer_load_dword v82, off, s[24:27], 0 offset:440 ; 4-byte Folded Reload
	v_ashrrev_i32_e32 v90, 31, v89
	v_lshlrev_b64 v[90:91], 2, v[89:90]
	s_waitcnt vmcnt(1)
	v_add_co_u32_e32 v90, vcc, v81, v90
	s_waitcnt vmcnt(0)
	v_addc_co_u32_e32 v91, vcc, v82, v91, vcc
	global_load_dword v92, v[90:91], off
	global_load_dword v93, v[81:82], off offset:192
	s_waitcnt vmcnt(1)
	global_store_dword v[81:82], v92, off offset:192
	v_mov_b32_e32 v81, v105
	v_mov_b32_e32 v82, v106
	;; [unrolled: 1-line block ×4, first 2 shown]
	s_waitcnt vmcnt(1)
	global_store_dword v[90:91], v93, off
.LBB106_1022:
	s_or_b64 exec, exec, s[20:21]
	v_mov_b32_e32 v96, v89
	v_mov_b32_e32 v53, v89
	buffer_store_dword v53, off, s[24:27], 0 offset:352 ; 4-byte Folded Spill
.LBB106_1023:
	s_or_b64 exec, exec, s[18:19]
.LBB106_1024:
	s_andn2_saveexec_b64 s[0:1], s[0:1]
	s_cbranch_execz .LBB106_1026
; %bb.1025:
	v_mov_b32_e32 v96, 48
	ds_write2_b64 v0, v[13:14], v[15:16] offset0:98 offset1:99
	ds_write2_b64 v0, v[9:10], v[11:12] offset0:100 offset1:101
	;; [unrolled: 1-line block ×5, first 2 shown]
.LBB106_1026:
	s_or_b64 exec, exec, s[0:1]
	v_cmp_lt_i32_e32 vcc, 48, v96
	s_waitcnt vmcnt(0) lgkmcnt(0)
	s_barrier
	s_and_saveexec_b64 s[0:1], vcc
	s_cbranch_execz .LBB106_1028
; %bb.1027:
	v_mul_f64 v[89:90], v[117:118], v[19:20]
	v_mul_f64 v[19:20], v[119:120], v[19:20]
	v_fma_f64 v[93:94], v[119:120], v[17:18], v[89:90]
	ds_read2_b64 v[89:92], v0 offset0:98 offset1:99
	v_fma_f64 v[17:18], v[117:118], v[17:18], -v[19:20]
	s_waitcnt lgkmcnt(0)
	v_mul_f64 v[19:20], v[91:92], v[93:94]
	v_fma_f64 v[19:20], v[89:90], v[17:18], -v[19:20]
	v_mul_f64 v[89:90], v[89:90], v[93:94]
	v_add_f64 v[13:14], v[13:14], -v[19:20]
	v_fma_f64 v[89:90], v[91:92], v[17:18], v[89:90]
	v_add_f64 v[15:16], v[15:16], -v[89:90]
	ds_read2_b64 v[89:92], v0 offset0:100 offset1:101
	s_waitcnt lgkmcnt(0)
	v_mul_f64 v[19:20], v[91:92], v[93:94]
	v_fma_f64 v[19:20], v[89:90], v[17:18], -v[19:20]
	v_mul_f64 v[89:90], v[89:90], v[93:94]
	v_add_f64 v[9:10], v[9:10], -v[19:20]
	v_fma_f64 v[89:90], v[91:92], v[17:18], v[89:90]
	v_add_f64 v[11:12], v[11:12], -v[89:90]
	ds_read2_b64 v[89:92], v0 offset0:102 offset1:103
	;; [unrolled: 8-line block ×4, first 2 shown]
	s_waitcnt lgkmcnt(0)
	v_mul_f64 v[19:20], v[91:92], v[93:94]
	v_fma_f64 v[19:20], v[89:90], v[17:18], -v[19:20]
	v_mul_f64 v[89:90], v[89:90], v[93:94]
	v_add_f64 v[121:122], v[121:122], -v[19:20]
	v_fma_f64 v[89:90], v[91:92], v[17:18], v[89:90]
	v_mov_b32_e32 v19, v93
	v_mov_b32_e32 v20, v94
	v_add_f64 v[123:124], v[123:124], -v[89:90]
.LBB106_1028:
	s_or_b64 exec, exec, s[0:1]
	v_lshl_add_u32 v89, v96, 4, v0
	s_barrier
	ds_write2_b64 v89, v[13:14], v[15:16] offset1:1
	s_waitcnt lgkmcnt(0)
	s_barrier
	ds_read2_b64 v[117:120], v0 offset0:98 offset1:99
	s_cmp_lt_i32 s3, 51
	v_mov_b32_e32 v89, 49
	s_cbranch_scc1 .LBB106_1031
; %bb.1029:
	v_add_u32_e32 v90, 0x320, v0
	s_mov_b32 s0, 50
	v_mov_b32_e32 v89, 49
.LBB106_1030:                           ; =>This Inner Loop Header: Depth=1
	s_waitcnt lgkmcnt(0)
	v_cmp_gt_f64_e32 vcc, 0, v[117:118]
	v_xor_b32_e32 v97, 0x80000000, v118
	ds_read2_b64 v[91:94], v90 offset1:1
	v_xor_b32_e32 v99, 0x80000000, v120
	v_add_u32_e32 v90, 16, v90
	s_waitcnt lgkmcnt(0)
	v_xor_b32_e32 v101, 0x80000000, v94
	v_cndmask_b32_e32 v98, v118, v97, vcc
	v_cmp_gt_f64_e32 vcc, 0, v[119:120]
	v_mov_b32_e32 v97, v117
	v_cndmask_b32_e32 v100, v120, v99, vcc
	v_cmp_gt_f64_e32 vcc, 0, v[91:92]
	v_mov_b32_e32 v99, v119
	v_add_f64 v[97:98], v[97:98], v[99:100]
	v_xor_b32_e32 v99, 0x80000000, v92
	v_cndmask_b32_e32 v100, v92, v99, vcc
	v_cmp_gt_f64_e32 vcc, 0, v[93:94]
	v_mov_b32_e32 v99, v91
	v_cndmask_b32_e32 v102, v94, v101, vcc
	v_mov_b32_e32 v101, v93
	v_add_f64 v[99:100], v[99:100], v[101:102]
	v_cmp_lt_f64_e32 vcc, v[97:98], v[99:100]
	v_cndmask_b32_e32 v117, v117, v91, vcc
	v_mov_b32_e32 v91, s0
	s_add_i32 s0, s0, 1
	v_cndmask_b32_e32 v118, v118, v92, vcc
	v_cndmask_b32_e32 v120, v120, v94, vcc
	;; [unrolled: 1-line block ×4, first 2 shown]
	s_cmp_lg_u32 s3, s0
	s_cbranch_scc1 .LBB106_1030
.LBB106_1031:
	s_waitcnt lgkmcnt(0)
	v_cmp_eq_f64_e32 vcc, 0, v[117:118]
	v_cmp_eq_f64_e64 s[0:1], 0, v[119:120]
	s_and_b64 s[0:1], vcc, s[0:1]
	s_and_saveexec_b64 s[18:19], s[0:1]
	s_xor_b64 s[0:1], exec, s[18:19]
; %bb.1032:
	v_cmp_ne_u32_e32 vcc, 0, v95
	v_cndmask_b32_e32 v95, 50, v95, vcc
; %bb.1033:
	s_andn2_saveexec_b64 s[0:1], s[0:1]
	s_cbranch_execz .LBB106_1039
; %bb.1034:
	v_cmp_ngt_f64_e64 s[18:19], |v[117:118]|, |v[119:120]|
	s_and_saveexec_b64 s[20:21], s[18:19]
	s_xor_b64 s[18:19], exec, s[20:21]
	s_cbranch_execz .LBB106_1036
; %bb.1035:
	v_div_scale_f64 v[90:91], s[20:21], v[119:120], v[119:120], v[117:118]
	v_rcp_f64_e32 v[92:93], v[90:91]
	v_fma_f64 v[97:98], -v[90:91], v[92:93], 1.0
	v_fma_f64 v[92:93], v[92:93], v[97:98], v[92:93]
	v_div_scale_f64 v[97:98], vcc, v[117:118], v[119:120], v[117:118]
	v_fma_f64 v[99:100], -v[90:91], v[92:93], 1.0
	v_fma_f64 v[92:93], v[92:93], v[99:100], v[92:93]
	v_mul_f64 v[99:100], v[97:98], v[92:93]
	v_fma_f64 v[90:91], -v[90:91], v[99:100], v[97:98]
	v_div_fmas_f64 v[90:91], v[90:91], v[92:93], v[99:100]
	v_div_fixup_f64 v[90:91], v[90:91], v[119:120], v[117:118]
	v_fma_f64 v[92:93], v[117:118], v[90:91], v[119:120]
	v_div_scale_f64 v[97:98], s[20:21], v[92:93], v[92:93], 1.0
	v_div_scale_f64 v[103:104], vcc, 1.0, v[92:93], 1.0
	v_rcp_f64_e32 v[99:100], v[97:98]
	v_fma_f64 v[101:102], -v[97:98], v[99:100], 1.0
	v_fma_f64 v[99:100], v[99:100], v[101:102], v[99:100]
	v_fma_f64 v[101:102], -v[97:98], v[99:100], 1.0
	v_fma_f64 v[99:100], v[99:100], v[101:102], v[99:100]
	v_mul_f64 v[101:102], v[103:104], v[99:100]
	v_fma_f64 v[97:98], -v[97:98], v[101:102], v[103:104]
	v_div_fmas_f64 v[97:98], v[97:98], v[99:100], v[101:102]
	v_div_fixup_f64 v[119:120], v[97:98], v[92:93], 1.0
	v_mul_f64 v[117:118], v[90:91], v[119:120]
	v_xor_b32_e32 v120, 0x80000000, v120
.LBB106_1036:
	s_andn2_saveexec_b64 s[18:19], s[18:19]
	s_cbranch_execz .LBB106_1038
; %bb.1037:
	v_div_scale_f64 v[90:91], s[20:21], v[117:118], v[117:118], v[119:120]
	v_rcp_f64_e32 v[92:93], v[90:91]
	v_fma_f64 v[97:98], -v[90:91], v[92:93], 1.0
	v_fma_f64 v[92:93], v[92:93], v[97:98], v[92:93]
	v_div_scale_f64 v[97:98], vcc, v[119:120], v[117:118], v[119:120]
	v_fma_f64 v[99:100], -v[90:91], v[92:93], 1.0
	v_fma_f64 v[92:93], v[92:93], v[99:100], v[92:93]
	v_mul_f64 v[99:100], v[97:98], v[92:93]
	v_fma_f64 v[90:91], -v[90:91], v[99:100], v[97:98]
	v_div_fmas_f64 v[90:91], v[90:91], v[92:93], v[99:100]
	v_div_fixup_f64 v[90:91], v[90:91], v[117:118], v[119:120]
	v_fma_f64 v[92:93], v[119:120], v[90:91], v[117:118]
	v_div_scale_f64 v[97:98], s[20:21], v[92:93], v[92:93], 1.0
	v_div_scale_f64 v[103:104], vcc, 1.0, v[92:93], 1.0
	v_rcp_f64_e32 v[99:100], v[97:98]
	v_fma_f64 v[101:102], -v[97:98], v[99:100], 1.0
	v_fma_f64 v[99:100], v[99:100], v[101:102], v[99:100]
	v_fma_f64 v[101:102], -v[97:98], v[99:100], 1.0
	v_fma_f64 v[99:100], v[99:100], v[101:102], v[99:100]
	v_mul_f64 v[101:102], v[103:104], v[99:100]
	v_fma_f64 v[97:98], -v[97:98], v[101:102], v[103:104]
	v_div_fmas_f64 v[97:98], v[97:98], v[99:100], v[101:102]
	v_div_fixup_f64 v[117:118], v[97:98], v[92:93], 1.0
	v_mul_f64 v[119:120], v[90:91], -v[117:118]
.LBB106_1038:
	s_or_b64 exec, exec, s[18:19]
.LBB106_1039:
	s_or_b64 exec, exec, s[0:1]
	v_cmp_ne_u32_e32 vcc, v96, v89
	s_and_saveexec_b64 s[0:1], vcc
	s_xor_b64 s[0:1], exec, s[0:1]
	s_cbranch_execz .LBB106_1045
; %bb.1040:
	v_cmp_eq_u32_e32 vcc, 49, v96
	s_and_saveexec_b64 s[18:19], vcc
	s_cbranch_execz .LBB106_1044
; %bb.1041:
	v_cmp_ne_u32_e32 vcc, 49, v89
	s_xor_b64 s[20:21], s[6:7], -1
	s_and_b64 s[22:23], s[20:21], vcc
	s_and_saveexec_b64 s[20:21], s[22:23]
	s_cbranch_execz .LBB106_1043
; %bb.1042:
	buffer_load_dword v81, off, s[24:27], 0 offset:436 ; 4-byte Folded Reload
	buffer_load_dword v82, off, s[24:27], 0 offset:440 ; 4-byte Folded Reload
	v_ashrrev_i32_e32 v90, 31, v89
	v_lshlrev_b64 v[90:91], 2, v[89:90]
	s_waitcnt vmcnt(1)
	v_add_co_u32_e32 v90, vcc, v81, v90
	s_waitcnt vmcnt(0)
	v_addc_co_u32_e32 v91, vcc, v82, v91, vcc
	global_load_dword v92, v[90:91], off
	global_load_dword v93, v[81:82], off offset:196
	s_waitcnt vmcnt(1)
	global_store_dword v[81:82], v92, off offset:196
	v_mov_b32_e32 v81, v105
	v_mov_b32_e32 v82, v106
	;; [unrolled: 1-line block ×4, first 2 shown]
	s_waitcnt vmcnt(1)
	global_store_dword v[90:91], v93, off
.LBB106_1043:
	s_or_b64 exec, exec, s[20:21]
	v_mov_b32_e32 v96, v89
	v_mov_b32_e32 v53, v89
	buffer_store_dword v53, off, s[24:27], 0 offset:352 ; 4-byte Folded Spill
.LBB106_1044:
	s_or_b64 exec, exec, s[18:19]
.LBB106_1045:
	s_andn2_saveexec_b64 s[0:1], s[0:1]
	s_cbranch_execz .LBB106_1047
; %bb.1046:
	v_mov_b32_e32 v96, 49
	ds_write2_b64 v0, v[9:10], v[11:12] offset0:100 offset1:101
	ds_write2_b64 v0, v[5:6], v[7:8] offset0:102 offset1:103
	;; [unrolled: 1-line block ×4, first 2 shown]
.LBB106_1047:
	s_or_b64 exec, exec, s[0:1]
	v_cmp_lt_i32_e32 vcc, 49, v96
	s_waitcnt vmcnt(0) lgkmcnt(0)
	s_barrier
	s_and_saveexec_b64 s[0:1], vcc
	s_cbranch_execz .LBB106_1049
; %bb.1048:
	v_mul_f64 v[89:90], v[117:118], v[15:16]
	v_mul_f64 v[15:16], v[119:120], v[15:16]
	v_fma_f64 v[93:94], v[119:120], v[13:14], v[89:90]
	ds_read2_b64 v[89:92], v0 offset0:100 offset1:101
	v_fma_f64 v[13:14], v[117:118], v[13:14], -v[15:16]
	s_waitcnt lgkmcnt(0)
	v_mul_f64 v[15:16], v[91:92], v[93:94]
	v_fma_f64 v[15:16], v[89:90], v[13:14], -v[15:16]
	v_mul_f64 v[89:90], v[89:90], v[93:94]
	v_add_f64 v[9:10], v[9:10], -v[15:16]
	v_fma_f64 v[89:90], v[91:92], v[13:14], v[89:90]
	v_add_f64 v[11:12], v[11:12], -v[89:90]
	ds_read2_b64 v[89:92], v0 offset0:102 offset1:103
	s_waitcnt lgkmcnt(0)
	v_mul_f64 v[15:16], v[91:92], v[93:94]
	v_fma_f64 v[15:16], v[89:90], v[13:14], -v[15:16]
	v_mul_f64 v[89:90], v[89:90], v[93:94]
	v_add_f64 v[5:6], v[5:6], -v[15:16]
	v_fma_f64 v[89:90], v[91:92], v[13:14], v[89:90]
	v_add_f64 v[7:8], v[7:8], -v[89:90]
	ds_read2_b64 v[89:92], v0 offset0:104 offset1:105
	;; [unrolled: 8-line block ×3, first 2 shown]
	s_waitcnt lgkmcnt(0)
	v_mul_f64 v[15:16], v[91:92], v[93:94]
	v_fma_f64 v[15:16], v[89:90], v[13:14], -v[15:16]
	v_mul_f64 v[89:90], v[89:90], v[93:94]
	v_add_f64 v[121:122], v[121:122], -v[15:16]
	v_fma_f64 v[89:90], v[91:92], v[13:14], v[89:90]
	v_mov_b32_e32 v15, v93
	v_mov_b32_e32 v16, v94
	v_add_f64 v[123:124], v[123:124], -v[89:90]
.LBB106_1049:
	s_or_b64 exec, exec, s[0:1]
	v_lshl_add_u32 v89, v96, 4, v0
	s_barrier
	ds_write2_b64 v89, v[9:10], v[11:12] offset1:1
	s_waitcnt lgkmcnt(0)
	s_barrier
	ds_read2_b64 v[117:120], v0 offset0:100 offset1:101
	s_cmp_lt_i32 s3, 52
	v_mov_b32_e32 v89, 50
	s_cbranch_scc1 .LBB106_1052
; %bb.1050:
	v_add_u32_e32 v90, 0x330, v0
	s_mov_b32 s0, 51
	v_mov_b32_e32 v89, 50
.LBB106_1051:                           ; =>This Inner Loop Header: Depth=1
	s_waitcnt lgkmcnt(0)
	v_cmp_gt_f64_e32 vcc, 0, v[117:118]
	v_xor_b32_e32 v97, 0x80000000, v118
	ds_read2_b64 v[91:94], v90 offset1:1
	v_xor_b32_e32 v99, 0x80000000, v120
	v_add_u32_e32 v90, 16, v90
	s_waitcnt lgkmcnt(0)
	v_xor_b32_e32 v101, 0x80000000, v94
	v_cndmask_b32_e32 v98, v118, v97, vcc
	v_cmp_gt_f64_e32 vcc, 0, v[119:120]
	v_mov_b32_e32 v97, v117
	v_cndmask_b32_e32 v100, v120, v99, vcc
	v_cmp_gt_f64_e32 vcc, 0, v[91:92]
	v_mov_b32_e32 v99, v119
	v_add_f64 v[97:98], v[97:98], v[99:100]
	v_xor_b32_e32 v99, 0x80000000, v92
	v_cndmask_b32_e32 v100, v92, v99, vcc
	v_cmp_gt_f64_e32 vcc, 0, v[93:94]
	v_mov_b32_e32 v99, v91
	v_cndmask_b32_e32 v102, v94, v101, vcc
	v_mov_b32_e32 v101, v93
	v_add_f64 v[99:100], v[99:100], v[101:102]
	v_cmp_lt_f64_e32 vcc, v[97:98], v[99:100]
	v_cndmask_b32_e32 v117, v117, v91, vcc
	v_mov_b32_e32 v91, s0
	s_add_i32 s0, s0, 1
	v_cndmask_b32_e32 v118, v118, v92, vcc
	v_cndmask_b32_e32 v120, v120, v94, vcc
	;; [unrolled: 1-line block ×4, first 2 shown]
	s_cmp_lg_u32 s3, s0
	s_cbranch_scc1 .LBB106_1051
.LBB106_1052:
	s_waitcnt lgkmcnt(0)
	v_cmp_eq_f64_e32 vcc, 0, v[117:118]
	v_cmp_eq_f64_e64 s[0:1], 0, v[119:120]
	s_and_b64 s[0:1], vcc, s[0:1]
	s_and_saveexec_b64 s[18:19], s[0:1]
	s_xor_b64 s[0:1], exec, s[18:19]
; %bb.1053:
	v_cmp_ne_u32_e32 vcc, 0, v95
	v_cndmask_b32_e32 v95, 51, v95, vcc
; %bb.1054:
	s_andn2_saveexec_b64 s[0:1], s[0:1]
	s_cbranch_execz .LBB106_1060
; %bb.1055:
	v_cmp_ngt_f64_e64 s[18:19], |v[117:118]|, |v[119:120]|
	s_and_saveexec_b64 s[20:21], s[18:19]
	s_xor_b64 s[18:19], exec, s[20:21]
	s_cbranch_execz .LBB106_1057
; %bb.1056:
	v_div_scale_f64 v[90:91], s[20:21], v[119:120], v[119:120], v[117:118]
	v_rcp_f64_e32 v[92:93], v[90:91]
	v_fma_f64 v[97:98], -v[90:91], v[92:93], 1.0
	v_fma_f64 v[92:93], v[92:93], v[97:98], v[92:93]
	v_div_scale_f64 v[97:98], vcc, v[117:118], v[119:120], v[117:118]
	v_fma_f64 v[99:100], -v[90:91], v[92:93], 1.0
	v_fma_f64 v[92:93], v[92:93], v[99:100], v[92:93]
	v_mul_f64 v[99:100], v[97:98], v[92:93]
	v_fma_f64 v[90:91], -v[90:91], v[99:100], v[97:98]
	v_div_fmas_f64 v[90:91], v[90:91], v[92:93], v[99:100]
	v_div_fixup_f64 v[90:91], v[90:91], v[119:120], v[117:118]
	v_fma_f64 v[92:93], v[117:118], v[90:91], v[119:120]
	v_div_scale_f64 v[97:98], s[20:21], v[92:93], v[92:93], 1.0
	v_div_scale_f64 v[103:104], vcc, 1.0, v[92:93], 1.0
	v_rcp_f64_e32 v[99:100], v[97:98]
	v_fma_f64 v[101:102], -v[97:98], v[99:100], 1.0
	v_fma_f64 v[99:100], v[99:100], v[101:102], v[99:100]
	v_fma_f64 v[101:102], -v[97:98], v[99:100], 1.0
	v_fma_f64 v[99:100], v[99:100], v[101:102], v[99:100]
	v_mul_f64 v[101:102], v[103:104], v[99:100]
	v_fma_f64 v[97:98], -v[97:98], v[101:102], v[103:104]
	v_div_fmas_f64 v[97:98], v[97:98], v[99:100], v[101:102]
	v_div_fixup_f64 v[119:120], v[97:98], v[92:93], 1.0
	v_mul_f64 v[117:118], v[90:91], v[119:120]
	v_xor_b32_e32 v120, 0x80000000, v120
.LBB106_1057:
	s_andn2_saveexec_b64 s[18:19], s[18:19]
	s_cbranch_execz .LBB106_1059
; %bb.1058:
	v_div_scale_f64 v[90:91], s[20:21], v[117:118], v[117:118], v[119:120]
	v_rcp_f64_e32 v[92:93], v[90:91]
	v_fma_f64 v[97:98], -v[90:91], v[92:93], 1.0
	v_fma_f64 v[92:93], v[92:93], v[97:98], v[92:93]
	v_div_scale_f64 v[97:98], vcc, v[119:120], v[117:118], v[119:120]
	v_fma_f64 v[99:100], -v[90:91], v[92:93], 1.0
	v_fma_f64 v[92:93], v[92:93], v[99:100], v[92:93]
	v_mul_f64 v[99:100], v[97:98], v[92:93]
	v_fma_f64 v[90:91], -v[90:91], v[99:100], v[97:98]
	v_div_fmas_f64 v[90:91], v[90:91], v[92:93], v[99:100]
	v_div_fixup_f64 v[90:91], v[90:91], v[117:118], v[119:120]
	v_fma_f64 v[92:93], v[119:120], v[90:91], v[117:118]
	v_div_scale_f64 v[97:98], s[20:21], v[92:93], v[92:93], 1.0
	v_div_scale_f64 v[103:104], vcc, 1.0, v[92:93], 1.0
	v_rcp_f64_e32 v[99:100], v[97:98]
	v_fma_f64 v[101:102], -v[97:98], v[99:100], 1.0
	v_fma_f64 v[99:100], v[99:100], v[101:102], v[99:100]
	v_fma_f64 v[101:102], -v[97:98], v[99:100], 1.0
	v_fma_f64 v[99:100], v[99:100], v[101:102], v[99:100]
	v_mul_f64 v[101:102], v[103:104], v[99:100]
	v_fma_f64 v[97:98], -v[97:98], v[101:102], v[103:104]
	v_div_fmas_f64 v[97:98], v[97:98], v[99:100], v[101:102]
	v_div_fixup_f64 v[117:118], v[97:98], v[92:93], 1.0
	v_mul_f64 v[119:120], v[90:91], -v[117:118]
.LBB106_1059:
	s_or_b64 exec, exec, s[18:19]
.LBB106_1060:
	s_or_b64 exec, exec, s[0:1]
	v_cmp_ne_u32_e32 vcc, v96, v89
	s_and_saveexec_b64 s[0:1], vcc
	s_xor_b64 s[0:1], exec, s[0:1]
	s_cbranch_execz .LBB106_1066
; %bb.1061:
	v_cmp_eq_u32_e32 vcc, 50, v96
	s_and_saveexec_b64 s[18:19], vcc
	s_cbranch_execz .LBB106_1065
; %bb.1062:
	v_cmp_ne_u32_e32 vcc, 50, v89
	s_xor_b64 s[20:21], s[6:7], -1
	s_and_b64 s[22:23], s[20:21], vcc
	s_and_saveexec_b64 s[20:21], s[22:23]
	s_cbranch_execz .LBB106_1064
; %bb.1063:
	buffer_load_dword v81, off, s[24:27], 0 offset:436 ; 4-byte Folded Reload
	buffer_load_dword v82, off, s[24:27], 0 offset:440 ; 4-byte Folded Reload
	v_ashrrev_i32_e32 v90, 31, v89
	v_lshlrev_b64 v[90:91], 2, v[89:90]
	s_waitcnt vmcnt(1)
	v_add_co_u32_e32 v90, vcc, v81, v90
	s_waitcnt vmcnt(0)
	v_addc_co_u32_e32 v91, vcc, v82, v91, vcc
	global_load_dword v92, v[90:91], off
	global_load_dword v93, v[81:82], off offset:200
	s_waitcnt vmcnt(1)
	global_store_dword v[81:82], v92, off offset:200
	v_mov_b32_e32 v81, v105
	v_mov_b32_e32 v82, v106
	;; [unrolled: 1-line block ×4, first 2 shown]
	s_waitcnt vmcnt(1)
	global_store_dword v[90:91], v93, off
.LBB106_1064:
	s_or_b64 exec, exec, s[20:21]
	v_mov_b32_e32 v96, v89
	v_mov_b32_e32 v53, v89
	buffer_store_dword v53, off, s[24:27], 0 offset:352 ; 4-byte Folded Spill
.LBB106_1065:
	s_or_b64 exec, exec, s[18:19]
.LBB106_1066:
	s_andn2_saveexec_b64 s[0:1], s[0:1]
	s_cbranch_execz .LBB106_1068
; %bb.1067:
	v_mov_b32_e32 v96, 50
	ds_write2_b64 v0, v[5:6], v[7:8] offset0:102 offset1:103
	ds_write2_b64 v0, v[1:2], v[3:4] offset0:104 offset1:105
	;; [unrolled: 1-line block ×3, first 2 shown]
.LBB106_1068:
	s_or_b64 exec, exec, s[0:1]
	v_cmp_lt_i32_e32 vcc, 50, v96
	s_waitcnt vmcnt(0) lgkmcnt(0)
	s_barrier
	s_and_saveexec_b64 s[0:1], vcc
	s_cbranch_execz .LBB106_1070
; %bb.1069:
	v_mul_f64 v[89:90], v[117:118], v[11:12]
	v_mul_f64 v[11:12], v[119:120], v[11:12]
	v_fma_f64 v[93:94], v[119:120], v[9:10], v[89:90]
	ds_read2_b64 v[89:92], v0 offset0:102 offset1:103
	v_fma_f64 v[9:10], v[117:118], v[9:10], -v[11:12]
	s_waitcnt lgkmcnt(0)
	v_mul_f64 v[11:12], v[91:92], v[93:94]
	v_fma_f64 v[11:12], v[89:90], v[9:10], -v[11:12]
	v_mul_f64 v[89:90], v[89:90], v[93:94]
	v_add_f64 v[5:6], v[5:6], -v[11:12]
	v_fma_f64 v[89:90], v[91:92], v[9:10], v[89:90]
	v_add_f64 v[7:8], v[7:8], -v[89:90]
	ds_read2_b64 v[89:92], v0 offset0:104 offset1:105
	s_waitcnt lgkmcnt(0)
	v_mul_f64 v[11:12], v[91:92], v[93:94]
	v_fma_f64 v[11:12], v[89:90], v[9:10], -v[11:12]
	v_mul_f64 v[89:90], v[89:90], v[93:94]
	v_add_f64 v[1:2], v[1:2], -v[11:12]
	v_fma_f64 v[89:90], v[91:92], v[9:10], v[89:90]
	v_add_f64 v[3:4], v[3:4], -v[89:90]
	ds_read2_b64 v[89:92], v0 offset0:106 offset1:107
	s_waitcnt lgkmcnt(0)
	v_mul_f64 v[11:12], v[91:92], v[93:94]
	v_fma_f64 v[11:12], v[89:90], v[9:10], -v[11:12]
	v_mul_f64 v[89:90], v[89:90], v[93:94]
	v_add_f64 v[121:122], v[121:122], -v[11:12]
	v_fma_f64 v[89:90], v[91:92], v[9:10], v[89:90]
	v_mov_b32_e32 v11, v93
	v_mov_b32_e32 v12, v94
	v_add_f64 v[123:124], v[123:124], -v[89:90]
.LBB106_1070:
	s_or_b64 exec, exec, s[0:1]
	v_lshl_add_u32 v89, v96, 4, v0
	s_barrier
	ds_write2_b64 v89, v[5:6], v[7:8] offset1:1
	s_waitcnt lgkmcnt(0)
	s_barrier
	ds_read2_b64 v[117:120], v0 offset0:102 offset1:103
	s_cmp_lt_i32 s3, 53
	v_mov_b32_e32 v89, 51
	s_cbranch_scc1 .LBB106_1073
; %bb.1071:
	v_add_u32_e32 v90, 0x340, v0
	s_mov_b32 s0, 52
	v_mov_b32_e32 v89, 51
.LBB106_1072:                           ; =>This Inner Loop Header: Depth=1
	s_waitcnt lgkmcnt(0)
	v_cmp_gt_f64_e32 vcc, 0, v[117:118]
	v_xor_b32_e32 v97, 0x80000000, v118
	ds_read2_b64 v[91:94], v90 offset1:1
	v_xor_b32_e32 v99, 0x80000000, v120
	v_add_u32_e32 v90, 16, v90
	s_waitcnt lgkmcnt(0)
	v_xor_b32_e32 v101, 0x80000000, v94
	v_cndmask_b32_e32 v98, v118, v97, vcc
	v_cmp_gt_f64_e32 vcc, 0, v[119:120]
	v_mov_b32_e32 v97, v117
	v_cndmask_b32_e32 v100, v120, v99, vcc
	v_cmp_gt_f64_e32 vcc, 0, v[91:92]
	v_mov_b32_e32 v99, v119
	v_add_f64 v[97:98], v[97:98], v[99:100]
	v_xor_b32_e32 v99, 0x80000000, v92
	v_cndmask_b32_e32 v100, v92, v99, vcc
	v_cmp_gt_f64_e32 vcc, 0, v[93:94]
	v_mov_b32_e32 v99, v91
	v_cndmask_b32_e32 v102, v94, v101, vcc
	v_mov_b32_e32 v101, v93
	v_add_f64 v[99:100], v[99:100], v[101:102]
	v_cmp_lt_f64_e32 vcc, v[97:98], v[99:100]
	v_cndmask_b32_e32 v117, v117, v91, vcc
	v_mov_b32_e32 v91, s0
	s_add_i32 s0, s0, 1
	v_cndmask_b32_e32 v118, v118, v92, vcc
	v_cndmask_b32_e32 v120, v120, v94, vcc
	;; [unrolled: 1-line block ×4, first 2 shown]
	s_cmp_lg_u32 s3, s0
	s_cbranch_scc1 .LBB106_1072
.LBB106_1073:
	s_waitcnt lgkmcnt(0)
	v_cmp_eq_f64_e32 vcc, 0, v[117:118]
	v_cmp_eq_f64_e64 s[0:1], 0, v[119:120]
	s_and_b64 s[0:1], vcc, s[0:1]
	s_and_saveexec_b64 s[18:19], s[0:1]
	s_xor_b64 s[0:1], exec, s[18:19]
; %bb.1074:
	v_cmp_ne_u32_e32 vcc, 0, v95
	v_cndmask_b32_e32 v95, 52, v95, vcc
; %bb.1075:
	s_andn2_saveexec_b64 s[0:1], s[0:1]
	s_cbranch_execz .LBB106_1081
; %bb.1076:
	v_cmp_ngt_f64_e64 s[18:19], |v[117:118]|, |v[119:120]|
	s_and_saveexec_b64 s[20:21], s[18:19]
	s_xor_b64 s[18:19], exec, s[20:21]
	s_cbranch_execz .LBB106_1078
; %bb.1077:
	v_div_scale_f64 v[90:91], s[20:21], v[119:120], v[119:120], v[117:118]
	v_rcp_f64_e32 v[92:93], v[90:91]
	v_fma_f64 v[97:98], -v[90:91], v[92:93], 1.0
	v_fma_f64 v[92:93], v[92:93], v[97:98], v[92:93]
	v_div_scale_f64 v[97:98], vcc, v[117:118], v[119:120], v[117:118]
	v_fma_f64 v[99:100], -v[90:91], v[92:93], 1.0
	v_fma_f64 v[92:93], v[92:93], v[99:100], v[92:93]
	v_mul_f64 v[99:100], v[97:98], v[92:93]
	v_fma_f64 v[90:91], -v[90:91], v[99:100], v[97:98]
	v_div_fmas_f64 v[90:91], v[90:91], v[92:93], v[99:100]
	v_div_fixup_f64 v[90:91], v[90:91], v[119:120], v[117:118]
	v_fma_f64 v[92:93], v[117:118], v[90:91], v[119:120]
	v_div_scale_f64 v[97:98], s[20:21], v[92:93], v[92:93], 1.0
	v_div_scale_f64 v[103:104], vcc, 1.0, v[92:93], 1.0
	v_rcp_f64_e32 v[99:100], v[97:98]
	v_fma_f64 v[101:102], -v[97:98], v[99:100], 1.0
	v_fma_f64 v[99:100], v[99:100], v[101:102], v[99:100]
	v_fma_f64 v[101:102], -v[97:98], v[99:100], 1.0
	v_fma_f64 v[99:100], v[99:100], v[101:102], v[99:100]
	v_mul_f64 v[101:102], v[103:104], v[99:100]
	v_fma_f64 v[97:98], -v[97:98], v[101:102], v[103:104]
	v_div_fmas_f64 v[97:98], v[97:98], v[99:100], v[101:102]
	v_div_fixup_f64 v[119:120], v[97:98], v[92:93], 1.0
	v_mul_f64 v[117:118], v[90:91], v[119:120]
	v_xor_b32_e32 v120, 0x80000000, v120
.LBB106_1078:
	s_andn2_saveexec_b64 s[18:19], s[18:19]
	s_cbranch_execz .LBB106_1080
; %bb.1079:
	v_div_scale_f64 v[90:91], s[20:21], v[117:118], v[117:118], v[119:120]
	v_rcp_f64_e32 v[92:93], v[90:91]
	v_fma_f64 v[97:98], -v[90:91], v[92:93], 1.0
	v_fma_f64 v[92:93], v[92:93], v[97:98], v[92:93]
	v_div_scale_f64 v[97:98], vcc, v[119:120], v[117:118], v[119:120]
	v_fma_f64 v[99:100], -v[90:91], v[92:93], 1.0
	v_fma_f64 v[92:93], v[92:93], v[99:100], v[92:93]
	v_mul_f64 v[99:100], v[97:98], v[92:93]
	v_fma_f64 v[90:91], -v[90:91], v[99:100], v[97:98]
	v_div_fmas_f64 v[90:91], v[90:91], v[92:93], v[99:100]
	v_div_fixup_f64 v[90:91], v[90:91], v[117:118], v[119:120]
	v_fma_f64 v[92:93], v[119:120], v[90:91], v[117:118]
	v_div_scale_f64 v[97:98], s[20:21], v[92:93], v[92:93], 1.0
	v_div_scale_f64 v[103:104], vcc, 1.0, v[92:93], 1.0
	v_rcp_f64_e32 v[99:100], v[97:98]
	v_fma_f64 v[101:102], -v[97:98], v[99:100], 1.0
	v_fma_f64 v[99:100], v[99:100], v[101:102], v[99:100]
	v_fma_f64 v[101:102], -v[97:98], v[99:100], 1.0
	v_fma_f64 v[99:100], v[99:100], v[101:102], v[99:100]
	v_mul_f64 v[101:102], v[103:104], v[99:100]
	v_fma_f64 v[97:98], -v[97:98], v[101:102], v[103:104]
	v_div_fmas_f64 v[97:98], v[97:98], v[99:100], v[101:102]
	v_div_fixup_f64 v[117:118], v[97:98], v[92:93], 1.0
	v_mul_f64 v[119:120], v[90:91], -v[117:118]
.LBB106_1080:
	s_or_b64 exec, exec, s[18:19]
.LBB106_1081:
	s_or_b64 exec, exec, s[0:1]
	v_cmp_ne_u32_e32 vcc, v96, v89
	s_and_saveexec_b64 s[0:1], vcc
	s_xor_b64 s[0:1], exec, s[0:1]
	s_cbranch_execz .LBB106_1087
; %bb.1082:
	v_cmp_eq_u32_e32 vcc, 51, v96
	s_and_saveexec_b64 s[18:19], vcc
	s_cbranch_execz .LBB106_1086
; %bb.1083:
	v_cmp_ne_u32_e32 vcc, 51, v89
	s_xor_b64 s[20:21], s[6:7], -1
	s_and_b64 s[22:23], s[20:21], vcc
	s_and_saveexec_b64 s[20:21], s[22:23]
	s_cbranch_execz .LBB106_1085
; %bb.1084:
	buffer_load_dword v81, off, s[24:27], 0 offset:436 ; 4-byte Folded Reload
	buffer_load_dword v82, off, s[24:27], 0 offset:440 ; 4-byte Folded Reload
	v_ashrrev_i32_e32 v90, 31, v89
	v_lshlrev_b64 v[90:91], 2, v[89:90]
	s_waitcnt vmcnt(1)
	v_add_co_u32_e32 v90, vcc, v81, v90
	s_waitcnt vmcnt(0)
	v_addc_co_u32_e32 v91, vcc, v82, v91, vcc
	global_load_dword v92, v[90:91], off
	global_load_dword v93, v[81:82], off offset:204
	s_waitcnt vmcnt(1)
	global_store_dword v[81:82], v92, off offset:204
	v_mov_b32_e32 v81, v105
	v_mov_b32_e32 v82, v106
	;; [unrolled: 1-line block ×4, first 2 shown]
	s_waitcnt vmcnt(1)
	global_store_dword v[90:91], v93, off
.LBB106_1085:
	s_or_b64 exec, exec, s[20:21]
	v_mov_b32_e32 v96, v89
	v_mov_b32_e32 v53, v89
	buffer_store_dword v53, off, s[24:27], 0 offset:352 ; 4-byte Folded Spill
.LBB106_1086:
	s_or_b64 exec, exec, s[18:19]
.LBB106_1087:
	s_andn2_saveexec_b64 s[0:1], s[0:1]
	s_cbranch_execz .LBB106_1089
; %bb.1088:
	v_mov_b32_e32 v96, 51
	ds_write2_b64 v0, v[1:2], v[3:4] offset0:104 offset1:105
	ds_write2_b64 v0, v[121:122], v[123:124] offset0:106 offset1:107
.LBB106_1089:
	s_or_b64 exec, exec, s[0:1]
	v_cmp_lt_i32_e32 vcc, 51, v96
	s_waitcnt vmcnt(0) lgkmcnt(0)
	s_barrier
	s_and_saveexec_b64 s[0:1], vcc
	s_cbranch_execz .LBB106_1091
; %bb.1090:
	v_mul_f64 v[89:90], v[117:118], v[7:8]
	v_mul_f64 v[7:8], v[119:120], v[7:8]
	v_fma_f64 v[93:94], v[119:120], v[5:6], v[89:90]
	ds_read2_b64 v[89:92], v0 offset0:104 offset1:105
	v_fma_f64 v[5:6], v[117:118], v[5:6], -v[7:8]
	s_waitcnt lgkmcnt(0)
	v_mul_f64 v[7:8], v[91:92], v[93:94]
	v_fma_f64 v[7:8], v[89:90], v[5:6], -v[7:8]
	v_mul_f64 v[89:90], v[89:90], v[93:94]
	v_add_f64 v[1:2], v[1:2], -v[7:8]
	v_fma_f64 v[89:90], v[91:92], v[5:6], v[89:90]
	v_add_f64 v[3:4], v[3:4], -v[89:90]
	ds_read2_b64 v[89:92], v0 offset0:106 offset1:107
	s_waitcnt lgkmcnt(0)
	v_mul_f64 v[7:8], v[91:92], v[93:94]
	v_fma_f64 v[7:8], v[89:90], v[5:6], -v[7:8]
	v_mul_f64 v[89:90], v[89:90], v[93:94]
	v_add_f64 v[121:122], v[121:122], -v[7:8]
	v_fma_f64 v[89:90], v[91:92], v[5:6], v[89:90]
	v_mov_b32_e32 v7, v93
	v_mov_b32_e32 v8, v94
	v_add_f64 v[123:124], v[123:124], -v[89:90]
.LBB106_1091:
	s_or_b64 exec, exec, s[0:1]
	v_lshl_add_u32 v89, v96, 4, v0
	s_barrier
	ds_write2_b64 v89, v[1:2], v[3:4] offset1:1
	s_waitcnt lgkmcnt(0)
	s_barrier
	ds_read2_b64 v[117:120], v0 offset0:104 offset1:105
	s_cmp_lt_i32 s3, 54
	v_mov_b32_e32 v89, 52
	s_cbranch_scc1 .LBB106_1094
; %bb.1092:
	v_add_u32_e32 v90, 0x350, v0
	s_mov_b32 s0, 53
	v_mov_b32_e32 v89, 52
.LBB106_1093:                           ; =>This Inner Loop Header: Depth=1
	s_waitcnt lgkmcnt(0)
	v_cmp_gt_f64_e32 vcc, 0, v[117:118]
	v_xor_b32_e32 v97, 0x80000000, v118
	ds_read2_b64 v[91:94], v90 offset1:1
	v_xor_b32_e32 v99, 0x80000000, v120
	v_add_u32_e32 v90, 16, v90
	s_waitcnt lgkmcnt(0)
	v_xor_b32_e32 v101, 0x80000000, v94
	v_cndmask_b32_e32 v98, v118, v97, vcc
	v_cmp_gt_f64_e32 vcc, 0, v[119:120]
	v_mov_b32_e32 v97, v117
	v_cndmask_b32_e32 v100, v120, v99, vcc
	v_cmp_gt_f64_e32 vcc, 0, v[91:92]
	v_mov_b32_e32 v99, v119
	v_add_f64 v[97:98], v[97:98], v[99:100]
	v_xor_b32_e32 v99, 0x80000000, v92
	v_cndmask_b32_e32 v100, v92, v99, vcc
	v_cmp_gt_f64_e32 vcc, 0, v[93:94]
	v_mov_b32_e32 v99, v91
	v_cndmask_b32_e32 v102, v94, v101, vcc
	v_mov_b32_e32 v101, v93
	v_add_f64 v[99:100], v[99:100], v[101:102]
	v_cmp_lt_f64_e32 vcc, v[97:98], v[99:100]
	v_cndmask_b32_e32 v117, v117, v91, vcc
	v_mov_b32_e32 v91, s0
	s_add_i32 s0, s0, 1
	v_cndmask_b32_e32 v118, v118, v92, vcc
	v_cndmask_b32_e32 v120, v120, v94, vcc
	v_cndmask_b32_e32 v119, v119, v93, vcc
	v_cndmask_b32_e32 v89, v89, v91, vcc
	s_cmp_lg_u32 s3, s0
	s_cbranch_scc1 .LBB106_1093
.LBB106_1094:
	s_waitcnt lgkmcnt(0)
	v_cmp_eq_f64_e32 vcc, 0, v[117:118]
	v_cmp_eq_f64_e64 s[0:1], 0, v[119:120]
	s_and_b64 s[0:1], vcc, s[0:1]
	s_and_saveexec_b64 s[18:19], s[0:1]
	s_xor_b64 s[0:1], exec, s[18:19]
; %bb.1095:
	v_cmp_ne_u32_e32 vcc, 0, v95
	v_cndmask_b32_e32 v95, 53, v95, vcc
; %bb.1096:
	s_andn2_saveexec_b64 s[0:1], s[0:1]
	s_cbranch_execz .LBB106_1102
; %bb.1097:
	v_cmp_ngt_f64_e64 s[18:19], |v[117:118]|, |v[119:120]|
	s_and_saveexec_b64 s[20:21], s[18:19]
	s_xor_b64 s[18:19], exec, s[20:21]
	s_cbranch_execz .LBB106_1099
; %bb.1098:
	v_div_scale_f64 v[90:91], s[20:21], v[119:120], v[119:120], v[117:118]
	v_rcp_f64_e32 v[92:93], v[90:91]
	v_fma_f64 v[97:98], -v[90:91], v[92:93], 1.0
	v_fma_f64 v[92:93], v[92:93], v[97:98], v[92:93]
	v_div_scale_f64 v[97:98], vcc, v[117:118], v[119:120], v[117:118]
	v_fma_f64 v[99:100], -v[90:91], v[92:93], 1.0
	v_fma_f64 v[92:93], v[92:93], v[99:100], v[92:93]
	v_mul_f64 v[99:100], v[97:98], v[92:93]
	v_fma_f64 v[90:91], -v[90:91], v[99:100], v[97:98]
	v_div_fmas_f64 v[90:91], v[90:91], v[92:93], v[99:100]
	v_div_fixup_f64 v[90:91], v[90:91], v[119:120], v[117:118]
	v_fma_f64 v[92:93], v[117:118], v[90:91], v[119:120]
	v_div_scale_f64 v[97:98], s[20:21], v[92:93], v[92:93], 1.0
	v_div_scale_f64 v[103:104], vcc, 1.0, v[92:93], 1.0
	v_rcp_f64_e32 v[99:100], v[97:98]
	v_fma_f64 v[101:102], -v[97:98], v[99:100], 1.0
	v_fma_f64 v[99:100], v[99:100], v[101:102], v[99:100]
	v_fma_f64 v[101:102], -v[97:98], v[99:100], 1.0
	v_fma_f64 v[99:100], v[99:100], v[101:102], v[99:100]
	v_mul_f64 v[101:102], v[103:104], v[99:100]
	v_fma_f64 v[97:98], -v[97:98], v[101:102], v[103:104]
	v_div_fmas_f64 v[97:98], v[97:98], v[99:100], v[101:102]
	v_div_fixup_f64 v[119:120], v[97:98], v[92:93], 1.0
	v_mul_f64 v[117:118], v[90:91], v[119:120]
	v_xor_b32_e32 v120, 0x80000000, v120
.LBB106_1099:
	s_andn2_saveexec_b64 s[18:19], s[18:19]
	s_cbranch_execz .LBB106_1101
; %bb.1100:
	v_div_scale_f64 v[90:91], s[20:21], v[117:118], v[117:118], v[119:120]
	v_rcp_f64_e32 v[92:93], v[90:91]
	v_fma_f64 v[97:98], -v[90:91], v[92:93], 1.0
	v_fma_f64 v[92:93], v[92:93], v[97:98], v[92:93]
	v_div_scale_f64 v[97:98], vcc, v[119:120], v[117:118], v[119:120]
	v_fma_f64 v[99:100], -v[90:91], v[92:93], 1.0
	v_fma_f64 v[92:93], v[92:93], v[99:100], v[92:93]
	v_mul_f64 v[99:100], v[97:98], v[92:93]
	v_fma_f64 v[90:91], -v[90:91], v[99:100], v[97:98]
	v_div_fmas_f64 v[90:91], v[90:91], v[92:93], v[99:100]
	v_div_fixup_f64 v[90:91], v[90:91], v[117:118], v[119:120]
	v_fma_f64 v[92:93], v[119:120], v[90:91], v[117:118]
	v_div_scale_f64 v[97:98], s[20:21], v[92:93], v[92:93], 1.0
	v_div_scale_f64 v[103:104], vcc, 1.0, v[92:93], 1.0
	v_rcp_f64_e32 v[99:100], v[97:98]
	v_fma_f64 v[101:102], -v[97:98], v[99:100], 1.0
	v_fma_f64 v[99:100], v[99:100], v[101:102], v[99:100]
	v_fma_f64 v[101:102], -v[97:98], v[99:100], 1.0
	v_fma_f64 v[99:100], v[99:100], v[101:102], v[99:100]
	v_mul_f64 v[101:102], v[103:104], v[99:100]
	v_fma_f64 v[97:98], -v[97:98], v[101:102], v[103:104]
	v_div_fmas_f64 v[97:98], v[97:98], v[99:100], v[101:102]
	v_div_fixup_f64 v[117:118], v[97:98], v[92:93], 1.0
	v_mul_f64 v[119:120], v[90:91], -v[117:118]
.LBB106_1101:
	s_or_b64 exec, exec, s[18:19]
.LBB106_1102:
	s_or_b64 exec, exec, s[0:1]
	v_cmp_ne_u32_e32 vcc, v96, v89
	s_and_saveexec_b64 s[0:1], vcc
	s_xor_b64 s[0:1], exec, s[0:1]
	s_cbranch_execz .LBB106_1108
; %bb.1103:
	v_cmp_eq_u32_e32 vcc, 52, v96
	s_and_saveexec_b64 s[18:19], vcc
	s_cbranch_execz .LBB106_1107
; %bb.1104:
	v_cmp_ne_u32_e32 vcc, 52, v89
	s_xor_b64 s[20:21], s[6:7], -1
	s_and_b64 s[22:23], s[20:21], vcc
	s_and_saveexec_b64 s[20:21], s[22:23]
	s_cbranch_execz .LBB106_1106
; %bb.1105:
	buffer_load_dword v81, off, s[24:27], 0 offset:436 ; 4-byte Folded Reload
	buffer_load_dword v82, off, s[24:27], 0 offset:440 ; 4-byte Folded Reload
	v_ashrrev_i32_e32 v90, 31, v89
	v_lshlrev_b64 v[90:91], 2, v[89:90]
	s_waitcnt vmcnt(1)
	v_add_co_u32_e32 v90, vcc, v81, v90
	s_waitcnt vmcnt(0)
	v_addc_co_u32_e32 v91, vcc, v82, v91, vcc
	global_load_dword v92, v[90:91], off
	global_load_dword v93, v[81:82], off offset:208
	s_waitcnt vmcnt(1)
	global_store_dword v[81:82], v92, off offset:208
	v_mov_b32_e32 v81, v105
	v_mov_b32_e32 v82, v106
	;; [unrolled: 1-line block ×4, first 2 shown]
	s_waitcnt vmcnt(1)
	global_store_dword v[90:91], v93, off
.LBB106_1106:
	s_or_b64 exec, exec, s[20:21]
	v_mov_b32_e32 v96, v89
	v_mov_b32_e32 v53, v89
	buffer_store_dword v53, off, s[24:27], 0 offset:352 ; 4-byte Folded Spill
.LBB106_1107:
	s_or_b64 exec, exec, s[18:19]
.LBB106_1108:
	s_andn2_saveexec_b64 s[0:1], s[0:1]
; %bb.1109:
	v_mov_b32_e32 v96, 52
	ds_write2_b64 v0, v[121:122], v[123:124] offset0:106 offset1:107
; %bb.1110:
	s_or_b64 exec, exec, s[0:1]
	v_cmp_lt_i32_e32 vcc, 52, v96
	s_waitcnt vmcnt(0) lgkmcnt(0)
	s_barrier
	s_and_saveexec_b64 s[0:1], vcc
	s_cbranch_execz .LBB106_1112
; %bb.1111:
	v_mul_f64 v[89:90], v[117:118], v[3:4]
	v_mul_f64 v[3:4], v[119:120], v[3:4]
	v_fma_f64 v[93:94], v[119:120], v[1:2], v[89:90]
	ds_read2_b64 v[89:92], v0 offset0:106 offset1:107
	v_fma_f64 v[1:2], v[117:118], v[1:2], -v[3:4]
	s_waitcnt lgkmcnt(0)
	v_mul_f64 v[3:4], v[91:92], v[93:94]
	v_fma_f64 v[3:4], v[89:90], v[1:2], -v[3:4]
	v_mul_f64 v[89:90], v[89:90], v[93:94]
	v_add_f64 v[121:122], v[121:122], -v[3:4]
	v_fma_f64 v[89:90], v[91:92], v[1:2], v[89:90]
	v_mov_b32_e32 v3, v93
	v_mov_b32_e32 v4, v94
	v_add_f64 v[123:124], v[123:124], -v[89:90]
.LBB106_1112:
	s_or_b64 exec, exec, s[0:1]
	v_lshl_add_u32 v89, v96, 4, v0
	s_barrier
	ds_write2_b64 v89, v[121:122], v[123:124] offset1:1
	s_waitcnt lgkmcnt(0)
	s_barrier
	ds_read2_b64 v[117:120], v0 offset0:106 offset1:107
	s_cmp_lt_i32 s3, 55
	v_mov_b32_e32 v89, 53
	s_cbranch_scc1 .LBB106_1115
; %bb.1113:
	v_add_u32_e32 v0, 0x360, v0
	s_mov_b32 s0, 54
	v_mov_b32_e32 v89, 53
.LBB106_1114:                           ; =>This Inner Loop Header: Depth=1
	s_waitcnt lgkmcnt(0)
	v_cmp_gt_f64_e32 vcc, 0, v[117:118]
	v_xor_b32_e32 v94, 0x80000000, v118
	ds_read2_b64 v[90:93], v0 offset1:1
	v_mov_b32_e32 v97, v117
	v_mov_b32_e32 v99, v119
	v_add_u32_e32 v0, 16, v0
	s_waitcnt lgkmcnt(0)
	v_mov_b32_e32 v101, v92
	v_cndmask_b32_e32 v98, v118, v94, vcc
	v_cmp_gt_f64_e32 vcc, 0, v[119:120]
	v_xor_b32_e32 v94, 0x80000000, v120
	v_cndmask_b32_e32 v100, v120, v94, vcc
	v_cmp_gt_f64_e32 vcc, 0, v[90:91]
	v_xor_b32_e32 v94, 0x80000000, v91
	v_add_f64 v[97:98], v[97:98], v[99:100]
	v_mov_b32_e32 v99, v90
	v_cndmask_b32_e32 v100, v91, v94, vcc
	v_cmp_gt_f64_e32 vcc, 0, v[92:93]
	v_xor_b32_e32 v94, 0x80000000, v93
	v_cndmask_b32_e32 v102, v93, v94, vcc
	v_add_f64 v[99:100], v[99:100], v[101:102]
	v_cmp_lt_f64_e32 vcc, v[97:98], v[99:100]
	v_cndmask_b32_e32 v117, v117, v90, vcc
	v_mov_b32_e32 v90, s0
	s_add_i32 s0, s0, 1
	v_cndmask_b32_e32 v118, v118, v91, vcc
	v_cndmask_b32_e32 v120, v120, v93, vcc
	v_cndmask_b32_e32 v119, v119, v92, vcc
	v_cndmask_b32_e32 v89, v89, v90, vcc
	s_cmp_lg_u32 s3, s0
	s_cbranch_scc1 .LBB106_1114
.LBB106_1115:
	s_waitcnt lgkmcnt(0)
	v_cmp_eq_f64_e32 vcc, 0, v[117:118]
	v_cmp_eq_f64_e64 s[0:1], 0, v[119:120]
	s_and_b64 s[0:1], vcc, s[0:1]
	s_and_saveexec_b64 s[18:19], s[0:1]
	s_xor_b64 s[0:1], exec, s[18:19]
; %bb.1116:
	v_cmp_ne_u32_e32 vcc, 0, v95
	v_cndmask_b32_e32 v95, 54, v95, vcc
; %bb.1117:
	s_andn2_saveexec_b64 s[0:1], s[0:1]
	s_cbranch_execz .LBB106_1123
; %bb.1118:
	v_cmp_ngt_f64_e64 s[18:19], |v[117:118]|, |v[119:120]|
	s_and_saveexec_b64 s[20:21], s[18:19]
	s_xor_b64 s[18:19], exec, s[20:21]
	s_cbranch_execz .LBB106_1120
; %bb.1119:
	v_div_scale_f64 v[90:91], s[20:21], v[119:120], v[119:120], v[117:118]
	v_rcp_f64_e32 v[92:93], v[90:91]
	v_fma_f64 v[97:98], -v[90:91], v[92:93], 1.0
	v_fma_f64 v[92:93], v[92:93], v[97:98], v[92:93]
	v_div_scale_f64 v[97:98], vcc, v[117:118], v[119:120], v[117:118]
	v_fma_f64 v[99:100], -v[90:91], v[92:93], 1.0
	v_fma_f64 v[92:93], v[92:93], v[99:100], v[92:93]
	v_mul_f64 v[99:100], v[97:98], v[92:93]
	v_fma_f64 v[90:91], -v[90:91], v[99:100], v[97:98]
	v_div_fmas_f64 v[90:91], v[90:91], v[92:93], v[99:100]
	v_div_fixup_f64 v[90:91], v[90:91], v[119:120], v[117:118]
	v_fma_f64 v[92:93], v[117:118], v[90:91], v[119:120]
	v_div_scale_f64 v[97:98], s[20:21], v[92:93], v[92:93], 1.0
	v_div_scale_f64 v[103:104], vcc, 1.0, v[92:93], 1.0
	v_rcp_f64_e32 v[99:100], v[97:98]
	v_fma_f64 v[101:102], -v[97:98], v[99:100], 1.0
	v_fma_f64 v[99:100], v[99:100], v[101:102], v[99:100]
	v_fma_f64 v[101:102], -v[97:98], v[99:100], 1.0
	v_fma_f64 v[99:100], v[99:100], v[101:102], v[99:100]
	v_mul_f64 v[101:102], v[103:104], v[99:100]
	v_fma_f64 v[97:98], -v[97:98], v[101:102], v[103:104]
	v_div_fmas_f64 v[97:98], v[97:98], v[99:100], v[101:102]
	v_div_fixup_f64 v[119:120], v[97:98], v[92:93], 1.0
	v_mul_f64 v[117:118], v[90:91], v[119:120]
	v_xor_b32_e32 v120, 0x80000000, v120
.LBB106_1120:
	s_andn2_saveexec_b64 s[18:19], s[18:19]
	s_cbranch_execz .LBB106_1122
; %bb.1121:
	v_div_scale_f64 v[90:91], s[20:21], v[117:118], v[117:118], v[119:120]
	v_rcp_f64_e32 v[92:93], v[90:91]
	v_fma_f64 v[97:98], -v[90:91], v[92:93], 1.0
	v_fma_f64 v[92:93], v[92:93], v[97:98], v[92:93]
	v_div_scale_f64 v[97:98], vcc, v[119:120], v[117:118], v[119:120]
	v_fma_f64 v[99:100], -v[90:91], v[92:93], 1.0
	v_fma_f64 v[92:93], v[92:93], v[99:100], v[92:93]
	v_mul_f64 v[99:100], v[97:98], v[92:93]
	v_fma_f64 v[90:91], -v[90:91], v[99:100], v[97:98]
	v_div_fmas_f64 v[90:91], v[90:91], v[92:93], v[99:100]
	v_div_fixup_f64 v[90:91], v[90:91], v[117:118], v[119:120]
	v_fma_f64 v[92:93], v[119:120], v[90:91], v[117:118]
	v_div_scale_f64 v[97:98], s[20:21], v[92:93], v[92:93], 1.0
	v_div_scale_f64 v[103:104], vcc, 1.0, v[92:93], 1.0
	v_rcp_f64_e32 v[99:100], v[97:98]
	v_fma_f64 v[101:102], -v[97:98], v[99:100], 1.0
	v_fma_f64 v[99:100], v[99:100], v[101:102], v[99:100]
	v_fma_f64 v[101:102], -v[97:98], v[99:100], 1.0
	v_fma_f64 v[99:100], v[99:100], v[101:102], v[99:100]
	v_mul_f64 v[101:102], v[103:104], v[99:100]
	v_fma_f64 v[97:98], -v[97:98], v[101:102], v[103:104]
	v_div_fmas_f64 v[97:98], v[97:98], v[99:100], v[101:102]
	v_div_fixup_f64 v[117:118], v[97:98], v[92:93], 1.0
	v_mul_f64 v[119:120], v[90:91], -v[117:118]
.LBB106_1122:
	s_or_b64 exec, exec, s[18:19]
.LBB106_1123:
	s_or_b64 exec, exec, s[0:1]
	v_cmp_ne_u32_e32 vcc, v96, v89
	v_mov_b32_e32 v90, 53
	s_and_saveexec_b64 s[0:1], vcc
	s_cbranch_execz .LBB106_1129
; %bb.1124:
	v_cmp_eq_u32_e32 vcc, 53, v96
	s_and_saveexec_b64 s[18:19], vcc
	s_cbranch_execz .LBB106_1128
; %bb.1125:
	v_cmp_ne_u32_e32 vcc, 53, v89
	s_xor_b64 s[6:7], s[6:7], -1
	s_and_b64 s[20:21], s[6:7], vcc
	s_and_saveexec_b64 s[6:7], s[20:21]
	s_cbranch_execz .LBB106_1127
; %bb.1126:
	buffer_load_dword v81, off, s[24:27], 0 offset:436 ; 4-byte Folded Reload
	buffer_load_dword v82, off, s[24:27], 0 offset:440 ; 4-byte Folded Reload
	v_ashrrev_i32_e32 v90, 31, v89
	v_lshlrev_b64 v[90:91], 2, v[89:90]
	s_waitcnt vmcnt(1)
	v_add_co_u32_e32 v90, vcc, v81, v90
	s_waitcnt vmcnt(0)
	v_addc_co_u32_e32 v91, vcc, v82, v91, vcc
	global_load_dword v0, v[90:91], off
	global_load_dword v92, v[81:82], off offset:212
	s_waitcnt vmcnt(1)
	global_store_dword v[81:82], v0, off offset:212
	v_mov_b32_e32 v81, v105
	v_mov_b32_e32 v82, v106
	v_mov_b32_e32 v83, v107
	v_mov_b32_e32 v84, v108
	s_waitcnt vmcnt(1)
	global_store_dword v[90:91], v92, off
.LBB106_1127:
	s_or_b64 exec, exec, s[6:7]
	v_mov_b32_e32 v96, v89
	v_mov_b32_e32 v0, v89
	buffer_store_dword v0, off, s[24:27], 0 offset:352 ; 4-byte Folded Spill
.LBB106_1128:
	s_or_b64 exec, exec, s[18:19]
	v_mov_b32_e32 v90, v96
.LBB106_1129:
	s_or_b64 exec, exec, s[0:1]
	v_cmp_gt_i32_e32 vcc, 54, v90
	v_ashrrev_i32_e32 v91, 31, v90
	s_waitcnt vmcnt(0)
	s_barrier
	s_barrier
	s_and_saveexec_b64 s[0:1], vcc
	s_cbranch_execz .LBB106_1131
; %bb.1130:
	buffer_load_dword v53, off, s[24:27], 0 offset:496 ; 4-byte Folded Reload
	buffer_load_dword v54, off, s[24:27], 0 offset:500 ; 4-byte Folded Reload
	s_waitcnt vmcnt(1)
	v_mul_lo_u32 v0, s15, v53
	s_waitcnt vmcnt(0)
	v_mul_lo_u32 v89, s14, v54
	v_mad_u64_u32 v[92:93], s[6:7], s14, v53, 0
	s_lshl_b64 s[6:7], s[12:13], 2
	v_add3_u32 v93, v93, v89, v0
	v_lshlrev_b64 v[92:93], 2, v[92:93]
	v_mov_b32_e32 v0, s11
	v_add_co_u32_e32 v89, vcc, s10, v92
	v_addc_co_u32_e32 v0, vcc, v0, v93, vcc
	v_mov_b32_e32 v92, s7
	v_add_co_u32_e32 v89, vcc, s6, v89
	v_addc_co_u32_e32 v0, vcc, v0, v92, vcc
	v_lshlrev_b64 v[92:93], 2, v[90:91]
	v_add_co_u32_e32 v92, vcc, v89, v92
	v_addc_co_u32_e32 v93, vcc, v0, v93, vcc
	buffer_load_dword v0, off, s[24:27], 0 offset:352 ; 4-byte Folded Reload
	s_waitcnt vmcnt(0)
	v_add3_u32 v0, v0, s17, 1
	global_store_dword v[92:93], v0, off
.LBB106_1131:
	s_or_b64 exec, exec, s[0:1]
	v_cmp_eq_u32_e32 vcc, 0, v90
	s_and_saveexec_b64 s[6:7], vcc
	s_cbranch_execz .LBB106_1134
; %bb.1132:
	buffer_load_dword v53, off, s[24:27], 0 offset:496 ; 4-byte Folded Reload
	buffer_load_dword v54, off, s[24:27], 0 offset:500 ; 4-byte Folded Reload
	v_mov_b32_e32 v0, s5
	v_cmp_ne_u32_e64 s[0:1], 0, v95
	s_waitcnt vmcnt(0)
	v_lshlrev_b64 v[92:93], 2, v[53:54]
	v_add_co_u32_e32 v92, vcc, s4, v92
	v_addc_co_u32_e32 v93, vcc, v0, v93, vcc
	global_load_dword v0, v[92:93], off
	s_waitcnt vmcnt(0)
	v_cmp_eq_u32_e32 vcc, 0, v0
	s_and_b64 s[0:1], vcc, s[0:1]
	s_and_b64 exec, exec, s[0:1]
	s_cbranch_execz .LBB106_1134
; %bb.1133:
	v_add_u32_e32 v0, s17, v95
	global_store_dword v[92:93], v0, off
.LBB106_1134:
	s_or_b64 exec, exec, s[6:7]
	v_mul_f64 v[94:95], v[119:120], v[123:124]
	v_mul_f64 v[92:93], v[117:118], v[123:124]
	v_cmp_lt_i32_e32 vcc, 53, v90
	v_mov_b32_e32 v0, s9
	v_add_u32_e32 v89, s16, v90
	v_fma_f64 v[94:95], v[117:118], v[121:122], -v[94:95]
	v_fma_f64 v[92:93], v[119:120], v[121:122], v[92:93]
	v_cndmask_b32_e32 v117, v121, v94, vcc
	buffer_load_dword v94, off, s[24:27], 0 offset:504 ; 4-byte Folded Reload
	v_cndmask_b32_e32 v120, v124, v93, vcc
	buffer_load_dword v93, off, s[24:27], 0 offset:492 ; 4-byte Folded Reload
	buffer_load_dword v53, off, s[24:27], 0 offset:476 ; 4-byte Folded Reload
	;; [unrolled: 1-line block ×5, first 2 shown]
	v_cndmask_b32_e32 v119, v123, v92, vcc
	v_lshlrev_b64 v[91:92], 4, v[90:91]
	v_cndmask_b32_e32 v118, v122, v95, vcc
	v_ashrrev_i32_e32 v90, 31, v89
	s_waitcnt vmcnt(5)
	v_add_co_u32_e32 v91, vcc, v94, v91
	s_waitcnt vmcnt(4)
	v_addc_co_u32_e32 v92, vcc, v93, v92, vcc
	s_waitcnt vmcnt(0)
	global_store_dwordx4 v[91:92], v[53:56], off
	buffer_load_dword v53, off, s[24:27], 0 offset:460 ; 4-byte Folded Reload
	s_nop 0
	buffer_load_dword v54, off, s[24:27], 0 offset:464 ; 4-byte Folded Reload
	buffer_load_dword v55, off, s[24:27], 0 offset:468 ; 4-byte Folded Reload
	;; [unrolled: 1-line block ×3, first 2 shown]
	v_add_co_u32_e32 v91, vcc, s8, v91
	v_addc_co_u32_e32 v92, vcc, v92, v0, vcc
	s_waitcnt vmcnt(0)
	global_store_dwordx4 v[91:92], v[53:56], off
	buffer_load_dword v53, off, s[24:27], 0 offset:444 ; 4-byte Folded Reload
	s_nop 0
	buffer_load_dword v54, off, s[24:27], 0 offset:448 ; 4-byte Folded Reload
	buffer_load_dword v55, off, s[24:27], 0 offset:452 ; 4-byte Folded Reload
	;; [unrolled: 1-line block ×3, first 2 shown]
	v_lshlrev_b64 v[90:91], 4, v[89:90]
	v_add_u32_e32 v89, s2, v89
	v_add_co_u32_e32 v90, vcc, v94, v90
	v_addc_co_u32_e32 v91, vcc, v93, v91, vcc
	s_waitcnt vmcnt(0)
	global_store_dwordx4 v[90:91], v[53:56], off
	buffer_load_dword v53, off, s[24:27], 0 offset:420 ; 4-byte Folded Reload
	s_nop 0
	buffer_load_dword v54, off, s[24:27], 0 offset:424 ; 4-byte Folded Reload
	buffer_load_dword v55, off, s[24:27], 0 offset:428 ; 4-byte Folded Reload
	buffer_load_dword v56, off, s[24:27], 0 offset:432 ; 4-byte Folded Reload
	v_ashrrev_i32_e32 v90, 31, v89
	v_lshlrev_b64 v[90:91], 4, v[89:90]
	v_add_u32_e32 v89, s2, v89
	v_add_co_u32_e32 v90, vcc, v94, v90
	v_addc_co_u32_e32 v91, vcc, v93, v91, vcc
	s_waitcnt vmcnt(0)
	global_store_dwordx4 v[90:91], v[53:56], off
	buffer_load_dword v53, off, s[24:27], 0 offset:404 ; 4-byte Folded Reload
	s_nop 0
	buffer_load_dword v54, off, s[24:27], 0 offset:408 ; 4-byte Folded Reload
	buffer_load_dword v55, off, s[24:27], 0 offset:412 ; 4-byte Folded Reload
	buffer_load_dword v56, off, s[24:27], 0 offset:416 ; 4-byte Folded Reload
	v_ashrrev_i32_e32 v90, 31, v89
	;; [unrolled: 12-line block ×26, first 2 shown]
	v_lshlrev_b64 v[90:91], 4, v[89:90]
	v_add_u32_e32 v89, s2, v89
	v_add_co_u32_e32 v90, vcc, v94, v90
	v_addc_co_u32_e32 v91, vcc, v93, v91, vcc
	s_waitcnt vmcnt(0)
	global_store_dwordx4 v[90:91], v[53:56], off
	v_ashrrev_i32_e32 v90, 31, v89
	v_lshlrev_b64 v[90:91], 4, v[89:90]
	v_add_u32_e32 v89, s2, v89
	v_add_co_u32_e32 v90, vcc, v94, v90
	v_addc_co_u32_e32 v91, vcc, v93, v91, vcc
	global_store_dwordx4 v[90:91], v[81:84], off
	v_ashrrev_i32_e32 v90, 31, v89
	v_lshlrev_b64 v[90:91], 4, v[89:90]
	v_add_u32_e32 v89, s2, v89
	v_add_co_u32_e32 v90, vcc, v94, v90
	v_addc_co_u32_e32 v91, vcc, v93, v91, vcc
	global_store_dwordx4 v[90:91], v[85:88], off
	v_ashrrev_i32_e32 v90, 31, v89
	v_lshlrev_b64 v[90:91], 4, v[89:90]
	v_add_u32_e32 v85, s2, v89
	v_ashrrev_i32_e32 v86, 31, v85
	v_add_co_u32_e32 v90, vcc, v94, v90
	v_lshlrev_b64 v[86:87], 4, v[85:86]
	v_add_u32_e32 v81, s2, v85
	v_addc_co_u32_e32 v91, vcc, v93, v91, vcc
	v_ashrrev_i32_e32 v82, 31, v81
	v_add_co_u32_e32 v86, vcc, v94, v86
	v_lshlrev_b64 v[82:83], 4, v[81:82]
	v_addc_co_u32_e32 v87, vcc, v93, v87, vcc
	v_add_co_u32_e32 v82, vcc, v94, v82
	v_addc_co_u32_e32 v83, vcc, v93, v83, vcc
	global_store_dwordx4 v[90:91], v[109:112], off
	global_store_dwordx4 v[86:87], v[113:116], off
	;; [unrolled: 1-line block ×3, first 2 shown]
	s_nop 0
	v_add_u32_e32 v77, s2, v81
	v_ashrrev_i32_e32 v78, 31, v77
	v_lshlrev_b64 v[78:79], 4, v[77:78]
	v_add_co_u32_e32 v78, vcc, v94, v78
	v_addc_co_u32_e32 v79, vcc, v93, v79, vcc
	global_store_dwordx4 v[78:79], v[73:76], off
	s_nop 0
	v_add_u32_e32 v73, s2, v77
	v_ashrrev_i32_e32 v74, 31, v73
	v_lshlrev_b64 v[74:75], 4, v[73:74]
	v_add_co_u32_e32 v74, vcc, v94, v74
	v_addc_co_u32_e32 v75, vcc, v93, v75, vcc
	global_store_dwordx4 v[74:75], v[69:72], off
	;; [unrolled: 7-line block ×5, first 2 shown]
	buffer_load_dword v53, off, s[24:27], 0 ; 4-byte Folded Reload
	buffer_load_dword v54, off, s[24:27], 0 offset:4 ; 4-byte Folded Reload
	buffer_load_dword v55, off, s[24:27], 0 offset:8 ; 4-byte Folded Reload
	;; [unrolled: 1-line block ×3, first 2 shown]
	v_add_u32_e32 v57, s2, v61
	v_ashrrev_i32_e32 v58, 31, v57
	v_lshlrev_b64 v[58:59], 4, v[57:58]
	v_add_co_u32_e32 v58, vcc, v94, v58
	v_addc_co_u32_e32 v59, vcc, v93, v59, vcc
	s_waitcnt vmcnt(0)
	global_store_dwordx4 v[58:59], v[53:56], off
	s_nop 0
	v_add_u32_e32 v53, s2, v57
	v_ashrrev_i32_e32 v54, 31, v53
	v_lshlrev_b64 v[54:55], 4, v[53:54]
	v_add_co_u32_e32 v54, vcc, v94, v54
	v_addc_co_u32_e32 v55, vcc, v93, v55, vcc
	global_store_dwordx4 v[54:55], v[49:52], off
	s_nop 0
	v_add_u32_e32 v49, s2, v53
	v_ashrrev_i32_e32 v50, 31, v49
	v_lshlrev_b64 v[50:51], 4, v[49:50]
	v_add_co_u32_e32 v50, vcc, v94, v50
	v_addc_co_u32_e32 v51, vcc, v93, v51, vcc
	;; [unrolled: 7-line block ×12, first 2 shown]
	global_store_dwordx4 v[10:11], v[5:8], off
	s_nop 0
	v_add_u32_e32 v5, s2, v9
	v_ashrrev_i32_e32 v6, 31, v5
	v_lshlrev_b64 v[6:7], 4, v[5:6]
	v_add_u32_e32 v0, s2, v5
	v_add_co_u32_e32 v6, vcc, v94, v6
	v_addc_co_u32_e32 v7, vcc, v93, v7, vcc
	global_store_dwordx4 v[6:7], v[1:4], off
	s_nop 0
	v_ashrrev_i32_e32 v1, 31, v0
	v_lshlrev_b64 v[0:1], 4, v[0:1]
	v_add_co_u32_e32 v0, vcc, v94, v0
	v_addc_co_u32_e32 v1, vcc, v93, v1, vcc
	global_store_dwordx4 v[0:1], v[117:120], off
.LBB106_1135:
	s_endpgm
	.section	.rodata,"a",@progbits
	.p2align	6, 0x0
	.amdhsa_kernel _ZN9rocsolver6v33100L18getf2_small_kernelILi54E19rocblas_complex_numIdEiiPS3_EEvT1_T3_lS5_lPS5_llPT2_S5_S5_S7_l
		.amdhsa_group_segment_fixed_size 0
		.amdhsa_private_segment_fixed_size 512
		.amdhsa_kernarg_size 352
		.amdhsa_user_sgpr_count 6
		.amdhsa_user_sgpr_private_segment_buffer 1
		.amdhsa_user_sgpr_dispatch_ptr 0
		.amdhsa_user_sgpr_queue_ptr 0
		.amdhsa_user_sgpr_kernarg_segment_ptr 1
		.amdhsa_user_sgpr_dispatch_id 0
		.amdhsa_user_sgpr_flat_scratch_init 0
		.amdhsa_user_sgpr_private_segment_size 0
		.amdhsa_uses_dynamic_stack 0
		.amdhsa_system_sgpr_private_segment_wavefront_offset 1
		.amdhsa_system_sgpr_workgroup_id_x 1
		.amdhsa_system_sgpr_workgroup_id_y 1
		.amdhsa_system_sgpr_workgroup_id_z 0
		.amdhsa_system_sgpr_workgroup_info 0
		.amdhsa_system_vgpr_workitem_id 1
		.amdhsa_next_free_vgpr 128
		.amdhsa_next_free_sgpr 30
		.amdhsa_reserve_vcc 1
		.amdhsa_reserve_flat_scratch 0
		.amdhsa_float_round_mode_32 0
		.amdhsa_float_round_mode_16_64 0
		.amdhsa_float_denorm_mode_32 3
		.amdhsa_float_denorm_mode_16_64 3
		.amdhsa_dx10_clamp 1
		.amdhsa_ieee_mode 1
		.amdhsa_fp16_overflow 0
		.amdhsa_exception_fp_ieee_invalid_op 0
		.amdhsa_exception_fp_denorm_src 0
		.amdhsa_exception_fp_ieee_div_zero 0
		.amdhsa_exception_fp_ieee_overflow 0
		.amdhsa_exception_fp_ieee_underflow 0
		.amdhsa_exception_fp_ieee_inexact 0
		.amdhsa_exception_int_div_zero 0
	.end_amdhsa_kernel
	.section	.text._ZN9rocsolver6v33100L18getf2_small_kernelILi54E19rocblas_complex_numIdEiiPS3_EEvT1_T3_lS5_lPS5_llPT2_S5_S5_S7_l,"axG",@progbits,_ZN9rocsolver6v33100L18getf2_small_kernelILi54E19rocblas_complex_numIdEiiPS3_EEvT1_T3_lS5_lPS5_llPT2_S5_S5_S7_l,comdat
.Lfunc_end106:
	.size	_ZN9rocsolver6v33100L18getf2_small_kernelILi54E19rocblas_complex_numIdEiiPS3_EEvT1_T3_lS5_lPS5_llPT2_S5_S5_S7_l, .Lfunc_end106-_ZN9rocsolver6v33100L18getf2_small_kernelILi54E19rocblas_complex_numIdEiiPS3_EEvT1_T3_lS5_lPS5_llPT2_S5_S5_S7_l
                                        ; -- End function
	.set _ZN9rocsolver6v33100L18getf2_small_kernelILi54E19rocblas_complex_numIdEiiPS3_EEvT1_T3_lS5_lPS5_llPT2_S5_S5_S7_l.num_vgpr, 128
	.set _ZN9rocsolver6v33100L18getf2_small_kernelILi54E19rocblas_complex_numIdEiiPS3_EEvT1_T3_lS5_lPS5_llPT2_S5_S5_S7_l.num_agpr, 0
	.set _ZN9rocsolver6v33100L18getf2_small_kernelILi54E19rocblas_complex_numIdEiiPS3_EEvT1_T3_lS5_lPS5_llPT2_S5_S5_S7_l.numbered_sgpr, 30
	.set _ZN9rocsolver6v33100L18getf2_small_kernelILi54E19rocblas_complex_numIdEiiPS3_EEvT1_T3_lS5_lPS5_llPT2_S5_S5_S7_l.num_named_barrier, 0
	.set _ZN9rocsolver6v33100L18getf2_small_kernelILi54E19rocblas_complex_numIdEiiPS3_EEvT1_T3_lS5_lPS5_llPT2_S5_S5_S7_l.private_seg_size, 512
	.set _ZN9rocsolver6v33100L18getf2_small_kernelILi54E19rocblas_complex_numIdEiiPS3_EEvT1_T3_lS5_lPS5_llPT2_S5_S5_S7_l.uses_vcc, 1
	.set _ZN9rocsolver6v33100L18getf2_small_kernelILi54E19rocblas_complex_numIdEiiPS3_EEvT1_T3_lS5_lPS5_llPT2_S5_S5_S7_l.uses_flat_scratch, 0
	.set _ZN9rocsolver6v33100L18getf2_small_kernelILi54E19rocblas_complex_numIdEiiPS3_EEvT1_T3_lS5_lPS5_llPT2_S5_S5_S7_l.has_dyn_sized_stack, 0
	.set _ZN9rocsolver6v33100L18getf2_small_kernelILi54E19rocblas_complex_numIdEiiPS3_EEvT1_T3_lS5_lPS5_llPT2_S5_S5_S7_l.has_recursion, 0
	.set _ZN9rocsolver6v33100L18getf2_small_kernelILi54E19rocblas_complex_numIdEiiPS3_EEvT1_T3_lS5_lPS5_llPT2_S5_S5_S7_l.has_indirect_call, 0
	.section	.AMDGPU.csdata,"",@progbits
; Kernel info:
; codeLenInByte = 207852
; TotalNumSgprs: 34
; NumVgprs: 128
; ScratchSize: 512
; MemoryBound: 0
; FloatMode: 240
; IeeeMode: 1
; LDSByteSize: 0 bytes/workgroup (compile time only)
; SGPRBlocks: 4
; VGPRBlocks: 31
; NumSGPRsForWavesPerEU: 34
; NumVGPRsForWavesPerEU: 128
; Occupancy: 2
; WaveLimiterHint : 0
; COMPUTE_PGM_RSRC2:SCRATCH_EN: 1
; COMPUTE_PGM_RSRC2:USER_SGPR: 6
; COMPUTE_PGM_RSRC2:TRAP_HANDLER: 0
; COMPUTE_PGM_RSRC2:TGID_X_EN: 1
; COMPUTE_PGM_RSRC2:TGID_Y_EN: 1
; COMPUTE_PGM_RSRC2:TGID_Z_EN: 0
; COMPUTE_PGM_RSRC2:TIDIG_COMP_CNT: 1
	.section	.text._ZN9rocsolver6v33100L23getf2_npvt_small_kernelILi54E19rocblas_complex_numIdEiiPS3_EEvT1_T3_lS5_lPT2_S5_S5_,"axG",@progbits,_ZN9rocsolver6v33100L23getf2_npvt_small_kernelILi54E19rocblas_complex_numIdEiiPS3_EEvT1_T3_lS5_lPT2_S5_S5_,comdat
	.globl	_ZN9rocsolver6v33100L23getf2_npvt_small_kernelILi54E19rocblas_complex_numIdEiiPS3_EEvT1_T3_lS5_lPT2_S5_S5_ ; -- Begin function _ZN9rocsolver6v33100L23getf2_npvt_small_kernelILi54E19rocblas_complex_numIdEiiPS3_EEvT1_T3_lS5_lPT2_S5_S5_
	.p2align	8
	.type	_ZN9rocsolver6v33100L23getf2_npvt_small_kernelILi54E19rocblas_complex_numIdEiiPS3_EEvT1_T3_lS5_lPT2_S5_S5_,@function
_ZN9rocsolver6v33100L23getf2_npvt_small_kernelILi54E19rocblas_complex_numIdEiiPS3_EEvT1_T3_lS5_lPT2_S5_S5_: ; @_ZN9rocsolver6v33100L23getf2_npvt_small_kernelILi54E19rocblas_complex_numIdEiiPS3_EEvT1_T3_lS5_lPT2_S5_S5_
; %bb.0:
	s_mov_b64 s[22:23], s[2:3]
	s_mov_b64 s[20:21], s[0:1]
	s_load_dword s0, s[4:5], 0x44
	s_load_dwordx2 s[12:13], s[4:5], 0x30
	s_add_u32 s20, s20, s8
	s_addc_u32 s21, s21, 0
	s_waitcnt lgkmcnt(0)
	s_lshr_b32 s2, s0, 16
	s_mul_i32 s7, s7, s2
	v_add_u32_e32 v2, s7, v1
	v_cmp_gt_i32_e32 vcc, s12, v2
	s_and_saveexec_b64 s[0:1], vcc
	s_cbranch_execnz .LBB107_1
; %bb.490:
	s_getpc_b64 s[14:15]
.Lpost_getpc21:
	s_add_u32 s14, s14, (.LBB107_489-.Lpost_getpc21)&4294967295
	s_addc_u32 s15, s15, (.LBB107_489-.Lpost_getpc21)>>32
	s_setpc_b64 s[14:15]
.LBB107_1:
	s_load_dwordx4 s[8:11], s[4:5], 0x20
	s_load_dwordx4 s[16:19], s[4:5], 0x8
	v_ashrrev_i32_e32 v3, 31, v2
	s_mulk_i32 s2, 0x360
	s_waitcnt lgkmcnt(0)
	v_mul_lo_u32 v4, s9, v2
	v_mul_lo_u32 v5, s8, v3
	buffer_store_dword v2, off, s[20:23], 0 offset:1688 ; 4-byte Folded Spill
	s_nop 0
	buffer_store_dword v3, off, s[20:23], 0 offset:1692 ; 4-byte Folded Spill
	v_mov_b32_e32 v6, s17
	v_mad_u64_u32 v[2:3], s[0:1], s8, v2, 0
	s_load_dword s0, s[4:5], 0x18
	s_lshl_b64 s[4:5], s[18:19], 4
	v_add3_u32 v3, v3, v5, v4
	v_lshlrev_b64 v[2:3], 4, v[2:3]
	v_mov_b32_e32 v4, s5
	v_add_co_u32_e32 v2, vcc, s16, v2
	v_addc_co_u32_e32 v3, vcc, v6, v3, vcc
	v_add_co_u32_e32 v2, vcc, s4, v2
	s_waitcnt lgkmcnt(0)
	s_add_i32 s1, s0, s0
	v_addc_co_u32_e32 v3, vcc, v3, v4, vcc
	v_add_u32_e32 v4, s1, v0
	v_ashrrev_i32_e32 v5, 31, v4
	v_lshlrev_b64 v[5:6], 4, v[4:5]
	v_add_u32_e32 v4, s0, v4
	v_add_co_u32_e32 v67, vcc, v2, v5
	v_ashrrev_i32_e32 v5, 31, v4
	v_addc_co_u32_e32 v68, vcc, v3, v6, vcc
	v_lshlrev_b64 v[5:6], 4, v[4:5]
	v_add_u32_e32 v4, s0, v4
	v_add_co_u32_e32 v69, vcc, v2, v5
	v_ashrrev_i32_e32 v5, 31, v4
	v_addc_co_u32_e32 v70, vcc, v3, v6, vcc
	;; [unrolled: 5-line block ×50, first 2 shown]
	v_lshlrev_b64 v[5:6], 4, v[4:5]
	v_add_u32_e32 v4, s0, v4
	v_add_co_u32_e32 v117, vcc, v2, v5
	v_ashrrev_i32_e32 v5, 31, v4
	v_lshlrev_b64 v[4:5], 4, v[4:5]
	v_addc_co_u32_e32 v118, vcc, v3, v6, vcc
	v_add_co_u32_e32 v119, vcc, v2, v4
	v_addc_co_u32_e32 v120, vcc, v3, v5, vcc
	v_lshlrev_b32_e32 v4, 4, v0
	v_add_co_u32_e32 v4, vcc, v2, v4
	s_ashr_i32 s1, s0, 31
	v_addc_co_u32_e32 v5, vcc, 0, v3, vcc
	s_lshl_b64 s[0:1], s[0:1], 4
	v_mov_b32_e32 v2, s1
	v_add_co_u32_e32 v71, vcc, s0, v4
	v_addc_co_u32_e32 v72, vcc, v5, v2, vcc
	buffer_store_dword v4, off, s[20:23], 0 offset:896 ; 4-byte Folded Spill
	s_nop 0
	buffer_store_dword v5, off, s[20:23], 0 offset:900 ; 4-byte Folded Spill
	s_movk_i32 s0, 0x360
	s_add_i32 s1, s2, 0
	v_mad_u32_u24 v125, v1, s0, 0
	v_lshl_add_u32 v127, v1, 4, s1
	v_cmp_ne_u32_e64 s[2:3], 0, v0
	v_cmp_eq_u32_e64 s[0:1], 0, v0
	global_load_dwordx4 v[1:4], v[4:5], off
	s_waitcnt vmcnt(0)
	buffer_store_dword v1, off, s[20:23], 0 offset:480 ; 4-byte Folded Spill
	s_nop 0
	buffer_store_dword v2, off, s[20:23], 0 offset:484 ; 4-byte Folded Spill
	buffer_store_dword v3, off, s[20:23], 0 offset:488 ; 4-byte Folded Spill
	buffer_store_dword v4, off, s[20:23], 0 offset:492 ; 4-byte Folded Spill
	buffer_store_dword v71, off, s[20:23], 0 offset:904 ; 4-byte Folded Spill
	s_nop 0
	buffer_store_dword v72, off, s[20:23], 0 offset:908 ; 4-byte Folded Spill
	global_load_dwordx4 v[1:4], v[71:72], off
	s_waitcnt vmcnt(0)
	buffer_store_dword v1, off, s[20:23], 0 offset:464 ; 4-byte Folded Spill
	s_nop 0
	buffer_store_dword v2, off, s[20:23], 0 offset:468 ; 4-byte Folded Spill
	buffer_store_dword v3, off, s[20:23], 0 offset:472 ; 4-byte Folded Spill
	buffer_store_dword v4, off, s[20:23], 0 offset:476 ; 4-byte Folded Spill
	buffer_store_dword v67, off, s[20:23], 0 offset:864 ; 4-byte Folded Spill
	s_nop 0
	buffer_store_dword v68, off, s[20:23], 0 offset:868 ; 4-byte Folded Spill
	;; [unrolled: 10-line block ×6, first 2 shown]
	global_load_dwordx4 v[1:4], v[7:8], off
	s_waitcnt vmcnt(0)
	buffer_store_dword v1, off, s[20:23], 0 offset:384 ; 4-byte Folded Spill
	s_nop 0
	buffer_store_dword v2, off, s[20:23], 0 offset:388 ; 4-byte Folded Spill
	buffer_store_dword v3, off, s[20:23], 0 offset:392 ; 4-byte Folded Spill
	;; [unrolled: 1-line block ×3, first 2 shown]
	global_load_dwordx4 v[1:4], v[85:86], off
	s_waitcnt vmcnt(0)
	buffer_store_dword v1, off, s[20:23], 0 offset:368 ; 4-byte Folded Spill
	s_nop 0
	buffer_store_dword v2, off, s[20:23], 0 offset:372 ; 4-byte Folded Spill
	buffer_store_dword v3, off, s[20:23], 0 offset:376 ; 4-byte Folded Spill
	buffer_store_dword v4, off, s[20:23], 0 offset:380 ; 4-byte Folded Spill
	buffer_store_dword v9, off, s[20:23], 0 offset:504 ; 4-byte Folded Spill
	s_nop 0
	buffer_store_dword v10, off, s[20:23], 0 offset:508 ; 4-byte Folded Spill
	global_load_dwordx4 v[1:4], v[9:10], off
	s_waitcnt vmcnt(0)
	buffer_store_dword v1, off, s[20:23], 0 offset:352 ; 4-byte Folded Spill
	s_nop 0
	buffer_store_dword v2, off, s[20:23], 0 offset:356 ; 4-byte Folded Spill
	buffer_store_dword v3, off, s[20:23], 0 offset:360 ; 4-byte Folded Spill
	buffer_store_dword v4, off, s[20:23], 0 offset:364 ; 4-byte Folded Spill
	buffer_store_dword v11, off, s[20:23], 0 offset:512 ; 4-byte Folded Spill
	s_nop 0
	buffer_store_dword v12, off, s[20:23], 0 offset:516 ; 4-byte Folded Spill
	;; [unrolled: 10-line block ×23, first 2 shown]
	global_load_dwordx4 v[1:4], v[53:54], off
	s_waitcnt vmcnt(0)
	buffer_store_dword v1, off, s[20:23], 0 ; 4-byte Folded Spill
	s_nop 0
	buffer_store_dword v2, off, s[20:23], 0 offset:4 ; 4-byte Folded Spill
	buffer_store_dword v3, off, s[20:23], 0 offset:8 ; 4-byte Folded Spill
	;; [unrolled: 1-line block ×4, first 2 shown]
	s_nop 0
	buffer_store_dword v56, off, s[20:23], 0 offset:692 ; 4-byte Folded Spill
	global_load_dwordx4 v[1:4], v[55:56], off
	s_nop 0
	buffer_store_dword v57, off, s[20:23], 0 offset:696 ; 4-byte Folded Spill
	s_nop 0
	buffer_store_dword v58, off, s[20:23], 0 offset:700 ; 4-byte Folded Spill
	global_load_dwordx4 v[81:84], v[57:58], off
	s_nop 0
	buffer_store_dword v59, off, s[20:23], 0 offset:704 ; 4-byte Folded Spill
	;; [unrolled: 5-line block ×9, first 2 shown]
	s_nop 0
	buffer_store_dword v98, off, s[20:23], 0 offset:764 ; 4-byte Folded Spill
	s_waitcnt vmcnt(26)
	v_mov_b32_e32 v96, v4
	v_mov_b32_e32 v95, v3
	;; [unrolled: 1-line block ×4, first 2 shown]
	global_load_dwordx4 v[49:52], v[97:98], off
	s_nop 0
	buffer_store_dword v99, off, s[20:23], 0 offset:768 ; 4-byte Folded Spill
	s_nop 0
	buffer_store_dword v100, off, s[20:23], 0 offset:772 ; 4-byte Folded Spill
	global_load_dwordx4 v[45:48], v[99:100], off
	s_nop 0
	buffer_store_dword v101, off, s[20:23], 0 offset:776 ; 4-byte Folded Spill
	s_nop 0
	buffer_store_dword v102, off, s[20:23], 0 offset:780 ; 4-byte Folded Spill
	;; [unrolled: 5-line block ×13, first 2 shown]
	global_load_dwordx4 v[121:124], v[119:120], off
	s_and_saveexec_b64 s[6:7], s[0:1]
	s_cbranch_execz .LBB107_8
; %bb.2:
	buffer_load_dword v97, off, s[20:23], 0 offset:480 ; 4-byte Folded Reload
	buffer_load_dword v98, off, s[20:23], 0 offset:484 ; 4-byte Folded Reload
	;; [unrolled: 1-line block ×4, first 2 shown]
	s_waitcnt vmcnt(0)
	ds_write2_b64 v127, v[97:98], v[99:100] offset1:1
	buffer_load_dword v97, off, s[20:23], 0 offset:464 ; 4-byte Folded Reload
	buffer_load_dword v98, off, s[20:23], 0 offset:468 ; 4-byte Folded Reload
	buffer_load_dword v99, off, s[20:23], 0 offset:472 ; 4-byte Folded Reload
	buffer_load_dword v100, off, s[20:23], 0 offset:476 ; 4-byte Folded Reload
	s_waitcnt vmcnt(0)
	ds_write2_b64 v125, v[97:98], v[99:100] offset0:2 offset1:3
	buffer_load_dword v97, off, s[20:23], 0 offset:448 ; 4-byte Folded Reload
	buffer_load_dword v98, off, s[20:23], 0 offset:452 ; 4-byte Folded Reload
	buffer_load_dword v99, off, s[20:23], 0 offset:456 ; 4-byte Folded Reload
	buffer_load_dword v100, off, s[20:23], 0 offset:460 ; 4-byte Folded Reload
	s_waitcnt vmcnt(0)
	ds_write2_b64 v125, v[97:98], v[99:100] offset0:4 offset1:5
	;; [unrolled: 6-line block ×29, first 2 shown]
	buffer_load_dword v97, off, s[20:23], 0 ; 4-byte Folded Reload
	buffer_load_dword v98, off, s[20:23], 0 offset:4 ; 4-byte Folded Reload
	buffer_load_dword v99, off, s[20:23], 0 offset:8 ; 4-byte Folded Reload
	;; [unrolled: 1-line block ×3, first 2 shown]
	s_waitcnt vmcnt(0)
	ds_write2_b64 v125, v[97:98], v[99:100] offset0:60 offset1:61
	ds_write2_b64 v125, v[93:94], v[95:96] offset0:62 offset1:63
	ds_write2_b64 v125, v[81:82], v[83:84] offset0:64 offset1:65
	ds_write2_b64 v125, v[77:78], v[79:80] offset0:66 offset1:67
	ds_write2_b64 v125, v[73:74], v[75:76] offset0:68 offset1:69
	ds_write2_b64 v125, v[69:70], v[71:72] offset0:70 offset1:71
	ds_write2_b64 v125, v[65:66], v[67:68] offset0:72 offset1:73
	ds_write2_b64 v125, v[61:62], v[63:64] offset0:74 offset1:75
	ds_write2_b64 v125, v[57:58], v[59:60] offset0:76 offset1:77
	ds_write2_b64 v125, v[53:54], v[55:56] offset0:78 offset1:79
	ds_write2_b64 v125, v[49:50], v[51:52] offset0:80 offset1:81
	ds_write2_b64 v125, v[45:46], v[47:48] offset0:82 offset1:83
	ds_write2_b64 v125, v[41:42], v[43:44] offset0:84 offset1:85
	ds_write2_b64 v125, v[37:38], v[39:40] offset0:86 offset1:87
	ds_write2_b64 v125, v[33:34], v[35:36] offset0:88 offset1:89
	ds_write2_b64 v125, v[29:30], v[31:32] offset0:90 offset1:91
	ds_write2_b64 v125, v[25:26], v[27:28] offset0:92 offset1:93
	ds_write2_b64 v125, v[21:22], v[23:24] offset0:94 offset1:95
	ds_write2_b64 v125, v[17:18], v[19:20] offset0:96 offset1:97
	ds_write2_b64 v125, v[13:14], v[15:16] offset0:98 offset1:99
	ds_write2_b64 v125, v[9:10], v[11:12] offset0:100 offset1:101
	ds_write2_b64 v125, v[5:6], v[7:8] offset0:102 offset1:103
	ds_write2_b64 v125, v[1:2], v[3:4] offset0:104 offset1:105
	ds_write2_b64 v125, v[121:122], v[123:124] offset0:106 offset1:107
	ds_read2_b64 v[97:100], v127 offset1:1
	s_waitcnt lgkmcnt(0)
	v_cmp_neq_f64_e32 vcc, 0, v[97:98]
	v_cmp_neq_f64_e64 s[4:5], 0, v[99:100]
	s_or_b64 s[4:5], vcc, s[4:5]
	s_and_b64 exec, exec, s[4:5]
	s_cbranch_execz .LBB107_8
; %bb.3:
	v_cmp_ngt_f64_e64 s[4:5], |v[97:98]|, |v[99:100]|
                                        ; implicit-def: $vgpr101_vgpr102
	s_and_saveexec_b64 s[8:9], s[4:5]
	s_xor_b64 s[4:5], exec, s[8:9]
                                        ; implicit-def: $vgpr103_vgpr104
	s_cbranch_execz .LBB107_5
; %bb.4:
	v_div_scale_f64 v[101:102], s[8:9], v[99:100], v[99:100], v[97:98]
	v_rcp_f64_e32 v[103:104], v[101:102]
	v_fma_f64 v[105:106], -v[101:102], v[103:104], 1.0
	v_fma_f64 v[103:104], v[103:104], v[105:106], v[103:104]
	v_div_scale_f64 v[105:106], vcc, v[97:98], v[99:100], v[97:98]
	v_fma_f64 v[107:108], -v[101:102], v[103:104], 1.0
	v_fma_f64 v[103:104], v[103:104], v[107:108], v[103:104]
	v_mul_f64 v[107:108], v[105:106], v[103:104]
	v_fma_f64 v[101:102], -v[101:102], v[107:108], v[105:106]
	v_div_fmas_f64 v[101:102], v[101:102], v[103:104], v[107:108]
	v_div_fixup_f64 v[101:102], v[101:102], v[99:100], v[97:98]
	v_fma_f64 v[97:98], v[97:98], v[101:102], v[99:100]
	v_div_scale_f64 v[99:100], s[8:9], v[97:98], v[97:98], 1.0
	v_div_scale_f64 v[107:108], vcc, 1.0, v[97:98], 1.0
	v_rcp_f64_e32 v[103:104], v[99:100]
	v_fma_f64 v[105:106], -v[99:100], v[103:104], 1.0
	v_fma_f64 v[103:104], v[103:104], v[105:106], v[103:104]
	v_fma_f64 v[105:106], -v[99:100], v[103:104], 1.0
	v_fma_f64 v[103:104], v[103:104], v[105:106], v[103:104]
	v_mul_f64 v[105:106], v[107:108], v[103:104]
	v_fma_f64 v[99:100], -v[99:100], v[105:106], v[107:108]
	v_div_fmas_f64 v[99:100], v[99:100], v[103:104], v[105:106]
	v_div_fixup_f64 v[103:104], v[99:100], v[97:98], 1.0
                                        ; implicit-def: $vgpr97_vgpr98
	v_mul_f64 v[101:102], v[101:102], v[103:104]
	v_xor_b32_e32 v104, 0x80000000, v104
.LBB107_5:
	s_andn2_saveexec_b64 s[4:5], s[4:5]
	s_cbranch_execz .LBB107_7
; %bb.6:
	v_div_scale_f64 v[101:102], s[8:9], v[97:98], v[97:98], v[99:100]
	v_rcp_f64_e32 v[103:104], v[101:102]
	v_fma_f64 v[105:106], -v[101:102], v[103:104], 1.0
	v_fma_f64 v[103:104], v[103:104], v[105:106], v[103:104]
	v_div_scale_f64 v[105:106], vcc, v[99:100], v[97:98], v[99:100]
	v_fma_f64 v[107:108], -v[101:102], v[103:104], 1.0
	v_fma_f64 v[103:104], v[103:104], v[107:108], v[103:104]
	v_mul_f64 v[107:108], v[105:106], v[103:104]
	v_fma_f64 v[101:102], -v[101:102], v[107:108], v[105:106]
	v_div_fmas_f64 v[101:102], v[101:102], v[103:104], v[107:108]
	v_div_fixup_f64 v[103:104], v[101:102], v[97:98], v[99:100]
	v_fma_f64 v[97:98], v[99:100], v[103:104], v[97:98]
	v_div_scale_f64 v[99:100], s[8:9], v[97:98], v[97:98], 1.0
	v_div_scale_f64 v[107:108], vcc, 1.0, v[97:98], 1.0
	v_rcp_f64_e32 v[101:102], v[99:100]
	v_fma_f64 v[105:106], -v[99:100], v[101:102], 1.0
	v_fma_f64 v[101:102], v[101:102], v[105:106], v[101:102]
	v_fma_f64 v[105:106], -v[99:100], v[101:102], 1.0
	v_fma_f64 v[101:102], v[101:102], v[105:106], v[101:102]
	v_mul_f64 v[105:106], v[107:108], v[101:102]
	v_fma_f64 v[99:100], -v[99:100], v[105:106], v[107:108]
	v_div_fmas_f64 v[99:100], v[99:100], v[101:102], v[105:106]
	v_div_fixup_f64 v[101:102], v[99:100], v[97:98], 1.0
	v_mul_f64 v[103:104], v[103:104], -v[101:102]
.LBB107_7:
	s_or_b64 exec, exec, s[4:5]
	ds_write2_b64 v127, v[101:102], v[103:104] offset1:1
.LBB107_8:
	s_or_b64 exec, exec, s[6:7]
	s_waitcnt vmcnt(0) lgkmcnt(0)
	s_barrier
	ds_read2_b64 v[97:100], v127 offset1:1
	s_waitcnt lgkmcnt(0)
	buffer_store_dword v97, off, s[20:23], 0 offset:912 ; 4-byte Folded Spill
	s_nop 0
	buffer_store_dword v98, off, s[20:23], 0 offset:916 ; 4-byte Folded Spill
	buffer_store_dword v99, off, s[20:23], 0 offset:920 ; 4-byte Folded Spill
	;; [unrolled: 1-line block ×3, first 2 shown]
	s_and_saveexec_b64 s[4:5], s[2:3]
	s_cbranch_execz .LBB107_10
; %bb.9:
	buffer_load_dword v107, off, s[20:23], 0 offset:480 ; 4-byte Folded Reload
	buffer_load_dword v108, off, s[20:23], 0 offset:484 ; 4-byte Folded Reload
	;; [unrolled: 1-line block ×8, first 2 shown]
	s_waitcnt vmcnt(0)
	v_mul_f64 v[97:98], v[101:102], v[109:110]
	v_fma_f64 v[97:98], v[99:100], v[107:108], -v[97:98]
	v_mul_f64 v[99:100], v[99:100], v[109:110]
	v_fma_f64 v[109:110], v[101:102], v[107:108], v[99:100]
	ds_read2_b64 v[99:102], v125 offset0:2 offset1:3
	buffer_load_dword v105, off, s[20:23], 0 offset:464 ; 4-byte Folded Reload
	buffer_load_dword v106, off, s[20:23], 0 offset:468 ; 4-byte Folded Reload
	buffer_load_dword v107, off, s[20:23], 0 offset:472 ; 4-byte Folded Reload
	buffer_load_dword v108, off, s[20:23], 0 offset:476 ; 4-byte Folded Reload
	s_waitcnt lgkmcnt(0)
	v_mul_f64 v[103:104], v[101:102], v[109:110]
	v_fma_f64 v[103:104], v[99:100], v[97:98], -v[103:104]
	v_mul_f64 v[99:100], v[99:100], v[109:110]
	v_fma_f64 v[99:100], v[101:102], v[97:98], v[99:100]
	s_waitcnt vmcnt(2)
	v_add_f64 v[105:106], v[105:106], -v[103:104]
	s_waitcnt vmcnt(0)
	v_add_f64 v[107:108], v[107:108], -v[99:100]
	buffer_store_dword v105, off, s[20:23], 0 offset:464 ; 4-byte Folded Spill
	s_nop 0
	buffer_store_dword v106, off, s[20:23], 0 offset:468 ; 4-byte Folded Spill
	buffer_store_dword v107, off, s[20:23], 0 offset:472 ; 4-byte Folded Spill
	buffer_store_dword v108, off, s[20:23], 0 offset:476 ; 4-byte Folded Spill
	ds_read2_b64 v[99:102], v125 offset0:4 offset1:5
	buffer_load_dword v105, off, s[20:23], 0 offset:448 ; 4-byte Folded Reload
	buffer_load_dword v106, off, s[20:23], 0 offset:452 ; 4-byte Folded Reload
	buffer_load_dword v107, off, s[20:23], 0 offset:456 ; 4-byte Folded Reload
	buffer_load_dword v108, off, s[20:23], 0 offset:460 ; 4-byte Folded Reload
	s_waitcnt lgkmcnt(0)
	v_mul_f64 v[103:104], v[101:102], v[109:110]
	v_fma_f64 v[103:104], v[99:100], v[97:98], -v[103:104]
	v_mul_f64 v[99:100], v[99:100], v[109:110]
	v_fma_f64 v[99:100], v[101:102], v[97:98], v[99:100]
	s_waitcnt vmcnt(2)
	v_add_f64 v[105:106], v[105:106], -v[103:104]
	s_waitcnt vmcnt(0)
	v_add_f64 v[107:108], v[107:108], -v[99:100]
	buffer_store_dword v105, off, s[20:23], 0 offset:448 ; 4-byte Folded Spill
	s_nop 0
	buffer_store_dword v106, off, s[20:23], 0 offset:452 ; 4-byte Folded Spill
	buffer_store_dword v107, off, s[20:23], 0 offset:456 ; 4-byte Folded Spill
	buffer_store_dword v108, off, s[20:23], 0 offset:460 ; 4-byte Folded Spill
	;; [unrolled: 19-line block ×29, first 2 shown]
	ds_read2_b64 v[99:102], v125 offset0:60 offset1:61
	buffer_load_dword v105, off, s[20:23], 0 ; 4-byte Folded Reload
	buffer_load_dword v106, off, s[20:23], 0 offset:4 ; 4-byte Folded Reload
	buffer_load_dword v107, off, s[20:23], 0 offset:8 ; 4-byte Folded Reload
	;; [unrolled: 1-line block ×3, first 2 shown]
	s_waitcnt lgkmcnt(0)
	v_mul_f64 v[103:104], v[101:102], v[109:110]
	v_fma_f64 v[103:104], v[99:100], v[97:98], -v[103:104]
	v_mul_f64 v[99:100], v[99:100], v[109:110]
	v_fma_f64 v[99:100], v[101:102], v[97:98], v[99:100]
	s_waitcnt vmcnt(2)
	v_add_f64 v[105:106], v[105:106], -v[103:104]
	s_waitcnt vmcnt(0)
	v_add_f64 v[107:108], v[107:108], -v[99:100]
	buffer_store_dword v105, off, s[20:23], 0 ; 4-byte Folded Spill
	s_nop 0
	buffer_store_dword v106, off, s[20:23], 0 offset:4 ; 4-byte Folded Spill
	buffer_store_dword v107, off, s[20:23], 0 offset:8 ; 4-byte Folded Spill
	buffer_store_dword v108, off, s[20:23], 0 offset:12 ; 4-byte Folded Spill
	ds_read2_b64 v[99:102], v125 offset0:62 offset1:63
	v_mov_b32_e32 v108, v98
	v_mov_b32_e32 v107, v97
	s_waitcnt lgkmcnt(0)
	v_mul_f64 v[103:104], v[101:102], v[109:110]
	v_fma_f64 v[103:104], v[99:100], v[97:98], -v[103:104]
	v_mul_f64 v[99:100], v[99:100], v[109:110]
	v_add_f64 v[93:94], v[93:94], -v[103:104]
	v_fma_f64 v[99:100], v[101:102], v[97:98], v[99:100]
	v_add_f64 v[95:96], v[95:96], -v[99:100]
	ds_read2_b64 v[99:102], v125 offset0:64 offset1:65
	s_waitcnt lgkmcnt(0)
	v_mul_f64 v[103:104], v[101:102], v[109:110]
	v_fma_f64 v[103:104], v[99:100], v[97:98], -v[103:104]
	v_mul_f64 v[99:100], v[99:100], v[109:110]
	v_add_f64 v[81:82], v[81:82], -v[103:104]
	v_fma_f64 v[99:100], v[101:102], v[97:98], v[99:100]
	v_add_f64 v[83:84], v[83:84], -v[99:100]
	ds_read2_b64 v[99:102], v125 offset0:66 offset1:67
	;; [unrolled: 8-line block ×21, first 2 shown]
	s_waitcnt lgkmcnt(0)
	v_mul_f64 v[103:104], v[101:102], v[109:110]
	v_fma_f64 v[103:104], v[99:100], v[97:98], -v[103:104]
	v_mul_f64 v[99:100], v[99:100], v[109:110]
	v_add_f64 v[1:2], v[1:2], -v[103:104]
	v_fma_f64 v[99:100], v[101:102], v[97:98], v[99:100]
	ds_read2_b64 v[101:104], v125 offset0:106 offset1:107
	v_add_f64 v[3:4], v[3:4], -v[99:100]
	s_waitcnt lgkmcnt(0)
	v_mul_f64 v[99:100], v[103:104], v[109:110]
	v_fma_f64 v[99:100], v[101:102], v[97:98], -v[99:100]
	v_mul_f64 v[101:102], v[101:102], v[109:110]
	buffer_store_dword v107, off, s[20:23], 0 offset:480 ; 4-byte Folded Spill
	s_nop 0
	buffer_store_dword v108, off, s[20:23], 0 offset:484 ; 4-byte Folded Spill
	buffer_store_dword v109, off, s[20:23], 0 offset:488 ; 4-byte Folded Spill
	buffer_store_dword v110, off, s[20:23], 0 offset:492 ; 4-byte Folded Spill
	v_add_f64 v[121:122], v[121:122], -v[99:100]
	v_fma_f64 v[101:102], v[103:104], v[97:98], v[101:102]
	v_add_f64 v[123:124], v[123:124], -v[101:102]
.LBB107_10:
	s_or_b64 exec, exec, s[4:5]
	v_cmp_eq_u32_e32 vcc, 1, v0
	s_waitcnt vmcnt(0)
	s_barrier
	s_and_saveexec_b64 s[4:5], vcc
	s_cbranch_execz .LBB107_17
; %bb.11:
	buffer_load_dword v97, off, s[20:23], 0 offset:464 ; 4-byte Folded Reload
	buffer_load_dword v98, off, s[20:23], 0 offset:468 ; 4-byte Folded Reload
	;; [unrolled: 1-line block ×4, first 2 shown]
	s_waitcnt vmcnt(0)
	ds_write2_b64 v127, v[97:98], v[99:100] offset1:1
	buffer_load_dword v97, off, s[20:23], 0 offset:448 ; 4-byte Folded Reload
	buffer_load_dword v98, off, s[20:23], 0 offset:452 ; 4-byte Folded Reload
	buffer_load_dword v99, off, s[20:23], 0 offset:456 ; 4-byte Folded Reload
	buffer_load_dword v100, off, s[20:23], 0 offset:460 ; 4-byte Folded Reload
	s_waitcnt vmcnt(0)
	ds_write2_b64 v125, v[97:98], v[99:100] offset0:4 offset1:5
	buffer_load_dword v97, off, s[20:23], 0 offset:432 ; 4-byte Folded Reload
	buffer_load_dword v98, off, s[20:23], 0 offset:436 ; 4-byte Folded Reload
	buffer_load_dword v99, off, s[20:23], 0 offset:440 ; 4-byte Folded Reload
	buffer_load_dword v100, off, s[20:23], 0 offset:444 ; 4-byte Folded Reload
	s_waitcnt vmcnt(0)
	ds_write2_b64 v125, v[97:98], v[99:100] offset0:6 offset1:7
	;; [unrolled: 6-line block ×28, first 2 shown]
	buffer_load_dword v97, off, s[20:23], 0 ; 4-byte Folded Reload
	buffer_load_dword v98, off, s[20:23], 0 offset:4 ; 4-byte Folded Reload
	buffer_load_dword v99, off, s[20:23], 0 offset:8 ; 4-byte Folded Reload
	buffer_load_dword v100, off, s[20:23], 0 offset:12 ; 4-byte Folded Reload
	s_waitcnt vmcnt(0)
	ds_write2_b64 v125, v[97:98], v[99:100] offset0:60 offset1:61
	ds_write2_b64 v125, v[93:94], v[95:96] offset0:62 offset1:63
	;; [unrolled: 1-line block ×24, first 2 shown]
	ds_read2_b64 v[97:100], v127 offset1:1
	s_waitcnt lgkmcnt(0)
	v_cmp_neq_f64_e32 vcc, 0, v[97:98]
	v_cmp_neq_f64_e64 s[2:3], 0, v[99:100]
	s_or_b64 s[2:3], vcc, s[2:3]
	s_and_b64 exec, exec, s[2:3]
	s_cbranch_execz .LBB107_17
; %bb.12:
	v_cmp_ngt_f64_e64 s[2:3], |v[97:98]|, |v[99:100]|
                                        ; implicit-def: $vgpr101_vgpr102
	s_and_saveexec_b64 s[6:7], s[2:3]
	s_xor_b64 s[2:3], exec, s[6:7]
                                        ; implicit-def: $vgpr103_vgpr104
	s_cbranch_execz .LBB107_14
; %bb.13:
	v_div_scale_f64 v[101:102], s[6:7], v[99:100], v[99:100], v[97:98]
	v_rcp_f64_e32 v[103:104], v[101:102]
	v_fma_f64 v[105:106], -v[101:102], v[103:104], 1.0
	v_fma_f64 v[103:104], v[103:104], v[105:106], v[103:104]
	v_div_scale_f64 v[105:106], vcc, v[97:98], v[99:100], v[97:98]
	v_fma_f64 v[107:108], -v[101:102], v[103:104], 1.0
	v_fma_f64 v[103:104], v[103:104], v[107:108], v[103:104]
	v_mul_f64 v[107:108], v[105:106], v[103:104]
	v_fma_f64 v[101:102], -v[101:102], v[107:108], v[105:106]
	v_div_fmas_f64 v[101:102], v[101:102], v[103:104], v[107:108]
	v_div_fixup_f64 v[101:102], v[101:102], v[99:100], v[97:98]
	v_fma_f64 v[97:98], v[97:98], v[101:102], v[99:100]
	v_div_scale_f64 v[99:100], s[6:7], v[97:98], v[97:98], 1.0
	v_div_scale_f64 v[107:108], vcc, 1.0, v[97:98], 1.0
	v_rcp_f64_e32 v[103:104], v[99:100]
	v_fma_f64 v[105:106], -v[99:100], v[103:104], 1.0
	v_fma_f64 v[103:104], v[103:104], v[105:106], v[103:104]
	v_fma_f64 v[105:106], -v[99:100], v[103:104], 1.0
	v_fma_f64 v[103:104], v[103:104], v[105:106], v[103:104]
	v_mul_f64 v[105:106], v[107:108], v[103:104]
	v_fma_f64 v[99:100], -v[99:100], v[105:106], v[107:108]
	v_div_fmas_f64 v[99:100], v[99:100], v[103:104], v[105:106]
	v_div_fixup_f64 v[103:104], v[99:100], v[97:98], 1.0
                                        ; implicit-def: $vgpr97_vgpr98
	v_mul_f64 v[101:102], v[101:102], v[103:104]
	v_xor_b32_e32 v104, 0x80000000, v104
.LBB107_14:
	s_andn2_saveexec_b64 s[2:3], s[2:3]
	s_cbranch_execz .LBB107_16
; %bb.15:
	v_div_scale_f64 v[101:102], s[6:7], v[97:98], v[97:98], v[99:100]
	v_rcp_f64_e32 v[103:104], v[101:102]
	v_fma_f64 v[105:106], -v[101:102], v[103:104], 1.0
	v_fma_f64 v[103:104], v[103:104], v[105:106], v[103:104]
	v_div_scale_f64 v[105:106], vcc, v[99:100], v[97:98], v[99:100]
	v_fma_f64 v[107:108], -v[101:102], v[103:104], 1.0
	v_fma_f64 v[103:104], v[103:104], v[107:108], v[103:104]
	v_mul_f64 v[107:108], v[105:106], v[103:104]
	v_fma_f64 v[101:102], -v[101:102], v[107:108], v[105:106]
	v_div_fmas_f64 v[101:102], v[101:102], v[103:104], v[107:108]
	v_div_fixup_f64 v[103:104], v[101:102], v[97:98], v[99:100]
	v_fma_f64 v[97:98], v[99:100], v[103:104], v[97:98]
	v_div_scale_f64 v[99:100], s[6:7], v[97:98], v[97:98], 1.0
	v_div_scale_f64 v[107:108], vcc, 1.0, v[97:98], 1.0
	v_rcp_f64_e32 v[101:102], v[99:100]
	v_fma_f64 v[105:106], -v[99:100], v[101:102], 1.0
	v_fma_f64 v[101:102], v[101:102], v[105:106], v[101:102]
	v_fma_f64 v[105:106], -v[99:100], v[101:102], 1.0
	v_fma_f64 v[101:102], v[101:102], v[105:106], v[101:102]
	v_mul_f64 v[105:106], v[107:108], v[101:102]
	v_fma_f64 v[99:100], -v[99:100], v[105:106], v[107:108]
	v_div_fmas_f64 v[99:100], v[99:100], v[101:102], v[105:106]
	v_div_fixup_f64 v[101:102], v[99:100], v[97:98], 1.0
	v_mul_f64 v[103:104], v[103:104], -v[101:102]
.LBB107_16:
	s_or_b64 exec, exec, s[2:3]
	ds_write2_b64 v127, v[101:102], v[103:104] offset1:1
.LBB107_17:
	s_or_b64 exec, exec, s[4:5]
	s_waitcnt lgkmcnt(0)
	s_barrier
	ds_read2_b64 v[97:100], v127 offset1:1
	v_cmp_lt_u32_e32 vcc, 1, v0
	s_waitcnt lgkmcnt(0)
	buffer_store_dword v97, off, s[20:23], 0 offset:928 ; 4-byte Folded Spill
	s_nop 0
	buffer_store_dword v98, off, s[20:23], 0 offset:932 ; 4-byte Folded Spill
	buffer_store_dword v99, off, s[20:23], 0 offset:936 ; 4-byte Folded Spill
	;; [unrolled: 1-line block ×3, first 2 shown]
	s_and_saveexec_b64 s[2:3], vcc
	s_cbranch_execz .LBB107_19
; %bb.18:
	buffer_load_dword v107, off, s[20:23], 0 offset:464 ; 4-byte Folded Reload
	buffer_load_dword v108, off, s[20:23], 0 offset:468 ; 4-byte Folded Reload
	;; [unrolled: 1-line block ×8, first 2 shown]
	s_waitcnt vmcnt(0)
	v_mul_f64 v[97:98], v[101:102], v[109:110]
	v_fma_f64 v[97:98], v[99:100], v[107:108], -v[97:98]
	v_mul_f64 v[99:100], v[99:100], v[109:110]
	v_fma_f64 v[109:110], v[101:102], v[107:108], v[99:100]
	ds_read2_b64 v[99:102], v125 offset0:4 offset1:5
	buffer_load_dword v105, off, s[20:23], 0 offset:448 ; 4-byte Folded Reload
	buffer_load_dword v106, off, s[20:23], 0 offset:452 ; 4-byte Folded Reload
	buffer_load_dword v107, off, s[20:23], 0 offset:456 ; 4-byte Folded Reload
	buffer_load_dword v108, off, s[20:23], 0 offset:460 ; 4-byte Folded Reload
	s_waitcnt lgkmcnt(0)
	v_mul_f64 v[103:104], v[101:102], v[109:110]
	v_fma_f64 v[103:104], v[99:100], v[97:98], -v[103:104]
	v_mul_f64 v[99:100], v[99:100], v[109:110]
	v_fma_f64 v[99:100], v[101:102], v[97:98], v[99:100]
	s_waitcnt vmcnt(2)
	v_add_f64 v[105:106], v[105:106], -v[103:104]
	s_waitcnt vmcnt(0)
	v_add_f64 v[107:108], v[107:108], -v[99:100]
	buffer_store_dword v105, off, s[20:23], 0 offset:448 ; 4-byte Folded Spill
	s_nop 0
	buffer_store_dword v106, off, s[20:23], 0 offset:452 ; 4-byte Folded Spill
	buffer_store_dword v107, off, s[20:23], 0 offset:456 ; 4-byte Folded Spill
	buffer_store_dword v108, off, s[20:23], 0 offset:460 ; 4-byte Folded Spill
	ds_read2_b64 v[99:102], v125 offset0:6 offset1:7
	buffer_load_dword v105, off, s[20:23], 0 offset:432 ; 4-byte Folded Reload
	buffer_load_dword v106, off, s[20:23], 0 offset:436 ; 4-byte Folded Reload
	buffer_load_dword v107, off, s[20:23], 0 offset:440 ; 4-byte Folded Reload
	buffer_load_dword v108, off, s[20:23], 0 offset:444 ; 4-byte Folded Reload
	s_waitcnt lgkmcnt(0)
	v_mul_f64 v[103:104], v[101:102], v[109:110]
	v_fma_f64 v[103:104], v[99:100], v[97:98], -v[103:104]
	v_mul_f64 v[99:100], v[99:100], v[109:110]
	v_fma_f64 v[99:100], v[101:102], v[97:98], v[99:100]
	s_waitcnt vmcnt(2)
	v_add_f64 v[105:106], v[105:106], -v[103:104]
	s_waitcnt vmcnt(0)
	v_add_f64 v[107:108], v[107:108], -v[99:100]
	buffer_store_dword v105, off, s[20:23], 0 offset:432 ; 4-byte Folded Spill
	s_nop 0
	buffer_store_dword v106, off, s[20:23], 0 offset:436 ; 4-byte Folded Spill
	buffer_store_dword v107, off, s[20:23], 0 offset:440 ; 4-byte Folded Spill
	buffer_store_dword v108, off, s[20:23], 0 offset:444 ; 4-byte Folded Spill
	;; [unrolled: 19-line block ×28, first 2 shown]
	ds_read2_b64 v[99:102], v125 offset0:60 offset1:61
	buffer_load_dword v105, off, s[20:23], 0 ; 4-byte Folded Reload
	buffer_load_dword v106, off, s[20:23], 0 offset:4 ; 4-byte Folded Reload
	buffer_load_dword v107, off, s[20:23], 0 offset:8 ; 4-byte Folded Reload
	;; [unrolled: 1-line block ×3, first 2 shown]
	s_waitcnt lgkmcnt(0)
	v_mul_f64 v[103:104], v[101:102], v[109:110]
	v_fma_f64 v[103:104], v[99:100], v[97:98], -v[103:104]
	v_mul_f64 v[99:100], v[99:100], v[109:110]
	v_fma_f64 v[99:100], v[101:102], v[97:98], v[99:100]
	s_waitcnt vmcnt(2)
	v_add_f64 v[105:106], v[105:106], -v[103:104]
	s_waitcnt vmcnt(0)
	v_add_f64 v[107:108], v[107:108], -v[99:100]
	buffer_store_dword v105, off, s[20:23], 0 ; 4-byte Folded Spill
	s_nop 0
	buffer_store_dword v106, off, s[20:23], 0 offset:4 ; 4-byte Folded Spill
	buffer_store_dword v107, off, s[20:23], 0 offset:8 ; 4-byte Folded Spill
	;; [unrolled: 1-line block ×3, first 2 shown]
	ds_read2_b64 v[99:102], v125 offset0:62 offset1:63
	v_mov_b32_e32 v108, v98
	v_mov_b32_e32 v107, v97
	s_waitcnt lgkmcnt(0)
	v_mul_f64 v[103:104], v[101:102], v[109:110]
	v_fma_f64 v[103:104], v[99:100], v[97:98], -v[103:104]
	v_mul_f64 v[99:100], v[99:100], v[109:110]
	v_add_f64 v[93:94], v[93:94], -v[103:104]
	v_fma_f64 v[99:100], v[101:102], v[97:98], v[99:100]
	v_add_f64 v[95:96], v[95:96], -v[99:100]
	ds_read2_b64 v[99:102], v125 offset0:64 offset1:65
	s_waitcnt lgkmcnt(0)
	v_mul_f64 v[103:104], v[101:102], v[109:110]
	v_fma_f64 v[103:104], v[99:100], v[97:98], -v[103:104]
	v_mul_f64 v[99:100], v[99:100], v[109:110]
	v_add_f64 v[81:82], v[81:82], -v[103:104]
	v_fma_f64 v[99:100], v[101:102], v[97:98], v[99:100]
	v_add_f64 v[83:84], v[83:84], -v[99:100]
	ds_read2_b64 v[99:102], v125 offset0:66 offset1:67
	;; [unrolled: 8-line block ×21, first 2 shown]
	s_waitcnt lgkmcnt(0)
	v_mul_f64 v[103:104], v[101:102], v[109:110]
	v_fma_f64 v[103:104], v[99:100], v[97:98], -v[103:104]
	v_mul_f64 v[99:100], v[99:100], v[109:110]
	v_add_f64 v[1:2], v[1:2], -v[103:104]
	v_fma_f64 v[99:100], v[101:102], v[97:98], v[99:100]
	ds_read2_b64 v[101:104], v125 offset0:106 offset1:107
	v_add_f64 v[3:4], v[3:4], -v[99:100]
	s_waitcnt lgkmcnt(0)
	v_mul_f64 v[99:100], v[103:104], v[109:110]
	v_fma_f64 v[99:100], v[101:102], v[97:98], -v[99:100]
	v_mul_f64 v[101:102], v[101:102], v[109:110]
	buffer_store_dword v107, off, s[20:23], 0 offset:464 ; 4-byte Folded Spill
	s_nop 0
	buffer_store_dword v108, off, s[20:23], 0 offset:468 ; 4-byte Folded Spill
	buffer_store_dword v109, off, s[20:23], 0 offset:472 ; 4-byte Folded Spill
	;; [unrolled: 1-line block ×3, first 2 shown]
	v_add_f64 v[121:122], v[121:122], -v[99:100]
	v_fma_f64 v[101:102], v[103:104], v[97:98], v[101:102]
	v_add_f64 v[123:124], v[123:124], -v[101:102]
.LBB107_19:
	s_or_b64 exec, exec, s[2:3]
	v_cmp_eq_u32_e32 vcc, 2, v0
	s_waitcnt vmcnt(0)
	s_barrier
	s_and_saveexec_b64 s[4:5], vcc
	s_cbranch_execz .LBB107_26
; %bb.20:
	buffer_load_dword v97, off, s[20:23], 0 offset:448 ; 4-byte Folded Reload
	buffer_load_dword v98, off, s[20:23], 0 offset:452 ; 4-byte Folded Reload
	;; [unrolled: 1-line block ×4, first 2 shown]
	s_waitcnt vmcnt(0)
	ds_write2_b64 v127, v[97:98], v[99:100] offset1:1
	buffer_load_dword v97, off, s[20:23], 0 offset:432 ; 4-byte Folded Reload
	buffer_load_dword v98, off, s[20:23], 0 offset:436 ; 4-byte Folded Reload
	buffer_load_dword v99, off, s[20:23], 0 offset:440 ; 4-byte Folded Reload
	buffer_load_dword v100, off, s[20:23], 0 offset:444 ; 4-byte Folded Reload
	s_waitcnt vmcnt(0)
	ds_write2_b64 v125, v[97:98], v[99:100] offset0:6 offset1:7
	buffer_load_dword v97, off, s[20:23], 0 offset:416 ; 4-byte Folded Reload
	buffer_load_dword v98, off, s[20:23], 0 offset:420 ; 4-byte Folded Reload
	buffer_load_dword v99, off, s[20:23], 0 offset:424 ; 4-byte Folded Reload
	buffer_load_dword v100, off, s[20:23], 0 offset:428 ; 4-byte Folded Reload
	s_waitcnt vmcnt(0)
	ds_write2_b64 v125, v[97:98], v[99:100] offset0:8 offset1:9
	;; [unrolled: 6-line block ×27, first 2 shown]
	buffer_load_dword v97, off, s[20:23], 0 ; 4-byte Folded Reload
	buffer_load_dword v98, off, s[20:23], 0 offset:4 ; 4-byte Folded Reload
	buffer_load_dword v99, off, s[20:23], 0 offset:8 ; 4-byte Folded Reload
	;; [unrolled: 1-line block ×3, first 2 shown]
	s_waitcnt vmcnt(0)
	ds_write2_b64 v125, v[97:98], v[99:100] offset0:60 offset1:61
	ds_write2_b64 v125, v[93:94], v[95:96] offset0:62 offset1:63
	ds_write2_b64 v125, v[81:82], v[83:84] offset0:64 offset1:65
	ds_write2_b64 v125, v[77:78], v[79:80] offset0:66 offset1:67
	ds_write2_b64 v125, v[73:74], v[75:76] offset0:68 offset1:69
	ds_write2_b64 v125, v[69:70], v[71:72] offset0:70 offset1:71
	ds_write2_b64 v125, v[65:66], v[67:68] offset0:72 offset1:73
	ds_write2_b64 v125, v[61:62], v[63:64] offset0:74 offset1:75
	ds_write2_b64 v125, v[57:58], v[59:60] offset0:76 offset1:77
	ds_write2_b64 v125, v[53:54], v[55:56] offset0:78 offset1:79
	ds_write2_b64 v125, v[49:50], v[51:52] offset0:80 offset1:81
	ds_write2_b64 v125, v[45:46], v[47:48] offset0:82 offset1:83
	ds_write2_b64 v125, v[41:42], v[43:44] offset0:84 offset1:85
	ds_write2_b64 v125, v[37:38], v[39:40] offset0:86 offset1:87
	ds_write2_b64 v125, v[33:34], v[35:36] offset0:88 offset1:89
	ds_write2_b64 v125, v[29:30], v[31:32] offset0:90 offset1:91
	ds_write2_b64 v125, v[25:26], v[27:28] offset0:92 offset1:93
	ds_write2_b64 v125, v[21:22], v[23:24] offset0:94 offset1:95
	ds_write2_b64 v125, v[17:18], v[19:20] offset0:96 offset1:97
	ds_write2_b64 v125, v[13:14], v[15:16] offset0:98 offset1:99
	ds_write2_b64 v125, v[9:10], v[11:12] offset0:100 offset1:101
	ds_write2_b64 v125, v[5:6], v[7:8] offset0:102 offset1:103
	ds_write2_b64 v125, v[1:2], v[3:4] offset0:104 offset1:105
	ds_write2_b64 v125, v[121:122], v[123:124] offset0:106 offset1:107
	ds_read2_b64 v[97:100], v127 offset1:1
	s_waitcnt lgkmcnt(0)
	v_cmp_neq_f64_e32 vcc, 0, v[97:98]
	v_cmp_neq_f64_e64 s[2:3], 0, v[99:100]
	s_or_b64 s[2:3], vcc, s[2:3]
	s_and_b64 exec, exec, s[2:3]
	s_cbranch_execz .LBB107_26
; %bb.21:
	v_cmp_ngt_f64_e64 s[2:3], |v[97:98]|, |v[99:100]|
                                        ; implicit-def: $vgpr101_vgpr102
	s_and_saveexec_b64 s[6:7], s[2:3]
	s_xor_b64 s[2:3], exec, s[6:7]
                                        ; implicit-def: $vgpr103_vgpr104
	s_cbranch_execz .LBB107_23
; %bb.22:
	v_div_scale_f64 v[101:102], s[6:7], v[99:100], v[99:100], v[97:98]
	v_rcp_f64_e32 v[103:104], v[101:102]
	v_fma_f64 v[105:106], -v[101:102], v[103:104], 1.0
	v_fma_f64 v[103:104], v[103:104], v[105:106], v[103:104]
	v_div_scale_f64 v[105:106], vcc, v[97:98], v[99:100], v[97:98]
	v_fma_f64 v[107:108], -v[101:102], v[103:104], 1.0
	v_fma_f64 v[103:104], v[103:104], v[107:108], v[103:104]
	v_mul_f64 v[107:108], v[105:106], v[103:104]
	v_fma_f64 v[101:102], -v[101:102], v[107:108], v[105:106]
	v_div_fmas_f64 v[101:102], v[101:102], v[103:104], v[107:108]
	v_div_fixup_f64 v[101:102], v[101:102], v[99:100], v[97:98]
	v_fma_f64 v[97:98], v[97:98], v[101:102], v[99:100]
	v_div_scale_f64 v[99:100], s[6:7], v[97:98], v[97:98], 1.0
	v_div_scale_f64 v[107:108], vcc, 1.0, v[97:98], 1.0
	v_rcp_f64_e32 v[103:104], v[99:100]
	v_fma_f64 v[105:106], -v[99:100], v[103:104], 1.0
	v_fma_f64 v[103:104], v[103:104], v[105:106], v[103:104]
	v_fma_f64 v[105:106], -v[99:100], v[103:104], 1.0
	v_fma_f64 v[103:104], v[103:104], v[105:106], v[103:104]
	v_mul_f64 v[105:106], v[107:108], v[103:104]
	v_fma_f64 v[99:100], -v[99:100], v[105:106], v[107:108]
	v_div_fmas_f64 v[99:100], v[99:100], v[103:104], v[105:106]
	v_div_fixup_f64 v[103:104], v[99:100], v[97:98], 1.0
                                        ; implicit-def: $vgpr97_vgpr98
	v_mul_f64 v[101:102], v[101:102], v[103:104]
	v_xor_b32_e32 v104, 0x80000000, v104
.LBB107_23:
	s_andn2_saveexec_b64 s[2:3], s[2:3]
	s_cbranch_execz .LBB107_25
; %bb.24:
	v_div_scale_f64 v[101:102], s[6:7], v[97:98], v[97:98], v[99:100]
	v_rcp_f64_e32 v[103:104], v[101:102]
	v_fma_f64 v[105:106], -v[101:102], v[103:104], 1.0
	v_fma_f64 v[103:104], v[103:104], v[105:106], v[103:104]
	v_div_scale_f64 v[105:106], vcc, v[99:100], v[97:98], v[99:100]
	v_fma_f64 v[107:108], -v[101:102], v[103:104], 1.0
	v_fma_f64 v[103:104], v[103:104], v[107:108], v[103:104]
	v_mul_f64 v[107:108], v[105:106], v[103:104]
	v_fma_f64 v[101:102], -v[101:102], v[107:108], v[105:106]
	v_div_fmas_f64 v[101:102], v[101:102], v[103:104], v[107:108]
	v_div_fixup_f64 v[103:104], v[101:102], v[97:98], v[99:100]
	v_fma_f64 v[97:98], v[99:100], v[103:104], v[97:98]
	v_div_scale_f64 v[99:100], s[6:7], v[97:98], v[97:98], 1.0
	v_div_scale_f64 v[107:108], vcc, 1.0, v[97:98], 1.0
	v_rcp_f64_e32 v[101:102], v[99:100]
	v_fma_f64 v[105:106], -v[99:100], v[101:102], 1.0
	v_fma_f64 v[101:102], v[101:102], v[105:106], v[101:102]
	v_fma_f64 v[105:106], -v[99:100], v[101:102], 1.0
	v_fma_f64 v[101:102], v[101:102], v[105:106], v[101:102]
	v_mul_f64 v[105:106], v[107:108], v[101:102]
	v_fma_f64 v[99:100], -v[99:100], v[105:106], v[107:108]
	v_div_fmas_f64 v[99:100], v[99:100], v[101:102], v[105:106]
	v_div_fixup_f64 v[101:102], v[99:100], v[97:98], 1.0
	v_mul_f64 v[103:104], v[103:104], -v[101:102]
.LBB107_25:
	s_or_b64 exec, exec, s[2:3]
	ds_write2_b64 v127, v[101:102], v[103:104] offset1:1
.LBB107_26:
	s_or_b64 exec, exec, s[4:5]
	s_waitcnt lgkmcnt(0)
	s_barrier
	ds_read2_b64 v[117:120], v127 offset1:1
	v_cmp_lt_u32_e32 vcc, 2, v0
	s_and_saveexec_b64 s[2:3], vcc
	s_cbranch_execz .LBB107_28
; %bb.27:
	buffer_load_dword v107, off, s[20:23], 0 offset:448 ; 4-byte Folded Reload
	buffer_load_dword v108, off, s[20:23], 0 offset:452 ; 4-byte Folded Reload
	;; [unrolled: 1-line block ×4, first 2 shown]
	s_waitcnt vmcnt(0) lgkmcnt(0)
	v_mul_f64 v[97:98], v[119:120], v[109:110]
	v_mul_f64 v[99:100], v[117:118], v[109:110]
	v_fma_f64 v[97:98], v[117:118], v[107:108], -v[97:98]
	v_fma_f64 v[109:110], v[119:120], v[107:108], v[99:100]
	ds_read2_b64 v[99:102], v125 offset0:6 offset1:7
	buffer_load_dword v105, off, s[20:23], 0 offset:432 ; 4-byte Folded Reload
	buffer_load_dword v106, off, s[20:23], 0 offset:436 ; 4-byte Folded Reload
	buffer_load_dword v107, off, s[20:23], 0 offset:440 ; 4-byte Folded Reload
	buffer_load_dword v108, off, s[20:23], 0 offset:444 ; 4-byte Folded Reload
	s_waitcnt lgkmcnt(0)
	v_mul_f64 v[103:104], v[101:102], v[109:110]
	v_fma_f64 v[103:104], v[99:100], v[97:98], -v[103:104]
	v_mul_f64 v[99:100], v[99:100], v[109:110]
	v_fma_f64 v[99:100], v[101:102], v[97:98], v[99:100]
	s_waitcnt vmcnt(2)
	v_add_f64 v[105:106], v[105:106], -v[103:104]
	s_waitcnt vmcnt(0)
	v_add_f64 v[107:108], v[107:108], -v[99:100]
	buffer_store_dword v105, off, s[20:23], 0 offset:432 ; 4-byte Folded Spill
	s_nop 0
	buffer_store_dword v106, off, s[20:23], 0 offset:436 ; 4-byte Folded Spill
	buffer_store_dword v107, off, s[20:23], 0 offset:440 ; 4-byte Folded Spill
	buffer_store_dword v108, off, s[20:23], 0 offset:444 ; 4-byte Folded Spill
	ds_read2_b64 v[99:102], v125 offset0:8 offset1:9
	buffer_load_dword v105, off, s[20:23], 0 offset:416 ; 4-byte Folded Reload
	buffer_load_dword v106, off, s[20:23], 0 offset:420 ; 4-byte Folded Reload
	buffer_load_dword v107, off, s[20:23], 0 offset:424 ; 4-byte Folded Reload
	buffer_load_dword v108, off, s[20:23], 0 offset:428 ; 4-byte Folded Reload
	s_waitcnt lgkmcnt(0)
	v_mul_f64 v[103:104], v[101:102], v[109:110]
	v_fma_f64 v[103:104], v[99:100], v[97:98], -v[103:104]
	v_mul_f64 v[99:100], v[99:100], v[109:110]
	v_fma_f64 v[99:100], v[101:102], v[97:98], v[99:100]
	s_waitcnt vmcnt(2)
	v_add_f64 v[105:106], v[105:106], -v[103:104]
	s_waitcnt vmcnt(0)
	v_add_f64 v[107:108], v[107:108], -v[99:100]
	buffer_store_dword v105, off, s[20:23], 0 offset:416 ; 4-byte Folded Spill
	s_nop 0
	buffer_store_dword v106, off, s[20:23], 0 offset:420 ; 4-byte Folded Spill
	buffer_store_dword v107, off, s[20:23], 0 offset:424 ; 4-byte Folded Spill
	buffer_store_dword v108, off, s[20:23], 0 offset:428 ; 4-byte Folded Spill
	;; [unrolled: 19-line block ×27, first 2 shown]
	ds_read2_b64 v[99:102], v125 offset0:60 offset1:61
	buffer_load_dword v105, off, s[20:23], 0 ; 4-byte Folded Reload
	buffer_load_dword v106, off, s[20:23], 0 offset:4 ; 4-byte Folded Reload
	buffer_load_dword v107, off, s[20:23], 0 offset:8 ; 4-byte Folded Reload
	;; [unrolled: 1-line block ×3, first 2 shown]
	s_waitcnt lgkmcnt(0)
	v_mul_f64 v[103:104], v[101:102], v[109:110]
	v_fma_f64 v[103:104], v[99:100], v[97:98], -v[103:104]
	v_mul_f64 v[99:100], v[99:100], v[109:110]
	v_fma_f64 v[99:100], v[101:102], v[97:98], v[99:100]
	s_waitcnt vmcnt(2)
	v_add_f64 v[105:106], v[105:106], -v[103:104]
	s_waitcnt vmcnt(0)
	v_add_f64 v[107:108], v[107:108], -v[99:100]
	buffer_store_dword v105, off, s[20:23], 0 ; 4-byte Folded Spill
	s_nop 0
	buffer_store_dword v106, off, s[20:23], 0 offset:4 ; 4-byte Folded Spill
	buffer_store_dword v107, off, s[20:23], 0 offset:8 ; 4-byte Folded Spill
	;; [unrolled: 1-line block ×3, first 2 shown]
	ds_read2_b64 v[99:102], v125 offset0:62 offset1:63
	v_mov_b32_e32 v108, v98
	v_mov_b32_e32 v107, v97
	s_waitcnt lgkmcnt(0)
	v_mul_f64 v[103:104], v[101:102], v[109:110]
	v_fma_f64 v[103:104], v[99:100], v[97:98], -v[103:104]
	v_mul_f64 v[99:100], v[99:100], v[109:110]
	v_add_f64 v[93:94], v[93:94], -v[103:104]
	v_fma_f64 v[99:100], v[101:102], v[97:98], v[99:100]
	v_add_f64 v[95:96], v[95:96], -v[99:100]
	ds_read2_b64 v[99:102], v125 offset0:64 offset1:65
	s_waitcnt lgkmcnt(0)
	v_mul_f64 v[103:104], v[101:102], v[109:110]
	v_fma_f64 v[103:104], v[99:100], v[97:98], -v[103:104]
	v_mul_f64 v[99:100], v[99:100], v[109:110]
	v_add_f64 v[81:82], v[81:82], -v[103:104]
	v_fma_f64 v[99:100], v[101:102], v[97:98], v[99:100]
	v_add_f64 v[83:84], v[83:84], -v[99:100]
	ds_read2_b64 v[99:102], v125 offset0:66 offset1:67
	;; [unrolled: 8-line block ×21, first 2 shown]
	s_waitcnt lgkmcnt(0)
	v_mul_f64 v[103:104], v[101:102], v[109:110]
	v_fma_f64 v[103:104], v[99:100], v[97:98], -v[103:104]
	v_mul_f64 v[99:100], v[99:100], v[109:110]
	v_add_f64 v[1:2], v[1:2], -v[103:104]
	v_fma_f64 v[99:100], v[101:102], v[97:98], v[99:100]
	ds_read2_b64 v[101:104], v125 offset0:106 offset1:107
	v_add_f64 v[3:4], v[3:4], -v[99:100]
	s_waitcnt lgkmcnt(0)
	v_mul_f64 v[99:100], v[103:104], v[109:110]
	v_fma_f64 v[99:100], v[101:102], v[97:98], -v[99:100]
	v_mul_f64 v[101:102], v[101:102], v[109:110]
	buffer_store_dword v107, off, s[20:23], 0 offset:448 ; 4-byte Folded Spill
	s_nop 0
	buffer_store_dword v108, off, s[20:23], 0 offset:452 ; 4-byte Folded Spill
	buffer_store_dword v109, off, s[20:23], 0 offset:456 ; 4-byte Folded Spill
	;; [unrolled: 1-line block ×3, first 2 shown]
	v_add_f64 v[121:122], v[121:122], -v[99:100]
	v_fma_f64 v[101:102], v[103:104], v[97:98], v[101:102]
	v_add_f64 v[123:124], v[123:124], -v[101:102]
.LBB107_28:
	s_or_b64 exec, exec, s[2:3]
	v_cmp_eq_u32_e32 vcc, 3, v0
	s_waitcnt vmcnt(0) lgkmcnt(0)
	s_barrier
	s_and_saveexec_b64 s[4:5], vcc
	s_cbranch_execz .LBB107_35
; %bb.29:
	buffer_load_dword v97, off, s[20:23], 0 offset:432 ; 4-byte Folded Reload
	buffer_load_dword v98, off, s[20:23], 0 offset:436 ; 4-byte Folded Reload
	;; [unrolled: 1-line block ×4, first 2 shown]
	s_waitcnt vmcnt(0)
	ds_write2_b64 v127, v[97:98], v[99:100] offset1:1
	buffer_load_dword v97, off, s[20:23], 0 offset:416 ; 4-byte Folded Reload
	buffer_load_dword v98, off, s[20:23], 0 offset:420 ; 4-byte Folded Reload
	buffer_load_dword v99, off, s[20:23], 0 offset:424 ; 4-byte Folded Reload
	buffer_load_dword v100, off, s[20:23], 0 offset:428 ; 4-byte Folded Reload
	s_waitcnt vmcnt(0)
	ds_write2_b64 v125, v[97:98], v[99:100] offset0:8 offset1:9
	buffer_load_dword v97, off, s[20:23], 0 offset:400 ; 4-byte Folded Reload
	buffer_load_dword v98, off, s[20:23], 0 offset:404 ; 4-byte Folded Reload
	buffer_load_dword v99, off, s[20:23], 0 offset:408 ; 4-byte Folded Reload
	buffer_load_dword v100, off, s[20:23], 0 offset:412 ; 4-byte Folded Reload
	s_waitcnt vmcnt(0)
	ds_write2_b64 v125, v[97:98], v[99:100] offset0:10 offset1:11
	;; [unrolled: 6-line block ×26, first 2 shown]
	buffer_load_dword v97, off, s[20:23], 0 ; 4-byte Folded Reload
	buffer_load_dword v98, off, s[20:23], 0 offset:4 ; 4-byte Folded Reload
	buffer_load_dword v99, off, s[20:23], 0 offset:8 ; 4-byte Folded Reload
	buffer_load_dword v100, off, s[20:23], 0 offset:12 ; 4-byte Folded Reload
	s_waitcnt vmcnt(0)
	ds_write2_b64 v125, v[97:98], v[99:100] offset0:60 offset1:61
	ds_write2_b64 v125, v[93:94], v[95:96] offset0:62 offset1:63
	;; [unrolled: 1-line block ×24, first 2 shown]
	ds_read2_b64 v[97:100], v127 offset1:1
	s_waitcnt lgkmcnt(0)
	v_cmp_neq_f64_e32 vcc, 0, v[97:98]
	v_cmp_neq_f64_e64 s[2:3], 0, v[99:100]
	s_or_b64 s[2:3], vcc, s[2:3]
	s_and_b64 exec, exec, s[2:3]
	s_cbranch_execz .LBB107_35
; %bb.30:
	v_cmp_ngt_f64_e64 s[2:3], |v[97:98]|, |v[99:100]|
                                        ; implicit-def: $vgpr101_vgpr102
	s_and_saveexec_b64 s[6:7], s[2:3]
	s_xor_b64 s[2:3], exec, s[6:7]
                                        ; implicit-def: $vgpr103_vgpr104
	s_cbranch_execz .LBB107_32
; %bb.31:
	v_div_scale_f64 v[101:102], s[6:7], v[99:100], v[99:100], v[97:98]
	v_rcp_f64_e32 v[103:104], v[101:102]
	v_fma_f64 v[105:106], -v[101:102], v[103:104], 1.0
	v_fma_f64 v[103:104], v[103:104], v[105:106], v[103:104]
	v_div_scale_f64 v[105:106], vcc, v[97:98], v[99:100], v[97:98]
	v_fma_f64 v[107:108], -v[101:102], v[103:104], 1.0
	v_fma_f64 v[103:104], v[103:104], v[107:108], v[103:104]
	v_mul_f64 v[107:108], v[105:106], v[103:104]
	v_fma_f64 v[101:102], -v[101:102], v[107:108], v[105:106]
	v_div_fmas_f64 v[101:102], v[101:102], v[103:104], v[107:108]
	v_div_fixup_f64 v[101:102], v[101:102], v[99:100], v[97:98]
	v_fma_f64 v[97:98], v[97:98], v[101:102], v[99:100]
	v_div_scale_f64 v[99:100], s[6:7], v[97:98], v[97:98], 1.0
	v_div_scale_f64 v[107:108], vcc, 1.0, v[97:98], 1.0
	v_rcp_f64_e32 v[103:104], v[99:100]
	v_fma_f64 v[105:106], -v[99:100], v[103:104], 1.0
	v_fma_f64 v[103:104], v[103:104], v[105:106], v[103:104]
	v_fma_f64 v[105:106], -v[99:100], v[103:104], 1.0
	v_fma_f64 v[103:104], v[103:104], v[105:106], v[103:104]
	v_mul_f64 v[105:106], v[107:108], v[103:104]
	v_fma_f64 v[99:100], -v[99:100], v[105:106], v[107:108]
	v_div_fmas_f64 v[99:100], v[99:100], v[103:104], v[105:106]
	v_div_fixup_f64 v[103:104], v[99:100], v[97:98], 1.0
                                        ; implicit-def: $vgpr97_vgpr98
	v_mul_f64 v[101:102], v[101:102], v[103:104]
	v_xor_b32_e32 v104, 0x80000000, v104
.LBB107_32:
	s_andn2_saveexec_b64 s[2:3], s[2:3]
	s_cbranch_execz .LBB107_34
; %bb.33:
	v_div_scale_f64 v[101:102], s[6:7], v[97:98], v[97:98], v[99:100]
	v_rcp_f64_e32 v[103:104], v[101:102]
	v_fma_f64 v[105:106], -v[101:102], v[103:104], 1.0
	v_fma_f64 v[103:104], v[103:104], v[105:106], v[103:104]
	v_div_scale_f64 v[105:106], vcc, v[99:100], v[97:98], v[99:100]
	v_fma_f64 v[107:108], -v[101:102], v[103:104], 1.0
	v_fma_f64 v[103:104], v[103:104], v[107:108], v[103:104]
	v_mul_f64 v[107:108], v[105:106], v[103:104]
	v_fma_f64 v[101:102], -v[101:102], v[107:108], v[105:106]
	v_div_fmas_f64 v[101:102], v[101:102], v[103:104], v[107:108]
	v_div_fixup_f64 v[103:104], v[101:102], v[97:98], v[99:100]
	v_fma_f64 v[97:98], v[99:100], v[103:104], v[97:98]
	v_div_scale_f64 v[99:100], s[6:7], v[97:98], v[97:98], 1.0
	v_div_scale_f64 v[107:108], vcc, 1.0, v[97:98], 1.0
	v_rcp_f64_e32 v[101:102], v[99:100]
	v_fma_f64 v[105:106], -v[99:100], v[101:102], 1.0
	v_fma_f64 v[101:102], v[101:102], v[105:106], v[101:102]
	v_fma_f64 v[105:106], -v[99:100], v[101:102], 1.0
	v_fma_f64 v[101:102], v[101:102], v[105:106], v[101:102]
	v_mul_f64 v[105:106], v[107:108], v[101:102]
	v_fma_f64 v[99:100], -v[99:100], v[105:106], v[107:108]
	v_div_fmas_f64 v[99:100], v[99:100], v[101:102], v[105:106]
	v_div_fixup_f64 v[101:102], v[99:100], v[97:98], 1.0
	v_mul_f64 v[103:104], v[103:104], -v[101:102]
.LBB107_34:
	s_or_b64 exec, exec, s[2:3]
	ds_write2_b64 v127, v[101:102], v[103:104] offset1:1
.LBB107_35:
	s_or_b64 exec, exec, s[4:5]
	s_waitcnt lgkmcnt(0)
	s_barrier
	ds_read2_b64 v[87:90], v127 offset1:1
	v_cmp_lt_u32_e32 vcc, 3, v0
	s_waitcnt lgkmcnt(0)
	buffer_store_dword v87, off, s[20:23], 0 offset:968 ; 4-byte Folded Spill
	s_nop 0
	buffer_store_dword v88, off, s[20:23], 0 offset:972 ; 4-byte Folded Spill
	buffer_store_dword v89, off, s[20:23], 0 offset:976 ; 4-byte Folded Spill
	;; [unrolled: 1-line block ×3, first 2 shown]
	s_and_saveexec_b64 s[2:3], vcc
	s_cbranch_execz .LBB107_37
; %bb.36:
	buffer_load_dword v107, off, s[20:23], 0 offset:432 ; 4-byte Folded Reload
	buffer_load_dword v108, off, s[20:23], 0 offset:436 ; 4-byte Folded Reload
	;; [unrolled: 1-line block ×8, first 2 shown]
	s_waitcnt vmcnt(2)
	v_mul_f64 v[99:100], v[87:88], v[109:110]
	s_waitcnt vmcnt(0)
	v_mul_f64 v[97:98], v[89:90], v[109:110]
	v_fma_f64 v[109:110], v[89:90], v[107:108], v[99:100]
	ds_read2_b64 v[99:102], v125 offset0:8 offset1:9
	v_fma_f64 v[97:98], v[87:88], v[107:108], -v[97:98]
	buffer_load_dword v105, off, s[20:23], 0 offset:416 ; 4-byte Folded Reload
	buffer_load_dword v106, off, s[20:23], 0 offset:420 ; 4-byte Folded Reload
	buffer_load_dword v107, off, s[20:23], 0 offset:424 ; 4-byte Folded Reload
	buffer_load_dword v108, off, s[20:23], 0 offset:428 ; 4-byte Folded Reload
	s_waitcnt lgkmcnt(0)
	v_mul_f64 v[103:104], v[101:102], v[109:110]
	v_fma_f64 v[103:104], v[99:100], v[97:98], -v[103:104]
	v_mul_f64 v[99:100], v[99:100], v[109:110]
	v_fma_f64 v[99:100], v[101:102], v[97:98], v[99:100]
	s_waitcnt vmcnt(2)
	v_add_f64 v[105:106], v[105:106], -v[103:104]
	s_waitcnt vmcnt(0)
	v_add_f64 v[107:108], v[107:108], -v[99:100]
	buffer_store_dword v105, off, s[20:23], 0 offset:416 ; 4-byte Folded Spill
	s_nop 0
	buffer_store_dword v106, off, s[20:23], 0 offset:420 ; 4-byte Folded Spill
	buffer_store_dword v107, off, s[20:23], 0 offset:424 ; 4-byte Folded Spill
	buffer_store_dword v108, off, s[20:23], 0 offset:428 ; 4-byte Folded Spill
	ds_read2_b64 v[99:102], v125 offset0:10 offset1:11
	buffer_load_dword v105, off, s[20:23], 0 offset:400 ; 4-byte Folded Reload
	buffer_load_dword v106, off, s[20:23], 0 offset:404 ; 4-byte Folded Reload
	buffer_load_dword v107, off, s[20:23], 0 offset:408 ; 4-byte Folded Reload
	buffer_load_dword v108, off, s[20:23], 0 offset:412 ; 4-byte Folded Reload
	s_waitcnt lgkmcnt(0)
	v_mul_f64 v[103:104], v[101:102], v[109:110]
	v_fma_f64 v[103:104], v[99:100], v[97:98], -v[103:104]
	v_mul_f64 v[99:100], v[99:100], v[109:110]
	v_fma_f64 v[99:100], v[101:102], v[97:98], v[99:100]
	s_waitcnt vmcnt(2)
	v_add_f64 v[105:106], v[105:106], -v[103:104]
	s_waitcnt vmcnt(0)
	v_add_f64 v[107:108], v[107:108], -v[99:100]
	buffer_store_dword v105, off, s[20:23], 0 offset:400 ; 4-byte Folded Spill
	s_nop 0
	buffer_store_dword v106, off, s[20:23], 0 offset:404 ; 4-byte Folded Spill
	buffer_store_dword v107, off, s[20:23], 0 offset:408 ; 4-byte Folded Spill
	buffer_store_dword v108, off, s[20:23], 0 offset:412 ; 4-byte Folded Spill
	ds_read2_b64 v[99:102], v125 offset0:12 offset1:13
	;; [unrolled: 19-line block ×26, first 2 shown]
	buffer_load_dword v105, off, s[20:23], 0 ; 4-byte Folded Reload
	buffer_load_dword v106, off, s[20:23], 0 offset:4 ; 4-byte Folded Reload
	buffer_load_dword v107, off, s[20:23], 0 offset:8 ; 4-byte Folded Reload
	;; [unrolled: 1-line block ×3, first 2 shown]
	s_waitcnt lgkmcnt(0)
	v_mul_f64 v[103:104], v[101:102], v[109:110]
	v_fma_f64 v[103:104], v[99:100], v[97:98], -v[103:104]
	v_mul_f64 v[99:100], v[99:100], v[109:110]
	v_fma_f64 v[99:100], v[101:102], v[97:98], v[99:100]
	s_waitcnt vmcnt(2)
	v_add_f64 v[105:106], v[105:106], -v[103:104]
	s_waitcnt vmcnt(0)
	v_add_f64 v[107:108], v[107:108], -v[99:100]
	buffer_store_dword v105, off, s[20:23], 0 ; 4-byte Folded Spill
	s_nop 0
	buffer_store_dword v106, off, s[20:23], 0 offset:4 ; 4-byte Folded Spill
	buffer_store_dword v107, off, s[20:23], 0 offset:8 ; 4-byte Folded Spill
	;; [unrolled: 1-line block ×3, first 2 shown]
	ds_read2_b64 v[99:102], v125 offset0:62 offset1:63
	v_mov_b32_e32 v108, v98
	v_mov_b32_e32 v107, v97
	s_waitcnt lgkmcnt(0)
	v_mul_f64 v[103:104], v[101:102], v[109:110]
	v_fma_f64 v[103:104], v[99:100], v[97:98], -v[103:104]
	v_mul_f64 v[99:100], v[99:100], v[109:110]
	v_add_f64 v[93:94], v[93:94], -v[103:104]
	v_fma_f64 v[99:100], v[101:102], v[97:98], v[99:100]
	v_add_f64 v[95:96], v[95:96], -v[99:100]
	ds_read2_b64 v[99:102], v125 offset0:64 offset1:65
	s_waitcnt lgkmcnt(0)
	v_mul_f64 v[103:104], v[101:102], v[109:110]
	v_fma_f64 v[103:104], v[99:100], v[97:98], -v[103:104]
	v_mul_f64 v[99:100], v[99:100], v[109:110]
	v_add_f64 v[81:82], v[81:82], -v[103:104]
	v_fma_f64 v[99:100], v[101:102], v[97:98], v[99:100]
	v_add_f64 v[83:84], v[83:84], -v[99:100]
	ds_read2_b64 v[99:102], v125 offset0:66 offset1:67
	;; [unrolled: 8-line block ×21, first 2 shown]
	s_waitcnt lgkmcnt(0)
	v_mul_f64 v[103:104], v[101:102], v[109:110]
	v_fma_f64 v[103:104], v[99:100], v[97:98], -v[103:104]
	v_mul_f64 v[99:100], v[99:100], v[109:110]
	v_add_f64 v[1:2], v[1:2], -v[103:104]
	v_fma_f64 v[99:100], v[101:102], v[97:98], v[99:100]
	ds_read2_b64 v[101:104], v125 offset0:106 offset1:107
	v_add_f64 v[3:4], v[3:4], -v[99:100]
	s_waitcnt lgkmcnt(0)
	v_mul_f64 v[99:100], v[103:104], v[109:110]
	v_fma_f64 v[99:100], v[101:102], v[97:98], -v[99:100]
	v_mul_f64 v[101:102], v[101:102], v[109:110]
	buffer_store_dword v107, off, s[20:23], 0 offset:432 ; 4-byte Folded Spill
	s_nop 0
	buffer_store_dword v108, off, s[20:23], 0 offset:436 ; 4-byte Folded Spill
	buffer_store_dword v109, off, s[20:23], 0 offset:440 ; 4-byte Folded Spill
	;; [unrolled: 1-line block ×3, first 2 shown]
	v_add_f64 v[121:122], v[121:122], -v[99:100]
	v_fma_f64 v[101:102], v[103:104], v[97:98], v[101:102]
	v_add_f64 v[123:124], v[123:124], -v[101:102]
.LBB107_37:
	s_or_b64 exec, exec, s[2:3]
	v_cmp_eq_u32_e32 vcc, 4, v0
	s_waitcnt vmcnt(0)
	s_barrier
	s_and_saveexec_b64 s[4:5], vcc
	s_cbranch_execz .LBB107_44
; %bb.38:
	buffer_load_dword v97, off, s[20:23], 0 offset:416 ; 4-byte Folded Reload
	buffer_load_dword v98, off, s[20:23], 0 offset:420 ; 4-byte Folded Reload
	;; [unrolled: 1-line block ×4, first 2 shown]
	s_waitcnt vmcnt(0)
	ds_write2_b64 v127, v[97:98], v[99:100] offset1:1
	buffer_load_dword v97, off, s[20:23], 0 offset:400 ; 4-byte Folded Reload
	buffer_load_dword v98, off, s[20:23], 0 offset:404 ; 4-byte Folded Reload
	buffer_load_dword v99, off, s[20:23], 0 offset:408 ; 4-byte Folded Reload
	buffer_load_dword v100, off, s[20:23], 0 offset:412 ; 4-byte Folded Reload
	s_waitcnt vmcnt(0)
	ds_write2_b64 v125, v[97:98], v[99:100] offset0:10 offset1:11
	buffer_load_dword v97, off, s[20:23], 0 offset:384 ; 4-byte Folded Reload
	buffer_load_dword v98, off, s[20:23], 0 offset:388 ; 4-byte Folded Reload
	buffer_load_dword v99, off, s[20:23], 0 offset:392 ; 4-byte Folded Reload
	buffer_load_dword v100, off, s[20:23], 0 offset:396 ; 4-byte Folded Reload
	s_waitcnt vmcnt(0)
	ds_write2_b64 v125, v[97:98], v[99:100] offset0:12 offset1:13
	;; [unrolled: 6-line block ×25, first 2 shown]
	buffer_load_dword v97, off, s[20:23], 0 ; 4-byte Folded Reload
	buffer_load_dword v98, off, s[20:23], 0 offset:4 ; 4-byte Folded Reload
	buffer_load_dword v99, off, s[20:23], 0 offset:8 ; 4-byte Folded Reload
	;; [unrolled: 1-line block ×3, first 2 shown]
	s_waitcnt vmcnt(0)
	ds_write2_b64 v125, v[97:98], v[99:100] offset0:60 offset1:61
	ds_write2_b64 v125, v[93:94], v[95:96] offset0:62 offset1:63
	;; [unrolled: 1-line block ×24, first 2 shown]
	ds_read2_b64 v[97:100], v127 offset1:1
	s_waitcnt lgkmcnt(0)
	v_cmp_neq_f64_e32 vcc, 0, v[97:98]
	v_cmp_neq_f64_e64 s[2:3], 0, v[99:100]
	s_or_b64 s[2:3], vcc, s[2:3]
	s_and_b64 exec, exec, s[2:3]
	s_cbranch_execz .LBB107_44
; %bb.39:
	v_cmp_ngt_f64_e64 s[2:3], |v[97:98]|, |v[99:100]|
                                        ; implicit-def: $vgpr101_vgpr102
	s_and_saveexec_b64 s[6:7], s[2:3]
	s_xor_b64 s[2:3], exec, s[6:7]
                                        ; implicit-def: $vgpr103_vgpr104
	s_cbranch_execz .LBB107_41
; %bb.40:
	v_div_scale_f64 v[101:102], s[6:7], v[99:100], v[99:100], v[97:98]
	v_rcp_f64_e32 v[103:104], v[101:102]
	v_fma_f64 v[105:106], -v[101:102], v[103:104], 1.0
	v_fma_f64 v[103:104], v[103:104], v[105:106], v[103:104]
	v_div_scale_f64 v[105:106], vcc, v[97:98], v[99:100], v[97:98]
	v_fma_f64 v[107:108], -v[101:102], v[103:104], 1.0
	v_fma_f64 v[103:104], v[103:104], v[107:108], v[103:104]
	v_mul_f64 v[107:108], v[105:106], v[103:104]
	v_fma_f64 v[101:102], -v[101:102], v[107:108], v[105:106]
	v_div_fmas_f64 v[101:102], v[101:102], v[103:104], v[107:108]
	v_div_fixup_f64 v[101:102], v[101:102], v[99:100], v[97:98]
	v_fma_f64 v[97:98], v[97:98], v[101:102], v[99:100]
	v_div_scale_f64 v[99:100], s[6:7], v[97:98], v[97:98], 1.0
	v_div_scale_f64 v[107:108], vcc, 1.0, v[97:98], 1.0
	v_rcp_f64_e32 v[103:104], v[99:100]
	v_fma_f64 v[105:106], -v[99:100], v[103:104], 1.0
	v_fma_f64 v[103:104], v[103:104], v[105:106], v[103:104]
	v_fma_f64 v[105:106], -v[99:100], v[103:104], 1.0
	v_fma_f64 v[103:104], v[103:104], v[105:106], v[103:104]
	v_mul_f64 v[105:106], v[107:108], v[103:104]
	v_fma_f64 v[99:100], -v[99:100], v[105:106], v[107:108]
	v_div_fmas_f64 v[99:100], v[99:100], v[103:104], v[105:106]
	v_div_fixup_f64 v[103:104], v[99:100], v[97:98], 1.0
                                        ; implicit-def: $vgpr97_vgpr98
	v_mul_f64 v[101:102], v[101:102], v[103:104]
	v_xor_b32_e32 v104, 0x80000000, v104
.LBB107_41:
	s_andn2_saveexec_b64 s[2:3], s[2:3]
	s_cbranch_execz .LBB107_43
; %bb.42:
	v_div_scale_f64 v[101:102], s[6:7], v[97:98], v[97:98], v[99:100]
	v_rcp_f64_e32 v[103:104], v[101:102]
	v_fma_f64 v[105:106], -v[101:102], v[103:104], 1.0
	v_fma_f64 v[103:104], v[103:104], v[105:106], v[103:104]
	v_div_scale_f64 v[105:106], vcc, v[99:100], v[97:98], v[99:100]
	v_fma_f64 v[107:108], -v[101:102], v[103:104], 1.0
	v_fma_f64 v[103:104], v[103:104], v[107:108], v[103:104]
	v_mul_f64 v[107:108], v[105:106], v[103:104]
	v_fma_f64 v[101:102], -v[101:102], v[107:108], v[105:106]
	v_div_fmas_f64 v[101:102], v[101:102], v[103:104], v[107:108]
	v_div_fixup_f64 v[103:104], v[101:102], v[97:98], v[99:100]
	v_fma_f64 v[97:98], v[99:100], v[103:104], v[97:98]
	v_div_scale_f64 v[99:100], s[6:7], v[97:98], v[97:98], 1.0
	v_div_scale_f64 v[107:108], vcc, 1.0, v[97:98], 1.0
	v_rcp_f64_e32 v[101:102], v[99:100]
	v_fma_f64 v[105:106], -v[99:100], v[101:102], 1.0
	v_fma_f64 v[101:102], v[101:102], v[105:106], v[101:102]
	v_fma_f64 v[105:106], -v[99:100], v[101:102], 1.0
	v_fma_f64 v[101:102], v[101:102], v[105:106], v[101:102]
	v_mul_f64 v[105:106], v[107:108], v[101:102]
	v_fma_f64 v[99:100], -v[99:100], v[105:106], v[107:108]
	v_div_fmas_f64 v[99:100], v[99:100], v[101:102], v[105:106]
	v_div_fixup_f64 v[101:102], v[99:100], v[97:98], 1.0
	v_mul_f64 v[103:104], v[103:104], -v[101:102]
.LBB107_43:
	s_or_b64 exec, exec, s[2:3]
	ds_write2_b64 v127, v[101:102], v[103:104] offset1:1
.LBB107_44:
	s_or_b64 exec, exec, s[4:5]
	s_waitcnt lgkmcnt(0)
	s_barrier
	ds_read2_b64 v[87:90], v127 offset1:1
	v_cmp_lt_u32_e32 vcc, 4, v0
	s_waitcnt lgkmcnt(0)
	buffer_store_dword v87, off, s[20:23], 0 offset:984 ; 4-byte Folded Spill
	s_nop 0
	buffer_store_dword v88, off, s[20:23], 0 offset:988 ; 4-byte Folded Spill
	buffer_store_dword v89, off, s[20:23], 0 offset:992 ; 4-byte Folded Spill
	;; [unrolled: 1-line block ×3, first 2 shown]
	s_and_saveexec_b64 s[2:3], vcc
	s_cbranch_execz .LBB107_46
; %bb.45:
	buffer_load_dword v107, off, s[20:23], 0 offset:416 ; 4-byte Folded Reload
	buffer_load_dword v108, off, s[20:23], 0 offset:420 ; 4-byte Folded Reload
	;; [unrolled: 1-line block ×8, first 2 shown]
	s_waitcnt vmcnt(2)
	v_mul_f64 v[99:100], v[87:88], v[109:110]
	s_waitcnt vmcnt(0)
	v_mul_f64 v[97:98], v[89:90], v[109:110]
	v_fma_f64 v[109:110], v[89:90], v[107:108], v[99:100]
	ds_read2_b64 v[99:102], v125 offset0:10 offset1:11
	v_fma_f64 v[97:98], v[87:88], v[107:108], -v[97:98]
	buffer_load_dword v105, off, s[20:23], 0 offset:400 ; 4-byte Folded Reload
	buffer_load_dword v106, off, s[20:23], 0 offset:404 ; 4-byte Folded Reload
	buffer_load_dword v107, off, s[20:23], 0 offset:408 ; 4-byte Folded Reload
	buffer_load_dword v108, off, s[20:23], 0 offset:412 ; 4-byte Folded Reload
	s_waitcnt lgkmcnt(0)
	v_mul_f64 v[103:104], v[101:102], v[109:110]
	v_fma_f64 v[103:104], v[99:100], v[97:98], -v[103:104]
	v_mul_f64 v[99:100], v[99:100], v[109:110]
	v_fma_f64 v[99:100], v[101:102], v[97:98], v[99:100]
	s_waitcnt vmcnt(2)
	v_add_f64 v[105:106], v[105:106], -v[103:104]
	s_waitcnt vmcnt(0)
	v_add_f64 v[107:108], v[107:108], -v[99:100]
	buffer_store_dword v105, off, s[20:23], 0 offset:400 ; 4-byte Folded Spill
	s_nop 0
	buffer_store_dword v106, off, s[20:23], 0 offset:404 ; 4-byte Folded Spill
	buffer_store_dword v107, off, s[20:23], 0 offset:408 ; 4-byte Folded Spill
	buffer_store_dword v108, off, s[20:23], 0 offset:412 ; 4-byte Folded Spill
	ds_read2_b64 v[99:102], v125 offset0:12 offset1:13
	buffer_load_dword v105, off, s[20:23], 0 offset:384 ; 4-byte Folded Reload
	buffer_load_dword v106, off, s[20:23], 0 offset:388 ; 4-byte Folded Reload
	buffer_load_dword v107, off, s[20:23], 0 offset:392 ; 4-byte Folded Reload
	buffer_load_dword v108, off, s[20:23], 0 offset:396 ; 4-byte Folded Reload
	s_waitcnt lgkmcnt(0)
	v_mul_f64 v[103:104], v[101:102], v[109:110]
	v_fma_f64 v[103:104], v[99:100], v[97:98], -v[103:104]
	v_mul_f64 v[99:100], v[99:100], v[109:110]
	v_fma_f64 v[99:100], v[101:102], v[97:98], v[99:100]
	s_waitcnt vmcnt(2)
	v_add_f64 v[105:106], v[105:106], -v[103:104]
	s_waitcnt vmcnt(0)
	v_add_f64 v[107:108], v[107:108], -v[99:100]
	buffer_store_dword v105, off, s[20:23], 0 offset:384 ; 4-byte Folded Spill
	s_nop 0
	buffer_store_dword v106, off, s[20:23], 0 offset:388 ; 4-byte Folded Spill
	buffer_store_dword v107, off, s[20:23], 0 offset:392 ; 4-byte Folded Spill
	buffer_store_dword v108, off, s[20:23], 0 offset:396 ; 4-byte Folded Spill
	ds_read2_b64 v[99:102], v125 offset0:14 offset1:15
	;; [unrolled: 19-line block ×25, first 2 shown]
	buffer_load_dword v105, off, s[20:23], 0 ; 4-byte Folded Reload
	buffer_load_dword v106, off, s[20:23], 0 offset:4 ; 4-byte Folded Reload
	buffer_load_dword v107, off, s[20:23], 0 offset:8 ; 4-byte Folded Reload
	;; [unrolled: 1-line block ×3, first 2 shown]
	s_waitcnt lgkmcnt(0)
	v_mul_f64 v[103:104], v[101:102], v[109:110]
	v_fma_f64 v[103:104], v[99:100], v[97:98], -v[103:104]
	v_mul_f64 v[99:100], v[99:100], v[109:110]
	v_fma_f64 v[99:100], v[101:102], v[97:98], v[99:100]
	s_waitcnt vmcnt(2)
	v_add_f64 v[105:106], v[105:106], -v[103:104]
	s_waitcnt vmcnt(0)
	v_add_f64 v[107:108], v[107:108], -v[99:100]
	buffer_store_dword v105, off, s[20:23], 0 ; 4-byte Folded Spill
	s_nop 0
	buffer_store_dword v106, off, s[20:23], 0 offset:4 ; 4-byte Folded Spill
	buffer_store_dword v107, off, s[20:23], 0 offset:8 ; 4-byte Folded Spill
	;; [unrolled: 1-line block ×3, first 2 shown]
	ds_read2_b64 v[99:102], v125 offset0:62 offset1:63
	v_mov_b32_e32 v108, v98
	v_mov_b32_e32 v107, v97
	s_waitcnt lgkmcnt(0)
	v_mul_f64 v[103:104], v[101:102], v[109:110]
	v_fma_f64 v[103:104], v[99:100], v[97:98], -v[103:104]
	v_mul_f64 v[99:100], v[99:100], v[109:110]
	v_add_f64 v[93:94], v[93:94], -v[103:104]
	v_fma_f64 v[99:100], v[101:102], v[97:98], v[99:100]
	v_add_f64 v[95:96], v[95:96], -v[99:100]
	ds_read2_b64 v[99:102], v125 offset0:64 offset1:65
	s_waitcnt lgkmcnt(0)
	v_mul_f64 v[103:104], v[101:102], v[109:110]
	v_fma_f64 v[103:104], v[99:100], v[97:98], -v[103:104]
	v_mul_f64 v[99:100], v[99:100], v[109:110]
	v_add_f64 v[81:82], v[81:82], -v[103:104]
	v_fma_f64 v[99:100], v[101:102], v[97:98], v[99:100]
	v_add_f64 v[83:84], v[83:84], -v[99:100]
	ds_read2_b64 v[99:102], v125 offset0:66 offset1:67
	;; [unrolled: 8-line block ×21, first 2 shown]
	s_waitcnt lgkmcnt(0)
	v_mul_f64 v[103:104], v[101:102], v[109:110]
	v_fma_f64 v[103:104], v[99:100], v[97:98], -v[103:104]
	v_mul_f64 v[99:100], v[99:100], v[109:110]
	v_add_f64 v[1:2], v[1:2], -v[103:104]
	v_fma_f64 v[99:100], v[101:102], v[97:98], v[99:100]
	ds_read2_b64 v[101:104], v125 offset0:106 offset1:107
	v_add_f64 v[3:4], v[3:4], -v[99:100]
	s_waitcnt lgkmcnt(0)
	v_mul_f64 v[99:100], v[103:104], v[109:110]
	v_fma_f64 v[99:100], v[101:102], v[97:98], -v[99:100]
	v_mul_f64 v[101:102], v[101:102], v[109:110]
	buffer_store_dword v107, off, s[20:23], 0 offset:416 ; 4-byte Folded Spill
	s_nop 0
	buffer_store_dword v108, off, s[20:23], 0 offset:420 ; 4-byte Folded Spill
	buffer_store_dword v109, off, s[20:23], 0 offset:424 ; 4-byte Folded Spill
	;; [unrolled: 1-line block ×3, first 2 shown]
	v_add_f64 v[121:122], v[121:122], -v[99:100]
	v_fma_f64 v[101:102], v[103:104], v[97:98], v[101:102]
	v_add_f64 v[123:124], v[123:124], -v[101:102]
.LBB107_46:
	s_or_b64 exec, exec, s[2:3]
	v_cmp_eq_u32_e32 vcc, 5, v0
	s_waitcnt vmcnt(0)
	s_barrier
	s_and_saveexec_b64 s[4:5], vcc
	s_cbranch_execz .LBB107_53
; %bb.47:
	buffer_load_dword v97, off, s[20:23], 0 offset:400 ; 4-byte Folded Reload
	buffer_load_dword v98, off, s[20:23], 0 offset:404 ; 4-byte Folded Reload
	;; [unrolled: 1-line block ×4, first 2 shown]
	s_waitcnt vmcnt(0)
	ds_write2_b64 v127, v[97:98], v[99:100] offset1:1
	buffer_load_dword v97, off, s[20:23], 0 offset:384 ; 4-byte Folded Reload
	buffer_load_dword v98, off, s[20:23], 0 offset:388 ; 4-byte Folded Reload
	buffer_load_dword v99, off, s[20:23], 0 offset:392 ; 4-byte Folded Reload
	buffer_load_dword v100, off, s[20:23], 0 offset:396 ; 4-byte Folded Reload
	s_waitcnt vmcnt(0)
	ds_write2_b64 v125, v[97:98], v[99:100] offset0:12 offset1:13
	buffer_load_dword v97, off, s[20:23], 0 offset:368 ; 4-byte Folded Reload
	buffer_load_dword v98, off, s[20:23], 0 offset:372 ; 4-byte Folded Reload
	buffer_load_dword v99, off, s[20:23], 0 offset:376 ; 4-byte Folded Reload
	buffer_load_dword v100, off, s[20:23], 0 offset:380 ; 4-byte Folded Reload
	s_waitcnt vmcnt(0)
	ds_write2_b64 v125, v[97:98], v[99:100] offset0:14 offset1:15
	;; [unrolled: 6-line block ×24, first 2 shown]
	buffer_load_dword v97, off, s[20:23], 0 ; 4-byte Folded Reload
	buffer_load_dword v98, off, s[20:23], 0 offset:4 ; 4-byte Folded Reload
	buffer_load_dword v99, off, s[20:23], 0 offset:8 ; 4-byte Folded Reload
	buffer_load_dword v100, off, s[20:23], 0 offset:12 ; 4-byte Folded Reload
	s_waitcnt vmcnt(0)
	ds_write2_b64 v125, v[97:98], v[99:100] offset0:60 offset1:61
	ds_write2_b64 v125, v[93:94], v[95:96] offset0:62 offset1:63
	;; [unrolled: 1-line block ×24, first 2 shown]
	ds_read2_b64 v[97:100], v127 offset1:1
	s_waitcnt lgkmcnt(0)
	v_cmp_neq_f64_e32 vcc, 0, v[97:98]
	v_cmp_neq_f64_e64 s[2:3], 0, v[99:100]
	s_or_b64 s[2:3], vcc, s[2:3]
	s_and_b64 exec, exec, s[2:3]
	s_cbranch_execz .LBB107_53
; %bb.48:
	v_cmp_ngt_f64_e64 s[2:3], |v[97:98]|, |v[99:100]|
                                        ; implicit-def: $vgpr101_vgpr102
	s_and_saveexec_b64 s[6:7], s[2:3]
	s_xor_b64 s[2:3], exec, s[6:7]
                                        ; implicit-def: $vgpr103_vgpr104
	s_cbranch_execz .LBB107_50
; %bb.49:
	v_div_scale_f64 v[101:102], s[6:7], v[99:100], v[99:100], v[97:98]
	v_rcp_f64_e32 v[103:104], v[101:102]
	v_fma_f64 v[105:106], -v[101:102], v[103:104], 1.0
	v_fma_f64 v[103:104], v[103:104], v[105:106], v[103:104]
	v_div_scale_f64 v[105:106], vcc, v[97:98], v[99:100], v[97:98]
	v_fma_f64 v[107:108], -v[101:102], v[103:104], 1.0
	v_fma_f64 v[103:104], v[103:104], v[107:108], v[103:104]
	v_mul_f64 v[107:108], v[105:106], v[103:104]
	v_fma_f64 v[101:102], -v[101:102], v[107:108], v[105:106]
	v_div_fmas_f64 v[101:102], v[101:102], v[103:104], v[107:108]
	v_div_fixup_f64 v[101:102], v[101:102], v[99:100], v[97:98]
	v_fma_f64 v[97:98], v[97:98], v[101:102], v[99:100]
	v_div_scale_f64 v[99:100], s[6:7], v[97:98], v[97:98], 1.0
	v_div_scale_f64 v[107:108], vcc, 1.0, v[97:98], 1.0
	v_rcp_f64_e32 v[103:104], v[99:100]
	v_fma_f64 v[105:106], -v[99:100], v[103:104], 1.0
	v_fma_f64 v[103:104], v[103:104], v[105:106], v[103:104]
	v_fma_f64 v[105:106], -v[99:100], v[103:104], 1.0
	v_fma_f64 v[103:104], v[103:104], v[105:106], v[103:104]
	v_mul_f64 v[105:106], v[107:108], v[103:104]
	v_fma_f64 v[99:100], -v[99:100], v[105:106], v[107:108]
	v_div_fmas_f64 v[99:100], v[99:100], v[103:104], v[105:106]
	v_div_fixup_f64 v[103:104], v[99:100], v[97:98], 1.0
                                        ; implicit-def: $vgpr97_vgpr98
	v_mul_f64 v[101:102], v[101:102], v[103:104]
	v_xor_b32_e32 v104, 0x80000000, v104
.LBB107_50:
	s_andn2_saveexec_b64 s[2:3], s[2:3]
	s_cbranch_execz .LBB107_52
; %bb.51:
	v_div_scale_f64 v[101:102], s[6:7], v[97:98], v[97:98], v[99:100]
	v_rcp_f64_e32 v[103:104], v[101:102]
	v_fma_f64 v[105:106], -v[101:102], v[103:104], 1.0
	v_fma_f64 v[103:104], v[103:104], v[105:106], v[103:104]
	v_div_scale_f64 v[105:106], vcc, v[99:100], v[97:98], v[99:100]
	v_fma_f64 v[107:108], -v[101:102], v[103:104], 1.0
	v_fma_f64 v[103:104], v[103:104], v[107:108], v[103:104]
	v_mul_f64 v[107:108], v[105:106], v[103:104]
	v_fma_f64 v[101:102], -v[101:102], v[107:108], v[105:106]
	v_div_fmas_f64 v[101:102], v[101:102], v[103:104], v[107:108]
	v_div_fixup_f64 v[103:104], v[101:102], v[97:98], v[99:100]
	v_fma_f64 v[97:98], v[99:100], v[103:104], v[97:98]
	v_div_scale_f64 v[99:100], s[6:7], v[97:98], v[97:98], 1.0
	v_div_scale_f64 v[107:108], vcc, 1.0, v[97:98], 1.0
	v_rcp_f64_e32 v[101:102], v[99:100]
	v_fma_f64 v[105:106], -v[99:100], v[101:102], 1.0
	v_fma_f64 v[101:102], v[101:102], v[105:106], v[101:102]
	v_fma_f64 v[105:106], -v[99:100], v[101:102], 1.0
	v_fma_f64 v[101:102], v[101:102], v[105:106], v[101:102]
	v_mul_f64 v[105:106], v[107:108], v[101:102]
	v_fma_f64 v[99:100], -v[99:100], v[105:106], v[107:108]
	v_div_fmas_f64 v[99:100], v[99:100], v[101:102], v[105:106]
	v_div_fixup_f64 v[101:102], v[99:100], v[97:98], 1.0
	v_mul_f64 v[103:104], v[103:104], -v[101:102]
.LBB107_52:
	s_or_b64 exec, exec, s[2:3]
	ds_write2_b64 v127, v[101:102], v[103:104] offset1:1
.LBB107_53:
	s_or_b64 exec, exec, s[4:5]
	s_waitcnt lgkmcnt(0)
	s_barrier
	ds_read2_b64 v[87:90], v127 offset1:1
	v_cmp_lt_u32_e32 vcc, 5, v0
	s_waitcnt lgkmcnt(0)
	buffer_store_dword v87, off, s[20:23], 0 offset:1000 ; 4-byte Folded Spill
	s_nop 0
	buffer_store_dword v88, off, s[20:23], 0 offset:1004 ; 4-byte Folded Spill
	buffer_store_dword v89, off, s[20:23], 0 offset:1008 ; 4-byte Folded Spill
	;; [unrolled: 1-line block ×3, first 2 shown]
	s_and_saveexec_b64 s[2:3], vcc
	s_cbranch_execz .LBB107_55
; %bb.54:
	buffer_load_dword v107, off, s[20:23], 0 offset:400 ; 4-byte Folded Reload
	buffer_load_dword v108, off, s[20:23], 0 offset:404 ; 4-byte Folded Reload
	buffer_load_dword v109, off, s[20:23], 0 offset:408 ; 4-byte Folded Reload
	buffer_load_dword v110, off, s[20:23], 0 offset:412 ; 4-byte Folded Reload
	buffer_load_dword v87, off, s[20:23], 0 offset:1000 ; 4-byte Folded Reload
	buffer_load_dword v88, off, s[20:23], 0 offset:1004 ; 4-byte Folded Reload
	buffer_load_dword v89, off, s[20:23], 0 offset:1008 ; 4-byte Folded Reload
	buffer_load_dword v90, off, s[20:23], 0 offset:1012 ; 4-byte Folded Reload
	s_waitcnt vmcnt(2)
	v_mul_f64 v[99:100], v[87:88], v[109:110]
	s_waitcnt vmcnt(0)
	v_mul_f64 v[97:98], v[89:90], v[109:110]
	v_fma_f64 v[109:110], v[89:90], v[107:108], v[99:100]
	ds_read2_b64 v[99:102], v125 offset0:12 offset1:13
	v_fma_f64 v[97:98], v[87:88], v[107:108], -v[97:98]
	buffer_load_dword v105, off, s[20:23], 0 offset:384 ; 4-byte Folded Reload
	buffer_load_dword v106, off, s[20:23], 0 offset:388 ; 4-byte Folded Reload
	buffer_load_dword v107, off, s[20:23], 0 offset:392 ; 4-byte Folded Reload
	buffer_load_dword v108, off, s[20:23], 0 offset:396 ; 4-byte Folded Reload
	s_waitcnt lgkmcnt(0)
	v_mul_f64 v[103:104], v[101:102], v[109:110]
	v_fma_f64 v[103:104], v[99:100], v[97:98], -v[103:104]
	v_mul_f64 v[99:100], v[99:100], v[109:110]
	v_fma_f64 v[99:100], v[101:102], v[97:98], v[99:100]
	s_waitcnt vmcnt(2)
	v_add_f64 v[105:106], v[105:106], -v[103:104]
	s_waitcnt vmcnt(0)
	v_add_f64 v[107:108], v[107:108], -v[99:100]
	buffer_store_dword v105, off, s[20:23], 0 offset:384 ; 4-byte Folded Spill
	s_nop 0
	buffer_store_dword v106, off, s[20:23], 0 offset:388 ; 4-byte Folded Spill
	buffer_store_dword v107, off, s[20:23], 0 offset:392 ; 4-byte Folded Spill
	buffer_store_dword v108, off, s[20:23], 0 offset:396 ; 4-byte Folded Spill
	ds_read2_b64 v[99:102], v125 offset0:14 offset1:15
	buffer_load_dword v105, off, s[20:23], 0 offset:368 ; 4-byte Folded Reload
	buffer_load_dword v106, off, s[20:23], 0 offset:372 ; 4-byte Folded Reload
	buffer_load_dword v107, off, s[20:23], 0 offset:376 ; 4-byte Folded Reload
	buffer_load_dword v108, off, s[20:23], 0 offset:380 ; 4-byte Folded Reload
	s_waitcnt lgkmcnt(0)
	v_mul_f64 v[103:104], v[101:102], v[109:110]
	v_fma_f64 v[103:104], v[99:100], v[97:98], -v[103:104]
	v_mul_f64 v[99:100], v[99:100], v[109:110]
	v_fma_f64 v[99:100], v[101:102], v[97:98], v[99:100]
	s_waitcnt vmcnt(2)
	v_add_f64 v[105:106], v[105:106], -v[103:104]
	s_waitcnt vmcnt(0)
	v_add_f64 v[107:108], v[107:108], -v[99:100]
	buffer_store_dword v105, off, s[20:23], 0 offset:368 ; 4-byte Folded Spill
	s_nop 0
	buffer_store_dword v106, off, s[20:23], 0 offset:372 ; 4-byte Folded Spill
	buffer_store_dword v107, off, s[20:23], 0 offset:376 ; 4-byte Folded Spill
	buffer_store_dword v108, off, s[20:23], 0 offset:380 ; 4-byte Folded Spill
	ds_read2_b64 v[99:102], v125 offset0:16 offset1:17
	;; [unrolled: 19-line block ×24, first 2 shown]
	buffer_load_dword v105, off, s[20:23], 0 ; 4-byte Folded Reload
	buffer_load_dword v106, off, s[20:23], 0 offset:4 ; 4-byte Folded Reload
	buffer_load_dword v107, off, s[20:23], 0 offset:8 ; 4-byte Folded Reload
	;; [unrolled: 1-line block ×3, first 2 shown]
	s_waitcnt lgkmcnt(0)
	v_mul_f64 v[103:104], v[101:102], v[109:110]
	v_fma_f64 v[103:104], v[99:100], v[97:98], -v[103:104]
	v_mul_f64 v[99:100], v[99:100], v[109:110]
	v_fma_f64 v[99:100], v[101:102], v[97:98], v[99:100]
	s_waitcnt vmcnt(2)
	v_add_f64 v[105:106], v[105:106], -v[103:104]
	s_waitcnt vmcnt(0)
	v_add_f64 v[107:108], v[107:108], -v[99:100]
	buffer_store_dword v105, off, s[20:23], 0 ; 4-byte Folded Spill
	s_nop 0
	buffer_store_dword v106, off, s[20:23], 0 offset:4 ; 4-byte Folded Spill
	buffer_store_dword v107, off, s[20:23], 0 offset:8 ; 4-byte Folded Spill
	;; [unrolled: 1-line block ×3, first 2 shown]
	ds_read2_b64 v[99:102], v125 offset0:62 offset1:63
	v_mov_b32_e32 v108, v98
	v_mov_b32_e32 v107, v97
	s_waitcnt lgkmcnt(0)
	v_mul_f64 v[103:104], v[101:102], v[109:110]
	v_fma_f64 v[103:104], v[99:100], v[97:98], -v[103:104]
	v_mul_f64 v[99:100], v[99:100], v[109:110]
	v_add_f64 v[93:94], v[93:94], -v[103:104]
	v_fma_f64 v[99:100], v[101:102], v[97:98], v[99:100]
	v_add_f64 v[95:96], v[95:96], -v[99:100]
	ds_read2_b64 v[99:102], v125 offset0:64 offset1:65
	s_waitcnt lgkmcnt(0)
	v_mul_f64 v[103:104], v[101:102], v[109:110]
	v_fma_f64 v[103:104], v[99:100], v[97:98], -v[103:104]
	v_mul_f64 v[99:100], v[99:100], v[109:110]
	v_add_f64 v[81:82], v[81:82], -v[103:104]
	v_fma_f64 v[99:100], v[101:102], v[97:98], v[99:100]
	v_add_f64 v[83:84], v[83:84], -v[99:100]
	ds_read2_b64 v[99:102], v125 offset0:66 offset1:67
	;; [unrolled: 8-line block ×21, first 2 shown]
	s_waitcnt lgkmcnt(0)
	v_mul_f64 v[103:104], v[101:102], v[109:110]
	v_fma_f64 v[103:104], v[99:100], v[97:98], -v[103:104]
	v_mul_f64 v[99:100], v[99:100], v[109:110]
	v_add_f64 v[1:2], v[1:2], -v[103:104]
	v_fma_f64 v[99:100], v[101:102], v[97:98], v[99:100]
	ds_read2_b64 v[101:104], v125 offset0:106 offset1:107
	v_add_f64 v[3:4], v[3:4], -v[99:100]
	s_waitcnt lgkmcnt(0)
	v_mul_f64 v[99:100], v[103:104], v[109:110]
	v_fma_f64 v[99:100], v[101:102], v[97:98], -v[99:100]
	v_mul_f64 v[101:102], v[101:102], v[109:110]
	buffer_store_dword v107, off, s[20:23], 0 offset:400 ; 4-byte Folded Spill
	s_nop 0
	buffer_store_dword v108, off, s[20:23], 0 offset:404 ; 4-byte Folded Spill
	buffer_store_dword v109, off, s[20:23], 0 offset:408 ; 4-byte Folded Spill
	;; [unrolled: 1-line block ×3, first 2 shown]
	v_add_f64 v[121:122], v[121:122], -v[99:100]
	v_fma_f64 v[101:102], v[103:104], v[97:98], v[101:102]
	v_add_f64 v[123:124], v[123:124], -v[101:102]
.LBB107_55:
	s_or_b64 exec, exec, s[2:3]
	v_cmp_eq_u32_e32 vcc, 6, v0
	s_waitcnt vmcnt(0)
	s_barrier
	s_and_saveexec_b64 s[4:5], vcc
	s_cbranch_execz .LBB107_62
; %bb.56:
	buffer_load_dword v97, off, s[20:23], 0 offset:384 ; 4-byte Folded Reload
	buffer_load_dword v98, off, s[20:23], 0 offset:388 ; 4-byte Folded Reload
	;; [unrolled: 1-line block ×4, first 2 shown]
	s_waitcnt vmcnt(0)
	ds_write2_b64 v127, v[97:98], v[99:100] offset1:1
	buffer_load_dword v97, off, s[20:23], 0 offset:368 ; 4-byte Folded Reload
	buffer_load_dword v98, off, s[20:23], 0 offset:372 ; 4-byte Folded Reload
	buffer_load_dword v99, off, s[20:23], 0 offset:376 ; 4-byte Folded Reload
	buffer_load_dword v100, off, s[20:23], 0 offset:380 ; 4-byte Folded Reload
	s_waitcnt vmcnt(0)
	ds_write2_b64 v125, v[97:98], v[99:100] offset0:14 offset1:15
	buffer_load_dword v97, off, s[20:23], 0 offset:352 ; 4-byte Folded Reload
	buffer_load_dword v98, off, s[20:23], 0 offset:356 ; 4-byte Folded Reload
	buffer_load_dword v99, off, s[20:23], 0 offset:360 ; 4-byte Folded Reload
	buffer_load_dword v100, off, s[20:23], 0 offset:364 ; 4-byte Folded Reload
	s_waitcnt vmcnt(0)
	ds_write2_b64 v125, v[97:98], v[99:100] offset0:16 offset1:17
	;; [unrolled: 6-line block ×23, first 2 shown]
	buffer_load_dword v97, off, s[20:23], 0 ; 4-byte Folded Reload
	buffer_load_dword v98, off, s[20:23], 0 offset:4 ; 4-byte Folded Reload
	buffer_load_dword v99, off, s[20:23], 0 offset:8 ; 4-byte Folded Reload
	;; [unrolled: 1-line block ×3, first 2 shown]
	s_waitcnt vmcnt(0)
	ds_write2_b64 v125, v[97:98], v[99:100] offset0:60 offset1:61
	ds_write2_b64 v125, v[93:94], v[95:96] offset0:62 offset1:63
	;; [unrolled: 1-line block ×24, first 2 shown]
	ds_read2_b64 v[97:100], v127 offset1:1
	s_waitcnt lgkmcnt(0)
	v_cmp_neq_f64_e32 vcc, 0, v[97:98]
	v_cmp_neq_f64_e64 s[2:3], 0, v[99:100]
	s_or_b64 s[2:3], vcc, s[2:3]
	s_and_b64 exec, exec, s[2:3]
	s_cbranch_execz .LBB107_62
; %bb.57:
	v_cmp_ngt_f64_e64 s[2:3], |v[97:98]|, |v[99:100]|
                                        ; implicit-def: $vgpr101_vgpr102
	s_and_saveexec_b64 s[6:7], s[2:3]
	s_xor_b64 s[2:3], exec, s[6:7]
                                        ; implicit-def: $vgpr103_vgpr104
	s_cbranch_execz .LBB107_59
; %bb.58:
	v_div_scale_f64 v[101:102], s[6:7], v[99:100], v[99:100], v[97:98]
	v_rcp_f64_e32 v[103:104], v[101:102]
	v_fma_f64 v[105:106], -v[101:102], v[103:104], 1.0
	v_fma_f64 v[103:104], v[103:104], v[105:106], v[103:104]
	v_div_scale_f64 v[105:106], vcc, v[97:98], v[99:100], v[97:98]
	v_fma_f64 v[107:108], -v[101:102], v[103:104], 1.0
	v_fma_f64 v[103:104], v[103:104], v[107:108], v[103:104]
	v_mul_f64 v[107:108], v[105:106], v[103:104]
	v_fma_f64 v[101:102], -v[101:102], v[107:108], v[105:106]
	v_div_fmas_f64 v[101:102], v[101:102], v[103:104], v[107:108]
	v_div_fixup_f64 v[101:102], v[101:102], v[99:100], v[97:98]
	v_fma_f64 v[97:98], v[97:98], v[101:102], v[99:100]
	v_div_scale_f64 v[99:100], s[6:7], v[97:98], v[97:98], 1.0
	v_div_scale_f64 v[107:108], vcc, 1.0, v[97:98], 1.0
	v_rcp_f64_e32 v[103:104], v[99:100]
	v_fma_f64 v[105:106], -v[99:100], v[103:104], 1.0
	v_fma_f64 v[103:104], v[103:104], v[105:106], v[103:104]
	v_fma_f64 v[105:106], -v[99:100], v[103:104], 1.0
	v_fma_f64 v[103:104], v[103:104], v[105:106], v[103:104]
	v_mul_f64 v[105:106], v[107:108], v[103:104]
	v_fma_f64 v[99:100], -v[99:100], v[105:106], v[107:108]
	v_div_fmas_f64 v[99:100], v[99:100], v[103:104], v[105:106]
	v_div_fixup_f64 v[103:104], v[99:100], v[97:98], 1.0
                                        ; implicit-def: $vgpr97_vgpr98
	v_mul_f64 v[101:102], v[101:102], v[103:104]
	v_xor_b32_e32 v104, 0x80000000, v104
.LBB107_59:
	s_andn2_saveexec_b64 s[2:3], s[2:3]
	s_cbranch_execz .LBB107_61
; %bb.60:
	v_div_scale_f64 v[101:102], s[6:7], v[97:98], v[97:98], v[99:100]
	v_rcp_f64_e32 v[103:104], v[101:102]
	v_fma_f64 v[105:106], -v[101:102], v[103:104], 1.0
	v_fma_f64 v[103:104], v[103:104], v[105:106], v[103:104]
	v_div_scale_f64 v[105:106], vcc, v[99:100], v[97:98], v[99:100]
	v_fma_f64 v[107:108], -v[101:102], v[103:104], 1.0
	v_fma_f64 v[103:104], v[103:104], v[107:108], v[103:104]
	v_mul_f64 v[107:108], v[105:106], v[103:104]
	v_fma_f64 v[101:102], -v[101:102], v[107:108], v[105:106]
	v_div_fmas_f64 v[101:102], v[101:102], v[103:104], v[107:108]
	v_div_fixup_f64 v[103:104], v[101:102], v[97:98], v[99:100]
	v_fma_f64 v[97:98], v[99:100], v[103:104], v[97:98]
	v_div_scale_f64 v[99:100], s[6:7], v[97:98], v[97:98], 1.0
	v_div_scale_f64 v[107:108], vcc, 1.0, v[97:98], 1.0
	v_rcp_f64_e32 v[101:102], v[99:100]
	v_fma_f64 v[105:106], -v[99:100], v[101:102], 1.0
	v_fma_f64 v[101:102], v[101:102], v[105:106], v[101:102]
	v_fma_f64 v[105:106], -v[99:100], v[101:102], 1.0
	v_fma_f64 v[101:102], v[101:102], v[105:106], v[101:102]
	v_mul_f64 v[105:106], v[107:108], v[101:102]
	v_fma_f64 v[99:100], -v[99:100], v[105:106], v[107:108]
	v_div_fmas_f64 v[99:100], v[99:100], v[101:102], v[105:106]
	v_div_fixup_f64 v[101:102], v[99:100], v[97:98], 1.0
	v_mul_f64 v[103:104], v[103:104], -v[101:102]
.LBB107_61:
	s_or_b64 exec, exec, s[2:3]
	ds_write2_b64 v127, v[101:102], v[103:104] offset1:1
.LBB107_62:
	s_or_b64 exec, exec, s[4:5]
	s_waitcnt lgkmcnt(0)
	s_barrier
	ds_read2_b64 v[87:90], v127 offset1:1
	v_cmp_lt_u32_e32 vcc, 6, v0
	s_waitcnt lgkmcnt(0)
	buffer_store_dword v87, off, s[20:23], 0 offset:1016 ; 4-byte Folded Spill
	s_nop 0
	buffer_store_dword v88, off, s[20:23], 0 offset:1020 ; 4-byte Folded Spill
	buffer_store_dword v89, off, s[20:23], 0 offset:1024 ; 4-byte Folded Spill
	;; [unrolled: 1-line block ×3, first 2 shown]
	s_and_saveexec_b64 s[2:3], vcc
	s_cbranch_execz .LBB107_64
; %bb.63:
	buffer_load_dword v107, off, s[20:23], 0 offset:384 ; 4-byte Folded Reload
	buffer_load_dword v108, off, s[20:23], 0 offset:388 ; 4-byte Folded Reload
	;; [unrolled: 1-line block ×8, first 2 shown]
	s_waitcnt vmcnt(2)
	v_mul_f64 v[99:100], v[87:88], v[109:110]
	s_waitcnt vmcnt(0)
	v_mul_f64 v[97:98], v[89:90], v[109:110]
	v_fma_f64 v[109:110], v[89:90], v[107:108], v[99:100]
	ds_read2_b64 v[99:102], v125 offset0:14 offset1:15
	v_fma_f64 v[97:98], v[87:88], v[107:108], -v[97:98]
	buffer_load_dword v105, off, s[20:23], 0 offset:368 ; 4-byte Folded Reload
	buffer_load_dword v106, off, s[20:23], 0 offset:372 ; 4-byte Folded Reload
	buffer_load_dword v107, off, s[20:23], 0 offset:376 ; 4-byte Folded Reload
	buffer_load_dword v108, off, s[20:23], 0 offset:380 ; 4-byte Folded Reload
	s_waitcnt lgkmcnt(0)
	v_mul_f64 v[103:104], v[101:102], v[109:110]
	v_fma_f64 v[103:104], v[99:100], v[97:98], -v[103:104]
	v_mul_f64 v[99:100], v[99:100], v[109:110]
	v_fma_f64 v[99:100], v[101:102], v[97:98], v[99:100]
	s_waitcnt vmcnt(2)
	v_add_f64 v[105:106], v[105:106], -v[103:104]
	s_waitcnt vmcnt(0)
	v_add_f64 v[107:108], v[107:108], -v[99:100]
	buffer_store_dword v105, off, s[20:23], 0 offset:368 ; 4-byte Folded Spill
	s_nop 0
	buffer_store_dword v106, off, s[20:23], 0 offset:372 ; 4-byte Folded Spill
	buffer_store_dword v107, off, s[20:23], 0 offset:376 ; 4-byte Folded Spill
	buffer_store_dword v108, off, s[20:23], 0 offset:380 ; 4-byte Folded Spill
	ds_read2_b64 v[99:102], v125 offset0:16 offset1:17
	buffer_load_dword v105, off, s[20:23], 0 offset:352 ; 4-byte Folded Reload
	buffer_load_dword v106, off, s[20:23], 0 offset:356 ; 4-byte Folded Reload
	buffer_load_dword v107, off, s[20:23], 0 offset:360 ; 4-byte Folded Reload
	buffer_load_dword v108, off, s[20:23], 0 offset:364 ; 4-byte Folded Reload
	s_waitcnt lgkmcnt(0)
	v_mul_f64 v[103:104], v[101:102], v[109:110]
	v_fma_f64 v[103:104], v[99:100], v[97:98], -v[103:104]
	v_mul_f64 v[99:100], v[99:100], v[109:110]
	v_fma_f64 v[99:100], v[101:102], v[97:98], v[99:100]
	s_waitcnt vmcnt(2)
	v_add_f64 v[105:106], v[105:106], -v[103:104]
	s_waitcnt vmcnt(0)
	v_add_f64 v[107:108], v[107:108], -v[99:100]
	buffer_store_dword v105, off, s[20:23], 0 offset:352 ; 4-byte Folded Spill
	s_nop 0
	buffer_store_dword v106, off, s[20:23], 0 offset:356 ; 4-byte Folded Spill
	buffer_store_dword v107, off, s[20:23], 0 offset:360 ; 4-byte Folded Spill
	buffer_store_dword v108, off, s[20:23], 0 offset:364 ; 4-byte Folded Spill
	ds_read2_b64 v[99:102], v125 offset0:18 offset1:19
	buffer_load_dword v105, off, s[20:23], 0 offset:336 ; 4-byte Folded Reload
	buffer_load_dword v106, off, s[20:23], 0 offset:340 ; 4-byte Folded Reload
	buffer_load_dword v107, off, s[20:23], 0 offset:344 ; 4-byte Folded Reload
	buffer_load_dword v108, off, s[20:23], 0 offset:348 ; 4-byte Folded Reload
	s_waitcnt lgkmcnt(0)
	v_mul_f64 v[103:104], v[101:102], v[109:110]
	v_fma_f64 v[103:104], v[99:100], v[97:98], -v[103:104]
	v_mul_f64 v[99:100], v[99:100], v[109:110]
	v_fma_f64 v[99:100], v[101:102], v[97:98], v[99:100]
	s_waitcnt vmcnt(2)
	v_add_f64 v[105:106], v[105:106], -v[103:104]
	s_waitcnt vmcnt(0)
	v_add_f64 v[107:108], v[107:108], -v[99:100]
	buffer_store_dword v105, off, s[20:23], 0 offset:336 ; 4-byte Folded Spill
	s_nop 0
	buffer_store_dword v106, off, s[20:23], 0 offset:340 ; 4-byte Folded Spill
	buffer_store_dword v107, off, s[20:23], 0 offset:344 ; 4-byte Folded Spill
	buffer_store_dword v108, off, s[20:23], 0 offset:348 ; 4-byte Folded Spill
	ds_read2_b64 v[99:102], v125 offset0:20 offset1:21
	buffer_load_dword v105, off, s[20:23], 0 offset:320 ; 4-byte Folded Reload
	buffer_load_dword v106, off, s[20:23], 0 offset:324 ; 4-byte Folded Reload
	buffer_load_dword v107, off, s[20:23], 0 offset:328 ; 4-byte Folded Reload
	buffer_load_dword v108, off, s[20:23], 0 offset:332 ; 4-byte Folded Reload
	s_waitcnt lgkmcnt(0)
	v_mul_f64 v[103:104], v[101:102], v[109:110]
	v_fma_f64 v[103:104], v[99:100], v[97:98], -v[103:104]
	v_mul_f64 v[99:100], v[99:100], v[109:110]
	v_fma_f64 v[99:100], v[101:102], v[97:98], v[99:100]
	s_waitcnt vmcnt(2)
	v_add_f64 v[105:106], v[105:106], -v[103:104]
	s_waitcnt vmcnt(0)
	v_add_f64 v[107:108], v[107:108], -v[99:100]
	buffer_store_dword v105, off, s[20:23], 0 offset:320 ; 4-byte Folded Spill
	s_nop 0
	buffer_store_dword v106, off, s[20:23], 0 offset:324 ; 4-byte Folded Spill
	buffer_store_dword v107, off, s[20:23], 0 offset:328 ; 4-byte Folded Spill
	buffer_store_dword v108, off, s[20:23], 0 offset:332 ; 4-byte Folded Spill
	ds_read2_b64 v[99:102], v125 offset0:22 offset1:23
	buffer_load_dword v105, off, s[20:23], 0 offset:304 ; 4-byte Folded Reload
	buffer_load_dword v106, off, s[20:23], 0 offset:308 ; 4-byte Folded Reload
	buffer_load_dword v107, off, s[20:23], 0 offset:312 ; 4-byte Folded Reload
	buffer_load_dword v108, off, s[20:23], 0 offset:316 ; 4-byte Folded Reload
	s_waitcnt lgkmcnt(0)
	v_mul_f64 v[103:104], v[101:102], v[109:110]
	v_fma_f64 v[103:104], v[99:100], v[97:98], -v[103:104]
	v_mul_f64 v[99:100], v[99:100], v[109:110]
	v_fma_f64 v[99:100], v[101:102], v[97:98], v[99:100]
	s_waitcnt vmcnt(2)
	v_add_f64 v[105:106], v[105:106], -v[103:104]
	s_waitcnt vmcnt(0)
	v_add_f64 v[107:108], v[107:108], -v[99:100]
	buffer_store_dword v105, off, s[20:23], 0 offset:304 ; 4-byte Folded Spill
	s_nop 0
	buffer_store_dword v106, off, s[20:23], 0 offset:308 ; 4-byte Folded Spill
	buffer_store_dword v107, off, s[20:23], 0 offset:312 ; 4-byte Folded Spill
	buffer_store_dword v108, off, s[20:23], 0 offset:316 ; 4-byte Folded Spill
	ds_read2_b64 v[99:102], v125 offset0:24 offset1:25
	buffer_load_dword v105, off, s[20:23], 0 offset:288 ; 4-byte Folded Reload
	buffer_load_dword v106, off, s[20:23], 0 offset:292 ; 4-byte Folded Reload
	buffer_load_dword v107, off, s[20:23], 0 offset:296 ; 4-byte Folded Reload
	buffer_load_dword v108, off, s[20:23], 0 offset:300 ; 4-byte Folded Reload
	s_waitcnt lgkmcnt(0)
	v_mul_f64 v[103:104], v[101:102], v[109:110]
	v_fma_f64 v[103:104], v[99:100], v[97:98], -v[103:104]
	v_mul_f64 v[99:100], v[99:100], v[109:110]
	v_fma_f64 v[99:100], v[101:102], v[97:98], v[99:100]
	s_waitcnt vmcnt(2)
	v_add_f64 v[105:106], v[105:106], -v[103:104]
	s_waitcnt vmcnt(0)
	v_add_f64 v[107:108], v[107:108], -v[99:100]
	buffer_store_dword v105, off, s[20:23], 0 offset:288 ; 4-byte Folded Spill
	s_nop 0
	buffer_store_dword v106, off, s[20:23], 0 offset:292 ; 4-byte Folded Spill
	buffer_store_dword v107, off, s[20:23], 0 offset:296 ; 4-byte Folded Spill
	buffer_store_dword v108, off, s[20:23], 0 offset:300 ; 4-byte Folded Spill
	ds_read2_b64 v[99:102], v125 offset0:26 offset1:27
	buffer_load_dword v105, off, s[20:23], 0 offset:272 ; 4-byte Folded Reload
	buffer_load_dword v106, off, s[20:23], 0 offset:276 ; 4-byte Folded Reload
	buffer_load_dword v107, off, s[20:23], 0 offset:280 ; 4-byte Folded Reload
	buffer_load_dword v108, off, s[20:23], 0 offset:284 ; 4-byte Folded Reload
	s_waitcnt lgkmcnt(0)
	v_mul_f64 v[103:104], v[101:102], v[109:110]
	v_fma_f64 v[103:104], v[99:100], v[97:98], -v[103:104]
	v_mul_f64 v[99:100], v[99:100], v[109:110]
	v_fma_f64 v[99:100], v[101:102], v[97:98], v[99:100]
	s_waitcnt vmcnt(2)
	v_add_f64 v[105:106], v[105:106], -v[103:104]
	s_waitcnt vmcnt(0)
	v_add_f64 v[107:108], v[107:108], -v[99:100]
	buffer_store_dword v105, off, s[20:23], 0 offset:272 ; 4-byte Folded Spill
	s_nop 0
	buffer_store_dword v106, off, s[20:23], 0 offset:276 ; 4-byte Folded Spill
	buffer_store_dword v107, off, s[20:23], 0 offset:280 ; 4-byte Folded Spill
	buffer_store_dword v108, off, s[20:23], 0 offset:284 ; 4-byte Folded Spill
	ds_read2_b64 v[99:102], v125 offset0:28 offset1:29
	buffer_load_dword v105, off, s[20:23], 0 offset:256 ; 4-byte Folded Reload
	buffer_load_dword v106, off, s[20:23], 0 offset:260 ; 4-byte Folded Reload
	buffer_load_dword v107, off, s[20:23], 0 offset:264 ; 4-byte Folded Reload
	buffer_load_dword v108, off, s[20:23], 0 offset:268 ; 4-byte Folded Reload
	s_waitcnt lgkmcnt(0)
	v_mul_f64 v[103:104], v[101:102], v[109:110]
	v_fma_f64 v[103:104], v[99:100], v[97:98], -v[103:104]
	v_mul_f64 v[99:100], v[99:100], v[109:110]
	v_fma_f64 v[99:100], v[101:102], v[97:98], v[99:100]
	s_waitcnt vmcnt(2)
	v_add_f64 v[105:106], v[105:106], -v[103:104]
	s_waitcnt vmcnt(0)
	v_add_f64 v[107:108], v[107:108], -v[99:100]
	buffer_store_dword v105, off, s[20:23], 0 offset:256 ; 4-byte Folded Spill
	s_nop 0
	buffer_store_dword v106, off, s[20:23], 0 offset:260 ; 4-byte Folded Spill
	buffer_store_dword v107, off, s[20:23], 0 offset:264 ; 4-byte Folded Spill
	buffer_store_dword v108, off, s[20:23], 0 offset:268 ; 4-byte Folded Spill
	ds_read2_b64 v[99:102], v125 offset0:30 offset1:31
	buffer_load_dword v105, off, s[20:23], 0 offset:240 ; 4-byte Folded Reload
	buffer_load_dword v106, off, s[20:23], 0 offset:244 ; 4-byte Folded Reload
	buffer_load_dword v107, off, s[20:23], 0 offset:248 ; 4-byte Folded Reload
	buffer_load_dword v108, off, s[20:23], 0 offset:252 ; 4-byte Folded Reload
	s_waitcnt lgkmcnt(0)
	v_mul_f64 v[103:104], v[101:102], v[109:110]
	v_fma_f64 v[103:104], v[99:100], v[97:98], -v[103:104]
	v_mul_f64 v[99:100], v[99:100], v[109:110]
	v_fma_f64 v[99:100], v[101:102], v[97:98], v[99:100]
	s_waitcnt vmcnt(2)
	v_add_f64 v[105:106], v[105:106], -v[103:104]
	s_waitcnt vmcnt(0)
	v_add_f64 v[107:108], v[107:108], -v[99:100]
	buffer_store_dword v105, off, s[20:23], 0 offset:240 ; 4-byte Folded Spill
	s_nop 0
	buffer_store_dword v106, off, s[20:23], 0 offset:244 ; 4-byte Folded Spill
	buffer_store_dword v107, off, s[20:23], 0 offset:248 ; 4-byte Folded Spill
	buffer_store_dword v108, off, s[20:23], 0 offset:252 ; 4-byte Folded Spill
	ds_read2_b64 v[99:102], v125 offset0:32 offset1:33
	buffer_load_dword v105, off, s[20:23], 0 offset:224 ; 4-byte Folded Reload
	buffer_load_dword v106, off, s[20:23], 0 offset:228 ; 4-byte Folded Reload
	buffer_load_dword v107, off, s[20:23], 0 offset:232 ; 4-byte Folded Reload
	buffer_load_dword v108, off, s[20:23], 0 offset:236 ; 4-byte Folded Reload
	s_waitcnt lgkmcnt(0)
	v_mul_f64 v[103:104], v[101:102], v[109:110]
	v_fma_f64 v[103:104], v[99:100], v[97:98], -v[103:104]
	v_mul_f64 v[99:100], v[99:100], v[109:110]
	v_fma_f64 v[99:100], v[101:102], v[97:98], v[99:100]
	s_waitcnt vmcnt(2)
	v_add_f64 v[105:106], v[105:106], -v[103:104]
	s_waitcnt vmcnt(0)
	v_add_f64 v[107:108], v[107:108], -v[99:100]
	buffer_store_dword v105, off, s[20:23], 0 offset:224 ; 4-byte Folded Spill
	s_nop 0
	buffer_store_dword v106, off, s[20:23], 0 offset:228 ; 4-byte Folded Spill
	buffer_store_dword v107, off, s[20:23], 0 offset:232 ; 4-byte Folded Spill
	buffer_store_dword v108, off, s[20:23], 0 offset:236 ; 4-byte Folded Spill
	ds_read2_b64 v[99:102], v125 offset0:34 offset1:35
	buffer_load_dword v105, off, s[20:23], 0 offset:208 ; 4-byte Folded Reload
	buffer_load_dword v106, off, s[20:23], 0 offset:212 ; 4-byte Folded Reload
	buffer_load_dword v107, off, s[20:23], 0 offset:216 ; 4-byte Folded Reload
	buffer_load_dword v108, off, s[20:23], 0 offset:220 ; 4-byte Folded Reload
	s_waitcnt lgkmcnt(0)
	v_mul_f64 v[103:104], v[101:102], v[109:110]
	v_fma_f64 v[103:104], v[99:100], v[97:98], -v[103:104]
	v_mul_f64 v[99:100], v[99:100], v[109:110]
	v_fma_f64 v[99:100], v[101:102], v[97:98], v[99:100]
	s_waitcnt vmcnt(2)
	v_add_f64 v[105:106], v[105:106], -v[103:104]
	s_waitcnt vmcnt(0)
	v_add_f64 v[107:108], v[107:108], -v[99:100]
	buffer_store_dword v105, off, s[20:23], 0 offset:208 ; 4-byte Folded Spill
	s_nop 0
	buffer_store_dword v106, off, s[20:23], 0 offset:212 ; 4-byte Folded Spill
	buffer_store_dword v107, off, s[20:23], 0 offset:216 ; 4-byte Folded Spill
	buffer_store_dword v108, off, s[20:23], 0 offset:220 ; 4-byte Folded Spill
	ds_read2_b64 v[99:102], v125 offset0:36 offset1:37
	buffer_load_dword v105, off, s[20:23], 0 offset:192 ; 4-byte Folded Reload
	buffer_load_dword v106, off, s[20:23], 0 offset:196 ; 4-byte Folded Reload
	buffer_load_dword v107, off, s[20:23], 0 offset:200 ; 4-byte Folded Reload
	buffer_load_dword v108, off, s[20:23], 0 offset:204 ; 4-byte Folded Reload
	s_waitcnt lgkmcnt(0)
	v_mul_f64 v[103:104], v[101:102], v[109:110]
	v_fma_f64 v[103:104], v[99:100], v[97:98], -v[103:104]
	v_mul_f64 v[99:100], v[99:100], v[109:110]
	v_fma_f64 v[99:100], v[101:102], v[97:98], v[99:100]
	s_waitcnt vmcnt(2)
	v_add_f64 v[105:106], v[105:106], -v[103:104]
	s_waitcnt vmcnt(0)
	v_add_f64 v[107:108], v[107:108], -v[99:100]
	buffer_store_dword v105, off, s[20:23], 0 offset:192 ; 4-byte Folded Spill
	s_nop 0
	buffer_store_dword v106, off, s[20:23], 0 offset:196 ; 4-byte Folded Spill
	buffer_store_dword v107, off, s[20:23], 0 offset:200 ; 4-byte Folded Spill
	buffer_store_dword v108, off, s[20:23], 0 offset:204 ; 4-byte Folded Spill
	ds_read2_b64 v[99:102], v125 offset0:38 offset1:39
	buffer_load_dword v105, off, s[20:23], 0 offset:176 ; 4-byte Folded Reload
	buffer_load_dword v106, off, s[20:23], 0 offset:180 ; 4-byte Folded Reload
	buffer_load_dword v107, off, s[20:23], 0 offset:184 ; 4-byte Folded Reload
	buffer_load_dword v108, off, s[20:23], 0 offset:188 ; 4-byte Folded Reload
	s_waitcnt lgkmcnt(0)
	v_mul_f64 v[103:104], v[101:102], v[109:110]
	v_fma_f64 v[103:104], v[99:100], v[97:98], -v[103:104]
	v_mul_f64 v[99:100], v[99:100], v[109:110]
	v_fma_f64 v[99:100], v[101:102], v[97:98], v[99:100]
	s_waitcnt vmcnt(2)
	v_add_f64 v[105:106], v[105:106], -v[103:104]
	s_waitcnt vmcnt(0)
	v_add_f64 v[107:108], v[107:108], -v[99:100]
	buffer_store_dword v105, off, s[20:23], 0 offset:176 ; 4-byte Folded Spill
	s_nop 0
	buffer_store_dword v106, off, s[20:23], 0 offset:180 ; 4-byte Folded Spill
	buffer_store_dword v107, off, s[20:23], 0 offset:184 ; 4-byte Folded Spill
	buffer_store_dword v108, off, s[20:23], 0 offset:188 ; 4-byte Folded Spill
	ds_read2_b64 v[99:102], v125 offset0:40 offset1:41
	buffer_load_dword v105, off, s[20:23], 0 offset:160 ; 4-byte Folded Reload
	buffer_load_dword v106, off, s[20:23], 0 offset:164 ; 4-byte Folded Reload
	buffer_load_dword v107, off, s[20:23], 0 offset:168 ; 4-byte Folded Reload
	buffer_load_dword v108, off, s[20:23], 0 offset:172 ; 4-byte Folded Reload
	s_waitcnt lgkmcnt(0)
	v_mul_f64 v[103:104], v[101:102], v[109:110]
	v_fma_f64 v[103:104], v[99:100], v[97:98], -v[103:104]
	v_mul_f64 v[99:100], v[99:100], v[109:110]
	v_fma_f64 v[99:100], v[101:102], v[97:98], v[99:100]
	s_waitcnt vmcnt(2)
	v_add_f64 v[105:106], v[105:106], -v[103:104]
	s_waitcnt vmcnt(0)
	v_add_f64 v[107:108], v[107:108], -v[99:100]
	buffer_store_dword v105, off, s[20:23], 0 offset:160 ; 4-byte Folded Spill
	s_nop 0
	buffer_store_dword v106, off, s[20:23], 0 offset:164 ; 4-byte Folded Spill
	buffer_store_dword v107, off, s[20:23], 0 offset:168 ; 4-byte Folded Spill
	buffer_store_dword v108, off, s[20:23], 0 offset:172 ; 4-byte Folded Spill
	ds_read2_b64 v[99:102], v125 offset0:42 offset1:43
	buffer_load_dword v105, off, s[20:23], 0 offset:144 ; 4-byte Folded Reload
	buffer_load_dword v106, off, s[20:23], 0 offset:148 ; 4-byte Folded Reload
	buffer_load_dword v107, off, s[20:23], 0 offset:152 ; 4-byte Folded Reload
	buffer_load_dword v108, off, s[20:23], 0 offset:156 ; 4-byte Folded Reload
	s_waitcnt lgkmcnt(0)
	v_mul_f64 v[103:104], v[101:102], v[109:110]
	v_fma_f64 v[103:104], v[99:100], v[97:98], -v[103:104]
	v_mul_f64 v[99:100], v[99:100], v[109:110]
	v_fma_f64 v[99:100], v[101:102], v[97:98], v[99:100]
	s_waitcnt vmcnt(2)
	v_add_f64 v[105:106], v[105:106], -v[103:104]
	s_waitcnt vmcnt(0)
	v_add_f64 v[107:108], v[107:108], -v[99:100]
	buffer_store_dword v105, off, s[20:23], 0 offset:144 ; 4-byte Folded Spill
	s_nop 0
	buffer_store_dword v106, off, s[20:23], 0 offset:148 ; 4-byte Folded Spill
	buffer_store_dword v107, off, s[20:23], 0 offset:152 ; 4-byte Folded Spill
	buffer_store_dword v108, off, s[20:23], 0 offset:156 ; 4-byte Folded Spill
	ds_read2_b64 v[99:102], v125 offset0:44 offset1:45
	buffer_load_dword v105, off, s[20:23], 0 offset:128 ; 4-byte Folded Reload
	buffer_load_dword v106, off, s[20:23], 0 offset:132 ; 4-byte Folded Reload
	buffer_load_dword v107, off, s[20:23], 0 offset:136 ; 4-byte Folded Reload
	buffer_load_dword v108, off, s[20:23], 0 offset:140 ; 4-byte Folded Reload
	s_waitcnt lgkmcnt(0)
	v_mul_f64 v[103:104], v[101:102], v[109:110]
	v_fma_f64 v[103:104], v[99:100], v[97:98], -v[103:104]
	v_mul_f64 v[99:100], v[99:100], v[109:110]
	v_fma_f64 v[99:100], v[101:102], v[97:98], v[99:100]
	s_waitcnt vmcnt(2)
	v_add_f64 v[105:106], v[105:106], -v[103:104]
	s_waitcnt vmcnt(0)
	v_add_f64 v[107:108], v[107:108], -v[99:100]
	buffer_store_dword v105, off, s[20:23], 0 offset:128 ; 4-byte Folded Spill
	s_nop 0
	buffer_store_dword v106, off, s[20:23], 0 offset:132 ; 4-byte Folded Spill
	buffer_store_dword v107, off, s[20:23], 0 offset:136 ; 4-byte Folded Spill
	buffer_store_dword v108, off, s[20:23], 0 offset:140 ; 4-byte Folded Spill
	ds_read2_b64 v[99:102], v125 offset0:46 offset1:47
	buffer_load_dword v105, off, s[20:23], 0 offset:112 ; 4-byte Folded Reload
	buffer_load_dword v106, off, s[20:23], 0 offset:116 ; 4-byte Folded Reload
	buffer_load_dword v107, off, s[20:23], 0 offset:120 ; 4-byte Folded Reload
	buffer_load_dword v108, off, s[20:23], 0 offset:124 ; 4-byte Folded Reload
	s_waitcnt lgkmcnt(0)
	v_mul_f64 v[103:104], v[101:102], v[109:110]
	v_fma_f64 v[103:104], v[99:100], v[97:98], -v[103:104]
	v_mul_f64 v[99:100], v[99:100], v[109:110]
	v_fma_f64 v[99:100], v[101:102], v[97:98], v[99:100]
	s_waitcnt vmcnt(2)
	v_add_f64 v[105:106], v[105:106], -v[103:104]
	s_waitcnt vmcnt(0)
	v_add_f64 v[107:108], v[107:108], -v[99:100]
	buffer_store_dword v105, off, s[20:23], 0 offset:112 ; 4-byte Folded Spill
	s_nop 0
	buffer_store_dword v106, off, s[20:23], 0 offset:116 ; 4-byte Folded Spill
	buffer_store_dword v107, off, s[20:23], 0 offset:120 ; 4-byte Folded Spill
	buffer_store_dword v108, off, s[20:23], 0 offset:124 ; 4-byte Folded Spill
	ds_read2_b64 v[99:102], v125 offset0:48 offset1:49
	buffer_load_dword v105, off, s[20:23], 0 offset:96 ; 4-byte Folded Reload
	buffer_load_dword v106, off, s[20:23], 0 offset:100 ; 4-byte Folded Reload
	buffer_load_dword v107, off, s[20:23], 0 offset:104 ; 4-byte Folded Reload
	buffer_load_dword v108, off, s[20:23], 0 offset:108 ; 4-byte Folded Reload
	s_waitcnt lgkmcnt(0)
	v_mul_f64 v[103:104], v[101:102], v[109:110]
	v_fma_f64 v[103:104], v[99:100], v[97:98], -v[103:104]
	v_mul_f64 v[99:100], v[99:100], v[109:110]
	v_fma_f64 v[99:100], v[101:102], v[97:98], v[99:100]
	s_waitcnt vmcnt(2)
	v_add_f64 v[105:106], v[105:106], -v[103:104]
	s_waitcnt vmcnt(0)
	v_add_f64 v[107:108], v[107:108], -v[99:100]
	buffer_store_dword v105, off, s[20:23], 0 offset:96 ; 4-byte Folded Spill
	s_nop 0
	buffer_store_dword v106, off, s[20:23], 0 offset:100 ; 4-byte Folded Spill
	buffer_store_dword v107, off, s[20:23], 0 offset:104 ; 4-byte Folded Spill
	buffer_store_dword v108, off, s[20:23], 0 offset:108 ; 4-byte Folded Spill
	ds_read2_b64 v[99:102], v125 offset0:50 offset1:51
	buffer_load_dword v105, off, s[20:23], 0 offset:80 ; 4-byte Folded Reload
	buffer_load_dword v106, off, s[20:23], 0 offset:84 ; 4-byte Folded Reload
	buffer_load_dword v107, off, s[20:23], 0 offset:88 ; 4-byte Folded Reload
	buffer_load_dword v108, off, s[20:23], 0 offset:92 ; 4-byte Folded Reload
	s_waitcnt lgkmcnt(0)
	v_mul_f64 v[103:104], v[101:102], v[109:110]
	v_fma_f64 v[103:104], v[99:100], v[97:98], -v[103:104]
	v_mul_f64 v[99:100], v[99:100], v[109:110]
	v_fma_f64 v[99:100], v[101:102], v[97:98], v[99:100]
	s_waitcnt vmcnt(2)
	v_add_f64 v[105:106], v[105:106], -v[103:104]
	s_waitcnt vmcnt(0)
	v_add_f64 v[107:108], v[107:108], -v[99:100]
	buffer_store_dword v105, off, s[20:23], 0 offset:80 ; 4-byte Folded Spill
	s_nop 0
	buffer_store_dword v106, off, s[20:23], 0 offset:84 ; 4-byte Folded Spill
	buffer_store_dword v107, off, s[20:23], 0 offset:88 ; 4-byte Folded Spill
	buffer_store_dword v108, off, s[20:23], 0 offset:92 ; 4-byte Folded Spill
	ds_read2_b64 v[99:102], v125 offset0:52 offset1:53
	buffer_load_dword v105, off, s[20:23], 0 offset:64 ; 4-byte Folded Reload
	buffer_load_dword v106, off, s[20:23], 0 offset:68 ; 4-byte Folded Reload
	buffer_load_dword v107, off, s[20:23], 0 offset:72 ; 4-byte Folded Reload
	buffer_load_dword v108, off, s[20:23], 0 offset:76 ; 4-byte Folded Reload
	s_waitcnt lgkmcnt(0)
	v_mul_f64 v[103:104], v[101:102], v[109:110]
	v_fma_f64 v[103:104], v[99:100], v[97:98], -v[103:104]
	v_mul_f64 v[99:100], v[99:100], v[109:110]
	v_fma_f64 v[99:100], v[101:102], v[97:98], v[99:100]
	s_waitcnt vmcnt(2)
	v_add_f64 v[105:106], v[105:106], -v[103:104]
	s_waitcnt vmcnt(0)
	v_add_f64 v[107:108], v[107:108], -v[99:100]
	buffer_store_dword v105, off, s[20:23], 0 offset:64 ; 4-byte Folded Spill
	s_nop 0
	buffer_store_dword v106, off, s[20:23], 0 offset:68 ; 4-byte Folded Spill
	buffer_store_dword v107, off, s[20:23], 0 offset:72 ; 4-byte Folded Spill
	buffer_store_dword v108, off, s[20:23], 0 offset:76 ; 4-byte Folded Spill
	ds_read2_b64 v[99:102], v125 offset0:54 offset1:55
	buffer_load_dword v105, off, s[20:23], 0 offset:48 ; 4-byte Folded Reload
	buffer_load_dword v106, off, s[20:23], 0 offset:52 ; 4-byte Folded Reload
	buffer_load_dword v107, off, s[20:23], 0 offset:56 ; 4-byte Folded Reload
	buffer_load_dword v108, off, s[20:23], 0 offset:60 ; 4-byte Folded Reload
	s_waitcnt lgkmcnt(0)
	v_mul_f64 v[103:104], v[101:102], v[109:110]
	v_fma_f64 v[103:104], v[99:100], v[97:98], -v[103:104]
	v_mul_f64 v[99:100], v[99:100], v[109:110]
	v_fma_f64 v[99:100], v[101:102], v[97:98], v[99:100]
	s_waitcnt vmcnt(2)
	v_add_f64 v[105:106], v[105:106], -v[103:104]
	s_waitcnt vmcnt(0)
	v_add_f64 v[107:108], v[107:108], -v[99:100]
	buffer_store_dword v105, off, s[20:23], 0 offset:48 ; 4-byte Folded Spill
	s_nop 0
	buffer_store_dword v106, off, s[20:23], 0 offset:52 ; 4-byte Folded Spill
	buffer_store_dword v107, off, s[20:23], 0 offset:56 ; 4-byte Folded Spill
	buffer_store_dword v108, off, s[20:23], 0 offset:60 ; 4-byte Folded Spill
	ds_read2_b64 v[99:102], v125 offset0:56 offset1:57
	buffer_load_dword v105, off, s[20:23], 0 offset:32 ; 4-byte Folded Reload
	buffer_load_dword v106, off, s[20:23], 0 offset:36 ; 4-byte Folded Reload
	buffer_load_dword v107, off, s[20:23], 0 offset:40 ; 4-byte Folded Reload
	buffer_load_dword v108, off, s[20:23], 0 offset:44 ; 4-byte Folded Reload
	s_waitcnt lgkmcnt(0)
	v_mul_f64 v[103:104], v[101:102], v[109:110]
	v_fma_f64 v[103:104], v[99:100], v[97:98], -v[103:104]
	v_mul_f64 v[99:100], v[99:100], v[109:110]
	v_fma_f64 v[99:100], v[101:102], v[97:98], v[99:100]
	s_waitcnt vmcnt(2)
	v_add_f64 v[105:106], v[105:106], -v[103:104]
	s_waitcnt vmcnt(0)
	v_add_f64 v[107:108], v[107:108], -v[99:100]
	buffer_store_dword v105, off, s[20:23], 0 offset:32 ; 4-byte Folded Spill
	s_nop 0
	buffer_store_dword v106, off, s[20:23], 0 offset:36 ; 4-byte Folded Spill
	buffer_store_dword v107, off, s[20:23], 0 offset:40 ; 4-byte Folded Spill
	buffer_store_dword v108, off, s[20:23], 0 offset:44 ; 4-byte Folded Spill
	ds_read2_b64 v[99:102], v125 offset0:58 offset1:59
	buffer_load_dword v105, off, s[20:23], 0 offset:16 ; 4-byte Folded Reload
	buffer_load_dword v106, off, s[20:23], 0 offset:20 ; 4-byte Folded Reload
	buffer_load_dword v107, off, s[20:23], 0 offset:24 ; 4-byte Folded Reload
	buffer_load_dword v108, off, s[20:23], 0 offset:28 ; 4-byte Folded Reload
	s_waitcnt lgkmcnt(0)
	v_mul_f64 v[103:104], v[101:102], v[109:110]
	v_fma_f64 v[103:104], v[99:100], v[97:98], -v[103:104]
	v_mul_f64 v[99:100], v[99:100], v[109:110]
	v_fma_f64 v[99:100], v[101:102], v[97:98], v[99:100]
	s_waitcnt vmcnt(2)
	v_add_f64 v[105:106], v[105:106], -v[103:104]
	s_waitcnt vmcnt(0)
	v_add_f64 v[107:108], v[107:108], -v[99:100]
	buffer_store_dword v105, off, s[20:23], 0 offset:16 ; 4-byte Folded Spill
	s_nop 0
	buffer_store_dword v106, off, s[20:23], 0 offset:20 ; 4-byte Folded Spill
	buffer_store_dword v107, off, s[20:23], 0 offset:24 ; 4-byte Folded Spill
	buffer_store_dword v108, off, s[20:23], 0 offset:28 ; 4-byte Folded Spill
	ds_read2_b64 v[99:102], v125 offset0:60 offset1:61
	buffer_load_dword v105, off, s[20:23], 0 ; 4-byte Folded Reload
	buffer_load_dword v106, off, s[20:23], 0 offset:4 ; 4-byte Folded Reload
	buffer_load_dword v107, off, s[20:23], 0 offset:8 ; 4-byte Folded Reload
	;; [unrolled: 1-line block ×3, first 2 shown]
	s_waitcnt lgkmcnt(0)
	v_mul_f64 v[103:104], v[101:102], v[109:110]
	v_fma_f64 v[103:104], v[99:100], v[97:98], -v[103:104]
	v_mul_f64 v[99:100], v[99:100], v[109:110]
	v_fma_f64 v[99:100], v[101:102], v[97:98], v[99:100]
	s_waitcnt vmcnt(2)
	v_add_f64 v[105:106], v[105:106], -v[103:104]
	s_waitcnt vmcnt(0)
	v_add_f64 v[107:108], v[107:108], -v[99:100]
	buffer_store_dword v105, off, s[20:23], 0 ; 4-byte Folded Spill
	s_nop 0
	buffer_store_dword v106, off, s[20:23], 0 offset:4 ; 4-byte Folded Spill
	buffer_store_dword v107, off, s[20:23], 0 offset:8 ; 4-byte Folded Spill
	;; [unrolled: 1-line block ×3, first 2 shown]
	ds_read2_b64 v[99:102], v125 offset0:62 offset1:63
	v_mov_b32_e32 v108, v98
	v_mov_b32_e32 v107, v97
	s_waitcnt lgkmcnt(0)
	v_mul_f64 v[103:104], v[101:102], v[109:110]
	v_fma_f64 v[103:104], v[99:100], v[97:98], -v[103:104]
	v_mul_f64 v[99:100], v[99:100], v[109:110]
	v_add_f64 v[93:94], v[93:94], -v[103:104]
	v_fma_f64 v[99:100], v[101:102], v[97:98], v[99:100]
	v_add_f64 v[95:96], v[95:96], -v[99:100]
	ds_read2_b64 v[99:102], v125 offset0:64 offset1:65
	s_waitcnt lgkmcnt(0)
	v_mul_f64 v[103:104], v[101:102], v[109:110]
	v_fma_f64 v[103:104], v[99:100], v[97:98], -v[103:104]
	v_mul_f64 v[99:100], v[99:100], v[109:110]
	v_add_f64 v[81:82], v[81:82], -v[103:104]
	v_fma_f64 v[99:100], v[101:102], v[97:98], v[99:100]
	v_add_f64 v[83:84], v[83:84], -v[99:100]
	ds_read2_b64 v[99:102], v125 offset0:66 offset1:67
	;; [unrolled: 8-line block ×21, first 2 shown]
	s_waitcnt lgkmcnt(0)
	v_mul_f64 v[103:104], v[101:102], v[109:110]
	v_fma_f64 v[103:104], v[99:100], v[97:98], -v[103:104]
	v_mul_f64 v[99:100], v[99:100], v[109:110]
	v_add_f64 v[1:2], v[1:2], -v[103:104]
	v_fma_f64 v[99:100], v[101:102], v[97:98], v[99:100]
	ds_read2_b64 v[101:104], v125 offset0:106 offset1:107
	v_add_f64 v[3:4], v[3:4], -v[99:100]
	s_waitcnt lgkmcnt(0)
	v_mul_f64 v[99:100], v[103:104], v[109:110]
	v_fma_f64 v[99:100], v[101:102], v[97:98], -v[99:100]
	v_mul_f64 v[101:102], v[101:102], v[109:110]
	buffer_store_dword v107, off, s[20:23], 0 offset:384 ; 4-byte Folded Spill
	s_nop 0
	buffer_store_dword v108, off, s[20:23], 0 offset:388 ; 4-byte Folded Spill
	buffer_store_dword v109, off, s[20:23], 0 offset:392 ; 4-byte Folded Spill
	;; [unrolled: 1-line block ×3, first 2 shown]
	v_add_f64 v[121:122], v[121:122], -v[99:100]
	v_fma_f64 v[101:102], v[103:104], v[97:98], v[101:102]
	v_add_f64 v[123:124], v[123:124], -v[101:102]
.LBB107_64:
	s_or_b64 exec, exec, s[2:3]
	v_cmp_eq_u32_e32 vcc, 7, v0
	s_waitcnt vmcnt(0)
	s_barrier
	s_and_saveexec_b64 s[4:5], vcc
	s_cbranch_execz .LBB107_71
; %bb.65:
	buffer_load_dword v97, off, s[20:23], 0 offset:368 ; 4-byte Folded Reload
	buffer_load_dword v98, off, s[20:23], 0 offset:372 ; 4-byte Folded Reload
	;; [unrolled: 1-line block ×4, first 2 shown]
	s_waitcnt vmcnt(0)
	ds_write2_b64 v127, v[97:98], v[99:100] offset1:1
	buffer_load_dword v97, off, s[20:23], 0 offset:352 ; 4-byte Folded Reload
	buffer_load_dword v98, off, s[20:23], 0 offset:356 ; 4-byte Folded Reload
	buffer_load_dword v99, off, s[20:23], 0 offset:360 ; 4-byte Folded Reload
	buffer_load_dword v100, off, s[20:23], 0 offset:364 ; 4-byte Folded Reload
	s_waitcnt vmcnt(0)
	ds_write2_b64 v125, v[97:98], v[99:100] offset0:16 offset1:17
	buffer_load_dword v97, off, s[20:23], 0 offset:336 ; 4-byte Folded Reload
	buffer_load_dword v98, off, s[20:23], 0 offset:340 ; 4-byte Folded Reload
	buffer_load_dword v99, off, s[20:23], 0 offset:344 ; 4-byte Folded Reload
	buffer_load_dword v100, off, s[20:23], 0 offset:348 ; 4-byte Folded Reload
	s_waitcnt vmcnt(0)
	ds_write2_b64 v125, v[97:98], v[99:100] offset0:18 offset1:19
	;; [unrolled: 6-line block ×22, first 2 shown]
	buffer_load_dword v97, off, s[20:23], 0 ; 4-byte Folded Reload
	buffer_load_dword v98, off, s[20:23], 0 offset:4 ; 4-byte Folded Reload
	buffer_load_dword v99, off, s[20:23], 0 offset:8 ; 4-byte Folded Reload
	;; [unrolled: 1-line block ×3, first 2 shown]
	s_waitcnt vmcnt(0)
	ds_write2_b64 v125, v[97:98], v[99:100] offset0:60 offset1:61
	ds_write2_b64 v125, v[93:94], v[95:96] offset0:62 offset1:63
	;; [unrolled: 1-line block ×24, first 2 shown]
	ds_read2_b64 v[97:100], v127 offset1:1
	s_waitcnt lgkmcnt(0)
	v_cmp_neq_f64_e32 vcc, 0, v[97:98]
	v_cmp_neq_f64_e64 s[2:3], 0, v[99:100]
	s_or_b64 s[2:3], vcc, s[2:3]
	s_and_b64 exec, exec, s[2:3]
	s_cbranch_execz .LBB107_71
; %bb.66:
	v_cmp_ngt_f64_e64 s[2:3], |v[97:98]|, |v[99:100]|
                                        ; implicit-def: $vgpr101_vgpr102
	s_and_saveexec_b64 s[6:7], s[2:3]
	s_xor_b64 s[2:3], exec, s[6:7]
                                        ; implicit-def: $vgpr103_vgpr104
	s_cbranch_execz .LBB107_68
; %bb.67:
	v_div_scale_f64 v[101:102], s[6:7], v[99:100], v[99:100], v[97:98]
	v_rcp_f64_e32 v[103:104], v[101:102]
	v_fma_f64 v[105:106], -v[101:102], v[103:104], 1.0
	v_fma_f64 v[103:104], v[103:104], v[105:106], v[103:104]
	v_div_scale_f64 v[105:106], vcc, v[97:98], v[99:100], v[97:98]
	v_fma_f64 v[107:108], -v[101:102], v[103:104], 1.0
	v_fma_f64 v[103:104], v[103:104], v[107:108], v[103:104]
	v_mul_f64 v[107:108], v[105:106], v[103:104]
	v_fma_f64 v[101:102], -v[101:102], v[107:108], v[105:106]
	v_div_fmas_f64 v[101:102], v[101:102], v[103:104], v[107:108]
	v_div_fixup_f64 v[101:102], v[101:102], v[99:100], v[97:98]
	v_fma_f64 v[97:98], v[97:98], v[101:102], v[99:100]
	v_div_scale_f64 v[99:100], s[6:7], v[97:98], v[97:98], 1.0
	v_div_scale_f64 v[107:108], vcc, 1.0, v[97:98], 1.0
	v_rcp_f64_e32 v[103:104], v[99:100]
	v_fma_f64 v[105:106], -v[99:100], v[103:104], 1.0
	v_fma_f64 v[103:104], v[103:104], v[105:106], v[103:104]
	v_fma_f64 v[105:106], -v[99:100], v[103:104], 1.0
	v_fma_f64 v[103:104], v[103:104], v[105:106], v[103:104]
	v_mul_f64 v[105:106], v[107:108], v[103:104]
	v_fma_f64 v[99:100], -v[99:100], v[105:106], v[107:108]
	v_div_fmas_f64 v[99:100], v[99:100], v[103:104], v[105:106]
	v_div_fixup_f64 v[103:104], v[99:100], v[97:98], 1.0
                                        ; implicit-def: $vgpr97_vgpr98
	v_mul_f64 v[101:102], v[101:102], v[103:104]
	v_xor_b32_e32 v104, 0x80000000, v104
.LBB107_68:
	s_andn2_saveexec_b64 s[2:3], s[2:3]
	s_cbranch_execz .LBB107_70
; %bb.69:
	v_div_scale_f64 v[101:102], s[6:7], v[97:98], v[97:98], v[99:100]
	v_rcp_f64_e32 v[103:104], v[101:102]
	v_fma_f64 v[105:106], -v[101:102], v[103:104], 1.0
	v_fma_f64 v[103:104], v[103:104], v[105:106], v[103:104]
	v_div_scale_f64 v[105:106], vcc, v[99:100], v[97:98], v[99:100]
	v_fma_f64 v[107:108], -v[101:102], v[103:104], 1.0
	v_fma_f64 v[103:104], v[103:104], v[107:108], v[103:104]
	v_mul_f64 v[107:108], v[105:106], v[103:104]
	v_fma_f64 v[101:102], -v[101:102], v[107:108], v[105:106]
	v_div_fmas_f64 v[101:102], v[101:102], v[103:104], v[107:108]
	v_div_fixup_f64 v[103:104], v[101:102], v[97:98], v[99:100]
	v_fma_f64 v[97:98], v[99:100], v[103:104], v[97:98]
	v_div_scale_f64 v[99:100], s[6:7], v[97:98], v[97:98], 1.0
	v_div_scale_f64 v[107:108], vcc, 1.0, v[97:98], 1.0
	v_rcp_f64_e32 v[101:102], v[99:100]
	v_fma_f64 v[105:106], -v[99:100], v[101:102], 1.0
	v_fma_f64 v[101:102], v[101:102], v[105:106], v[101:102]
	v_fma_f64 v[105:106], -v[99:100], v[101:102], 1.0
	v_fma_f64 v[101:102], v[101:102], v[105:106], v[101:102]
	v_mul_f64 v[105:106], v[107:108], v[101:102]
	v_fma_f64 v[99:100], -v[99:100], v[105:106], v[107:108]
	v_div_fmas_f64 v[99:100], v[99:100], v[101:102], v[105:106]
	v_div_fixup_f64 v[101:102], v[99:100], v[97:98], 1.0
	v_mul_f64 v[103:104], v[103:104], -v[101:102]
.LBB107_70:
	s_or_b64 exec, exec, s[2:3]
	ds_write2_b64 v127, v[101:102], v[103:104] offset1:1
.LBB107_71:
	s_or_b64 exec, exec, s[4:5]
	s_waitcnt lgkmcnt(0)
	s_barrier
	ds_read2_b64 v[87:90], v127 offset1:1
	v_cmp_lt_u32_e32 vcc, 7, v0
	s_waitcnt lgkmcnt(0)
	buffer_store_dword v87, off, s[20:23], 0 offset:1032 ; 4-byte Folded Spill
	s_nop 0
	buffer_store_dword v88, off, s[20:23], 0 offset:1036 ; 4-byte Folded Spill
	buffer_store_dword v89, off, s[20:23], 0 offset:1040 ; 4-byte Folded Spill
	;; [unrolled: 1-line block ×3, first 2 shown]
	s_and_saveexec_b64 s[2:3], vcc
	s_cbranch_execz .LBB107_73
; %bb.72:
	buffer_load_dword v107, off, s[20:23], 0 offset:368 ; 4-byte Folded Reload
	buffer_load_dword v108, off, s[20:23], 0 offset:372 ; 4-byte Folded Reload
	;; [unrolled: 1-line block ×8, first 2 shown]
	s_waitcnt vmcnt(2)
	v_mul_f64 v[99:100], v[87:88], v[109:110]
	s_waitcnt vmcnt(0)
	v_mul_f64 v[97:98], v[89:90], v[109:110]
	v_fma_f64 v[109:110], v[89:90], v[107:108], v[99:100]
	ds_read2_b64 v[99:102], v125 offset0:16 offset1:17
	v_fma_f64 v[97:98], v[87:88], v[107:108], -v[97:98]
	buffer_load_dword v105, off, s[20:23], 0 offset:352 ; 4-byte Folded Reload
	buffer_load_dword v106, off, s[20:23], 0 offset:356 ; 4-byte Folded Reload
	buffer_load_dword v107, off, s[20:23], 0 offset:360 ; 4-byte Folded Reload
	buffer_load_dword v108, off, s[20:23], 0 offset:364 ; 4-byte Folded Reload
	s_waitcnt lgkmcnt(0)
	v_mul_f64 v[103:104], v[101:102], v[109:110]
	v_fma_f64 v[103:104], v[99:100], v[97:98], -v[103:104]
	v_mul_f64 v[99:100], v[99:100], v[109:110]
	v_fma_f64 v[99:100], v[101:102], v[97:98], v[99:100]
	s_waitcnt vmcnt(2)
	v_add_f64 v[105:106], v[105:106], -v[103:104]
	s_waitcnt vmcnt(0)
	v_add_f64 v[107:108], v[107:108], -v[99:100]
	buffer_store_dword v105, off, s[20:23], 0 offset:352 ; 4-byte Folded Spill
	s_nop 0
	buffer_store_dword v106, off, s[20:23], 0 offset:356 ; 4-byte Folded Spill
	buffer_store_dword v107, off, s[20:23], 0 offset:360 ; 4-byte Folded Spill
	buffer_store_dword v108, off, s[20:23], 0 offset:364 ; 4-byte Folded Spill
	ds_read2_b64 v[99:102], v125 offset0:18 offset1:19
	buffer_load_dword v105, off, s[20:23], 0 offset:336 ; 4-byte Folded Reload
	buffer_load_dword v106, off, s[20:23], 0 offset:340 ; 4-byte Folded Reload
	buffer_load_dword v107, off, s[20:23], 0 offset:344 ; 4-byte Folded Reload
	buffer_load_dword v108, off, s[20:23], 0 offset:348 ; 4-byte Folded Reload
	s_waitcnt lgkmcnt(0)
	v_mul_f64 v[103:104], v[101:102], v[109:110]
	v_fma_f64 v[103:104], v[99:100], v[97:98], -v[103:104]
	v_mul_f64 v[99:100], v[99:100], v[109:110]
	v_fma_f64 v[99:100], v[101:102], v[97:98], v[99:100]
	s_waitcnt vmcnt(2)
	v_add_f64 v[105:106], v[105:106], -v[103:104]
	s_waitcnt vmcnt(0)
	v_add_f64 v[107:108], v[107:108], -v[99:100]
	buffer_store_dword v105, off, s[20:23], 0 offset:336 ; 4-byte Folded Spill
	s_nop 0
	buffer_store_dword v106, off, s[20:23], 0 offset:340 ; 4-byte Folded Spill
	buffer_store_dword v107, off, s[20:23], 0 offset:344 ; 4-byte Folded Spill
	buffer_store_dword v108, off, s[20:23], 0 offset:348 ; 4-byte Folded Spill
	ds_read2_b64 v[99:102], v125 offset0:20 offset1:21
	;; [unrolled: 19-line block ×22, first 2 shown]
	buffer_load_dword v105, off, s[20:23], 0 ; 4-byte Folded Reload
	buffer_load_dword v106, off, s[20:23], 0 offset:4 ; 4-byte Folded Reload
	buffer_load_dword v107, off, s[20:23], 0 offset:8 ; 4-byte Folded Reload
	;; [unrolled: 1-line block ×3, first 2 shown]
	s_waitcnt lgkmcnt(0)
	v_mul_f64 v[103:104], v[101:102], v[109:110]
	v_fma_f64 v[103:104], v[99:100], v[97:98], -v[103:104]
	v_mul_f64 v[99:100], v[99:100], v[109:110]
	v_fma_f64 v[99:100], v[101:102], v[97:98], v[99:100]
	s_waitcnt vmcnt(2)
	v_add_f64 v[105:106], v[105:106], -v[103:104]
	s_waitcnt vmcnt(0)
	v_add_f64 v[107:108], v[107:108], -v[99:100]
	buffer_store_dword v105, off, s[20:23], 0 ; 4-byte Folded Spill
	s_nop 0
	buffer_store_dword v106, off, s[20:23], 0 offset:4 ; 4-byte Folded Spill
	buffer_store_dword v107, off, s[20:23], 0 offset:8 ; 4-byte Folded Spill
	;; [unrolled: 1-line block ×3, first 2 shown]
	ds_read2_b64 v[99:102], v125 offset0:62 offset1:63
	v_mov_b32_e32 v108, v98
	v_mov_b32_e32 v107, v97
	s_waitcnt lgkmcnt(0)
	v_mul_f64 v[103:104], v[101:102], v[109:110]
	v_fma_f64 v[103:104], v[99:100], v[97:98], -v[103:104]
	v_mul_f64 v[99:100], v[99:100], v[109:110]
	v_add_f64 v[93:94], v[93:94], -v[103:104]
	v_fma_f64 v[99:100], v[101:102], v[97:98], v[99:100]
	v_add_f64 v[95:96], v[95:96], -v[99:100]
	ds_read2_b64 v[99:102], v125 offset0:64 offset1:65
	s_waitcnt lgkmcnt(0)
	v_mul_f64 v[103:104], v[101:102], v[109:110]
	v_fma_f64 v[103:104], v[99:100], v[97:98], -v[103:104]
	v_mul_f64 v[99:100], v[99:100], v[109:110]
	v_add_f64 v[81:82], v[81:82], -v[103:104]
	v_fma_f64 v[99:100], v[101:102], v[97:98], v[99:100]
	v_add_f64 v[83:84], v[83:84], -v[99:100]
	ds_read2_b64 v[99:102], v125 offset0:66 offset1:67
	;; [unrolled: 8-line block ×21, first 2 shown]
	s_waitcnt lgkmcnt(0)
	v_mul_f64 v[103:104], v[101:102], v[109:110]
	v_fma_f64 v[103:104], v[99:100], v[97:98], -v[103:104]
	v_mul_f64 v[99:100], v[99:100], v[109:110]
	v_add_f64 v[1:2], v[1:2], -v[103:104]
	v_fma_f64 v[99:100], v[101:102], v[97:98], v[99:100]
	ds_read2_b64 v[101:104], v125 offset0:106 offset1:107
	v_add_f64 v[3:4], v[3:4], -v[99:100]
	s_waitcnt lgkmcnt(0)
	v_mul_f64 v[99:100], v[103:104], v[109:110]
	v_fma_f64 v[99:100], v[101:102], v[97:98], -v[99:100]
	v_mul_f64 v[101:102], v[101:102], v[109:110]
	buffer_store_dword v107, off, s[20:23], 0 offset:368 ; 4-byte Folded Spill
	s_nop 0
	buffer_store_dword v108, off, s[20:23], 0 offset:372 ; 4-byte Folded Spill
	buffer_store_dword v109, off, s[20:23], 0 offset:376 ; 4-byte Folded Spill
	;; [unrolled: 1-line block ×3, first 2 shown]
	v_add_f64 v[121:122], v[121:122], -v[99:100]
	v_fma_f64 v[101:102], v[103:104], v[97:98], v[101:102]
	v_add_f64 v[123:124], v[123:124], -v[101:102]
.LBB107_73:
	s_or_b64 exec, exec, s[2:3]
	v_cmp_eq_u32_e32 vcc, 8, v0
	s_waitcnt vmcnt(0)
	s_barrier
	s_and_saveexec_b64 s[4:5], vcc
	s_cbranch_execz .LBB107_80
; %bb.74:
	buffer_load_dword v97, off, s[20:23], 0 offset:352 ; 4-byte Folded Reload
	buffer_load_dword v98, off, s[20:23], 0 offset:356 ; 4-byte Folded Reload
	;; [unrolled: 1-line block ×4, first 2 shown]
	s_waitcnt vmcnt(0)
	ds_write2_b64 v127, v[97:98], v[99:100] offset1:1
	buffer_load_dword v97, off, s[20:23], 0 offset:336 ; 4-byte Folded Reload
	buffer_load_dword v98, off, s[20:23], 0 offset:340 ; 4-byte Folded Reload
	buffer_load_dword v99, off, s[20:23], 0 offset:344 ; 4-byte Folded Reload
	buffer_load_dword v100, off, s[20:23], 0 offset:348 ; 4-byte Folded Reload
	s_waitcnt vmcnt(0)
	ds_write2_b64 v125, v[97:98], v[99:100] offset0:18 offset1:19
	buffer_load_dword v97, off, s[20:23], 0 offset:320 ; 4-byte Folded Reload
	buffer_load_dword v98, off, s[20:23], 0 offset:324 ; 4-byte Folded Reload
	buffer_load_dword v99, off, s[20:23], 0 offset:328 ; 4-byte Folded Reload
	buffer_load_dword v100, off, s[20:23], 0 offset:332 ; 4-byte Folded Reload
	s_waitcnt vmcnt(0)
	ds_write2_b64 v125, v[97:98], v[99:100] offset0:20 offset1:21
	;; [unrolled: 6-line block ×21, first 2 shown]
	buffer_load_dword v97, off, s[20:23], 0 ; 4-byte Folded Reload
	buffer_load_dword v98, off, s[20:23], 0 offset:4 ; 4-byte Folded Reload
	buffer_load_dword v99, off, s[20:23], 0 offset:8 ; 4-byte Folded Reload
	;; [unrolled: 1-line block ×3, first 2 shown]
	s_waitcnt vmcnt(0)
	ds_write2_b64 v125, v[97:98], v[99:100] offset0:60 offset1:61
	ds_write2_b64 v125, v[93:94], v[95:96] offset0:62 offset1:63
	ds_write2_b64 v125, v[81:82], v[83:84] offset0:64 offset1:65
	ds_write2_b64 v125, v[77:78], v[79:80] offset0:66 offset1:67
	ds_write2_b64 v125, v[73:74], v[75:76] offset0:68 offset1:69
	ds_write2_b64 v125, v[69:70], v[71:72] offset0:70 offset1:71
	ds_write2_b64 v125, v[65:66], v[67:68] offset0:72 offset1:73
	ds_write2_b64 v125, v[61:62], v[63:64] offset0:74 offset1:75
	ds_write2_b64 v125, v[57:58], v[59:60] offset0:76 offset1:77
	ds_write2_b64 v125, v[53:54], v[55:56] offset0:78 offset1:79
	ds_write2_b64 v125, v[49:50], v[51:52] offset0:80 offset1:81
	ds_write2_b64 v125, v[45:46], v[47:48] offset0:82 offset1:83
	ds_write2_b64 v125, v[41:42], v[43:44] offset0:84 offset1:85
	ds_write2_b64 v125, v[37:38], v[39:40] offset0:86 offset1:87
	ds_write2_b64 v125, v[33:34], v[35:36] offset0:88 offset1:89
	ds_write2_b64 v125, v[29:30], v[31:32] offset0:90 offset1:91
	ds_write2_b64 v125, v[25:26], v[27:28] offset0:92 offset1:93
	ds_write2_b64 v125, v[21:22], v[23:24] offset0:94 offset1:95
	ds_write2_b64 v125, v[17:18], v[19:20] offset0:96 offset1:97
	ds_write2_b64 v125, v[13:14], v[15:16] offset0:98 offset1:99
	ds_write2_b64 v125, v[9:10], v[11:12] offset0:100 offset1:101
	ds_write2_b64 v125, v[5:6], v[7:8] offset0:102 offset1:103
	ds_write2_b64 v125, v[1:2], v[3:4] offset0:104 offset1:105
	ds_write2_b64 v125, v[121:122], v[123:124] offset0:106 offset1:107
	ds_read2_b64 v[97:100], v127 offset1:1
	s_waitcnt lgkmcnt(0)
	v_cmp_neq_f64_e32 vcc, 0, v[97:98]
	v_cmp_neq_f64_e64 s[2:3], 0, v[99:100]
	s_or_b64 s[2:3], vcc, s[2:3]
	s_and_b64 exec, exec, s[2:3]
	s_cbranch_execz .LBB107_80
; %bb.75:
	v_cmp_ngt_f64_e64 s[2:3], |v[97:98]|, |v[99:100]|
                                        ; implicit-def: $vgpr101_vgpr102
	s_and_saveexec_b64 s[6:7], s[2:3]
	s_xor_b64 s[2:3], exec, s[6:7]
                                        ; implicit-def: $vgpr103_vgpr104
	s_cbranch_execz .LBB107_77
; %bb.76:
	v_div_scale_f64 v[101:102], s[6:7], v[99:100], v[99:100], v[97:98]
	v_rcp_f64_e32 v[103:104], v[101:102]
	v_fma_f64 v[105:106], -v[101:102], v[103:104], 1.0
	v_fma_f64 v[103:104], v[103:104], v[105:106], v[103:104]
	v_div_scale_f64 v[105:106], vcc, v[97:98], v[99:100], v[97:98]
	v_fma_f64 v[107:108], -v[101:102], v[103:104], 1.0
	v_fma_f64 v[103:104], v[103:104], v[107:108], v[103:104]
	v_mul_f64 v[107:108], v[105:106], v[103:104]
	v_fma_f64 v[101:102], -v[101:102], v[107:108], v[105:106]
	v_div_fmas_f64 v[101:102], v[101:102], v[103:104], v[107:108]
	v_div_fixup_f64 v[101:102], v[101:102], v[99:100], v[97:98]
	v_fma_f64 v[97:98], v[97:98], v[101:102], v[99:100]
	v_div_scale_f64 v[99:100], s[6:7], v[97:98], v[97:98], 1.0
	v_div_scale_f64 v[107:108], vcc, 1.0, v[97:98], 1.0
	v_rcp_f64_e32 v[103:104], v[99:100]
	v_fma_f64 v[105:106], -v[99:100], v[103:104], 1.0
	v_fma_f64 v[103:104], v[103:104], v[105:106], v[103:104]
	v_fma_f64 v[105:106], -v[99:100], v[103:104], 1.0
	v_fma_f64 v[103:104], v[103:104], v[105:106], v[103:104]
	v_mul_f64 v[105:106], v[107:108], v[103:104]
	v_fma_f64 v[99:100], -v[99:100], v[105:106], v[107:108]
	v_div_fmas_f64 v[99:100], v[99:100], v[103:104], v[105:106]
	v_div_fixup_f64 v[103:104], v[99:100], v[97:98], 1.0
                                        ; implicit-def: $vgpr97_vgpr98
	v_mul_f64 v[101:102], v[101:102], v[103:104]
	v_xor_b32_e32 v104, 0x80000000, v104
.LBB107_77:
	s_andn2_saveexec_b64 s[2:3], s[2:3]
	s_cbranch_execz .LBB107_79
; %bb.78:
	v_div_scale_f64 v[101:102], s[6:7], v[97:98], v[97:98], v[99:100]
	v_rcp_f64_e32 v[103:104], v[101:102]
	v_fma_f64 v[105:106], -v[101:102], v[103:104], 1.0
	v_fma_f64 v[103:104], v[103:104], v[105:106], v[103:104]
	v_div_scale_f64 v[105:106], vcc, v[99:100], v[97:98], v[99:100]
	v_fma_f64 v[107:108], -v[101:102], v[103:104], 1.0
	v_fma_f64 v[103:104], v[103:104], v[107:108], v[103:104]
	v_mul_f64 v[107:108], v[105:106], v[103:104]
	v_fma_f64 v[101:102], -v[101:102], v[107:108], v[105:106]
	v_div_fmas_f64 v[101:102], v[101:102], v[103:104], v[107:108]
	v_div_fixup_f64 v[103:104], v[101:102], v[97:98], v[99:100]
	v_fma_f64 v[97:98], v[99:100], v[103:104], v[97:98]
	v_div_scale_f64 v[99:100], s[6:7], v[97:98], v[97:98], 1.0
	v_div_scale_f64 v[107:108], vcc, 1.0, v[97:98], 1.0
	v_rcp_f64_e32 v[101:102], v[99:100]
	v_fma_f64 v[105:106], -v[99:100], v[101:102], 1.0
	v_fma_f64 v[101:102], v[101:102], v[105:106], v[101:102]
	v_fma_f64 v[105:106], -v[99:100], v[101:102], 1.0
	v_fma_f64 v[101:102], v[101:102], v[105:106], v[101:102]
	v_mul_f64 v[105:106], v[107:108], v[101:102]
	v_fma_f64 v[99:100], -v[99:100], v[105:106], v[107:108]
	v_div_fmas_f64 v[99:100], v[99:100], v[101:102], v[105:106]
	v_div_fixup_f64 v[101:102], v[99:100], v[97:98], 1.0
	v_mul_f64 v[103:104], v[103:104], -v[101:102]
.LBB107_79:
	s_or_b64 exec, exec, s[2:3]
	ds_write2_b64 v127, v[101:102], v[103:104] offset1:1
.LBB107_80:
	s_or_b64 exec, exec, s[4:5]
	s_waitcnt lgkmcnt(0)
	s_barrier
	ds_read2_b64 v[87:90], v127 offset1:1
	v_cmp_lt_u32_e32 vcc, 8, v0
	s_waitcnt lgkmcnt(0)
	buffer_store_dword v87, off, s[20:23], 0 offset:1048 ; 4-byte Folded Spill
	s_nop 0
	buffer_store_dword v88, off, s[20:23], 0 offset:1052 ; 4-byte Folded Spill
	buffer_store_dword v89, off, s[20:23], 0 offset:1056 ; 4-byte Folded Spill
	;; [unrolled: 1-line block ×3, first 2 shown]
	s_and_saveexec_b64 s[2:3], vcc
	s_cbranch_execz .LBB107_82
; %bb.81:
	buffer_load_dword v107, off, s[20:23], 0 offset:352 ; 4-byte Folded Reload
	buffer_load_dword v108, off, s[20:23], 0 offset:356 ; 4-byte Folded Reload
	;; [unrolled: 1-line block ×8, first 2 shown]
	s_waitcnt vmcnt(2)
	v_mul_f64 v[99:100], v[87:88], v[109:110]
	s_waitcnt vmcnt(0)
	v_mul_f64 v[97:98], v[89:90], v[109:110]
	v_fma_f64 v[109:110], v[89:90], v[107:108], v[99:100]
	ds_read2_b64 v[99:102], v125 offset0:18 offset1:19
	v_fma_f64 v[97:98], v[87:88], v[107:108], -v[97:98]
	buffer_load_dword v105, off, s[20:23], 0 offset:336 ; 4-byte Folded Reload
	buffer_load_dword v106, off, s[20:23], 0 offset:340 ; 4-byte Folded Reload
	buffer_load_dword v107, off, s[20:23], 0 offset:344 ; 4-byte Folded Reload
	buffer_load_dword v108, off, s[20:23], 0 offset:348 ; 4-byte Folded Reload
	s_waitcnt lgkmcnt(0)
	v_mul_f64 v[103:104], v[101:102], v[109:110]
	v_fma_f64 v[103:104], v[99:100], v[97:98], -v[103:104]
	v_mul_f64 v[99:100], v[99:100], v[109:110]
	v_fma_f64 v[99:100], v[101:102], v[97:98], v[99:100]
	s_waitcnt vmcnt(2)
	v_add_f64 v[105:106], v[105:106], -v[103:104]
	s_waitcnt vmcnt(0)
	v_add_f64 v[107:108], v[107:108], -v[99:100]
	buffer_store_dword v105, off, s[20:23], 0 offset:336 ; 4-byte Folded Spill
	s_nop 0
	buffer_store_dword v106, off, s[20:23], 0 offset:340 ; 4-byte Folded Spill
	buffer_store_dword v107, off, s[20:23], 0 offset:344 ; 4-byte Folded Spill
	buffer_store_dword v108, off, s[20:23], 0 offset:348 ; 4-byte Folded Spill
	ds_read2_b64 v[99:102], v125 offset0:20 offset1:21
	buffer_load_dword v105, off, s[20:23], 0 offset:320 ; 4-byte Folded Reload
	buffer_load_dword v106, off, s[20:23], 0 offset:324 ; 4-byte Folded Reload
	buffer_load_dword v107, off, s[20:23], 0 offset:328 ; 4-byte Folded Reload
	buffer_load_dword v108, off, s[20:23], 0 offset:332 ; 4-byte Folded Reload
	s_waitcnt lgkmcnt(0)
	v_mul_f64 v[103:104], v[101:102], v[109:110]
	v_fma_f64 v[103:104], v[99:100], v[97:98], -v[103:104]
	v_mul_f64 v[99:100], v[99:100], v[109:110]
	v_fma_f64 v[99:100], v[101:102], v[97:98], v[99:100]
	s_waitcnt vmcnt(2)
	v_add_f64 v[105:106], v[105:106], -v[103:104]
	s_waitcnt vmcnt(0)
	v_add_f64 v[107:108], v[107:108], -v[99:100]
	buffer_store_dword v105, off, s[20:23], 0 offset:320 ; 4-byte Folded Spill
	s_nop 0
	buffer_store_dword v106, off, s[20:23], 0 offset:324 ; 4-byte Folded Spill
	buffer_store_dword v107, off, s[20:23], 0 offset:328 ; 4-byte Folded Spill
	buffer_store_dword v108, off, s[20:23], 0 offset:332 ; 4-byte Folded Spill
	ds_read2_b64 v[99:102], v125 offset0:22 offset1:23
	;; [unrolled: 19-line block ×21, first 2 shown]
	buffer_load_dword v105, off, s[20:23], 0 ; 4-byte Folded Reload
	buffer_load_dword v106, off, s[20:23], 0 offset:4 ; 4-byte Folded Reload
	buffer_load_dword v107, off, s[20:23], 0 offset:8 ; 4-byte Folded Reload
	;; [unrolled: 1-line block ×3, first 2 shown]
	s_waitcnt lgkmcnt(0)
	v_mul_f64 v[103:104], v[101:102], v[109:110]
	v_fma_f64 v[103:104], v[99:100], v[97:98], -v[103:104]
	v_mul_f64 v[99:100], v[99:100], v[109:110]
	v_fma_f64 v[99:100], v[101:102], v[97:98], v[99:100]
	s_waitcnt vmcnt(2)
	v_add_f64 v[105:106], v[105:106], -v[103:104]
	s_waitcnt vmcnt(0)
	v_add_f64 v[107:108], v[107:108], -v[99:100]
	buffer_store_dword v105, off, s[20:23], 0 ; 4-byte Folded Spill
	s_nop 0
	buffer_store_dword v106, off, s[20:23], 0 offset:4 ; 4-byte Folded Spill
	buffer_store_dword v107, off, s[20:23], 0 offset:8 ; 4-byte Folded Spill
	;; [unrolled: 1-line block ×3, first 2 shown]
	ds_read2_b64 v[99:102], v125 offset0:62 offset1:63
	v_mov_b32_e32 v108, v98
	v_mov_b32_e32 v107, v97
	s_waitcnt lgkmcnt(0)
	v_mul_f64 v[103:104], v[101:102], v[109:110]
	v_fma_f64 v[103:104], v[99:100], v[97:98], -v[103:104]
	v_mul_f64 v[99:100], v[99:100], v[109:110]
	v_add_f64 v[93:94], v[93:94], -v[103:104]
	v_fma_f64 v[99:100], v[101:102], v[97:98], v[99:100]
	v_add_f64 v[95:96], v[95:96], -v[99:100]
	ds_read2_b64 v[99:102], v125 offset0:64 offset1:65
	s_waitcnt lgkmcnt(0)
	v_mul_f64 v[103:104], v[101:102], v[109:110]
	v_fma_f64 v[103:104], v[99:100], v[97:98], -v[103:104]
	v_mul_f64 v[99:100], v[99:100], v[109:110]
	v_add_f64 v[81:82], v[81:82], -v[103:104]
	v_fma_f64 v[99:100], v[101:102], v[97:98], v[99:100]
	v_add_f64 v[83:84], v[83:84], -v[99:100]
	ds_read2_b64 v[99:102], v125 offset0:66 offset1:67
	s_waitcnt lgkmcnt(0)
	v_mul_f64 v[103:104], v[101:102], v[109:110]
	v_fma_f64 v[103:104], v[99:100], v[97:98], -v[103:104]
	v_mul_f64 v[99:100], v[99:100], v[109:110]
	v_add_f64 v[77:78], v[77:78], -v[103:104]
	v_fma_f64 v[99:100], v[101:102], v[97:98], v[99:100]
	v_add_f64 v[79:80], v[79:80], -v[99:100]
	ds_read2_b64 v[99:102], v125 offset0:68 offset1:69
	s_waitcnt lgkmcnt(0)
	v_mul_f64 v[103:104], v[101:102], v[109:110]
	v_fma_f64 v[103:104], v[99:100], v[97:98], -v[103:104]
	v_mul_f64 v[99:100], v[99:100], v[109:110]
	v_add_f64 v[73:74], v[73:74], -v[103:104]
	v_fma_f64 v[99:100], v[101:102], v[97:98], v[99:100]
	v_add_f64 v[75:76], v[75:76], -v[99:100]
	ds_read2_b64 v[99:102], v125 offset0:70 offset1:71
	s_waitcnt lgkmcnt(0)
	v_mul_f64 v[103:104], v[101:102], v[109:110]
	v_fma_f64 v[103:104], v[99:100], v[97:98], -v[103:104]
	v_mul_f64 v[99:100], v[99:100], v[109:110]
	v_add_f64 v[69:70], v[69:70], -v[103:104]
	v_fma_f64 v[99:100], v[101:102], v[97:98], v[99:100]
	v_add_f64 v[71:72], v[71:72], -v[99:100]
	ds_read2_b64 v[99:102], v125 offset0:72 offset1:73
	s_waitcnt lgkmcnt(0)
	v_mul_f64 v[103:104], v[101:102], v[109:110]
	v_fma_f64 v[103:104], v[99:100], v[97:98], -v[103:104]
	v_mul_f64 v[99:100], v[99:100], v[109:110]
	v_add_f64 v[65:66], v[65:66], -v[103:104]
	v_fma_f64 v[99:100], v[101:102], v[97:98], v[99:100]
	v_add_f64 v[67:68], v[67:68], -v[99:100]
	ds_read2_b64 v[99:102], v125 offset0:74 offset1:75
	s_waitcnt lgkmcnt(0)
	v_mul_f64 v[103:104], v[101:102], v[109:110]
	v_fma_f64 v[103:104], v[99:100], v[97:98], -v[103:104]
	v_mul_f64 v[99:100], v[99:100], v[109:110]
	v_add_f64 v[61:62], v[61:62], -v[103:104]
	v_fma_f64 v[99:100], v[101:102], v[97:98], v[99:100]
	v_add_f64 v[63:64], v[63:64], -v[99:100]
	ds_read2_b64 v[99:102], v125 offset0:76 offset1:77
	s_waitcnt lgkmcnt(0)
	v_mul_f64 v[103:104], v[101:102], v[109:110]
	v_fma_f64 v[103:104], v[99:100], v[97:98], -v[103:104]
	v_mul_f64 v[99:100], v[99:100], v[109:110]
	v_add_f64 v[57:58], v[57:58], -v[103:104]
	v_fma_f64 v[99:100], v[101:102], v[97:98], v[99:100]
	v_add_f64 v[59:60], v[59:60], -v[99:100]
	ds_read2_b64 v[99:102], v125 offset0:78 offset1:79
	s_waitcnt lgkmcnt(0)
	v_mul_f64 v[103:104], v[101:102], v[109:110]
	v_fma_f64 v[103:104], v[99:100], v[97:98], -v[103:104]
	v_mul_f64 v[99:100], v[99:100], v[109:110]
	v_add_f64 v[53:54], v[53:54], -v[103:104]
	v_fma_f64 v[99:100], v[101:102], v[97:98], v[99:100]
	v_add_f64 v[55:56], v[55:56], -v[99:100]
	ds_read2_b64 v[99:102], v125 offset0:80 offset1:81
	s_waitcnt lgkmcnt(0)
	v_mul_f64 v[103:104], v[101:102], v[109:110]
	v_fma_f64 v[103:104], v[99:100], v[97:98], -v[103:104]
	v_mul_f64 v[99:100], v[99:100], v[109:110]
	v_add_f64 v[49:50], v[49:50], -v[103:104]
	v_fma_f64 v[99:100], v[101:102], v[97:98], v[99:100]
	v_add_f64 v[51:52], v[51:52], -v[99:100]
	ds_read2_b64 v[99:102], v125 offset0:82 offset1:83
	s_waitcnt lgkmcnt(0)
	v_mul_f64 v[103:104], v[101:102], v[109:110]
	v_fma_f64 v[103:104], v[99:100], v[97:98], -v[103:104]
	v_mul_f64 v[99:100], v[99:100], v[109:110]
	v_add_f64 v[45:46], v[45:46], -v[103:104]
	v_fma_f64 v[99:100], v[101:102], v[97:98], v[99:100]
	v_add_f64 v[47:48], v[47:48], -v[99:100]
	ds_read2_b64 v[99:102], v125 offset0:84 offset1:85
	s_waitcnt lgkmcnt(0)
	v_mul_f64 v[103:104], v[101:102], v[109:110]
	v_fma_f64 v[103:104], v[99:100], v[97:98], -v[103:104]
	v_mul_f64 v[99:100], v[99:100], v[109:110]
	v_add_f64 v[41:42], v[41:42], -v[103:104]
	v_fma_f64 v[99:100], v[101:102], v[97:98], v[99:100]
	v_add_f64 v[43:44], v[43:44], -v[99:100]
	ds_read2_b64 v[99:102], v125 offset0:86 offset1:87
	s_waitcnt lgkmcnt(0)
	v_mul_f64 v[103:104], v[101:102], v[109:110]
	v_fma_f64 v[103:104], v[99:100], v[97:98], -v[103:104]
	v_mul_f64 v[99:100], v[99:100], v[109:110]
	v_add_f64 v[37:38], v[37:38], -v[103:104]
	v_fma_f64 v[99:100], v[101:102], v[97:98], v[99:100]
	v_add_f64 v[39:40], v[39:40], -v[99:100]
	ds_read2_b64 v[99:102], v125 offset0:88 offset1:89
	s_waitcnt lgkmcnt(0)
	v_mul_f64 v[103:104], v[101:102], v[109:110]
	v_fma_f64 v[103:104], v[99:100], v[97:98], -v[103:104]
	v_mul_f64 v[99:100], v[99:100], v[109:110]
	v_add_f64 v[33:34], v[33:34], -v[103:104]
	v_fma_f64 v[99:100], v[101:102], v[97:98], v[99:100]
	v_add_f64 v[35:36], v[35:36], -v[99:100]
	ds_read2_b64 v[99:102], v125 offset0:90 offset1:91
	s_waitcnt lgkmcnt(0)
	v_mul_f64 v[103:104], v[101:102], v[109:110]
	v_fma_f64 v[103:104], v[99:100], v[97:98], -v[103:104]
	v_mul_f64 v[99:100], v[99:100], v[109:110]
	v_add_f64 v[29:30], v[29:30], -v[103:104]
	v_fma_f64 v[99:100], v[101:102], v[97:98], v[99:100]
	v_add_f64 v[31:32], v[31:32], -v[99:100]
	ds_read2_b64 v[99:102], v125 offset0:92 offset1:93
	s_waitcnt lgkmcnt(0)
	v_mul_f64 v[103:104], v[101:102], v[109:110]
	v_fma_f64 v[103:104], v[99:100], v[97:98], -v[103:104]
	v_mul_f64 v[99:100], v[99:100], v[109:110]
	v_add_f64 v[25:26], v[25:26], -v[103:104]
	v_fma_f64 v[99:100], v[101:102], v[97:98], v[99:100]
	v_add_f64 v[27:28], v[27:28], -v[99:100]
	ds_read2_b64 v[99:102], v125 offset0:94 offset1:95
	s_waitcnt lgkmcnt(0)
	v_mul_f64 v[103:104], v[101:102], v[109:110]
	v_fma_f64 v[103:104], v[99:100], v[97:98], -v[103:104]
	v_mul_f64 v[99:100], v[99:100], v[109:110]
	v_add_f64 v[21:22], v[21:22], -v[103:104]
	v_fma_f64 v[99:100], v[101:102], v[97:98], v[99:100]
	v_add_f64 v[23:24], v[23:24], -v[99:100]
	ds_read2_b64 v[99:102], v125 offset0:96 offset1:97
	s_waitcnt lgkmcnt(0)
	v_mul_f64 v[103:104], v[101:102], v[109:110]
	v_fma_f64 v[103:104], v[99:100], v[97:98], -v[103:104]
	v_mul_f64 v[99:100], v[99:100], v[109:110]
	v_add_f64 v[17:18], v[17:18], -v[103:104]
	v_fma_f64 v[99:100], v[101:102], v[97:98], v[99:100]
	v_add_f64 v[19:20], v[19:20], -v[99:100]
	ds_read2_b64 v[99:102], v125 offset0:98 offset1:99
	s_waitcnt lgkmcnt(0)
	v_mul_f64 v[103:104], v[101:102], v[109:110]
	v_fma_f64 v[103:104], v[99:100], v[97:98], -v[103:104]
	v_mul_f64 v[99:100], v[99:100], v[109:110]
	v_add_f64 v[13:14], v[13:14], -v[103:104]
	v_fma_f64 v[99:100], v[101:102], v[97:98], v[99:100]
	v_add_f64 v[15:16], v[15:16], -v[99:100]
	ds_read2_b64 v[99:102], v125 offset0:100 offset1:101
	s_waitcnt lgkmcnt(0)
	v_mul_f64 v[103:104], v[101:102], v[109:110]
	v_fma_f64 v[103:104], v[99:100], v[97:98], -v[103:104]
	v_mul_f64 v[99:100], v[99:100], v[109:110]
	v_add_f64 v[9:10], v[9:10], -v[103:104]
	v_fma_f64 v[99:100], v[101:102], v[97:98], v[99:100]
	v_add_f64 v[11:12], v[11:12], -v[99:100]
	ds_read2_b64 v[99:102], v125 offset0:102 offset1:103
	s_waitcnt lgkmcnt(0)
	v_mul_f64 v[103:104], v[101:102], v[109:110]
	v_fma_f64 v[103:104], v[99:100], v[97:98], -v[103:104]
	v_mul_f64 v[99:100], v[99:100], v[109:110]
	v_add_f64 v[5:6], v[5:6], -v[103:104]
	v_fma_f64 v[99:100], v[101:102], v[97:98], v[99:100]
	v_add_f64 v[7:8], v[7:8], -v[99:100]
	ds_read2_b64 v[99:102], v125 offset0:104 offset1:105
	s_waitcnt lgkmcnt(0)
	v_mul_f64 v[103:104], v[101:102], v[109:110]
	v_fma_f64 v[103:104], v[99:100], v[97:98], -v[103:104]
	v_mul_f64 v[99:100], v[99:100], v[109:110]
	v_add_f64 v[1:2], v[1:2], -v[103:104]
	v_fma_f64 v[99:100], v[101:102], v[97:98], v[99:100]
	ds_read2_b64 v[101:104], v125 offset0:106 offset1:107
	v_add_f64 v[3:4], v[3:4], -v[99:100]
	s_waitcnt lgkmcnt(0)
	v_mul_f64 v[99:100], v[103:104], v[109:110]
	v_fma_f64 v[99:100], v[101:102], v[97:98], -v[99:100]
	v_mul_f64 v[101:102], v[101:102], v[109:110]
	buffer_store_dword v107, off, s[20:23], 0 offset:352 ; 4-byte Folded Spill
	s_nop 0
	buffer_store_dword v108, off, s[20:23], 0 offset:356 ; 4-byte Folded Spill
	buffer_store_dword v109, off, s[20:23], 0 offset:360 ; 4-byte Folded Spill
	;; [unrolled: 1-line block ×3, first 2 shown]
	v_add_f64 v[121:122], v[121:122], -v[99:100]
	v_fma_f64 v[101:102], v[103:104], v[97:98], v[101:102]
	v_add_f64 v[123:124], v[123:124], -v[101:102]
.LBB107_82:
	s_or_b64 exec, exec, s[2:3]
	v_cmp_eq_u32_e32 vcc, 9, v0
	s_waitcnt vmcnt(0)
	s_barrier
	s_and_saveexec_b64 s[4:5], vcc
	s_cbranch_execz .LBB107_89
; %bb.83:
	buffer_load_dword v97, off, s[20:23], 0 offset:336 ; 4-byte Folded Reload
	buffer_load_dword v98, off, s[20:23], 0 offset:340 ; 4-byte Folded Reload
	;; [unrolled: 1-line block ×4, first 2 shown]
	s_waitcnt vmcnt(0)
	ds_write2_b64 v127, v[97:98], v[99:100] offset1:1
	buffer_load_dword v97, off, s[20:23], 0 offset:320 ; 4-byte Folded Reload
	buffer_load_dword v98, off, s[20:23], 0 offset:324 ; 4-byte Folded Reload
	buffer_load_dword v99, off, s[20:23], 0 offset:328 ; 4-byte Folded Reload
	buffer_load_dword v100, off, s[20:23], 0 offset:332 ; 4-byte Folded Reload
	s_waitcnt vmcnt(0)
	ds_write2_b64 v125, v[97:98], v[99:100] offset0:20 offset1:21
	buffer_load_dword v97, off, s[20:23], 0 offset:304 ; 4-byte Folded Reload
	buffer_load_dword v98, off, s[20:23], 0 offset:308 ; 4-byte Folded Reload
	buffer_load_dword v99, off, s[20:23], 0 offset:312 ; 4-byte Folded Reload
	buffer_load_dword v100, off, s[20:23], 0 offset:316 ; 4-byte Folded Reload
	s_waitcnt vmcnt(0)
	ds_write2_b64 v125, v[97:98], v[99:100] offset0:22 offset1:23
	;; [unrolled: 6-line block ×20, first 2 shown]
	buffer_load_dword v97, off, s[20:23], 0 ; 4-byte Folded Reload
	buffer_load_dword v98, off, s[20:23], 0 offset:4 ; 4-byte Folded Reload
	buffer_load_dword v99, off, s[20:23], 0 offset:8 ; 4-byte Folded Reload
	;; [unrolled: 1-line block ×3, first 2 shown]
	s_waitcnt vmcnt(0)
	ds_write2_b64 v125, v[97:98], v[99:100] offset0:60 offset1:61
	ds_write2_b64 v125, v[93:94], v[95:96] offset0:62 offset1:63
	;; [unrolled: 1-line block ×24, first 2 shown]
	ds_read2_b64 v[97:100], v127 offset1:1
	s_waitcnt lgkmcnt(0)
	v_cmp_neq_f64_e32 vcc, 0, v[97:98]
	v_cmp_neq_f64_e64 s[2:3], 0, v[99:100]
	s_or_b64 s[2:3], vcc, s[2:3]
	s_and_b64 exec, exec, s[2:3]
	s_cbranch_execz .LBB107_89
; %bb.84:
	v_cmp_ngt_f64_e64 s[2:3], |v[97:98]|, |v[99:100]|
                                        ; implicit-def: $vgpr101_vgpr102
	s_and_saveexec_b64 s[6:7], s[2:3]
	s_xor_b64 s[2:3], exec, s[6:7]
                                        ; implicit-def: $vgpr103_vgpr104
	s_cbranch_execz .LBB107_86
; %bb.85:
	v_div_scale_f64 v[101:102], s[6:7], v[99:100], v[99:100], v[97:98]
	v_rcp_f64_e32 v[103:104], v[101:102]
	v_fma_f64 v[105:106], -v[101:102], v[103:104], 1.0
	v_fma_f64 v[103:104], v[103:104], v[105:106], v[103:104]
	v_div_scale_f64 v[105:106], vcc, v[97:98], v[99:100], v[97:98]
	v_fma_f64 v[107:108], -v[101:102], v[103:104], 1.0
	v_fma_f64 v[103:104], v[103:104], v[107:108], v[103:104]
	v_mul_f64 v[107:108], v[105:106], v[103:104]
	v_fma_f64 v[101:102], -v[101:102], v[107:108], v[105:106]
	v_div_fmas_f64 v[101:102], v[101:102], v[103:104], v[107:108]
	v_div_fixup_f64 v[101:102], v[101:102], v[99:100], v[97:98]
	v_fma_f64 v[97:98], v[97:98], v[101:102], v[99:100]
	v_div_scale_f64 v[99:100], s[6:7], v[97:98], v[97:98], 1.0
	v_div_scale_f64 v[107:108], vcc, 1.0, v[97:98], 1.0
	v_rcp_f64_e32 v[103:104], v[99:100]
	v_fma_f64 v[105:106], -v[99:100], v[103:104], 1.0
	v_fma_f64 v[103:104], v[103:104], v[105:106], v[103:104]
	v_fma_f64 v[105:106], -v[99:100], v[103:104], 1.0
	v_fma_f64 v[103:104], v[103:104], v[105:106], v[103:104]
	v_mul_f64 v[105:106], v[107:108], v[103:104]
	v_fma_f64 v[99:100], -v[99:100], v[105:106], v[107:108]
	v_div_fmas_f64 v[99:100], v[99:100], v[103:104], v[105:106]
	v_div_fixup_f64 v[103:104], v[99:100], v[97:98], 1.0
                                        ; implicit-def: $vgpr97_vgpr98
	v_mul_f64 v[101:102], v[101:102], v[103:104]
	v_xor_b32_e32 v104, 0x80000000, v104
.LBB107_86:
	s_andn2_saveexec_b64 s[2:3], s[2:3]
	s_cbranch_execz .LBB107_88
; %bb.87:
	v_div_scale_f64 v[101:102], s[6:7], v[97:98], v[97:98], v[99:100]
	v_rcp_f64_e32 v[103:104], v[101:102]
	v_fma_f64 v[105:106], -v[101:102], v[103:104], 1.0
	v_fma_f64 v[103:104], v[103:104], v[105:106], v[103:104]
	v_div_scale_f64 v[105:106], vcc, v[99:100], v[97:98], v[99:100]
	v_fma_f64 v[107:108], -v[101:102], v[103:104], 1.0
	v_fma_f64 v[103:104], v[103:104], v[107:108], v[103:104]
	v_mul_f64 v[107:108], v[105:106], v[103:104]
	v_fma_f64 v[101:102], -v[101:102], v[107:108], v[105:106]
	v_div_fmas_f64 v[101:102], v[101:102], v[103:104], v[107:108]
	v_div_fixup_f64 v[103:104], v[101:102], v[97:98], v[99:100]
	v_fma_f64 v[97:98], v[99:100], v[103:104], v[97:98]
	v_div_scale_f64 v[99:100], s[6:7], v[97:98], v[97:98], 1.0
	v_div_scale_f64 v[107:108], vcc, 1.0, v[97:98], 1.0
	v_rcp_f64_e32 v[101:102], v[99:100]
	v_fma_f64 v[105:106], -v[99:100], v[101:102], 1.0
	v_fma_f64 v[101:102], v[101:102], v[105:106], v[101:102]
	v_fma_f64 v[105:106], -v[99:100], v[101:102], 1.0
	v_fma_f64 v[101:102], v[101:102], v[105:106], v[101:102]
	v_mul_f64 v[105:106], v[107:108], v[101:102]
	v_fma_f64 v[99:100], -v[99:100], v[105:106], v[107:108]
	v_div_fmas_f64 v[99:100], v[99:100], v[101:102], v[105:106]
	v_div_fixup_f64 v[101:102], v[99:100], v[97:98], 1.0
	v_mul_f64 v[103:104], v[103:104], -v[101:102]
.LBB107_88:
	s_or_b64 exec, exec, s[2:3]
	ds_write2_b64 v127, v[101:102], v[103:104] offset1:1
.LBB107_89:
	s_or_b64 exec, exec, s[4:5]
	s_waitcnt lgkmcnt(0)
	s_barrier
	ds_read2_b64 v[87:90], v127 offset1:1
	v_cmp_lt_u32_e32 vcc, 9, v0
	s_waitcnt lgkmcnt(0)
	buffer_store_dword v87, off, s[20:23], 0 offset:1064 ; 4-byte Folded Spill
	s_nop 0
	buffer_store_dword v88, off, s[20:23], 0 offset:1068 ; 4-byte Folded Spill
	buffer_store_dword v89, off, s[20:23], 0 offset:1072 ; 4-byte Folded Spill
	buffer_store_dword v90, off, s[20:23], 0 offset:1076 ; 4-byte Folded Spill
	s_and_saveexec_b64 s[2:3], vcc
	s_cbranch_execz .LBB107_91
; %bb.90:
	buffer_load_dword v107, off, s[20:23], 0 offset:336 ; 4-byte Folded Reload
	buffer_load_dword v108, off, s[20:23], 0 offset:340 ; 4-byte Folded Reload
	;; [unrolled: 1-line block ×8, first 2 shown]
	s_waitcnt vmcnt(2)
	v_mul_f64 v[99:100], v[87:88], v[109:110]
	s_waitcnt vmcnt(0)
	v_mul_f64 v[97:98], v[89:90], v[109:110]
	v_fma_f64 v[109:110], v[89:90], v[107:108], v[99:100]
	ds_read2_b64 v[99:102], v125 offset0:20 offset1:21
	v_fma_f64 v[97:98], v[87:88], v[107:108], -v[97:98]
	buffer_load_dword v105, off, s[20:23], 0 offset:320 ; 4-byte Folded Reload
	buffer_load_dword v106, off, s[20:23], 0 offset:324 ; 4-byte Folded Reload
	buffer_load_dword v107, off, s[20:23], 0 offset:328 ; 4-byte Folded Reload
	buffer_load_dword v108, off, s[20:23], 0 offset:332 ; 4-byte Folded Reload
	s_waitcnt lgkmcnt(0)
	v_mul_f64 v[103:104], v[101:102], v[109:110]
	v_fma_f64 v[103:104], v[99:100], v[97:98], -v[103:104]
	v_mul_f64 v[99:100], v[99:100], v[109:110]
	v_fma_f64 v[99:100], v[101:102], v[97:98], v[99:100]
	s_waitcnt vmcnt(2)
	v_add_f64 v[105:106], v[105:106], -v[103:104]
	s_waitcnt vmcnt(0)
	v_add_f64 v[107:108], v[107:108], -v[99:100]
	buffer_store_dword v105, off, s[20:23], 0 offset:320 ; 4-byte Folded Spill
	s_nop 0
	buffer_store_dword v106, off, s[20:23], 0 offset:324 ; 4-byte Folded Spill
	buffer_store_dword v107, off, s[20:23], 0 offset:328 ; 4-byte Folded Spill
	buffer_store_dword v108, off, s[20:23], 0 offset:332 ; 4-byte Folded Spill
	ds_read2_b64 v[99:102], v125 offset0:22 offset1:23
	buffer_load_dword v105, off, s[20:23], 0 offset:304 ; 4-byte Folded Reload
	buffer_load_dword v106, off, s[20:23], 0 offset:308 ; 4-byte Folded Reload
	buffer_load_dword v107, off, s[20:23], 0 offset:312 ; 4-byte Folded Reload
	buffer_load_dword v108, off, s[20:23], 0 offset:316 ; 4-byte Folded Reload
	s_waitcnt lgkmcnt(0)
	v_mul_f64 v[103:104], v[101:102], v[109:110]
	v_fma_f64 v[103:104], v[99:100], v[97:98], -v[103:104]
	v_mul_f64 v[99:100], v[99:100], v[109:110]
	v_fma_f64 v[99:100], v[101:102], v[97:98], v[99:100]
	s_waitcnt vmcnt(2)
	v_add_f64 v[105:106], v[105:106], -v[103:104]
	s_waitcnt vmcnt(0)
	v_add_f64 v[107:108], v[107:108], -v[99:100]
	buffer_store_dword v105, off, s[20:23], 0 offset:304 ; 4-byte Folded Spill
	s_nop 0
	buffer_store_dword v106, off, s[20:23], 0 offset:308 ; 4-byte Folded Spill
	buffer_store_dword v107, off, s[20:23], 0 offset:312 ; 4-byte Folded Spill
	buffer_store_dword v108, off, s[20:23], 0 offset:316 ; 4-byte Folded Spill
	ds_read2_b64 v[99:102], v125 offset0:24 offset1:25
	;; [unrolled: 19-line block ×20, first 2 shown]
	buffer_load_dword v105, off, s[20:23], 0 ; 4-byte Folded Reload
	buffer_load_dword v106, off, s[20:23], 0 offset:4 ; 4-byte Folded Reload
	buffer_load_dword v107, off, s[20:23], 0 offset:8 ; 4-byte Folded Reload
	;; [unrolled: 1-line block ×3, first 2 shown]
	s_waitcnt lgkmcnt(0)
	v_mul_f64 v[103:104], v[101:102], v[109:110]
	v_fma_f64 v[103:104], v[99:100], v[97:98], -v[103:104]
	v_mul_f64 v[99:100], v[99:100], v[109:110]
	v_fma_f64 v[99:100], v[101:102], v[97:98], v[99:100]
	s_waitcnt vmcnt(2)
	v_add_f64 v[105:106], v[105:106], -v[103:104]
	s_waitcnt vmcnt(0)
	v_add_f64 v[107:108], v[107:108], -v[99:100]
	buffer_store_dword v105, off, s[20:23], 0 ; 4-byte Folded Spill
	s_nop 0
	buffer_store_dword v106, off, s[20:23], 0 offset:4 ; 4-byte Folded Spill
	buffer_store_dword v107, off, s[20:23], 0 offset:8 ; 4-byte Folded Spill
	;; [unrolled: 1-line block ×3, first 2 shown]
	ds_read2_b64 v[99:102], v125 offset0:62 offset1:63
	v_mov_b32_e32 v108, v98
	v_mov_b32_e32 v107, v97
	s_waitcnt lgkmcnt(0)
	v_mul_f64 v[103:104], v[101:102], v[109:110]
	v_fma_f64 v[103:104], v[99:100], v[97:98], -v[103:104]
	v_mul_f64 v[99:100], v[99:100], v[109:110]
	v_add_f64 v[93:94], v[93:94], -v[103:104]
	v_fma_f64 v[99:100], v[101:102], v[97:98], v[99:100]
	v_add_f64 v[95:96], v[95:96], -v[99:100]
	ds_read2_b64 v[99:102], v125 offset0:64 offset1:65
	s_waitcnt lgkmcnt(0)
	v_mul_f64 v[103:104], v[101:102], v[109:110]
	v_fma_f64 v[103:104], v[99:100], v[97:98], -v[103:104]
	v_mul_f64 v[99:100], v[99:100], v[109:110]
	v_add_f64 v[81:82], v[81:82], -v[103:104]
	v_fma_f64 v[99:100], v[101:102], v[97:98], v[99:100]
	v_add_f64 v[83:84], v[83:84], -v[99:100]
	ds_read2_b64 v[99:102], v125 offset0:66 offset1:67
	;; [unrolled: 8-line block ×21, first 2 shown]
	s_waitcnt lgkmcnt(0)
	v_mul_f64 v[103:104], v[101:102], v[109:110]
	v_fma_f64 v[103:104], v[99:100], v[97:98], -v[103:104]
	v_mul_f64 v[99:100], v[99:100], v[109:110]
	v_add_f64 v[1:2], v[1:2], -v[103:104]
	v_fma_f64 v[99:100], v[101:102], v[97:98], v[99:100]
	ds_read2_b64 v[101:104], v125 offset0:106 offset1:107
	v_add_f64 v[3:4], v[3:4], -v[99:100]
	s_waitcnt lgkmcnt(0)
	v_mul_f64 v[99:100], v[103:104], v[109:110]
	v_fma_f64 v[99:100], v[101:102], v[97:98], -v[99:100]
	v_mul_f64 v[101:102], v[101:102], v[109:110]
	buffer_store_dword v107, off, s[20:23], 0 offset:336 ; 4-byte Folded Spill
	s_nop 0
	buffer_store_dword v108, off, s[20:23], 0 offset:340 ; 4-byte Folded Spill
	buffer_store_dword v109, off, s[20:23], 0 offset:344 ; 4-byte Folded Spill
	;; [unrolled: 1-line block ×3, first 2 shown]
	v_add_f64 v[121:122], v[121:122], -v[99:100]
	v_fma_f64 v[101:102], v[103:104], v[97:98], v[101:102]
	v_add_f64 v[123:124], v[123:124], -v[101:102]
.LBB107_91:
	s_or_b64 exec, exec, s[2:3]
	v_cmp_eq_u32_e32 vcc, 10, v0
	s_waitcnt vmcnt(0)
	s_barrier
	s_and_saveexec_b64 s[4:5], vcc
	s_cbranch_execz .LBB107_98
; %bb.92:
	buffer_load_dword v97, off, s[20:23], 0 offset:320 ; 4-byte Folded Reload
	buffer_load_dword v98, off, s[20:23], 0 offset:324 ; 4-byte Folded Reload
	;; [unrolled: 1-line block ×4, first 2 shown]
	s_waitcnt vmcnt(0)
	ds_write2_b64 v127, v[97:98], v[99:100] offset1:1
	buffer_load_dword v97, off, s[20:23], 0 offset:304 ; 4-byte Folded Reload
	buffer_load_dword v98, off, s[20:23], 0 offset:308 ; 4-byte Folded Reload
	buffer_load_dword v99, off, s[20:23], 0 offset:312 ; 4-byte Folded Reload
	buffer_load_dword v100, off, s[20:23], 0 offset:316 ; 4-byte Folded Reload
	s_waitcnt vmcnt(0)
	ds_write2_b64 v125, v[97:98], v[99:100] offset0:22 offset1:23
	buffer_load_dword v97, off, s[20:23], 0 offset:288 ; 4-byte Folded Reload
	buffer_load_dword v98, off, s[20:23], 0 offset:292 ; 4-byte Folded Reload
	buffer_load_dword v99, off, s[20:23], 0 offset:296 ; 4-byte Folded Reload
	buffer_load_dword v100, off, s[20:23], 0 offset:300 ; 4-byte Folded Reload
	s_waitcnt vmcnt(0)
	ds_write2_b64 v125, v[97:98], v[99:100] offset0:24 offset1:25
	;; [unrolled: 6-line block ×19, first 2 shown]
	buffer_load_dword v97, off, s[20:23], 0 ; 4-byte Folded Reload
	buffer_load_dword v98, off, s[20:23], 0 offset:4 ; 4-byte Folded Reload
	buffer_load_dword v99, off, s[20:23], 0 offset:8 ; 4-byte Folded Reload
	;; [unrolled: 1-line block ×3, first 2 shown]
	s_waitcnt vmcnt(0)
	ds_write2_b64 v125, v[97:98], v[99:100] offset0:60 offset1:61
	ds_write2_b64 v125, v[93:94], v[95:96] offset0:62 offset1:63
	;; [unrolled: 1-line block ×24, first 2 shown]
	ds_read2_b64 v[97:100], v127 offset1:1
	s_waitcnt lgkmcnt(0)
	v_cmp_neq_f64_e32 vcc, 0, v[97:98]
	v_cmp_neq_f64_e64 s[2:3], 0, v[99:100]
	s_or_b64 s[2:3], vcc, s[2:3]
	s_and_b64 exec, exec, s[2:3]
	s_cbranch_execz .LBB107_98
; %bb.93:
	v_cmp_ngt_f64_e64 s[2:3], |v[97:98]|, |v[99:100]|
                                        ; implicit-def: $vgpr101_vgpr102
	s_and_saveexec_b64 s[6:7], s[2:3]
	s_xor_b64 s[2:3], exec, s[6:7]
                                        ; implicit-def: $vgpr103_vgpr104
	s_cbranch_execz .LBB107_95
; %bb.94:
	v_div_scale_f64 v[101:102], s[6:7], v[99:100], v[99:100], v[97:98]
	v_rcp_f64_e32 v[103:104], v[101:102]
	v_fma_f64 v[105:106], -v[101:102], v[103:104], 1.0
	v_fma_f64 v[103:104], v[103:104], v[105:106], v[103:104]
	v_div_scale_f64 v[105:106], vcc, v[97:98], v[99:100], v[97:98]
	v_fma_f64 v[107:108], -v[101:102], v[103:104], 1.0
	v_fma_f64 v[103:104], v[103:104], v[107:108], v[103:104]
	v_mul_f64 v[107:108], v[105:106], v[103:104]
	v_fma_f64 v[101:102], -v[101:102], v[107:108], v[105:106]
	v_div_fmas_f64 v[101:102], v[101:102], v[103:104], v[107:108]
	v_div_fixup_f64 v[101:102], v[101:102], v[99:100], v[97:98]
	v_fma_f64 v[97:98], v[97:98], v[101:102], v[99:100]
	v_div_scale_f64 v[99:100], s[6:7], v[97:98], v[97:98], 1.0
	v_div_scale_f64 v[107:108], vcc, 1.0, v[97:98], 1.0
	v_rcp_f64_e32 v[103:104], v[99:100]
	v_fma_f64 v[105:106], -v[99:100], v[103:104], 1.0
	v_fma_f64 v[103:104], v[103:104], v[105:106], v[103:104]
	v_fma_f64 v[105:106], -v[99:100], v[103:104], 1.0
	v_fma_f64 v[103:104], v[103:104], v[105:106], v[103:104]
	v_mul_f64 v[105:106], v[107:108], v[103:104]
	v_fma_f64 v[99:100], -v[99:100], v[105:106], v[107:108]
	v_div_fmas_f64 v[99:100], v[99:100], v[103:104], v[105:106]
	v_div_fixup_f64 v[103:104], v[99:100], v[97:98], 1.0
                                        ; implicit-def: $vgpr97_vgpr98
	v_mul_f64 v[101:102], v[101:102], v[103:104]
	v_xor_b32_e32 v104, 0x80000000, v104
.LBB107_95:
	s_andn2_saveexec_b64 s[2:3], s[2:3]
	s_cbranch_execz .LBB107_97
; %bb.96:
	v_div_scale_f64 v[101:102], s[6:7], v[97:98], v[97:98], v[99:100]
	v_rcp_f64_e32 v[103:104], v[101:102]
	v_fma_f64 v[105:106], -v[101:102], v[103:104], 1.0
	v_fma_f64 v[103:104], v[103:104], v[105:106], v[103:104]
	v_div_scale_f64 v[105:106], vcc, v[99:100], v[97:98], v[99:100]
	v_fma_f64 v[107:108], -v[101:102], v[103:104], 1.0
	v_fma_f64 v[103:104], v[103:104], v[107:108], v[103:104]
	v_mul_f64 v[107:108], v[105:106], v[103:104]
	v_fma_f64 v[101:102], -v[101:102], v[107:108], v[105:106]
	v_div_fmas_f64 v[101:102], v[101:102], v[103:104], v[107:108]
	v_div_fixup_f64 v[103:104], v[101:102], v[97:98], v[99:100]
	v_fma_f64 v[97:98], v[99:100], v[103:104], v[97:98]
	v_div_scale_f64 v[99:100], s[6:7], v[97:98], v[97:98], 1.0
	v_div_scale_f64 v[107:108], vcc, 1.0, v[97:98], 1.0
	v_rcp_f64_e32 v[101:102], v[99:100]
	v_fma_f64 v[105:106], -v[99:100], v[101:102], 1.0
	v_fma_f64 v[101:102], v[101:102], v[105:106], v[101:102]
	v_fma_f64 v[105:106], -v[99:100], v[101:102], 1.0
	v_fma_f64 v[101:102], v[101:102], v[105:106], v[101:102]
	v_mul_f64 v[105:106], v[107:108], v[101:102]
	v_fma_f64 v[99:100], -v[99:100], v[105:106], v[107:108]
	v_div_fmas_f64 v[99:100], v[99:100], v[101:102], v[105:106]
	v_div_fixup_f64 v[101:102], v[99:100], v[97:98], 1.0
	v_mul_f64 v[103:104], v[103:104], -v[101:102]
.LBB107_97:
	s_or_b64 exec, exec, s[2:3]
	ds_write2_b64 v127, v[101:102], v[103:104] offset1:1
.LBB107_98:
	s_or_b64 exec, exec, s[4:5]
	s_waitcnt lgkmcnt(0)
	s_barrier
	ds_read2_b64 v[87:90], v127 offset1:1
	v_cmp_lt_u32_e32 vcc, 10, v0
	s_waitcnt lgkmcnt(0)
	buffer_store_dword v87, off, s[20:23], 0 offset:1080 ; 4-byte Folded Spill
	s_nop 0
	buffer_store_dword v88, off, s[20:23], 0 offset:1084 ; 4-byte Folded Spill
	buffer_store_dword v89, off, s[20:23], 0 offset:1088 ; 4-byte Folded Spill
	;; [unrolled: 1-line block ×3, first 2 shown]
	s_and_saveexec_b64 s[2:3], vcc
	s_cbranch_execz .LBB107_100
; %bb.99:
	buffer_load_dword v107, off, s[20:23], 0 offset:320 ; 4-byte Folded Reload
	buffer_load_dword v108, off, s[20:23], 0 offset:324 ; 4-byte Folded Reload
	;; [unrolled: 1-line block ×8, first 2 shown]
	s_waitcnt vmcnt(2)
	v_mul_f64 v[99:100], v[87:88], v[109:110]
	s_waitcnt vmcnt(0)
	v_mul_f64 v[97:98], v[89:90], v[109:110]
	v_fma_f64 v[109:110], v[89:90], v[107:108], v[99:100]
	ds_read2_b64 v[99:102], v125 offset0:22 offset1:23
	v_fma_f64 v[97:98], v[87:88], v[107:108], -v[97:98]
	buffer_load_dword v105, off, s[20:23], 0 offset:304 ; 4-byte Folded Reload
	buffer_load_dword v106, off, s[20:23], 0 offset:308 ; 4-byte Folded Reload
	buffer_load_dword v107, off, s[20:23], 0 offset:312 ; 4-byte Folded Reload
	buffer_load_dword v108, off, s[20:23], 0 offset:316 ; 4-byte Folded Reload
	s_waitcnt lgkmcnt(0)
	v_mul_f64 v[103:104], v[101:102], v[109:110]
	v_fma_f64 v[103:104], v[99:100], v[97:98], -v[103:104]
	v_mul_f64 v[99:100], v[99:100], v[109:110]
	v_fma_f64 v[99:100], v[101:102], v[97:98], v[99:100]
	s_waitcnt vmcnt(2)
	v_add_f64 v[105:106], v[105:106], -v[103:104]
	s_waitcnt vmcnt(0)
	v_add_f64 v[107:108], v[107:108], -v[99:100]
	buffer_store_dword v105, off, s[20:23], 0 offset:304 ; 4-byte Folded Spill
	s_nop 0
	buffer_store_dword v106, off, s[20:23], 0 offset:308 ; 4-byte Folded Spill
	buffer_store_dword v107, off, s[20:23], 0 offset:312 ; 4-byte Folded Spill
	buffer_store_dword v108, off, s[20:23], 0 offset:316 ; 4-byte Folded Spill
	ds_read2_b64 v[99:102], v125 offset0:24 offset1:25
	buffer_load_dword v105, off, s[20:23], 0 offset:288 ; 4-byte Folded Reload
	buffer_load_dword v106, off, s[20:23], 0 offset:292 ; 4-byte Folded Reload
	buffer_load_dword v107, off, s[20:23], 0 offset:296 ; 4-byte Folded Reload
	buffer_load_dword v108, off, s[20:23], 0 offset:300 ; 4-byte Folded Reload
	s_waitcnt lgkmcnt(0)
	v_mul_f64 v[103:104], v[101:102], v[109:110]
	v_fma_f64 v[103:104], v[99:100], v[97:98], -v[103:104]
	v_mul_f64 v[99:100], v[99:100], v[109:110]
	v_fma_f64 v[99:100], v[101:102], v[97:98], v[99:100]
	s_waitcnt vmcnt(2)
	v_add_f64 v[105:106], v[105:106], -v[103:104]
	s_waitcnt vmcnt(0)
	v_add_f64 v[107:108], v[107:108], -v[99:100]
	buffer_store_dword v105, off, s[20:23], 0 offset:288 ; 4-byte Folded Spill
	s_nop 0
	buffer_store_dword v106, off, s[20:23], 0 offset:292 ; 4-byte Folded Spill
	buffer_store_dword v107, off, s[20:23], 0 offset:296 ; 4-byte Folded Spill
	buffer_store_dword v108, off, s[20:23], 0 offset:300 ; 4-byte Folded Spill
	ds_read2_b64 v[99:102], v125 offset0:26 offset1:27
	;; [unrolled: 19-line block ×19, first 2 shown]
	buffer_load_dword v105, off, s[20:23], 0 ; 4-byte Folded Reload
	buffer_load_dword v106, off, s[20:23], 0 offset:4 ; 4-byte Folded Reload
	buffer_load_dword v107, off, s[20:23], 0 offset:8 ; 4-byte Folded Reload
	;; [unrolled: 1-line block ×3, first 2 shown]
	s_waitcnt lgkmcnt(0)
	v_mul_f64 v[103:104], v[101:102], v[109:110]
	v_fma_f64 v[103:104], v[99:100], v[97:98], -v[103:104]
	v_mul_f64 v[99:100], v[99:100], v[109:110]
	v_fma_f64 v[99:100], v[101:102], v[97:98], v[99:100]
	s_waitcnt vmcnt(2)
	v_add_f64 v[105:106], v[105:106], -v[103:104]
	s_waitcnt vmcnt(0)
	v_add_f64 v[107:108], v[107:108], -v[99:100]
	buffer_store_dword v105, off, s[20:23], 0 ; 4-byte Folded Spill
	s_nop 0
	buffer_store_dword v106, off, s[20:23], 0 offset:4 ; 4-byte Folded Spill
	buffer_store_dword v107, off, s[20:23], 0 offset:8 ; 4-byte Folded Spill
	;; [unrolled: 1-line block ×3, first 2 shown]
	ds_read2_b64 v[99:102], v125 offset0:62 offset1:63
	v_mov_b32_e32 v108, v98
	v_mov_b32_e32 v107, v97
	s_waitcnt lgkmcnt(0)
	v_mul_f64 v[103:104], v[101:102], v[109:110]
	v_fma_f64 v[103:104], v[99:100], v[97:98], -v[103:104]
	v_mul_f64 v[99:100], v[99:100], v[109:110]
	v_add_f64 v[93:94], v[93:94], -v[103:104]
	v_fma_f64 v[99:100], v[101:102], v[97:98], v[99:100]
	v_add_f64 v[95:96], v[95:96], -v[99:100]
	ds_read2_b64 v[99:102], v125 offset0:64 offset1:65
	s_waitcnt lgkmcnt(0)
	v_mul_f64 v[103:104], v[101:102], v[109:110]
	v_fma_f64 v[103:104], v[99:100], v[97:98], -v[103:104]
	v_mul_f64 v[99:100], v[99:100], v[109:110]
	v_add_f64 v[81:82], v[81:82], -v[103:104]
	v_fma_f64 v[99:100], v[101:102], v[97:98], v[99:100]
	v_add_f64 v[83:84], v[83:84], -v[99:100]
	ds_read2_b64 v[99:102], v125 offset0:66 offset1:67
	;; [unrolled: 8-line block ×21, first 2 shown]
	s_waitcnt lgkmcnt(0)
	v_mul_f64 v[103:104], v[101:102], v[109:110]
	v_fma_f64 v[103:104], v[99:100], v[97:98], -v[103:104]
	v_mul_f64 v[99:100], v[99:100], v[109:110]
	v_add_f64 v[1:2], v[1:2], -v[103:104]
	v_fma_f64 v[99:100], v[101:102], v[97:98], v[99:100]
	ds_read2_b64 v[101:104], v125 offset0:106 offset1:107
	v_add_f64 v[3:4], v[3:4], -v[99:100]
	s_waitcnt lgkmcnt(0)
	v_mul_f64 v[99:100], v[103:104], v[109:110]
	v_fma_f64 v[99:100], v[101:102], v[97:98], -v[99:100]
	v_mul_f64 v[101:102], v[101:102], v[109:110]
	buffer_store_dword v107, off, s[20:23], 0 offset:320 ; 4-byte Folded Spill
	s_nop 0
	buffer_store_dword v108, off, s[20:23], 0 offset:324 ; 4-byte Folded Spill
	buffer_store_dword v109, off, s[20:23], 0 offset:328 ; 4-byte Folded Spill
	;; [unrolled: 1-line block ×3, first 2 shown]
	v_add_f64 v[121:122], v[121:122], -v[99:100]
	v_fma_f64 v[101:102], v[103:104], v[97:98], v[101:102]
	v_add_f64 v[123:124], v[123:124], -v[101:102]
.LBB107_100:
	s_or_b64 exec, exec, s[2:3]
	v_cmp_eq_u32_e32 vcc, 11, v0
	s_waitcnt vmcnt(0)
	s_barrier
	s_and_saveexec_b64 s[4:5], vcc
	s_cbranch_execz .LBB107_107
; %bb.101:
	buffer_load_dword v97, off, s[20:23], 0 offset:304 ; 4-byte Folded Reload
	buffer_load_dword v98, off, s[20:23], 0 offset:308 ; 4-byte Folded Reload
	;; [unrolled: 1-line block ×4, first 2 shown]
	s_waitcnt vmcnt(0)
	ds_write2_b64 v127, v[97:98], v[99:100] offset1:1
	buffer_load_dword v97, off, s[20:23], 0 offset:288 ; 4-byte Folded Reload
	buffer_load_dword v98, off, s[20:23], 0 offset:292 ; 4-byte Folded Reload
	buffer_load_dword v99, off, s[20:23], 0 offset:296 ; 4-byte Folded Reload
	buffer_load_dword v100, off, s[20:23], 0 offset:300 ; 4-byte Folded Reload
	s_waitcnt vmcnt(0)
	ds_write2_b64 v125, v[97:98], v[99:100] offset0:24 offset1:25
	buffer_load_dword v97, off, s[20:23], 0 offset:272 ; 4-byte Folded Reload
	buffer_load_dword v98, off, s[20:23], 0 offset:276 ; 4-byte Folded Reload
	buffer_load_dword v99, off, s[20:23], 0 offset:280 ; 4-byte Folded Reload
	buffer_load_dword v100, off, s[20:23], 0 offset:284 ; 4-byte Folded Reload
	s_waitcnt vmcnt(0)
	ds_write2_b64 v125, v[97:98], v[99:100] offset0:26 offset1:27
	;; [unrolled: 6-line block ×18, first 2 shown]
	buffer_load_dword v97, off, s[20:23], 0 ; 4-byte Folded Reload
	buffer_load_dword v98, off, s[20:23], 0 offset:4 ; 4-byte Folded Reload
	buffer_load_dword v99, off, s[20:23], 0 offset:8 ; 4-byte Folded Reload
	;; [unrolled: 1-line block ×3, first 2 shown]
	s_waitcnt vmcnt(0)
	ds_write2_b64 v125, v[97:98], v[99:100] offset0:60 offset1:61
	ds_write2_b64 v125, v[93:94], v[95:96] offset0:62 offset1:63
	;; [unrolled: 1-line block ×24, first 2 shown]
	ds_read2_b64 v[97:100], v127 offset1:1
	s_waitcnt lgkmcnt(0)
	v_cmp_neq_f64_e32 vcc, 0, v[97:98]
	v_cmp_neq_f64_e64 s[2:3], 0, v[99:100]
	s_or_b64 s[2:3], vcc, s[2:3]
	s_and_b64 exec, exec, s[2:3]
	s_cbranch_execz .LBB107_107
; %bb.102:
	v_cmp_ngt_f64_e64 s[2:3], |v[97:98]|, |v[99:100]|
                                        ; implicit-def: $vgpr101_vgpr102
	s_and_saveexec_b64 s[6:7], s[2:3]
	s_xor_b64 s[2:3], exec, s[6:7]
                                        ; implicit-def: $vgpr103_vgpr104
	s_cbranch_execz .LBB107_104
; %bb.103:
	v_div_scale_f64 v[101:102], s[6:7], v[99:100], v[99:100], v[97:98]
	v_rcp_f64_e32 v[103:104], v[101:102]
	v_fma_f64 v[105:106], -v[101:102], v[103:104], 1.0
	v_fma_f64 v[103:104], v[103:104], v[105:106], v[103:104]
	v_div_scale_f64 v[105:106], vcc, v[97:98], v[99:100], v[97:98]
	v_fma_f64 v[107:108], -v[101:102], v[103:104], 1.0
	v_fma_f64 v[103:104], v[103:104], v[107:108], v[103:104]
	v_mul_f64 v[107:108], v[105:106], v[103:104]
	v_fma_f64 v[101:102], -v[101:102], v[107:108], v[105:106]
	v_div_fmas_f64 v[101:102], v[101:102], v[103:104], v[107:108]
	v_div_fixup_f64 v[101:102], v[101:102], v[99:100], v[97:98]
	v_fma_f64 v[97:98], v[97:98], v[101:102], v[99:100]
	v_div_scale_f64 v[99:100], s[6:7], v[97:98], v[97:98], 1.0
	v_div_scale_f64 v[107:108], vcc, 1.0, v[97:98], 1.0
	v_rcp_f64_e32 v[103:104], v[99:100]
	v_fma_f64 v[105:106], -v[99:100], v[103:104], 1.0
	v_fma_f64 v[103:104], v[103:104], v[105:106], v[103:104]
	v_fma_f64 v[105:106], -v[99:100], v[103:104], 1.0
	v_fma_f64 v[103:104], v[103:104], v[105:106], v[103:104]
	v_mul_f64 v[105:106], v[107:108], v[103:104]
	v_fma_f64 v[99:100], -v[99:100], v[105:106], v[107:108]
	v_div_fmas_f64 v[99:100], v[99:100], v[103:104], v[105:106]
	v_div_fixup_f64 v[103:104], v[99:100], v[97:98], 1.0
                                        ; implicit-def: $vgpr97_vgpr98
	v_mul_f64 v[101:102], v[101:102], v[103:104]
	v_xor_b32_e32 v104, 0x80000000, v104
.LBB107_104:
	s_andn2_saveexec_b64 s[2:3], s[2:3]
	s_cbranch_execz .LBB107_106
; %bb.105:
	v_div_scale_f64 v[101:102], s[6:7], v[97:98], v[97:98], v[99:100]
	v_rcp_f64_e32 v[103:104], v[101:102]
	v_fma_f64 v[105:106], -v[101:102], v[103:104], 1.0
	v_fma_f64 v[103:104], v[103:104], v[105:106], v[103:104]
	v_div_scale_f64 v[105:106], vcc, v[99:100], v[97:98], v[99:100]
	v_fma_f64 v[107:108], -v[101:102], v[103:104], 1.0
	v_fma_f64 v[103:104], v[103:104], v[107:108], v[103:104]
	v_mul_f64 v[107:108], v[105:106], v[103:104]
	v_fma_f64 v[101:102], -v[101:102], v[107:108], v[105:106]
	v_div_fmas_f64 v[101:102], v[101:102], v[103:104], v[107:108]
	v_div_fixup_f64 v[103:104], v[101:102], v[97:98], v[99:100]
	v_fma_f64 v[97:98], v[99:100], v[103:104], v[97:98]
	v_div_scale_f64 v[99:100], s[6:7], v[97:98], v[97:98], 1.0
	v_div_scale_f64 v[107:108], vcc, 1.0, v[97:98], 1.0
	v_rcp_f64_e32 v[101:102], v[99:100]
	v_fma_f64 v[105:106], -v[99:100], v[101:102], 1.0
	v_fma_f64 v[101:102], v[101:102], v[105:106], v[101:102]
	v_fma_f64 v[105:106], -v[99:100], v[101:102], 1.0
	v_fma_f64 v[101:102], v[101:102], v[105:106], v[101:102]
	v_mul_f64 v[105:106], v[107:108], v[101:102]
	v_fma_f64 v[99:100], -v[99:100], v[105:106], v[107:108]
	v_div_fmas_f64 v[99:100], v[99:100], v[101:102], v[105:106]
	v_div_fixup_f64 v[101:102], v[99:100], v[97:98], 1.0
	v_mul_f64 v[103:104], v[103:104], -v[101:102]
.LBB107_106:
	s_or_b64 exec, exec, s[2:3]
	ds_write2_b64 v127, v[101:102], v[103:104] offset1:1
.LBB107_107:
	s_or_b64 exec, exec, s[4:5]
	s_waitcnt lgkmcnt(0)
	s_barrier
	ds_read2_b64 v[87:90], v127 offset1:1
	v_cmp_lt_u32_e32 vcc, 11, v0
	s_waitcnt lgkmcnt(0)
	buffer_store_dword v87, off, s[20:23], 0 offset:1096 ; 4-byte Folded Spill
	s_nop 0
	buffer_store_dword v88, off, s[20:23], 0 offset:1100 ; 4-byte Folded Spill
	buffer_store_dword v89, off, s[20:23], 0 offset:1104 ; 4-byte Folded Spill
	;; [unrolled: 1-line block ×3, first 2 shown]
	s_and_saveexec_b64 s[2:3], vcc
	s_cbranch_execz .LBB107_109
; %bb.108:
	buffer_load_dword v107, off, s[20:23], 0 offset:304 ; 4-byte Folded Reload
	buffer_load_dword v108, off, s[20:23], 0 offset:308 ; 4-byte Folded Reload
	;; [unrolled: 1-line block ×8, first 2 shown]
	s_waitcnt vmcnt(2)
	v_mul_f64 v[99:100], v[87:88], v[109:110]
	s_waitcnt vmcnt(0)
	v_mul_f64 v[97:98], v[89:90], v[109:110]
	v_fma_f64 v[109:110], v[89:90], v[107:108], v[99:100]
	ds_read2_b64 v[99:102], v125 offset0:24 offset1:25
	v_fma_f64 v[97:98], v[87:88], v[107:108], -v[97:98]
	buffer_load_dword v105, off, s[20:23], 0 offset:288 ; 4-byte Folded Reload
	buffer_load_dword v106, off, s[20:23], 0 offset:292 ; 4-byte Folded Reload
	buffer_load_dword v107, off, s[20:23], 0 offset:296 ; 4-byte Folded Reload
	buffer_load_dword v108, off, s[20:23], 0 offset:300 ; 4-byte Folded Reload
	s_waitcnt lgkmcnt(0)
	v_mul_f64 v[103:104], v[101:102], v[109:110]
	v_fma_f64 v[103:104], v[99:100], v[97:98], -v[103:104]
	v_mul_f64 v[99:100], v[99:100], v[109:110]
	v_fma_f64 v[99:100], v[101:102], v[97:98], v[99:100]
	s_waitcnt vmcnt(2)
	v_add_f64 v[105:106], v[105:106], -v[103:104]
	s_waitcnt vmcnt(0)
	v_add_f64 v[107:108], v[107:108], -v[99:100]
	buffer_store_dword v105, off, s[20:23], 0 offset:288 ; 4-byte Folded Spill
	s_nop 0
	buffer_store_dword v106, off, s[20:23], 0 offset:292 ; 4-byte Folded Spill
	buffer_store_dword v107, off, s[20:23], 0 offset:296 ; 4-byte Folded Spill
	buffer_store_dword v108, off, s[20:23], 0 offset:300 ; 4-byte Folded Spill
	ds_read2_b64 v[99:102], v125 offset0:26 offset1:27
	buffer_load_dword v105, off, s[20:23], 0 offset:272 ; 4-byte Folded Reload
	buffer_load_dword v106, off, s[20:23], 0 offset:276 ; 4-byte Folded Reload
	buffer_load_dword v107, off, s[20:23], 0 offset:280 ; 4-byte Folded Reload
	buffer_load_dword v108, off, s[20:23], 0 offset:284 ; 4-byte Folded Reload
	s_waitcnt lgkmcnt(0)
	v_mul_f64 v[103:104], v[101:102], v[109:110]
	v_fma_f64 v[103:104], v[99:100], v[97:98], -v[103:104]
	v_mul_f64 v[99:100], v[99:100], v[109:110]
	v_fma_f64 v[99:100], v[101:102], v[97:98], v[99:100]
	s_waitcnt vmcnt(2)
	v_add_f64 v[105:106], v[105:106], -v[103:104]
	s_waitcnt vmcnt(0)
	v_add_f64 v[107:108], v[107:108], -v[99:100]
	buffer_store_dword v105, off, s[20:23], 0 offset:272 ; 4-byte Folded Spill
	s_nop 0
	buffer_store_dword v106, off, s[20:23], 0 offset:276 ; 4-byte Folded Spill
	buffer_store_dword v107, off, s[20:23], 0 offset:280 ; 4-byte Folded Spill
	buffer_store_dword v108, off, s[20:23], 0 offset:284 ; 4-byte Folded Spill
	ds_read2_b64 v[99:102], v125 offset0:28 offset1:29
	;; [unrolled: 19-line block ×18, first 2 shown]
	buffer_load_dword v105, off, s[20:23], 0 ; 4-byte Folded Reload
	buffer_load_dword v106, off, s[20:23], 0 offset:4 ; 4-byte Folded Reload
	buffer_load_dword v107, off, s[20:23], 0 offset:8 ; 4-byte Folded Reload
	;; [unrolled: 1-line block ×3, first 2 shown]
	s_waitcnt lgkmcnt(0)
	v_mul_f64 v[103:104], v[101:102], v[109:110]
	v_fma_f64 v[103:104], v[99:100], v[97:98], -v[103:104]
	v_mul_f64 v[99:100], v[99:100], v[109:110]
	v_fma_f64 v[99:100], v[101:102], v[97:98], v[99:100]
	s_waitcnt vmcnt(2)
	v_add_f64 v[105:106], v[105:106], -v[103:104]
	s_waitcnt vmcnt(0)
	v_add_f64 v[107:108], v[107:108], -v[99:100]
	buffer_store_dword v105, off, s[20:23], 0 ; 4-byte Folded Spill
	s_nop 0
	buffer_store_dword v106, off, s[20:23], 0 offset:4 ; 4-byte Folded Spill
	buffer_store_dword v107, off, s[20:23], 0 offset:8 ; 4-byte Folded Spill
	;; [unrolled: 1-line block ×3, first 2 shown]
	ds_read2_b64 v[99:102], v125 offset0:62 offset1:63
	v_mov_b32_e32 v108, v98
	v_mov_b32_e32 v107, v97
	s_waitcnt lgkmcnt(0)
	v_mul_f64 v[103:104], v[101:102], v[109:110]
	v_fma_f64 v[103:104], v[99:100], v[97:98], -v[103:104]
	v_mul_f64 v[99:100], v[99:100], v[109:110]
	v_add_f64 v[93:94], v[93:94], -v[103:104]
	v_fma_f64 v[99:100], v[101:102], v[97:98], v[99:100]
	v_add_f64 v[95:96], v[95:96], -v[99:100]
	ds_read2_b64 v[99:102], v125 offset0:64 offset1:65
	s_waitcnt lgkmcnt(0)
	v_mul_f64 v[103:104], v[101:102], v[109:110]
	v_fma_f64 v[103:104], v[99:100], v[97:98], -v[103:104]
	v_mul_f64 v[99:100], v[99:100], v[109:110]
	v_add_f64 v[81:82], v[81:82], -v[103:104]
	v_fma_f64 v[99:100], v[101:102], v[97:98], v[99:100]
	v_add_f64 v[83:84], v[83:84], -v[99:100]
	ds_read2_b64 v[99:102], v125 offset0:66 offset1:67
	;; [unrolled: 8-line block ×22, first 2 shown]
	s_waitcnt lgkmcnt(0)
	v_mul_f64 v[103:104], v[101:102], v[109:110]
	v_fma_f64 v[103:104], v[99:100], v[97:98], -v[103:104]
	v_mul_f64 v[99:100], v[99:100], v[109:110]
	buffer_store_dword v107, off, s[20:23], 0 offset:304 ; 4-byte Folded Spill
	s_nop 0
	buffer_store_dword v108, off, s[20:23], 0 offset:308 ; 4-byte Folded Spill
	buffer_store_dword v109, off, s[20:23], 0 offset:312 ; 4-byte Folded Spill
	buffer_store_dword v110, off, s[20:23], 0 offset:316 ; 4-byte Folded Spill
	v_add_f64 v[121:122], v[121:122], -v[103:104]
	v_fma_f64 v[99:100], v[101:102], v[97:98], v[99:100]
	v_add_f64 v[123:124], v[123:124], -v[99:100]
.LBB107_109:
	s_or_b64 exec, exec, s[2:3]
	v_cmp_eq_u32_e32 vcc, 12, v0
	s_waitcnt vmcnt(0)
	s_barrier
	s_and_saveexec_b64 s[4:5], vcc
	s_cbranch_execz .LBB107_116
; %bb.110:
	buffer_load_dword v97, off, s[20:23], 0 offset:288 ; 4-byte Folded Reload
	buffer_load_dword v98, off, s[20:23], 0 offset:292 ; 4-byte Folded Reload
	;; [unrolled: 1-line block ×4, first 2 shown]
	s_waitcnt vmcnt(0)
	ds_write2_b64 v127, v[97:98], v[99:100] offset1:1
	buffer_load_dword v97, off, s[20:23], 0 offset:272 ; 4-byte Folded Reload
	buffer_load_dword v98, off, s[20:23], 0 offset:276 ; 4-byte Folded Reload
	buffer_load_dword v99, off, s[20:23], 0 offset:280 ; 4-byte Folded Reload
	buffer_load_dword v100, off, s[20:23], 0 offset:284 ; 4-byte Folded Reload
	s_waitcnt vmcnt(0)
	ds_write2_b64 v125, v[97:98], v[99:100] offset0:26 offset1:27
	buffer_load_dword v97, off, s[20:23], 0 offset:256 ; 4-byte Folded Reload
	buffer_load_dword v98, off, s[20:23], 0 offset:260 ; 4-byte Folded Reload
	buffer_load_dword v99, off, s[20:23], 0 offset:264 ; 4-byte Folded Reload
	buffer_load_dword v100, off, s[20:23], 0 offset:268 ; 4-byte Folded Reload
	s_waitcnt vmcnt(0)
	ds_write2_b64 v125, v[97:98], v[99:100] offset0:28 offset1:29
	;; [unrolled: 6-line block ×17, first 2 shown]
	buffer_load_dword v97, off, s[20:23], 0 ; 4-byte Folded Reload
	buffer_load_dword v98, off, s[20:23], 0 offset:4 ; 4-byte Folded Reload
	buffer_load_dword v99, off, s[20:23], 0 offset:8 ; 4-byte Folded Reload
	;; [unrolled: 1-line block ×3, first 2 shown]
	s_waitcnt vmcnt(0)
	ds_write2_b64 v125, v[97:98], v[99:100] offset0:60 offset1:61
	ds_write2_b64 v125, v[93:94], v[95:96] offset0:62 offset1:63
	;; [unrolled: 1-line block ×24, first 2 shown]
	ds_read2_b64 v[97:100], v127 offset1:1
	s_waitcnt lgkmcnt(0)
	v_cmp_neq_f64_e32 vcc, 0, v[97:98]
	v_cmp_neq_f64_e64 s[2:3], 0, v[99:100]
	s_or_b64 s[2:3], vcc, s[2:3]
	s_and_b64 exec, exec, s[2:3]
	s_cbranch_execz .LBB107_116
; %bb.111:
	v_cmp_ngt_f64_e64 s[2:3], |v[97:98]|, |v[99:100]|
                                        ; implicit-def: $vgpr101_vgpr102
	s_and_saveexec_b64 s[6:7], s[2:3]
	s_xor_b64 s[2:3], exec, s[6:7]
                                        ; implicit-def: $vgpr103_vgpr104
	s_cbranch_execz .LBB107_113
; %bb.112:
	v_div_scale_f64 v[101:102], s[6:7], v[99:100], v[99:100], v[97:98]
	v_rcp_f64_e32 v[103:104], v[101:102]
	v_fma_f64 v[105:106], -v[101:102], v[103:104], 1.0
	v_fma_f64 v[103:104], v[103:104], v[105:106], v[103:104]
	v_div_scale_f64 v[105:106], vcc, v[97:98], v[99:100], v[97:98]
	v_fma_f64 v[107:108], -v[101:102], v[103:104], 1.0
	v_fma_f64 v[103:104], v[103:104], v[107:108], v[103:104]
	v_mul_f64 v[107:108], v[105:106], v[103:104]
	v_fma_f64 v[101:102], -v[101:102], v[107:108], v[105:106]
	v_div_fmas_f64 v[101:102], v[101:102], v[103:104], v[107:108]
	v_div_fixup_f64 v[101:102], v[101:102], v[99:100], v[97:98]
	v_fma_f64 v[97:98], v[97:98], v[101:102], v[99:100]
	v_div_scale_f64 v[99:100], s[6:7], v[97:98], v[97:98], 1.0
	v_div_scale_f64 v[107:108], vcc, 1.0, v[97:98], 1.0
	v_rcp_f64_e32 v[103:104], v[99:100]
	v_fma_f64 v[105:106], -v[99:100], v[103:104], 1.0
	v_fma_f64 v[103:104], v[103:104], v[105:106], v[103:104]
	v_fma_f64 v[105:106], -v[99:100], v[103:104], 1.0
	v_fma_f64 v[103:104], v[103:104], v[105:106], v[103:104]
	v_mul_f64 v[105:106], v[107:108], v[103:104]
	v_fma_f64 v[99:100], -v[99:100], v[105:106], v[107:108]
	v_div_fmas_f64 v[99:100], v[99:100], v[103:104], v[105:106]
	v_div_fixup_f64 v[103:104], v[99:100], v[97:98], 1.0
                                        ; implicit-def: $vgpr97_vgpr98
	v_mul_f64 v[101:102], v[101:102], v[103:104]
	v_xor_b32_e32 v104, 0x80000000, v104
.LBB107_113:
	s_andn2_saveexec_b64 s[2:3], s[2:3]
	s_cbranch_execz .LBB107_115
; %bb.114:
	v_div_scale_f64 v[101:102], s[6:7], v[97:98], v[97:98], v[99:100]
	v_rcp_f64_e32 v[103:104], v[101:102]
	v_fma_f64 v[105:106], -v[101:102], v[103:104], 1.0
	v_fma_f64 v[103:104], v[103:104], v[105:106], v[103:104]
	v_div_scale_f64 v[105:106], vcc, v[99:100], v[97:98], v[99:100]
	v_fma_f64 v[107:108], -v[101:102], v[103:104], 1.0
	v_fma_f64 v[103:104], v[103:104], v[107:108], v[103:104]
	v_mul_f64 v[107:108], v[105:106], v[103:104]
	v_fma_f64 v[101:102], -v[101:102], v[107:108], v[105:106]
	v_div_fmas_f64 v[101:102], v[101:102], v[103:104], v[107:108]
	v_div_fixup_f64 v[103:104], v[101:102], v[97:98], v[99:100]
	v_fma_f64 v[97:98], v[99:100], v[103:104], v[97:98]
	v_div_scale_f64 v[99:100], s[6:7], v[97:98], v[97:98], 1.0
	v_div_scale_f64 v[107:108], vcc, 1.0, v[97:98], 1.0
	v_rcp_f64_e32 v[101:102], v[99:100]
	v_fma_f64 v[105:106], -v[99:100], v[101:102], 1.0
	v_fma_f64 v[101:102], v[101:102], v[105:106], v[101:102]
	v_fma_f64 v[105:106], -v[99:100], v[101:102], 1.0
	v_fma_f64 v[101:102], v[101:102], v[105:106], v[101:102]
	v_mul_f64 v[105:106], v[107:108], v[101:102]
	v_fma_f64 v[99:100], -v[99:100], v[105:106], v[107:108]
	v_div_fmas_f64 v[99:100], v[99:100], v[101:102], v[105:106]
	v_div_fixup_f64 v[101:102], v[99:100], v[97:98], 1.0
	v_mul_f64 v[103:104], v[103:104], -v[101:102]
.LBB107_115:
	s_or_b64 exec, exec, s[2:3]
	ds_write2_b64 v127, v[101:102], v[103:104] offset1:1
.LBB107_116:
	s_or_b64 exec, exec, s[4:5]
	s_waitcnt lgkmcnt(0)
	s_barrier
	ds_read2_b64 v[87:90], v127 offset1:1
	v_cmp_lt_u32_e32 vcc, 12, v0
	s_waitcnt lgkmcnt(0)
	buffer_store_dword v87, off, s[20:23], 0 offset:1112 ; 4-byte Folded Spill
	s_nop 0
	buffer_store_dword v88, off, s[20:23], 0 offset:1116 ; 4-byte Folded Spill
	buffer_store_dword v89, off, s[20:23], 0 offset:1120 ; 4-byte Folded Spill
	;; [unrolled: 1-line block ×3, first 2 shown]
	s_and_saveexec_b64 s[2:3], vcc
	s_cbranch_execz .LBB107_118
; %bb.117:
	buffer_load_dword v107, off, s[20:23], 0 offset:288 ; 4-byte Folded Reload
	buffer_load_dword v108, off, s[20:23], 0 offset:292 ; 4-byte Folded Reload
	;; [unrolled: 1-line block ×8, first 2 shown]
	s_waitcnt vmcnt(2)
	v_mul_f64 v[99:100], v[87:88], v[109:110]
	s_waitcnt vmcnt(0)
	v_mul_f64 v[97:98], v[89:90], v[109:110]
	v_fma_f64 v[109:110], v[89:90], v[107:108], v[99:100]
	ds_read2_b64 v[99:102], v125 offset0:26 offset1:27
	v_fma_f64 v[97:98], v[87:88], v[107:108], -v[97:98]
	buffer_load_dword v105, off, s[20:23], 0 offset:272 ; 4-byte Folded Reload
	buffer_load_dword v106, off, s[20:23], 0 offset:276 ; 4-byte Folded Reload
	buffer_load_dword v107, off, s[20:23], 0 offset:280 ; 4-byte Folded Reload
	buffer_load_dword v108, off, s[20:23], 0 offset:284 ; 4-byte Folded Reload
	s_waitcnt lgkmcnt(0)
	v_mul_f64 v[103:104], v[101:102], v[109:110]
	v_fma_f64 v[103:104], v[99:100], v[97:98], -v[103:104]
	v_mul_f64 v[99:100], v[99:100], v[109:110]
	v_fma_f64 v[99:100], v[101:102], v[97:98], v[99:100]
	s_waitcnt vmcnt(2)
	v_add_f64 v[105:106], v[105:106], -v[103:104]
	s_waitcnt vmcnt(0)
	v_add_f64 v[107:108], v[107:108], -v[99:100]
	buffer_store_dword v105, off, s[20:23], 0 offset:272 ; 4-byte Folded Spill
	s_nop 0
	buffer_store_dword v106, off, s[20:23], 0 offset:276 ; 4-byte Folded Spill
	buffer_store_dword v107, off, s[20:23], 0 offset:280 ; 4-byte Folded Spill
	buffer_store_dword v108, off, s[20:23], 0 offset:284 ; 4-byte Folded Spill
	ds_read2_b64 v[99:102], v125 offset0:28 offset1:29
	buffer_load_dword v105, off, s[20:23], 0 offset:256 ; 4-byte Folded Reload
	buffer_load_dword v106, off, s[20:23], 0 offset:260 ; 4-byte Folded Reload
	buffer_load_dword v107, off, s[20:23], 0 offset:264 ; 4-byte Folded Reload
	buffer_load_dword v108, off, s[20:23], 0 offset:268 ; 4-byte Folded Reload
	s_waitcnt lgkmcnt(0)
	v_mul_f64 v[103:104], v[101:102], v[109:110]
	v_fma_f64 v[103:104], v[99:100], v[97:98], -v[103:104]
	v_mul_f64 v[99:100], v[99:100], v[109:110]
	v_fma_f64 v[99:100], v[101:102], v[97:98], v[99:100]
	s_waitcnt vmcnt(2)
	v_add_f64 v[105:106], v[105:106], -v[103:104]
	s_waitcnt vmcnt(0)
	v_add_f64 v[107:108], v[107:108], -v[99:100]
	buffer_store_dword v105, off, s[20:23], 0 offset:256 ; 4-byte Folded Spill
	s_nop 0
	buffer_store_dword v106, off, s[20:23], 0 offset:260 ; 4-byte Folded Spill
	buffer_store_dword v107, off, s[20:23], 0 offset:264 ; 4-byte Folded Spill
	buffer_store_dword v108, off, s[20:23], 0 offset:268 ; 4-byte Folded Spill
	ds_read2_b64 v[99:102], v125 offset0:30 offset1:31
	;; [unrolled: 19-line block ×17, first 2 shown]
	buffer_load_dword v105, off, s[20:23], 0 ; 4-byte Folded Reload
	buffer_load_dword v106, off, s[20:23], 0 offset:4 ; 4-byte Folded Reload
	buffer_load_dword v107, off, s[20:23], 0 offset:8 ; 4-byte Folded Reload
	;; [unrolled: 1-line block ×3, first 2 shown]
	s_waitcnt lgkmcnt(0)
	v_mul_f64 v[103:104], v[101:102], v[109:110]
	v_fma_f64 v[103:104], v[99:100], v[97:98], -v[103:104]
	v_mul_f64 v[99:100], v[99:100], v[109:110]
	v_fma_f64 v[99:100], v[101:102], v[97:98], v[99:100]
	s_waitcnt vmcnt(2)
	v_add_f64 v[105:106], v[105:106], -v[103:104]
	s_waitcnt vmcnt(0)
	v_add_f64 v[107:108], v[107:108], -v[99:100]
	buffer_store_dword v105, off, s[20:23], 0 ; 4-byte Folded Spill
	s_nop 0
	buffer_store_dword v106, off, s[20:23], 0 offset:4 ; 4-byte Folded Spill
	buffer_store_dword v107, off, s[20:23], 0 offset:8 ; 4-byte Folded Spill
	;; [unrolled: 1-line block ×3, first 2 shown]
	ds_read2_b64 v[99:102], v125 offset0:62 offset1:63
	v_mov_b32_e32 v108, v98
	v_mov_b32_e32 v107, v97
	s_waitcnt lgkmcnt(0)
	v_mul_f64 v[103:104], v[101:102], v[109:110]
	v_fma_f64 v[103:104], v[99:100], v[97:98], -v[103:104]
	v_mul_f64 v[99:100], v[99:100], v[109:110]
	v_add_f64 v[93:94], v[93:94], -v[103:104]
	v_fma_f64 v[99:100], v[101:102], v[97:98], v[99:100]
	v_add_f64 v[95:96], v[95:96], -v[99:100]
	ds_read2_b64 v[99:102], v125 offset0:64 offset1:65
	s_waitcnt lgkmcnt(0)
	v_mul_f64 v[103:104], v[101:102], v[109:110]
	v_fma_f64 v[103:104], v[99:100], v[97:98], -v[103:104]
	v_mul_f64 v[99:100], v[99:100], v[109:110]
	v_add_f64 v[81:82], v[81:82], -v[103:104]
	v_fma_f64 v[99:100], v[101:102], v[97:98], v[99:100]
	v_add_f64 v[83:84], v[83:84], -v[99:100]
	ds_read2_b64 v[99:102], v125 offset0:66 offset1:67
	;; [unrolled: 8-line block ×22, first 2 shown]
	s_waitcnt lgkmcnt(0)
	v_mul_f64 v[103:104], v[101:102], v[109:110]
	v_fma_f64 v[103:104], v[99:100], v[97:98], -v[103:104]
	v_mul_f64 v[99:100], v[99:100], v[109:110]
	buffer_store_dword v107, off, s[20:23], 0 offset:288 ; 4-byte Folded Spill
	s_nop 0
	buffer_store_dword v108, off, s[20:23], 0 offset:292 ; 4-byte Folded Spill
	buffer_store_dword v109, off, s[20:23], 0 offset:296 ; 4-byte Folded Spill
	;; [unrolled: 1-line block ×3, first 2 shown]
	v_add_f64 v[121:122], v[121:122], -v[103:104]
	v_fma_f64 v[99:100], v[101:102], v[97:98], v[99:100]
	v_add_f64 v[123:124], v[123:124], -v[99:100]
.LBB107_118:
	s_or_b64 exec, exec, s[2:3]
	v_cmp_eq_u32_e32 vcc, 13, v0
	s_waitcnt vmcnt(0)
	s_barrier
	s_and_saveexec_b64 s[4:5], vcc
	s_cbranch_execz .LBB107_125
; %bb.119:
	buffer_load_dword v97, off, s[20:23], 0 offset:272 ; 4-byte Folded Reload
	buffer_load_dword v98, off, s[20:23], 0 offset:276 ; 4-byte Folded Reload
	;; [unrolled: 1-line block ×4, first 2 shown]
	s_waitcnt vmcnt(0)
	ds_write2_b64 v127, v[97:98], v[99:100] offset1:1
	buffer_load_dword v97, off, s[20:23], 0 offset:256 ; 4-byte Folded Reload
	buffer_load_dword v98, off, s[20:23], 0 offset:260 ; 4-byte Folded Reload
	buffer_load_dword v99, off, s[20:23], 0 offset:264 ; 4-byte Folded Reload
	buffer_load_dword v100, off, s[20:23], 0 offset:268 ; 4-byte Folded Reload
	s_waitcnt vmcnt(0)
	ds_write2_b64 v125, v[97:98], v[99:100] offset0:28 offset1:29
	buffer_load_dword v97, off, s[20:23], 0 offset:240 ; 4-byte Folded Reload
	buffer_load_dword v98, off, s[20:23], 0 offset:244 ; 4-byte Folded Reload
	buffer_load_dword v99, off, s[20:23], 0 offset:248 ; 4-byte Folded Reload
	buffer_load_dword v100, off, s[20:23], 0 offset:252 ; 4-byte Folded Reload
	s_waitcnt vmcnt(0)
	ds_write2_b64 v125, v[97:98], v[99:100] offset0:30 offset1:31
	;; [unrolled: 6-line block ×16, first 2 shown]
	buffer_load_dword v97, off, s[20:23], 0 ; 4-byte Folded Reload
	buffer_load_dword v98, off, s[20:23], 0 offset:4 ; 4-byte Folded Reload
	buffer_load_dword v99, off, s[20:23], 0 offset:8 ; 4-byte Folded Reload
	;; [unrolled: 1-line block ×3, first 2 shown]
	s_waitcnt vmcnt(0)
	ds_write2_b64 v125, v[97:98], v[99:100] offset0:60 offset1:61
	ds_write2_b64 v125, v[93:94], v[95:96] offset0:62 offset1:63
	;; [unrolled: 1-line block ×24, first 2 shown]
	ds_read2_b64 v[97:100], v127 offset1:1
	s_waitcnt lgkmcnt(0)
	v_cmp_neq_f64_e32 vcc, 0, v[97:98]
	v_cmp_neq_f64_e64 s[2:3], 0, v[99:100]
	s_or_b64 s[2:3], vcc, s[2:3]
	s_and_b64 exec, exec, s[2:3]
	s_cbranch_execz .LBB107_125
; %bb.120:
	v_cmp_ngt_f64_e64 s[2:3], |v[97:98]|, |v[99:100]|
                                        ; implicit-def: $vgpr101_vgpr102
	s_and_saveexec_b64 s[6:7], s[2:3]
	s_xor_b64 s[2:3], exec, s[6:7]
                                        ; implicit-def: $vgpr103_vgpr104
	s_cbranch_execz .LBB107_122
; %bb.121:
	v_div_scale_f64 v[101:102], s[6:7], v[99:100], v[99:100], v[97:98]
	v_rcp_f64_e32 v[103:104], v[101:102]
	v_fma_f64 v[105:106], -v[101:102], v[103:104], 1.0
	v_fma_f64 v[103:104], v[103:104], v[105:106], v[103:104]
	v_div_scale_f64 v[105:106], vcc, v[97:98], v[99:100], v[97:98]
	v_fma_f64 v[107:108], -v[101:102], v[103:104], 1.0
	v_fma_f64 v[103:104], v[103:104], v[107:108], v[103:104]
	v_mul_f64 v[107:108], v[105:106], v[103:104]
	v_fma_f64 v[101:102], -v[101:102], v[107:108], v[105:106]
	v_div_fmas_f64 v[101:102], v[101:102], v[103:104], v[107:108]
	v_div_fixup_f64 v[101:102], v[101:102], v[99:100], v[97:98]
	v_fma_f64 v[97:98], v[97:98], v[101:102], v[99:100]
	v_div_scale_f64 v[99:100], s[6:7], v[97:98], v[97:98], 1.0
	v_div_scale_f64 v[107:108], vcc, 1.0, v[97:98], 1.0
	v_rcp_f64_e32 v[103:104], v[99:100]
	v_fma_f64 v[105:106], -v[99:100], v[103:104], 1.0
	v_fma_f64 v[103:104], v[103:104], v[105:106], v[103:104]
	v_fma_f64 v[105:106], -v[99:100], v[103:104], 1.0
	v_fma_f64 v[103:104], v[103:104], v[105:106], v[103:104]
	v_mul_f64 v[105:106], v[107:108], v[103:104]
	v_fma_f64 v[99:100], -v[99:100], v[105:106], v[107:108]
	v_div_fmas_f64 v[99:100], v[99:100], v[103:104], v[105:106]
	v_div_fixup_f64 v[103:104], v[99:100], v[97:98], 1.0
                                        ; implicit-def: $vgpr97_vgpr98
	v_mul_f64 v[101:102], v[101:102], v[103:104]
	v_xor_b32_e32 v104, 0x80000000, v104
.LBB107_122:
	s_andn2_saveexec_b64 s[2:3], s[2:3]
	s_cbranch_execz .LBB107_124
; %bb.123:
	v_div_scale_f64 v[101:102], s[6:7], v[97:98], v[97:98], v[99:100]
	v_rcp_f64_e32 v[103:104], v[101:102]
	v_fma_f64 v[105:106], -v[101:102], v[103:104], 1.0
	v_fma_f64 v[103:104], v[103:104], v[105:106], v[103:104]
	v_div_scale_f64 v[105:106], vcc, v[99:100], v[97:98], v[99:100]
	v_fma_f64 v[107:108], -v[101:102], v[103:104], 1.0
	v_fma_f64 v[103:104], v[103:104], v[107:108], v[103:104]
	v_mul_f64 v[107:108], v[105:106], v[103:104]
	v_fma_f64 v[101:102], -v[101:102], v[107:108], v[105:106]
	v_div_fmas_f64 v[101:102], v[101:102], v[103:104], v[107:108]
	v_div_fixup_f64 v[103:104], v[101:102], v[97:98], v[99:100]
	v_fma_f64 v[97:98], v[99:100], v[103:104], v[97:98]
	v_div_scale_f64 v[99:100], s[6:7], v[97:98], v[97:98], 1.0
	v_div_scale_f64 v[107:108], vcc, 1.0, v[97:98], 1.0
	v_rcp_f64_e32 v[101:102], v[99:100]
	v_fma_f64 v[105:106], -v[99:100], v[101:102], 1.0
	v_fma_f64 v[101:102], v[101:102], v[105:106], v[101:102]
	v_fma_f64 v[105:106], -v[99:100], v[101:102], 1.0
	v_fma_f64 v[101:102], v[101:102], v[105:106], v[101:102]
	v_mul_f64 v[105:106], v[107:108], v[101:102]
	v_fma_f64 v[99:100], -v[99:100], v[105:106], v[107:108]
	v_div_fmas_f64 v[99:100], v[99:100], v[101:102], v[105:106]
	v_div_fixup_f64 v[101:102], v[99:100], v[97:98], 1.0
	v_mul_f64 v[103:104], v[103:104], -v[101:102]
.LBB107_124:
	s_or_b64 exec, exec, s[2:3]
	ds_write2_b64 v127, v[101:102], v[103:104] offset1:1
.LBB107_125:
	s_or_b64 exec, exec, s[4:5]
	s_waitcnt lgkmcnt(0)
	s_barrier
	ds_read2_b64 v[87:90], v127 offset1:1
	v_cmp_lt_u32_e32 vcc, 13, v0
	s_waitcnt lgkmcnt(0)
	buffer_store_dword v87, off, s[20:23], 0 offset:1128 ; 4-byte Folded Spill
	s_nop 0
	buffer_store_dword v88, off, s[20:23], 0 offset:1132 ; 4-byte Folded Spill
	buffer_store_dword v89, off, s[20:23], 0 offset:1136 ; 4-byte Folded Spill
	;; [unrolled: 1-line block ×3, first 2 shown]
	s_and_saveexec_b64 s[2:3], vcc
	s_cbranch_execz .LBB107_127
; %bb.126:
	buffer_load_dword v107, off, s[20:23], 0 offset:272 ; 4-byte Folded Reload
	buffer_load_dword v108, off, s[20:23], 0 offset:276 ; 4-byte Folded Reload
	;; [unrolled: 1-line block ×8, first 2 shown]
	s_waitcnt vmcnt(2)
	v_mul_f64 v[99:100], v[87:88], v[109:110]
	s_waitcnt vmcnt(0)
	v_mul_f64 v[97:98], v[89:90], v[109:110]
	v_fma_f64 v[109:110], v[89:90], v[107:108], v[99:100]
	ds_read2_b64 v[99:102], v125 offset0:28 offset1:29
	v_fma_f64 v[97:98], v[87:88], v[107:108], -v[97:98]
	buffer_load_dword v105, off, s[20:23], 0 offset:256 ; 4-byte Folded Reload
	buffer_load_dword v106, off, s[20:23], 0 offset:260 ; 4-byte Folded Reload
	buffer_load_dword v107, off, s[20:23], 0 offset:264 ; 4-byte Folded Reload
	buffer_load_dword v108, off, s[20:23], 0 offset:268 ; 4-byte Folded Reload
	s_waitcnt lgkmcnt(0)
	v_mul_f64 v[103:104], v[101:102], v[109:110]
	v_fma_f64 v[103:104], v[99:100], v[97:98], -v[103:104]
	v_mul_f64 v[99:100], v[99:100], v[109:110]
	v_fma_f64 v[99:100], v[101:102], v[97:98], v[99:100]
	s_waitcnt vmcnt(2)
	v_add_f64 v[105:106], v[105:106], -v[103:104]
	s_waitcnt vmcnt(0)
	v_add_f64 v[107:108], v[107:108], -v[99:100]
	buffer_store_dword v105, off, s[20:23], 0 offset:256 ; 4-byte Folded Spill
	s_nop 0
	buffer_store_dword v106, off, s[20:23], 0 offset:260 ; 4-byte Folded Spill
	buffer_store_dword v107, off, s[20:23], 0 offset:264 ; 4-byte Folded Spill
	buffer_store_dword v108, off, s[20:23], 0 offset:268 ; 4-byte Folded Spill
	ds_read2_b64 v[99:102], v125 offset0:30 offset1:31
	buffer_load_dword v105, off, s[20:23], 0 offset:240 ; 4-byte Folded Reload
	buffer_load_dword v106, off, s[20:23], 0 offset:244 ; 4-byte Folded Reload
	buffer_load_dword v107, off, s[20:23], 0 offset:248 ; 4-byte Folded Reload
	buffer_load_dword v108, off, s[20:23], 0 offset:252 ; 4-byte Folded Reload
	s_waitcnt lgkmcnt(0)
	v_mul_f64 v[103:104], v[101:102], v[109:110]
	v_fma_f64 v[103:104], v[99:100], v[97:98], -v[103:104]
	v_mul_f64 v[99:100], v[99:100], v[109:110]
	v_fma_f64 v[99:100], v[101:102], v[97:98], v[99:100]
	s_waitcnt vmcnt(2)
	v_add_f64 v[105:106], v[105:106], -v[103:104]
	s_waitcnt vmcnt(0)
	v_add_f64 v[107:108], v[107:108], -v[99:100]
	buffer_store_dword v105, off, s[20:23], 0 offset:240 ; 4-byte Folded Spill
	s_nop 0
	buffer_store_dword v106, off, s[20:23], 0 offset:244 ; 4-byte Folded Spill
	buffer_store_dword v107, off, s[20:23], 0 offset:248 ; 4-byte Folded Spill
	buffer_store_dword v108, off, s[20:23], 0 offset:252 ; 4-byte Folded Spill
	ds_read2_b64 v[99:102], v125 offset0:32 offset1:33
	;; [unrolled: 19-line block ×16, first 2 shown]
	buffer_load_dword v105, off, s[20:23], 0 ; 4-byte Folded Reload
	buffer_load_dword v106, off, s[20:23], 0 offset:4 ; 4-byte Folded Reload
	buffer_load_dword v107, off, s[20:23], 0 offset:8 ; 4-byte Folded Reload
	;; [unrolled: 1-line block ×3, first 2 shown]
	s_waitcnt lgkmcnt(0)
	v_mul_f64 v[103:104], v[101:102], v[109:110]
	v_fma_f64 v[103:104], v[99:100], v[97:98], -v[103:104]
	v_mul_f64 v[99:100], v[99:100], v[109:110]
	v_fma_f64 v[99:100], v[101:102], v[97:98], v[99:100]
	s_waitcnt vmcnt(2)
	v_add_f64 v[105:106], v[105:106], -v[103:104]
	s_waitcnt vmcnt(0)
	v_add_f64 v[107:108], v[107:108], -v[99:100]
	buffer_store_dword v105, off, s[20:23], 0 ; 4-byte Folded Spill
	s_nop 0
	buffer_store_dword v106, off, s[20:23], 0 offset:4 ; 4-byte Folded Spill
	buffer_store_dword v107, off, s[20:23], 0 offset:8 ; 4-byte Folded Spill
	;; [unrolled: 1-line block ×3, first 2 shown]
	ds_read2_b64 v[99:102], v125 offset0:62 offset1:63
	v_mov_b32_e32 v108, v98
	v_mov_b32_e32 v107, v97
	s_waitcnt lgkmcnt(0)
	v_mul_f64 v[103:104], v[101:102], v[109:110]
	v_fma_f64 v[103:104], v[99:100], v[97:98], -v[103:104]
	v_mul_f64 v[99:100], v[99:100], v[109:110]
	v_add_f64 v[93:94], v[93:94], -v[103:104]
	v_fma_f64 v[99:100], v[101:102], v[97:98], v[99:100]
	v_add_f64 v[95:96], v[95:96], -v[99:100]
	ds_read2_b64 v[99:102], v125 offset0:64 offset1:65
	s_waitcnt lgkmcnt(0)
	v_mul_f64 v[103:104], v[101:102], v[109:110]
	v_fma_f64 v[103:104], v[99:100], v[97:98], -v[103:104]
	v_mul_f64 v[99:100], v[99:100], v[109:110]
	v_add_f64 v[81:82], v[81:82], -v[103:104]
	v_fma_f64 v[99:100], v[101:102], v[97:98], v[99:100]
	v_add_f64 v[83:84], v[83:84], -v[99:100]
	ds_read2_b64 v[99:102], v125 offset0:66 offset1:67
	;; [unrolled: 8-line block ×22, first 2 shown]
	s_waitcnt lgkmcnt(0)
	v_mul_f64 v[103:104], v[101:102], v[109:110]
	v_fma_f64 v[103:104], v[99:100], v[97:98], -v[103:104]
	v_mul_f64 v[99:100], v[99:100], v[109:110]
	buffer_store_dword v107, off, s[20:23], 0 offset:272 ; 4-byte Folded Spill
	s_nop 0
	buffer_store_dword v108, off, s[20:23], 0 offset:276 ; 4-byte Folded Spill
	buffer_store_dword v109, off, s[20:23], 0 offset:280 ; 4-byte Folded Spill
	;; [unrolled: 1-line block ×3, first 2 shown]
	v_add_f64 v[121:122], v[121:122], -v[103:104]
	v_fma_f64 v[99:100], v[101:102], v[97:98], v[99:100]
	v_add_f64 v[123:124], v[123:124], -v[99:100]
.LBB107_127:
	s_or_b64 exec, exec, s[2:3]
	v_cmp_eq_u32_e32 vcc, 14, v0
	s_waitcnt vmcnt(0)
	s_barrier
	s_and_saveexec_b64 s[4:5], vcc
	s_cbranch_execz .LBB107_134
; %bb.128:
	buffer_load_dword v97, off, s[20:23], 0 offset:256 ; 4-byte Folded Reload
	buffer_load_dword v98, off, s[20:23], 0 offset:260 ; 4-byte Folded Reload
	;; [unrolled: 1-line block ×4, first 2 shown]
	s_waitcnt vmcnt(0)
	ds_write2_b64 v127, v[97:98], v[99:100] offset1:1
	buffer_load_dword v97, off, s[20:23], 0 offset:240 ; 4-byte Folded Reload
	buffer_load_dword v98, off, s[20:23], 0 offset:244 ; 4-byte Folded Reload
	buffer_load_dword v99, off, s[20:23], 0 offset:248 ; 4-byte Folded Reload
	buffer_load_dword v100, off, s[20:23], 0 offset:252 ; 4-byte Folded Reload
	s_waitcnt vmcnt(0)
	ds_write2_b64 v125, v[97:98], v[99:100] offset0:30 offset1:31
	buffer_load_dword v97, off, s[20:23], 0 offset:224 ; 4-byte Folded Reload
	buffer_load_dword v98, off, s[20:23], 0 offset:228 ; 4-byte Folded Reload
	buffer_load_dword v99, off, s[20:23], 0 offset:232 ; 4-byte Folded Reload
	buffer_load_dword v100, off, s[20:23], 0 offset:236 ; 4-byte Folded Reload
	s_waitcnt vmcnt(0)
	ds_write2_b64 v125, v[97:98], v[99:100] offset0:32 offset1:33
	;; [unrolled: 6-line block ×15, first 2 shown]
	buffer_load_dword v97, off, s[20:23], 0 ; 4-byte Folded Reload
	buffer_load_dword v98, off, s[20:23], 0 offset:4 ; 4-byte Folded Reload
	buffer_load_dword v99, off, s[20:23], 0 offset:8 ; 4-byte Folded Reload
	;; [unrolled: 1-line block ×3, first 2 shown]
	s_waitcnt vmcnt(0)
	ds_write2_b64 v125, v[97:98], v[99:100] offset0:60 offset1:61
	ds_write2_b64 v125, v[93:94], v[95:96] offset0:62 offset1:63
	;; [unrolled: 1-line block ×24, first 2 shown]
	ds_read2_b64 v[97:100], v127 offset1:1
	s_waitcnt lgkmcnt(0)
	v_cmp_neq_f64_e32 vcc, 0, v[97:98]
	v_cmp_neq_f64_e64 s[2:3], 0, v[99:100]
	s_or_b64 s[2:3], vcc, s[2:3]
	s_and_b64 exec, exec, s[2:3]
	s_cbranch_execz .LBB107_134
; %bb.129:
	v_cmp_ngt_f64_e64 s[2:3], |v[97:98]|, |v[99:100]|
                                        ; implicit-def: $vgpr101_vgpr102
	s_and_saveexec_b64 s[6:7], s[2:3]
	s_xor_b64 s[2:3], exec, s[6:7]
                                        ; implicit-def: $vgpr103_vgpr104
	s_cbranch_execz .LBB107_131
; %bb.130:
	v_div_scale_f64 v[101:102], s[6:7], v[99:100], v[99:100], v[97:98]
	v_rcp_f64_e32 v[103:104], v[101:102]
	v_fma_f64 v[105:106], -v[101:102], v[103:104], 1.0
	v_fma_f64 v[103:104], v[103:104], v[105:106], v[103:104]
	v_div_scale_f64 v[105:106], vcc, v[97:98], v[99:100], v[97:98]
	v_fma_f64 v[107:108], -v[101:102], v[103:104], 1.0
	v_fma_f64 v[103:104], v[103:104], v[107:108], v[103:104]
	v_mul_f64 v[107:108], v[105:106], v[103:104]
	v_fma_f64 v[101:102], -v[101:102], v[107:108], v[105:106]
	v_div_fmas_f64 v[101:102], v[101:102], v[103:104], v[107:108]
	v_div_fixup_f64 v[101:102], v[101:102], v[99:100], v[97:98]
	v_fma_f64 v[97:98], v[97:98], v[101:102], v[99:100]
	v_div_scale_f64 v[99:100], s[6:7], v[97:98], v[97:98], 1.0
	v_div_scale_f64 v[107:108], vcc, 1.0, v[97:98], 1.0
	v_rcp_f64_e32 v[103:104], v[99:100]
	v_fma_f64 v[105:106], -v[99:100], v[103:104], 1.0
	v_fma_f64 v[103:104], v[103:104], v[105:106], v[103:104]
	v_fma_f64 v[105:106], -v[99:100], v[103:104], 1.0
	v_fma_f64 v[103:104], v[103:104], v[105:106], v[103:104]
	v_mul_f64 v[105:106], v[107:108], v[103:104]
	v_fma_f64 v[99:100], -v[99:100], v[105:106], v[107:108]
	v_div_fmas_f64 v[99:100], v[99:100], v[103:104], v[105:106]
	v_div_fixup_f64 v[103:104], v[99:100], v[97:98], 1.0
                                        ; implicit-def: $vgpr97_vgpr98
	v_mul_f64 v[101:102], v[101:102], v[103:104]
	v_xor_b32_e32 v104, 0x80000000, v104
.LBB107_131:
	s_andn2_saveexec_b64 s[2:3], s[2:3]
	s_cbranch_execz .LBB107_133
; %bb.132:
	v_div_scale_f64 v[101:102], s[6:7], v[97:98], v[97:98], v[99:100]
	v_rcp_f64_e32 v[103:104], v[101:102]
	v_fma_f64 v[105:106], -v[101:102], v[103:104], 1.0
	v_fma_f64 v[103:104], v[103:104], v[105:106], v[103:104]
	v_div_scale_f64 v[105:106], vcc, v[99:100], v[97:98], v[99:100]
	v_fma_f64 v[107:108], -v[101:102], v[103:104], 1.0
	v_fma_f64 v[103:104], v[103:104], v[107:108], v[103:104]
	v_mul_f64 v[107:108], v[105:106], v[103:104]
	v_fma_f64 v[101:102], -v[101:102], v[107:108], v[105:106]
	v_div_fmas_f64 v[101:102], v[101:102], v[103:104], v[107:108]
	v_div_fixup_f64 v[103:104], v[101:102], v[97:98], v[99:100]
	v_fma_f64 v[97:98], v[99:100], v[103:104], v[97:98]
	v_div_scale_f64 v[99:100], s[6:7], v[97:98], v[97:98], 1.0
	v_div_scale_f64 v[107:108], vcc, 1.0, v[97:98], 1.0
	v_rcp_f64_e32 v[101:102], v[99:100]
	v_fma_f64 v[105:106], -v[99:100], v[101:102], 1.0
	v_fma_f64 v[101:102], v[101:102], v[105:106], v[101:102]
	v_fma_f64 v[105:106], -v[99:100], v[101:102], 1.0
	v_fma_f64 v[101:102], v[101:102], v[105:106], v[101:102]
	v_mul_f64 v[105:106], v[107:108], v[101:102]
	v_fma_f64 v[99:100], -v[99:100], v[105:106], v[107:108]
	v_div_fmas_f64 v[99:100], v[99:100], v[101:102], v[105:106]
	v_div_fixup_f64 v[101:102], v[99:100], v[97:98], 1.0
	v_mul_f64 v[103:104], v[103:104], -v[101:102]
.LBB107_133:
	s_or_b64 exec, exec, s[2:3]
	ds_write2_b64 v127, v[101:102], v[103:104] offset1:1
.LBB107_134:
	s_or_b64 exec, exec, s[4:5]
	s_waitcnt lgkmcnt(0)
	s_barrier
	ds_read2_b64 v[87:90], v127 offset1:1
	v_cmp_lt_u32_e32 vcc, 14, v0
	s_waitcnt lgkmcnt(0)
	buffer_store_dword v87, off, s[20:23], 0 offset:1144 ; 4-byte Folded Spill
	s_nop 0
	buffer_store_dword v88, off, s[20:23], 0 offset:1148 ; 4-byte Folded Spill
	buffer_store_dword v89, off, s[20:23], 0 offset:1152 ; 4-byte Folded Spill
	;; [unrolled: 1-line block ×3, first 2 shown]
	s_and_saveexec_b64 s[2:3], vcc
	s_cbranch_execz .LBB107_136
; %bb.135:
	buffer_load_dword v107, off, s[20:23], 0 offset:256 ; 4-byte Folded Reload
	buffer_load_dword v108, off, s[20:23], 0 offset:260 ; 4-byte Folded Reload
	;; [unrolled: 1-line block ×8, first 2 shown]
	s_waitcnt vmcnt(2)
	v_mul_f64 v[99:100], v[87:88], v[109:110]
	s_waitcnt vmcnt(0)
	v_mul_f64 v[97:98], v[89:90], v[109:110]
	v_fma_f64 v[109:110], v[89:90], v[107:108], v[99:100]
	ds_read2_b64 v[99:102], v125 offset0:30 offset1:31
	v_fma_f64 v[97:98], v[87:88], v[107:108], -v[97:98]
	buffer_load_dword v105, off, s[20:23], 0 offset:240 ; 4-byte Folded Reload
	buffer_load_dword v106, off, s[20:23], 0 offset:244 ; 4-byte Folded Reload
	buffer_load_dword v107, off, s[20:23], 0 offset:248 ; 4-byte Folded Reload
	buffer_load_dword v108, off, s[20:23], 0 offset:252 ; 4-byte Folded Reload
	s_waitcnt lgkmcnt(0)
	v_mul_f64 v[103:104], v[101:102], v[109:110]
	v_fma_f64 v[103:104], v[99:100], v[97:98], -v[103:104]
	v_mul_f64 v[99:100], v[99:100], v[109:110]
	v_fma_f64 v[99:100], v[101:102], v[97:98], v[99:100]
	s_waitcnt vmcnt(2)
	v_add_f64 v[105:106], v[105:106], -v[103:104]
	s_waitcnt vmcnt(0)
	v_add_f64 v[107:108], v[107:108], -v[99:100]
	buffer_store_dword v105, off, s[20:23], 0 offset:240 ; 4-byte Folded Spill
	s_nop 0
	buffer_store_dword v106, off, s[20:23], 0 offset:244 ; 4-byte Folded Spill
	buffer_store_dword v107, off, s[20:23], 0 offset:248 ; 4-byte Folded Spill
	buffer_store_dword v108, off, s[20:23], 0 offset:252 ; 4-byte Folded Spill
	ds_read2_b64 v[99:102], v125 offset0:32 offset1:33
	buffer_load_dword v105, off, s[20:23], 0 offset:224 ; 4-byte Folded Reload
	buffer_load_dword v106, off, s[20:23], 0 offset:228 ; 4-byte Folded Reload
	buffer_load_dword v107, off, s[20:23], 0 offset:232 ; 4-byte Folded Reload
	buffer_load_dword v108, off, s[20:23], 0 offset:236 ; 4-byte Folded Reload
	s_waitcnt lgkmcnt(0)
	v_mul_f64 v[103:104], v[101:102], v[109:110]
	v_fma_f64 v[103:104], v[99:100], v[97:98], -v[103:104]
	v_mul_f64 v[99:100], v[99:100], v[109:110]
	v_fma_f64 v[99:100], v[101:102], v[97:98], v[99:100]
	s_waitcnt vmcnt(2)
	v_add_f64 v[105:106], v[105:106], -v[103:104]
	s_waitcnt vmcnt(0)
	v_add_f64 v[107:108], v[107:108], -v[99:100]
	buffer_store_dword v105, off, s[20:23], 0 offset:224 ; 4-byte Folded Spill
	s_nop 0
	buffer_store_dword v106, off, s[20:23], 0 offset:228 ; 4-byte Folded Spill
	buffer_store_dword v107, off, s[20:23], 0 offset:232 ; 4-byte Folded Spill
	buffer_store_dword v108, off, s[20:23], 0 offset:236 ; 4-byte Folded Spill
	ds_read2_b64 v[99:102], v125 offset0:34 offset1:35
	;; [unrolled: 19-line block ×15, first 2 shown]
	buffer_load_dword v105, off, s[20:23], 0 ; 4-byte Folded Reload
	buffer_load_dword v106, off, s[20:23], 0 offset:4 ; 4-byte Folded Reload
	buffer_load_dword v107, off, s[20:23], 0 offset:8 ; 4-byte Folded Reload
	;; [unrolled: 1-line block ×3, first 2 shown]
	s_waitcnt lgkmcnt(0)
	v_mul_f64 v[103:104], v[101:102], v[109:110]
	v_fma_f64 v[103:104], v[99:100], v[97:98], -v[103:104]
	v_mul_f64 v[99:100], v[99:100], v[109:110]
	v_fma_f64 v[99:100], v[101:102], v[97:98], v[99:100]
	s_waitcnt vmcnt(2)
	v_add_f64 v[105:106], v[105:106], -v[103:104]
	s_waitcnt vmcnt(0)
	v_add_f64 v[107:108], v[107:108], -v[99:100]
	buffer_store_dword v105, off, s[20:23], 0 ; 4-byte Folded Spill
	s_nop 0
	buffer_store_dword v106, off, s[20:23], 0 offset:4 ; 4-byte Folded Spill
	buffer_store_dword v107, off, s[20:23], 0 offset:8 ; 4-byte Folded Spill
	;; [unrolled: 1-line block ×3, first 2 shown]
	ds_read2_b64 v[99:102], v125 offset0:62 offset1:63
	v_mov_b32_e32 v108, v98
	v_mov_b32_e32 v107, v97
	s_waitcnt lgkmcnt(0)
	v_mul_f64 v[103:104], v[101:102], v[109:110]
	v_fma_f64 v[103:104], v[99:100], v[97:98], -v[103:104]
	v_mul_f64 v[99:100], v[99:100], v[109:110]
	v_add_f64 v[93:94], v[93:94], -v[103:104]
	v_fma_f64 v[99:100], v[101:102], v[97:98], v[99:100]
	v_add_f64 v[95:96], v[95:96], -v[99:100]
	ds_read2_b64 v[99:102], v125 offset0:64 offset1:65
	s_waitcnt lgkmcnt(0)
	v_mul_f64 v[103:104], v[101:102], v[109:110]
	v_fma_f64 v[103:104], v[99:100], v[97:98], -v[103:104]
	v_mul_f64 v[99:100], v[99:100], v[109:110]
	v_add_f64 v[81:82], v[81:82], -v[103:104]
	v_fma_f64 v[99:100], v[101:102], v[97:98], v[99:100]
	v_add_f64 v[83:84], v[83:84], -v[99:100]
	ds_read2_b64 v[99:102], v125 offset0:66 offset1:67
	;; [unrolled: 8-line block ×22, first 2 shown]
	s_waitcnt lgkmcnt(0)
	v_mul_f64 v[103:104], v[101:102], v[109:110]
	v_fma_f64 v[103:104], v[99:100], v[97:98], -v[103:104]
	v_mul_f64 v[99:100], v[99:100], v[109:110]
	buffer_store_dword v107, off, s[20:23], 0 offset:256 ; 4-byte Folded Spill
	s_nop 0
	buffer_store_dword v108, off, s[20:23], 0 offset:260 ; 4-byte Folded Spill
	buffer_store_dword v109, off, s[20:23], 0 offset:264 ; 4-byte Folded Spill
	;; [unrolled: 1-line block ×3, first 2 shown]
	v_add_f64 v[121:122], v[121:122], -v[103:104]
	v_fma_f64 v[99:100], v[101:102], v[97:98], v[99:100]
	v_add_f64 v[123:124], v[123:124], -v[99:100]
.LBB107_136:
	s_or_b64 exec, exec, s[2:3]
	v_cmp_eq_u32_e32 vcc, 15, v0
	s_waitcnt vmcnt(0)
	s_barrier
	s_and_saveexec_b64 s[4:5], vcc
	s_cbranch_execz .LBB107_143
; %bb.137:
	buffer_load_dword v97, off, s[20:23], 0 offset:240 ; 4-byte Folded Reload
	buffer_load_dword v98, off, s[20:23], 0 offset:244 ; 4-byte Folded Reload
	;; [unrolled: 1-line block ×4, first 2 shown]
	s_waitcnt vmcnt(0)
	ds_write2_b64 v127, v[97:98], v[99:100] offset1:1
	buffer_load_dword v97, off, s[20:23], 0 offset:224 ; 4-byte Folded Reload
	buffer_load_dword v98, off, s[20:23], 0 offset:228 ; 4-byte Folded Reload
	buffer_load_dword v99, off, s[20:23], 0 offset:232 ; 4-byte Folded Reload
	buffer_load_dword v100, off, s[20:23], 0 offset:236 ; 4-byte Folded Reload
	s_waitcnt vmcnt(0)
	ds_write2_b64 v125, v[97:98], v[99:100] offset0:32 offset1:33
	buffer_load_dword v97, off, s[20:23], 0 offset:208 ; 4-byte Folded Reload
	buffer_load_dword v98, off, s[20:23], 0 offset:212 ; 4-byte Folded Reload
	buffer_load_dword v99, off, s[20:23], 0 offset:216 ; 4-byte Folded Reload
	buffer_load_dword v100, off, s[20:23], 0 offset:220 ; 4-byte Folded Reload
	s_waitcnt vmcnt(0)
	ds_write2_b64 v125, v[97:98], v[99:100] offset0:34 offset1:35
	;; [unrolled: 6-line block ×14, first 2 shown]
	buffer_load_dword v97, off, s[20:23], 0 ; 4-byte Folded Reload
	buffer_load_dword v98, off, s[20:23], 0 offset:4 ; 4-byte Folded Reload
	buffer_load_dword v99, off, s[20:23], 0 offset:8 ; 4-byte Folded Reload
	;; [unrolled: 1-line block ×3, first 2 shown]
	s_waitcnt vmcnt(0)
	ds_write2_b64 v125, v[97:98], v[99:100] offset0:60 offset1:61
	ds_write2_b64 v125, v[93:94], v[95:96] offset0:62 offset1:63
	;; [unrolled: 1-line block ×24, first 2 shown]
	ds_read2_b64 v[97:100], v127 offset1:1
	s_waitcnt lgkmcnt(0)
	v_cmp_neq_f64_e32 vcc, 0, v[97:98]
	v_cmp_neq_f64_e64 s[2:3], 0, v[99:100]
	s_or_b64 s[2:3], vcc, s[2:3]
	s_and_b64 exec, exec, s[2:3]
	s_cbranch_execz .LBB107_143
; %bb.138:
	v_cmp_ngt_f64_e64 s[2:3], |v[97:98]|, |v[99:100]|
                                        ; implicit-def: $vgpr101_vgpr102
	s_and_saveexec_b64 s[6:7], s[2:3]
	s_xor_b64 s[2:3], exec, s[6:7]
                                        ; implicit-def: $vgpr103_vgpr104
	s_cbranch_execz .LBB107_140
; %bb.139:
	v_div_scale_f64 v[101:102], s[6:7], v[99:100], v[99:100], v[97:98]
	v_rcp_f64_e32 v[103:104], v[101:102]
	v_fma_f64 v[105:106], -v[101:102], v[103:104], 1.0
	v_fma_f64 v[103:104], v[103:104], v[105:106], v[103:104]
	v_div_scale_f64 v[105:106], vcc, v[97:98], v[99:100], v[97:98]
	v_fma_f64 v[107:108], -v[101:102], v[103:104], 1.0
	v_fma_f64 v[103:104], v[103:104], v[107:108], v[103:104]
	v_mul_f64 v[107:108], v[105:106], v[103:104]
	v_fma_f64 v[101:102], -v[101:102], v[107:108], v[105:106]
	v_div_fmas_f64 v[101:102], v[101:102], v[103:104], v[107:108]
	v_div_fixup_f64 v[101:102], v[101:102], v[99:100], v[97:98]
	v_fma_f64 v[97:98], v[97:98], v[101:102], v[99:100]
	v_div_scale_f64 v[99:100], s[6:7], v[97:98], v[97:98], 1.0
	v_div_scale_f64 v[107:108], vcc, 1.0, v[97:98], 1.0
	v_rcp_f64_e32 v[103:104], v[99:100]
	v_fma_f64 v[105:106], -v[99:100], v[103:104], 1.0
	v_fma_f64 v[103:104], v[103:104], v[105:106], v[103:104]
	v_fma_f64 v[105:106], -v[99:100], v[103:104], 1.0
	v_fma_f64 v[103:104], v[103:104], v[105:106], v[103:104]
	v_mul_f64 v[105:106], v[107:108], v[103:104]
	v_fma_f64 v[99:100], -v[99:100], v[105:106], v[107:108]
	v_div_fmas_f64 v[99:100], v[99:100], v[103:104], v[105:106]
	v_div_fixup_f64 v[103:104], v[99:100], v[97:98], 1.0
                                        ; implicit-def: $vgpr97_vgpr98
	v_mul_f64 v[101:102], v[101:102], v[103:104]
	v_xor_b32_e32 v104, 0x80000000, v104
.LBB107_140:
	s_andn2_saveexec_b64 s[2:3], s[2:3]
	s_cbranch_execz .LBB107_142
; %bb.141:
	v_div_scale_f64 v[101:102], s[6:7], v[97:98], v[97:98], v[99:100]
	v_rcp_f64_e32 v[103:104], v[101:102]
	v_fma_f64 v[105:106], -v[101:102], v[103:104], 1.0
	v_fma_f64 v[103:104], v[103:104], v[105:106], v[103:104]
	v_div_scale_f64 v[105:106], vcc, v[99:100], v[97:98], v[99:100]
	v_fma_f64 v[107:108], -v[101:102], v[103:104], 1.0
	v_fma_f64 v[103:104], v[103:104], v[107:108], v[103:104]
	v_mul_f64 v[107:108], v[105:106], v[103:104]
	v_fma_f64 v[101:102], -v[101:102], v[107:108], v[105:106]
	v_div_fmas_f64 v[101:102], v[101:102], v[103:104], v[107:108]
	v_div_fixup_f64 v[103:104], v[101:102], v[97:98], v[99:100]
	v_fma_f64 v[97:98], v[99:100], v[103:104], v[97:98]
	v_div_scale_f64 v[99:100], s[6:7], v[97:98], v[97:98], 1.0
	v_div_scale_f64 v[107:108], vcc, 1.0, v[97:98], 1.0
	v_rcp_f64_e32 v[101:102], v[99:100]
	v_fma_f64 v[105:106], -v[99:100], v[101:102], 1.0
	v_fma_f64 v[101:102], v[101:102], v[105:106], v[101:102]
	v_fma_f64 v[105:106], -v[99:100], v[101:102], 1.0
	v_fma_f64 v[101:102], v[101:102], v[105:106], v[101:102]
	v_mul_f64 v[105:106], v[107:108], v[101:102]
	v_fma_f64 v[99:100], -v[99:100], v[105:106], v[107:108]
	v_div_fmas_f64 v[99:100], v[99:100], v[101:102], v[105:106]
	v_div_fixup_f64 v[101:102], v[99:100], v[97:98], 1.0
	v_mul_f64 v[103:104], v[103:104], -v[101:102]
.LBB107_142:
	s_or_b64 exec, exec, s[2:3]
	ds_write2_b64 v127, v[101:102], v[103:104] offset1:1
.LBB107_143:
	s_or_b64 exec, exec, s[4:5]
	s_waitcnt lgkmcnt(0)
	s_barrier
	ds_read2_b64 v[87:90], v127 offset1:1
	v_cmp_lt_u32_e32 vcc, 15, v0
	s_waitcnt lgkmcnt(0)
	buffer_store_dword v87, off, s[20:23], 0 offset:1160 ; 4-byte Folded Spill
	s_nop 0
	buffer_store_dword v88, off, s[20:23], 0 offset:1164 ; 4-byte Folded Spill
	buffer_store_dword v89, off, s[20:23], 0 offset:1168 ; 4-byte Folded Spill
	;; [unrolled: 1-line block ×3, first 2 shown]
	s_and_saveexec_b64 s[2:3], vcc
	s_cbranch_execz .LBB107_145
; %bb.144:
	buffer_load_dword v107, off, s[20:23], 0 offset:240 ; 4-byte Folded Reload
	buffer_load_dword v108, off, s[20:23], 0 offset:244 ; 4-byte Folded Reload
	;; [unrolled: 1-line block ×8, first 2 shown]
	s_waitcnt vmcnt(2)
	v_mul_f64 v[99:100], v[87:88], v[109:110]
	s_waitcnt vmcnt(0)
	v_mul_f64 v[97:98], v[89:90], v[109:110]
	v_fma_f64 v[109:110], v[89:90], v[107:108], v[99:100]
	ds_read2_b64 v[99:102], v125 offset0:32 offset1:33
	v_fma_f64 v[97:98], v[87:88], v[107:108], -v[97:98]
	buffer_load_dword v105, off, s[20:23], 0 offset:224 ; 4-byte Folded Reload
	buffer_load_dword v106, off, s[20:23], 0 offset:228 ; 4-byte Folded Reload
	buffer_load_dword v107, off, s[20:23], 0 offset:232 ; 4-byte Folded Reload
	buffer_load_dword v108, off, s[20:23], 0 offset:236 ; 4-byte Folded Reload
	s_waitcnt lgkmcnt(0)
	v_mul_f64 v[103:104], v[101:102], v[109:110]
	v_fma_f64 v[103:104], v[99:100], v[97:98], -v[103:104]
	v_mul_f64 v[99:100], v[99:100], v[109:110]
	v_fma_f64 v[99:100], v[101:102], v[97:98], v[99:100]
	s_waitcnt vmcnt(2)
	v_add_f64 v[105:106], v[105:106], -v[103:104]
	s_waitcnt vmcnt(0)
	v_add_f64 v[107:108], v[107:108], -v[99:100]
	buffer_store_dword v105, off, s[20:23], 0 offset:224 ; 4-byte Folded Spill
	s_nop 0
	buffer_store_dword v106, off, s[20:23], 0 offset:228 ; 4-byte Folded Spill
	buffer_store_dword v107, off, s[20:23], 0 offset:232 ; 4-byte Folded Spill
	buffer_store_dword v108, off, s[20:23], 0 offset:236 ; 4-byte Folded Spill
	ds_read2_b64 v[99:102], v125 offset0:34 offset1:35
	buffer_load_dword v105, off, s[20:23], 0 offset:208 ; 4-byte Folded Reload
	buffer_load_dword v106, off, s[20:23], 0 offset:212 ; 4-byte Folded Reload
	buffer_load_dword v107, off, s[20:23], 0 offset:216 ; 4-byte Folded Reload
	buffer_load_dword v108, off, s[20:23], 0 offset:220 ; 4-byte Folded Reload
	s_waitcnt lgkmcnt(0)
	v_mul_f64 v[103:104], v[101:102], v[109:110]
	v_fma_f64 v[103:104], v[99:100], v[97:98], -v[103:104]
	v_mul_f64 v[99:100], v[99:100], v[109:110]
	v_fma_f64 v[99:100], v[101:102], v[97:98], v[99:100]
	s_waitcnt vmcnt(2)
	v_add_f64 v[105:106], v[105:106], -v[103:104]
	s_waitcnt vmcnt(0)
	v_add_f64 v[107:108], v[107:108], -v[99:100]
	buffer_store_dword v105, off, s[20:23], 0 offset:208 ; 4-byte Folded Spill
	s_nop 0
	buffer_store_dword v106, off, s[20:23], 0 offset:212 ; 4-byte Folded Spill
	buffer_store_dword v107, off, s[20:23], 0 offset:216 ; 4-byte Folded Spill
	buffer_store_dword v108, off, s[20:23], 0 offset:220 ; 4-byte Folded Spill
	ds_read2_b64 v[99:102], v125 offset0:36 offset1:37
	;; [unrolled: 19-line block ×14, first 2 shown]
	buffer_load_dword v105, off, s[20:23], 0 ; 4-byte Folded Reload
	buffer_load_dword v106, off, s[20:23], 0 offset:4 ; 4-byte Folded Reload
	buffer_load_dword v107, off, s[20:23], 0 offset:8 ; 4-byte Folded Reload
	;; [unrolled: 1-line block ×3, first 2 shown]
	s_waitcnt lgkmcnt(0)
	v_mul_f64 v[103:104], v[101:102], v[109:110]
	v_fma_f64 v[103:104], v[99:100], v[97:98], -v[103:104]
	v_mul_f64 v[99:100], v[99:100], v[109:110]
	v_fma_f64 v[99:100], v[101:102], v[97:98], v[99:100]
	s_waitcnt vmcnt(2)
	v_add_f64 v[105:106], v[105:106], -v[103:104]
	s_waitcnt vmcnt(0)
	v_add_f64 v[107:108], v[107:108], -v[99:100]
	buffer_store_dword v105, off, s[20:23], 0 ; 4-byte Folded Spill
	s_nop 0
	buffer_store_dword v106, off, s[20:23], 0 offset:4 ; 4-byte Folded Spill
	buffer_store_dword v107, off, s[20:23], 0 offset:8 ; 4-byte Folded Spill
	buffer_store_dword v108, off, s[20:23], 0 offset:12 ; 4-byte Folded Spill
	ds_read2_b64 v[99:102], v125 offset0:62 offset1:63
	v_mov_b32_e32 v108, v98
	v_mov_b32_e32 v107, v97
	s_waitcnt lgkmcnt(0)
	v_mul_f64 v[103:104], v[101:102], v[109:110]
	v_fma_f64 v[103:104], v[99:100], v[97:98], -v[103:104]
	v_mul_f64 v[99:100], v[99:100], v[109:110]
	v_add_f64 v[93:94], v[93:94], -v[103:104]
	v_fma_f64 v[99:100], v[101:102], v[97:98], v[99:100]
	v_add_f64 v[95:96], v[95:96], -v[99:100]
	ds_read2_b64 v[99:102], v125 offset0:64 offset1:65
	s_waitcnt lgkmcnt(0)
	v_mul_f64 v[103:104], v[101:102], v[109:110]
	v_fma_f64 v[103:104], v[99:100], v[97:98], -v[103:104]
	v_mul_f64 v[99:100], v[99:100], v[109:110]
	v_add_f64 v[81:82], v[81:82], -v[103:104]
	v_fma_f64 v[99:100], v[101:102], v[97:98], v[99:100]
	v_add_f64 v[83:84], v[83:84], -v[99:100]
	ds_read2_b64 v[99:102], v125 offset0:66 offset1:67
	;; [unrolled: 8-line block ×22, first 2 shown]
	s_waitcnt lgkmcnt(0)
	v_mul_f64 v[103:104], v[101:102], v[109:110]
	v_fma_f64 v[103:104], v[99:100], v[97:98], -v[103:104]
	v_mul_f64 v[99:100], v[99:100], v[109:110]
	buffer_store_dword v107, off, s[20:23], 0 offset:240 ; 4-byte Folded Spill
	s_nop 0
	buffer_store_dword v108, off, s[20:23], 0 offset:244 ; 4-byte Folded Spill
	buffer_store_dword v109, off, s[20:23], 0 offset:248 ; 4-byte Folded Spill
	;; [unrolled: 1-line block ×3, first 2 shown]
	v_add_f64 v[121:122], v[121:122], -v[103:104]
	v_fma_f64 v[99:100], v[101:102], v[97:98], v[99:100]
	v_add_f64 v[123:124], v[123:124], -v[99:100]
.LBB107_145:
	s_or_b64 exec, exec, s[2:3]
	v_cmp_eq_u32_e32 vcc, 16, v0
	s_waitcnt vmcnt(0)
	s_barrier
	s_and_saveexec_b64 s[4:5], vcc
	s_cbranch_execz .LBB107_152
; %bb.146:
	buffer_load_dword v97, off, s[20:23], 0 offset:224 ; 4-byte Folded Reload
	buffer_load_dword v98, off, s[20:23], 0 offset:228 ; 4-byte Folded Reload
	buffer_load_dword v99, off, s[20:23], 0 offset:232 ; 4-byte Folded Reload
	buffer_load_dword v100, off, s[20:23], 0 offset:236 ; 4-byte Folded Reload
	s_waitcnt vmcnt(0)
	ds_write2_b64 v127, v[97:98], v[99:100] offset1:1
	buffer_load_dword v97, off, s[20:23], 0 offset:208 ; 4-byte Folded Reload
	buffer_load_dword v98, off, s[20:23], 0 offset:212 ; 4-byte Folded Reload
	buffer_load_dword v99, off, s[20:23], 0 offset:216 ; 4-byte Folded Reload
	buffer_load_dword v100, off, s[20:23], 0 offset:220 ; 4-byte Folded Reload
	s_waitcnt vmcnt(0)
	ds_write2_b64 v125, v[97:98], v[99:100] offset0:34 offset1:35
	buffer_load_dword v97, off, s[20:23], 0 offset:192 ; 4-byte Folded Reload
	buffer_load_dword v98, off, s[20:23], 0 offset:196 ; 4-byte Folded Reload
	buffer_load_dword v99, off, s[20:23], 0 offset:200 ; 4-byte Folded Reload
	buffer_load_dword v100, off, s[20:23], 0 offset:204 ; 4-byte Folded Reload
	s_waitcnt vmcnt(0)
	ds_write2_b64 v125, v[97:98], v[99:100] offset0:36 offset1:37
	;; [unrolled: 6-line block ×13, first 2 shown]
	buffer_load_dword v97, off, s[20:23], 0 ; 4-byte Folded Reload
	buffer_load_dword v98, off, s[20:23], 0 offset:4 ; 4-byte Folded Reload
	buffer_load_dword v99, off, s[20:23], 0 offset:8 ; 4-byte Folded Reload
	;; [unrolled: 1-line block ×3, first 2 shown]
	s_waitcnt vmcnt(0)
	ds_write2_b64 v125, v[97:98], v[99:100] offset0:60 offset1:61
	ds_write2_b64 v125, v[93:94], v[95:96] offset0:62 offset1:63
	;; [unrolled: 1-line block ×24, first 2 shown]
	ds_read2_b64 v[97:100], v127 offset1:1
	s_waitcnt lgkmcnt(0)
	v_cmp_neq_f64_e32 vcc, 0, v[97:98]
	v_cmp_neq_f64_e64 s[2:3], 0, v[99:100]
	s_or_b64 s[2:3], vcc, s[2:3]
	s_and_b64 exec, exec, s[2:3]
	s_cbranch_execz .LBB107_152
; %bb.147:
	v_cmp_ngt_f64_e64 s[2:3], |v[97:98]|, |v[99:100]|
                                        ; implicit-def: $vgpr101_vgpr102
	s_and_saveexec_b64 s[6:7], s[2:3]
	s_xor_b64 s[2:3], exec, s[6:7]
                                        ; implicit-def: $vgpr103_vgpr104
	s_cbranch_execz .LBB107_149
; %bb.148:
	v_div_scale_f64 v[101:102], s[6:7], v[99:100], v[99:100], v[97:98]
	v_rcp_f64_e32 v[103:104], v[101:102]
	v_fma_f64 v[105:106], -v[101:102], v[103:104], 1.0
	v_fma_f64 v[103:104], v[103:104], v[105:106], v[103:104]
	v_div_scale_f64 v[105:106], vcc, v[97:98], v[99:100], v[97:98]
	v_fma_f64 v[107:108], -v[101:102], v[103:104], 1.0
	v_fma_f64 v[103:104], v[103:104], v[107:108], v[103:104]
	v_mul_f64 v[107:108], v[105:106], v[103:104]
	v_fma_f64 v[101:102], -v[101:102], v[107:108], v[105:106]
	v_div_fmas_f64 v[101:102], v[101:102], v[103:104], v[107:108]
	v_div_fixup_f64 v[101:102], v[101:102], v[99:100], v[97:98]
	v_fma_f64 v[97:98], v[97:98], v[101:102], v[99:100]
	v_div_scale_f64 v[99:100], s[6:7], v[97:98], v[97:98], 1.0
	v_div_scale_f64 v[107:108], vcc, 1.0, v[97:98], 1.0
	v_rcp_f64_e32 v[103:104], v[99:100]
	v_fma_f64 v[105:106], -v[99:100], v[103:104], 1.0
	v_fma_f64 v[103:104], v[103:104], v[105:106], v[103:104]
	v_fma_f64 v[105:106], -v[99:100], v[103:104], 1.0
	v_fma_f64 v[103:104], v[103:104], v[105:106], v[103:104]
	v_mul_f64 v[105:106], v[107:108], v[103:104]
	v_fma_f64 v[99:100], -v[99:100], v[105:106], v[107:108]
	v_div_fmas_f64 v[99:100], v[99:100], v[103:104], v[105:106]
	v_div_fixup_f64 v[103:104], v[99:100], v[97:98], 1.0
                                        ; implicit-def: $vgpr97_vgpr98
	v_mul_f64 v[101:102], v[101:102], v[103:104]
	v_xor_b32_e32 v104, 0x80000000, v104
.LBB107_149:
	s_andn2_saveexec_b64 s[2:3], s[2:3]
	s_cbranch_execz .LBB107_151
; %bb.150:
	v_div_scale_f64 v[101:102], s[6:7], v[97:98], v[97:98], v[99:100]
	v_rcp_f64_e32 v[103:104], v[101:102]
	v_fma_f64 v[105:106], -v[101:102], v[103:104], 1.0
	v_fma_f64 v[103:104], v[103:104], v[105:106], v[103:104]
	v_div_scale_f64 v[105:106], vcc, v[99:100], v[97:98], v[99:100]
	v_fma_f64 v[107:108], -v[101:102], v[103:104], 1.0
	v_fma_f64 v[103:104], v[103:104], v[107:108], v[103:104]
	v_mul_f64 v[107:108], v[105:106], v[103:104]
	v_fma_f64 v[101:102], -v[101:102], v[107:108], v[105:106]
	v_div_fmas_f64 v[101:102], v[101:102], v[103:104], v[107:108]
	v_div_fixup_f64 v[103:104], v[101:102], v[97:98], v[99:100]
	v_fma_f64 v[97:98], v[99:100], v[103:104], v[97:98]
	v_div_scale_f64 v[99:100], s[6:7], v[97:98], v[97:98], 1.0
	v_div_scale_f64 v[107:108], vcc, 1.0, v[97:98], 1.0
	v_rcp_f64_e32 v[101:102], v[99:100]
	v_fma_f64 v[105:106], -v[99:100], v[101:102], 1.0
	v_fma_f64 v[101:102], v[101:102], v[105:106], v[101:102]
	v_fma_f64 v[105:106], -v[99:100], v[101:102], 1.0
	v_fma_f64 v[101:102], v[101:102], v[105:106], v[101:102]
	v_mul_f64 v[105:106], v[107:108], v[101:102]
	v_fma_f64 v[99:100], -v[99:100], v[105:106], v[107:108]
	v_div_fmas_f64 v[99:100], v[99:100], v[101:102], v[105:106]
	v_div_fixup_f64 v[101:102], v[99:100], v[97:98], 1.0
	v_mul_f64 v[103:104], v[103:104], -v[101:102]
.LBB107_151:
	s_or_b64 exec, exec, s[2:3]
	ds_write2_b64 v127, v[101:102], v[103:104] offset1:1
.LBB107_152:
	s_or_b64 exec, exec, s[4:5]
	s_waitcnt lgkmcnt(0)
	s_barrier
	ds_read2_b64 v[87:90], v127 offset1:1
	v_cmp_lt_u32_e32 vcc, 16, v0
	s_waitcnt lgkmcnt(0)
	buffer_store_dword v87, off, s[20:23], 0 offset:1176 ; 4-byte Folded Spill
	s_nop 0
	buffer_store_dword v88, off, s[20:23], 0 offset:1180 ; 4-byte Folded Spill
	buffer_store_dword v89, off, s[20:23], 0 offset:1184 ; 4-byte Folded Spill
	;; [unrolled: 1-line block ×3, first 2 shown]
	s_and_saveexec_b64 s[2:3], vcc
	s_cbranch_execz .LBB107_154
; %bb.153:
	buffer_load_dword v107, off, s[20:23], 0 offset:224 ; 4-byte Folded Reload
	buffer_load_dword v108, off, s[20:23], 0 offset:228 ; 4-byte Folded Reload
	;; [unrolled: 1-line block ×8, first 2 shown]
	s_waitcnt vmcnt(2)
	v_mul_f64 v[99:100], v[87:88], v[109:110]
	s_waitcnt vmcnt(0)
	v_mul_f64 v[97:98], v[89:90], v[109:110]
	v_fma_f64 v[109:110], v[89:90], v[107:108], v[99:100]
	ds_read2_b64 v[99:102], v125 offset0:34 offset1:35
	v_fma_f64 v[97:98], v[87:88], v[107:108], -v[97:98]
	buffer_load_dword v105, off, s[20:23], 0 offset:208 ; 4-byte Folded Reload
	buffer_load_dword v106, off, s[20:23], 0 offset:212 ; 4-byte Folded Reload
	buffer_load_dword v107, off, s[20:23], 0 offset:216 ; 4-byte Folded Reload
	buffer_load_dword v108, off, s[20:23], 0 offset:220 ; 4-byte Folded Reload
	s_waitcnt lgkmcnt(0)
	v_mul_f64 v[103:104], v[101:102], v[109:110]
	v_fma_f64 v[103:104], v[99:100], v[97:98], -v[103:104]
	v_mul_f64 v[99:100], v[99:100], v[109:110]
	v_fma_f64 v[99:100], v[101:102], v[97:98], v[99:100]
	s_waitcnt vmcnt(2)
	v_add_f64 v[105:106], v[105:106], -v[103:104]
	s_waitcnt vmcnt(0)
	v_add_f64 v[107:108], v[107:108], -v[99:100]
	buffer_store_dword v105, off, s[20:23], 0 offset:208 ; 4-byte Folded Spill
	s_nop 0
	buffer_store_dword v106, off, s[20:23], 0 offset:212 ; 4-byte Folded Spill
	buffer_store_dword v107, off, s[20:23], 0 offset:216 ; 4-byte Folded Spill
	buffer_store_dword v108, off, s[20:23], 0 offset:220 ; 4-byte Folded Spill
	ds_read2_b64 v[99:102], v125 offset0:36 offset1:37
	buffer_load_dword v105, off, s[20:23], 0 offset:192 ; 4-byte Folded Reload
	buffer_load_dword v106, off, s[20:23], 0 offset:196 ; 4-byte Folded Reload
	buffer_load_dword v107, off, s[20:23], 0 offset:200 ; 4-byte Folded Reload
	buffer_load_dword v108, off, s[20:23], 0 offset:204 ; 4-byte Folded Reload
	s_waitcnt lgkmcnt(0)
	v_mul_f64 v[103:104], v[101:102], v[109:110]
	v_fma_f64 v[103:104], v[99:100], v[97:98], -v[103:104]
	v_mul_f64 v[99:100], v[99:100], v[109:110]
	v_fma_f64 v[99:100], v[101:102], v[97:98], v[99:100]
	s_waitcnt vmcnt(2)
	v_add_f64 v[105:106], v[105:106], -v[103:104]
	s_waitcnt vmcnt(0)
	v_add_f64 v[107:108], v[107:108], -v[99:100]
	buffer_store_dword v105, off, s[20:23], 0 offset:192 ; 4-byte Folded Spill
	s_nop 0
	buffer_store_dword v106, off, s[20:23], 0 offset:196 ; 4-byte Folded Spill
	buffer_store_dword v107, off, s[20:23], 0 offset:200 ; 4-byte Folded Spill
	buffer_store_dword v108, off, s[20:23], 0 offset:204 ; 4-byte Folded Spill
	ds_read2_b64 v[99:102], v125 offset0:38 offset1:39
	;; [unrolled: 19-line block ×13, first 2 shown]
	buffer_load_dword v105, off, s[20:23], 0 ; 4-byte Folded Reload
	buffer_load_dword v106, off, s[20:23], 0 offset:4 ; 4-byte Folded Reload
	buffer_load_dword v107, off, s[20:23], 0 offset:8 ; 4-byte Folded Reload
	;; [unrolled: 1-line block ×3, first 2 shown]
	s_waitcnt lgkmcnt(0)
	v_mul_f64 v[103:104], v[101:102], v[109:110]
	v_fma_f64 v[103:104], v[99:100], v[97:98], -v[103:104]
	v_mul_f64 v[99:100], v[99:100], v[109:110]
	v_fma_f64 v[99:100], v[101:102], v[97:98], v[99:100]
	s_waitcnt vmcnt(2)
	v_add_f64 v[105:106], v[105:106], -v[103:104]
	s_waitcnt vmcnt(0)
	v_add_f64 v[107:108], v[107:108], -v[99:100]
	buffer_store_dword v105, off, s[20:23], 0 ; 4-byte Folded Spill
	s_nop 0
	buffer_store_dword v106, off, s[20:23], 0 offset:4 ; 4-byte Folded Spill
	buffer_store_dword v107, off, s[20:23], 0 offset:8 ; 4-byte Folded Spill
	;; [unrolled: 1-line block ×3, first 2 shown]
	ds_read2_b64 v[99:102], v125 offset0:62 offset1:63
	v_mov_b32_e32 v108, v98
	v_mov_b32_e32 v107, v97
	s_waitcnt lgkmcnt(0)
	v_mul_f64 v[103:104], v[101:102], v[109:110]
	v_fma_f64 v[103:104], v[99:100], v[97:98], -v[103:104]
	v_mul_f64 v[99:100], v[99:100], v[109:110]
	v_add_f64 v[93:94], v[93:94], -v[103:104]
	v_fma_f64 v[99:100], v[101:102], v[97:98], v[99:100]
	v_add_f64 v[95:96], v[95:96], -v[99:100]
	ds_read2_b64 v[99:102], v125 offset0:64 offset1:65
	s_waitcnt lgkmcnt(0)
	v_mul_f64 v[103:104], v[101:102], v[109:110]
	v_fma_f64 v[103:104], v[99:100], v[97:98], -v[103:104]
	v_mul_f64 v[99:100], v[99:100], v[109:110]
	v_add_f64 v[81:82], v[81:82], -v[103:104]
	v_fma_f64 v[99:100], v[101:102], v[97:98], v[99:100]
	v_add_f64 v[83:84], v[83:84], -v[99:100]
	ds_read2_b64 v[99:102], v125 offset0:66 offset1:67
	;; [unrolled: 8-line block ×22, first 2 shown]
	s_waitcnt lgkmcnt(0)
	v_mul_f64 v[103:104], v[101:102], v[109:110]
	v_fma_f64 v[103:104], v[99:100], v[97:98], -v[103:104]
	v_mul_f64 v[99:100], v[99:100], v[109:110]
	buffer_store_dword v107, off, s[20:23], 0 offset:224 ; 4-byte Folded Spill
	s_nop 0
	buffer_store_dword v108, off, s[20:23], 0 offset:228 ; 4-byte Folded Spill
	buffer_store_dword v109, off, s[20:23], 0 offset:232 ; 4-byte Folded Spill
	;; [unrolled: 1-line block ×3, first 2 shown]
	v_add_f64 v[121:122], v[121:122], -v[103:104]
	v_fma_f64 v[99:100], v[101:102], v[97:98], v[99:100]
	v_add_f64 v[123:124], v[123:124], -v[99:100]
.LBB107_154:
	s_or_b64 exec, exec, s[2:3]
	v_cmp_eq_u32_e32 vcc, 17, v0
	s_waitcnt vmcnt(0)
	s_barrier
	s_and_saveexec_b64 s[4:5], vcc
	s_cbranch_execz .LBB107_161
; %bb.155:
	buffer_load_dword v97, off, s[20:23], 0 offset:208 ; 4-byte Folded Reload
	buffer_load_dword v98, off, s[20:23], 0 offset:212 ; 4-byte Folded Reload
	;; [unrolled: 1-line block ×4, first 2 shown]
	s_waitcnt vmcnt(0)
	ds_write2_b64 v127, v[97:98], v[99:100] offset1:1
	buffer_load_dword v97, off, s[20:23], 0 offset:192 ; 4-byte Folded Reload
	buffer_load_dword v98, off, s[20:23], 0 offset:196 ; 4-byte Folded Reload
	buffer_load_dword v99, off, s[20:23], 0 offset:200 ; 4-byte Folded Reload
	buffer_load_dword v100, off, s[20:23], 0 offset:204 ; 4-byte Folded Reload
	s_waitcnt vmcnt(0)
	ds_write2_b64 v125, v[97:98], v[99:100] offset0:36 offset1:37
	buffer_load_dword v97, off, s[20:23], 0 offset:176 ; 4-byte Folded Reload
	buffer_load_dword v98, off, s[20:23], 0 offset:180 ; 4-byte Folded Reload
	buffer_load_dword v99, off, s[20:23], 0 offset:184 ; 4-byte Folded Reload
	buffer_load_dword v100, off, s[20:23], 0 offset:188 ; 4-byte Folded Reload
	s_waitcnt vmcnt(0)
	ds_write2_b64 v125, v[97:98], v[99:100] offset0:38 offset1:39
	;; [unrolled: 6-line block ×12, first 2 shown]
	buffer_load_dword v97, off, s[20:23], 0 ; 4-byte Folded Reload
	buffer_load_dword v98, off, s[20:23], 0 offset:4 ; 4-byte Folded Reload
	buffer_load_dword v99, off, s[20:23], 0 offset:8 ; 4-byte Folded Reload
	;; [unrolled: 1-line block ×3, first 2 shown]
	s_waitcnt vmcnt(0)
	ds_write2_b64 v125, v[97:98], v[99:100] offset0:60 offset1:61
	ds_write2_b64 v125, v[93:94], v[95:96] offset0:62 offset1:63
	;; [unrolled: 1-line block ×24, first 2 shown]
	ds_read2_b64 v[97:100], v127 offset1:1
	s_waitcnt lgkmcnt(0)
	v_cmp_neq_f64_e32 vcc, 0, v[97:98]
	v_cmp_neq_f64_e64 s[2:3], 0, v[99:100]
	s_or_b64 s[2:3], vcc, s[2:3]
	s_and_b64 exec, exec, s[2:3]
	s_cbranch_execz .LBB107_161
; %bb.156:
	v_cmp_ngt_f64_e64 s[2:3], |v[97:98]|, |v[99:100]|
                                        ; implicit-def: $vgpr101_vgpr102
	s_and_saveexec_b64 s[6:7], s[2:3]
	s_xor_b64 s[2:3], exec, s[6:7]
                                        ; implicit-def: $vgpr103_vgpr104
	s_cbranch_execz .LBB107_158
; %bb.157:
	v_div_scale_f64 v[101:102], s[6:7], v[99:100], v[99:100], v[97:98]
	v_rcp_f64_e32 v[103:104], v[101:102]
	v_fma_f64 v[105:106], -v[101:102], v[103:104], 1.0
	v_fma_f64 v[103:104], v[103:104], v[105:106], v[103:104]
	v_div_scale_f64 v[105:106], vcc, v[97:98], v[99:100], v[97:98]
	v_fma_f64 v[107:108], -v[101:102], v[103:104], 1.0
	v_fma_f64 v[103:104], v[103:104], v[107:108], v[103:104]
	v_mul_f64 v[107:108], v[105:106], v[103:104]
	v_fma_f64 v[101:102], -v[101:102], v[107:108], v[105:106]
	v_div_fmas_f64 v[101:102], v[101:102], v[103:104], v[107:108]
	v_div_fixup_f64 v[101:102], v[101:102], v[99:100], v[97:98]
	v_fma_f64 v[97:98], v[97:98], v[101:102], v[99:100]
	v_div_scale_f64 v[99:100], s[6:7], v[97:98], v[97:98], 1.0
	v_div_scale_f64 v[107:108], vcc, 1.0, v[97:98], 1.0
	v_rcp_f64_e32 v[103:104], v[99:100]
	v_fma_f64 v[105:106], -v[99:100], v[103:104], 1.0
	v_fma_f64 v[103:104], v[103:104], v[105:106], v[103:104]
	v_fma_f64 v[105:106], -v[99:100], v[103:104], 1.0
	v_fma_f64 v[103:104], v[103:104], v[105:106], v[103:104]
	v_mul_f64 v[105:106], v[107:108], v[103:104]
	v_fma_f64 v[99:100], -v[99:100], v[105:106], v[107:108]
	v_div_fmas_f64 v[99:100], v[99:100], v[103:104], v[105:106]
	v_div_fixup_f64 v[103:104], v[99:100], v[97:98], 1.0
                                        ; implicit-def: $vgpr97_vgpr98
	v_mul_f64 v[101:102], v[101:102], v[103:104]
	v_xor_b32_e32 v104, 0x80000000, v104
.LBB107_158:
	s_andn2_saveexec_b64 s[2:3], s[2:3]
	s_cbranch_execz .LBB107_160
; %bb.159:
	v_div_scale_f64 v[101:102], s[6:7], v[97:98], v[97:98], v[99:100]
	v_rcp_f64_e32 v[103:104], v[101:102]
	v_fma_f64 v[105:106], -v[101:102], v[103:104], 1.0
	v_fma_f64 v[103:104], v[103:104], v[105:106], v[103:104]
	v_div_scale_f64 v[105:106], vcc, v[99:100], v[97:98], v[99:100]
	v_fma_f64 v[107:108], -v[101:102], v[103:104], 1.0
	v_fma_f64 v[103:104], v[103:104], v[107:108], v[103:104]
	v_mul_f64 v[107:108], v[105:106], v[103:104]
	v_fma_f64 v[101:102], -v[101:102], v[107:108], v[105:106]
	v_div_fmas_f64 v[101:102], v[101:102], v[103:104], v[107:108]
	v_div_fixup_f64 v[103:104], v[101:102], v[97:98], v[99:100]
	v_fma_f64 v[97:98], v[99:100], v[103:104], v[97:98]
	v_div_scale_f64 v[99:100], s[6:7], v[97:98], v[97:98], 1.0
	v_div_scale_f64 v[107:108], vcc, 1.0, v[97:98], 1.0
	v_rcp_f64_e32 v[101:102], v[99:100]
	v_fma_f64 v[105:106], -v[99:100], v[101:102], 1.0
	v_fma_f64 v[101:102], v[101:102], v[105:106], v[101:102]
	v_fma_f64 v[105:106], -v[99:100], v[101:102], 1.0
	v_fma_f64 v[101:102], v[101:102], v[105:106], v[101:102]
	v_mul_f64 v[105:106], v[107:108], v[101:102]
	v_fma_f64 v[99:100], -v[99:100], v[105:106], v[107:108]
	v_div_fmas_f64 v[99:100], v[99:100], v[101:102], v[105:106]
	v_div_fixup_f64 v[101:102], v[99:100], v[97:98], 1.0
	v_mul_f64 v[103:104], v[103:104], -v[101:102]
.LBB107_160:
	s_or_b64 exec, exec, s[2:3]
	ds_write2_b64 v127, v[101:102], v[103:104] offset1:1
.LBB107_161:
	s_or_b64 exec, exec, s[4:5]
	s_waitcnt lgkmcnt(0)
	s_barrier
	ds_read2_b64 v[87:90], v127 offset1:1
	v_cmp_lt_u32_e32 vcc, 17, v0
	s_waitcnt lgkmcnt(0)
	buffer_store_dword v87, off, s[20:23], 0 offset:1192 ; 4-byte Folded Spill
	s_nop 0
	buffer_store_dword v88, off, s[20:23], 0 offset:1196 ; 4-byte Folded Spill
	buffer_store_dword v89, off, s[20:23], 0 offset:1200 ; 4-byte Folded Spill
	;; [unrolled: 1-line block ×3, first 2 shown]
	s_and_saveexec_b64 s[2:3], vcc
	s_cbranch_execz .LBB107_163
; %bb.162:
	buffer_load_dword v107, off, s[20:23], 0 offset:208 ; 4-byte Folded Reload
	buffer_load_dword v108, off, s[20:23], 0 offset:212 ; 4-byte Folded Reload
	;; [unrolled: 1-line block ×8, first 2 shown]
	s_waitcnt vmcnt(2)
	v_mul_f64 v[99:100], v[87:88], v[109:110]
	s_waitcnt vmcnt(0)
	v_mul_f64 v[97:98], v[89:90], v[109:110]
	v_fma_f64 v[109:110], v[89:90], v[107:108], v[99:100]
	ds_read2_b64 v[99:102], v125 offset0:36 offset1:37
	v_fma_f64 v[97:98], v[87:88], v[107:108], -v[97:98]
	buffer_load_dword v105, off, s[20:23], 0 offset:192 ; 4-byte Folded Reload
	buffer_load_dword v106, off, s[20:23], 0 offset:196 ; 4-byte Folded Reload
	buffer_load_dword v107, off, s[20:23], 0 offset:200 ; 4-byte Folded Reload
	buffer_load_dword v108, off, s[20:23], 0 offset:204 ; 4-byte Folded Reload
	s_waitcnt lgkmcnt(0)
	v_mul_f64 v[103:104], v[101:102], v[109:110]
	v_fma_f64 v[103:104], v[99:100], v[97:98], -v[103:104]
	v_mul_f64 v[99:100], v[99:100], v[109:110]
	v_fma_f64 v[99:100], v[101:102], v[97:98], v[99:100]
	s_waitcnt vmcnt(2)
	v_add_f64 v[105:106], v[105:106], -v[103:104]
	s_waitcnt vmcnt(0)
	v_add_f64 v[107:108], v[107:108], -v[99:100]
	buffer_store_dword v105, off, s[20:23], 0 offset:192 ; 4-byte Folded Spill
	s_nop 0
	buffer_store_dword v106, off, s[20:23], 0 offset:196 ; 4-byte Folded Spill
	buffer_store_dword v107, off, s[20:23], 0 offset:200 ; 4-byte Folded Spill
	buffer_store_dword v108, off, s[20:23], 0 offset:204 ; 4-byte Folded Spill
	ds_read2_b64 v[99:102], v125 offset0:38 offset1:39
	buffer_load_dword v105, off, s[20:23], 0 offset:176 ; 4-byte Folded Reload
	buffer_load_dword v106, off, s[20:23], 0 offset:180 ; 4-byte Folded Reload
	buffer_load_dword v107, off, s[20:23], 0 offset:184 ; 4-byte Folded Reload
	buffer_load_dword v108, off, s[20:23], 0 offset:188 ; 4-byte Folded Reload
	s_waitcnt lgkmcnt(0)
	v_mul_f64 v[103:104], v[101:102], v[109:110]
	v_fma_f64 v[103:104], v[99:100], v[97:98], -v[103:104]
	v_mul_f64 v[99:100], v[99:100], v[109:110]
	v_fma_f64 v[99:100], v[101:102], v[97:98], v[99:100]
	s_waitcnt vmcnt(2)
	v_add_f64 v[105:106], v[105:106], -v[103:104]
	s_waitcnt vmcnt(0)
	v_add_f64 v[107:108], v[107:108], -v[99:100]
	buffer_store_dword v105, off, s[20:23], 0 offset:176 ; 4-byte Folded Spill
	s_nop 0
	buffer_store_dword v106, off, s[20:23], 0 offset:180 ; 4-byte Folded Spill
	buffer_store_dword v107, off, s[20:23], 0 offset:184 ; 4-byte Folded Spill
	buffer_store_dword v108, off, s[20:23], 0 offset:188 ; 4-byte Folded Spill
	ds_read2_b64 v[99:102], v125 offset0:40 offset1:41
	buffer_load_dword v105, off, s[20:23], 0 offset:160 ; 4-byte Folded Reload
	buffer_load_dword v106, off, s[20:23], 0 offset:164 ; 4-byte Folded Reload
	buffer_load_dword v107, off, s[20:23], 0 offset:168 ; 4-byte Folded Reload
	buffer_load_dword v108, off, s[20:23], 0 offset:172 ; 4-byte Folded Reload
	s_waitcnt lgkmcnt(0)
	v_mul_f64 v[103:104], v[101:102], v[109:110]
	v_fma_f64 v[103:104], v[99:100], v[97:98], -v[103:104]
	v_mul_f64 v[99:100], v[99:100], v[109:110]
	v_fma_f64 v[99:100], v[101:102], v[97:98], v[99:100]
	s_waitcnt vmcnt(2)
	v_add_f64 v[105:106], v[105:106], -v[103:104]
	s_waitcnt vmcnt(0)
	v_add_f64 v[107:108], v[107:108], -v[99:100]
	buffer_store_dword v105, off, s[20:23], 0 offset:160 ; 4-byte Folded Spill
	s_nop 0
	buffer_store_dword v106, off, s[20:23], 0 offset:164 ; 4-byte Folded Spill
	buffer_store_dword v107, off, s[20:23], 0 offset:168 ; 4-byte Folded Spill
	buffer_store_dword v108, off, s[20:23], 0 offset:172 ; 4-byte Folded Spill
	ds_read2_b64 v[99:102], v125 offset0:42 offset1:43
	buffer_load_dword v105, off, s[20:23], 0 offset:144 ; 4-byte Folded Reload
	buffer_load_dword v106, off, s[20:23], 0 offset:148 ; 4-byte Folded Reload
	buffer_load_dword v107, off, s[20:23], 0 offset:152 ; 4-byte Folded Reload
	buffer_load_dword v108, off, s[20:23], 0 offset:156 ; 4-byte Folded Reload
	s_waitcnt lgkmcnt(0)
	v_mul_f64 v[103:104], v[101:102], v[109:110]
	v_fma_f64 v[103:104], v[99:100], v[97:98], -v[103:104]
	v_mul_f64 v[99:100], v[99:100], v[109:110]
	v_fma_f64 v[99:100], v[101:102], v[97:98], v[99:100]
	s_waitcnt vmcnt(2)
	v_add_f64 v[105:106], v[105:106], -v[103:104]
	s_waitcnt vmcnt(0)
	v_add_f64 v[107:108], v[107:108], -v[99:100]
	buffer_store_dword v105, off, s[20:23], 0 offset:144 ; 4-byte Folded Spill
	s_nop 0
	buffer_store_dword v106, off, s[20:23], 0 offset:148 ; 4-byte Folded Spill
	buffer_store_dword v107, off, s[20:23], 0 offset:152 ; 4-byte Folded Spill
	buffer_store_dword v108, off, s[20:23], 0 offset:156 ; 4-byte Folded Spill
	ds_read2_b64 v[99:102], v125 offset0:44 offset1:45
	buffer_load_dword v105, off, s[20:23], 0 offset:128 ; 4-byte Folded Reload
	buffer_load_dword v106, off, s[20:23], 0 offset:132 ; 4-byte Folded Reload
	buffer_load_dword v107, off, s[20:23], 0 offset:136 ; 4-byte Folded Reload
	buffer_load_dword v108, off, s[20:23], 0 offset:140 ; 4-byte Folded Reload
	s_waitcnt lgkmcnt(0)
	v_mul_f64 v[103:104], v[101:102], v[109:110]
	v_fma_f64 v[103:104], v[99:100], v[97:98], -v[103:104]
	v_mul_f64 v[99:100], v[99:100], v[109:110]
	v_fma_f64 v[99:100], v[101:102], v[97:98], v[99:100]
	s_waitcnt vmcnt(2)
	v_add_f64 v[105:106], v[105:106], -v[103:104]
	s_waitcnt vmcnt(0)
	v_add_f64 v[107:108], v[107:108], -v[99:100]
	buffer_store_dword v105, off, s[20:23], 0 offset:128 ; 4-byte Folded Spill
	s_nop 0
	buffer_store_dword v106, off, s[20:23], 0 offset:132 ; 4-byte Folded Spill
	buffer_store_dword v107, off, s[20:23], 0 offset:136 ; 4-byte Folded Spill
	buffer_store_dword v108, off, s[20:23], 0 offset:140 ; 4-byte Folded Spill
	ds_read2_b64 v[99:102], v125 offset0:46 offset1:47
	buffer_load_dword v105, off, s[20:23], 0 offset:112 ; 4-byte Folded Reload
	buffer_load_dword v106, off, s[20:23], 0 offset:116 ; 4-byte Folded Reload
	buffer_load_dword v107, off, s[20:23], 0 offset:120 ; 4-byte Folded Reload
	buffer_load_dword v108, off, s[20:23], 0 offset:124 ; 4-byte Folded Reload
	s_waitcnt lgkmcnt(0)
	v_mul_f64 v[103:104], v[101:102], v[109:110]
	v_fma_f64 v[103:104], v[99:100], v[97:98], -v[103:104]
	v_mul_f64 v[99:100], v[99:100], v[109:110]
	v_fma_f64 v[99:100], v[101:102], v[97:98], v[99:100]
	s_waitcnt vmcnt(2)
	v_add_f64 v[105:106], v[105:106], -v[103:104]
	s_waitcnt vmcnt(0)
	v_add_f64 v[107:108], v[107:108], -v[99:100]
	buffer_store_dword v105, off, s[20:23], 0 offset:112 ; 4-byte Folded Spill
	s_nop 0
	buffer_store_dword v106, off, s[20:23], 0 offset:116 ; 4-byte Folded Spill
	buffer_store_dword v107, off, s[20:23], 0 offset:120 ; 4-byte Folded Spill
	buffer_store_dword v108, off, s[20:23], 0 offset:124 ; 4-byte Folded Spill
	ds_read2_b64 v[99:102], v125 offset0:48 offset1:49
	buffer_load_dword v105, off, s[20:23], 0 offset:96 ; 4-byte Folded Reload
	buffer_load_dword v106, off, s[20:23], 0 offset:100 ; 4-byte Folded Reload
	buffer_load_dword v107, off, s[20:23], 0 offset:104 ; 4-byte Folded Reload
	buffer_load_dword v108, off, s[20:23], 0 offset:108 ; 4-byte Folded Reload
	s_waitcnt lgkmcnt(0)
	v_mul_f64 v[103:104], v[101:102], v[109:110]
	v_fma_f64 v[103:104], v[99:100], v[97:98], -v[103:104]
	v_mul_f64 v[99:100], v[99:100], v[109:110]
	v_fma_f64 v[99:100], v[101:102], v[97:98], v[99:100]
	s_waitcnt vmcnt(2)
	v_add_f64 v[105:106], v[105:106], -v[103:104]
	s_waitcnt vmcnt(0)
	v_add_f64 v[107:108], v[107:108], -v[99:100]
	buffer_store_dword v105, off, s[20:23], 0 offset:96 ; 4-byte Folded Spill
	s_nop 0
	buffer_store_dword v106, off, s[20:23], 0 offset:100 ; 4-byte Folded Spill
	buffer_store_dword v107, off, s[20:23], 0 offset:104 ; 4-byte Folded Spill
	buffer_store_dword v108, off, s[20:23], 0 offset:108 ; 4-byte Folded Spill
	ds_read2_b64 v[99:102], v125 offset0:50 offset1:51
	buffer_load_dword v105, off, s[20:23], 0 offset:80 ; 4-byte Folded Reload
	buffer_load_dword v106, off, s[20:23], 0 offset:84 ; 4-byte Folded Reload
	buffer_load_dword v107, off, s[20:23], 0 offset:88 ; 4-byte Folded Reload
	buffer_load_dword v108, off, s[20:23], 0 offset:92 ; 4-byte Folded Reload
	s_waitcnt lgkmcnt(0)
	v_mul_f64 v[103:104], v[101:102], v[109:110]
	v_fma_f64 v[103:104], v[99:100], v[97:98], -v[103:104]
	v_mul_f64 v[99:100], v[99:100], v[109:110]
	v_fma_f64 v[99:100], v[101:102], v[97:98], v[99:100]
	s_waitcnt vmcnt(2)
	v_add_f64 v[105:106], v[105:106], -v[103:104]
	s_waitcnt vmcnt(0)
	v_add_f64 v[107:108], v[107:108], -v[99:100]
	buffer_store_dword v105, off, s[20:23], 0 offset:80 ; 4-byte Folded Spill
	s_nop 0
	buffer_store_dword v106, off, s[20:23], 0 offset:84 ; 4-byte Folded Spill
	buffer_store_dword v107, off, s[20:23], 0 offset:88 ; 4-byte Folded Spill
	buffer_store_dword v108, off, s[20:23], 0 offset:92 ; 4-byte Folded Spill
	ds_read2_b64 v[99:102], v125 offset0:52 offset1:53
	buffer_load_dword v105, off, s[20:23], 0 offset:64 ; 4-byte Folded Reload
	buffer_load_dword v106, off, s[20:23], 0 offset:68 ; 4-byte Folded Reload
	buffer_load_dword v107, off, s[20:23], 0 offset:72 ; 4-byte Folded Reload
	buffer_load_dword v108, off, s[20:23], 0 offset:76 ; 4-byte Folded Reload
	s_waitcnt lgkmcnt(0)
	v_mul_f64 v[103:104], v[101:102], v[109:110]
	v_fma_f64 v[103:104], v[99:100], v[97:98], -v[103:104]
	v_mul_f64 v[99:100], v[99:100], v[109:110]
	v_fma_f64 v[99:100], v[101:102], v[97:98], v[99:100]
	s_waitcnt vmcnt(2)
	v_add_f64 v[105:106], v[105:106], -v[103:104]
	s_waitcnt vmcnt(0)
	v_add_f64 v[107:108], v[107:108], -v[99:100]
	buffer_store_dword v105, off, s[20:23], 0 offset:64 ; 4-byte Folded Spill
	s_nop 0
	buffer_store_dword v106, off, s[20:23], 0 offset:68 ; 4-byte Folded Spill
	buffer_store_dword v107, off, s[20:23], 0 offset:72 ; 4-byte Folded Spill
	buffer_store_dword v108, off, s[20:23], 0 offset:76 ; 4-byte Folded Spill
	ds_read2_b64 v[99:102], v125 offset0:54 offset1:55
	buffer_load_dword v105, off, s[20:23], 0 offset:48 ; 4-byte Folded Reload
	buffer_load_dword v106, off, s[20:23], 0 offset:52 ; 4-byte Folded Reload
	buffer_load_dword v107, off, s[20:23], 0 offset:56 ; 4-byte Folded Reload
	buffer_load_dword v108, off, s[20:23], 0 offset:60 ; 4-byte Folded Reload
	s_waitcnt lgkmcnt(0)
	v_mul_f64 v[103:104], v[101:102], v[109:110]
	v_fma_f64 v[103:104], v[99:100], v[97:98], -v[103:104]
	v_mul_f64 v[99:100], v[99:100], v[109:110]
	v_fma_f64 v[99:100], v[101:102], v[97:98], v[99:100]
	s_waitcnt vmcnt(2)
	v_add_f64 v[105:106], v[105:106], -v[103:104]
	s_waitcnt vmcnt(0)
	v_add_f64 v[107:108], v[107:108], -v[99:100]
	buffer_store_dword v105, off, s[20:23], 0 offset:48 ; 4-byte Folded Spill
	s_nop 0
	buffer_store_dword v106, off, s[20:23], 0 offset:52 ; 4-byte Folded Spill
	buffer_store_dword v107, off, s[20:23], 0 offset:56 ; 4-byte Folded Spill
	buffer_store_dword v108, off, s[20:23], 0 offset:60 ; 4-byte Folded Spill
	ds_read2_b64 v[99:102], v125 offset0:56 offset1:57
	buffer_load_dword v105, off, s[20:23], 0 offset:32 ; 4-byte Folded Reload
	buffer_load_dword v106, off, s[20:23], 0 offset:36 ; 4-byte Folded Reload
	buffer_load_dword v107, off, s[20:23], 0 offset:40 ; 4-byte Folded Reload
	buffer_load_dword v108, off, s[20:23], 0 offset:44 ; 4-byte Folded Reload
	s_waitcnt lgkmcnt(0)
	v_mul_f64 v[103:104], v[101:102], v[109:110]
	v_fma_f64 v[103:104], v[99:100], v[97:98], -v[103:104]
	v_mul_f64 v[99:100], v[99:100], v[109:110]
	v_fma_f64 v[99:100], v[101:102], v[97:98], v[99:100]
	s_waitcnt vmcnt(2)
	v_add_f64 v[105:106], v[105:106], -v[103:104]
	s_waitcnt vmcnt(0)
	v_add_f64 v[107:108], v[107:108], -v[99:100]
	buffer_store_dword v105, off, s[20:23], 0 offset:32 ; 4-byte Folded Spill
	s_nop 0
	buffer_store_dword v106, off, s[20:23], 0 offset:36 ; 4-byte Folded Spill
	buffer_store_dword v107, off, s[20:23], 0 offset:40 ; 4-byte Folded Spill
	buffer_store_dword v108, off, s[20:23], 0 offset:44 ; 4-byte Folded Spill
	ds_read2_b64 v[99:102], v125 offset0:58 offset1:59
	buffer_load_dword v105, off, s[20:23], 0 offset:16 ; 4-byte Folded Reload
	buffer_load_dword v106, off, s[20:23], 0 offset:20 ; 4-byte Folded Reload
	buffer_load_dword v107, off, s[20:23], 0 offset:24 ; 4-byte Folded Reload
	buffer_load_dword v108, off, s[20:23], 0 offset:28 ; 4-byte Folded Reload
	s_waitcnt lgkmcnt(0)
	v_mul_f64 v[103:104], v[101:102], v[109:110]
	v_fma_f64 v[103:104], v[99:100], v[97:98], -v[103:104]
	v_mul_f64 v[99:100], v[99:100], v[109:110]
	v_fma_f64 v[99:100], v[101:102], v[97:98], v[99:100]
	s_waitcnt vmcnt(2)
	v_add_f64 v[105:106], v[105:106], -v[103:104]
	s_waitcnt vmcnt(0)
	v_add_f64 v[107:108], v[107:108], -v[99:100]
	buffer_store_dword v105, off, s[20:23], 0 offset:16 ; 4-byte Folded Spill
	s_nop 0
	buffer_store_dword v106, off, s[20:23], 0 offset:20 ; 4-byte Folded Spill
	buffer_store_dword v107, off, s[20:23], 0 offset:24 ; 4-byte Folded Spill
	buffer_store_dword v108, off, s[20:23], 0 offset:28 ; 4-byte Folded Spill
	ds_read2_b64 v[99:102], v125 offset0:60 offset1:61
	buffer_load_dword v105, off, s[20:23], 0 ; 4-byte Folded Reload
	buffer_load_dword v106, off, s[20:23], 0 offset:4 ; 4-byte Folded Reload
	buffer_load_dword v107, off, s[20:23], 0 offset:8 ; 4-byte Folded Reload
	;; [unrolled: 1-line block ×3, first 2 shown]
	s_waitcnt lgkmcnt(0)
	v_mul_f64 v[103:104], v[101:102], v[109:110]
	v_fma_f64 v[103:104], v[99:100], v[97:98], -v[103:104]
	v_mul_f64 v[99:100], v[99:100], v[109:110]
	v_fma_f64 v[99:100], v[101:102], v[97:98], v[99:100]
	s_waitcnt vmcnt(2)
	v_add_f64 v[105:106], v[105:106], -v[103:104]
	s_waitcnt vmcnt(0)
	v_add_f64 v[107:108], v[107:108], -v[99:100]
	buffer_store_dword v105, off, s[20:23], 0 ; 4-byte Folded Spill
	s_nop 0
	buffer_store_dword v106, off, s[20:23], 0 offset:4 ; 4-byte Folded Spill
	buffer_store_dword v107, off, s[20:23], 0 offset:8 ; 4-byte Folded Spill
	;; [unrolled: 1-line block ×3, first 2 shown]
	ds_read2_b64 v[99:102], v125 offset0:62 offset1:63
	v_mov_b32_e32 v108, v98
	v_mov_b32_e32 v107, v97
	s_waitcnt lgkmcnt(0)
	v_mul_f64 v[103:104], v[101:102], v[109:110]
	v_fma_f64 v[103:104], v[99:100], v[97:98], -v[103:104]
	v_mul_f64 v[99:100], v[99:100], v[109:110]
	v_add_f64 v[93:94], v[93:94], -v[103:104]
	v_fma_f64 v[99:100], v[101:102], v[97:98], v[99:100]
	v_add_f64 v[95:96], v[95:96], -v[99:100]
	ds_read2_b64 v[99:102], v125 offset0:64 offset1:65
	s_waitcnt lgkmcnt(0)
	v_mul_f64 v[103:104], v[101:102], v[109:110]
	v_fma_f64 v[103:104], v[99:100], v[97:98], -v[103:104]
	v_mul_f64 v[99:100], v[99:100], v[109:110]
	v_add_f64 v[81:82], v[81:82], -v[103:104]
	v_fma_f64 v[99:100], v[101:102], v[97:98], v[99:100]
	v_add_f64 v[83:84], v[83:84], -v[99:100]
	ds_read2_b64 v[99:102], v125 offset0:66 offset1:67
	;; [unrolled: 8-line block ×22, first 2 shown]
	s_waitcnt lgkmcnt(0)
	v_mul_f64 v[103:104], v[101:102], v[109:110]
	v_fma_f64 v[103:104], v[99:100], v[97:98], -v[103:104]
	v_mul_f64 v[99:100], v[99:100], v[109:110]
	buffer_store_dword v107, off, s[20:23], 0 offset:208 ; 4-byte Folded Spill
	s_nop 0
	buffer_store_dword v108, off, s[20:23], 0 offset:212 ; 4-byte Folded Spill
	buffer_store_dword v109, off, s[20:23], 0 offset:216 ; 4-byte Folded Spill
	;; [unrolled: 1-line block ×3, first 2 shown]
	v_add_f64 v[121:122], v[121:122], -v[103:104]
	v_fma_f64 v[99:100], v[101:102], v[97:98], v[99:100]
	v_add_f64 v[123:124], v[123:124], -v[99:100]
.LBB107_163:
	s_or_b64 exec, exec, s[2:3]
	v_cmp_eq_u32_e32 vcc, 18, v0
	s_waitcnt vmcnt(0)
	s_barrier
	s_and_saveexec_b64 s[4:5], vcc
	s_cbranch_execz .LBB107_170
; %bb.164:
	buffer_load_dword v97, off, s[20:23], 0 offset:192 ; 4-byte Folded Reload
	buffer_load_dword v98, off, s[20:23], 0 offset:196 ; 4-byte Folded Reload
	;; [unrolled: 1-line block ×4, first 2 shown]
	s_waitcnt vmcnt(0)
	ds_write2_b64 v127, v[97:98], v[99:100] offset1:1
	buffer_load_dword v97, off, s[20:23], 0 offset:176 ; 4-byte Folded Reload
	buffer_load_dword v98, off, s[20:23], 0 offset:180 ; 4-byte Folded Reload
	buffer_load_dword v99, off, s[20:23], 0 offset:184 ; 4-byte Folded Reload
	buffer_load_dword v100, off, s[20:23], 0 offset:188 ; 4-byte Folded Reload
	s_waitcnt vmcnt(0)
	ds_write2_b64 v125, v[97:98], v[99:100] offset0:38 offset1:39
	buffer_load_dword v97, off, s[20:23], 0 offset:160 ; 4-byte Folded Reload
	buffer_load_dword v98, off, s[20:23], 0 offset:164 ; 4-byte Folded Reload
	buffer_load_dword v99, off, s[20:23], 0 offset:168 ; 4-byte Folded Reload
	buffer_load_dword v100, off, s[20:23], 0 offset:172 ; 4-byte Folded Reload
	s_waitcnt vmcnt(0)
	ds_write2_b64 v125, v[97:98], v[99:100] offset0:40 offset1:41
	;; [unrolled: 6-line block ×11, first 2 shown]
	buffer_load_dword v97, off, s[20:23], 0 ; 4-byte Folded Reload
	buffer_load_dword v98, off, s[20:23], 0 offset:4 ; 4-byte Folded Reload
	buffer_load_dword v99, off, s[20:23], 0 offset:8 ; 4-byte Folded Reload
	;; [unrolled: 1-line block ×3, first 2 shown]
	s_waitcnt vmcnt(0)
	ds_write2_b64 v125, v[97:98], v[99:100] offset0:60 offset1:61
	ds_write2_b64 v125, v[93:94], v[95:96] offset0:62 offset1:63
	ds_write2_b64 v125, v[81:82], v[83:84] offset0:64 offset1:65
	ds_write2_b64 v125, v[77:78], v[79:80] offset0:66 offset1:67
	ds_write2_b64 v125, v[73:74], v[75:76] offset0:68 offset1:69
	ds_write2_b64 v125, v[69:70], v[71:72] offset0:70 offset1:71
	ds_write2_b64 v125, v[65:66], v[67:68] offset0:72 offset1:73
	ds_write2_b64 v125, v[61:62], v[63:64] offset0:74 offset1:75
	ds_write2_b64 v125, v[57:58], v[59:60] offset0:76 offset1:77
	ds_write2_b64 v125, v[53:54], v[55:56] offset0:78 offset1:79
	ds_write2_b64 v125, v[49:50], v[51:52] offset0:80 offset1:81
	ds_write2_b64 v125, v[45:46], v[47:48] offset0:82 offset1:83
	ds_write2_b64 v125, v[41:42], v[43:44] offset0:84 offset1:85
	ds_write2_b64 v125, v[37:38], v[39:40] offset0:86 offset1:87
	ds_write2_b64 v125, v[33:34], v[35:36] offset0:88 offset1:89
	ds_write2_b64 v125, v[29:30], v[31:32] offset0:90 offset1:91
	ds_write2_b64 v125, v[25:26], v[27:28] offset0:92 offset1:93
	ds_write2_b64 v125, v[21:22], v[23:24] offset0:94 offset1:95
	ds_write2_b64 v125, v[17:18], v[19:20] offset0:96 offset1:97
	ds_write2_b64 v125, v[13:14], v[15:16] offset0:98 offset1:99
	ds_write2_b64 v125, v[9:10], v[11:12] offset0:100 offset1:101
	ds_write2_b64 v125, v[5:6], v[7:8] offset0:102 offset1:103
	ds_write2_b64 v125, v[1:2], v[3:4] offset0:104 offset1:105
	ds_write2_b64 v125, v[121:122], v[123:124] offset0:106 offset1:107
	ds_read2_b64 v[97:100], v127 offset1:1
	s_waitcnt lgkmcnt(0)
	v_cmp_neq_f64_e32 vcc, 0, v[97:98]
	v_cmp_neq_f64_e64 s[2:3], 0, v[99:100]
	s_or_b64 s[2:3], vcc, s[2:3]
	s_and_b64 exec, exec, s[2:3]
	s_cbranch_execz .LBB107_170
; %bb.165:
	v_cmp_ngt_f64_e64 s[2:3], |v[97:98]|, |v[99:100]|
                                        ; implicit-def: $vgpr101_vgpr102
	s_and_saveexec_b64 s[6:7], s[2:3]
	s_xor_b64 s[2:3], exec, s[6:7]
                                        ; implicit-def: $vgpr103_vgpr104
	s_cbranch_execz .LBB107_167
; %bb.166:
	v_div_scale_f64 v[101:102], s[6:7], v[99:100], v[99:100], v[97:98]
	v_rcp_f64_e32 v[103:104], v[101:102]
	v_fma_f64 v[105:106], -v[101:102], v[103:104], 1.0
	v_fma_f64 v[103:104], v[103:104], v[105:106], v[103:104]
	v_div_scale_f64 v[105:106], vcc, v[97:98], v[99:100], v[97:98]
	v_fma_f64 v[107:108], -v[101:102], v[103:104], 1.0
	v_fma_f64 v[103:104], v[103:104], v[107:108], v[103:104]
	v_mul_f64 v[107:108], v[105:106], v[103:104]
	v_fma_f64 v[101:102], -v[101:102], v[107:108], v[105:106]
	v_div_fmas_f64 v[101:102], v[101:102], v[103:104], v[107:108]
	v_div_fixup_f64 v[101:102], v[101:102], v[99:100], v[97:98]
	v_fma_f64 v[97:98], v[97:98], v[101:102], v[99:100]
	v_div_scale_f64 v[99:100], s[6:7], v[97:98], v[97:98], 1.0
	v_div_scale_f64 v[107:108], vcc, 1.0, v[97:98], 1.0
	v_rcp_f64_e32 v[103:104], v[99:100]
	v_fma_f64 v[105:106], -v[99:100], v[103:104], 1.0
	v_fma_f64 v[103:104], v[103:104], v[105:106], v[103:104]
	v_fma_f64 v[105:106], -v[99:100], v[103:104], 1.0
	v_fma_f64 v[103:104], v[103:104], v[105:106], v[103:104]
	v_mul_f64 v[105:106], v[107:108], v[103:104]
	v_fma_f64 v[99:100], -v[99:100], v[105:106], v[107:108]
	v_div_fmas_f64 v[99:100], v[99:100], v[103:104], v[105:106]
	v_div_fixup_f64 v[103:104], v[99:100], v[97:98], 1.0
                                        ; implicit-def: $vgpr97_vgpr98
	v_mul_f64 v[101:102], v[101:102], v[103:104]
	v_xor_b32_e32 v104, 0x80000000, v104
.LBB107_167:
	s_andn2_saveexec_b64 s[2:3], s[2:3]
	s_cbranch_execz .LBB107_169
; %bb.168:
	v_div_scale_f64 v[101:102], s[6:7], v[97:98], v[97:98], v[99:100]
	v_rcp_f64_e32 v[103:104], v[101:102]
	v_fma_f64 v[105:106], -v[101:102], v[103:104], 1.0
	v_fma_f64 v[103:104], v[103:104], v[105:106], v[103:104]
	v_div_scale_f64 v[105:106], vcc, v[99:100], v[97:98], v[99:100]
	v_fma_f64 v[107:108], -v[101:102], v[103:104], 1.0
	v_fma_f64 v[103:104], v[103:104], v[107:108], v[103:104]
	v_mul_f64 v[107:108], v[105:106], v[103:104]
	v_fma_f64 v[101:102], -v[101:102], v[107:108], v[105:106]
	v_div_fmas_f64 v[101:102], v[101:102], v[103:104], v[107:108]
	v_div_fixup_f64 v[103:104], v[101:102], v[97:98], v[99:100]
	v_fma_f64 v[97:98], v[99:100], v[103:104], v[97:98]
	v_div_scale_f64 v[99:100], s[6:7], v[97:98], v[97:98], 1.0
	v_div_scale_f64 v[107:108], vcc, 1.0, v[97:98], 1.0
	v_rcp_f64_e32 v[101:102], v[99:100]
	v_fma_f64 v[105:106], -v[99:100], v[101:102], 1.0
	v_fma_f64 v[101:102], v[101:102], v[105:106], v[101:102]
	v_fma_f64 v[105:106], -v[99:100], v[101:102], 1.0
	v_fma_f64 v[101:102], v[101:102], v[105:106], v[101:102]
	v_mul_f64 v[105:106], v[107:108], v[101:102]
	v_fma_f64 v[99:100], -v[99:100], v[105:106], v[107:108]
	v_div_fmas_f64 v[99:100], v[99:100], v[101:102], v[105:106]
	v_div_fixup_f64 v[101:102], v[99:100], v[97:98], 1.0
	v_mul_f64 v[103:104], v[103:104], -v[101:102]
.LBB107_169:
	s_or_b64 exec, exec, s[2:3]
	ds_write2_b64 v127, v[101:102], v[103:104] offset1:1
.LBB107_170:
	s_or_b64 exec, exec, s[4:5]
	s_waitcnt lgkmcnt(0)
	s_barrier
	ds_read2_b64 v[87:90], v127 offset1:1
	v_cmp_lt_u32_e32 vcc, 18, v0
	s_waitcnt lgkmcnt(0)
	buffer_store_dword v87, off, s[20:23], 0 offset:1208 ; 4-byte Folded Spill
	s_nop 0
	buffer_store_dword v88, off, s[20:23], 0 offset:1212 ; 4-byte Folded Spill
	buffer_store_dword v89, off, s[20:23], 0 offset:1216 ; 4-byte Folded Spill
	buffer_store_dword v90, off, s[20:23], 0 offset:1220 ; 4-byte Folded Spill
	s_and_saveexec_b64 s[2:3], vcc
	s_cbranch_execz .LBB107_172
; %bb.171:
	buffer_load_dword v107, off, s[20:23], 0 offset:192 ; 4-byte Folded Reload
	buffer_load_dword v108, off, s[20:23], 0 offset:196 ; 4-byte Folded Reload
	;; [unrolled: 1-line block ×8, first 2 shown]
	s_waitcnt vmcnt(2)
	v_mul_f64 v[99:100], v[87:88], v[109:110]
	s_waitcnt vmcnt(0)
	v_mul_f64 v[97:98], v[89:90], v[109:110]
	v_fma_f64 v[109:110], v[89:90], v[107:108], v[99:100]
	ds_read2_b64 v[99:102], v125 offset0:38 offset1:39
	v_fma_f64 v[97:98], v[87:88], v[107:108], -v[97:98]
	buffer_load_dword v105, off, s[20:23], 0 offset:176 ; 4-byte Folded Reload
	buffer_load_dword v106, off, s[20:23], 0 offset:180 ; 4-byte Folded Reload
	buffer_load_dword v107, off, s[20:23], 0 offset:184 ; 4-byte Folded Reload
	buffer_load_dword v108, off, s[20:23], 0 offset:188 ; 4-byte Folded Reload
	s_waitcnt lgkmcnt(0)
	v_mul_f64 v[103:104], v[101:102], v[109:110]
	v_fma_f64 v[103:104], v[99:100], v[97:98], -v[103:104]
	v_mul_f64 v[99:100], v[99:100], v[109:110]
	v_fma_f64 v[99:100], v[101:102], v[97:98], v[99:100]
	s_waitcnt vmcnt(2)
	v_add_f64 v[105:106], v[105:106], -v[103:104]
	s_waitcnt vmcnt(0)
	v_add_f64 v[107:108], v[107:108], -v[99:100]
	buffer_store_dword v105, off, s[20:23], 0 offset:176 ; 4-byte Folded Spill
	s_nop 0
	buffer_store_dword v106, off, s[20:23], 0 offset:180 ; 4-byte Folded Spill
	buffer_store_dword v107, off, s[20:23], 0 offset:184 ; 4-byte Folded Spill
	buffer_store_dword v108, off, s[20:23], 0 offset:188 ; 4-byte Folded Spill
	ds_read2_b64 v[99:102], v125 offset0:40 offset1:41
	buffer_load_dword v105, off, s[20:23], 0 offset:160 ; 4-byte Folded Reload
	buffer_load_dword v106, off, s[20:23], 0 offset:164 ; 4-byte Folded Reload
	buffer_load_dword v107, off, s[20:23], 0 offset:168 ; 4-byte Folded Reload
	buffer_load_dword v108, off, s[20:23], 0 offset:172 ; 4-byte Folded Reload
	s_waitcnt lgkmcnt(0)
	v_mul_f64 v[103:104], v[101:102], v[109:110]
	v_fma_f64 v[103:104], v[99:100], v[97:98], -v[103:104]
	v_mul_f64 v[99:100], v[99:100], v[109:110]
	v_fma_f64 v[99:100], v[101:102], v[97:98], v[99:100]
	s_waitcnt vmcnt(2)
	v_add_f64 v[105:106], v[105:106], -v[103:104]
	s_waitcnt vmcnt(0)
	v_add_f64 v[107:108], v[107:108], -v[99:100]
	buffer_store_dword v105, off, s[20:23], 0 offset:160 ; 4-byte Folded Spill
	s_nop 0
	buffer_store_dword v106, off, s[20:23], 0 offset:164 ; 4-byte Folded Spill
	buffer_store_dword v107, off, s[20:23], 0 offset:168 ; 4-byte Folded Spill
	buffer_store_dword v108, off, s[20:23], 0 offset:172 ; 4-byte Folded Spill
	ds_read2_b64 v[99:102], v125 offset0:42 offset1:43
	;; [unrolled: 19-line block ×11, first 2 shown]
	buffer_load_dword v105, off, s[20:23], 0 ; 4-byte Folded Reload
	buffer_load_dword v106, off, s[20:23], 0 offset:4 ; 4-byte Folded Reload
	buffer_load_dword v107, off, s[20:23], 0 offset:8 ; 4-byte Folded Reload
	;; [unrolled: 1-line block ×3, first 2 shown]
	s_waitcnt lgkmcnt(0)
	v_mul_f64 v[103:104], v[101:102], v[109:110]
	v_fma_f64 v[103:104], v[99:100], v[97:98], -v[103:104]
	v_mul_f64 v[99:100], v[99:100], v[109:110]
	v_fma_f64 v[99:100], v[101:102], v[97:98], v[99:100]
	s_waitcnt vmcnt(2)
	v_add_f64 v[105:106], v[105:106], -v[103:104]
	s_waitcnt vmcnt(0)
	v_add_f64 v[107:108], v[107:108], -v[99:100]
	buffer_store_dword v105, off, s[20:23], 0 ; 4-byte Folded Spill
	s_nop 0
	buffer_store_dword v106, off, s[20:23], 0 offset:4 ; 4-byte Folded Spill
	buffer_store_dword v107, off, s[20:23], 0 offset:8 ; 4-byte Folded Spill
	;; [unrolled: 1-line block ×3, first 2 shown]
	ds_read2_b64 v[99:102], v125 offset0:62 offset1:63
	v_mov_b32_e32 v108, v98
	v_mov_b32_e32 v107, v97
	s_waitcnt lgkmcnt(0)
	v_mul_f64 v[103:104], v[101:102], v[109:110]
	v_fma_f64 v[103:104], v[99:100], v[97:98], -v[103:104]
	v_mul_f64 v[99:100], v[99:100], v[109:110]
	v_add_f64 v[93:94], v[93:94], -v[103:104]
	v_fma_f64 v[99:100], v[101:102], v[97:98], v[99:100]
	v_add_f64 v[95:96], v[95:96], -v[99:100]
	ds_read2_b64 v[99:102], v125 offset0:64 offset1:65
	s_waitcnt lgkmcnt(0)
	v_mul_f64 v[103:104], v[101:102], v[109:110]
	v_fma_f64 v[103:104], v[99:100], v[97:98], -v[103:104]
	v_mul_f64 v[99:100], v[99:100], v[109:110]
	v_add_f64 v[81:82], v[81:82], -v[103:104]
	v_fma_f64 v[99:100], v[101:102], v[97:98], v[99:100]
	v_add_f64 v[83:84], v[83:84], -v[99:100]
	ds_read2_b64 v[99:102], v125 offset0:66 offset1:67
	s_waitcnt lgkmcnt(0)
	v_mul_f64 v[103:104], v[101:102], v[109:110]
	v_fma_f64 v[103:104], v[99:100], v[97:98], -v[103:104]
	v_mul_f64 v[99:100], v[99:100], v[109:110]
	v_add_f64 v[77:78], v[77:78], -v[103:104]
	v_fma_f64 v[99:100], v[101:102], v[97:98], v[99:100]
	v_add_f64 v[79:80], v[79:80], -v[99:100]
	ds_read2_b64 v[99:102], v125 offset0:68 offset1:69
	s_waitcnt lgkmcnt(0)
	v_mul_f64 v[103:104], v[101:102], v[109:110]
	v_fma_f64 v[103:104], v[99:100], v[97:98], -v[103:104]
	v_mul_f64 v[99:100], v[99:100], v[109:110]
	v_add_f64 v[73:74], v[73:74], -v[103:104]
	v_fma_f64 v[99:100], v[101:102], v[97:98], v[99:100]
	v_add_f64 v[75:76], v[75:76], -v[99:100]
	ds_read2_b64 v[99:102], v125 offset0:70 offset1:71
	s_waitcnt lgkmcnt(0)
	v_mul_f64 v[103:104], v[101:102], v[109:110]
	v_fma_f64 v[103:104], v[99:100], v[97:98], -v[103:104]
	v_mul_f64 v[99:100], v[99:100], v[109:110]
	v_add_f64 v[69:70], v[69:70], -v[103:104]
	v_fma_f64 v[99:100], v[101:102], v[97:98], v[99:100]
	v_add_f64 v[71:72], v[71:72], -v[99:100]
	ds_read2_b64 v[99:102], v125 offset0:72 offset1:73
	s_waitcnt lgkmcnt(0)
	v_mul_f64 v[103:104], v[101:102], v[109:110]
	v_fma_f64 v[103:104], v[99:100], v[97:98], -v[103:104]
	v_mul_f64 v[99:100], v[99:100], v[109:110]
	v_add_f64 v[65:66], v[65:66], -v[103:104]
	v_fma_f64 v[99:100], v[101:102], v[97:98], v[99:100]
	v_add_f64 v[67:68], v[67:68], -v[99:100]
	ds_read2_b64 v[99:102], v125 offset0:74 offset1:75
	s_waitcnt lgkmcnt(0)
	v_mul_f64 v[103:104], v[101:102], v[109:110]
	v_fma_f64 v[103:104], v[99:100], v[97:98], -v[103:104]
	v_mul_f64 v[99:100], v[99:100], v[109:110]
	v_add_f64 v[61:62], v[61:62], -v[103:104]
	v_fma_f64 v[99:100], v[101:102], v[97:98], v[99:100]
	v_add_f64 v[63:64], v[63:64], -v[99:100]
	ds_read2_b64 v[99:102], v125 offset0:76 offset1:77
	s_waitcnt lgkmcnt(0)
	v_mul_f64 v[103:104], v[101:102], v[109:110]
	v_fma_f64 v[103:104], v[99:100], v[97:98], -v[103:104]
	v_mul_f64 v[99:100], v[99:100], v[109:110]
	v_add_f64 v[57:58], v[57:58], -v[103:104]
	v_fma_f64 v[99:100], v[101:102], v[97:98], v[99:100]
	v_add_f64 v[59:60], v[59:60], -v[99:100]
	ds_read2_b64 v[99:102], v125 offset0:78 offset1:79
	s_waitcnt lgkmcnt(0)
	v_mul_f64 v[103:104], v[101:102], v[109:110]
	v_fma_f64 v[103:104], v[99:100], v[97:98], -v[103:104]
	v_mul_f64 v[99:100], v[99:100], v[109:110]
	v_add_f64 v[53:54], v[53:54], -v[103:104]
	v_fma_f64 v[99:100], v[101:102], v[97:98], v[99:100]
	v_add_f64 v[55:56], v[55:56], -v[99:100]
	ds_read2_b64 v[99:102], v125 offset0:80 offset1:81
	s_waitcnt lgkmcnt(0)
	v_mul_f64 v[103:104], v[101:102], v[109:110]
	v_fma_f64 v[103:104], v[99:100], v[97:98], -v[103:104]
	v_mul_f64 v[99:100], v[99:100], v[109:110]
	v_add_f64 v[49:50], v[49:50], -v[103:104]
	v_fma_f64 v[99:100], v[101:102], v[97:98], v[99:100]
	v_add_f64 v[51:52], v[51:52], -v[99:100]
	ds_read2_b64 v[99:102], v125 offset0:82 offset1:83
	s_waitcnt lgkmcnt(0)
	v_mul_f64 v[103:104], v[101:102], v[109:110]
	v_fma_f64 v[103:104], v[99:100], v[97:98], -v[103:104]
	v_mul_f64 v[99:100], v[99:100], v[109:110]
	v_add_f64 v[45:46], v[45:46], -v[103:104]
	v_fma_f64 v[99:100], v[101:102], v[97:98], v[99:100]
	v_add_f64 v[47:48], v[47:48], -v[99:100]
	ds_read2_b64 v[99:102], v125 offset0:84 offset1:85
	s_waitcnt lgkmcnt(0)
	v_mul_f64 v[103:104], v[101:102], v[109:110]
	v_fma_f64 v[103:104], v[99:100], v[97:98], -v[103:104]
	v_mul_f64 v[99:100], v[99:100], v[109:110]
	v_add_f64 v[41:42], v[41:42], -v[103:104]
	v_fma_f64 v[99:100], v[101:102], v[97:98], v[99:100]
	v_add_f64 v[43:44], v[43:44], -v[99:100]
	ds_read2_b64 v[99:102], v125 offset0:86 offset1:87
	s_waitcnt lgkmcnt(0)
	v_mul_f64 v[103:104], v[101:102], v[109:110]
	v_fma_f64 v[103:104], v[99:100], v[97:98], -v[103:104]
	v_mul_f64 v[99:100], v[99:100], v[109:110]
	v_add_f64 v[37:38], v[37:38], -v[103:104]
	v_fma_f64 v[99:100], v[101:102], v[97:98], v[99:100]
	v_add_f64 v[39:40], v[39:40], -v[99:100]
	ds_read2_b64 v[99:102], v125 offset0:88 offset1:89
	s_waitcnt lgkmcnt(0)
	v_mul_f64 v[103:104], v[101:102], v[109:110]
	v_fma_f64 v[103:104], v[99:100], v[97:98], -v[103:104]
	v_mul_f64 v[99:100], v[99:100], v[109:110]
	v_add_f64 v[33:34], v[33:34], -v[103:104]
	v_fma_f64 v[99:100], v[101:102], v[97:98], v[99:100]
	v_add_f64 v[35:36], v[35:36], -v[99:100]
	ds_read2_b64 v[99:102], v125 offset0:90 offset1:91
	s_waitcnt lgkmcnt(0)
	v_mul_f64 v[103:104], v[101:102], v[109:110]
	v_fma_f64 v[103:104], v[99:100], v[97:98], -v[103:104]
	v_mul_f64 v[99:100], v[99:100], v[109:110]
	v_add_f64 v[29:30], v[29:30], -v[103:104]
	v_fma_f64 v[99:100], v[101:102], v[97:98], v[99:100]
	v_add_f64 v[31:32], v[31:32], -v[99:100]
	ds_read2_b64 v[99:102], v125 offset0:92 offset1:93
	s_waitcnt lgkmcnt(0)
	v_mul_f64 v[103:104], v[101:102], v[109:110]
	v_fma_f64 v[103:104], v[99:100], v[97:98], -v[103:104]
	v_mul_f64 v[99:100], v[99:100], v[109:110]
	v_add_f64 v[25:26], v[25:26], -v[103:104]
	v_fma_f64 v[99:100], v[101:102], v[97:98], v[99:100]
	v_add_f64 v[27:28], v[27:28], -v[99:100]
	ds_read2_b64 v[99:102], v125 offset0:94 offset1:95
	s_waitcnt lgkmcnt(0)
	v_mul_f64 v[103:104], v[101:102], v[109:110]
	v_fma_f64 v[103:104], v[99:100], v[97:98], -v[103:104]
	v_mul_f64 v[99:100], v[99:100], v[109:110]
	v_add_f64 v[21:22], v[21:22], -v[103:104]
	v_fma_f64 v[99:100], v[101:102], v[97:98], v[99:100]
	v_add_f64 v[23:24], v[23:24], -v[99:100]
	ds_read2_b64 v[99:102], v125 offset0:96 offset1:97
	s_waitcnt lgkmcnt(0)
	v_mul_f64 v[103:104], v[101:102], v[109:110]
	v_fma_f64 v[103:104], v[99:100], v[97:98], -v[103:104]
	v_mul_f64 v[99:100], v[99:100], v[109:110]
	v_add_f64 v[17:18], v[17:18], -v[103:104]
	v_fma_f64 v[99:100], v[101:102], v[97:98], v[99:100]
	v_add_f64 v[19:20], v[19:20], -v[99:100]
	ds_read2_b64 v[99:102], v125 offset0:98 offset1:99
	s_waitcnt lgkmcnt(0)
	v_mul_f64 v[103:104], v[101:102], v[109:110]
	v_fma_f64 v[103:104], v[99:100], v[97:98], -v[103:104]
	v_mul_f64 v[99:100], v[99:100], v[109:110]
	v_add_f64 v[13:14], v[13:14], -v[103:104]
	v_fma_f64 v[99:100], v[101:102], v[97:98], v[99:100]
	v_add_f64 v[15:16], v[15:16], -v[99:100]
	ds_read2_b64 v[99:102], v125 offset0:100 offset1:101
	s_waitcnt lgkmcnt(0)
	v_mul_f64 v[103:104], v[101:102], v[109:110]
	v_fma_f64 v[103:104], v[99:100], v[97:98], -v[103:104]
	v_mul_f64 v[99:100], v[99:100], v[109:110]
	v_add_f64 v[9:10], v[9:10], -v[103:104]
	v_fma_f64 v[99:100], v[101:102], v[97:98], v[99:100]
	v_add_f64 v[11:12], v[11:12], -v[99:100]
	ds_read2_b64 v[99:102], v125 offset0:102 offset1:103
	s_waitcnt lgkmcnt(0)
	v_mul_f64 v[103:104], v[101:102], v[109:110]
	v_fma_f64 v[103:104], v[99:100], v[97:98], -v[103:104]
	v_mul_f64 v[99:100], v[99:100], v[109:110]
	v_add_f64 v[5:6], v[5:6], -v[103:104]
	v_fma_f64 v[99:100], v[101:102], v[97:98], v[99:100]
	v_add_f64 v[7:8], v[7:8], -v[99:100]
	ds_read2_b64 v[99:102], v125 offset0:104 offset1:105
	s_waitcnt lgkmcnt(0)
	v_mul_f64 v[103:104], v[101:102], v[109:110]
	v_fma_f64 v[103:104], v[99:100], v[97:98], -v[103:104]
	v_mul_f64 v[99:100], v[99:100], v[109:110]
	v_add_f64 v[1:2], v[1:2], -v[103:104]
	v_fma_f64 v[99:100], v[101:102], v[97:98], v[99:100]
	v_add_f64 v[3:4], v[3:4], -v[99:100]
	ds_read2_b64 v[99:102], v125 offset0:106 offset1:107
	s_waitcnt lgkmcnt(0)
	v_mul_f64 v[103:104], v[101:102], v[109:110]
	v_fma_f64 v[103:104], v[99:100], v[97:98], -v[103:104]
	v_mul_f64 v[99:100], v[99:100], v[109:110]
	buffer_store_dword v107, off, s[20:23], 0 offset:192 ; 4-byte Folded Spill
	s_nop 0
	buffer_store_dword v108, off, s[20:23], 0 offset:196 ; 4-byte Folded Spill
	buffer_store_dword v109, off, s[20:23], 0 offset:200 ; 4-byte Folded Spill
	buffer_store_dword v110, off, s[20:23], 0 offset:204 ; 4-byte Folded Spill
	v_add_f64 v[121:122], v[121:122], -v[103:104]
	v_fma_f64 v[99:100], v[101:102], v[97:98], v[99:100]
	v_add_f64 v[123:124], v[123:124], -v[99:100]
.LBB107_172:
	s_or_b64 exec, exec, s[2:3]
	v_cmp_eq_u32_e32 vcc, 19, v0
	s_waitcnt vmcnt(0)
	s_barrier
	s_and_saveexec_b64 s[4:5], vcc
	s_cbranch_execz .LBB107_179
; %bb.173:
	buffer_load_dword v97, off, s[20:23], 0 offset:176 ; 4-byte Folded Reload
	buffer_load_dword v98, off, s[20:23], 0 offset:180 ; 4-byte Folded Reload
	;; [unrolled: 1-line block ×4, first 2 shown]
	s_waitcnt vmcnt(0)
	ds_write2_b64 v127, v[97:98], v[99:100] offset1:1
	buffer_load_dword v97, off, s[20:23], 0 offset:160 ; 4-byte Folded Reload
	buffer_load_dword v98, off, s[20:23], 0 offset:164 ; 4-byte Folded Reload
	buffer_load_dword v99, off, s[20:23], 0 offset:168 ; 4-byte Folded Reload
	buffer_load_dword v100, off, s[20:23], 0 offset:172 ; 4-byte Folded Reload
	s_waitcnt vmcnt(0)
	ds_write2_b64 v125, v[97:98], v[99:100] offset0:40 offset1:41
	buffer_load_dword v97, off, s[20:23], 0 offset:144 ; 4-byte Folded Reload
	buffer_load_dword v98, off, s[20:23], 0 offset:148 ; 4-byte Folded Reload
	buffer_load_dword v99, off, s[20:23], 0 offset:152 ; 4-byte Folded Reload
	buffer_load_dword v100, off, s[20:23], 0 offset:156 ; 4-byte Folded Reload
	s_waitcnt vmcnt(0)
	ds_write2_b64 v125, v[97:98], v[99:100] offset0:42 offset1:43
	buffer_load_dword v97, off, s[20:23], 0 offset:128 ; 4-byte Folded Reload
	buffer_load_dword v98, off, s[20:23], 0 offset:132 ; 4-byte Folded Reload
	buffer_load_dword v99, off, s[20:23], 0 offset:136 ; 4-byte Folded Reload
	buffer_load_dword v100, off, s[20:23], 0 offset:140 ; 4-byte Folded Reload
	s_waitcnt vmcnt(0)
	ds_write2_b64 v125, v[97:98], v[99:100] offset0:44 offset1:45
	buffer_load_dword v97, off, s[20:23], 0 offset:112 ; 4-byte Folded Reload
	buffer_load_dword v98, off, s[20:23], 0 offset:116 ; 4-byte Folded Reload
	buffer_load_dword v99, off, s[20:23], 0 offset:120 ; 4-byte Folded Reload
	buffer_load_dword v100, off, s[20:23], 0 offset:124 ; 4-byte Folded Reload
	s_waitcnt vmcnt(0)
	ds_write2_b64 v125, v[97:98], v[99:100] offset0:46 offset1:47
	buffer_load_dword v97, off, s[20:23], 0 offset:96 ; 4-byte Folded Reload
	buffer_load_dword v98, off, s[20:23], 0 offset:100 ; 4-byte Folded Reload
	buffer_load_dword v99, off, s[20:23], 0 offset:104 ; 4-byte Folded Reload
	buffer_load_dword v100, off, s[20:23], 0 offset:108 ; 4-byte Folded Reload
	s_waitcnt vmcnt(0)
	ds_write2_b64 v125, v[97:98], v[99:100] offset0:48 offset1:49
	buffer_load_dword v97, off, s[20:23], 0 offset:80 ; 4-byte Folded Reload
	buffer_load_dword v98, off, s[20:23], 0 offset:84 ; 4-byte Folded Reload
	buffer_load_dword v99, off, s[20:23], 0 offset:88 ; 4-byte Folded Reload
	buffer_load_dword v100, off, s[20:23], 0 offset:92 ; 4-byte Folded Reload
	s_waitcnt vmcnt(0)
	ds_write2_b64 v125, v[97:98], v[99:100] offset0:50 offset1:51
	buffer_load_dword v97, off, s[20:23], 0 offset:64 ; 4-byte Folded Reload
	buffer_load_dword v98, off, s[20:23], 0 offset:68 ; 4-byte Folded Reload
	buffer_load_dword v99, off, s[20:23], 0 offset:72 ; 4-byte Folded Reload
	buffer_load_dword v100, off, s[20:23], 0 offset:76 ; 4-byte Folded Reload
	s_waitcnt vmcnt(0)
	ds_write2_b64 v125, v[97:98], v[99:100] offset0:52 offset1:53
	buffer_load_dword v97, off, s[20:23], 0 offset:48 ; 4-byte Folded Reload
	buffer_load_dword v98, off, s[20:23], 0 offset:52 ; 4-byte Folded Reload
	buffer_load_dword v99, off, s[20:23], 0 offset:56 ; 4-byte Folded Reload
	buffer_load_dword v100, off, s[20:23], 0 offset:60 ; 4-byte Folded Reload
	s_waitcnt vmcnt(0)
	ds_write2_b64 v125, v[97:98], v[99:100] offset0:54 offset1:55
	buffer_load_dword v97, off, s[20:23], 0 offset:32 ; 4-byte Folded Reload
	buffer_load_dword v98, off, s[20:23], 0 offset:36 ; 4-byte Folded Reload
	buffer_load_dword v99, off, s[20:23], 0 offset:40 ; 4-byte Folded Reload
	buffer_load_dword v100, off, s[20:23], 0 offset:44 ; 4-byte Folded Reload
	s_waitcnt vmcnt(0)
	ds_write2_b64 v125, v[97:98], v[99:100] offset0:56 offset1:57
	buffer_load_dword v97, off, s[20:23], 0 offset:16 ; 4-byte Folded Reload
	buffer_load_dword v98, off, s[20:23], 0 offset:20 ; 4-byte Folded Reload
	buffer_load_dword v99, off, s[20:23], 0 offset:24 ; 4-byte Folded Reload
	buffer_load_dword v100, off, s[20:23], 0 offset:28 ; 4-byte Folded Reload
	s_waitcnt vmcnt(0)
	ds_write2_b64 v125, v[97:98], v[99:100] offset0:58 offset1:59
	buffer_load_dword v97, off, s[20:23], 0 ; 4-byte Folded Reload
	buffer_load_dword v98, off, s[20:23], 0 offset:4 ; 4-byte Folded Reload
	buffer_load_dword v99, off, s[20:23], 0 offset:8 ; 4-byte Folded Reload
	;; [unrolled: 1-line block ×3, first 2 shown]
	s_waitcnt vmcnt(0)
	ds_write2_b64 v125, v[97:98], v[99:100] offset0:60 offset1:61
	ds_write2_b64 v125, v[93:94], v[95:96] offset0:62 offset1:63
	;; [unrolled: 1-line block ×24, first 2 shown]
	ds_read2_b64 v[97:100], v127 offset1:1
	s_waitcnt lgkmcnt(0)
	v_cmp_neq_f64_e32 vcc, 0, v[97:98]
	v_cmp_neq_f64_e64 s[2:3], 0, v[99:100]
	s_or_b64 s[2:3], vcc, s[2:3]
	s_and_b64 exec, exec, s[2:3]
	s_cbranch_execz .LBB107_179
; %bb.174:
	v_cmp_ngt_f64_e64 s[2:3], |v[97:98]|, |v[99:100]|
                                        ; implicit-def: $vgpr101_vgpr102
	s_and_saveexec_b64 s[6:7], s[2:3]
	s_xor_b64 s[2:3], exec, s[6:7]
                                        ; implicit-def: $vgpr103_vgpr104
	s_cbranch_execz .LBB107_176
; %bb.175:
	v_div_scale_f64 v[101:102], s[6:7], v[99:100], v[99:100], v[97:98]
	v_rcp_f64_e32 v[103:104], v[101:102]
	v_fma_f64 v[105:106], -v[101:102], v[103:104], 1.0
	v_fma_f64 v[103:104], v[103:104], v[105:106], v[103:104]
	v_div_scale_f64 v[105:106], vcc, v[97:98], v[99:100], v[97:98]
	v_fma_f64 v[107:108], -v[101:102], v[103:104], 1.0
	v_fma_f64 v[103:104], v[103:104], v[107:108], v[103:104]
	v_mul_f64 v[107:108], v[105:106], v[103:104]
	v_fma_f64 v[101:102], -v[101:102], v[107:108], v[105:106]
	v_div_fmas_f64 v[101:102], v[101:102], v[103:104], v[107:108]
	v_div_fixup_f64 v[101:102], v[101:102], v[99:100], v[97:98]
	v_fma_f64 v[97:98], v[97:98], v[101:102], v[99:100]
	v_div_scale_f64 v[99:100], s[6:7], v[97:98], v[97:98], 1.0
	v_div_scale_f64 v[107:108], vcc, 1.0, v[97:98], 1.0
	v_rcp_f64_e32 v[103:104], v[99:100]
	v_fma_f64 v[105:106], -v[99:100], v[103:104], 1.0
	v_fma_f64 v[103:104], v[103:104], v[105:106], v[103:104]
	v_fma_f64 v[105:106], -v[99:100], v[103:104], 1.0
	v_fma_f64 v[103:104], v[103:104], v[105:106], v[103:104]
	v_mul_f64 v[105:106], v[107:108], v[103:104]
	v_fma_f64 v[99:100], -v[99:100], v[105:106], v[107:108]
	v_div_fmas_f64 v[99:100], v[99:100], v[103:104], v[105:106]
	v_div_fixup_f64 v[103:104], v[99:100], v[97:98], 1.0
                                        ; implicit-def: $vgpr97_vgpr98
	v_mul_f64 v[101:102], v[101:102], v[103:104]
	v_xor_b32_e32 v104, 0x80000000, v104
.LBB107_176:
	s_andn2_saveexec_b64 s[2:3], s[2:3]
	s_cbranch_execz .LBB107_178
; %bb.177:
	v_div_scale_f64 v[101:102], s[6:7], v[97:98], v[97:98], v[99:100]
	v_rcp_f64_e32 v[103:104], v[101:102]
	v_fma_f64 v[105:106], -v[101:102], v[103:104], 1.0
	v_fma_f64 v[103:104], v[103:104], v[105:106], v[103:104]
	v_div_scale_f64 v[105:106], vcc, v[99:100], v[97:98], v[99:100]
	v_fma_f64 v[107:108], -v[101:102], v[103:104], 1.0
	v_fma_f64 v[103:104], v[103:104], v[107:108], v[103:104]
	v_mul_f64 v[107:108], v[105:106], v[103:104]
	v_fma_f64 v[101:102], -v[101:102], v[107:108], v[105:106]
	v_div_fmas_f64 v[101:102], v[101:102], v[103:104], v[107:108]
	v_div_fixup_f64 v[103:104], v[101:102], v[97:98], v[99:100]
	v_fma_f64 v[97:98], v[99:100], v[103:104], v[97:98]
	v_div_scale_f64 v[99:100], s[6:7], v[97:98], v[97:98], 1.0
	v_div_scale_f64 v[107:108], vcc, 1.0, v[97:98], 1.0
	v_rcp_f64_e32 v[101:102], v[99:100]
	v_fma_f64 v[105:106], -v[99:100], v[101:102], 1.0
	v_fma_f64 v[101:102], v[101:102], v[105:106], v[101:102]
	v_fma_f64 v[105:106], -v[99:100], v[101:102], 1.0
	v_fma_f64 v[101:102], v[101:102], v[105:106], v[101:102]
	v_mul_f64 v[105:106], v[107:108], v[101:102]
	v_fma_f64 v[99:100], -v[99:100], v[105:106], v[107:108]
	v_div_fmas_f64 v[99:100], v[99:100], v[101:102], v[105:106]
	v_div_fixup_f64 v[101:102], v[99:100], v[97:98], 1.0
	v_mul_f64 v[103:104], v[103:104], -v[101:102]
.LBB107_178:
	s_or_b64 exec, exec, s[2:3]
	ds_write2_b64 v127, v[101:102], v[103:104] offset1:1
.LBB107_179:
	s_or_b64 exec, exec, s[4:5]
	s_waitcnt lgkmcnt(0)
	s_barrier
	ds_read2_b64 v[87:90], v127 offset1:1
	v_cmp_lt_u32_e32 vcc, 19, v0
	s_waitcnt lgkmcnt(0)
	buffer_store_dword v87, off, s[20:23], 0 offset:1224 ; 4-byte Folded Spill
	s_nop 0
	buffer_store_dword v88, off, s[20:23], 0 offset:1228 ; 4-byte Folded Spill
	buffer_store_dword v89, off, s[20:23], 0 offset:1232 ; 4-byte Folded Spill
	;; [unrolled: 1-line block ×3, first 2 shown]
	s_and_saveexec_b64 s[2:3], vcc
	s_cbranch_execz .LBB107_181
; %bb.180:
	buffer_load_dword v107, off, s[20:23], 0 offset:176 ; 4-byte Folded Reload
	buffer_load_dword v108, off, s[20:23], 0 offset:180 ; 4-byte Folded Reload
	buffer_load_dword v109, off, s[20:23], 0 offset:184 ; 4-byte Folded Reload
	buffer_load_dword v110, off, s[20:23], 0 offset:188 ; 4-byte Folded Reload
	buffer_load_dword v87, off, s[20:23], 0 offset:1224 ; 4-byte Folded Reload
	buffer_load_dword v88, off, s[20:23], 0 offset:1228 ; 4-byte Folded Reload
	buffer_load_dword v89, off, s[20:23], 0 offset:1232 ; 4-byte Folded Reload
	buffer_load_dword v90, off, s[20:23], 0 offset:1236 ; 4-byte Folded Reload
	s_waitcnt vmcnt(2)
	v_mul_f64 v[99:100], v[87:88], v[109:110]
	s_waitcnt vmcnt(0)
	v_mul_f64 v[97:98], v[89:90], v[109:110]
	v_fma_f64 v[109:110], v[89:90], v[107:108], v[99:100]
	ds_read2_b64 v[99:102], v125 offset0:40 offset1:41
	v_fma_f64 v[97:98], v[87:88], v[107:108], -v[97:98]
	buffer_load_dword v105, off, s[20:23], 0 offset:160 ; 4-byte Folded Reload
	buffer_load_dword v106, off, s[20:23], 0 offset:164 ; 4-byte Folded Reload
	buffer_load_dword v107, off, s[20:23], 0 offset:168 ; 4-byte Folded Reload
	buffer_load_dword v108, off, s[20:23], 0 offset:172 ; 4-byte Folded Reload
	s_waitcnt lgkmcnt(0)
	v_mul_f64 v[103:104], v[101:102], v[109:110]
	v_fma_f64 v[103:104], v[99:100], v[97:98], -v[103:104]
	v_mul_f64 v[99:100], v[99:100], v[109:110]
	v_fma_f64 v[99:100], v[101:102], v[97:98], v[99:100]
	s_waitcnt vmcnt(2)
	v_add_f64 v[105:106], v[105:106], -v[103:104]
	s_waitcnt vmcnt(0)
	v_add_f64 v[107:108], v[107:108], -v[99:100]
	buffer_store_dword v105, off, s[20:23], 0 offset:160 ; 4-byte Folded Spill
	s_nop 0
	buffer_store_dword v106, off, s[20:23], 0 offset:164 ; 4-byte Folded Spill
	buffer_store_dword v107, off, s[20:23], 0 offset:168 ; 4-byte Folded Spill
	buffer_store_dword v108, off, s[20:23], 0 offset:172 ; 4-byte Folded Spill
	ds_read2_b64 v[99:102], v125 offset0:42 offset1:43
	buffer_load_dword v105, off, s[20:23], 0 offset:144 ; 4-byte Folded Reload
	buffer_load_dword v106, off, s[20:23], 0 offset:148 ; 4-byte Folded Reload
	buffer_load_dword v107, off, s[20:23], 0 offset:152 ; 4-byte Folded Reload
	buffer_load_dword v108, off, s[20:23], 0 offset:156 ; 4-byte Folded Reload
	s_waitcnt lgkmcnt(0)
	v_mul_f64 v[103:104], v[101:102], v[109:110]
	v_fma_f64 v[103:104], v[99:100], v[97:98], -v[103:104]
	v_mul_f64 v[99:100], v[99:100], v[109:110]
	v_fma_f64 v[99:100], v[101:102], v[97:98], v[99:100]
	s_waitcnt vmcnt(2)
	v_add_f64 v[105:106], v[105:106], -v[103:104]
	s_waitcnt vmcnt(0)
	v_add_f64 v[107:108], v[107:108], -v[99:100]
	buffer_store_dword v105, off, s[20:23], 0 offset:144 ; 4-byte Folded Spill
	s_nop 0
	buffer_store_dword v106, off, s[20:23], 0 offset:148 ; 4-byte Folded Spill
	buffer_store_dword v107, off, s[20:23], 0 offset:152 ; 4-byte Folded Spill
	buffer_store_dword v108, off, s[20:23], 0 offset:156 ; 4-byte Folded Spill
	ds_read2_b64 v[99:102], v125 offset0:44 offset1:45
	;; [unrolled: 19-line block ×10, first 2 shown]
	buffer_load_dword v105, off, s[20:23], 0 ; 4-byte Folded Reload
	buffer_load_dword v106, off, s[20:23], 0 offset:4 ; 4-byte Folded Reload
	buffer_load_dword v107, off, s[20:23], 0 offset:8 ; 4-byte Folded Reload
	buffer_load_dword v108, off, s[20:23], 0 offset:12 ; 4-byte Folded Reload
	s_waitcnt lgkmcnt(0)
	v_mul_f64 v[103:104], v[101:102], v[109:110]
	v_fma_f64 v[103:104], v[99:100], v[97:98], -v[103:104]
	v_mul_f64 v[99:100], v[99:100], v[109:110]
	v_fma_f64 v[99:100], v[101:102], v[97:98], v[99:100]
	s_waitcnt vmcnt(2)
	v_add_f64 v[105:106], v[105:106], -v[103:104]
	s_waitcnt vmcnt(0)
	v_add_f64 v[107:108], v[107:108], -v[99:100]
	buffer_store_dword v105, off, s[20:23], 0 ; 4-byte Folded Spill
	s_nop 0
	buffer_store_dword v106, off, s[20:23], 0 offset:4 ; 4-byte Folded Spill
	buffer_store_dword v107, off, s[20:23], 0 offset:8 ; 4-byte Folded Spill
	;; [unrolled: 1-line block ×3, first 2 shown]
	ds_read2_b64 v[99:102], v125 offset0:62 offset1:63
	v_mov_b32_e32 v108, v98
	v_mov_b32_e32 v107, v97
	s_waitcnt lgkmcnt(0)
	v_mul_f64 v[103:104], v[101:102], v[109:110]
	v_fma_f64 v[103:104], v[99:100], v[97:98], -v[103:104]
	v_mul_f64 v[99:100], v[99:100], v[109:110]
	v_add_f64 v[93:94], v[93:94], -v[103:104]
	v_fma_f64 v[99:100], v[101:102], v[97:98], v[99:100]
	v_add_f64 v[95:96], v[95:96], -v[99:100]
	ds_read2_b64 v[99:102], v125 offset0:64 offset1:65
	s_waitcnt lgkmcnt(0)
	v_mul_f64 v[103:104], v[101:102], v[109:110]
	v_fma_f64 v[103:104], v[99:100], v[97:98], -v[103:104]
	v_mul_f64 v[99:100], v[99:100], v[109:110]
	v_add_f64 v[81:82], v[81:82], -v[103:104]
	v_fma_f64 v[99:100], v[101:102], v[97:98], v[99:100]
	v_add_f64 v[83:84], v[83:84], -v[99:100]
	ds_read2_b64 v[99:102], v125 offset0:66 offset1:67
	;; [unrolled: 8-line block ×22, first 2 shown]
	s_waitcnt lgkmcnt(0)
	v_mul_f64 v[103:104], v[101:102], v[109:110]
	v_fma_f64 v[103:104], v[99:100], v[97:98], -v[103:104]
	v_mul_f64 v[99:100], v[99:100], v[109:110]
	buffer_store_dword v107, off, s[20:23], 0 offset:176 ; 4-byte Folded Spill
	s_nop 0
	buffer_store_dword v108, off, s[20:23], 0 offset:180 ; 4-byte Folded Spill
	buffer_store_dword v109, off, s[20:23], 0 offset:184 ; 4-byte Folded Spill
	;; [unrolled: 1-line block ×3, first 2 shown]
	v_add_f64 v[121:122], v[121:122], -v[103:104]
	v_fma_f64 v[99:100], v[101:102], v[97:98], v[99:100]
	v_add_f64 v[123:124], v[123:124], -v[99:100]
.LBB107_181:
	s_or_b64 exec, exec, s[2:3]
	v_cmp_eq_u32_e32 vcc, 20, v0
	s_waitcnt vmcnt(0)
	s_barrier
	s_and_saveexec_b64 s[4:5], vcc
	s_cbranch_execz .LBB107_188
; %bb.182:
	buffer_load_dword v97, off, s[20:23], 0 offset:160 ; 4-byte Folded Reload
	buffer_load_dword v98, off, s[20:23], 0 offset:164 ; 4-byte Folded Reload
	;; [unrolled: 1-line block ×4, first 2 shown]
	s_waitcnt vmcnt(0)
	ds_write2_b64 v127, v[97:98], v[99:100] offset1:1
	buffer_load_dword v97, off, s[20:23], 0 offset:144 ; 4-byte Folded Reload
	buffer_load_dword v98, off, s[20:23], 0 offset:148 ; 4-byte Folded Reload
	buffer_load_dword v99, off, s[20:23], 0 offset:152 ; 4-byte Folded Reload
	buffer_load_dword v100, off, s[20:23], 0 offset:156 ; 4-byte Folded Reload
	s_waitcnt vmcnt(0)
	ds_write2_b64 v125, v[97:98], v[99:100] offset0:42 offset1:43
	buffer_load_dword v97, off, s[20:23], 0 offset:128 ; 4-byte Folded Reload
	buffer_load_dword v98, off, s[20:23], 0 offset:132 ; 4-byte Folded Reload
	buffer_load_dword v99, off, s[20:23], 0 offset:136 ; 4-byte Folded Reload
	buffer_load_dword v100, off, s[20:23], 0 offset:140 ; 4-byte Folded Reload
	s_waitcnt vmcnt(0)
	ds_write2_b64 v125, v[97:98], v[99:100] offset0:44 offset1:45
	buffer_load_dword v97, off, s[20:23], 0 offset:112 ; 4-byte Folded Reload
	buffer_load_dword v98, off, s[20:23], 0 offset:116 ; 4-byte Folded Reload
	buffer_load_dword v99, off, s[20:23], 0 offset:120 ; 4-byte Folded Reload
	buffer_load_dword v100, off, s[20:23], 0 offset:124 ; 4-byte Folded Reload
	s_waitcnt vmcnt(0)
	ds_write2_b64 v125, v[97:98], v[99:100] offset0:46 offset1:47
	buffer_load_dword v97, off, s[20:23], 0 offset:96 ; 4-byte Folded Reload
	buffer_load_dword v98, off, s[20:23], 0 offset:100 ; 4-byte Folded Reload
	buffer_load_dword v99, off, s[20:23], 0 offset:104 ; 4-byte Folded Reload
	buffer_load_dword v100, off, s[20:23], 0 offset:108 ; 4-byte Folded Reload
	s_waitcnt vmcnt(0)
	ds_write2_b64 v125, v[97:98], v[99:100] offset0:48 offset1:49
	buffer_load_dword v97, off, s[20:23], 0 offset:80 ; 4-byte Folded Reload
	buffer_load_dword v98, off, s[20:23], 0 offset:84 ; 4-byte Folded Reload
	buffer_load_dword v99, off, s[20:23], 0 offset:88 ; 4-byte Folded Reload
	buffer_load_dword v100, off, s[20:23], 0 offset:92 ; 4-byte Folded Reload
	s_waitcnt vmcnt(0)
	ds_write2_b64 v125, v[97:98], v[99:100] offset0:50 offset1:51
	buffer_load_dword v97, off, s[20:23], 0 offset:64 ; 4-byte Folded Reload
	buffer_load_dword v98, off, s[20:23], 0 offset:68 ; 4-byte Folded Reload
	buffer_load_dword v99, off, s[20:23], 0 offset:72 ; 4-byte Folded Reload
	buffer_load_dword v100, off, s[20:23], 0 offset:76 ; 4-byte Folded Reload
	s_waitcnt vmcnt(0)
	ds_write2_b64 v125, v[97:98], v[99:100] offset0:52 offset1:53
	buffer_load_dword v97, off, s[20:23], 0 offset:48 ; 4-byte Folded Reload
	buffer_load_dword v98, off, s[20:23], 0 offset:52 ; 4-byte Folded Reload
	buffer_load_dword v99, off, s[20:23], 0 offset:56 ; 4-byte Folded Reload
	buffer_load_dword v100, off, s[20:23], 0 offset:60 ; 4-byte Folded Reload
	s_waitcnt vmcnt(0)
	ds_write2_b64 v125, v[97:98], v[99:100] offset0:54 offset1:55
	buffer_load_dword v97, off, s[20:23], 0 offset:32 ; 4-byte Folded Reload
	buffer_load_dword v98, off, s[20:23], 0 offset:36 ; 4-byte Folded Reload
	buffer_load_dword v99, off, s[20:23], 0 offset:40 ; 4-byte Folded Reload
	buffer_load_dword v100, off, s[20:23], 0 offset:44 ; 4-byte Folded Reload
	s_waitcnt vmcnt(0)
	ds_write2_b64 v125, v[97:98], v[99:100] offset0:56 offset1:57
	buffer_load_dword v97, off, s[20:23], 0 offset:16 ; 4-byte Folded Reload
	buffer_load_dword v98, off, s[20:23], 0 offset:20 ; 4-byte Folded Reload
	buffer_load_dword v99, off, s[20:23], 0 offset:24 ; 4-byte Folded Reload
	buffer_load_dword v100, off, s[20:23], 0 offset:28 ; 4-byte Folded Reload
	s_waitcnt vmcnt(0)
	ds_write2_b64 v125, v[97:98], v[99:100] offset0:58 offset1:59
	buffer_load_dword v97, off, s[20:23], 0 ; 4-byte Folded Reload
	buffer_load_dword v98, off, s[20:23], 0 offset:4 ; 4-byte Folded Reload
	buffer_load_dword v99, off, s[20:23], 0 offset:8 ; 4-byte Folded Reload
	;; [unrolled: 1-line block ×3, first 2 shown]
	s_waitcnt vmcnt(0)
	ds_write2_b64 v125, v[97:98], v[99:100] offset0:60 offset1:61
	ds_write2_b64 v125, v[93:94], v[95:96] offset0:62 offset1:63
	;; [unrolled: 1-line block ×24, first 2 shown]
	ds_read2_b64 v[97:100], v127 offset1:1
	s_waitcnt lgkmcnt(0)
	v_cmp_neq_f64_e32 vcc, 0, v[97:98]
	v_cmp_neq_f64_e64 s[2:3], 0, v[99:100]
	s_or_b64 s[2:3], vcc, s[2:3]
	s_and_b64 exec, exec, s[2:3]
	s_cbranch_execz .LBB107_188
; %bb.183:
	v_cmp_ngt_f64_e64 s[2:3], |v[97:98]|, |v[99:100]|
                                        ; implicit-def: $vgpr101_vgpr102
	s_and_saveexec_b64 s[6:7], s[2:3]
	s_xor_b64 s[2:3], exec, s[6:7]
                                        ; implicit-def: $vgpr103_vgpr104
	s_cbranch_execz .LBB107_185
; %bb.184:
	v_div_scale_f64 v[101:102], s[6:7], v[99:100], v[99:100], v[97:98]
	v_rcp_f64_e32 v[103:104], v[101:102]
	v_fma_f64 v[105:106], -v[101:102], v[103:104], 1.0
	v_fma_f64 v[103:104], v[103:104], v[105:106], v[103:104]
	v_div_scale_f64 v[105:106], vcc, v[97:98], v[99:100], v[97:98]
	v_fma_f64 v[107:108], -v[101:102], v[103:104], 1.0
	v_fma_f64 v[103:104], v[103:104], v[107:108], v[103:104]
	v_mul_f64 v[107:108], v[105:106], v[103:104]
	v_fma_f64 v[101:102], -v[101:102], v[107:108], v[105:106]
	v_div_fmas_f64 v[101:102], v[101:102], v[103:104], v[107:108]
	v_div_fixup_f64 v[101:102], v[101:102], v[99:100], v[97:98]
	v_fma_f64 v[97:98], v[97:98], v[101:102], v[99:100]
	v_div_scale_f64 v[99:100], s[6:7], v[97:98], v[97:98], 1.0
	v_div_scale_f64 v[107:108], vcc, 1.0, v[97:98], 1.0
	v_rcp_f64_e32 v[103:104], v[99:100]
	v_fma_f64 v[105:106], -v[99:100], v[103:104], 1.0
	v_fma_f64 v[103:104], v[103:104], v[105:106], v[103:104]
	v_fma_f64 v[105:106], -v[99:100], v[103:104], 1.0
	v_fma_f64 v[103:104], v[103:104], v[105:106], v[103:104]
	v_mul_f64 v[105:106], v[107:108], v[103:104]
	v_fma_f64 v[99:100], -v[99:100], v[105:106], v[107:108]
	v_div_fmas_f64 v[99:100], v[99:100], v[103:104], v[105:106]
	v_div_fixup_f64 v[103:104], v[99:100], v[97:98], 1.0
                                        ; implicit-def: $vgpr97_vgpr98
	v_mul_f64 v[101:102], v[101:102], v[103:104]
	v_xor_b32_e32 v104, 0x80000000, v104
.LBB107_185:
	s_andn2_saveexec_b64 s[2:3], s[2:3]
	s_cbranch_execz .LBB107_187
; %bb.186:
	v_div_scale_f64 v[101:102], s[6:7], v[97:98], v[97:98], v[99:100]
	v_rcp_f64_e32 v[103:104], v[101:102]
	v_fma_f64 v[105:106], -v[101:102], v[103:104], 1.0
	v_fma_f64 v[103:104], v[103:104], v[105:106], v[103:104]
	v_div_scale_f64 v[105:106], vcc, v[99:100], v[97:98], v[99:100]
	v_fma_f64 v[107:108], -v[101:102], v[103:104], 1.0
	v_fma_f64 v[103:104], v[103:104], v[107:108], v[103:104]
	v_mul_f64 v[107:108], v[105:106], v[103:104]
	v_fma_f64 v[101:102], -v[101:102], v[107:108], v[105:106]
	v_div_fmas_f64 v[101:102], v[101:102], v[103:104], v[107:108]
	v_div_fixup_f64 v[103:104], v[101:102], v[97:98], v[99:100]
	v_fma_f64 v[97:98], v[99:100], v[103:104], v[97:98]
	v_div_scale_f64 v[99:100], s[6:7], v[97:98], v[97:98], 1.0
	v_div_scale_f64 v[107:108], vcc, 1.0, v[97:98], 1.0
	v_rcp_f64_e32 v[101:102], v[99:100]
	v_fma_f64 v[105:106], -v[99:100], v[101:102], 1.0
	v_fma_f64 v[101:102], v[101:102], v[105:106], v[101:102]
	v_fma_f64 v[105:106], -v[99:100], v[101:102], 1.0
	v_fma_f64 v[101:102], v[101:102], v[105:106], v[101:102]
	v_mul_f64 v[105:106], v[107:108], v[101:102]
	v_fma_f64 v[99:100], -v[99:100], v[105:106], v[107:108]
	v_div_fmas_f64 v[99:100], v[99:100], v[101:102], v[105:106]
	v_div_fixup_f64 v[101:102], v[99:100], v[97:98], 1.0
	v_mul_f64 v[103:104], v[103:104], -v[101:102]
.LBB107_187:
	s_or_b64 exec, exec, s[2:3]
	ds_write2_b64 v127, v[101:102], v[103:104] offset1:1
.LBB107_188:
	s_or_b64 exec, exec, s[4:5]
	s_waitcnt lgkmcnt(0)
	s_barrier
	ds_read2_b64 v[87:90], v127 offset1:1
	v_cmp_lt_u32_e32 vcc, 20, v0
	s_waitcnt lgkmcnt(0)
	buffer_store_dword v87, off, s[20:23], 0 offset:1240 ; 4-byte Folded Spill
	s_nop 0
	buffer_store_dword v88, off, s[20:23], 0 offset:1244 ; 4-byte Folded Spill
	buffer_store_dword v89, off, s[20:23], 0 offset:1248 ; 4-byte Folded Spill
	;; [unrolled: 1-line block ×3, first 2 shown]
	s_and_saveexec_b64 s[2:3], vcc
	s_cbranch_execz .LBB107_190
; %bb.189:
	buffer_load_dword v107, off, s[20:23], 0 offset:160 ; 4-byte Folded Reload
	buffer_load_dword v108, off, s[20:23], 0 offset:164 ; 4-byte Folded Reload
	;; [unrolled: 1-line block ×8, first 2 shown]
	s_waitcnt vmcnt(2)
	v_mul_f64 v[99:100], v[87:88], v[109:110]
	s_waitcnt vmcnt(0)
	v_mul_f64 v[97:98], v[89:90], v[109:110]
	v_fma_f64 v[109:110], v[89:90], v[107:108], v[99:100]
	ds_read2_b64 v[99:102], v125 offset0:42 offset1:43
	v_fma_f64 v[97:98], v[87:88], v[107:108], -v[97:98]
	buffer_load_dword v105, off, s[20:23], 0 offset:144 ; 4-byte Folded Reload
	buffer_load_dword v106, off, s[20:23], 0 offset:148 ; 4-byte Folded Reload
	buffer_load_dword v107, off, s[20:23], 0 offset:152 ; 4-byte Folded Reload
	buffer_load_dword v108, off, s[20:23], 0 offset:156 ; 4-byte Folded Reload
	s_waitcnt lgkmcnt(0)
	v_mul_f64 v[103:104], v[101:102], v[109:110]
	v_fma_f64 v[103:104], v[99:100], v[97:98], -v[103:104]
	v_mul_f64 v[99:100], v[99:100], v[109:110]
	v_fma_f64 v[99:100], v[101:102], v[97:98], v[99:100]
	s_waitcnt vmcnt(2)
	v_add_f64 v[105:106], v[105:106], -v[103:104]
	s_waitcnt vmcnt(0)
	v_add_f64 v[107:108], v[107:108], -v[99:100]
	buffer_store_dword v105, off, s[20:23], 0 offset:144 ; 4-byte Folded Spill
	s_nop 0
	buffer_store_dword v106, off, s[20:23], 0 offset:148 ; 4-byte Folded Spill
	buffer_store_dword v107, off, s[20:23], 0 offset:152 ; 4-byte Folded Spill
	buffer_store_dword v108, off, s[20:23], 0 offset:156 ; 4-byte Folded Spill
	ds_read2_b64 v[99:102], v125 offset0:44 offset1:45
	buffer_load_dword v105, off, s[20:23], 0 offset:128 ; 4-byte Folded Reload
	buffer_load_dword v106, off, s[20:23], 0 offset:132 ; 4-byte Folded Reload
	buffer_load_dword v107, off, s[20:23], 0 offset:136 ; 4-byte Folded Reload
	buffer_load_dword v108, off, s[20:23], 0 offset:140 ; 4-byte Folded Reload
	s_waitcnt lgkmcnt(0)
	v_mul_f64 v[103:104], v[101:102], v[109:110]
	v_fma_f64 v[103:104], v[99:100], v[97:98], -v[103:104]
	v_mul_f64 v[99:100], v[99:100], v[109:110]
	v_fma_f64 v[99:100], v[101:102], v[97:98], v[99:100]
	s_waitcnt vmcnt(2)
	v_add_f64 v[105:106], v[105:106], -v[103:104]
	s_waitcnt vmcnt(0)
	v_add_f64 v[107:108], v[107:108], -v[99:100]
	buffer_store_dword v105, off, s[20:23], 0 offset:128 ; 4-byte Folded Spill
	s_nop 0
	buffer_store_dword v106, off, s[20:23], 0 offset:132 ; 4-byte Folded Spill
	buffer_store_dword v107, off, s[20:23], 0 offset:136 ; 4-byte Folded Spill
	buffer_store_dword v108, off, s[20:23], 0 offset:140 ; 4-byte Folded Spill
	ds_read2_b64 v[99:102], v125 offset0:46 offset1:47
	;; [unrolled: 19-line block ×9, first 2 shown]
	buffer_load_dword v105, off, s[20:23], 0 ; 4-byte Folded Reload
	buffer_load_dword v106, off, s[20:23], 0 offset:4 ; 4-byte Folded Reload
	buffer_load_dword v107, off, s[20:23], 0 offset:8 ; 4-byte Folded Reload
	;; [unrolled: 1-line block ×3, first 2 shown]
	s_waitcnt lgkmcnt(0)
	v_mul_f64 v[103:104], v[101:102], v[109:110]
	v_fma_f64 v[103:104], v[99:100], v[97:98], -v[103:104]
	v_mul_f64 v[99:100], v[99:100], v[109:110]
	v_fma_f64 v[99:100], v[101:102], v[97:98], v[99:100]
	s_waitcnt vmcnt(2)
	v_add_f64 v[105:106], v[105:106], -v[103:104]
	s_waitcnt vmcnt(0)
	v_add_f64 v[107:108], v[107:108], -v[99:100]
	buffer_store_dword v105, off, s[20:23], 0 ; 4-byte Folded Spill
	s_nop 0
	buffer_store_dword v106, off, s[20:23], 0 offset:4 ; 4-byte Folded Spill
	buffer_store_dword v107, off, s[20:23], 0 offset:8 ; 4-byte Folded Spill
	;; [unrolled: 1-line block ×3, first 2 shown]
	ds_read2_b64 v[99:102], v125 offset0:62 offset1:63
	v_mov_b32_e32 v108, v98
	v_mov_b32_e32 v107, v97
	s_waitcnt lgkmcnt(0)
	v_mul_f64 v[103:104], v[101:102], v[109:110]
	v_fma_f64 v[103:104], v[99:100], v[97:98], -v[103:104]
	v_mul_f64 v[99:100], v[99:100], v[109:110]
	v_add_f64 v[93:94], v[93:94], -v[103:104]
	v_fma_f64 v[99:100], v[101:102], v[97:98], v[99:100]
	v_add_f64 v[95:96], v[95:96], -v[99:100]
	ds_read2_b64 v[99:102], v125 offset0:64 offset1:65
	s_waitcnt lgkmcnt(0)
	v_mul_f64 v[103:104], v[101:102], v[109:110]
	v_fma_f64 v[103:104], v[99:100], v[97:98], -v[103:104]
	v_mul_f64 v[99:100], v[99:100], v[109:110]
	v_add_f64 v[81:82], v[81:82], -v[103:104]
	v_fma_f64 v[99:100], v[101:102], v[97:98], v[99:100]
	v_add_f64 v[83:84], v[83:84], -v[99:100]
	ds_read2_b64 v[99:102], v125 offset0:66 offset1:67
	;; [unrolled: 8-line block ×22, first 2 shown]
	s_waitcnt lgkmcnt(0)
	v_mul_f64 v[103:104], v[101:102], v[109:110]
	v_fma_f64 v[103:104], v[99:100], v[97:98], -v[103:104]
	v_mul_f64 v[99:100], v[99:100], v[109:110]
	buffer_store_dword v107, off, s[20:23], 0 offset:160 ; 4-byte Folded Spill
	s_nop 0
	buffer_store_dword v108, off, s[20:23], 0 offset:164 ; 4-byte Folded Spill
	buffer_store_dword v109, off, s[20:23], 0 offset:168 ; 4-byte Folded Spill
	;; [unrolled: 1-line block ×3, first 2 shown]
	v_add_f64 v[121:122], v[121:122], -v[103:104]
	v_fma_f64 v[99:100], v[101:102], v[97:98], v[99:100]
	v_add_f64 v[123:124], v[123:124], -v[99:100]
.LBB107_190:
	s_or_b64 exec, exec, s[2:3]
	v_cmp_eq_u32_e32 vcc, 21, v0
	s_waitcnt vmcnt(0)
	s_barrier
	s_and_saveexec_b64 s[4:5], vcc
	s_cbranch_execz .LBB107_197
; %bb.191:
	buffer_load_dword v97, off, s[20:23], 0 offset:144 ; 4-byte Folded Reload
	buffer_load_dword v98, off, s[20:23], 0 offset:148 ; 4-byte Folded Reload
	;; [unrolled: 1-line block ×4, first 2 shown]
	s_waitcnt vmcnt(0)
	ds_write2_b64 v127, v[97:98], v[99:100] offset1:1
	buffer_load_dword v97, off, s[20:23], 0 offset:128 ; 4-byte Folded Reload
	buffer_load_dword v98, off, s[20:23], 0 offset:132 ; 4-byte Folded Reload
	buffer_load_dword v99, off, s[20:23], 0 offset:136 ; 4-byte Folded Reload
	buffer_load_dword v100, off, s[20:23], 0 offset:140 ; 4-byte Folded Reload
	s_waitcnt vmcnt(0)
	ds_write2_b64 v125, v[97:98], v[99:100] offset0:44 offset1:45
	buffer_load_dword v97, off, s[20:23], 0 offset:112 ; 4-byte Folded Reload
	buffer_load_dword v98, off, s[20:23], 0 offset:116 ; 4-byte Folded Reload
	buffer_load_dword v99, off, s[20:23], 0 offset:120 ; 4-byte Folded Reload
	buffer_load_dword v100, off, s[20:23], 0 offset:124 ; 4-byte Folded Reload
	s_waitcnt vmcnt(0)
	ds_write2_b64 v125, v[97:98], v[99:100] offset0:46 offset1:47
	;; [unrolled: 6-line block ×8, first 2 shown]
	buffer_load_dword v97, off, s[20:23], 0 ; 4-byte Folded Reload
	buffer_load_dword v98, off, s[20:23], 0 offset:4 ; 4-byte Folded Reload
	buffer_load_dword v99, off, s[20:23], 0 offset:8 ; 4-byte Folded Reload
	;; [unrolled: 1-line block ×3, first 2 shown]
	s_waitcnt vmcnt(0)
	ds_write2_b64 v125, v[97:98], v[99:100] offset0:60 offset1:61
	ds_write2_b64 v125, v[93:94], v[95:96] offset0:62 offset1:63
	;; [unrolled: 1-line block ×24, first 2 shown]
	ds_read2_b64 v[97:100], v127 offset1:1
	s_waitcnt lgkmcnt(0)
	v_cmp_neq_f64_e32 vcc, 0, v[97:98]
	v_cmp_neq_f64_e64 s[2:3], 0, v[99:100]
	s_or_b64 s[2:3], vcc, s[2:3]
	s_and_b64 exec, exec, s[2:3]
	s_cbranch_execz .LBB107_197
; %bb.192:
	v_cmp_ngt_f64_e64 s[2:3], |v[97:98]|, |v[99:100]|
                                        ; implicit-def: $vgpr101_vgpr102
	s_and_saveexec_b64 s[6:7], s[2:3]
	s_xor_b64 s[2:3], exec, s[6:7]
                                        ; implicit-def: $vgpr103_vgpr104
	s_cbranch_execz .LBB107_194
; %bb.193:
	v_div_scale_f64 v[101:102], s[6:7], v[99:100], v[99:100], v[97:98]
	v_rcp_f64_e32 v[103:104], v[101:102]
	v_fma_f64 v[105:106], -v[101:102], v[103:104], 1.0
	v_fma_f64 v[103:104], v[103:104], v[105:106], v[103:104]
	v_div_scale_f64 v[105:106], vcc, v[97:98], v[99:100], v[97:98]
	v_fma_f64 v[107:108], -v[101:102], v[103:104], 1.0
	v_fma_f64 v[103:104], v[103:104], v[107:108], v[103:104]
	v_mul_f64 v[107:108], v[105:106], v[103:104]
	v_fma_f64 v[101:102], -v[101:102], v[107:108], v[105:106]
	v_div_fmas_f64 v[101:102], v[101:102], v[103:104], v[107:108]
	v_div_fixup_f64 v[101:102], v[101:102], v[99:100], v[97:98]
	v_fma_f64 v[97:98], v[97:98], v[101:102], v[99:100]
	v_div_scale_f64 v[99:100], s[6:7], v[97:98], v[97:98], 1.0
	v_div_scale_f64 v[107:108], vcc, 1.0, v[97:98], 1.0
	v_rcp_f64_e32 v[103:104], v[99:100]
	v_fma_f64 v[105:106], -v[99:100], v[103:104], 1.0
	v_fma_f64 v[103:104], v[103:104], v[105:106], v[103:104]
	v_fma_f64 v[105:106], -v[99:100], v[103:104], 1.0
	v_fma_f64 v[103:104], v[103:104], v[105:106], v[103:104]
	v_mul_f64 v[105:106], v[107:108], v[103:104]
	v_fma_f64 v[99:100], -v[99:100], v[105:106], v[107:108]
	v_div_fmas_f64 v[99:100], v[99:100], v[103:104], v[105:106]
	v_div_fixup_f64 v[103:104], v[99:100], v[97:98], 1.0
                                        ; implicit-def: $vgpr97_vgpr98
	v_mul_f64 v[101:102], v[101:102], v[103:104]
	v_xor_b32_e32 v104, 0x80000000, v104
.LBB107_194:
	s_andn2_saveexec_b64 s[2:3], s[2:3]
	s_cbranch_execz .LBB107_196
; %bb.195:
	v_div_scale_f64 v[101:102], s[6:7], v[97:98], v[97:98], v[99:100]
	v_rcp_f64_e32 v[103:104], v[101:102]
	v_fma_f64 v[105:106], -v[101:102], v[103:104], 1.0
	v_fma_f64 v[103:104], v[103:104], v[105:106], v[103:104]
	v_div_scale_f64 v[105:106], vcc, v[99:100], v[97:98], v[99:100]
	v_fma_f64 v[107:108], -v[101:102], v[103:104], 1.0
	v_fma_f64 v[103:104], v[103:104], v[107:108], v[103:104]
	v_mul_f64 v[107:108], v[105:106], v[103:104]
	v_fma_f64 v[101:102], -v[101:102], v[107:108], v[105:106]
	v_div_fmas_f64 v[101:102], v[101:102], v[103:104], v[107:108]
	v_div_fixup_f64 v[103:104], v[101:102], v[97:98], v[99:100]
	v_fma_f64 v[97:98], v[99:100], v[103:104], v[97:98]
	v_div_scale_f64 v[99:100], s[6:7], v[97:98], v[97:98], 1.0
	v_div_scale_f64 v[107:108], vcc, 1.0, v[97:98], 1.0
	v_rcp_f64_e32 v[101:102], v[99:100]
	v_fma_f64 v[105:106], -v[99:100], v[101:102], 1.0
	v_fma_f64 v[101:102], v[101:102], v[105:106], v[101:102]
	v_fma_f64 v[105:106], -v[99:100], v[101:102], 1.0
	v_fma_f64 v[101:102], v[101:102], v[105:106], v[101:102]
	v_mul_f64 v[105:106], v[107:108], v[101:102]
	v_fma_f64 v[99:100], -v[99:100], v[105:106], v[107:108]
	v_div_fmas_f64 v[99:100], v[99:100], v[101:102], v[105:106]
	v_div_fixup_f64 v[101:102], v[99:100], v[97:98], 1.0
	v_mul_f64 v[103:104], v[103:104], -v[101:102]
.LBB107_196:
	s_or_b64 exec, exec, s[2:3]
	ds_write2_b64 v127, v[101:102], v[103:104] offset1:1
.LBB107_197:
	s_or_b64 exec, exec, s[4:5]
	s_waitcnt lgkmcnt(0)
	s_barrier
	ds_read2_b64 v[87:90], v127 offset1:1
	v_cmp_lt_u32_e32 vcc, 21, v0
	s_waitcnt lgkmcnt(0)
	buffer_store_dword v87, off, s[20:23], 0 offset:1256 ; 4-byte Folded Spill
	s_nop 0
	buffer_store_dword v88, off, s[20:23], 0 offset:1260 ; 4-byte Folded Spill
	buffer_store_dword v89, off, s[20:23], 0 offset:1264 ; 4-byte Folded Spill
	;; [unrolled: 1-line block ×3, first 2 shown]
	s_and_saveexec_b64 s[2:3], vcc
	s_cbranch_execz .LBB107_199
; %bb.198:
	buffer_load_dword v107, off, s[20:23], 0 offset:144 ; 4-byte Folded Reload
	buffer_load_dword v108, off, s[20:23], 0 offset:148 ; 4-byte Folded Reload
	;; [unrolled: 1-line block ×8, first 2 shown]
	s_waitcnt vmcnt(2)
	v_mul_f64 v[99:100], v[87:88], v[109:110]
	s_waitcnt vmcnt(0)
	v_mul_f64 v[97:98], v[89:90], v[109:110]
	v_fma_f64 v[109:110], v[89:90], v[107:108], v[99:100]
	ds_read2_b64 v[99:102], v125 offset0:44 offset1:45
	v_fma_f64 v[97:98], v[87:88], v[107:108], -v[97:98]
	buffer_load_dword v105, off, s[20:23], 0 offset:128 ; 4-byte Folded Reload
	buffer_load_dword v106, off, s[20:23], 0 offset:132 ; 4-byte Folded Reload
	buffer_load_dword v107, off, s[20:23], 0 offset:136 ; 4-byte Folded Reload
	buffer_load_dword v108, off, s[20:23], 0 offset:140 ; 4-byte Folded Reload
	s_waitcnt lgkmcnt(0)
	v_mul_f64 v[103:104], v[101:102], v[109:110]
	v_fma_f64 v[103:104], v[99:100], v[97:98], -v[103:104]
	v_mul_f64 v[99:100], v[99:100], v[109:110]
	v_fma_f64 v[99:100], v[101:102], v[97:98], v[99:100]
	s_waitcnt vmcnt(2)
	v_add_f64 v[105:106], v[105:106], -v[103:104]
	s_waitcnt vmcnt(0)
	v_add_f64 v[107:108], v[107:108], -v[99:100]
	buffer_store_dword v105, off, s[20:23], 0 offset:128 ; 4-byte Folded Spill
	s_nop 0
	buffer_store_dword v106, off, s[20:23], 0 offset:132 ; 4-byte Folded Spill
	buffer_store_dword v107, off, s[20:23], 0 offset:136 ; 4-byte Folded Spill
	buffer_store_dword v108, off, s[20:23], 0 offset:140 ; 4-byte Folded Spill
	ds_read2_b64 v[99:102], v125 offset0:46 offset1:47
	buffer_load_dword v105, off, s[20:23], 0 offset:112 ; 4-byte Folded Reload
	buffer_load_dword v106, off, s[20:23], 0 offset:116 ; 4-byte Folded Reload
	buffer_load_dword v107, off, s[20:23], 0 offset:120 ; 4-byte Folded Reload
	buffer_load_dword v108, off, s[20:23], 0 offset:124 ; 4-byte Folded Reload
	s_waitcnt lgkmcnt(0)
	v_mul_f64 v[103:104], v[101:102], v[109:110]
	v_fma_f64 v[103:104], v[99:100], v[97:98], -v[103:104]
	v_mul_f64 v[99:100], v[99:100], v[109:110]
	v_fma_f64 v[99:100], v[101:102], v[97:98], v[99:100]
	s_waitcnt vmcnt(2)
	v_add_f64 v[105:106], v[105:106], -v[103:104]
	s_waitcnt vmcnt(0)
	v_add_f64 v[107:108], v[107:108], -v[99:100]
	buffer_store_dword v105, off, s[20:23], 0 offset:112 ; 4-byte Folded Spill
	s_nop 0
	buffer_store_dword v106, off, s[20:23], 0 offset:116 ; 4-byte Folded Spill
	buffer_store_dword v107, off, s[20:23], 0 offset:120 ; 4-byte Folded Spill
	buffer_store_dword v108, off, s[20:23], 0 offset:124 ; 4-byte Folded Spill
	ds_read2_b64 v[99:102], v125 offset0:48 offset1:49
	;; [unrolled: 19-line block ×8, first 2 shown]
	buffer_load_dword v105, off, s[20:23], 0 ; 4-byte Folded Reload
	buffer_load_dword v106, off, s[20:23], 0 offset:4 ; 4-byte Folded Reload
	buffer_load_dword v107, off, s[20:23], 0 offset:8 ; 4-byte Folded Reload
	;; [unrolled: 1-line block ×3, first 2 shown]
	s_waitcnt lgkmcnt(0)
	v_mul_f64 v[103:104], v[101:102], v[109:110]
	v_fma_f64 v[103:104], v[99:100], v[97:98], -v[103:104]
	v_mul_f64 v[99:100], v[99:100], v[109:110]
	v_fma_f64 v[99:100], v[101:102], v[97:98], v[99:100]
	s_waitcnt vmcnt(2)
	v_add_f64 v[105:106], v[105:106], -v[103:104]
	s_waitcnt vmcnt(0)
	v_add_f64 v[107:108], v[107:108], -v[99:100]
	buffer_store_dword v105, off, s[20:23], 0 ; 4-byte Folded Spill
	s_nop 0
	buffer_store_dword v106, off, s[20:23], 0 offset:4 ; 4-byte Folded Spill
	buffer_store_dword v107, off, s[20:23], 0 offset:8 ; 4-byte Folded Spill
	;; [unrolled: 1-line block ×3, first 2 shown]
	ds_read2_b64 v[99:102], v125 offset0:62 offset1:63
	v_mov_b32_e32 v108, v98
	v_mov_b32_e32 v107, v97
	s_waitcnt lgkmcnt(0)
	v_mul_f64 v[103:104], v[101:102], v[109:110]
	v_fma_f64 v[103:104], v[99:100], v[97:98], -v[103:104]
	v_mul_f64 v[99:100], v[99:100], v[109:110]
	v_add_f64 v[93:94], v[93:94], -v[103:104]
	v_fma_f64 v[99:100], v[101:102], v[97:98], v[99:100]
	v_add_f64 v[95:96], v[95:96], -v[99:100]
	ds_read2_b64 v[99:102], v125 offset0:64 offset1:65
	s_waitcnt lgkmcnt(0)
	v_mul_f64 v[103:104], v[101:102], v[109:110]
	v_fma_f64 v[103:104], v[99:100], v[97:98], -v[103:104]
	v_mul_f64 v[99:100], v[99:100], v[109:110]
	v_add_f64 v[81:82], v[81:82], -v[103:104]
	v_fma_f64 v[99:100], v[101:102], v[97:98], v[99:100]
	v_add_f64 v[83:84], v[83:84], -v[99:100]
	ds_read2_b64 v[99:102], v125 offset0:66 offset1:67
	;; [unrolled: 8-line block ×22, first 2 shown]
	s_waitcnt lgkmcnt(0)
	v_mul_f64 v[103:104], v[101:102], v[109:110]
	v_fma_f64 v[103:104], v[99:100], v[97:98], -v[103:104]
	v_mul_f64 v[99:100], v[99:100], v[109:110]
	buffer_store_dword v107, off, s[20:23], 0 offset:144 ; 4-byte Folded Spill
	s_nop 0
	buffer_store_dword v108, off, s[20:23], 0 offset:148 ; 4-byte Folded Spill
	buffer_store_dword v109, off, s[20:23], 0 offset:152 ; 4-byte Folded Spill
	;; [unrolled: 1-line block ×3, first 2 shown]
	v_add_f64 v[121:122], v[121:122], -v[103:104]
	v_fma_f64 v[99:100], v[101:102], v[97:98], v[99:100]
	v_add_f64 v[123:124], v[123:124], -v[99:100]
.LBB107_199:
	s_or_b64 exec, exec, s[2:3]
	v_cmp_eq_u32_e32 vcc, 22, v0
	s_waitcnt vmcnt(0)
	s_barrier
	s_and_saveexec_b64 s[4:5], vcc
	s_cbranch_execz .LBB107_206
; %bb.200:
	buffer_load_dword v97, off, s[20:23], 0 offset:128 ; 4-byte Folded Reload
	buffer_load_dword v98, off, s[20:23], 0 offset:132 ; 4-byte Folded Reload
	;; [unrolled: 1-line block ×4, first 2 shown]
	s_waitcnt vmcnt(0)
	ds_write2_b64 v127, v[97:98], v[99:100] offset1:1
	buffer_load_dword v97, off, s[20:23], 0 offset:112 ; 4-byte Folded Reload
	buffer_load_dword v98, off, s[20:23], 0 offset:116 ; 4-byte Folded Reload
	buffer_load_dword v99, off, s[20:23], 0 offset:120 ; 4-byte Folded Reload
	buffer_load_dword v100, off, s[20:23], 0 offset:124 ; 4-byte Folded Reload
	s_waitcnt vmcnt(0)
	ds_write2_b64 v125, v[97:98], v[99:100] offset0:46 offset1:47
	buffer_load_dword v97, off, s[20:23], 0 offset:96 ; 4-byte Folded Reload
	buffer_load_dword v98, off, s[20:23], 0 offset:100 ; 4-byte Folded Reload
	buffer_load_dword v99, off, s[20:23], 0 offset:104 ; 4-byte Folded Reload
	buffer_load_dword v100, off, s[20:23], 0 offset:108 ; 4-byte Folded Reload
	s_waitcnt vmcnt(0)
	ds_write2_b64 v125, v[97:98], v[99:100] offset0:48 offset1:49
	buffer_load_dword v97, off, s[20:23], 0 offset:80 ; 4-byte Folded Reload
	buffer_load_dword v98, off, s[20:23], 0 offset:84 ; 4-byte Folded Reload
	buffer_load_dword v99, off, s[20:23], 0 offset:88 ; 4-byte Folded Reload
	buffer_load_dword v100, off, s[20:23], 0 offset:92 ; 4-byte Folded Reload
	s_waitcnt vmcnt(0)
	ds_write2_b64 v125, v[97:98], v[99:100] offset0:50 offset1:51
	buffer_load_dword v97, off, s[20:23], 0 offset:64 ; 4-byte Folded Reload
	buffer_load_dword v98, off, s[20:23], 0 offset:68 ; 4-byte Folded Reload
	buffer_load_dword v99, off, s[20:23], 0 offset:72 ; 4-byte Folded Reload
	buffer_load_dword v100, off, s[20:23], 0 offset:76 ; 4-byte Folded Reload
	s_waitcnt vmcnt(0)
	ds_write2_b64 v125, v[97:98], v[99:100] offset0:52 offset1:53
	buffer_load_dword v97, off, s[20:23], 0 offset:48 ; 4-byte Folded Reload
	buffer_load_dword v98, off, s[20:23], 0 offset:52 ; 4-byte Folded Reload
	buffer_load_dword v99, off, s[20:23], 0 offset:56 ; 4-byte Folded Reload
	buffer_load_dword v100, off, s[20:23], 0 offset:60 ; 4-byte Folded Reload
	s_waitcnt vmcnt(0)
	ds_write2_b64 v125, v[97:98], v[99:100] offset0:54 offset1:55
	buffer_load_dword v97, off, s[20:23], 0 offset:32 ; 4-byte Folded Reload
	buffer_load_dword v98, off, s[20:23], 0 offset:36 ; 4-byte Folded Reload
	buffer_load_dword v99, off, s[20:23], 0 offset:40 ; 4-byte Folded Reload
	buffer_load_dword v100, off, s[20:23], 0 offset:44 ; 4-byte Folded Reload
	s_waitcnt vmcnt(0)
	ds_write2_b64 v125, v[97:98], v[99:100] offset0:56 offset1:57
	buffer_load_dword v97, off, s[20:23], 0 offset:16 ; 4-byte Folded Reload
	buffer_load_dword v98, off, s[20:23], 0 offset:20 ; 4-byte Folded Reload
	buffer_load_dword v99, off, s[20:23], 0 offset:24 ; 4-byte Folded Reload
	buffer_load_dword v100, off, s[20:23], 0 offset:28 ; 4-byte Folded Reload
	s_waitcnt vmcnt(0)
	ds_write2_b64 v125, v[97:98], v[99:100] offset0:58 offset1:59
	buffer_load_dword v97, off, s[20:23], 0 ; 4-byte Folded Reload
	buffer_load_dword v98, off, s[20:23], 0 offset:4 ; 4-byte Folded Reload
	buffer_load_dword v99, off, s[20:23], 0 offset:8 ; 4-byte Folded Reload
	;; [unrolled: 1-line block ×3, first 2 shown]
	s_waitcnt vmcnt(0)
	ds_write2_b64 v125, v[97:98], v[99:100] offset0:60 offset1:61
	ds_write2_b64 v125, v[93:94], v[95:96] offset0:62 offset1:63
	;; [unrolled: 1-line block ×24, first 2 shown]
	ds_read2_b64 v[97:100], v127 offset1:1
	s_waitcnt lgkmcnt(0)
	v_cmp_neq_f64_e32 vcc, 0, v[97:98]
	v_cmp_neq_f64_e64 s[2:3], 0, v[99:100]
	s_or_b64 s[2:3], vcc, s[2:3]
	s_and_b64 exec, exec, s[2:3]
	s_cbranch_execz .LBB107_206
; %bb.201:
	v_cmp_ngt_f64_e64 s[2:3], |v[97:98]|, |v[99:100]|
                                        ; implicit-def: $vgpr101_vgpr102
	s_and_saveexec_b64 s[6:7], s[2:3]
	s_xor_b64 s[2:3], exec, s[6:7]
                                        ; implicit-def: $vgpr103_vgpr104
	s_cbranch_execz .LBB107_203
; %bb.202:
	v_div_scale_f64 v[101:102], s[6:7], v[99:100], v[99:100], v[97:98]
	v_rcp_f64_e32 v[103:104], v[101:102]
	v_fma_f64 v[105:106], -v[101:102], v[103:104], 1.0
	v_fma_f64 v[103:104], v[103:104], v[105:106], v[103:104]
	v_div_scale_f64 v[105:106], vcc, v[97:98], v[99:100], v[97:98]
	v_fma_f64 v[107:108], -v[101:102], v[103:104], 1.0
	v_fma_f64 v[103:104], v[103:104], v[107:108], v[103:104]
	v_mul_f64 v[107:108], v[105:106], v[103:104]
	v_fma_f64 v[101:102], -v[101:102], v[107:108], v[105:106]
	v_div_fmas_f64 v[101:102], v[101:102], v[103:104], v[107:108]
	v_div_fixup_f64 v[101:102], v[101:102], v[99:100], v[97:98]
	v_fma_f64 v[97:98], v[97:98], v[101:102], v[99:100]
	v_div_scale_f64 v[99:100], s[6:7], v[97:98], v[97:98], 1.0
	v_div_scale_f64 v[107:108], vcc, 1.0, v[97:98], 1.0
	v_rcp_f64_e32 v[103:104], v[99:100]
	v_fma_f64 v[105:106], -v[99:100], v[103:104], 1.0
	v_fma_f64 v[103:104], v[103:104], v[105:106], v[103:104]
	v_fma_f64 v[105:106], -v[99:100], v[103:104], 1.0
	v_fma_f64 v[103:104], v[103:104], v[105:106], v[103:104]
	v_mul_f64 v[105:106], v[107:108], v[103:104]
	v_fma_f64 v[99:100], -v[99:100], v[105:106], v[107:108]
	v_div_fmas_f64 v[99:100], v[99:100], v[103:104], v[105:106]
	v_div_fixup_f64 v[103:104], v[99:100], v[97:98], 1.0
                                        ; implicit-def: $vgpr97_vgpr98
	v_mul_f64 v[101:102], v[101:102], v[103:104]
	v_xor_b32_e32 v104, 0x80000000, v104
.LBB107_203:
	s_andn2_saveexec_b64 s[2:3], s[2:3]
	s_cbranch_execz .LBB107_205
; %bb.204:
	v_div_scale_f64 v[101:102], s[6:7], v[97:98], v[97:98], v[99:100]
	v_rcp_f64_e32 v[103:104], v[101:102]
	v_fma_f64 v[105:106], -v[101:102], v[103:104], 1.0
	v_fma_f64 v[103:104], v[103:104], v[105:106], v[103:104]
	v_div_scale_f64 v[105:106], vcc, v[99:100], v[97:98], v[99:100]
	v_fma_f64 v[107:108], -v[101:102], v[103:104], 1.0
	v_fma_f64 v[103:104], v[103:104], v[107:108], v[103:104]
	v_mul_f64 v[107:108], v[105:106], v[103:104]
	v_fma_f64 v[101:102], -v[101:102], v[107:108], v[105:106]
	v_div_fmas_f64 v[101:102], v[101:102], v[103:104], v[107:108]
	v_div_fixup_f64 v[103:104], v[101:102], v[97:98], v[99:100]
	v_fma_f64 v[97:98], v[99:100], v[103:104], v[97:98]
	v_div_scale_f64 v[99:100], s[6:7], v[97:98], v[97:98], 1.0
	v_div_scale_f64 v[107:108], vcc, 1.0, v[97:98], 1.0
	v_rcp_f64_e32 v[101:102], v[99:100]
	v_fma_f64 v[105:106], -v[99:100], v[101:102], 1.0
	v_fma_f64 v[101:102], v[101:102], v[105:106], v[101:102]
	v_fma_f64 v[105:106], -v[99:100], v[101:102], 1.0
	v_fma_f64 v[101:102], v[101:102], v[105:106], v[101:102]
	v_mul_f64 v[105:106], v[107:108], v[101:102]
	v_fma_f64 v[99:100], -v[99:100], v[105:106], v[107:108]
	v_div_fmas_f64 v[99:100], v[99:100], v[101:102], v[105:106]
	v_div_fixup_f64 v[101:102], v[99:100], v[97:98], 1.0
	v_mul_f64 v[103:104], v[103:104], -v[101:102]
.LBB107_205:
	s_or_b64 exec, exec, s[2:3]
	ds_write2_b64 v127, v[101:102], v[103:104] offset1:1
.LBB107_206:
	s_or_b64 exec, exec, s[4:5]
	s_waitcnt lgkmcnt(0)
	s_barrier
	ds_read2_b64 v[87:90], v127 offset1:1
	v_cmp_lt_u32_e32 vcc, 22, v0
	s_waitcnt lgkmcnt(0)
	buffer_store_dword v87, off, s[20:23], 0 offset:1272 ; 4-byte Folded Spill
	s_nop 0
	buffer_store_dword v88, off, s[20:23], 0 offset:1276 ; 4-byte Folded Spill
	buffer_store_dword v89, off, s[20:23], 0 offset:1280 ; 4-byte Folded Spill
	;; [unrolled: 1-line block ×3, first 2 shown]
	s_and_saveexec_b64 s[2:3], vcc
	s_cbranch_execz .LBB107_208
; %bb.207:
	buffer_load_dword v107, off, s[20:23], 0 offset:128 ; 4-byte Folded Reload
	buffer_load_dword v108, off, s[20:23], 0 offset:132 ; 4-byte Folded Reload
	;; [unrolled: 1-line block ×8, first 2 shown]
	s_waitcnt vmcnt(2)
	v_mul_f64 v[99:100], v[87:88], v[109:110]
	s_waitcnt vmcnt(0)
	v_mul_f64 v[97:98], v[89:90], v[109:110]
	v_fma_f64 v[109:110], v[89:90], v[107:108], v[99:100]
	ds_read2_b64 v[99:102], v125 offset0:46 offset1:47
	v_fma_f64 v[97:98], v[87:88], v[107:108], -v[97:98]
	buffer_load_dword v105, off, s[20:23], 0 offset:112 ; 4-byte Folded Reload
	buffer_load_dword v106, off, s[20:23], 0 offset:116 ; 4-byte Folded Reload
	buffer_load_dword v107, off, s[20:23], 0 offset:120 ; 4-byte Folded Reload
	buffer_load_dword v108, off, s[20:23], 0 offset:124 ; 4-byte Folded Reload
	s_waitcnt lgkmcnt(0)
	v_mul_f64 v[103:104], v[101:102], v[109:110]
	v_fma_f64 v[103:104], v[99:100], v[97:98], -v[103:104]
	v_mul_f64 v[99:100], v[99:100], v[109:110]
	v_fma_f64 v[99:100], v[101:102], v[97:98], v[99:100]
	s_waitcnt vmcnt(2)
	v_add_f64 v[105:106], v[105:106], -v[103:104]
	s_waitcnt vmcnt(0)
	v_add_f64 v[107:108], v[107:108], -v[99:100]
	buffer_store_dword v105, off, s[20:23], 0 offset:112 ; 4-byte Folded Spill
	s_nop 0
	buffer_store_dword v106, off, s[20:23], 0 offset:116 ; 4-byte Folded Spill
	buffer_store_dword v107, off, s[20:23], 0 offset:120 ; 4-byte Folded Spill
	buffer_store_dword v108, off, s[20:23], 0 offset:124 ; 4-byte Folded Spill
	ds_read2_b64 v[99:102], v125 offset0:48 offset1:49
	buffer_load_dword v105, off, s[20:23], 0 offset:96 ; 4-byte Folded Reload
	buffer_load_dword v106, off, s[20:23], 0 offset:100 ; 4-byte Folded Reload
	buffer_load_dword v107, off, s[20:23], 0 offset:104 ; 4-byte Folded Reload
	buffer_load_dword v108, off, s[20:23], 0 offset:108 ; 4-byte Folded Reload
	s_waitcnt lgkmcnt(0)
	v_mul_f64 v[103:104], v[101:102], v[109:110]
	v_fma_f64 v[103:104], v[99:100], v[97:98], -v[103:104]
	v_mul_f64 v[99:100], v[99:100], v[109:110]
	v_fma_f64 v[99:100], v[101:102], v[97:98], v[99:100]
	s_waitcnt vmcnt(2)
	v_add_f64 v[105:106], v[105:106], -v[103:104]
	s_waitcnt vmcnt(0)
	v_add_f64 v[107:108], v[107:108], -v[99:100]
	buffer_store_dword v105, off, s[20:23], 0 offset:96 ; 4-byte Folded Spill
	s_nop 0
	buffer_store_dword v106, off, s[20:23], 0 offset:100 ; 4-byte Folded Spill
	buffer_store_dword v107, off, s[20:23], 0 offset:104 ; 4-byte Folded Spill
	buffer_store_dword v108, off, s[20:23], 0 offset:108 ; 4-byte Folded Spill
	ds_read2_b64 v[99:102], v125 offset0:50 offset1:51
	;; [unrolled: 19-line block ×7, first 2 shown]
	buffer_load_dword v105, off, s[20:23], 0 ; 4-byte Folded Reload
	buffer_load_dword v106, off, s[20:23], 0 offset:4 ; 4-byte Folded Reload
	buffer_load_dword v107, off, s[20:23], 0 offset:8 ; 4-byte Folded Reload
	;; [unrolled: 1-line block ×3, first 2 shown]
	s_waitcnt lgkmcnt(0)
	v_mul_f64 v[103:104], v[101:102], v[109:110]
	v_fma_f64 v[103:104], v[99:100], v[97:98], -v[103:104]
	v_mul_f64 v[99:100], v[99:100], v[109:110]
	v_fma_f64 v[99:100], v[101:102], v[97:98], v[99:100]
	s_waitcnt vmcnt(2)
	v_add_f64 v[105:106], v[105:106], -v[103:104]
	s_waitcnt vmcnt(0)
	v_add_f64 v[107:108], v[107:108], -v[99:100]
	buffer_store_dword v105, off, s[20:23], 0 ; 4-byte Folded Spill
	s_nop 0
	buffer_store_dword v106, off, s[20:23], 0 offset:4 ; 4-byte Folded Spill
	buffer_store_dword v107, off, s[20:23], 0 offset:8 ; 4-byte Folded Spill
	;; [unrolled: 1-line block ×3, first 2 shown]
	ds_read2_b64 v[99:102], v125 offset0:62 offset1:63
	v_mov_b32_e32 v108, v98
	v_mov_b32_e32 v107, v97
	s_waitcnt lgkmcnt(0)
	v_mul_f64 v[103:104], v[101:102], v[109:110]
	v_fma_f64 v[103:104], v[99:100], v[97:98], -v[103:104]
	v_mul_f64 v[99:100], v[99:100], v[109:110]
	v_add_f64 v[93:94], v[93:94], -v[103:104]
	v_fma_f64 v[99:100], v[101:102], v[97:98], v[99:100]
	v_add_f64 v[95:96], v[95:96], -v[99:100]
	ds_read2_b64 v[99:102], v125 offset0:64 offset1:65
	s_waitcnt lgkmcnt(0)
	v_mul_f64 v[103:104], v[101:102], v[109:110]
	v_fma_f64 v[103:104], v[99:100], v[97:98], -v[103:104]
	v_mul_f64 v[99:100], v[99:100], v[109:110]
	v_add_f64 v[81:82], v[81:82], -v[103:104]
	v_fma_f64 v[99:100], v[101:102], v[97:98], v[99:100]
	v_add_f64 v[83:84], v[83:84], -v[99:100]
	ds_read2_b64 v[99:102], v125 offset0:66 offset1:67
	;; [unrolled: 8-line block ×22, first 2 shown]
	s_waitcnt lgkmcnt(0)
	v_mul_f64 v[103:104], v[101:102], v[109:110]
	v_fma_f64 v[103:104], v[99:100], v[97:98], -v[103:104]
	v_mul_f64 v[99:100], v[99:100], v[109:110]
	buffer_store_dword v107, off, s[20:23], 0 offset:128 ; 4-byte Folded Spill
	s_nop 0
	buffer_store_dword v108, off, s[20:23], 0 offset:132 ; 4-byte Folded Spill
	buffer_store_dword v109, off, s[20:23], 0 offset:136 ; 4-byte Folded Spill
	;; [unrolled: 1-line block ×3, first 2 shown]
	v_add_f64 v[121:122], v[121:122], -v[103:104]
	v_fma_f64 v[99:100], v[101:102], v[97:98], v[99:100]
	v_add_f64 v[123:124], v[123:124], -v[99:100]
.LBB107_208:
	s_or_b64 exec, exec, s[2:3]
	v_cmp_eq_u32_e32 vcc, 23, v0
	s_waitcnt vmcnt(0)
	s_barrier
	s_and_saveexec_b64 s[4:5], vcc
	s_cbranch_execz .LBB107_215
; %bb.209:
	buffer_load_dword v97, off, s[20:23], 0 offset:112 ; 4-byte Folded Reload
	buffer_load_dword v98, off, s[20:23], 0 offset:116 ; 4-byte Folded Reload
	;; [unrolled: 1-line block ×4, first 2 shown]
	s_waitcnt vmcnt(0)
	ds_write2_b64 v127, v[97:98], v[99:100] offset1:1
	buffer_load_dword v97, off, s[20:23], 0 offset:96 ; 4-byte Folded Reload
	buffer_load_dword v98, off, s[20:23], 0 offset:100 ; 4-byte Folded Reload
	buffer_load_dword v99, off, s[20:23], 0 offset:104 ; 4-byte Folded Reload
	buffer_load_dword v100, off, s[20:23], 0 offset:108 ; 4-byte Folded Reload
	s_waitcnt vmcnt(0)
	ds_write2_b64 v125, v[97:98], v[99:100] offset0:48 offset1:49
	buffer_load_dword v97, off, s[20:23], 0 offset:80 ; 4-byte Folded Reload
	buffer_load_dword v98, off, s[20:23], 0 offset:84 ; 4-byte Folded Reload
	buffer_load_dword v99, off, s[20:23], 0 offset:88 ; 4-byte Folded Reload
	buffer_load_dword v100, off, s[20:23], 0 offset:92 ; 4-byte Folded Reload
	s_waitcnt vmcnt(0)
	ds_write2_b64 v125, v[97:98], v[99:100] offset0:50 offset1:51
	;; [unrolled: 6-line block ×6, first 2 shown]
	buffer_load_dword v97, off, s[20:23], 0 ; 4-byte Folded Reload
	buffer_load_dword v98, off, s[20:23], 0 offset:4 ; 4-byte Folded Reload
	buffer_load_dword v99, off, s[20:23], 0 offset:8 ; 4-byte Folded Reload
	;; [unrolled: 1-line block ×3, first 2 shown]
	s_waitcnt vmcnt(0)
	ds_write2_b64 v125, v[97:98], v[99:100] offset0:60 offset1:61
	ds_write2_b64 v125, v[93:94], v[95:96] offset0:62 offset1:63
	;; [unrolled: 1-line block ×24, first 2 shown]
	ds_read2_b64 v[97:100], v127 offset1:1
	s_waitcnt lgkmcnt(0)
	v_cmp_neq_f64_e32 vcc, 0, v[97:98]
	v_cmp_neq_f64_e64 s[2:3], 0, v[99:100]
	s_or_b64 s[2:3], vcc, s[2:3]
	s_and_b64 exec, exec, s[2:3]
	s_cbranch_execz .LBB107_215
; %bb.210:
	v_cmp_ngt_f64_e64 s[2:3], |v[97:98]|, |v[99:100]|
                                        ; implicit-def: $vgpr101_vgpr102
	s_and_saveexec_b64 s[6:7], s[2:3]
	s_xor_b64 s[2:3], exec, s[6:7]
                                        ; implicit-def: $vgpr103_vgpr104
	s_cbranch_execz .LBB107_212
; %bb.211:
	v_div_scale_f64 v[101:102], s[6:7], v[99:100], v[99:100], v[97:98]
	v_rcp_f64_e32 v[103:104], v[101:102]
	v_fma_f64 v[105:106], -v[101:102], v[103:104], 1.0
	v_fma_f64 v[103:104], v[103:104], v[105:106], v[103:104]
	v_div_scale_f64 v[105:106], vcc, v[97:98], v[99:100], v[97:98]
	v_fma_f64 v[107:108], -v[101:102], v[103:104], 1.0
	v_fma_f64 v[103:104], v[103:104], v[107:108], v[103:104]
	v_mul_f64 v[107:108], v[105:106], v[103:104]
	v_fma_f64 v[101:102], -v[101:102], v[107:108], v[105:106]
	v_div_fmas_f64 v[101:102], v[101:102], v[103:104], v[107:108]
	v_div_fixup_f64 v[101:102], v[101:102], v[99:100], v[97:98]
	v_fma_f64 v[97:98], v[97:98], v[101:102], v[99:100]
	v_div_scale_f64 v[99:100], s[6:7], v[97:98], v[97:98], 1.0
	v_div_scale_f64 v[107:108], vcc, 1.0, v[97:98], 1.0
	v_rcp_f64_e32 v[103:104], v[99:100]
	v_fma_f64 v[105:106], -v[99:100], v[103:104], 1.0
	v_fma_f64 v[103:104], v[103:104], v[105:106], v[103:104]
	v_fma_f64 v[105:106], -v[99:100], v[103:104], 1.0
	v_fma_f64 v[103:104], v[103:104], v[105:106], v[103:104]
	v_mul_f64 v[105:106], v[107:108], v[103:104]
	v_fma_f64 v[99:100], -v[99:100], v[105:106], v[107:108]
	v_div_fmas_f64 v[99:100], v[99:100], v[103:104], v[105:106]
	v_div_fixup_f64 v[103:104], v[99:100], v[97:98], 1.0
                                        ; implicit-def: $vgpr97_vgpr98
	v_mul_f64 v[101:102], v[101:102], v[103:104]
	v_xor_b32_e32 v104, 0x80000000, v104
.LBB107_212:
	s_andn2_saveexec_b64 s[2:3], s[2:3]
	s_cbranch_execz .LBB107_214
; %bb.213:
	v_div_scale_f64 v[101:102], s[6:7], v[97:98], v[97:98], v[99:100]
	v_rcp_f64_e32 v[103:104], v[101:102]
	v_fma_f64 v[105:106], -v[101:102], v[103:104], 1.0
	v_fma_f64 v[103:104], v[103:104], v[105:106], v[103:104]
	v_div_scale_f64 v[105:106], vcc, v[99:100], v[97:98], v[99:100]
	v_fma_f64 v[107:108], -v[101:102], v[103:104], 1.0
	v_fma_f64 v[103:104], v[103:104], v[107:108], v[103:104]
	v_mul_f64 v[107:108], v[105:106], v[103:104]
	v_fma_f64 v[101:102], -v[101:102], v[107:108], v[105:106]
	v_div_fmas_f64 v[101:102], v[101:102], v[103:104], v[107:108]
	v_div_fixup_f64 v[103:104], v[101:102], v[97:98], v[99:100]
	v_fma_f64 v[97:98], v[99:100], v[103:104], v[97:98]
	v_div_scale_f64 v[99:100], s[6:7], v[97:98], v[97:98], 1.0
	v_div_scale_f64 v[107:108], vcc, 1.0, v[97:98], 1.0
	v_rcp_f64_e32 v[101:102], v[99:100]
	v_fma_f64 v[105:106], -v[99:100], v[101:102], 1.0
	v_fma_f64 v[101:102], v[101:102], v[105:106], v[101:102]
	v_fma_f64 v[105:106], -v[99:100], v[101:102], 1.0
	v_fma_f64 v[101:102], v[101:102], v[105:106], v[101:102]
	v_mul_f64 v[105:106], v[107:108], v[101:102]
	v_fma_f64 v[99:100], -v[99:100], v[105:106], v[107:108]
	v_div_fmas_f64 v[99:100], v[99:100], v[101:102], v[105:106]
	v_div_fixup_f64 v[101:102], v[99:100], v[97:98], 1.0
	v_mul_f64 v[103:104], v[103:104], -v[101:102]
.LBB107_214:
	s_or_b64 exec, exec, s[2:3]
	ds_write2_b64 v127, v[101:102], v[103:104] offset1:1
.LBB107_215:
	s_or_b64 exec, exec, s[4:5]
	s_waitcnt lgkmcnt(0)
	s_barrier
	ds_read2_b64 v[87:90], v127 offset1:1
	v_cmp_lt_u32_e32 vcc, 23, v0
	s_waitcnt lgkmcnt(0)
	buffer_store_dword v87, off, s[20:23], 0 offset:1288 ; 4-byte Folded Spill
	s_nop 0
	buffer_store_dword v88, off, s[20:23], 0 offset:1292 ; 4-byte Folded Spill
	buffer_store_dword v89, off, s[20:23], 0 offset:1296 ; 4-byte Folded Spill
	;; [unrolled: 1-line block ×3, first 2 shown]
	s_and_saveexec_b64 s[2:3], vcc
	s_cbranch_execz .LBB107_217
; %bb.216:
	buffer_load_dword v107, off, s[20:23], 0 offset:112 ; 4-byte Folded Reload
	buffer_load_dword v108, off, s[20:23], 0 offset:116 ; 4-byte Folded Reload
	;; [unrolled: 1-line block ×8, first 2 shown]
	s_waitcnt vmcnt(2)
	v_mul_f64 v[99:100], v[87:88], v[109:110]
	s_waitcnt vmcnt(0)
	v_mul_f64 v[97:98], v[89:90], v[109:110]
	v_fma_f64 v[109:110], v[89:90], v[107:108], v[99:100]
	ds_read2_b64 v[99:102], v125 offset0:48 offset1:49
	v_fma_f64 v[97:98], v[87:88], v[107:108], -v[97:98]
	buffer_load_dword v105, off, s[20:23], 0 offset:96 ; 4-byte Folded Reload
	buffer_load_dword v106, off, s[20:23], 0 offset:100 ; 4-byte Folded Reload
	buffer_load_dword v107, off, s[20:23], 0 offset:104 ; 4-byte Folded Reload
	buffer_load_dword v108, off, s[20:23], 0 offset:108 ; 4-byte Folded Reload
	s_waitcnt lgkmcnt(0)
	v_mul_f64 v[103:104], v[101:102], v[109:110]
	v_fma_f64 v[103:104], v[99:100], v[97:98], -v[103:104]
	v_mul_f64 v[99:100], v[99:100], v[109:110]
	v_fma_f64 v[99:100], v[101:102], v[97:98], v[99:100]
	s_waitcnt vmcnt(2)
	v_add_f64 v[105:106], v[105:106], -v[103:104]
	s_waitcnt vmcnt(0)
	v_add_f64 v[107:108], v[107:108], -v[99:100]
	buffer_store_dword v105, off, s[20:23], 0 offset:96 ; 4-byte Folded Spill
	s_nop 0
	buffer_store_dword v106, off, s[20:23], 0 offset:100 ; 4-byte Folded Spill
	buffer_store_dword v107, off, s[20:23], 0 offset:104 ; 4-byte Folded Spill
	buffer_store_dword v108, off, s[20:23], 0 offset:108 ; 4-byte Folded Spill
	ds_read2_b64 v[99:102], v125 offset0:50 offset1:51
	buffer_load_dword v105, off, s[20:23], 0 offset:80 ; 4-byte Folded Reload
	buffer_load_dword v106, off, s[20:23], 0 offset:84 ; 4-byte Folded Reload
	buffer_load_dword v107, off, s[20:23], 0 offset:88 ; 4-byte Folded Reload
	buffer_load_dword v108, off, s[20:23], 0 offset:92 ; 4-byte Folded Reload
	s_waitcnt lgkmcnt(0)
	v_mul_f64 v[103:104], v[101:102], v[109:110]
	v_fma_f64 v[103:104], v[99:100], v[97:98], -v[103:104]
	v_mul_f64 v[99:100], v[99:100], v[109:110]
	v_fma_f64 v[99:100], v[101:102], v[97:98], v[99:100]
	s_waitcnt vmcnt(2)
	v_add_f64 v[105:106], v[105:106], -v[103:104]
	s_waitcnt vmcnt(0)
	v_add_f64 v[107:108], v[107:108], -v[99:100]
	buffer_store_dword v105, off, s[20:23], 0 offset:80 ; 4-byte Folded Spill
	s_nop 0
	buffer_store_dword v106, off, s[20:23], 0 offset:84 ; 4-byte Folded Spill
	buffer_store_dword v107, off, s[20:23], 0 offset:88 ; 4-byte Folded Spill
	buffer_store_dword v108, off, s[20:23], 0 offset:92 ; 4-byte Folded Spill
	ds_read2_b64 v[99:102], v125 offset0:52 offset1:53
	;; [unrolled: 19-line block ×6, first 2 shown]
	buffer_load_dword v105, off, s[20:23], 0 ; 4-byte Folded Reload
	buffer_load_dword v106, off, s[20:23], 0 offset:4 ; 4-byte Folded Reload
	buffer_load_dword v107, off, s[20:23], 0 offset:8 ; 4-byte Folded Reload
	;; [unrolled: 1-line block ×3, first 2 shown]
	s_waitcnt lgkmcnt(0)
	v_mul_f64 v[103:104], v[101:102], v[109:110]
	v_fma_f64 v[103:104], v[99:100], v[97:98], -v[103:104]
	v_mul_f64 v[99:100], v[99:100], v[109:110]
	v_fma_f64 v[99:100], v[101:102], v[97:98], v[99:100]
	s_waitcnt vmcnt(2)
	v_add_f64 v[105:106], v[105:106], -v[103:104]
	s_waitcnt vmcnt(0)
	v_add_f64 v[107:108], v[107:108], -v[99:100]
	buffer_store_dword v105, off, s[20:23], 0 ; 4-byte Folded Spill
	s_nop 0
	buffer_store_dword v106, off, s[20:23], 0 offset:4 ; 4-byte Folded Spill
	buffer_store_dword v107, off, s[20:23], 0 offset:8 ; 4-byte Folded Spill
	;; [unrolled: 1-line block ×3, first 2 shown]
	ds_read2_b64 v[99:102], v125 offset0:62 offset1:63
	v_mov_b32_e32 v108, v98
	v_mov_b32_e32 v107, v97
	s_waitcnt lgkmcnt(0)
	v_mul_f64 v[103:104], v[101:102], v[109:110]
	v_fma_f64 v[103:104], v[99:100], v[97:98], -v[103:104]
	v_mul_f64 v[99:100], v[99:100], v[109:110]
	v_add_f64 v[93:94], v[93:94], -v[103:104]
	v_fma_f64 v[99:100], v[101:102], v[97:98], v[99:100]
	v_add_f64 v[95:96], v[95:96], -v[99:100]
	ds_read2_b64 v[99:102], v125 offset0:64 offset1:65
	s_waitcnt lgkmcnt(0)
	v_mul_f64 v[103:104], v[101:102], v[109:110]
	v_fma_f64 v[103:104], v[99:100], v[97:98], -v[103:104]
	v_mul_f64 v[99:100], v[99:100], v[109:110]
	v_add_f64 v[81:82], v[81:82], -v[103:104]
	v_fma_f64 v[99:100], v[101:102], v[97:98], v[99:100]
	v_add_f64 v[83:84], v[83:84], -v[99:100]
	ds_read2_b64 v[99:102], v125 offset0:66 offset1:67
	;; [unrolled: 8-line block ×22, first 2 shown]
	s_waitcnt lgkmcnt(0)
	v_mul_f64 v[103:104], v[101:102], v[109:110]
	v_fma_f64 v[103:104], v[99:100], v[97:98], -v[103:104]
	v_mul_f64 v[99:100], v[99:100], v[109:110]
	buffer_store_dword v107, off, s[20:23], 0 offset:112 ; 4-byte Folded Spill
	s_nop 0
	buffer_store_dword v108, off, s[20:23], 0 offset:116 ; 4-byte Folded Spill
	buffer_store_dword v109, off, s[20:23], 0 offset:120 ; 4-byte Folded Spill
	;; [unrolled: 1-line block ×3, first 2 shown]
	v_add_f64 v[121:122], v[121:122], -v[103:104]
	v_fma_f64 v[99:100], v[101:102], v[97:98], v[99:100]
	v_add_f64 v[123:124], v[123:124], -v[99:100]
.LBB107_217:
	s_or_b64 exec, exec, s[2:3]
	v_cmp_eq_u32_e32 vcc, 24, v0
	s_waitcnt vmcnt(0)
	s_barrier
	s_and_saveexec_b64 s[4:5], vcc
	s_cbranch_execz .LBB107_224
; %bb.218:
	buffer_load_dword v97, off, s[20:23], 0 offset:96 ; 4-byte Folded Reload
	buffer_load_dword v98, off, s[20:23], 0 offset:100 ; 4-byte Folded Reload
	;; [unrolled: 1-line block ×4, first 2 shown]
	s_waitcnt vmcnt(0)
	ds_write2_b64 v127, v[97:98], v[99:100] offset1:1
	buffer_load_dword v97, off, s[20:23], 0 offset:80 ; 4-byte Folded Reload
	buffer_load_dword v98, off, s[20:23], 0 offset:84 ; 4-byte Folded Reload
	buffer_load_dword v99, off, s[20:23], 0 offset:88 ; 4-byte Folded Reload
	buffer_load_dword v100, off, s[20:23], 0 offset:92 ; 4-byte Folded Reload
	s_waitcnt vmcnt(0)
	ds_write2_b64 v125, v[97:98], v[99:100] offset0:50 offset1:51
	buffer_load_dword v97, off, s[20:23], 0 offset:64 ; 4-byte Folded Reload
	buffer_load_dword v98, off, s[20:23], 0 offset:68 ; 4-byte Folded Reload
	buffer_load_dword v99, off, s[20:23], 0 offset:72 ; 4-byte Folded Reload
	buffer_load_dword v100, off, s[20:23], 0 offset:76 ; 4-byte Folded Reload
	s_waitcnt vmcnt(0)
	ds_write2_b64 v125, v[97:98], v[99:100] offset0:52 offset1:53
	;; [unrolled: 6-line block ×5, first 2 shown]
	buffer_load_dword v97, off, s[20:23], 0 ; 4-byte Folded Reload
	buffer_load_dword v98, off, s[20:23], 0 offset:4 ; 4-byte Folded Reload
	buffer_load_dword v99, off, s[20:23], 0 offset:8 ; 4-byte Folded Reload
	;; [unrolled: 1-line block ×3, first 2 shown]
	s_waitcnt vmcnt(0)
	ds_write2_b64 v125, v[97:98], v[99:100] offset0:60 offset1:61
	ds_write2_b64 v125, v[93:94], v[95:96] offset0:62 offset1:63
	ds_write2_b64 v125, v[81:82], v[83:84] offset0:64 offset1:65
	ds_write2_b64 v125, v[77:78], v[79:80] offset0:66 offset1:67
	ds_write2_b64 v125, v[73:74], v[75:76] offset0:68 offset1:69
	ds_write2_b64 v125, v[69:70], v[71:72] offset0:70 offset1:71
	ds_write2_b64 v125, v[65:66], v[67:68] offset0:72 offset1:73
	ds_write2_b64 v125, v[61:62], v[63:64] offset0:74 offset1:75
	ds_write2_b64 v125, v[57:58], v[59:60] offset0:76 offset1:77
	ds_write2_b64 v125, v[53:54], v[55:56] offset0:78 offset1:79
	ds_write2_b64 v125, v[49:50], v[51:52] offset0:80 offset1:81
	ds_write2_b64 v125, v[45:46], v[47:48] offset0:82 offset1:83
	ds_write2_b64 v125, v[41:42], v[43:44] offset0:84 offset1:85
	ds_write2_b64 v125, v[37:38], v[39:40] offset0:86 offset1:87
	ds_write2_b64 v125, v[33:34], v[35:36] offset0:88 offset1:89
	ds_write2_b64 v125, v[29:30], v[31:32] offset0:90 offset1:91
	ds_write2_b64 v125, v[25:26], v[27:28] offset0:92 offset1:93
	ds_write2_b64 v125, v[21:22], v[23:24] offset0:94 offset1:95
	ds_write2_b64 v125, v[17:18], v[19:20] offset0:96 offset1:97
	ds_write2_b64 v125, v[13:14], v[15:16] offset0:98 offset1:99
	ds_write2_b64 v125, v[9:10], v[11:12] offset0:100 offset1:101
	ds_write2_b64 v125, v[5:6], v[7:8] offset0:102 offset1:103
	ds_write2_b64 v125, v[1:2], v[3:4] offset0:104 offset1:105
	ds_write2_b64 v125, v[121:122], v[123:124] offset0:106 offset1:107
	ds_read2_b64 v[97:100], v127 offset1:1
	s_waitcnt lgkmcnt(0)
	v_cmp_neq_f64_e32 vcc, 0, v[97:98]
	v_cmp_neq_f64_e64 s[2:3], 0, v[99:100]
	s_or_b64 s[2:3], vcc, s[2:3]
	s_and_b64 exec, exec, s[2:3]
	s_cbranch_execz .LBB107_224
; %bb.219:
	v_cmp_ngt_f64_e64 s[2:3], |v[97:98]|, |v[99:100]|
                                        ; implicit-def: $vgpr101_vgpr102
	s_and_saveexec_b64 s[6:7], s[2:3]
	s_xor_b64 s[2:3], exec, s[6:7]
                                        ; implicit-def: $vgpr103_vgpr104
	s_cbranch_execz .LBB107_221
; %bb.220:
	v_div_scale_f64 v[101:102], s[6:7], v[99:100], v[99:100], v[97:98]
	v_rcp_f64_e32 v[103:104], v[101:102]
	v_fma_f64 v[105:106], -v[101:102], v[103:104], 1.0
	v_fma_f64 v[103:104], v[103:104], v[105:106], v[103:104]
	v_div_scale_f64 v[105:106], vcc, v[97:98], v[99:100], v[97:98]
	v_fma_f64 v[107:108], -v[101:102], v[103:104], 1.0
	v_fma_f64 v[103:104], v[103:104], v[107:108], v[103:104]
	v_mul_f64 v[107:108], v[105:106], v[103:104]
	v_fma_f64 v[101:102], -v[101:102], v[107:108], v[105:106]
	v_div_fmas_f64 v[101:102], v[101:102], v[103:104], v[107:108]
	v_div_fixup_f64 v[101:102], v[101:102], v[99:100], v[97:98]
	v_fma_f64 v[97:98], v[97:98], v[101:102], v[99:100]
	v_div_scale_f64 v[99:100], s[6:7], v[97:98], v[97:98], 1.0
	v_div_scale_f64 v[107:108], vcc, 1.0, v[97:98], 1.0
	v_rcp_f64_e32 v[103:104], v[99:100]
	v_fma_f64 v[105:106], -v[99:100], v[103:104], 1.0
	v_fma_f64 v[103:104], v[103:104], v[105:106], v[103:104]
	v_fma_f64 v[105:106], -v[99:100], v[103:104], 1.0
	v_fma_f64 v[103:104], v[103:104], v[105:106], v[103:104]
	v_mul_f64 v[105:106], v[107:108], v[103:104]
	v_fma_f64 v[99:100], -v[99:100], v[105:106], v[107:108]
	v_div_fmas_f64 v[99:100], v[99:100], v[103:104], v[105:106]
	v_div_fixup_f64 v[103:104], v[99:100], v[97:98], 1.0
                                        ; implicit-def: $vgpr97_vgpr98
	v_mul_f64 v[101:102], v[101:102], v[103:104]
	v_xor_b32_e32 v104, 0x80000000, v104
.LBB107_221:
	s_andn2_saveexec_b64 s[2:3], s[2:3]
	s_cbranch_execz .LBB107_223
; %bb.222:
	v_div_scale_f64 v[101:102], s[6:7], v[97:98], v[97:98], v[99:100]
	v_rcp_f64_e32 v[103:104], v[101:102]
	v_fma_f64 v[105:106], -v[101:102], v[103:104], 1.0
	v_fma_f64 v[103:104], v[103:104], v[105:106], v[103:104]
	v_div_scale_f64 v[105:106], vcc, v[99:100], v[97:98], v[99:100]
	v_fma_f64 v[107:108], -v[101:102], v[103:104], 1.0
	v_fma_f64 v[103:104], v[103:104], v[107:108], v[103:104]
	v_mul_f64 v[107:108], v[105:106], v[103:104]
	v_fma_f64 v[101:102], -v[101:102], v[107:108], v[105:106]
	v_div_fmas_f64 v[101:102], v[101:102], v[103:104], v[107:108]
	v_div_fixup_f64 v[103:104], v[101:102], v[97:98], v[99:100]
	v_fma_f64 v[97:98], v[99:100], v[103:104], v[97:98]
	v_div_scale_f64 v[99:100], s[6:7], v[97:98], v[97:98], 1.0
	v_div_scale_f64 v[107:108], vcc, 1.0, v[97:98], 1.0
	v_rcp_f64_e32 v[101:102], v[99:100]
	v_fma_f64 v[105:106], -v[99:100], v[101:102], 1.0
	v_fma_f64 v[101:102], v[101:102], v[105:106], v[101:102]
	v_fma_f64 v[105:106], -v[99:100], v[101:102], 1.0
	v_fma_f64 v[101:102], v[101:102], v[105:106], v[101:102]
	v_mul_f64 v[105:106], v[107:108], v[101:102]
	v_fma_f64 v[99:100], -v[99:100], v[105:106], v[107:108]
	v_div_fmas_f64 v[99:100], v[99:100], v[101:102], v[105:106]
	v_div_fixup_f64 v[101:102], v[99:100], v[97:98], 1.0
	v_mul_f64 v[103:104], v[103:104], -v[101:102]
.LBB107_223:
	s_or_b64 exec, exec, s[2:3]
	ds_write2_b64 v127, v[101:102], v[103:104] offset1:1
.LBB107_224:
	s_or_b64 exec, exec, s[4:5]
	s_waitcnt lgkmcnt(0)
	s_barrier
	ds_read2_b64 v[87:90], v127 offset1:1
	v_cmp_lt_u32_e32 vcc, 24, v0
	s_waitcnt lgkmcnt(0)
	buffer_store_dword v87, off, s[20:23], 0 offset:1304 ; 4-byte Folded Spill
	s_nop 0
	buffer_store_dword v88, off, s[20:23], 0 offset:1308 ; 4-byte Folded Spill
	buffer_store_dword v89, off, s[20:23], 0 offset:1312 ; 4-byte Folded Spill
	;; [unrolled: 1-line block ×3, first 2 shown]
	s_and_saveexec_b64 s[2:3], vcc
	s_cbranch_execz .LBB107_226
; %bb.225:
	buffer_load_dword v107, off, s[20:23], 0 offset:96 ; 4-byte Folded Reload
	buffer_load_dword v108, off, s[20:23], 0 offset:100 ; 4-byte Folded Reload
	;; [unrolled: 1-line block ×8, first 2 shown]
	s_waitcnt vmcnt(2)
	v_mul_f64 v[99:100], v[87:88], v[109:110]
	s_waitcnt vmcnt(0)
	v_mul_f64 v[97:98], v[89:90], v[109:110]
	v_fma_f64 v[109:110], v[89:90], v[107:108], v[99:100]
	ds_read2_b64 v[99:102], v125 offset0:50 offset1:51
	v_fma_f64 v[97:98], v[87:88], v[107:108], -v[97:98]
	buffer_load_dword v105, off, s[20:23], 0 offset:80 ; 4-byte Folded Reload
	buffer_load_dword v106, off, s[20:23], 0 offset:84 ; 4-byte Folded Reload
	buffer_load_dword v107, off, s[20:23], 0 offset:88 ; 4-byte Folded Reload
	buffer_load_dword v108, off, s[20:23], 0 offset:92 ; 4-byte Folded Reload
	s_waitcnt lgkmcnt(0)
	v_mul_f64 v[103:104], v[101:102], v[109:110]
	v_fma_f64 v[103:104], v[99:100], v[97:98], -v[103:104]
	v_mul_f64 v[99:100], v[99:100], v[109:110]
	v_fma_f64 v[99:100], v[101:102], v[97:98], v[99:100]
	s_waitcnt vmcnt(2)
	v_add_f64 v[105:106], v[105:106], -v[103:104]
	s_waitcnt vmcnt(0)
	v_add_f64 v[107:108], v[107:108], -v[99:100]
	buffer_store_dword v105, off, s[20:23], 0 offset:80 ; 4-byte Folded Spill
	s_nop 0
	buffer_store_dword v106, off, s[20:23], 0 offset:84 ; 4-byte Folded Spill
	buffer_store_dword v107, off, s[20:23], 0 offset:88 ; 4-byte Folded Spill
	buffer_store_dword v108, off, s[20:23], 0 offset:92 ; 4-byte Folded Spill
	ds_read2_b64 v[99:102], v125 offset0:52 offset1:53
	buffer_load_dword v105, off, s[20:23], 0 offset:64 ; 4-byte Folded Reload
	buffer_load_dword v106, off, s[20:23], 0 offset:68 ; 4-byte Folded Reload
	buffer_load_dword v107, off, s[20:23], 0 offset:72 ; 4-byte Folded Reload
	buffer_load_dword v108, off, s[20:23], 0 offset:76 ; 4-byte Folded Reload
	s_waitcnt lgkmcnt(0)
	v_mul_f64 v[103:104], v[101:102], v[109:110]
	v_fma_f64 v[103:104], v[99:100], v[97:98], -v[103:104]
	v_mul_f64 v[99:100], v[99:100], v[109:110]
	v_fma_f64 v[99:100], v[101:102], v[97:98], v[99:100]
	s_waitcnt vmcnt(2)
	v_add_f64 v[105:106], v[105:106], -v[103:104]
	s_waitcnt vmcnt(0)
	v_add_f64 v[107:108], v[107:108], -v[99:100]
	buffer_store_dword v105, off, s[20:23], 0 offset:64 ; 4-byte Folded Spill
	s_nop 0
	buffer_store_dword v106, off, s[20:23], 0 offset:68 ; 4-byte Folded Spill
	buffer_store_dword v107, off, s[20:23], 0 offset:72 ; 4-byte Folded Spill
	buffer_store_dword v108, off, s[20:23], 0 offset:76 ; 4-byte Folded Spill
	ds_read2_b64 v[99:102], v125 offset0:54 offset1:55
	;; [unrolled: 19-line block ×5, first 2 shown]
	buffer_load_dword v105, off, s[20:23], 0 ; 4-byte Folded Reload
	buffer_load_dword v106, off, s[20:23], 0 offset:4 ; 4-byte Folded Reload
	buffer_load_dword v107, off, s[20:23], 0 offset:8 ; 4-byte Folded Reload
	;; [unrolled: 1-line block ×3, first 2 shown]
	s_waitcnt lgkmcnt(0)
	v_mul_f64 v[103:104], v[101:102], v[109:110]
	v_fma_f64 v[103:104], v[99:100], v[97:98], -v[103:104]
	v_mul_f64 v[99:100], v[99:100], v[109:110]
	v_fma_f64 v[99:100], v[101:102], v[97:98], v[99:100]
	s_waitcnt vmcnt(2)
	v_add_f64 v[105:106], v[105:106], -v[103:104]
	s_waitcnt vmcnt(0)
	v_add_f64 v[107:108], v[107:108], -v[99:100]
	buffer_store_dword v105, off, s[20:23], 0 ; 4-byte Folded Spill
	s_nop 0
	buffer_store_dword v106, off, s[20:23], 0 offset:4 ; 4-byte Folded Spill
	buffer_store_dword v107, off, s[20:23], 0 offset:8 ; 4-byte Folded Spill
	;; [unrolled: 1-line block ×3, first 2 shown]
	ds_read2_b64 v[99:102], v125 offset0:62 offset1:63
	v_mov_b32_e32 v108, v98
	v_mov_b32_e32 v107, v97
	s_waitcnt lgkmcnt(0)
	v_mul_f64 v[103:104], v[101:102], v[109:110]
	v_fma_f64 v[103:104], v[99:100], v[97:98], -v[103:104]
	v_mul_f64 v[99:100], v[99:100], v[109:110]
	v_add_f64 v[93:94], v[93:94], -v[103:104]
	v_fma_f64 v[99:100], v[101:102], v[97:98], v[99:100]
	v_add_f64 v[95:96], v[95:96], -v[99:100]
	ds_read2_b64 v[99:102], v125 offset0:64 offset1:65
	s_waitcnt lgkmcnt(0)
	v_mul_f64 v[103:104], v[101:102], v[109:110]
	v_fma_f64 v[103:104], v[99:100], v[97:98], -v[103:104]
	v_mul_f64 v[99:100], v[99:100], v[109:110]
	v_add_f64 v[81:82], v[81:82], -v[103:104]
	v_fma_f64 v[99:100], v[101:102], v[97:98], v[99:100]
	v_add_f64 v[83:84], v[83:84], -v[99:100]
	ds_read2_b64 v[99:102], v125 offset0:66 offset1:67
	;; [unrolled: 8-line block ×22, first 2 shown]
	s_waitcnt lgkmcnt(0)
	v_mul_f64 v[103:104], v[101:102], v[109:110]
	v_fma_f64 v[103:104], v[99:100], v[97:98], -v[103:104]
	v_mul_f64 v[99:100], v[99:100], v[109:110]
	buffer_store_dword v107, off, s[20:23], 0 offset:96 ; 4-byte Folded Spill
	s_nop 0
	buffer_store_dword v108, off, s[20:23], 0 offset:100 ; 4-byte Folded Spill
	buffer_store_dword v109, off, s[20:23], 0 offset:104 ; 4-byte Folded Spill
	;; [unrolled: 1-line block ×3, first 2 shown]
	v_add_f64 v[121:122], v[121:122], -v[103:104]
	v_fma_f64 v[99:100], v[101:102], v[97:98], v[99:100]
	v_add_f64 v[123:124], v[123:124], -v[99:100]
.LBB107_226:
	s_or_b64 exec, exec, s[2:3]
	v_cmp_eq_u32_e32 vcc, 25, v0
	s_waitcnt vmcnt(0)
	s_barrier
	s_and_saveexec_b64 s[4:5], vcc
	s_cbranch_execz .LBB107_233
; %bb.227:
	buffer_load_dword v97, off, s[20:23], 0 offset:80 ; 4-byte Folded Reload
	buffer_load_dword v98, off, s[20:23], 0 offset:84 ; 4-byte Folded Reload
	;; [unrolled: 1-line block ×4, first 2 shown]
	s_waitcnt vmcnt(0)
	ds_write2_b64 v127, v[97:98], v[99:100] offset1:1
	buffer_load_dword v97, off, s[20:23], 0 offset:64 ; 4-byte Folded Reload
	buffer_load_dword v98, off, s[20:23], 0 offset:68 ; 4-byte Folded Reload
	buffer_load_dword v99, off, s[20:23], 0 offset:72 ; 4-byte Folded Reload
	buffer_load_dword v100, off, s[20:23], 0 offset:76 ; 4-byte Folded Reload
	s_waitcnt vmcnt(0)
	ds_write2_b64 v125, v[97:98], v[99:100] offset0:52 offset1:53
	buffer_load_dword v97, off, s[20:23], 0 offset:48 ; 4-byte Folded Reload
	buffer_load_dword v98, off, s[20:23], 0 offset:52 ; 4-byte Folded Reload
	buffer_load_dword v99, off, s[20:23], 0 offset:56 ; 4-byte Folded Reload
	buffer_load_dword v100, off, s[20:23], 0 offset:60 ; 4-byte Folded Reload
	s_waitcnt vmcnt(0)
	ds_write2_b64 v125, v[97:98], v[99:100] offset0:54 offset1:55
	;; [unrolled: 6-line block ×4, first 2 shown]
	buffer_load_dword v97, off, s[20:23], 0 ; 4-byte Folded Reload
	buffer_load_dword v98, off, s[20:23], 0 offset:4 ; 4-byte Folded Reload
	buffer_load_dword v99, off, s[20:23], 0 offset:8 ; 4-byte Folded Reload
	;; [unrolled: 1-line block ×3, first 2 shown]
	s_waitcnt vmcnt(0)
	ds_write2_b64 v125, v[97:98], v[99:100] offset0:60 offset1:61
	ds_write2_b64 v125, v[93:94], v[95:96] offset0:62 offset1:63
	;; [unrolled: 1-line block ×24, first 2 shown]
	ds_read2_b64 v[97:100], v127 offset1:1
	s_waitcnt lgkmcnt(0)
	v_cmp_neq_f64_e32 vcc, 0, v[97:98]
	v_cmp_neq_f64_e64 s[2:3], 0, v[99:100]
	s_or_b64 s[2:3], vcc, s[2:3]
	s_and_b64 exec, exec, s[2:3]
	s_cbranch_execz .LBB107_233
; %bb.228:
	v_cmp_ngt_f64_e64 s[2:3], |v[97:98]|, |v[99:100]|
                                        ; implicit-def: $vgpr101_vgpr102
	s_and_saveexec_b64 s[6:7], s[2:3]
	s_xor_b64 s[2:3], exec, s[6:7]
                                        ; implicit-def: $vgpr103_vgpr104
	s_cbranch_execz .LBB107_230
; %bb.229:
	v_div_scale_f64 v[101:102], s[6:7], v[99:100], v[99:100], v[97:98]
	v_rcp_f64_e32 v[103:104], v[101:102]
	v_fma_f64 v[105:106], -v[101:102], v[103:104], 1.0
	v_fma_f64 v[103:104], v[103:104], v[105:106], v[103:104]
	v_div_scale_f64 v[105:106], vcc, v[97:98], v[99:100], v[97:98]
	v_fma_f64 v[107:108], -v[101:102], v[103:104], 1.0
	v_fma_f64 v[103:104], v[103:104], v[107:108], v[103:104]
	v_mul_f64 v[107:108], v[105:106], v[103:104]
	v_fma_f64 v[101:102], -v[101:102], v[107:108], v[105:106]
	v_div_fmas_f64 v[101:102], v[101:102], v[103:104], v[107:108]
	v_div_fixup_f64 v[101:102], v[101:102], v[99:100], v[97:98]
	v_fma_f64 v[97:98], v[97:98], v[101:102], v[99:100]
	v_div_scale_f64 v[99:100], s[6:7], v[97:98], v[97:98], 1.0
	v_div_scale_f64 v[107:108], vcc, 1.0, v[97:98], 1.0
	v_rcp_f64_e32 v[103:104], v[99:100]
	v_fma_f64 v[105:106], -v[99:100], v[103:104], 1.0
	v_fma_f64 v[103:104], v[103:104], v[105:106], v[103:104]
	v_fma_f64 v[105:106], -v[99:100], v[103:104], 1.0
	v_fma_f64 v[103:104], v[103:104], v[105:106], v[103:104]
	v_mul_f64 v[105:106], v[107:108], v[103:104]
	v_fma_f64 v[99:100], -v[99:100], v[105:106], v[107:108]
	v_div_fmas_f64 v[99:100], v[99:100], v[103:104], v[105:106]
	v_div_fixup_f64 v[103:104], v[99:100], v[97:98], 1.0
                                        ; implicit-def: $vgpr97_vgpr98
	v_mul_f64 v[101:102], v[101:102], v[103:104]
	v_xor_b32_e32 v104, 0x80000000, v104
.LBB107_230:
	s_andn2_saveexec_b64 s[2:3], s[2:3]
	s_cbranch_execz .LBB107_232
; %bb.231:
	v_div_scale_f64 v[101:102], s[6:7], v[97:98], v[97:98], v[99:100]
	v_rcp_f64_e32 v[103:104], v[101:102]
	v_fma_f64 v[105:106], -v[101:102], v[103:104], 1.0
	v_fma_f64 v[103:104], v[103:104], v[105:106], v[103:104]
	v_div_scale_f64 v[105:106], vcc, v[99:100], v[97:98], v[99:100]
	v_fma_f64 v[107:108], -v[101:102], v[103:104], 1.0
	v_fma_f64 v[103:104], v[103:104], v[107:108], v[103:104]
	v_mul_f64 v[107:108], v[105:106], v[103:104]
	v_fma_f64 v[101:102], -v[101:102], v[107:108], v[105:106]
	v_div_fmas_f64 v[101:102], v[101:102], v[103:104], v[107:108]
	v_div_fixup_f64 v[103:104], v[101:102], v[97:98], v[99:100]
	v_fma_f64 v[97:98], v[99:100], v[103:104], v[97:98]
	v_div_scale_f64 v[99:100], s[6:7], v[97:98], v[97:98], 1.0
	v_div_scale_f64 v[107:108], vcc, 1.0, v[97:98], 1.0
	v_rcp_f64_e32 v[101:102], v[99:100]
	v_fma_f64 v[105:106], -v[99:100], v[101:102], 1.0
	v_fma_f64 v[101:102], v[101:102], v[105:106], v[101:102]
	v_fma_f64 v[105:106], -v[99:100], v[101:102], 1.0
	v_fma_f64 v[101:102], v[101:102], v[105:106], v[101:102]
	v_mul_f64 v[105:106], v[107:108], v[101:102]
	v_fma_f64 v[99:100], -v[99:100], v[105:106], v[107:108]
	v_div_fmas_f64 v[99:100], v[99:100], v[101:102], v[105:106]
	v_div_fixup_f64 v[101:102], v[99:100], v[97:98], 1.0
	v_mul_f64 v[103:104], v[103:104], -v[101:102]
.LBB107_232:
	s_or_b64 exec, exec, s[2:3]
	ds_write2_b64 v127, v[101:102], v[103:104] offset1:1
.LBB107_233:
	s_or_b64 exec, exec, s[4:5]
	s_waitcnt lgkmcnt(0)
	s_barrier
	ds_read2_b64 v[87:90], v127 offset1:1
	v_cmp_lt_u32_e32 vcc, 25, v0
	s_waitcnt lgkmcnt(0)
	buffer_store_dword v87, off, s[20:23], 0 offset:1320 ; 4-byte Folded Spill
	s_nop 0
	buffer_store_dword v88, off, s[20:23], 0 offset:1324 ; 4-byte Folded Spill
	buffer_store_dword v89, off, s[20:23], 0 offset:1328 ; 4-byte Folded Spill
	;; [unrolled: 1-line block ×3, first 2 shown]
	s_and_saveexec_b64 s[2:3], vcc
	s_cbranch_execz .LBB107_235
; %bb.234:
	buffer_load_dword v107, off, s[20:23], 0 offset:80 ; 4-byte Folded Reload
	buffer_load_dword v108, off, s[20:23], 0 offset:84 ; 4-byte Folded Reload
	buffer_load_dword v109, off, s[20:23], 0 offset:88 ; 4-byte Folded Reload
	buffer_load_dword v110, off, s[20:23], 0 offset:92 ; 4-byte Folded Reload
	buffer_load_dword v87, off, s[20:23], 0 offset:1320 ; 4-byte Folded Reload
	buffer_load_dword v88, off, s[20:23], 0 offset:1324 ; 4-byte Folded Reload
	buffer_load_dword v89, off, s[20:23], 0 offset:1328 ; 4-byte Folded Reload
	buffer_load_dword v90, off, s[20:23], 0 offset:1332 ; 4-byte Folded Reload
	s_waitcnt vmcnt(2)
	v_mul_f64 v[99:100], v[87:88], v[109:110]
	s_waitcnt vmcnt(0)
	v_mul_f64 v[97:98], v[89:90], v[109:110]
	v_fma_f64 v[109:110], v[89:90], v[107:108], v[99:100]
	ds_read2_b64 v[99:102], v125 offset0:52 offset1:53
	v_fma_f64 v[97:98], v[87:88], v[107:108], -v[97:98]
	buffer_load_dword v105, off, s[20:23], 0 offset:64 ; 4-byte Folded Reload
	buffer_load_dword v106, off, s[20:23], 0 offset:68 ; 4-byte Folded Reload
	buffer_load_dword v107, off, s[20:23], 0 offset:72 ; 4-byte Folded Reload
	buffer_load_dword v108, off, s[20:23], 0 offset:76 ; 4-byte Folded Reload
	s_waitcnt lgkmcnt(0)
	v_mul_f64 v[103:104], v[101:102], v[109:110]
	v_fma_f64 v[103:104], v[99:100], v[97:98], -v[103:104]
	v_mul_f64 v[99:100], v[99:100], v[109:110]
	v_fma_f64 v[99:100], v[101:102], v[97:98], v[99:100]
	s_waitcnt vmcnt(2)
	v_add_f64 v[105:106], v[105:106], -v[103:104]
	s_waitcnt vmcnt(0)
	v_add_f64 v[107:108], v[107:108], -v[99:100]
	buffer_store_dword v105, off, s[20:23], 0 offset:64 ; 4-byte Folded Spill
	s_nop 0
	buffer_store_dword v106, off, s[20:23], 0 offset:68 ; 4-byte Folded Spill
	buffer_store_dword v107, off, s[20:23], 0 offset:72 ; 4-byte Folded Spill
	buffer_store_dword v108, off, s[20:23], 0 offset:76 ; 4-byte Folded Spill
	ds_read2_b64 v[99:102], v125 offset0:54 offset1:55
	buffer_load_dword v105, off, s[20:23], 0 offset:48 ; 4-byte Folded Reload
	buffer_load_dword v106, off, s[20:23], 0 offset:52 ; 4-byte Folded Reload
	buffer_load_dword v107, off, s[20:23], 0 offset:56 ; 4-byte Folded Reload
	buffer_load_dword v108, off, s[20:23], 0 offset:60 ; 4-byte Folded Reload
	s_waitcnt lgkmcnt(0)
	v_mul_f64 v[103:104], v[101:102], v[109:110]
	v_fma_f64 v[103:104], v[99:100], v[97:98], -v[103:104]
	v_mul_f64 v[99:100], v[99:100], v[109:110]
	v_fma_f64 v[99:100], v[101:102], v[97:98], v[99:100]
	s_waitcnt vmcnt(2)
	v_add_f64 v[105:106], v[105:106], -v[103:104]
	s_waitcnt vmcnt(0)
	v_add_f64 v[107:108], v[107:108], -v[99:100]
	buffer_store_dword v105, off, s[20:23], 0 offset:48 ; 4-byte Folded Spill
	s_nop 0
	buffer_store_dword v106, off, s[20:23], 0 offset:52 ; 4-byte Folded Spill
	buffer_store_dword v107, off, s[20:23], 0 offset:56 ; 4-byte Folded Spill
	buffer_store_dword v108, off, s[20:23], 0 offset:60 ; 4-byte Folded Spill
	ds_read2_b64 v[99:102], v125 offset0:56 offset1:57
	;; [unrolled: 19-line block ×4, first 2 shown]
	buffer_load_dword v105, off, s[20:23], 0 ; 4-byte Folded Reload
	buffer_load_dword v106, off, s[20:23], 0 offset:4 ; 4-byte Folded Reload
	buffer_load_dword v107, off, s[20:23], 0 offset:8 ; 4-byte Folded Reload
	;; [unrolled: 1-line block ×3, first 2 shown]
	s_waitcnt lgkmcnt(0)
	v_mul_f64 v[103:104], v[101:102], v[109:110]
	v_fma_f64 v[103:104], v[99:100], v[97:98], -v[103:104]
	v_mul_f64 v[99:100], v[99:100], v[109:110]
	v_fma_f64 v[99:100], v[101:102], v[97:98], v[99:100]
	s_waitcnt vmcnt(2)
	v_add_f64 v[105:106], v[105:106], -v[103:104]
	s_waitcnt vmcnt(0)
	v_add_f64 v[107:108], v[107:108], -v[99:100]
	buffer_store_dword v105, off, s[20:23], 0 ; 4-byte Folded Spill
	s_nop 0
	buffer_store_dword v106, off, s[20:23], 0 offset:4 ; 4-byte Folded Spill
	buffer_store_dword v107, off, s[20:23], 0 offset:8 ; 4-byte Folded Spill
	;; [unrolled: 1-line block ×3, first 2 shown]
	ds_read2_b64 v[99:102], v125 offset0:62 offset1:63
	v_mov_b32_e32 v108, v98
	v_mov_b32_e32 v107, v97
	s_waitcnt lgkmcnt(0)
	v_mul_f64 v[103:104], v[101:102], v[109:110]
	v_fma_f64 v[103:104], v[99:100], v[97:98], -v[103:104]
	v_mul_f64 v[99:100], v[99:100], v[109:110]
	v_add_f64 v[93:94], v[93:94], -v[103:104]
	v_fma_f64 v[99:100], v[101:102], v[97:98], v[99:100]
	v_add_f64 v[95:96], v[95:96], -v[99:100]
	ds_read2_b64 v[99:102], v125 offset0:64 offset1:65
	s_waitcnt lgkmcnt(0)
	v_mul_f64 v[103:104], v[101:102], v[109:110]
	v_fma_f64 v[103:104], v[99:100], v[97:98], -v[103:104]
	v_mul_f64 v[99:100], v[99:100], v[109:110]
	v_add_f64 v[81:82], v[81:82], -v[103:104]
	v_fma_f64 v[99:100], v[101:102], v[97:98], v[99:100]
	v_add_f64 v[83:84], v[83:84], -v[99:100]
	ds_read2_b64 v[99:102], v125 offset0:66 offset1:67
	;; [unrolled: 8-line block ×22, first 2 shown]
	s_waitcnt lgkmcnt(0)
	v_mul_f64 v[103:104], v[101:102], v[109:110]
	v_fma_f64 v[103:104], v[99:100], v[97:98], -v[103:104]
	v_mul_f64 v[99:100], v[99:100], v[109:110]
	buffer_store_dword v107, off, s[20:23], 0 offset:80 ; 4-byte Folded Spill
	s_nop 0
	buffer_store_dword v108, off, s[20:23], 0 offset:84 ; 4-byte Folded Spill
	buffer_store_dword v109, off, s[20:23], 0 offset:88 ; 4-byte Folded Spill
	;; [unrolled: 1-line block ×3, first 2 shown]
	v_add_f64 v[121:122], v[121:122], -v[103:104]
	v_fma_f64 v[99:100], v[101:102], v[97:98], v[99:100]
	v_add_f64 v[123:124], v[123:124], -v[99:100]
.LBB107_235:
	s_or_b64 exec, exec, s[2:3]
	v_cmp_eq_u32_e32 vcc, 26, v0
	s_waitcnt vmcnt(0)
	s_barrier
	s_and_saveexec_b64 s[4:5], vcc
	s_cbranch_execz .LBB107_242
; %bb.236:
	buffer_load_dword v97, off, s[20:23], 0 offset:64 ; 4-byte Folded Reload
	buffer_load_dword v98, off, s[20:23], 0 offset:68 ; 4-byte Folded Reload
	;; [unrolled: 1-line block ×4, first 2 shown]
	s_waitcnt vmcnt(0)
	ds_write2_b64 v127, v[97:98], v[99:100] offset1:1
	buffer_load_dword v97, off, s[20:23], 0 offset:48 ; 4-byte Folded Reload
	buffer_load_dword v98, off, s[20:23], 0 offset:52 ; 4-byte Folded Reload
	buffer_load_dword v99, off, s[20:23], 0 offset:56 ; 4-byte Folded Reload
	buffer_load_dword v100, off, s[20:23], 0 offset:60 ; 4-byte Folded Reload
	s_waitcnt vmcnt(0)
	ds_write2_b64 v125, v[97:98], v[99:100] offset0:54 offset1:55
	buffer_load_dword v97, off, s[20:23], 0 offset:32 ; 4-byte Folded Reload
	buffer_load_dword v98, off, s[20:23], 0 offset:36 ; 4-byte Folded Reload
	buffer_load_dword v99, off, s[20:23], 0 offset:40 ; 4-byte Folded Reload
	buffer_load_dword v100, off, s[20:23], 0 offset:44 ; 4-byte Folded Reload
	s_waitcnt vmcnt(0)
	ds_write2_b64 v125, v[97:98], v[99:100] offset0:56 offset1:57
	;; [unrolled: 6-line block ×3, first 2 shown]
	buffer_load_dword v97, off, s[20:23], 0 ; 4-byte Folded Reload
	buffer_load_dword v98, off, s[20:23], 0 offset:4 ; 4-byte Folded Reload
	buffer_load_dword v99, off, s[20:23], 0 offset:8 ; 4-byte Folded Reload
	;; [unrolled: 1-line block ×3, first 2 shown]
	s_waitcnt vmcnt(0)
	ds_write2_b64 v125, v[97:98], v[99:100] offset0:60 offset1:61
	ds_write2_b64 v125, v[93:94], v[95:96] offset0:62 offset1:63
	;; [unrolled: 1-line block ×24, first 2 shown]
	ds_read2_b64 v[97:100], v127 offset1:1
	s_waitcnt lgkmcnt(0)
	v_cmp_neq_f64_e32 vcc, 0, v[97:98]
	v_cmp_neq_f64_e64 s[2:3], 0, v[99:100]
	s_or_b64 s[2:3], vcc, s[2:3]
	s_and_b64 exec, exec, s[2:3]
	s_cbranch_execz .LBB107_242
; %bb.237:
	v_cmp_ngt_f64_e64 s[2:3], |v[97:98]|, |v[99:100]|
                                        ; implicit-def: $vgpr101_vgpr102
	s_and_saveexec_b64 s[6:7], s[2:3]
	s_xor_b64 s[2:3], exec, s[6:7]
                                        ; implicit-def: $vgpr103_vgpr104
	s_cbranch_execz .LBB107_239
; %bb.238:
	v_div_scale_f64 v[101:102], s[6:7], v[99:100], v[99:100], v[97:98]
	v_rcp_f64_e32 v[103:104], v[101:102]
	v_fma_f64 v[105:106], -v[101:102], v[103:104], 1.0
	v_fma_f64 v[103:104], v[103:104], v[105:106], v[103:104]
	v_div_scale_f64 v[105:106], vcc, v[97:98], v[99:100], v[97:98]
	v_fma_f64 v[107:108], -v[101:102], v[103:104], 1.0
	v_fma_f64 v[103:104], v[103:104], v[107:108], v[103:104]
	v_mul_f64 v[107:108], v[105:106], v[103:104]
	v_fma_f64 v[101:102], -v[101:102], v[107:108], v[105:106]
	v_div_fmas_f64 v[101:102], v[101:102], v[103:104], v[107:108]
	v_div_fixup_f64 v[101:102], v[101:102], v[99:100], v[97:98]
	v_fma_f64 v[97:98], v[97:98], v[101:102], v[99:100]
	v_div_scale_f64 v[99:100], s[6:7], v[97:98], v[97:98], 1.0
	v_div_scale_f64 v[107:108], vcc, 1.0, v[97:98], 1.0
	v_rcp_f64_e32 v[103:104], v[99:100]
	v_fma_f64 v[105:106], -v[99:100], v[103:104], 1.0
	v_fma_f64 v[103:104], v[103:104], v[105:106], v[103:104]
	v_fma_f64 v[105:106], -v[99:100], v[103:104], 1.0
	v_fma_f64 v[103:104], v[103:104], v[105:106], v[103:104]
	v_mul_f64 v[105:106], v[107:108], v[103:104]
	v_fma_f64 v[99:100], -v[99:100], v[105:106], v[107:108]
	v_div_fmas_f64 v[99:100], v[99:100], v[103:104], v[105:106]
	v_div_fixup_f64 v[103:104], v[99:100], v[97:98], 1.0
                                        ; implicit-def: $vgpr97_vgpr98
	v_mul_f64 v[101:102], v[101:102], v[103:104]
	v_xor_b32_e32 v104, 0x80000000, v104
.LBB107_239:
	s_andn2_saveexec_b64 s[2:3], s[2:3]
	s_cbranch_execz .LBB107_241
; %bb.240:
	v_div_scale_f64 v[101:102], s[6:7], v[97:98], v[97:98], v[99:100]
	v_rcp_f64_e32 v[103:104], v[101:102]
	v_fma_f64 v[105:106], -v[101:102], v[103:104], 1.0
	v_fma_f64 v[103:104], v[103:104], v[105:106], v[103:104]
	v_div_scale_f64 v[105:106], vcc, v[99:100], v[97:98], v[99:100]
	v_fma_f64 v[107:108], -v[101:102], v[103:104], 1.0
	v_fma_f64 v[103:104], v[103:104], v[107:108], v[103:104]
	v_mul_f64 v[107:108], v[105:106], v[103:104]
	v_fma_f64 v[101:102], -v[101:102], v[107:108], v[105:106]
	v_div_fmas_f64 v[101:102], v[101:102], v[103:104], v[107:108]
	v_div_fixup_f64 v[103:104], v[101:102], v[97:98], v[99:100]
	v_fma_f64 v[97:98], v[99:100], v[103:104], v[97:98]
	v_div_scale_f64 v[99:100], s[6:7], v[97:98], v[97:98], 1.0
	v_div_scale_f64 v[107:108], vcc, 1.0, v[97:98], 1.0
	v_rcp_f64_e32 v[101:102], v[99:100]
	v_fma_f64 v[105:106], -v[99:100], v[101:102], 1.0
	v_fma_f64 v[101:102], v[101:102], v[105:106], v[101:102]
	v_fma_f64 v[105:106], -v[99:100], v[101:102], 1.0
	v_fma_f64 v[101:102], v[101:102], v[105:106], v[101:102]
	v_mul_f64 v[105:106], v[107:108], v[101:102]
	v_fma_f64 v[99:100], -v[99:100], v[105:106], v[107:108]
	v_div_fmas_f64 v[99:100], v[99:100], v[101:102], v[105:106]
	v_div_fixup_f64 v[101:102], v[99:100], v[97:98], 1.0
	v_mul_f64 v[103:104], v[103:104], -v[101:102]
.LBB107_241:
	s_or_b64 exec, exec, s[2:3]
	ds_write2_b64 v127, v[101:102], v[103:104] offset1:1
.LBB107_242:
	s_or_b64 exec, exec, s[4:5]
	s_waitcnt lgkmcnt(0)
	s_barrier
	ds_read2_b64 v[87:90], v127 offset1:1
	v_cmp_lt_u32_e32 vcc, 26, v0
	s_waitcnt lgkmcnt(0)
	buffer_store_dword v87, off, s[20:23], 0 offset:1336 ; 4-byte Folded Spill
	s_nop 0
	buffer_store_dword v88, off, s[20:23], 0 offset:1340 ; 4-byte Folded Spill
	buffer_store_dword v89, off, s[20:23], 0 offset:1344 ; 4-byte Folded Spill
	;; [unrolled: 1-line block ×3, first 2 shown]
	s_and_saveexec_b64 s[2:3], vcc
	s_cbranch_execz .LBB107_244
; %bb.243:
	buffer_load_dword v107, off, s[20:23], 0 offset:64 ; 4-byte Folded Reload
	buffer_load_dword v108, off, s[20:23], 0 offset:68 ; 4-byte Folded Reload
	;; [unrolled: 1-line block ×8, first 2 shown]
	s_waitcnt vmcnt(2)
	v_mul_f64 v[99:100], v[87:88], v[109:110]
	s_waitcnt vmcnt(0)
	v_mul_f64 v[97:98], v[89:90], v[109:110]
	v_fma_f64 v[109:110], v[89:90], v[107:108], v[99:100]
	ds_read2_b64 v[99:102], v125 offset0:54 offset1:55
	v_fma_f64 v[97:98], v[87:88], v[107:108], -v[97:98]
	buffer_load_dword v105, off, s[20:23], 0 offset:48 ; 4-byte Folded Reload
	buffer_load_dword v106, off, s[20:23], 0 offset:52 ; 4-byte Folded Reload
	buffer_load_dword v107, off, s[20:23], 0 offset:56 ; 4-byte Folded Reload
	buffer_load_dword v108, off, s[20:23], 0 offset:60 ; 4-byte Folded Reload
	s_waitcnt lgkmcnt(0)
	v_mul_f64 v[103:104], v[101:102], v[109:110]
	v_fma_f64 v[103:104], v[99:100], v[97:98], -v[103:104]
	v_mul_f64 v[99:100], v[99:100], v[109:110]
	v_fma_f64 v[99:100], v[101:102], v[97:98], v[99:100]
	s_waitcnt vmcnt(2)
	v_add_f64 v[105:106], v[105:106], -v[103:104]
	s_waitcnt vmcnt(0)
	v_add_f64 v[107:108], v[107:108], -v[99:100]
	buffer_store_dword v105, off, s[20:23], 0 offset:48 ; 4-byte Folded Spill
	s_nop 0
	buffer_store_dword v106, off, s[20:23], 0 offset:52 ; 4-byte Folded Spill
	buffer_store_dword v107, off, s[20:23], 0 offset:56 ; 4-byte Folded Spill
	buffer_store_dword v108, off, s[20:23], 0 offset:60 ; 4-byte Folded Spill
	ds_read2_b64 v[99:102], v125 offset0:56 offset1:57
	buffer_load_dword v105, off, s[20:23], 0 offset:32 ; 4-byte Folded Reload
	buffer_load_dword v106, off, s[20:23], 0 offset:36 ; 4-byte Folded Reload
	buffer_load_dword v107, off, s[20:23], 0 offset:40 ; 4-byte Folded Reload
	buffer_load_dword v108, off, s[20:23], 0 offset:44 ; 4-byte Folded Reload
	s_waitcnt lgkmcnt(0)
	v_mul_f64 v[103:104], v[101:102], v[109:110]
	v_fma_f64 v[103:104], v[99:100], v[97:98], -v[103:104]
	v_mul_f64 v[99:100], v[99:100], v[109:110]
	v_fma_f64 v[99:100], v[101:102], v[97:98], v[99:100]
	s_waitcnt vmcnt(2)
	v_add_f64 v[105:106], v[105:106], -v[103:104]
	s_waitcnt vmcnt(0)
	v_add_f64 v[107:108], v[107:108], -v[99:100]
	buffer_store_dword v105, off, s[20:23], 0 offset:32 ; 4-byte Folded Spill
	s_nop 0
	buffer_store_dword v106, off, s[20:23], 0 offset:36 ; 4-byte Folded Spill
	buffer_store_dword v107, off, s[20:23], 0 offset:40 ; 4-byte Folded Spill
	buffer_store_dword v108, off, s[20:23], 0 offset:44 ; 4-byte Folded Spill
	ds_read2_b64 v[99:102], v125 offset0:58 offset1:59
	;; [unrolled: 19-line block ×3, first 2 shown]
	buffer_load_dword v105, off, s[20:23], 0 ; 4-byte Folded Reload
	buffer_load_dword v106, off, s[20:23], 0 offset:4 ; 4-byte Folded Reload
	buffer_load_dword v107, off, s[20:23], 0 offset:8 ; 4-byte Folded Reload
	buffer_load_dword v108, off, s[20:23], 0 offset:12 ; 4-byte Folded Reload
	s_waitcnt lgkmcnt(0)
	v_mul_f64 v[103:104], v[101:102], v[109:110]
	v_fma_f64 v[103:104], v[99:100], v[97:98], -v[103:104]
	v_mul_f64 v[99:100], v[99:100], v[109:110]
	v_fma_f64 v[99:100], v[101:102], v[97:98], v[99:100]
	s_waitcnt vmcnt(2)
	v_add_f64 v[105:106], v[105:106], -v[103:104]
	s_waitcnt vmcnt(0)
	v_add_f64 v[107:108], v[107:108], -v[99:100]
	buffer_store_dword v105, off, s[20:23], 0 ; 4-byte Folded Spill
	s_nop 0
	buffer_store_dword v106, off, s[20:23], 0 offset:4 ; 4-byte Folded Spill
	buffer_store_dword v107, off, s[20:23], 0 offset:8 ; 4-byte Folded Spill
	;; [unrolled: 1-line block ×3, first 2 shown]
	ds_read2_b64 v[99:102], v125 offset0:62 offset1:63
	v_mov_b32_e32 v108, v98
	v_mov_b32_e32 v107, v97
	s_waitcnt lgkmcnt(0)
	v_mul_f64 v[103:104], v[101:102], v[109:110]
	v_fma_f64 v[103:104], v[99:100], v[97:98], -v[103:104]
	v_mul_f64 v[99:100], v[99:100], v[109:110]
	v_add_f64 v[93:94], v[93:94], -v[103:104]
	v_fma_f64 v[99:100], v[101:102], v[97:98], v[99:100]
	v_add_f64 v[95:96], v[95:96], -v[99:100]
	ds_read2_b64 v[99:102], v125 offset0:64 offset1:65
	s_waitcnt lgkmcnt(0)
	v_mul_f64 v[103:104], v[101:102], v[109:110]
	v_fma_f64 v[103:104], v[99:100], v[97:98], -v[103:104]
	v_mul_f64 v[99:100], v[99:100], v[109:110]
	v_add_f64 v[81:82], v[81:82], -v[103:104]
	v_fma_f64 v[99:100], v[101:102], v[97:98], v[99:100]
	v_add_f64 v[83:84], v[83:84], -v[99:100]
	ds_read2_b64 v[99:102], v125 offset0:66 offset1:67
	;; [unrolled: 8-line block ×22, first 2 shown]
	s_waitcnt lgkmcnt(0)
	v_mul_f64 v[103:104], v[101:102], v[109:110]
	v_fma_f64 v[103:104], v[99:100], v[97:98], -v[103:104]
	v_mul_f64 v[99:100], v[99:100], v[109:110]
	buffer_store_dword v107, off, s[20:23], 0 offset:64 ; 4-byte Folded Spill
	s_nop 0
	buffer_store_dword v108, off, s[20:23], 0 offset:68 ; 4-byte Folded Spill
	buffer_store_dword v109, off, s[20:23], 0 offset:72 ; 4-byte Folded Spill
	;; [unrolled: 1-line block ×3, first 2 shown]
	v_add_f64 v[121:122], v[121:122], -v[103:104]
	v_fma_f64 v[99:100], v[101:102], v[97:98], v[99:100]
	v_add_f64 v[123:124], v[123:124], -v[99:100]
.LBB107_244:
	s_or_b64 exec, exec, s[2:3]
	v_cmp_eq_u32_e32 vcc, 27, v0
	s_waitcnt vmcnt(0)
	s_barrier
	s_and_saveexec_b64 s[4:5], vcc
	s_cbranch_execz .LBB107_251
; %bb.245:
	buffer_load_dword v97, off, s[20:23], 0 offset:48 ; 4-byte Folded Reload
	buffer_load_dword v98, off, s[20:23], 0 offset:52 ; 4-byte Folded Reload
	;; [unrolled: 1-line block ×4, first 2 shown]
	s_waitcnt vmcnt(0)
	ds_write2_b64 v127, v[97:98], v[99:100] offset1:1
	buffer_load_dword v97, off, s[20:23], 0 offset:32 ; 4-byte Folded Reload
	buffer_load_dword v98, off, s[20:23], 0 offset:36 ; 4-byte Folded Reload
	;; [unrolled: 1-line block ×4, first 2 shown]
	s_waitcnt vmcnt(0)
	ds_write2_b64 v125, v[97:98], v[99:100] offset0:56 offset1:57
	buffer_load_dword v97, off, s[20:23], 0 offset:16 ; 4-byte Folded Reload
	buffer_load_dword v98, off, s[20:23], 0 offset:20 ; 4-byte Folded Reload
	buffer_load_dword v99, off, s[20:23], 0 offset:24 ; 4-byte Folded Reload
	buffer_load_dword v100, off, s[20:23], 0 offset:28 ; 4-byte Folded Reload
	s_waitcnt vmcnt(0)
	ds_write2_b64 v125, v[97:98], v[99:100] offset0:58 offset1:59
	buffer_load_dword v97, off, s[20:23], 0 ; 4-byte Folded Reload
	buffer_load_dword v98, off, s[20:23], 0 offset:4 ; 4-byte Folded Reload
	buffer_load_dword v99, off, s[20:23], 0 offset:8 ; 4-byte Folded Reload
	;; [unrolled: 1-line block ×3, first 2 shown]
	s_waitcnt vmcnt(0)
	ds_write2_b64 v125, v[97:98], v[99:100] offset0:60 offset1:61
	ds_write2_b64 v125, v[93:94], v[95:96] offset0:62 offset1:63
	;; [unrolled: 1-line block ×24, first 2 shown]
	ds_read2_b64 v[97:100], v127 offset1:1
	s_waitcnt lgkmcnt(0)
	v_cmp_neq_f64_e32 vcc, 0, v[97:98]
	v_cmp_neq_f64_e64 s[2:3], 0, v[99:100]
	s_or_b64 s[2:3], vcc, s[2:3]
	s_and_b64 exec, exec, s[2:3]
	s_cbranch_execz .LBB107_251
; %bb.246:
	v_cmp_ngt_f64_e64 s[2:3], |v[97:98]|, |v[99:100]|
                                        ; implicit-def: $vgpr101_vgpr102
	s_and_saveexec_b64 s[6:7], s[2:3]
	s_xor_b64 s[2:3], exec, s[6:7]
                                        ; implicit-def: $vgpr103_vgpr104
	s_cbranch_execz .LBB107_248
; %bb.247:
	v_div_scale_f64 v[101:102], s[6:7], v[99:100], v[99:100], v[97:98]
	v_rcp_f64_e32 v[103:104], v[101:102]
	v_fma_f64 v[105:106], -v[101:102], v[103:104], 1.0
	v_fma_f64 v[103:104], v[103:104], v[105:106], v[103:104]
	v_div_scale_f64 v[105:106], vcc, v[97:98], v[99:100], v[97:98]
	v_fma_f64 v[107:108], -v[101:102], v[103:104], 1.0
	v_fma_f64 v[103:104], v[103:104], v[107:108], v[103:104]
	v_mul_f64 v[107:108], v[105:106], v[103:104]
	v_fma_f64 v[101:102], -v[101:102], v[107:108], v[105:106]
	v_div_fmas_f64 v[101:102], v[101:102], v[103:104], v[107:108]
	v_div_fixup_f64 v[101:102], v[101:102], v[99:100], v[97:98]
	v_fma_f64 v[97:98], v[97:98], v[101:102], v[99:100]
	v_div_scale_f64 v[99:100], s[6:7], v[97:98], v[97:98], 1.0
	v_div_scale_f64 v[107:108], vcc, 1.0, v[97:98], 1.0
	v_rcp_f64_e32 v[103:104], v[99:100]
	v_fma_f64 v[105:106], -v[99:100], v[103:104], 1.0
	v_fma_f64 v[103:104], v[103:104], v[105:106], v[103:104]
	v_fma_f64 v[105:106], -v[99:100], v[103:104], 1.0
	v_fma_f64 v[103:104], v[103:104], v[105:106], v[103:104]
	v_mul_f64 v[105:106], v[107:108], v[103:104]
	v_fma_f64 v[99:100], -v[99:100], v[105:106], v[107:108]
	v_div_fmas_f64 v[99:100], v[99:100], v[103:104], v[105:106]
	v_div_fixup_f64 v[103:104], v[99:100], v[97:98], 1.0
                                        ; implicit-def: $vgpr97_vgpr98
	v_mul_f64 v[101:102], v[101:102], v[103:104]
	v_xor_b32_e32 v104, 0x80000000, v104
.LBB107_248:
	s_andn2_saveexec_b64 s[2:3], s[2:3]
	s_cbranch_execz .LBB107_250
; %bb.249:
	v_div_scale_f64 v[101:102], s[6:7], v[97:98], v[97:98], v[99:100]
	v_rcp_f64_e32 v[103:104], v[101:102]
	v_fma_f64 v[105:106], -v[101:102], v[103:104], 1.0
	v_fma_f64 v[103:104], v[103:104], v[105:106], v[103:104]
	v_div_scale_f64 v[105:106], vcc, v[99:100], v[97:98], v[99:100]
	v_fma_f64 v[107:108], -v[101:102], v[103:104], 1.0
	v_fma_f64 v[103:104], v[103:104], v[107:108], v[103:104]
	v_mul_f64 v[107:108], v[105:106], v[103:104]
	v_fma_f64 v[101:102], -v[101:102], v[107:108], v[105:106]
	v_div_fmas_f64 v[101:102], v[101:102], v[103:104], v[107:108]
	v_div_fixup_f64 v[103:104], v[101:102], v[97:98], v[99:100]
	v_fma_f64 v[97:98], v[99:100], v[103:104], v[97:98]
	v_div_scale_f64 v[99:100], s[6:7], v[97:98], v[97:98], 1.0
	v_div_scale_f64 v[107:108], vcc, 1.0, v[97:98], 1.0
	v_rcp_f64_e32 v[101:102], v[99:100]
	v_fma_f64 v[105:106], -v[99:100], v[101:102], 1.0
	v_fma_f64 v[101:102], v[101:102], v[105:106], v[101:102]
	v_fma_f64 v[105:106], -v[99:100], v[101:102], 1.0
	v_fma_f64 v[101:102], v[101:102], v[105:106], v[101:102]
	v_mul_f64 v[105:106], v[107:108], v[101:102]
	v_fma_f64 v[99:100], -v[99:100], v[105:106], v[107:108]
	v_div_fmas_f64 v[99:100], v[99:100], v[101:102], v[105:106]
	v_div_fixup_f64 v[101:102], v[99:100], v[97:98], 1.0
	v_mul_f64 v[103:104], v[103:104], -v[101:102]
.LBB107_250:
	s_or_b64 exec, exec, s[2:3]
	ds_write2_b64 v127, v[101:102], v[103:104] offset1:1
.LBB107_251:
	s_or_b64 exec, exec, s[4:5]
	s_waitcnt lgkmcnt(0)
	s_barrier
	ds_read2_b64 v[87:90], v127 offset1:1
	v_cmp_lt_u32_e32 vcc, 27, v0
	s_waitcnt lgkmcnt(0)
	buffer_store_dword v87, off, s[20:23], 0 offset:1352 ; 4-byte Folded Spill
	s_nop 0
	buffer_store_dword v88, off, s[20:23], 0 offset:1356 ; 4-byte Folded Spill
	buffer_store_dword v89, off, s[20:23], 0 offset:1360 ; 4-byte Folded Spill
	;; [unrolled: 1-line block ×3, first 2 shown]
	s_and_saveexec_b64 s[2:3], vcc
	s_cbranch_execz .LBB107_253
; %bb.252:
	buffer_load_dword v107, off, s[20:23], 0 offset:48 ; 4-byte Folded Reload
	buffer_load_dword v108, off, s[20:23], 0 offset:52 ; 4-byte Folded Reload
	;; [unrolled: 1-line block ×8, first 2 shown]
	s_waitcnt vmcnt(2)
	v_mul_f64 v[99:100], v[87:88], v[109:110]
	s_waitcnt vmcnt(0)
	v_mul_f64 v[97:98], v[89:90], v[109:110]
	v_fma_f64 v[109:110], v[89:90], v[107:108], v[99:100]
	ds_read2_b64 v[99:102], v125 offset0:56 offset1:57
	v_fma_f64 v[97:98], v[87:88], v[107:108], -v[97:98]
	buffer_load_dword v105, off, s[20:23], 0 offset:32 ; 4-byte Folded Reload
	buffer_load_dword v106, off, s[20:23], 0 offset:36 ; 4-byte Folded Reload
	buffer_load_dword v107, off, s[20:23], 0 offset:40 ; 4-byte Folded Reload
	buffer_load_dword v108, off, s[20:23], 0 offset:44 ; 4-byte Folded Reload
	s_waitcnt lgkmcnt(0)
	v_mul_f64 v[103:104], v[101:102], v[109:110]
	v_fma_f64 v[103:104], v[99:100], v[97:98], -v[103:104]
	v_mul_f64 v[99:100], v[99:100], v[109:110]
	v_fma_f64 v[99:100], v[101:102], v[97:98], v[99:100]
	s_waitcnt vmcnt(2)
	v_add_f64 v[105:106], v[105:106], -v[103:104]
	s_waitcnt vmcnt(0)
	v_add_f64 v[107:108], v[107:108], -v[99:100]
	buffer_store_dword v105, off, s[20:23], 0 offset:32 ; 4-byte Folded Spill
	s_nop 0
	buffer_store_dword v106, off, s[20:23], 0 offset:36 ; 4-byte Folded Spill
	buffer_store_dword v107, off, s[20:23], 0 offset:40 ; 4-byte Folded Spill
	;; [unrolled: 1-line block ×3, first 2 shown]
	ds_read2_b64 v[99:102], v125 offset0:58 offset1:59
	buffer_load_dword v105, off, s[20:23], 0 offset:16 ; 4-byte Folded Reload
	buffer_load_dword v106, off, s[20:23], 0 offset:20 ; 4-byte Folded Reload
	;; [unrolled: 1-line block ×4, first 2 shown]
	s_waitcnt lgkmcnt(0)
	v_mul_f64 v[103:104], v[101:102], v[109:110]
	v_fma_f64 v[103:104], v[99:100], v[97:98], -v[103:104]
	v_mul_f64 v[99:100], v[99:100], v[109:110]
	v_fma_f64 v[99:100], v[101:102], v[97:98], v[99:100]
	s_waitcnt vmcnt(2)
	v_add_f64 v[105:106], v[105:106], -v[103:104]
	s_waitcnt vmcnt(0)
	v_add_f64 v[107:108], v[107:108], -v[99:100]
	buffer_store_dword v105, off, s[20:23], 0 offset:16 ; 4-byte Folded Spill
	s_nop 0
	buffer_store_dword v106, off, s[20:23], 0 offset:20 ; 4-byte Folded Spill
	buffer_store_dword v107, off, s[20:23], 0 offset:24 ; 4-byte Folded Spill
	;; [unrolled: 1-line block ×3, first 2 shown]
	ds_read2_b64 v[99:102], v125 offset0:60 offset1:61
	buffer_load_dword v105, off, s[20:23], 0 ; 4-byte Folded Reload
	buffer_load_dword v106, off, s[20:23], 0 offset:4 ; 4-byte Folded Reload
	buffer_load_dword v107, off, s[20:23], 0 offset:8 ; 4-byte Folded Reload
	;; [unrolled: 1-line block ×3, first 2 shown]
	s_waitcnt lgkmcnt(0)
	v_mul_f64 v[103:104], v[101:102], v[109:110]
	v_fma_f64 v[103:104], v[99:100], v[97:98], -v[103:104]
	v_mul_f64 v[99:100], v[99:100], v[109:110]
	v_fma_f64 v[99:100], v[101:102], v[97:98], v[99:100]
	s_waitcnt vmcnt(2)
	v_add_f64 v[105:106], v[105:106], -v[103:104]
	s_waitcnt vmcnt(0)
	v_add_f64 v[107:108], v[107:108], -v[99:100]
	buffer_store_dword v105, off, s[20:23], 0 ; 4-byte Folded Spill
	s_nop 0
	buffer_store_dword v106, off, s[20:23], 0 offset:4 ; 4-byte Folded Spill
	buffer_store_dword v107, off, s[20:23], 0 offset:8 ; 4-byte Folded Spill
	buffer_store_dword v108, off, s[20:23], 0 offset:12 ; 4-byte Folded Spill
	ds_read2_b64 v[99:102], v125 offset0:62 offset1:63
	v_mov_b32_e32 v108, v98
	v_mov_b32_e32 v107, v97
	s_waitcnt lgkmcnt(0)
	v_mul_f64 v[103:104], v[101:102], v[109:110]
	v_fma_f64 v[103:104], v[99:100], v[97:98], -v[103:104]
	v_mul_f64 v[99:100], v[99:100], v[109:110]
	v_add_f64 v[93:94], v[93:94], -v[103:104]
	v_fma_f64 v[99:100], v[101:102], v[97:98], v[99:100]
	v_add_f64 v[95:96], v[95:96], -v[99:100]
	ds_read2_b64 v[99:102], v125 offset0:64 offset1:65
	s_waitcnt lgkmcnt(0)
	v_mul_f64 v[103:104], v[101:102], v[109:110]
	v_fma_f64 v[103:104], v[99:100], v[97:98], -v[103:104]
	v_mul_f64 v[99:100], v[99:100], v[109:110]
	v_add_f64 v[81:82], v[81:82], -v[103:104]
	v_fma_f64 v[99:100], v[101:102], v[97:98], v[99:100]
	v_add_f64 v[83:84], v[83:84], -v[99:100]
	ds_read2_b64 v[99:102], v125 offset0:66 offset1:67
	;; [unrolled: 8-line block ×22, first 2 shown]
	s_waitcnt lgkmcnt(0)
	v_mul_f64 v[103:104], v[101:102], v[109:110]
	v_fma_f64 v[103:104], v[99:100], v[97:98], -v[103:104]
	v_mul_f64 v[99:100], v[99:100], v[109:110]
	buffer_store_dword v107, off, s[20:23], 0 offset:48 ; 4-byte Folded Spill
	s_nop 0
	buffer_store_dword v108, off, s[20:23], 0 offset:52 ; 4-byte Folded Spill
	buffer_store_dword v109, off, s[20:23], 0 offset:56 ; 4-byte Folded Spill
	buffer_store_dword v110, off, s[20:23], 0 offset:60 ; 4-byte Folded Spill
	v_add_f64 v[121:122], v[121:122], -v[103:104]
	v_fma_f64 v[99:100], v[101:102], v[97:98], v[99:100]
	v_add_f64 v[123:124], v[123:124], -v[99:100]
.LBB107_253:
	s_or_b64 exec, exec, s[2:3]
	v_cmp_eq_u32_e32 vcc, 28, v0
	s_waitcnt vmcnt(0)
	s_barrier
	s_and_saveexec_b64 s[4:5], vcc
	s_cbranch_execz .LBB107_260
; %bb.254:
	buffer_load_dword v97, off, s[20:23], 0 offset:32 ; 4-byte Folded Reload
	buffer_load_dword v98, off, s[20:23], 0 offset:36 ; 4-byte Folded Reload
	;; [unrolled: 1-line block ×4, first 2 shown]
	s_waitcnt vmcnt(0)
	ds_write2_b64 v127, v[97:98], v[99:100] offset1:1
	buffer_load_dword v97, off, s[20:23], 0 offset:16 ; 4-byte Folded Reload
	buffer_load_dword v98, off, s[20:23], 0 offset:20 ; 4-byte Folded Reload
	;; [unrolled: 1-line block ×4, first 2 shown]
	s_waitcnt vmcnt(0)
	ds_write2_b64 v125, v[97:98], v[99:100] offset0:58 offset1:59
	buffer_load_dword v97, off, s[20:23], 0 ; 4-byte Folded Reload
	buffer_load_dword v98, off, s[20:23], 0 offset:4 ; 4-byte Folded Reload
	buffer_load_dword v99, off, s[20:23], 0 offset:8 ; 4-byte Folded Reload
	;; [unrolled: 1-line block ×3, first 2 shown]
	s_waitcnt vmcnt(0)
	ds_write2_b64 v125, v[97:98], v[99:100] offset0:60 offset1:61
	ds_write2_b64 v125, v[93:94], v[95:96] offset0:62 offset1:63
	;; [unrolled: 1-line block ×24, first 2 shown]
	ds_read2_b64 v[97:100], v127 offset1:1
	s_waitcnt lgkmcnt(0)
	v_cmp_neq_f64_e32 vcc, 0, v[97:98]
	v_cmp_neq_f64_e64 s[2:3], 0, v[99:100]
	s_or_b64 s[2:3], vcc, s[2:3]
	s_and_b64 exec, exec, s[2:3]
	s_cbranch_execz .LBB107_260
; %bb.255:
	v_cmp_ngt_f64_e64 s[2:3], |v[97:98]|, |v[99:100]|
                                        ; implicit-def: $vgpr101_vgpr102
	s_and_saveexec_b64 s[6:7], s[2:3]
	s_xor_b64 s[2:3], exec, s[6:7]
                                        ; implicit-def: $vgpr103_vgpr104
	s_cbranch_execz .LBB107_257
; %bb.256:
	v_div_scale_f64 v[101:102], s[6:7], v[99:100], v[99:100], v[97:98]
	v_rcp_f64_e32 v[103:104], v[101:102]
	v_fma_f64 v[105:106], -v[101:102], v[103:104], 1.0
	v_fma_f64 v[103:104], v[103:104], v[105:106], v[103:104]
	v_div_scale_f64 v[105:106], vcc, v[97:98], v[99:100], v[97:98]
	v_fma_f64 v[107:108], -v[101:102], v[103:104], 1.0
	v_fma_f64 v[103:104], v[103:104], v[107:108], v[103:104]
	v_mul_f64 v[107:108], v[105:106], v[103:104]
	v_fma_f64 v[101:102], -v[101:102], v[107:108], v[105:106]
	v_div_fmas_f64 v[101:102], v[101:102], v[103:104], v[107:108]
	v_div_fixup_f64 v[101:102], v[101:102], v[99:100], v[97:98]
	v_fma_f64 v[97:98], v[97:98], v[101:102], v[99:100]
	v_div_scale_f64 v[99:100], s[6:7], v[97:98], v[97:98], 1.0
	v_div_scale_f64 v[107:108], vcc, 1.0, v[97:98], 1.0
	v_rcp_f64_e32 v[103:104], v[99:100]
	v_fma_f64 v[105:106], -v[99:100], v[103:104], 1.0
	v_fma_f64 v[103:104], v[103:104], v[105:106], v[103:104]
	v_fma_f64 v[105:106], -v[99:100], v[103:104], 1.0
	v_fma_f64 v[103:104], v[103:104], v[105:106], v[103:104]
	v_mul_f64 v[105:106], v[107:108], v[103:104]
	v_fma_f64 v[99:100], -v[99:100], v[105:106], v[107:108]
	v_div_fmas_f64 v[99:100], v[99:100], v[103:104], v[105:106]
	v_div_fixup_f64 v[103:104], v[99:100], v[97:98], 1.0
                                        ; implicit-def: $vgpr97_vgpr98
	v_mul_f64 v[101:102], v[101:102], v[103:104]
	v_xor_b32_e32 v104, 0x80000000, v104
.LBB107_257:
	s_andn2_saveexec_b64 s[2:3], s[2:3]
	s_cbranch_execz .LBB107_259
; %bb.258:
	v_div_scale_f64 v[101:102], s[6:7], v[97:98], v[97:98], v[99:100]
	v_rcp_f64_e32 v[103:104], v[101:102]
	v_fma_f64 v[105:106], -v[101:102], v[103:104], 1.0
	v_fma_f64 v[103:104], v[103:104], v[105:106], v[103:104]
	v_div_scale_f64 v[105:106], vcc, v[99:100], v[97:98], v[99:100]
	v_fma_f64 v[107:108], -v[101:102], v[103:104], 1.0
	v_fma_f64 v[103:104], v[103:104], v[107:108], v[103:104]
	v_mul_f64 v[107:108], v[105:106], v[103:104]
	v_fma_f64 v[101:102], -v[101:102], v[107:108], v[105:106]
	v_div_fmas_f64 v[101:102], v[101:102], v[103:104], v[107:108]
	v_div_fixup_f64 v[103:104], v[101:102], v[97:98], v[99:100]
	v_fma_f64 v[97:98], v[99:100], v[103:104], v[97:98]
	v_div_scale_f64 v[99:100], s[6:7], v[97:98], v[97:98], 1.0
	v_div_scale_f64 v[107:108], vcc, 1.0, v[97:98], 1.0
	v_rcp_f64_e32 v[101:102], v[99:100]
	v_fma_f64 v[105:106], -v[99:100], v[101:102], 1.0
	v_fma_f64 v[101:102], v[101:102], v[105:106], v[101:102]
	v_fma_f64 v[105:106], -v[99:100], v[101:102], 1.0
	v_fma_f64 v[101:102], v[101:102], v[105:106], v[101:102]
	v_mul_f64 v[105:106], v[107:108], v[101:102]
	v_fma_f64 v[99:100], -v[99:100], v[105:106], v[107:108]
	v_div_fmas_f64 v[99:100], v[99:100], v[101:102], v[105:106]
	v_div_fixup_f64 v[101:102], v[99:100], v[97:98], 1.0
	v_mul_f64 v[103:104], v[103:104], -v[101:102]
.LBB107_259:
	s_or_b64 exec, exec, s[2:3]
	ds_write2_b64 v127, v[101:102], v[103:104] offset1:1
.LBB107_260:
	s_or_b64 exec, exec, s[4:5]
	s_waitcnt lgkmcnt(0)
	s_barrier
	ds_read2_b64 v[87:90], v127 offset1:1
	v_cmp_lt_u32_e32 vcc, 28, v0
	s_waitcnt lgkmcnt(0)
	buffer_store_dword v87, off, s[20:23], 0 offset:1368 ; 4-byte Folded Spill
	s_nop 0
	buffer_store_dword v88, off, s[20:23], 0 offset:1372 ; 4-byte Folded Spill
	buffer_store_dword v89, off, s[20:23], 0 offset:1376 ; 4-byte Folded Spill
	;; [unrolled: 1-line block ×3, first 2 shown]
	s_and_saveexec_b64 s[2:3], vcc
	s_cbranch_execz .LBB107_262
; %bb.261:
	buffer_load_dword v107, off, s[20:23], 0 offset:32 ; 4-byte Folded Reload
	buffer_load_dword v108, off, s[20:23], 0 offset:36 ; 4-byte Folded Reload
	;; [unrolled: 1-line block ×8, first 2 shown]
	s_waitcnt vmcnt(2)
	v_mul_f64 v[99:100], v[87:88], v[109:110]
	s_waitcnt vmcnt(0)
	v_mul_f64 v[97:98], v[89:90], v[109:110]
	v_fma_f64 v[109:110], v[89:90], v[107:108], v[99:100]
	ds_read2_b64 v[99:102], v125 offset0:58 offset1:59
	v_fma_f64 v[97:98], v[87:88], v[107:108], -v[97:98]
	buffer_load_dword v105, off, s[20:23], 0 offset:16 ; 4-byte Folded Reload
	buffer_load_dword v106, off, s[20:23], 0 offset:20 ; 4-byte Folded Reload
	buffer_load_dword v107, off, s[20:23], 0 offset:24 ; 4-byte Folded Reload
	buffer_load_dword v108, off, s[20:23], 0 offset:28 ; 4-byte Folded Reload
	s_waitcnt lgkmcnt(0)
	v_mul_f64 v[103:104], v[101:102], v[109:110]
	v_fma_f64 v[103:104], v[99:100], v[97:98], -v[103:104]
	v_mul_f64 v[99:100], v[99:100], v[109:110]
	v_fma_f64 v[99:100], v[101:102], v[97:98], v[99:100]
	s_waitcnt vmcnt(2)
	v_add_f64 v[105:106], v[105:106], -v[103:104]
	s_waitcnt vmcnt(0)
	v_add_f64 v[107:108], v[107:108], -v[99:100]
	buffer_store_dword v105, off, s[20:23], 0 offset:16 ; 4-byte Folded Spill
	s_nop 0
	buffer_store_dword v106, off, s[20:23], 0 offset:20 ; 4-byte Folded Spill
	buffer_store_dword v107, off, s[20:23], 0 offset:24 ; 4-byte Folded Spill
	;; [unrolled: 1-line block ×3, first 2 shown]
	ds_read2_b64 v[99:102], v125 offset0:60 offset1:61
	buffer_load_dword v105, off, s[20:23], 0 ; 4-byte Folded Reload
	buffer_load_dword v106, off, s[20:23], 0 offset:4 ; 4-byte Folded Reload
	buffer_load_dword v107, off, s[20:23], 0 offset:8 ; 4-byte Folded Reload
	;; [unrolled: 1-line block ×3, first 2 shown]
	s_waitcnt lgkmcnt(0)
	v_mul_f64 v[103:104], v[101:102], v[109:110]
	v_fma_f64 v[103:104], v[99:100], v[97:98], -v[103:104]
	v_mul_f64 v[99:100], v[99:100], v[109:110]
	v_fma_f64 v[99:100], v[101:102], v[97:98], v[99:100]
	s_waitcnt vmcnt(2)
	v_add_f64 v[105:106], v[105:106], -v[103:104]
	s_waitcnt vmcnt(0)
	v_add_f64 v[107:108], v[107:108], -v[99:100]
	buffer_store_dword v105, off, s[20:23], 0 ; 4-byte Folded Spill
	s_nop 0
	buffer_store_dword v106, off, s[20:23], 0 offset:4 ; 4-byte Folded Spill
	buffer_store_dword v107, off, s[20:23], 0 offset:8 ; 4-byte Folded Spill
	;; [unrolled: 1-line block ×3, first 2 shown]
	ds_read2_b64 v[99:102], v125 offset0:62 offset1:63
	v_mov_b32_e32 v108, v98
	v_mov_b32_e32 v107, v97
	s_waitcnt lgkmcnt(0)
	v_mul_f64 v[103:104], v[101:102], v[109:110]
	v_fma_f64 v[103:104], v[99:100], v[97:98], -v[103:104]
	v_mul_f64 v[99:100], v[99:100], v[109:110]
	v_add_f64 v[93:94], v[93:94], -v[103:104]
	v_fma_f64 v[99:100], v[101:102], v[97:98], v[99:100]
	v_add_f64 v[95:96], v[95:96], -v[99:100]
	ds_read2_b64 v[99:102], v125 offset0:64 offset1:65
	s_waitcnt lgkmcnt(0)
	v_mul_f64 v[103:104], v[101:102], v[109:110]
	v_fma_f64 v[103:104], v[99:100], v[97:98], -v[103:104]
	v_mul_f64 v[99:100], v[99:100], v[109:110]
	v_add_f64 v[81:82], v[81:82], -v[103:104]
	v_fma_f64 v[99:100], v[101:102], v[97:98], v[99:100]
	v_add_f64 v[83:84], v[83:84], -v[99:100]
	ds_read2_b64 v[99:102], v125 offset0:66 offset1:67
	;; [unrolled: 8-line block ×22, first 2 shown]
	s_waitcnt lgkmcnt(0)
	v_mul_f64 v[103:104], v[101:102], v[109:110]
	v_fma_f64 v[103:104], v[99:100], v[97:98], -v[103:104]
	v_mul_f64 v[99:100], v[99:100], v[109:110]
	buffer_store_dword v107, off, s[20:23], 0 offset:32 ; 4-byte Folded Spill
	s_nop 0
	buffer_store_dword v108, off, s[20:23], 0 offset:36 ; 4-byte Folded Spill
	buffer_store_dword v109, off, s[20:23], 0 offset:40 ; 4-byte Folded Spill
	;; [unrolled: 1-line block ×3, first 2 shown]
	v_add_f64 v[121:122], v[121:122], -v[103:104]
	v_fma_f64 v[99:100], v[101:102], v[97:98], v[99:100]
	v_add_f64 v[123:124], v[123:124], -v[99:100]
.LBB107_262:
	s_or_b64 exec, exec, s[2:3]
	v_cmp_eq_u32_e32 vcc, 29, v0
	s_waitcnt vmcnt(0)
	s_barrier
	s_and_saveexec_b64 s[4:5], vcc
	s_cbranch_execz .LBB107_269
; %bb.263:
	buffer_load_dword v97, off, s[20:23], 0 offset:16 ; 4-byte Folded Reload
	buffer_load_dword v98, off, s[20:23], 0 offset:20 ; 4-byte Folded Reload
	;; [unrolled: 1-line block ×4, first 2 shown]
	s_waitcnt vmcnt(0)
	ds_write2_b64 v127, v[97:98], v[99:100] offset1:1
	buffer_load_dword v97, off, s[20:23], 0 ; 4-byte Folded Reload
	buffer_load_dword v98, off, s[20:23], 0 offset:4 ; 4-byte Folded Reload
	buffer_load_dword v99, off, s[20:23], 0 offset:8 ; 4-byte Folded Reload
	;; [unrolled: 1-line block ×3, first 2 shown]
	s_waitcnt vmcnt(0)
	ds_write2_b64 v125, v[97:98], v[99:100] offset0:60 offset1:61
	ds_write2_b64 v125, v[93:94], v[95:96] offset0:62 offset1:63
	;; [unrolled: 1-line block ×24, first 2 shown]
	ds_read2_b64 v[97:100], v127 offset1:1
	s_waitcnt lgkmcnt(0)
	v_cmp_neq_f64_e32 vcc, 0, v[97:98]
	v_cmp_neq_f64_e64 s[2:3], 0, v[99:100]
	s_or_b64 s[2:3], vcc, s[2:3]
	s_and_b64 exec, exec, s[2:3]
	s_cbranch_execz .LBB107_269
; %bb.264:
	v_cmp_ngt_f64_e64 s[2:3], |v[97:98]|, |v[99:100]|
                                        ; implicit-def: $vgpr101_vgpr102
	s_and_saveexec_b64 s[6:7], s[2:3]
	s_xor_b64 s[2:3], exec, s[6:7]
                                        ; implicit-def: $vgpr103_vgpr104
	s_cbranch_execz .LBB107_266
; %bb.265:
	v_div_scale_f64 v[101:102], s[6:7], v[99:100], v[99:100], v[97:98]
	v_rcp_f64_e32 v[103:104], v[101:102]
	v_fma_f64 v[105:106], -v[101:102], v[103:104], 1.0
	v_fma_f64 v[103:104], v[103:104], v[105:106], v[103:104]
	v_div_scale_f64 v[105:106], vcc, v[97:98], v[99:100], v[97:98]
	v_fma_f64 v[107:108], -v[101:102], v[103:104], 1.0
	v_fma_f64 v[103:104], v[103:104], v[107:108], v[103:104]
	v_mul_f64 v[107:108], v[105:106], v[103:104]
	v_fma_f64 v[101:102], -v[101:102], v[107:108], v[105:106]
	v_div_fmas_f64 v[101:102], v[101:102], v[103:104], v[107:108]
	v_div_fixup_f64 v[101:102], v[101:102], v[99:100], v[97:98]
	v_fma_f64 v[97:98], v[97:98], v[101:102], v[99:100]
	v_div_scale_f64 v[99:100], s[6:7], v[97:98], v[97:98], 1.0
	v_div_scale_f64 v[107:108], vcc, 1.0, v[97:98], 1.0
	v_rcp_f64_e32 v[103:104], v[99:100]
	v_fma_f64 v[105:106], -v[99:100], v[103:104], 1.0
	v_fma_f64 v[103:104], v[103:104], v[105:106], v[103:104]
	v_fma_f64 v[105:106], -v[99:100], v[103:104], 1.0
	v_fma_f64 v[103:104], v[103:104], v[105:106], v[103:104]
	v_mul_f64 v[105:106], v[107:108], v[103:104]
	v_fma_f64 v[99:100], -v[99:100], v[105:106], v[107:108]
	v_div_fmas_f64 v[99:100], v[99:100], v[103:104], v[105:106]
	v_div_fixup_f64 v[103:104], v[99:100], v[97:98], 1.0
                                        ; implicit-def: $vgpr97_vgpr98
	v_mul_f64 v[101:102], v[101:102], v[103:104]
	v_xor_b32_e32 v104, 0x80000000, v104
.LBB107_266:
	s_andn2_saveexec_b64 s[2:3], s[2:3]
	s_cbranch_execz .LBB107_268
; %bb.267:
	v_div_scale_f64 v[101:102], s[6:7], v[97:98], v[97:98], v[99:100]
	v_rcp_f64_e32 v[103:104], v[101:102]
	v_fma_f64 v[105:106], -v[101:102], v[103:104], 1.0
	v_fma_f64 v[103:104], v[103:104], v[105:106], v[103:104]
	v_div_scale_f64 v[105:106], vcc, v[99:100], v[97:98], v[99:100]
	v_fma_f64 v[107:108], -v[101:102], v[103:104], 1.0
	v_fma_f64 v[103:104], v[103:104], v[107:108], v[103:104]
	v_mul_f64 v[107:108], v[105:106], v[103:104]
	v_fma_f64 v[101:102], -v[101:102], v[107:108], v[105:106]
	v_div_fmas_f64 v[101:102], v[101:102], v[103:104], v[107:108]
	v_div_fixup_f64 v[103:104], v[101:102], v[97:98], v[99:100]
	v_fma_f64 v[97:98], v[99:100], v[103:104], v[97:98]
	v_div_scale_f64 v[99:100], s[6:7], v[97:98], v[97:98], 1.0
	v_div_scale_f64 v[107:108], vcc, 1.0, v[97:98], 1.0
	v_rcp_f64_e32 v[101:102], v[99:100]
	v_fma_f64 v[105:106], -v[99:100], v[101:102], 1.0
	v_fma_f64 v[101:102], v[101:102], v[105:106], v[101:102]
	v_fma_f64 v[105:106], -v[99:100], v[101:102], 1.0
	v_fma_f64 v[101:102], v[101:102], v[105:106], v[101:102]
	v_mul_f64 v[105:106], v[107:108], v[101:102]
	v_fma_f64 v[99:100], -v[99:100], v[105:106], v[107:108]
	v_div_fmas_f64 v[99:100], v[99:100], v[101:102], v[105:106]
	v_div_fixup_f64 v[101:102], v[99:100], v[97:98], 1.0
	v_mul_f64 v[103:104], v[103:104], -v[101:102]
.LBB107_268:
	s_or_b64 exec, exec, s[2:3]
	ds_write2_b64 v127, v[101:102], v[103:104] offset1:1
.LBB107_269:
	s_or_b64 exec, exec, s[4:5]
	s_waitcnt lgkmcnt(0)
	s_barrier
	ds_read2_b64 v[87:90], v127 offset1:1
	v_cmp_lt_u32_e32 vcc, 29, v0
	s_waitcnt lgkmcnt(0)
	buffer_store_dword v87, off, s[20:23], 0 offset:1384 ; 4-byte Folded Spill
	s_nop 0
	buffer_store_dword v88, off, s[20:23], 0 offset:1388 ; 4-byte Folded Spill
	buffer_store_dword v89, off, s[20:23], 0 offset:1392 ; 4-byte Folded Spill
	;; [unrolled: 1-line block ×3, first 2 shown]
	s_and_saveexec_b64 s[2:3], vcc
	s_cbranch_execz .LBB107_271
; %bb.270:
	buffer_load_dword v109, off, s[20:23], 0 offset:16 ; 4-byte Folded Reload
	buffer_load_dword v110, off, s[20:23], 0 offset:20 ; 4-byte Folded Reload
	;; [unrolled: 1-line block ×8, first 2 shown]
	v_mov_b32_e32 v106, v96
	v_mov_b32_e32 v105, v95
	;; [unrolled: 1-line block ×4, first 2 shown]
	ds_read2_b64 v[99:102], v125 offset0:60 offset1:61
	s_waitcnt vmcnt(2)
	v_mul_f64 v[95:96], v[87:88], v[111:112]
	s_waitcnt vmcnt(0)
	v_mul_f64 v[97:98], v[89:90], v[111:112]
	v_fma_f64 v[111:112], v[89:90], v[109:110], v[95:96]
	v_fma_f64 v[97:98], v[87:88], v[109:110], -v[97:98]
	buffer_load_dword v107, off, s[20:23], 0 ; 4-byte Folded Reload
	buffer_load_dword v108, off, s[20:23], 0 offset:4 ; 4-byte Folded Reload
	buffer_load_dword v109, off, s[20:23], 0 offset:8 ; 4-byte Folded Reload
	;; [unrolled: 1-line block ×3, first 2 shown]
	s_waitcnt lgkmcnt(0)
	v_mul_f64 v[93:94], v[101:102], v[111:112]
	v_fma_f64 v[93:94], v[99:100], v[97:98], -v[93:94]
	v_mul_f64 v[99:100], v[99:100], v[111:112]
	v_fma_f64 v[99:100], v[101:102], v[97:98], v[99:100]
	s_waitcnt vmcnt(2)
	v_add_f64 v[107:108], v[107:108], -v[93:94]
	s_waitcnt vmcnt(0)
	v_add_f64 v[109:110], v[109:110], -v[99:100]
	buffer_store_dword v107, off, s[20:23], 0 ; 4-byte Folded Spill
	s_nop 0
	buffer_store_dword v108, off, s[20:23], 0 offset:4 ; 4-byte Folded Spill
	buffer_store_dword v109, off, s[20:23], 0 offset:8 ; 4-byte Folded Spill
	;; [unrolled: 1-line block ×3, first 2 shown]
	ds_read2_b64 v[99:102], v125 offset0:62 offset1:63
	v_mov_b32_e32 v110, v98
	v_mov_b32_e32 v109, v97
	s_waitcnt lgkmcnt(0)
	v_mul_f64 v[93:94], v[101:102], v[111:112]
	v_fma_f64 v[93:94], v[99:100], v[97:98], -v[93:94]
	v_mul_f64 v[99:100], v[99:100], v[111:112]
	v_add_f64 v[103:104], v[103:104], -v[93:94]
	v_fma_f64 v[99:100], v[101:102], v[97:98], v[99:100]
	v_add_f64 v[105:106], v[105:106], -v[99:100]
	ds_read2_b64 v[99:102], v125 offset0:64 offset1:65
	s_waitcnt lgkmcnt(0)
	v_mul_f64 v[93:94], v[101:102], v[111:112]
	v_fma_f64 v[93:94], v[99:100], v[97:98], -v[93:94]
	v_mul_f64 v[99:100], v[99:100], v[111:112]
	v_add_f64 v[81:82], v[81:82], -v[93:94]
	v_fma_f64 v[99:100], v[101:102], v[97:98], v[99:100]
	v_add_f64 v[83:84], v[83:84], -v[99:100]
	ds_read2_b64 v[99:102], v125 offset0:66 offset1:67
	;; [unrolled: 8-line block ×22, first 2 shown]
	s_waitcnt lgkmcnt(0)
	v_mul_f64 v[93:94], v[101:102], v[111:112]
	v_fma_f64 v[93:94], v[99:100], v[97:98], -v[93:94]
	v_mul_f64 v[99:100], v[99:100], v[111:112]
	buffer_store_dword v109, off, s[20:23], 0 offset:16 ; 4-byte Folded Spill
	s_nop 0
	buffer_store_dword v110, off, s[20:23], 0 offset:20 ; 4-byte Folded Spill
	buffer_store_dword v111, off, s[20:23], 0 offset:24 ; 4-byte Folded Spill
	;; [unrolled: 1-line block ×3, first 2 shown]
	v_add_f64 v[121:122], v[121:122], -v[93:94]
	v_fma_f64 v[99:100], v[101:102], v[97:98], v[99:100]
	v_mov_b32_e32 v93, v103
	v_mov_b32_e32 v94, v104
	;; [unrolled: 1-line block ×4, first 2 shown]
	v_add_f64 v[123:124], v[123:124], -v[99:100]
.LBB107_271:
	s_or_b64 exec, exec, s[2:3]
	v_cmp_eq_u32_e32 vcc, 30, v0
	s_waitcnt vmcnt(0)
	s_barrier
	s_and_saveexec_b64 s[4:5], vcc
	s_cbranch_execz .LBB107_278
; %bb.272:
	buffer_load_dword v97, off, s[20:23], 0 ; 4-byte Folded Reload
	buffer_load_dword v98, off, s[20:23], 0 offset:4 ; 4-byte Folded Reload
	buffer_load_dword v99, off, s[20:23], 0 offset:8 ; 4-byte Folded Reload
	;; [unrolled: 1-line block ×3, first 2 shown]
	s_waitcnt vmcnt(0)
	ds_write2_b64 v127, v[97:98], v[99:100] offset1:1
	ds_write2_b64 v125, v[93:94], v[95:96] offset0:62 offset1:63
	ds_write2_b64 v125, v[81:82], v[83:84] offset0:64 offset1:65
	;; [unrolled: 1-line block ×23, first 2 shown]
	ds_read2_b64 v[97:100], v127 offset1:1
	s_waitcnt lgkmcnt(0)
	v_cmp_neq_f64_e32 vcc, 0, v[97:98]
	v_cmp_neq_f64_e64 s[2:3], 0, v[99:100]
	s_or_b64 s[2:3], vcc, s[2:3]
	s_and_b64 exec, exec, s[2:3]
	s_cbranch_execz .LBB107_278
; %bb.273:
	v_cmp_ngt_f64_e64 s[2:3], |v[97:98]|, |v[99:100]|
                                        ; implicit-def: $vgpr101_vgpr102
	s_and_saveexec_b64 s[6:7], s[2:3]
	s_xor_b64 s[2:3], exec, s[6:7]
                                        ; implicit-def: $vgpr103_vgpr104
	s_cbranch_execz .LBB107_275
; %bb.274:
	v_div_scale_f64 v[101:102], s[6:7], v[99:100], v[99:100], v[97:98]
	v_rcp_f64_e32 v[103:104], v[101:102]
	v_fma_f64 v[105:106], -v[101:102], v[103:104], 1.0
	v_fma_f64 v[103:104], v[103:104], v[105:106], v[103:104]
	v_div_scale_f64 v[105:106], vcc, v[97:98], v[99:100], v[97:98]
	v_fma_f64 v[107:108], -v[101:102], v[103:104], 1.0
	v_fma_f64 v[103:104], v[103:104], v[107:108], v[103:104]
	v_mul_f64 v[107:108], v[105:106], v[103:104]
	v_fma_f64 v[101:102], -v[101:102], v[107:108], v[105:106]
	v_div_fmas_f64 v[101:102], v[101:102], v[103:104], v[107:108]
	v_div_fixup_f64 v[101:102], v[101:102], v[99:100], v[97:98]
	v_fma_f64 v[97:98], v[97:98], v[101:102], v[99:100]
	v_div_scale_f64 v[99:100], s[6:7], v[97:98], v[97:98], 1.0
	v_div_scale_f64 v[107:108], vcc, 1.0, v[97:98], 1.0
	v_rcp_f64_e32 v[103:104], v[99:100]
	v_fma_f64 v[105:106], -v[99:100], v[103:104], 1.0
	v_fma_f64 v[103:104], v[103:104], v[105:106], v[103:104]
	v_fma_f64 v[105:106], -v[99:100], v[103:104], 1.0
	v_fma_f64 v[103:104], v[103:104], v[105:106], v[103:104]
	v_mul_f64 v[105:106], v[107:108], v[103:104]
	v_fma_f64 v[99:100], -v[99:100], v[105:106], v[107:108]
	v_div_fmas_f64 v[99:100], v[99:100], v[103:104], v[105:106]
	v_div_fixup_f64 v[103:104], v[99:100], v[97:98], 1.0
                                        ; implicit-def: $vgpr97_vgpr98
	v_mul_f64 v[101:102], v[101:102], v[103:104]
	v_xor_b32_e32 v104, 0x80000000, v104
.LBB107_275:
	s_andn2_saveexec_b64 s[2:3], s[2:3]
	s_cbranch_execz .LBB107_277
; %bb.276:
	v_div_scale_f64 v[101:102], s[6:7], v[97:98], v[97:98], v[99:100]
	v_rcp_f64_e32 v[103:104], v[101:102]
	v_fma_f64 v[105:106], -v[101:102], v[103:104], 1.0
	v_fma_f64 v[103:104], v[103:104], v[105:106], v[103:104]
	v_div_scale_f64 v[105:106], vcc, v[99:100], v[97:98], v[99:100]
	v_fma_f64 v[107:108], -v[101:102], v[103:104], 1.0
	v_fma_f64 v[103:104], v[103:104], v[107:108], v[103:104]
	v_mul_f64 v[107:108], v[105:106], v[103:104]
	v_fma_f64 v[101:102], -v[101:102], v[107:108], v[105:106]
	v_div_fmas_f64 v[101:102], v[101:102], v[103:104], v[107:108]
	v_div_fixup_f64 v[103:104], v[101:102], v[97:98], v[99:100]
	v_fma_f64 v[97:98], v[99:100], v[103:104], v[97:98]
	v_div_scale_f64 v[99:100], s[6:7], v[97:98], v[97:98], 1.0
	v_div_scale_f64 v[107:108], vcc, 1.0, v[97:98], 1.0
	v_rcp_f64_e32 v[101:102], v[99:100]
	v_fma_f64 v[105:106], -v[99:100], v[101:102], 1.0
	v_fma_f64 v[101:102], v[101:102], v[105:106], v[101:102]
	v_fma_f64 v[105:106], -v[99:100], v[101:102], 1.0
	v_fma_f64 v[101:102], v[101:102], v[105:106], v[101:102]
	v_mul_f64 v[105:106], v[107:108], v[101:102]
	v_fma_f64 v[99:100], -v[99:100], v[105:106], v[107:108]
	v_div_fmas_f64 v[99:100], v[99:100], v[101:102], v[105:106]
	v_div_fixup_f64 v[101:102], v[99:100], v[97:98], 1.0
	v_mul_f64 v[103:104], v[103:104], -v[101:102]
.LBB107_277:
	s_or_b64 exec, exec, s[2:3]
	ds_write2_b64 v127, v[101:102], v[103:104] offset1:1
.LBB107_278:
	s_or_b64 exec, exec, s[4:5]
	s_waitcnt lgkmcnt(0)
	s_barrier
	ds_read2_b64 v[87:90], v127 offset1:1
	v_cmp_lt_u32_e32 vcc, 30, v0
	s_waitcnt lgkmcnt(0)
	buffer_store_dword v87, off, s[20:23], 0 offset:1400 ; 4-byte Folded Spill
	s_nop 0
	buffer_store_dword v88, off, s[20:23], 0 offset:1404 ; 4-byte Folded Spill
	buffer_store_dword v89, off, s[20:23], 0 offset:1408 ; 4-byte Folded Spill
	;; [unrolled: 1-line block ×3, first 2 shown]
	s_and_saveexec_b64 s[2:3], vcc
	s_cbranch_execz .LBB107_280
; %bb.279:
	buffer_load_dword v107, off, s[20:23], 0 ; 4-byte Folded Reload
	buffer_load_dword v108, off, s[20:23], 0 offset:4 ; 4-byte Folded Reload
	buffer_load_dword v109, off, s[20:23], 0 offset:8 ; 4-byte Folded Reload
	;; [unrolled: 1-line block ×7, first 2 shown]
	ds_read2_b64 v[99:102], v125 offset0:62 offset1:63
	v_mov_b32_e32 v106, v96
	v_mov_b32_e32 v105, v95
	;; [unrolled: 1-line block ×4, first 2 shown]
	s_waitcnt vmcnt(2)
	v_mul_f64 v[91:92], v[87:88], v[109:110]
	s_waitcnt vmcnt(0)
	v_mul_f64 v[97:98], v[89:90], v[109:110]
	v_fma_f64 v[109:110], v[89:90], v[107:108], v[91:92]
	v_fma_f64 v[97:98], v[87:88], v[107:108], -v[97:98]
	s_waitcnt lgkmcnt(0)
	v_mul_f64 v[89:90], v[101:102], v[109:110]
	v_mov_b32_e32 v108, v98
	v_mov_b32_e32 v107, v97
	v_fma_f64 v[89:90], v[99:100], v[97:98], -v[89:90]
	v_mul_f64 v[99:100], v[99:100], v[109:110]
	v_add_f64 v[103:104], v[103:104], -v[89:90]
	v_fma_f64 v[99:100], v[101:102], v[97:98], v[99:100]
	v_add_f64 v[105:106], v[105:106], -v[99:100]
	ds_read2_b64 v[99:102], v125 offset0:64 offset1:65
	v_mov_b32_e32 v93, v103
	v_mov_b32_e32 v94, v104
	s_waitcnt lgkmcnt(0)
	v_mul_f64 v[89:90], v[101:102], v[109:110]
	v_mov_b32_e32 v95, v105
	v_mov_b32_e32 v96, v106
	v_fma_f64 v[89:90], v[99:100], v[97:98], -v[89:90]
	v_mul_f64 v[99:100], v[99:100], v[109:110]
	v_add_f64 v[81:82], v[81:82], -v[89:90]
	v_fma_f64 v[99:100], v[101:102], v[97:98], v[99:100]
	v_add_f64 v[83:84], v[83:84], -v[99:100]
	ds_read2_b64 v[99:102], v125 offset0:66 offset1:67
	s_waitcnt lgkmcnt(0)
	v_mul_f64 v[89:90], v[101:102], v[109:110]
	v_fma_f64 v[89:90], v[99:100], v[97:98], -v[89:90]
	v_mul_f64 v[99:100], v[99:100], v[109:110]
	v_add_f64 v[77:78], v[77:78], -v[89:90]
	v_fma_f64 v[99:100], v[101:102], v[97:98], v[99:100]
	v_add_f64 v[79:80], v[79:80], -v[99:100]
	ds_read2_b64 v[99:102], v125 offset0:68 offset1:69
	s_waitcnt lgkmcnt(0)
	v_mul_f64 v[89:90], v[101:102], v[109:110]
	v_fma_f64 v[89:90], v[99:100], v[97:98], -v[89:90]
	v_mul_f64 v[99:100], v[99:100], v[109:110]
	v_add_f64 v[73:74], v[73:74], -v[89:90]
	v_fma_f64 v[99:100], v[101:102], v[97:98], v[99:100]
	v_add_f64 v[75:76], v[75:76], -v[99:100]
	ds_read2_b64 v[99:102], v125 offset0:70 offset1:71
	s_waitcnt lgkmcnt(0)
	v_mul_f64 v[89:90], v[101:102], v[109:110]
	v_fma_f64 v[89:90], v[99:100], v[97:98], -v[89:90]
	v_mul_f64 v[99:100], v[99:100], v[109:110]
	v_add_f64 v[69:70], v[69:70], -v[89:90]
	v_fma_f64 v[99:100], v[101:102], v[97:98], v[99:100]
	v_add_f64 v[71:72], v[71:72], -v[99:100]
	ds_read2_b64 v[99:102], v125 offset0:72 offset1:73
	s_waitcnt lgkmcnt(0)
	v_mul_f64 v[89:90], v[101:102], v[109:110]
	v_fma_f64 v[89:90], v[99:100], v[97:98], -v[89:90]
	v_mul_f64 v[99:100], v[99:100], v[109:110]
	v_add_f64 v[65:66], v[65:66], -v[89:90]
	v_fma_f64 v[99:100], v[101:102], v[97:98], v[99:100]
	v_add_f64 v[67:68], v[67:68], -v[99:100]
	ds_read2_b64 v[99:102], v125 offset0:74 offset1:75
	s_waitcnt lgkmcnt(0)
	v_mul_f64 v[89:90], v[101:102], v[109:110]
	v_fma_f64 v[89:90], v[99:100], v[97:98], -v[89:90]
	v_mul_f64 v[99:100], v[99:100], v[109:110]
	v_add_f64 v[61:62], v[61:62], -v[89:90]
	v_fma_f64 v[99:100], v[101:102], v[97:98], v[99:100]
	v_add_f64 v[63:64], v[63:64], -v[99:100]
	ds_read2_b64 v[99:102], v125 offset0:76 offset1:77
	s_waitcnt lgkmcnt(0)
	v_mul_f64 v[89:90], v[101:102], v[109:110]
	v_fma_f64 v[89:90], v[99:100], v[97:98], -v[89:90]
	v_mul_f64 v[99:100], v[99:100], v[109:110]
	v_add_f64 v[57:58], v[57:58], -v[89:90]
	v_fma_f64 v[99:100], v[101:102], v[97:98], v[99:100]
	v_add_f64 v[59:60], v[59:60], -v[99:100]
	ds_read2_b64 v[99:102], v125 offset0:78 offset1:79
	s_waitcnt lgkmcnt(0)
	v_mul_f64 v[89:90], v[101:102], v[109:110]
	v_fma_f64 v[89:90], v[99:100], v[97:98], -v[89:90]
	v_mul_f64 v[99:100], v[99:100], v[109:110]
	v_add_f64 v[53:54], v[53:54], -v[89:90]
	v_fma_f64 v[99:100], v[101:102], v[97:98], v[99:100]
	v_add_f64 v[55:56], v[55:56], -v[99:100]
	ds_read2_b64 v[99:102], v125 offset0:80 offset1:81
	s_waitcnt lgkmcnt(0)
	v_mul_f64 v[89:90], v[101:102], v[109:110]
	v_fma_f64 v[89:90], v[99:100], v[97:98], -v[89:90]
	v_mul_f64 v[99:100], v[99:100], v[109:110]
	v_add_f64 v[49:50], v[49:50], -v[89:90]
	v_fma_f64 v[99:100], v[101:102], v[97:98], v[99:100]
	v_add_f64 v[51:52], v[51:52], -v[99:100]
	ds_read2_b64 v[99:102], v125 offset0:82 offset1:83
	s_waitcnt lgkmcnt(0)
	v_mul_f64 v[89:90], v[101:102], v[109:110]
	v_fma_f64 v[89:90], v[99:100], v[97:98], -v[89:90]
	v_mul_f64 v[99:100], v[99:100], v[109:110]
	v_add_f64 v[45:46], v[45:46], -v[89:90]
	v_fma_f64 v[99:100], v[101:102], v[97:98], v[99:100]
	v_add_f64 v[47:48], v[47:48], -v[99:100]
	ds_read2_b64 v[99:102], v125 offset0:84 offset1:85
	s_waitcnt lgkmcnt(0)
	v_mul_f64 v[89:90], v[101:102], v[109:110]
	v_fma_f64 v[89:90], v[99:100], v[97:98], -v[89:90]
	v_mul_f64 v[99:100], v[99:100], v[109:110]
	v_add_f64 v[41:42], v[41:42], -v[89:90]
	v_fma_f64 v[99:100], v[101:102], v[97:98], v[99:100]
	v_add_f64 v[43:44], v[43:44], -v[99:100]
	ds_read2_b64 v[99:102], v125 offset0:86 offset1:87
	s_waitcnt lgkmcnt(0)
	v_mul_f64 v[89:90], v[101:102], v[109:110]
	v_fma_f64 v[89:90], v[99:100], v[97:98], -v[89:90]
	v_mul_f64 v[99:100], v[99:100], v[109:110]
	v_add_f64 v[37:38], v[37:38], -v[89:90]
	v_fma_f64 v[99:100], v[101:102], v[97:98], v[99:100]
	v_add_f64 v[39:40], v[39:40], -v[99:100]
	ds_read2_b64 v[99:102], v125 offset0:88 offset1:89
	s_waitcnt lgkmcnt(0)
	v_mul_f64 v[89:90], v[101:102], v[109:110]
	v_fma_f64 v[89:90], v[99:100], v[97:98], -v[89:90]
	v_mul_f64 v[99:100], v[99:100], v[109:110]
	v_add_f64 v[33:34], v[33:34], -v[89:90]
	v_fma_f64 v[99:100], v[101:102], v[97:98], v[99:100]
	v_add_f64 v[35:36], v[35:36], -v[99:100]
	ds_read2_b64 v[99:102], v125 offset0:90 offset1:91
	s_waitcnt lgkmcnt(0)
	v_mul_f64 v[89:90], v[101:102], v[109:110]
	v_fma_f64 v[89:90], v[99:100], v[97:98], -v[89:90]
	v_mul_f64 v[99:100], v[99:100], v[109:110]
	v_add_f64 v[29:30], v[29:30], -v[89:90]
	v_fma_f64 v[99:100], v[101:102], v[97:98], v[99:100]
	v_add_f64 v[31:32], v[31:32], -v[99:100]
	ds_read2_b64 v[99:102], v125 offset0:92 offset1:93
	s_waitcnt lgkmcnt(0)
	v_mul_f64 v[89:90], v[101:102], v[109:110]
	v_fma_f64 v[89:90], v[99:100], v[97:98], -v[89:90]
	v_mul_f64 v[99:100], v[99:100], v[109:110]
	v_add_f64 v[25:26], v[25:26], -v[89:90]
	v_fma_f64 v[99:100], v[101:102], v[97:98], v[99:100]
	v_add_f64 v[27:28], v[27:28], -v[99:100]
	ds_read2_b64 v[99:102], v125 offset0:94 offset1:95
	s_waitcnt lgkmcnt(0)
	v_mul_f64 v[89:90], v[101:102], v[109:110]
	v_fma_f64 v[89:90], v[99:100], v[97:98], -v[89:90]
	v_mul_f64 v[99:100], v[99:100], v[109:110]
	v_add_f64 v[21:22], v[21:22], -v[89:90]
	v_fma_f64 v[99:100], v[101:102], v[97:98], v[99:100]
	v_add_f64 v[23:24], v[23:24], -v[99:100]
	ds_read2_b64 v[99:102], v125 offset0:96 offset1:97
	s_waitcnt lgkmcnt(0)
	v_mul_f64 v[89:90], v[101:102], v[109:110]
	v_fma_f64 v[89:90], v[99:100], v[97:98], -v[89:90]
	v_mul_f64 v[99:100], v[99:100], v[109:110]
	v_add_f64 v[17:18], v[17:18], -v[89:90]
	v_fma_f64 v[99:100], v[101:102], v[97:98], v[99:100]
	v_add_f64 v[19:20], v[19:20], -v[99:100]
	ds_read2_b64 v[99:102], v125 offset0:98 offset1:99
	s_waitcnt lgkmcnt(0)
	v_mul_f64 v[89:90], v[101:102], v[109:110]
	v_fma_f64 v[89:90], v[99:100], v[97:98], -v[89:90]
	v_mul_f64 v[99:100], v[99:100], v[109:110]
	v_add_f64 v[13:14], v[13:14], -v[89:90]
	v_fma_f64 v[99:100], v[101:102], v[97:98], v[99:100]
	v_add_f64 v[15:16], v[15:16], -v[99:100]
	ds_read2_b64 v[99:102], v125 offset0:100 offset1:101
	s_waitcnt lgkmcnt(0)
	v_mul_f64 v[89:90], v[101:102], v[109:110]
	v_fma_f64 v[89:90], v[99:100], v[97:98], -v[89:90]
	v_mul_f64 v[99:100], v[99:100], v[109:110]
	v_add_f64 v[9:10], v[9:10], -v[89:90]
	v_fma_f64 v[99:100], v[101:102], v[97:98], v[99:100]
	v_add_f64 v[11:12], v[11:12], -v[99:100]
	ds_read2_b64 v[99:102], v125 offset0:102 offset1:103
	s_waitcnt lgkmcnt(0)
	v_mul_f64 v[89:90], v[101:102], v[109:110]
	v_fma_f64 v[89:90], v[99:100], v[97:98], -v[89:90]
	v_mul_f64 v[99:100], v[99:100], v[109:110]
	v_add_f64 v[5:6], v[5:6], -v[89:90]
	v_fma_f64 v[99:100], v[101:102], v[97:98], v[99:100]
	v_add_f64 v[7:8], v[7:8], -v[99:100]
	ds_read2_b64 v[99:102], v125 offset0:104 offset1:105
	s_waitcnt lgkmcnt(0)
	v_mul_f64 v[89:90], v[101:102], v[109:110]
	v_fma_f64 v[89:90], v[99:100], v[97:98], -v[89:90]
	v_mul_f64 v[99:100], v[99:100], v[109:110]
	v_add_f64 v[1:2], v[1:2], -v[89:90]
	v_fma_f64 v[99:100], v[101:102], v[97:98], v[99:100]
	v_add_f64 v[3:4], v[3:4], -v[99:100]
	ds_read2_b64 v[99:102], v125 offset0:106 offset1:107
	s_waitcnt lgkmcnt(0)
	v_mul_f64 v[89:90], v[101:102], v[109:110]
	v_fma_f64 v[89:90], v[99:100], v[97:98], -v[89:90]
	v_mul_f64 v[99:100], v[99:100], v[109:110]
	buffer_store_dword v107, off, s[20:23], 0 ; 4-byte Folded Spill
	s_nop 0
	buffer_store_dword v108, off, s[20:23], 0 offset:4 ; 4-byte Folded Spill
	buffer_store_dword v109, off, s[20:23], 0 offset:8 ; 4-byte Folded Spill
	;; [unrolled: 1-line block ×3, first 2 shown]
	v_add_f64 v[121:122], v[121:122], -v[89:90]
	v_fma_f64 v[99:100], v[101:102], v[97:98], v[99:100]
	v_add_f64 v[123:124], v[123:124], -v[99:100]
.LBB107_280:
	s_or_b64 exec, exec, s[2:3]
	v_cmp_eq_u32_e32 vcc, 31, v0
	s_waitcnt vmcnt(0)
	s_barrier
	s_and_saveexec_b64 s[4:5], vcc
	s_cbranch_execz .LBB107_287
; %bb.281:
	ds_write2_b64 v127, v[93:94], v[95:96] offset1:1
	ds_write2_b64 v125, v[81:82], v[83:84] offset0:64 offset1:65
	ds_write2_b64 v125, v[77:78], v[79:80] offset0:66 offset1:67
	;; [unrolled: 1-line block ×22, first 2 shown]
	ds_read2_b64 v[97:100], v127 offset1:1
	s_waitcnt lgkmcnt(0)
	v_cmp_neq_f64_e32 vcc, 0, v[97:98]
	v_cmp_neq_f64_e64 s[2:3], 0, v[99:100]
	s_or_b64 s[2:3], vcc, s[2:3]
	s_and_b64 exec, exec, s[2:3]
	s_cbranch_execz .LBB107_287
; %bb.282:
	v_cmp_ngt_f64_e64 s[2:3], |v[97:98]|, |v[99:100]|
                                        ; implicit-def: $vgpr101_vgpr102
	s_and_saveexec_b64 s[6:7], s[2:3]
	s_xor_b64 s[2:3], exec, s[6:7]
                                        ; implicit-def: $vgpr103_vgpr104
	s_cbranch_execz .LBB107_284
; %bb.283:
	v_div_scale_f64 v[101:102], s[6:7], v[99:100], v[99:100], v[97:98]
	v_rcp_f64_e32 v[103:104], v[101:102]
	v_fma_f64 v[105:106], -v[101:102], v[103:104], 1.0
	v_fma_f64 v[103:104], v[103:104], v[105:106], v[103:104]
	v_div_scale_f64 v[105:106], vcc, v[97:98], v[99:100], v[97:98]
	v_fma_f64 v[107:108], -v[101:102], v[103:104], 1.0
	v_fma_f64 v[103:104], v[103:104], v[107:108], v[103:104]
	v_mul_f64 v[107:108], v[105:106], v[103:104]
	v_fma_f64 v[101:102], -v[101:102], v[107:108], v[105:106]
	v_div_fmas_f64 v[101:102], v[101:102], v[103:104], v[107:108]
	v_div_fixup_f64 v[101:102], v[101:102], v[99:100], v[97:98]
	v_fma_f64 v[97:98], v[97:98], v[101:102], v[99:100]
	v_div_scale_f64 v[99:100], s[6:7], v[97:98], v[97:98], 1.0
	v_div_scale_f64 v[107:108], vcc, 1.0, v[97:98], 1.0
	v_rcp_f64_e32 v[103:104], v[99:100]
	v_fma_f64 v[105:106], -v[99:100], v[103:104], 1.0
	v_fma_f64 v[103:104], v[103:104], v[105:106], v[103:104]
	v_fma_f64 v[105:106], -v[99:100], v[103:104], 1.0
	v_fma_f64 v[103:104], v[103:104], v[105:106], v[103:104]
	v_mul_f64 v[105:106], v[107:108], v[103:104]
	v_fma_f64 v[99:100], -v[99:100], v[105:106], v[107:108]
	v_div_fmas_f64 v[99:100], v[99:100], v[103:104], v[105:106]
	v_div_fixup_f64 v[103:104], v[99:100], v[97:98], 1.0
                                        ; implicit-def: $vgpr97_vgpr98
	v_mul_f64 v[101:102], v[101:102], v[103:104]
	v_xor_b32_e32 v104, 0x80000000, v104
.LBB107_284:
	s_andn2_saveexec_b64 s[2:3], s[2:3]
	s_cbranch_execz .LBB107_286
; %bb.285:
	v_div_scale_f64 v[101:102], s[6:7], v[97:98], v[97:98], v[99:100]
	v_rcp_f64_e32 v[103:104], v[101:102]
	v_fma_f64 v[105:106], -v[101:102], v[103:104], 1.0
	v_fma_f64 v[103:104], v[103:104], v[105:106], v[103:104]
	v_div_scale_f64 v[105:106], vcc, v[99:100], v[97:98], v[99:100]
	v_fma_f64 v[107:108], -v[101:102], v[103:104], 1.0
	v_fma_f64 v[103:104], v[103:104], v[107:108], v[103:104]
	v_mul_f64 v[107:108], v[105:106], v[103:104]
	v_fma_f64 v[101:102], -v[101:102], v[107:108], v[105:106]
	v_div_fmas_f64 v[101:102], v[101:102], v[103:104], v[107:108]
	v_div_fixup_f64 v[103:104], v[101:102], v[97:98], v[99:100]
	v_fma_f64 v[97:98], v[99:100], v[103:104], v[97:98]
	v_div_scale_f64 v[99:100], s[6:7], v[97:98], v[97:98], 1.0
	v_div_scale_f64 v[107:108], vcc, 1.0, v[97:98], 1.0
	v_rcp_f64_e32 v[101:102], v[99:100]
	v_fma_f64 v[105:106], -v[99:100], v[101:102], 1.0
	v_fma_f64 v[101:102], v[101:102], v[105:106], v[101:102]
	v_fma_f64 v[105:106], -v[99:100], v[101:102], 1.0
	v_fma_f64 v[101:102], v[101:102], v[105:106], v[101:102]
	v_mul_f64 v[105:106], v[107:108], v[101:102]
	v_fma_f64 v[99:100], -v[99:100], v[105:106], v[107:108]
	v_div_fmas_f64 v[99:100], v[99:100], v[101:102], v[105:106]
	v_div_fixup_f64 v[101:102], v[99:100], v[97:98], 1.0
	v_mul_f64 v[103:104], v[103:104], -v[101:102]
.LBB107_286:
	s_or_b64 exec, exec, s[2:3]
	ds_write2_b64 v127, v[101:102], v[103:104] offset1:1
.LBB107_287:
	s_or_b64 exec, exec, s[4:5]
	s_waitcnt lgkmcnt(0)
	s_barrier
	ds_read2_b64 v[89:92], v127 offset1:1
	v_cmp_lt_u32_e32 vcc, 31, v0
	s_and_saveexec_b64 s[2:3], vcc
	s_cbranch_execz .LBB107_289
; %bb.288:
	v_mov_b32_e32 v104, v96
	v_mov_b32_e32 v103, v95
	s_waitcnt lgkmcnt(0)
	v_mul_f64 v[87:88], v[89:90], v[103:104]
	v_mul_f64 v[97:98], v[91:92], v[95:96]
	v_mov_b32_e32 v102, v94
	v_mov_b32_e32 v101, v93
	v_fma_f64 v[103:104], v[91:92], v[101:102], v[87:88]
	ds_read2_b64 v[99:102], v125 offset0:64 offset1:65
	v_fma_f64 v[97:98], v[89:90], v[93:94], -v[97:98]
	v_mov_b32_e32 v94, v86
	v_mov_b32_e32 v93, v85
	s_waitcnt lgkmcnt(0)
	v_mul_f64 v[85:86], v[101:102], v[103:104]
	v_mov_b32_e32 v95, v103
	v_mov_b32_e32 v96, v104
	v_fma_f64 v[85:86], v[99:100], v[97:98], -v[85:86]
	v_mul_f64 v[99:100], v[99:100], v[103:104]
	v_add_f64 v[81:82], v[81:82], -v[85:86]
	v_fma_f64 v[99:100], v[101:102], v[97:98], v[99:100]
	v_add_f64 v[83:84], v[83:84], -v[99:100]
	ds_read2_b64 v[99:102], v125 offset0:66 offset1:67
	s_waitcnt lgkmcnt(0)
	v_mul_f64 v[85:86], v[101:102], v[103:104]
	v_fma_f64 v[85:86], v[99:100], v[97:98], -v[85:86]
	v_mul_f64 v[99:100], v[99:100], v[103:104]
	v_add_f64 v[77:78], v[77:78], -v[85:86]
	v_fma_f64 v[99:100], v[101:102], v[97:98], v[99:100]
	v_add_f64 v[79:80], v[79:80], -v[99:100]
	ds_read2_b64 v[99:102], v125 offset0:68 offset1:69
	s_waitcnt lgkmcnt(0)
	v_mul_f64 v[85:86], v[101:102], v[103:104]
	;; [unrolled: 8-line block ×21, first 2 shown]
	v_fma_f64 v[85:86], v[99:100], v[97:98], -v[85:86]
	v_mul_f64 v[99:100], v[99:100], v[103:104]
	v_add_f64 v[121:122], v[121:122], -v[85:86]
	v_fma_f64 v[99:100], v[101:102], v[97:98], v[99:100]
	v_mov_b32_e32 v85, v93
	v_mov_b32_e32 v86, v94
	;; [unrolled: 1-line block ×4, first 2 shown]
	v_add_f64 v[123:124], v[123:124], -v[99:100]
.LBB107_289:
	s_or_b64 exec, exec, s[2:3]
	v_cmp_eq_u32_e32 vcc, 32, v0
	s_waitcnt lgkmcnt(0)
	s_barrier
	s_and_saveexec_b64 s[4:5], vcc
	s_cbranch_execz .LBB107_296
; %bb.290:
	ds_write2_b64 v127, v[81:82], v[83:84] offset1:1
	ds_write2_b64 v125, v[77:78], v[79:80] offset0:66 offset1:67
	ds_write2_b64 v125, v[73:74], v[75:76] offset0:68 offset1:69
	;; [unrolled: 1-line block ×21, first 2 shown]
	ds_read2_b64 v[97:100], v127 offset1:1
	s_waitcnt lgkmcnt(0)
	v_cmp_neq_f64_e32 vcc, 0, v[97:98]
	v_cmp_neq_f64_e64 s[2:3], 0, v[99:100]
	s_or_b64 s[2:3], vcc, s[2:3]
	s_and_b64 exec, exec, s[2:3]
	s_cbranch_execz .LBB107_296
; %bb.291:
	v_cmp_ngt_f64_e64 s[2:3], |v[97:98]|, |v[99:100]|
                                        ; implicit-def: $vgpr101_vgpr102
	s_and_saveexec_b64 s[6:7], s[2:3]
	s_xor_b64 s[2:3], exec, s[6:7]
                                        ; implicit-def: $vgpr103_vgpr104
	s_cbranch_execz .LBB107_293
; %bb.292:
	v_div_scale_f64 v[101:102], s[6:7], v[99:100], v[99:100], v[97:98]
	v_rcp_f64_e32 v[103:104], v[101:102]
	v_fma_f64 v[105:106], -v[101:102], v[103:104], 1.0
	v_fma_f64 v[103:104], v[103:104], v[105:106], v[103:104]
	v_div_scale_f64 v[105:106], vcc, v[97:98], v[99:100], v[97:98]
	v_fma_f64 v[107:108], -v[101:102], v[103:104], 1.0
	v_fma_f64 v[103:104], v[103:104], v[107:108], v[103:104]
	v_mul_f64 v[107:108], v[105:106], v[103:104]
	v_fma_f64 v[101:102], -v[101:102], v[107:108], v[105:106]
	v_div_fmas_f64 v[101:102], v[101:102], v[103:104], v[107:108]
	v_div_fixup_f64 v[101:102], v[101:102], v[99:100], v[97:98]
	v_fma_f64 v[97:98], v[97:98], v[101:102], v[99:100]
	v_div_scale_f64 v[99:100], s[6:7], v[97:98], v[97:98], 1.0
	v_div_scale_f64 v[107:108], vcc, 1.0, v[97:98], 1.0
	v_rcp_f64_e32 v[103:104], v[99:100]
	v_fma_f64 v[105:106], -v[99:100], v[103:104], 1.0
	v_fma_f64 v[103:104], v[103:104], v[105:106], v[103:104]
	v_fma_f64 v[105:106], -v[99:100], v[103:104], 1.0
	v_fma_f64 v[103:104], v[103:104], v[105:106], v[103:104]
	v_mul_f64 v[105:106], v[107:108], v[103:104]
	v_fma_f64 v[99:100], -v[99:100], v[105:106], v[107:108]
	v_div_fmas_f64 v[99:100], v[99:100], v[103:104], v[105:106]
	v_div_fixup_f64 v[103:104], v[99:100], v[97:98], 1.0
                                        ; implicit-def: $vgpr97_vgpr98
	v_mul_f64 v[101:102], v[101:102], v[103:104]
	v_xor_b32_e32 v104, 0x80000000, v104
.LBB107_293:
	s_andn2_saveexec_b64 s[2:3], s[2:3]
	s_cbranch_execz .LBB107_295
; %bb.294:
	v_div_scale_f64 v[101:102], s[6:7], v[97:98], v[97:98], v[99:100]
	v_rcp_f64_e32 v[103:104], v[101:102]
	v_fma_f64 v[105:106], -v[101:102], v[103:104], 1.0
	v_fma_f64 v[103:104], v[103:104], v[105:106], v[103:104]
	v_div_scale_f64 v[105:106], vcc, v[99:100], v[97:98], v[99:100]
	v_fma_f64 v[107:108], -v[101:102], v[103:104], 1.0
	v_fma_f64 v[103:104], v[103:104], v[107:108], v[103:104]
	v_mul_f64 v[107:108], v[105:106], v[103:104]
	v_fma_f64 v[101:102], -v[101:102], v[107:108], v[105:106]
	v_div_fmas_f64 v[101:102], v[101:102], v[103:104], v[107:108]
	v_div_fixup_f64 v[103:104], v[101:102], v[97:98], v[99:100]
	v_fma_f64 v[97:98], v[99:100], v[103:104], v[97:98]
	v_div_scale_f64 v[99:100], s[6:7], v[97:98], v[97:98], 1.0
	v_div_scale_f64 v[107:108], vcc, 1.0, v[97:98], 1.0
	v_rcp_f64_e32 v[101:102], v[99:100]
	v_fma_f64 v[105:106], -v[99:100], v[101:102], 1.0
	v_fma_f64 v[101:102], v[101:102], v[105:106], v[101:102]
	v_fma_f64 v[105:106], -v[99:100], v[101:102], 1.0
	v_fma_f64 v[101:102], v[101:102], v[105:106], v[101:102]
	v_mul_f64 v[105:106], v[107:108], v[101:102]
	v_fma_f64 v[99:100], -v[99:100], v[105:106], v[107:108]
	v_div_fmas_f64 v[99:100], v[99:100], v[101:102], v[105:106]
	v_div_fixup_f64 v[101:102], v[99:100], v[97:98], 1.0
	v_mul_f64 v[103:104], v[103:104], -v[101:102]
.LBB107_295:
	s_or_b64 exec, exec, s[2:3]
	ds_write2_b64 v127, v[101:102], v[103:104] offset1:1
.LBB107_296:
	s_or_b64 exec, exec, s[4:5]
	s_waitcnt lgkmcnt(0)
	s_barrier
	ds_read2_b64 v[113:116], v127 offset1:1
	v_cmp_lt_u32_e32 vcc, 32, v0
	s_and_saveexec_b64 s[2:3], vcc
	s_cbranch_execz .LBB107_298
; %bb.297:
	s_waitcnt lgkmcnt(0)
	v_mul_f64 v[97:98], v[115:116], v[83:84]
	v_mul_f64 v[83:84], v[113:114], v[83:84]
	ds_read2_b64 v[99:102], v125 offset0:66 offset1:67
	v_fma_f64 v[97:98], v[113:114], v[81:82], -v[97:98]
	v_fma_f64 v[83:84], v[115:116], v[81:82], v[83:84]
	s_waitcnt lgkmcnt(0)
	v_mul_f64 v[81:82], v[101:102], v[83:84]
	v_fma_f64 v[81:82], v[99:100], v[97:98], -v[81:82]
	v_mul_f64 v[99:100], v[99:100], v[83:84]
	v_add_f64 v[77:78], v[77:78], -v[81:82]
	v_fma_f64 v[99:100], v[101:102], v[97:98], v[99:100]
	v_add_f64 v[79:80], v[79:80], -v[99:100]
	ds_read2_b64 v[99:102], v125 offset0:68 offset1:69
	s_waitcnt lgkmcnt(0)
	v_mul_f64 v[81:82], v[101:102], v[83:84]
	v_fma_f64 v[81:82], v[99:100], v[97:98], -v[81:82]
	v_mul_f64 v[99:100], v[99:100], v[83:84]
	v_add_f64 v[73:74], v[73:74], -v[81:82]
	v_fma_f64 v[99:100], v[101:102], v[97:98], v[99:100]
	v_add_f64 v[75:76], v[75:76], -v[99:100]
	ds_read2_b64 v[99:102], v125 offset0:70 offset1:71
	;; [unrolled: 8-line block ×20, first 2 shown]
	s_waitcnt lgkmcnt(0)
	v_mul_f64 v[81:82], v[101:102], v[83:84]
	v_fma_f64 v[81:82], v[99:100], v[97:98], -v[81:82]
	v_mul_f64 v[99:100], v[99:100], v[83:84]
	v_add_f64 v[121:122], v[121:122], -v[81:82]
	v_fma_f64 v[99:100], v[101:102], v[97:98], v[99:100]
	v_mov_b32_e32 v81, v97
	v_mov_b32_e32 v82, v98
	v_add_f64 v[123:124], v[123:124], -v[99:100]
.LBB107_298:
	s_or_b64 exec, exec, s[2:3]
	v_cmp_eq_u32_e32 vcc, 33, v0
	s_waitcnt lgkmcnt(0)
	s_barrier
	s_and_saveexec_b64 s[4:5], vcc
	s_cbranch_execz .LBB107_305
; %bb.299:
	ds_write2_b64 v127, v[77:78], v[79:80] offset1:1
	ds_write2_b64 v125, v[73:74], v[75:76] offset0:68 offset1:69
	ds_write2_b64 v125, v[69:70], v[71:72] offset0:70 offset1:71
	;; [unrolled: 1-line block ×20, first 2 shown]
	ds_read2_b64 v[97:100], v127 offset1:1
	s_waitcnt lgkmcnt(0)
	v_cmp_neq_f64_e32 vcc, 0, v[97:98]
	v_cmp_neq_f64_e64 s[2:3], 0, v[99:100]
	s_or_b64 s[2:3], vcc, s[2:3]
	s_and_b64 exec, exec, s[2:3]
	s_cbranch_execz .LBB107_305
; %bb.300:
	v_cmp_ngt_f64_e64 s[2:3], |v[97:98]|, |v[99:100]|
                                        ; implicit-def: $vgpr101_vgpr102
	s_and_saveexec_b64 s[6:7], s[2:3]
	s_xor_b64 s[2:3], exec, s[6:7]
                                        ; implicit-def: $vgpr103_vgpr104
	s_cbranch_execz .LBB107_302
; %bb.301:
	v_div_scale_f64 v[101:102], s[6:7], v[99:100], v[99:100], v[97:98]
	v_rcp_f64_e32 v[103:104], v[101:102]
	v_fma_f64 v[105:106], -v[101:102], v[103:104], 1.0
	v_fma_f64 v[103:104], v[103:104], v[105:106], v[103:104]
	v_div_scale_f64 v[105:106], vcc, v[97:98], v[99:100], v[97:98]
	v_fma_f64 v[107:108], -v[101:102], v[103:104], 1.0
	v_fma_f64 v[103:104], v[103:104], v[107:108], v[103:104]
	v_mul_f64 v[107:108], v[105:106], v[103:104]
	v_fma_f64 v[101:102], -v[101:102], v[107:108], v[105:106]
	v_div_fmas_f64 v[101:102], v[101:102], v[103:104], v[107:108]
	v_div_fixup_f64 v[101:102], v[101:102], v[99:100], v[97:98]
	v_fma_f64 v[97:98], v[97:98], v[101:102], v[99:100]
	v_div_scale_f64 v[99:100], s[6:7], v[97:98], v[97:98], 1.0
	v_div_scale_f64 v[107:108], vcc, 1.0, v[97:98], 1.0
	v_rcp_f64_e32 v[103:104], v[99:100]
	v_fma_f64 v[105:106], -v[99:100], v[103:104], 1.0
	v_fma_f64 v[103:104], v[103:104], v[105:106], v[103:104]
	v_fma_f64 v[105:106], -v[99:100], v[103:104], 1.0
	v_fma_f64 v[103:104], v[103:104], v[105:106], v[103:104]
	v_mul_f64 v[105:106], v[107:108], v[103:104]
	v_fma_f64 v[99:100], -v[99:100], v[105:106], v[107:108]
	v_div_fmas_f64 v[99:100], v[99:100], v[103:104], v[105:106]
	v_div_fixup_f64 v[103:104], v[99:100], v[97:98], 1.0
                                        ; implicit-def: $vgpr97_vgpr98
	v_mul_f64 v[101:102], v[101:102], v[103:104]
	v_xor_b32_e32 v104, 0x80000000, v104
.LBB107_302:
	s_andn2_saveexec_b64 s[2:3], s[2:3]
	s_cbranch_execz .LBB107_304
; %bb.303:
	v_div_scale_f64 v[101:102], s[6:7], v[97:98], v[97:98], v[99:100]
	v_rcp_f64_e32 v[103:104], v[101:102]
	v_fma_f64 v[105:106], -v[101:102], v[103:104], 1.0
	v_fma_f64 v[103:104], v[103:104], v[105:106], v[103:104]
	v_div_scale_f64 v[105:106], vcc, v[99:100], v[97:98], v[99:100]
	v_fma_f64 v[107:108], -v[101:102], v[103:104], 1.0
	v_fma_f64 v[103:104], v[103:104], v[107:108], v[103:104]
	v_mul_f64 v[107:108], v[105:106], v[103:104]
	v_fma_f64 v[101:102], -v[101:102], v[107:108], v[105:106]
	v_div_fmas_f64 v[101:102], v[101:102], v[103:104], v[107:108]
	v_div_fixup_f64 v[103:104], v[101:102], v[97:98], v[99:100]
	v_fma_f64 v[97:98], v[99:100], v[103:104], v[97:98]
	v_div_scale_f64 v[99:100], s[6:7], v[97:98], v[97:98], 1.0
	v_div_scale_f64 v[107:108], vcc, 1.0, v[97:98], 1.0
	v_rcp_f64_e32 v[101:102], v[99:100]
	v_fma_f64 v[105:106], -v[99:100], v[101:102], 1.0
	v_fma_f64 v[101:102], v[101:102], v[105:106], v[101:102]
	v_fma_f64 v[105:106], -v[99:100], v[101:102], 1.0
	v_fma_f64 v[101:102], v[101:102], v[105:106], v[101:102]
	v_mul_f64 v[105:106], v[107:108], v[101:102]
	v_fma_f64 v[99:100], -v[99:100], v[105:106], v[107:108]
	v_div_fmas_f64 v[99:100], v[99:100], v[101:102], v[105:106]
	v_div_fixup_f64 v[101:102], v[99:100], v[97:98], 1.0
	v_mul_f64 v[103:104], v[103:104], -v[101:102]
.LBB107_304:
	s_or_b64 exec, exec, s[2:3]
	ds_write2_b64 v127, v[101:102], v[103:104] offset1:1
.LBB107_305:
	s_or_b64 exec, exec, s[4:5]
	s_waitcnt lgkmcnt(0)
	s_barrier
	ds_read2_b64 v[109:112], v127 offset1:1
	v_cmp_lt_u32_e32 vcc, 33, v0
	s_and_saveexec_b64 s[2:3], vcc
	s_cbranch_execz .LBB107_307
; %bb.306:
	s_waitcnt lgkmcnt(0)
	v_mul_f64 v[97:98], v[111:112], v[79:80]
	v_mul_f64 v[79:80], v[109:110], v[79:80]
	ds_read2_b64 v[99:102], v125 offset0:68 offset1:69
	v_fma_f64 v[97:98], v[109:110], v[77:78], -v[97:98]
	v_fma_f64 v[79:80], v[111:112], v[77:78], v[79:80]
	s_waitcnt lgkmcnt(0)
	v_mul_f64 v[77:78], v[101:102], v[79:80]
	v_fma_f64 v[77:78], v[99:100], v[97:98], -v[77:78]
	v_mul_f64 v[99:100], v[99:100], v[79:80]
	v_add_f64 v[73:74], v[73:74], -v[77:78]
	v_fma_f64 v[99:100], v[101:102], v[97:98], v[99:100]
	v_add_f64 v[75:76], v[75:76], -v[99:100]
	ds_read2_b64 v[99:102], v125 offset0:70 offset1:71
	s_waitcnt lgkmcnt(0)
	v_mul_f64 v[77:78], v[101:102], v[79:80]
	v_fma_f64 v[77:78], v[99:100], v[97:98], -v[77:78]
	v_mul_f64 v[99:100], v[99:100], v[79:80]
	v_add_f64 v[69:70], v[69:70], -v[77:78]
	v_fma_f64 v[99:100], v[101:102], v[97:98], v[99:100]
	v_add_f64 v[71:72], v[71:72], -v[99:100]
	ds_read2_b64 v[99:102], v125 offset0:72 offset1:73
	;; [unrolled: 8-line block ×19, first 2 shown]
	s_waitcnt lgkmcnt(0)
	v_mul_f64 v[77:78], v[101:102], v[79:80]
	v_fma_f64 v[77:78], v[99:100], v[97:98], -v[77:78]
	v_mul_f64 v[99:100], v[99:100], v[79:80]
	v_add_f64 v[121:122], v[121:122], -v[77:78]
	v_fma_f64 v[99:100], v[101:102], v[97:98], v[99:100]
	v_mov_b32_e32 v77, v97
	v_mov_b32_e32 v78, v98
	v_add_f64 v[123:124], v[123:124], -v[99:100]
.LBB107_307:
	s_or_b64 exec, exec, s[2:3]
	v_cmp_eq_u32_e32 vcc, 34, v0
	s_waitcnt lgkmcnt(0)
	s_barrier
	s_and_saveexec_b64 s[4:5], vcc
	s_cbranch_execz .LBB107_314
; %bb.308:
	ds_write2_b64 v127, v[73:74], v[75:76] offset1:1
	ds_write2_b64 v125, v[69:70], v[71:72] offset0:70 offset1:71
	ds_write2_b64 v125, v[65:66], v[67:68] offset0:72 offset1:73
	;; [unrolled: 1-line block ×19, first 2 shown]
	ds_read2_b64 v[97:100], v127 offset1:1
	s_waitcnt lgkmcnt(0)
	v_cmp_neq_f64_e32 vcc, 0, v[97:98]
	v_cmp_neq_f64_e64 s[2:3], 0, v[99:100]
	s_or_b64 s[2:3], vcc, s[2:3]
	s_and_b64 exec, exec, s[2:3]
	s_cbranch_execz .LBB107_314
; %bb.309:
	v_cmp_ngt_f64_e64 s[2:3], |v[97:98]|, |v[99:100]|
                                        ; implicit-def: $vgpr101_vgpr102
	s_and_saveexec_b64 s[6:7], s[2:3]
	s_xor_b64 s[2:3], exec, s[6:7]
                                        ; implicit-def: $vgpr103_vgpr104
	s_cbranch_execz .LBB107_311
; %bb.310:
	v_div_scale_f64 v[101:102], s[6:7], v[99:100], v[99:100], v[97:98]
	v_rcp_f64_e32 v[103:104], v[101:102]
	v_fma_f64 v[105:106], -v[101:102], v[103:104], 1.0
	v_fma_f64 v[103:104], v[103:104], v[105:106], v[103:104]
	v_div_scale_f64 v[105:106], vcc, v[97:98], v[99:100], v[97:98]
	v_fma_f64 v[107:108], -v[101:102], v[103:104], 1.0
	v_fma_f64 v[103:104], v[103:104], v[107:108], v[103:104]
	v_mul_f64 v[107:108], v[105:106], v[103:104]
	v_fma_f64 v[101:102], -v[101:102], v[107:108], v[105:106]
	v_div_fmas_f64 v[101:102], v[101:102], v[103:104], v[107:108]
	v_div_fixup_f64 v[101:102], v[101:102], v[99:100], v[97:98]
	v_fma_f64 v[97:98], v[97:98], v[101:102], v[99:100]
	v_div_scale_f64 v[99:100], s[6:7], v[97:98], v[97:98], 1.0
	v_div_scale_f64 v[107:108], vcc, 1.0, v[97:98], 1.0
	v_rcp_f64_e32 v[103:104], v[99:100]
	v_fma_f64 v[105:106], -v[99:100], v[103:104], 1.0
	v_fma_f64 v[103:104], v[103:104], v[105:106], v[103:104]
	v_fma_f64 v[105:106], -v[99:100], v[103:104], 1.0
	v_fma_f64 v[103:104], v[103:104], v[105:106], v[103:104]
	v_mul_f64 v[105:106], v[107:108], v[103:104]
	v_fma_f64 v[99:100], -v[99:100], v[105:106], v[107:108]
	v_div_fmas_f64 v[99:100], v[99:100], v[103:104], v[105:106]
	v_div_fixup_f64 v[103:104], v[99:100], v[97:98], 1.0
                                        ; implicit-def: $vgpr97_vgpr98
	v_mul_f64 v[101:102], v[101:102], v[103:104]
	v_xor_b32_e32 v104, 0x80000000, v104
.LBB107_311:
	s_andn2_saveexec_b64 s[2:3], s[2:3]
	s_cbranch_execz .LBB107_313
; %bb.312:
	v_div_scale_f64 v[101:102], s[6:7], v[97:98], v[97:98], v[99:100]
	v_rcp_f64_e32 v[103:104], v[101:102]
	v_fma_f64 v[105:106], -v[101:102], v[103:104], 1.0
	v_fma_f64 v[103:104], v[103:104], v[105:106], v[103:104]
	v_div_scale_f64 v[105:106], vcc, v[99:100], v[97:98], v[99:100]
	v_fma_f64 v[107:108], -v[101:102], v[103:104], 1.0
	v_fma_f64 v[103:104], v[103:104], v[107:108], v[103:104]
	v_mul_f64 v[107:108], v[105:106], v[103:104]
	v_fma_f64 v[101:102], -v[101:102], v[107:108], v[105:106]
	v_div_fmas_f64 v[101:102], v[101:102], v[103:104], v[107:108]
	v_div_fixup_f64 v[103:104], v[101:102], v[97:98], v[99:100]
	v_fma_f64 v[97:98], v[99:100], v[103:104], v[97:98]
	v_div_scale_f64 v[99:100], s[6:7], v[97:98], v[97:98], 1.0
	v_div_scale_f64 v[107:108], vcc, 1.0, v[97:98], 1.0
	v_rcp_f64_e32 v[101:102], v[99:100]
	v_fma_f64 v[105:106], -v[99:100], v[101:102], 1.0
	v_fma_f64 v[101:102], v[101:102], v[105:106], v[101:102]
	v_fma_f64 v[105:106], -v[99:100], v[101:102], 1.0
	v_fma_f64 v[101:102], v[101:102], v[105:106], v[101:102]
	v_mul_f64 v[105:106], v[107:108], v[101:102]
	v_fma_f64 v[99:100], -v[99:100], v[105:106], v[107:108]
	v_div_fmas_f64 v[99:100], v[99:100], v[101:102], v[105:106]
	v_div_fixup_f64 v[101:102], v[99:100], v[97:98], 1.0
	v_mul_f64 v[103:104], v[103:104], -v[101:102]
.LBB107_313:
	s_or_b64 exec, exec, s[2:3]
	ds_write2_b64 v127, v[101:102], v[103:104] offset1:1
.LBB107_314:
	s_or_b64 exec, exec, s[4:5]
	s_waitcnt lgkmcnt(0)
	s_barrier
	ds_read2_b64 v[97:100], v127 offset1:1
	v_cmp_lt_u32_e32 vcc, 34, v0
	s_waitcnt lgkmcnt(0)
	buffer_store_dword v97, off, s[20:23], 0 offset:1416 ; 4-byte Folded Spill
	s_nop 0
	buffer_store_dword v98, off, s[20:23], 0 offset:1420 ; 4-byte Folded Spill
	buffer_store_dword v99, off, s[20:23], 0 offset:1424 ; 4-byte Folded Spill
	;; [unrolled: 1-line block ×3, first 2 shown]
	s_and_saveexec_b64 s[2:3], vcc
	s_cbranch_execz .LBB107_316
; %bb.315:
	buffer_load_dword v99, off, s[20:23], 0 offset:1416 ; 4-byte Folded Reload
	buffer_load_dword v100, off, s[20:23], 0 offset:1420 ; 4-byte Folded Reload
	;; [unrolled: 1-line block ×4, first 2 shown]
	s_waitcnt vmcnt(0)
	v_mul_f64 v[97:98], v[101:102], v[75:76]
	v_mul_f64 v[75:76], v[99:100], v[75:76]
	v_fma_f64 v[97:98], v[99:100], v[73:74], -v[97:98]
	v_fma_f64 v[75:76], v[101:102], v[73:74], v[75:76]
	ds_read2_b64 v[99:102], v125 offset0:70 offset1:71
	s_waitcnt lgkmcnt(0)
	v_mul_f64 v[73:74], v[101:102], v[75:76]
	v_fma_f64 v[73:74], v[99:100], v[97:98], -v[73:74]
	v_mul_f64 v[99:100], v[99:100], v[75:76]
	v_add_f64 v[69:70], v[69:70], -v[73:74]
	v_fma_f64 v[99:100], v[101:102], v[97:98], v[99:100]
	v_add_f64 v[71:72], v[71:72], -v[99:100]
	ds_read2_b64 v[99:102], v125 offset0:72 offset1:73
	s_waitcnt lgkmcnt(0)
	v_mul_f64 v[73:74], v[101:102], v[75:76]
	v_fma_f64 v[73:74], v[99:100], v[97:98], -v[73:74]
	v_mul_f64 v[99:100], v[99:100], v[75:76]
	v_add_f64 v[65:66], v[65:66], -v[73:74]
	v_fma_f64 v[99:100], v[101:102], v[97:98], v[99:100]
	v_add_f64 v[67:68], v[67:68], -v[99:100]
	;; [unrolled: 8-line block ×18, first 2 shown]
	ds_read2_b64 v[99:102], v125 offset0:106 offset1:107
	s_waitcnt lgkmcnt(0)
	v_mul_f64 v[73:74], v[101:102], v[75:76]
	v_fma_f64 v[73:74], v[99:100], v[97:98], -v[73:74]
	v_mul_f64 v[99:100], v[99:100], v[75:76]
	v_add_f64 v[121:122], v[121:122], -v[73:74]
	v_fma_f64 v[99:100], v[101:102], v[97:98], v[99:100]
	v_mov_b32_e32 v73, v97
	v_mov_b32_e32 v74, v98
	v_add_f64 v[123:124], v[123:124], -v[99:100]
.LBB107_316:
	s_or_b64 exec, exec, s[2:3]
	v_cmp_eq_u32_e32 vcc, 35, v0
	s_waitcnt vmcnt(0)
	s_barrier
	s_and_saveexec_b64 s[4:5], vcc
	s_cbranch_execz .LBB107_323
; %bb.317:
	ds_write2_b64 v127, v[69:70], v[71:72] offset1:1
	ds_write2_b64 v125, v[65:66], v[67:68] offset0:72 offset1:73
	ds_write2_b64 v125, v[61:62], v[63:64] offset0:74 offset1:75
	;; [unrolled: 1-line block ×18, first 2 shown]
	ds_read2_b64 v[97:100], v127 offset1:1
	s_waitcnt lgkmcnt(0)
	v_cmp_neq_f64_e32 vcc, 0, v[97:98]
	v_cmp_neq_f64_e64 s[2:3], 0, v[99:100]
	s_or_b64 s[2:3], vcc, s[2:3]
	s_and_b64 exec, exec, s[2:3]
	s_cbranch_execz .LBB107_323
; %bb.318:
	v_cmp_ngt_f64_e64 s[2:3], |v[97:98]|, |v[99:100]|
                                        ; implicit-def: $vgpr101_vgpr102
	s_and_saveexec_b64 s[6:7], s[2:3]
	s_xor_b64 s[2:3], exec, s[6:7]
                                        ; implicit-def: $vgpr103_vgpr104
	s_cbranch_execz .LBB107_320
; %bb.319:
	v_div_scale_f64 v[101:102], s[6:7], v[99:100], v[99:100], v[97:98]
	v_rcp_f64_e32 v[103:104], v[101:102]
	v_fma_f64 v[105:106], -v[101:102], v[103:104], 1.0
	v_fma_f64 v[103:104], v[103:104], v[105:106], v[103:104]
	v_div_scale_f64 v[105:106], vcc, v[97:98], v[99:100], v[97:98]
	v_fma_f64 v[107:108], -v[101:102], v[103:104], 1.0
	v_fma_f64 v[103:104], v[103:104], v[107:108], v[103:104]
	v_mul_f64 v[107:108], v[105:106], v[103:104]
	v_fma_f64 v[101:102], -v[101:102], v[107:108], v[105:106]
	v_div_fmas_f64 v[101:102], v[101:102], v[103:104], v[107:108]
	v_div_fixup_f64 v[101:102], v[101:102], v[99:100], v[97:98]
	v_fma_f64 v[97:98], v[97:98], v[101:102], v[99:100]
	v_div_scale_f64 v[99:100], s[6:7], v[97:98], v[97:98], 1.0
	v_div_scale_f64 v[107:108], vcc, 1.0, v[97:98], 1.0
	v_rcp_f64_e32 v[103:104], v[99:100]
	v_fma_f64 v[105:106], -v[99:100], v[103:104], 1.0
	v_fma_f64 v[103:104], v[103:104], v[105:106], v[103:104]
	v_fma_f64 v[105:106], -v[99:100], v[103:104], 1.0
	v_fma_f64 v[103:104], v[103:104], v[105:106], v[103:104]
	v_mul_f64 v[105:106], v[107:108], v[103:104]
	v_fma_f64 v[99:100], -v[99:100], v[105:106], v[107:108]
	v_div_fmas_f64 v[99:100], v[99:100], v[103:104], v[105:106]
	v_div_fixup_f64 v[103:104], v[99:100], v[97:98], 1.0
                                        ; implicit-def: $vgpr97_vgpr98
	v_mul_f64 v[101:102], v[101:102], v[103:104]
	v_xor_b32_e32 v104, 0x80000000, v104
.LBB107_320:
	s_andn2_saveexec_b64 s[2:3], s[2:3]
	s_cbranch_execz .LBB107_322
; %bb.321:
	v_div_scale_f64 v[101:102], s[6:7], v[97:98], v[97:98], v[99:100]
	v_rcp_f64_e32 v[103:104], v[101:102]
	v_fma_f64 v[105:106], -v[101:102], v[103:104], 1.0
	v_fma_f64 v[103:104], v[103:104], v[105:106], v[103:104]
	v_div_scale_f64 v[105:106], vcc, v[99:100], v[97:98], v[99:100]
	v_fma_f64 v[107:108], -v[101:102], v[103:104], 1.0
	v_fma_f64 v[103:104], v[103:104], v[107:108], v[103:104]
	v_mul_f64 v[107:108], v[105:106], v[103:104]
	v_fma_f64 v[101:102], -v[101:102], v[107:108], v[105:106]
	v_div_fmas_f64 v[101:102], v[101:102], v[103:104], v[107:108]
	v_div_fixup_f64 v[103:104], v[101:102], v[97:98], v[99:100]
	v_fma_f64 v[97:98], v[99:100], v[103:104], v[97:98]
	v_div_scale_f64 v[99:100], s[6:7], v[97:98], v[97:98], 1.0
	v_div_scale_f64 v[107:108], vcc, 1.0, v[97:98], 1.0
	v_rcp_f64_e32 v[101:102], v[99:100]
	v_fma_f64 v[105:106], -v[99:100], v[101:102], 1.0
	v_fma_f64 v[101:102], v[101:102], v[105:106], v[101:102]
	v_fma_f64 v[105:106], -v[99:100], v[101:102], 1.0
	v_fma_f64 v[101:102], v[101:102], v[105:106], v[101:102]
	v_mul_f64 v[105:106], v[107:108], v[101:102]
	v_fma_f64 v[99:100], -v[99:100], v[105:106], v[107:108]
	v_div_fmas_f64 v[99:100], v[99:100], v[101:102], v[105:106]
	v_div_fixup_f64 v[101:102], v[99:100], v[97:98], 1.0
	v_mul_f64 v[103:104], v[103:104], -v[101:102]
.LBB107_322:
	s_or_b64 exec, exec, s[2:3]
	ds_write2_b64 v127, v[101:102], v[103:104] offset1:1
.LBB107_323:
	s_or_b64 exec, exec, s[4:5]
	s_waitcnt lgkmcnt(0)
	s_barrier
	ds_read2_b64 v[97:100], v127 offset1:1
	v_cmp_lt_u32_e32 vcc, 35, v0
	s_waitcnt lgkmcnt(0)
	buffer_store_dword v97, off, s[20:23], 0 offset:1432 ; 4-byte Folded Spill
	s_nop 0
	buffer_store_dword v98, off, s[20:23], 0 offset:1436 ; 4-byte Folded Spill
	buffer_store_dword v99, off, s[20:23], 0 offset:1440 ; 4-byte Folded Spill
	;; [unrolled: 1-line block ×3, first 2 shown]
	s_and_saveexec_b64 s[2:3], vcc
	s_cbranch_execz .LBB107_325
; %bb.324:
	buffer_load_dword v99, off, s[20:23], 0 offset:1432 ; 4-byte Folded Reload
	buffer_load_dword v100, off, s[20:23], 0 offset:1436 ; 4-byte Folded Reload
	;; [unrolled: 1-line block ×4, first 2 shown]
	s_waitcnt vmcnt(0)
	v_mul_f64 v[97:98], v[101:102], v[71:72]
	v_mul_f64 v[71:72], v[99:100], v[71:72]
	v_fma_f64 v[97:98], v[99:100], v[69:70], -v[97:98]
	v_fma_f64 v[71:72], v[101:102], v[69:70], v[71:72]
	ds_read2_b64 v[99:102], v125 offset0:72 offset1:73
	s_waitcnt lgkmcnt(0)
	v_mul_f64 v[69:70], v[101:102], v[71:72]
	v_fma_f64 v[69:70], v[99:100], v[97:98], -v[69:70]
	v_mul_f64 v[99:100], v[99:100], v[71:72]
	v_add_f64 v[65:66], v[65:66], -v[69:70]
	v_fma_f64 v[99:100], v[101:102], v[97:98], v[99:100]
	v_add_f64 v[67:68], v[67:68], -v[99:100]
	ds_read2_b64 v[99:102], v125 offset0:74 offset1:75
	s_waitcnt lgkmcnt(0)
	v_mul_f64 v[69:70], v[101:102], v[71:72]
	v_fma_f64 v[69:70], v[99:100], v[97:98], -v[69:70]
	v_mul_f64 v[99:100], v[99:100], v[71:72]
	v_add_f64 v[61:62], v[61:62], -v[69:70]
	v_fma_f64 v[99:100], v[101:102], v[97:98], v[99:100]
	v_add_f64 v[63:64], v[63:64], -v[99:100]
	;; [unrolled: 8-line block ×17, first 2 shown]
	ds_read2_b64 v[99:102], v125 offset0:106 offset1:107
	s_waitcnt lgkmcnt(0)
	v_mul_f64 v[69:70], v[101:102], v[71:72]
	v_fma_f64 v[69:70], v[99:100], v[97:98], -v[69:70]
	v_mul_f64 v[99:100], v[99:100], v[71:72]
	v_add_f64 v[121:122], v[121:122], -v[69:70]
	v_fma_f64 v[99:100], v[101:102], v[97:98], v[99:100]
	v_mov_b32_e32 v69, v97
	v_mov_b32_e32 v70, v98
	v_add_f64 v[123:124], v[123:124], -v[99:100]
.LBB107_325:
	s_or_b64 exec, exec, s[2:3]
	v_cmp_eq_u32_e32 vcc, 36, v0
	s_waitcnt vmcnt(0)
	s_barrier
	s_and_saveexec_b64 s[4:5], vcc
	s_cbranch_execz .LBB107_332
; %bb.326:
	ds_write2_b64 v127, v[65:66], v[67:68] offset1:1
	ds_write2_b64 v125, v[61:62], v[63:64] offset0:74 offset1:75
	ds_write2_b64 v125, v[57:58], v[59:60] offset0:76 offset1:77
	;; [unrolled: 1-line block ×17, first 2 shown]
	ds_read2_b64 v[97:100], v127 offset1:1
	s_waitcnt lgkmcnt(0)
	v_cmp_neq_f64_e32 vcc, 0, v[97:98]
	v_cmp_neq_f64_e64 s[2:3], 0, v[99:100]
	s_or_b64 s[2:3], vcc, s[2:3]
	s_and_b64 exec, exec, s[2:3]
	s_cbranch_execz .LBB107_332
; %bb.327:
	v_cmp_ngt_f64_e64 s[2:3], |v[97:98]|, |v[99:100]|
                                        ; implicit-def: $vgpr101_vgpr102
	s_and_saveexec_b64 s[6:7], s[2:3]
	s_xor_b64 s[2:3], exec, s[6:7]
                                        ; implicit-def: $vgpr103_vgpr104
	s_cbranch_execz .LBB107_329
; %bb.328:
	v_div_scale_f64 v[101:102], s[6:7], v[99:100], v[99:100], v[97:98]
	v_rcp_f64_e32 v[103:104], v[101:102]
	v_fma_f64 v[105:106], -v[101:102], v[103:104], 1.0
	v_fma_f64 v[103:104], v[103:104], v[105:106], v[103:104]
	v_div_scale_f64 v[105:106], vcc, v[97:98], v[99:100], v[97:98]
	v_fma_f64 v[107:108], -v[101:102], v[103:104], 1.0
	v_fma_f64 v[103:104], v[103:104], v[107:108], v[103:104]
	v_mul_f64 v[107:108], v[105:106], v[103:104]
	v_fma_f64 v[101:102], -v[101:102], v[107:108], v[105:106]
	v_div_fmas_f64 v[101:102], v[101:102], v[103:104], v[107:108]
	v_div_fixup_f64 v[101:102], v[101:102], v[99:100], v[97:98]
	v_fma_f64 v[97:98], v[97:98], v[101:102], v[99:100]
	v_div_scale_f64 v[99:100], s[6:7], v[97:98], v[97:98], 1.0
	v_div_scale_f64 v[107:108], vcc, 1.0, v[97:98], 1.0
	v_rcp_f64_e32 v[103:104], v[99:100]
	v_fma_f64 v[105:106], -v[99:100], v[103:104], 1.0
	v_fma_f64 v[103:104], v[103:104], v[105:106], v[103:104]
	v_fma_f64 v[105:106], -v[99:100], v[103:104], 1.0
	v_fma_f64 v[103:104], v[103:104], v[105:106], v[103:104]
	v_mul_f64 v[105:106], v[107:108], v[103:104]
	v_fma_f64 v[99:100], -v[99:100], v[105:106], v[107:108]
	v_div_fmas_f64 v[99:100], v[99:100], v[103:104], v[105:106]
	v_div_fixup_f64 v[103:104], v[99:100], v[97:98], 1.0
                                        ; implicit-def: $vgpr97_vgpr98
	v_mul_f64 v[101:102], v[101:102], v[103:104]
	v_xor_b32_e32 v104, 0x80000000, v104
.LBB107_329:
	s_andn2_saveexec_b64 s[2:3], s[2:3]
	s_cbranch_execz .LBB107_331
; %bb.330:
	v_div_scale_f64 v[101:102], s[6:7], v[97:98], v[97:98], v[99:100]
	v_rcp_f64_e32 v[103:104], v[101:102]
	v_fma_f64 v[105:106], -v[101:102], v[103:104], 1.0
	v_fma_f64 v[103:104], v[103:104], v[105:106], v[103:104]
	v_div_scale_f64 v[105:106], vcc, v[99:100], v[97:98], v[99:100]
	v_fma_f64 v[107:108], -v[101:102], v[103:104], 1.0
	v_fma_f64 v[103:104], v[103:104], v[107:108], v[103:104]
	v_mul_f64 v[107:108], v[105:106], v[103:104]
	v_fma_f64 v[101:102], -v[101:102], v[107:108], v[105:106]
	v_div_fmas_f64 v[101:102], v[101:102], v[103:104], v[107:108]
	v_div_fixup_f64 v[103:104], v[101:102], v[97:98], v[99:100]
	v_fma_f64 v[97:98], v[99:100], v[103:104], v[97:98]
	v_div_scale_f64 v[99:100], s[6:7], v[97:98], v[97:98], 1.0
	v_div_scale_f64 v[107:108], vcc, 1.0, v[97:98], 1.0
	v_rcp_f64_e32 v[101:102], v[99:100]
	v_fma_f64 v[105:106], -v[99:100], v[101:102], 1.0
	v_fma_f64 v[101:102], v[101:102], v[105:106], v[101:102]
	v_fma_f64 v[105:106], -v[99:100], v[101:102], 1.0
	v_fma_f64 v[101:102], v[101:102], v[105:106], v[101:102]
	v_mul_f64 v[105:106], v[107:108], v[101:102]
	v_fma_f64 v[99:100], -v[99:100], v[105:106], v[107:108]
	v_div_fmas_f64 v[99:100], v[99:100], v[101:102], v[105:106]
	v_div_fixup_f64 v[101:102], v[99:100], v[97:98], 1.0
	v_mul_f64 v[103:104], v[103:104], -v[101:102]
.LBB107_331:
	s_or_b64 exec, exec, s[2:3]
	ds_write2_b64 v127, v[101:102], v[103:104] offset1:1
.LBB107_332:
	s_or_b64 exec, exec, s[4:5]
	s_waitcnt lgkmcnt(0)
	s_barrier
	ds_read2_b64 v[97:100], v127 offset1:1
	v_cmp_lt_u32_e32 vcc, 36, v0
	s_waitcnt lgkmcnt(0)
	buffer_store_dword v97, off, s[20:23], 0 offset:1448 ; 4-byte Folded Spill
	s_nop 0
	buffer_store_dword v98, off, s[20:23], 0 offset:1452 ; 4-byte Folded Spill
	buffer_store_dword v99, off, s[20:23], 0 offset:1456 ; 4-byte Folded Spill
	;; [unrolled: 1-line block ×3, first 2 shown]
	s_and_saveexec_b64 s[2:3], vcc
	s_cbranch_execz .LBB107_334
; %bb.333:
	buffer_load_dword v99, off, s[20:23], 0 offset:1448 ; 4-byte Folded Reload
	buffer_load_dword v100, off, s[20:23], 0 offset:1452 ; 4-byte Folded Reload
	;; [unrolled: 1-line block ×4, first 2 shown]
	s_waitcnt vmcnt(0)
	v_mul_f64 v[97:98], v[101:102], v[67:68]
	v_mul_f64 v[67:68], v[99:100], v[67:68]
	v_fma_f64 v[97:98], v[99:100], v[65:66], -v[97:98]
	v_fma_f64 v[67:68], v[101:102], v[65:66], v[67:68]
	ds_read2_b64 v[99:102], v125 offset0:74 offset1:75
	s_waitcnt lgkmcnt(0)
	v_mul_f64 v[65:66], v[101:102], v[67:68]
	v_fma_f64 v[65:66], v[99:100], v[97:98], -v[65:66]
	v_mul_f64 v[99:100], v[99:100], v[67:68]
	v_add_f64 v[61:62], v[61:62], -v[65:66]
	v_fma_f64 v[99:100], v[101:102], v[97:98], v[99:100]
	v_add_f64 v[63:64], v[63:64], -v[99:100]
	ds_read2_b64 v[99:102], v125 offset0:76 offset1:77
	s_waitcnt lgkmcnt(0)
	v_mul_f64 v[65:66], v[101:102], v[67:68]
	v_fma_f64 v[65:66], v[99:100], v[97:98], -v[65:66]
	v_mul_f64 v[99:100], v[99:100], v[67:68]
	v_add_f64 v[57:58], v[57:58], -v[65:66]
	v_fma_f64 v[99:100], v[101:102], v[97:98], v[99:100]
	v_add_f64 v[59:60], v[59:60], -v[99:100]
	;; [unrolled: 8-line block ×16, first 2 shown]
	ds_read2_b64 v[99:102], v125 offset0:106 offset1:107
	s_waitcnt lgkmcnt(0)
	v_mul_f64 v[65:66], v[101:102], v[67:68]
	v_fma_f64 v[65:66], v[99:100], v[97:98], -v[65:66]
	v_mul_f64 v[99:100], v[99:100], v[67:68]
	v_add_f64 v[121:122], v[121:122], -v[65:66]
	v_fma_f64 v[99:100], v[101:102], v[97:98], v[99:100]
	v_mov_b32_e32 v65, v97
	v_mov_b32_e32 v66, v98
	v_add_f64 v[123:124], v[123:124], -v[99:100]
.LBB107_334:
	s_or_b64 exec, exec, s[2:3]
	v_cmp_eq_u32_e32 vcc, 37, v0
	s_waitcnt vmcnt(0)
	s_barrier
	s_and_saveexec_b64 s[4:5], vcc
	s_cbranch_execz .LBB107_341
; %bb.335:
	ds_write2_b64 v127, v[61:62], v[63:64] offset1:1
	ds_write2_b64 v125, v[57:58], v[59:60] offset0:76 offset1:77
	ds_write2_b64 v125, v[53:54], v[55:56] offset0:78 offset1:79
	;; [unrolled: 1-line block ×16, first 2 shown]
	ds_read2_b64 v[97:100], v127 offset1:1
	s_waitcnt lgkmcnt(0)
	v_cmp_neq_f64_e32 vcc, 0, v[97:98]
	v_cmp_neq_f64_e64 s[2:3], 0, v[99:100]
	s_or_b64 s[2:3], vcc, s[2:3]
	s_and_b64 exec, exec, s[2:3]
	s_cbranch_execz .LBB107_341
; %bb.336:
	v_cmp_ngt_f64_e64 s[2:3], |v[97:98]|, |v[99:100]|
                                        ; implicit-def: $vgpr101_vgpr102
	s_and_saveexec_b64 s[6:7], s[2:3]
	s_xor_b64 s[2:3], exec, s[6:7]
                                        ; implicit-def: $vgpr103_vgpr104
	s_cbranch_execz .LBB107_338
; %bb.337:
	v_div_scale_f64 v[101:102], s[6:7], v[99:100], v[99:100], v[97:98]
	v_rcp_f64_e32 v[103:104], v[101:102]
	v_fma_f64 v[105:106], -v[101:102], v[103:104], 1.0
	v_fma_f64 v[103:104], v[103:104], v[105:106], v[103:104]
	v_div_scale_f64 v[105:106], vcc, v[97:98], v[99:100], v[97:98]
	v_fma_f64 v[107:108], -v[101:102], v[103:104], 1.0
	v_fma_f64 v[103:104], v[103:104], v[107:108], v[103:104]
	v_mul_f64 v[107:108], v[105:106], v[103:104]
	v_fma_f64 v[101:102], -v[101:102], v[107:108], v[105:106]
	v_div_fmas_f64 v[101:102], v[101:102], v[103:104], v[107:108]
	v_div_fixup_f64 v[101:102], v[101:102], v[99:100], v[97:98]
	v_fma_f64 v[97:98], v[97:98], v[101:102], v[99:100]
	v_div_scale_f64 v[99:100], s[6:7], v[97:98], v[97:98], 1.0
	v_div_scale_f64 v[107:108], vcc, 1.0, v[97:98], 1.0
	v_rcp_f64_e32 v[103:104], v[99:100]
	v_fma_f64 v[105:106], -v[99:100], v[103:104], 1.0
	v_fma_f64 v[103:104], v[103:104], v[105:106], v[103:104]
	v_fma_f64 v[105:106], -v[99:100], v[103:104], 1.0
	v_fma_f64 v[103:104], v[103:104], v[105:106], v[103:104]
	v_mul_f64 v[105:106], v[107:108], v[103:104]
	v_fma_f64 v[99:100], -v[99:100], v[105:106], v[107:108]
	v_div_fmas_f64 v[99:100], v[99:100], v[103:104], v[105:106]
	v_div_fixup_f64 v[103:104], v[99:100], v[97:98], 1.0
                                        ; implicit-def: $vgpr97_vgpr98
	v_mul_f64 v[101:102], v[101:102], v[103:104]
	v_xor_b32_e32 v104, 0x80000000, v104
.LBB107_338:
	s_andn2_saveexec_b64 s[2:3], s[2:3]
	s_cbranch_execz .LBB107_340
; %bb.339:
	v_div_scale_f64 v[101:102], s[6:7], v[97:98], v[97:98], v[99:100]
	v_rcp_f64_e32 v[103:104], v[101:102]
	v_fma_f64 v[105:106], -v[101:102], v[103:104], 1.0
	v_fma_f64 v[103:104], v[103:104], v[105:106], v[103:104]
	v_div_scale_f64 v[105:106], vcc, v[99:100], v[97:98], v[99:100]
	v_fma_f64 v[107:108], -v[101:102], v[103:104], 1.0
	v_fma_f64 v[103:104], v[103:104], v[107:108], v[103:104]
	v_mul_f64 v[107:108], v[105:106], v[103:104]
	v_fma_f64 v[101:102], -v[101:102], v[107:108], v[105:106]
	v_div_fmas_f64 v[101:102], v[101:102], v[103:104], v[107:108]
	v_div_fixup_f64 v[103:104], v[101:102], v[97:98], v[99:100]
	v_fma_f64 v[97:98], v[99:100], v[103:104], v[97:98]
	v_div_scale_f64 v[99:100], s[6:7], v[97:98], v[97:98], 1.0
	v_div_scale_f64 v[107:108], vcc, 1.0, v[97:98], 1.0
	v_rcp_f64_e32 v[101:102], v[99:100]
	v_fma_f64 v[105:106], -v[99:100], v[101:102], 1.0
	v_fma_f64 v[101:102], v[101:102], v[105:106], v[101:102]
	v_fma_f64 v[105:106], -v[99:100], v[101:102], 1.0
	v_fma_f64 v[101:102], v[101:102], v[105:106], v[101:102]
	v_mul_f64 v[105:106], v[107:108], v[101:102]
	v_fma_f64 v[99:100], -v[99:100], v[105:106], v[107:108]
	v_div_fmas_f64 v[99:100], v[99:100], v[101:102], v[105:106]
	v_div_fixup_f64 v[101:102], v[99:100], v[97:98], 1.0
	v_mul_f64 v[103:104], v[103:104], -v[101:102]
.LBB107_340:
	s_or_b64 exec, exec, s[2:3]
	ds_write2_b64 v127, v[101:102], v[103:104] offset1:1
.LBB107_341:
	s_or_b64 exec, exec, s[4:5]
	s_waitcnt lgkmcnt(0)
	s_barrier
	ds_read2_b64 v[97:100], v127 offset1:1
	v_cmp_lt_u32_e32 vcc, 37, v0
	s_waitcnt lgkmcnt(0)
	buffer_store_dword v97, off, s[20:23], 0 offset:1464 ; 4-byte Folded Spill
	s_nop 0
	buffer_store_dword v98, off, s[20:23], 0 offset:1468 ; 4-byte Folded Spill
	buffer_store_dword v99, off, s[20:23], 0 offset:1472 ; 4-byte Folded Spill
	;; [unrolled: 1-line block ×3, first 2 shown]
	s_and_saveexec_b64 s[2:3], vcc
	s_cbranch_execz .LBB107_343
; %bb.342:
	buffer_load_dword v99, off, s[20:23], 0 offset:1464 ; 4-byte Folded Reload
	buffer_load_dword v100, off, s[20:23], 0 offset:1468 ; 4-byte Folded Reload
	;; [unrolled: 1-line block ×4, first 2 shown]
	s_waitcnt vmcnt(2)
	v_mul_f64 v[97:98], v[99:100], v[63:64]
	s_waitcnt vmcnt(0)
	v_mul_f64 v[63:64], v[101:102], v[63:64]
	v_fma_f64 v[97:98], v[101:102], v[61:62], v[97:98]
	v_fma_f64 v[61:62], v[99:100], v[61:62], -v[63:64]
	ds_read2_b64 v[99:102], v125 offset0:76 offset1:77
	s_waitcnt lgkmcnt(0)
	v_mul_f64 v[63:64], v[101:102], v[97:98]
	v_fma_f64 v[63:64], v[99:100], v[61:62], -v[63:64]
	v_mul_f64 v[99:100], v[99:100], v[97:98]
	v_add_f64 v[57:58], v[57:58], -v[63:64]
	v_fma_f64 v[99:100], v[101:102], v[61:62], v[99:100]
	v_add_f64 v[59:60], v[59:60], -v[99:100]
	ds_read2_b64 v[99:102], v125 offset0:78 offset1:79
	s_waitcnt lgkmcnt(0)
	v_mul_f64 v[63:64], v[101:102], v[97:98]
	v_fma_f64 v[63:64], v[99:100], v[61:62], -v[63:64]
	v_mul_f64 v[99:100], v[99:100], v[97:98]
	v_add_f64 v[53:54], v[53:54], -v[63:64]
	v_fma_f64 v[99:100], v[101:102], v[61:62], v[99:100]
	v_add_f64 v[55:56], v[55:56], -v[99:100]
	;; [unrolled: 8-line block ×15, first 2 shown]
	ds_read2_b64 v[99:102], v125 offset0:106 offset1:107
	s_waitcnt lgkmcnt(0)
	v_mul_f64 v[63:64], v[101:102], v[97:98]
	v_fma_f64 v[63:64], v[99:100], v[61:62], -v[63:64]
	v_mul_f64 v[99:100], v[99:100], v[97:98]
	v_add_f64 v[121:122], v[121:122], -v[63:64]
	v_fma_f64 v[99:100], v[101:102], v[61:62], v[99:100]
	v_mov_b32_e32 v63, v97
	v_mov_b32_e32 v64, v98
	v_add_f64 v[123:124], v[123:124], -v[99:100]
.LBB107_343:
	s_or_b64 exec, exec, s[2:3]
	v_cmp_eq_u32_e32 vcc, 38, v0
	s_waitcnt vmcnt(0)
	s_barrier
	s_and_saveexec_b64 s[4:5], vcc
	s_cbranch_execz .LBB107_350
; %bb.344:
	ds_write2_b64 v127, v[57:58], v[59:60] offset1:1
	ds_write2_b64 v125, v[53:54], v[55:56] offset0:78 offset1:79
	ds_write2_b64 v125, v[49:50], v[51:52] offset0:80 offset1:81
	ds_write2_b64 v125, v[45:46], v[47:48] offset0:82 offset1:83
	ds_write2_b64 v125, v[41:42], v[43:44] offset0:84 offset1:85
	ds_write2_b64 v125, v[37:38], v[39:40] offset0:86 offset1:87
	ds_write2_b64 v125, v[33:34], v[35:36] offset0:88 offset1:89
	ds_write2_b64 v125, v[29:30], v[31:32] offset0:90 offset1:91
	ds_write2_b64 v125, v[25:26], v[27:28] offset0:92 offset1:93
	ds_write2_b64 v125, v[21:22], v[23:24] offset0:94 offset1:95
	ds_write2_b64 v125, v[17:18], v[19:20] offset0:96 offset1:97
	ds_write2_b64 v125, v[13:14], v[15:16] offset0:98 offset1:99
	ds_write2_b64 v125, v[9:10], v[11:12] offset0:100 offset1:101
	ds_write2_b64 v125, v[5:6], v[7:8] offset0:102 offset1:103
	ds_write2_b64 v125, v[1:2], v[3:4] offset0:104 offset1:105
	ds_write2_b64 v125, v[121:122], v[123:124] offset0:106 offset1:107
	ds_read2_b64 v[97:100], v127 offset1:1
	s_waitcnt lgkmcnt(0)
	v_cmp_neq_f64_e32 vcc, 0, v[97:98]
	v_cmp_neq_f64_e64 s[2:3], 0, v[99:100]
	s_or_b64 s[2:3], vcc, s[2:3]
	s_and_b64 exec, exec, s[2:3]
	s_cbranch_execz .LBB107_350
; %bb.345:
	v_cmp_ngt_f64_e64 s[2:3], |v[97:98]|, |v[99:100]|
                                        ; implicit-def: $vgpr101_vgpr102
	s_and_saveexec_b64 s[6:7], s[2:3]
	s_xor_b64 s[2:3], exec, s[6:7]
                                        ; implicit-def: $vgpr103_vgpr104
	s_cbranch_execz .LBB107_347
; %bb.346:
	v_div_scale_f64 v[101:102], s[6:7], v[99:100], v[99:100], v[97:98]
	v_rcp_f64_e32 v[103:104], v[101:102]
	v_fma_f64 v[105:106], -v[101:102], v[103:104], 1.0
	v_fma_f64 v[103:104], v[103:104], v[105:106], v[103:104]
	v_div_scale_f64 v[105:106], vcc, v[97:98], v[99:100], v[97:98]
	v_fma_f64 v[107:108], -v[101:102], v[103:104], 1.0
	v_fma_f64 v[103:104], v[103:104], v[107:108], v[103:104]
	v_mul_f64 v[107:108], v[105:106], v[103:104]
	v_fma_f64 v[101:102], -v[101:102], v[107:108], v[105:106]
	v_div_fmas_f64 v[101:102], v[101:102], v[103:104], v[107:108]
	v_div_fixup_f64 v[101:102], v[101:102], v[99:100], v[97:98]
	v_fma_f64 v[97:98], v[97:98], v[101:102], v[99:100]
	v_div_scale_f64 v[99:100], s[6:7], v[97:98], v[97:98], 1.0
	v_div_scale_f64 v[107:108], vcc, 1.0, v[97:98], 1.0
	v_rcp_f64_e32 v[103:104], v[99:100]
	v_fma_f64 v[105:106], -v[99:100], v[103:104], 1.0
	v_fma_f64 v[103:104], v[103:104], v[105:106], v[103:104]
	v_fma_f64 v[105:106], -v[99:100], v[103:104], 1.0
	v_fma_f64 v[103:104], v[103:104], v[105:106], v[103:104]
	v_mul_f64 v[105:106], v[107:108], v[103:104]
	v_fma_f64 v[99:100], -v[99:100], v[105:106], v[107:108]
	v_div_fmas_f64 v[99:100], v[99:100], v[103:104], v[105:106]
	v_div_fixup_f64 v[103:104], v[99:100], v[97:98], 1.0
                                        ; implicit-def: $vgpr97_vgpr98
	v_mul_f64 v[101:102], v[101:102], v[103:104]
	v_xor_b32_e32 v104, 0x80000000, v104
.LBB107_347:
	s_andn2_saveexec_b64 s[2:3], s[2:3]
	s_cbranch_execz .LBB107_349
; %bb.348:
	v_div_scale_f64 v[101:102], s[6:7], v[97:98], v[97:98], v[99:100]
	v_rcp_f64_e32 v[103:104], v[101:102]
	v_fma_f64 v[105:106], -v[101:102], v[103:104], 1.0
	v_fma_f64 v[103:104], v[103:104], v[105:106], v[103:104]
	v_div_scale_f64 v[105:106], vcc, v[99:100], v[97:98], v[99:100]
	v_fma_f64 v[107:108], -v[101:102], v[103:104], 1.0
	v_fma_f64 v[103:104], v[103:104], v[107:108], v[103:104]
	v_mul_f64 v[107:108], v[105:106], v[103:104]
	v_fma_f64 v[101:102], -v[101:102], v[107:108], v[105:106]
	v_div_fmas_f64 v[101:102], v[101:102], v[103:104], v[107:108]
	v_div_fixup_f64 v[103:104], v[101:102], v[97:98], v[99:100]
	v_fma_f64 v[97:98], v[99:100], v[103:104], v[97:98]
	v_div_scale_f64 v[99:100], s[6:7], v[97:98], v[97:98], 1.0
	v_div_scale_f64 v[107:108], vcc, 1.0, v[97:98], 1.0
	v_rcp_f64_e32 v[101:102], v[99:100]
	v_fma_f64 v[105:106], -v[99:100], v[101:102], 1.0
	v_fma_f64 v[101:102], v[101:102], v[105:106], v[101:102]
	v_fma_f64 v[105:106], -v[99:100], v[101:102], 1.0
	v_fma_f64 v[101:102], v[101:102], v[105:106], v[101:102]
	v_mul_f64 v[105:106], v[107:108], v[101:102]
	v_fma_f64 v[99:100], -v[99:100], v[105:106], v[107:108]
	v_div_fmas_f64 v[99:100], v[99:100], v[101:102], v[105:106]
	v_div_fixup_f64 v[101:102], v[99:100], v[97:98], 1.0
	v_mul_f64 v[103:104], v[103:104], -v[101:102]
.LBB107_349:
	s_or_b64 exec, exec, s[2:3]
	ds_write2_b64 v127, v[101:102], v[103:104] offset1:1
.LBB107_350:
	s_or_b64 exec, exec, s[4:5]
	s_waitcnt lgkmcnt(0)
	s_barrier
	ds_read2_b64 v[97:100], v127 offset1:1
	v_cmp_lt_u32_e32 vcc, 38, v0
	s_waitcnt lgkmcnt(0)
	buffer_store_dword v97, off, s[20:23], 0 offset:1480 ; 4-byte Folded Spill
	s_nop 0
	buffer_store_dword v98, off, s[20:23], 0 offset:1484 ; 4-byte Folded Spill
	buffer_store_dword v99, off, s[20:23], 0 offset:1488 ; 4-byte Folded Spill
	;; [unrolled: 1-line block ×3, first 2 shown]
	s_and_saveexec_b64 s[2:3], vcc
	s_cbranch_execz .LBB107_352
; %bb.351:
	buffer_load_dword v99, off, s[20:23], 0 offset:1480 ; 4-byte Folded Reload
	buffer_load_dword v100, off, s[20:23], 0 offset:1484 ; 4-byte Folded Reload
	;; [unrolled: 1-line block ×4, first 2 shown]
	s_waitcnt vmcnt(2)
	v_mul_f64 v[97:98], v[99:100], v[59:60]
	s_waitcnt vmcnt(0)
	v_mul_f64 v[59:60], v[101:102], v[59:60]
	v_fma_f64 v[97:98], v[101:102], v[57:58], v[97:98]
	v_fma_f64 v[57:58], v[99:100], v[57:58], -v[59:60]
	ds_read2_b64 v[99:102], v125 offset0:78 offset1:79
	s_waitcnt lgkmcnt(0)
	v_mul_f64 v[59:60], v[101:102], v[97:98]
	v_fma_f64 v[59:60], v[99:100], v[57:58], -v[59:60]
	v_mul_f64 v[99:100], v[99:100], v[97:98]
	v_add_f64 v[53:54], v[53:54], -v[59:60]
	v_fma_f64 v[99:100], v[101:102], v[57:58], v[99:100]
	v_add_f64 v[55:56], v[55:56], -v[99:100]
	ds_read2_b64 v[99:102], v125 offset0:80 offset1:81
	s_waitcnt lgkmcnt(0)
	v_mul_f64 v[59:60], v[101:102], v[97:98]
	v_fma_f64 v[59:60], v[99:100], v[57:58], -v[59:60]
	v_mul_f64 v[99:100], v[99:100], v[97:98]
	v_add_f64 v[49:50], v[49:50], -v[59:60]
	v_fma_f64 v[99:100], v[101:102], v[57:58], v[99:100]
	v_add_f64 v[51:52], v[51:52], -v[99:100]
	;; [unrolled: 8-line block ×14, first 2 shown]
	ds_read2_b64 v[99:102], v125 offset0:106 offset1:107
	s_waitcnt lgkmcnt(0)
	v_mul_f64 v[59:60], v[101:102], v[97:98]
	v_fma_f64 v[59:60], v[99:100], v[57:58], -v[59:60]
	v_mul_f64 v[99:100], v[99:100], v[97:98]
	v_add_f64 v[121:122], v[121:122], -v[59:60]
	v_fma_f64 v[99:100], v[101:102], v[57:58], v[99:100]
	v_mov_b32_e32 v59, v97
	v_mov_b32_e32 v60, v98
	v_add_f64 v[123:124], v[123:124], -v[99:100]
.LBB107_352:
	s_or_b64 exec, exec, s[2:3]
	v_cmp_eq_u32_e32 vcc, 39, v0
	s_waitcnt vmcnt(0)
	s_barrier
	s_and_saveexec_b64 s[4:5], vcc
	s_cbranch_execz .LBB107_359
; %bb.353:
	ds_write2_b64 v127, v[53:54], v[55:56] offset1:1
	ds_write2_b64 v125, v[49:50], v[51:52] offset0:80 offset1:81
	ds_write2_b64 v125, v[45:46], v[47:48] offset0:82 offset1:83
	;; [unrolled: 1-line block ×14, first 2 shown]
	ds_read2_b64 v[97:100], v127 offset1:1
	s_waitcnt lgkmcnt(0)
	v_cmp_neq_f64_e32 vcc, 0, v[97:98]
	v_cmp_neq_f64_e64 s[2:3], 0, v[99:100]
	s_or_b64 s[2:3], vcc, s[2:3]
	s_and_b64 exec, exec, s[2:3]
	s_cbranch_execz .LBB107_359
; %bb.354:
	v_cmp_ngt_f64_e64 s[2:3], |v[97:98]|, |v[99:100]|
                                        ; implicit-def: $vgpr101_vgpr102
	s_and_saveexec_b64 s[6:7], s[2:3]
	s_xor_b64 s[2:3], exec, s[6:7]
                                        ; implicit-def: $vgpr103_vgpr104
	s_cbranch_execz .LBB107_356
; %bb.355:
	v_div_scale_f64 v[101:102], s[6:7], v[99:100], v[99:100], v[97:98]
	v_rcp_f64_e32 v[103:104], v[101:102]
	v_fma_f64 v[105:106], -v[101:102], v[103:104], 1.0
	v_fma_f64 v[103:104], v[103:104], v[105:106], v[103:104]
	v_div_scale_f64 v[105:106], vcc, v[97:98], v[99:100], v[97:98]
	v_fma_f64 v[107:108], -v[101:102], v[103:104], 1.0
	v_fma_f64 v[103:104], v[103:104], v[107:108], v[103:104]
	v_mul_f64 v[107:108], v[105:106], v[103:104]
	v_fma_f64 v[101:102], -v[101:102], v[107:108], v[105:106]
	v_div_fmas_f64 v[101:102], v[101:102], v[103:104], v[107:108]
	v_div_fixup_f64 v[101:102], v[101:102], v[99:100], v[97:98]
	v_fma_f64 v[97:98], v[97:98], v[101:102], v[99:100]
	v_div_scale_f64 v[99:100], s[6:7], v[97:98], v[97:98], 1.0
	v_div_scale_f64 v[107:108], vcc, 1.0, v[97:98], 1.0
	v_rcp_f64_e32 v[103:104], v[99:100]
	v_fma_f64 v[105:106], -v[99:100], v[103:104], 1.0
	v_fma_f64 v[103:104], v[103:104], v[105:106], v[103:104]
	v_fma_f64 v[105:106], -v[99:100], v[103:104], 1.0
	v_fma_f64 v[103:104], v[103:104], v[105:106], v[103:104]
	v_mul_f64 v[105:106], v[107:108], v[103:104]
	v_fma_f64 v[99:100], -v[99:100], v[105:106], v[107:108]
	v_div_fmas_f64 v[99:100], v[99:100], v[103:104], v[105:106]
	v_div_fixup_f64 v[103:104], v[99:100], v[97:98], 1.0
                                        ; implicit-def: $vgpr97_vgpr98
	v_mul_f64 v[101:102], v[101:102], v[103:104]
	v_xor_b32_e32 v104, 0x80000000, v104
.LBB107_356:
	s_andn2_saveexec_b64 s[2:3], s[2:3]
	s_cbranch_execz .LBB107_358
; %bb.357:
	v_div_scale_f64 v[101:102], s[6:7], v[97:98], v[97:98], v[99:100]
	v_rcp_f64_e32 v[103:104], v[101:102]
	v_fma_f64 v[105:106], -v[101:102], v[103:104], 1.0
	v_fma_f64 v[103:104], v[103:104], v[105:106], v[103:104]
	v_div_scale_f64 v[105:106], vcc, v[99:100], v[97:98], v[99:100]
	v_fma_f64 v[107:108], -v[101:102], v[103:104], 1.0
	v_fma_f64 v[103:104], v[103:104], v[107:108], v[103:104]
	v_mul_f64 v[107:108], v[105:106], v[103:104]
	v_fma_f64 v[101:102], -v[101:102], v[107:108], v[105:106]
	v_div_fmas_f64 v[101:102], v[101:102], v[103:104], v[107:108]
	v_div_fixup_f64 v[103:104], v[101:102], v[97:98], v[99:100]
	v_fma_f64 v[97:98], v[99:100], v[103:104], v[97:98]
	v_div_scale_f64 v[99:100], s[6:7], v[97:98], v[97:98], 1.0
	v_div_scale_f64 v[107:108], vcc, 1.0, v[97:98], 1.0
	v_rcp_f64_e32 v[101:102], v[99:100]
	v_fma_f64 v[105:106], -v[99:100], v[101:102], 1.0
	v_fma_f64 v[101:102], v[101:102], v[105:106], v[101:102]
	v_fma_f64 v[105:106], -v[99:100], v[101:102], 1.0
	v_fma_f64 v[101:102], v[101:102], v[105:106], v[101:102]
	v_mul_f64 v[105:106], v[107:108], v[101:102]
	v_fma_f64 v[99:100], -v[99:100], v[105:106], v[107:108]
	v_div_fmas_f64 v[99:100], v[99:100], v[101:102], v[105:106]
	v_div_fixup_f64 v[101:102], v[99:100], v[97:98], 1.0
	v_mul_f64 v[103:104], v[103:104], -v[101:102]
.LBB107_358:
	s_or_b64 exec, exec, s[2:3]
	ds_write2_b64 v127, v[101:102], v[103:104] offset1:1
.LBB107_359:
	s_or_b64 exec, exec, s[4:5]
	s_waitcnt lgkmcnt(0)
	s_barrier
	ds_read2_b64 v[97:100], v127 offset1:1
	v_cmp_lt_u32_e32 vcc, 39, v0
	s_waitcnt lgkmcnt(0)
	buffer_store_dword v97, off, s[20:23], 0 offset:1496 ; 4-byte Folded Spill
	s_nop 0
	buffer_store_dword v98, off, s[20:23], 0 offset:1500 ; 4-byte Folded Spill
	buffer_store_dword v99, off, s[20:23], 0 offset:1504 ; 4-byte Folded Spill
	;; [unrolled: 1-line block ×3, first 2 shown]
	s_and_saveexec_b64 s[2:3], vcc
	s_cbranch_execz .LBB107_361
; %bb.360:
	buffer_load_dword v99, off, s[20:23], 0 offset:1496 ; 4-byte Folded Reload
	buffer_load_dword v100, off, s[20:23], 0 offset:1500 ; 4-byte Folded Reload
	;; [unrolled: 1-line block ×4, first 2 shown]
	s_waitcnt vmcnt(2)
	v_mul_f64 v[97:98], v[99:100], v[55:56]
	s_waitcnt vmcnt(0)
	v_mul_f64 v[55:56], v[101:102], v[55:56]
	v_fma_f64 v[97:98], v[101:102], v[53:54], v[97:98]
	v_fma_f64 v[53:54], v[99:100], v[53:54], -v[55:56]
	ds_read2_b64 v[99:102], v125 offset0:80 offset1:81
	s_waitcnt lgkmcnt(0)
	v_mul_f64 v[55:56], v[101:102], v[97:98]
	v_fma_f64 v[55:56], v[99:100], v[53:54], -v[55:56]
	v_mul_f64 v[99:100], v[99:100], v[97:98]
	v_add_f64 v[49:50], v[49:50], -v[55:56]
	v_fma_f64 v[99:100], v[101:102], v[53:54], v[99:100]
	v_add_f64 v[51:52], v[51:52], -v[99:100]
	ds_read2_b64 v[99:102], v125 offset0:82 offset1:83
	s_waitcnt lgkmcnt(0)
	v_mul_f64 v[55:56], v[101:102], v[97:98]
	v_fma_f64 v[55:56], v[99:100], v[53:54], -v[55:56]
	v_mul_f64 v[99:100], v[99:100], v[97:98]
	v_add_f64 v[45:46], v[45:46], -v[55:56]
	v_fma_f64 v[99:100], v[101:102], v[53:54], v[99:100]
	v_add_f64 v[47:48], v[47:48], -v[99:100]
	;; [unrolled: 8-line block ×13, first 2 shown]
	ds_read2_b64 v[99:102], v125 offset0:106 offset1:107
	s_waitcnt lgkmcnt(0)
	v_mul_f64 v[55:56], v[101:102], v[97:98]
	v_fma_f64 v[55:56], v[99:100], v[53:54], -v[55:56]
	v_mul_f64 v[99:100], v[99:100], v[97:98]
	v_add_f64 v[121:122], v[121:122], -v[55:56]
	v_fma_f64 v[99:100], v[101:102], v[53:54], v[99:100]
	v_mov_b32_e32 v55, v97
	v_mov_b32_e32 v56, v98
	v_add_f64 v[123:124], v[123:124], -v[99:100]
.LBB107_361:
	s_or_b64 exec, exec, s[2:3]
	v_cmp_eq_u32_e32 vcc, 40, v0
	s_waitcnt vmcnt(0)
	s_barrier
	s_and_saveexec_b64 s[4:5], vcc
	s_cbranch_execz .LBB107_368
; %bb.362:
	ds_write2_b64 v127, v[49:50], v[51:52] offset1:1
	ds_write2_b64 v125, v[45:46], v[47:48] offset0:82 offset1:83
	ds_write2_b64 v125, v[41:42], v[43:44] offset0:84 offset1:85
	;; [unrolled: 1-line block ×13, first 2 shown]
	ds_read2_b64 v[97:100], v127 offset1:1
	s_waitcnt lgkmcnt(0)
	v_cmp_neq_f64_e32 vcc, 0, v[97:98]
	v_cmp_neq_f64_e64 s[2:3], 0, v[99:100]
	s_or_b64 s[2:3], vcc, s[2:3]
	s_and_b64 exec, exec, s[2:3]
	s_cbranch_execz .LBB107_368
; %bb.363:
	v_cmp_ngt_f64_e64 s[2:3], |v[97:98]|, |v[99:100]|
                                        ; implicit-def: $vgpr101_vgpr102
	s_and_saveexec_b64 s[6:7], s[2:3]
	s_xor_b64 s[2:3], exec, s[6:7]
                                        ; implicit-def: $vgpr103_vgpr104
	s_cbranch_execz .LBB107_365
; %bb.364:
	v_div_scale_f64 v[101:102], s[6:7], v[99:100], v[99:100], v[97:98]
	v_rcp_f64_e32 v[103:104], v[101:102]
	v_fma_f64 v[105:106], -v[101:102], v[103:104], 1.0
	v_fma_f64 v[103:104], v[103:104], v[105:106], v[103:104]
	v_div_scale_f64 v[105:106], vcc, v[97:98], v[99:100], v[97:98]
	v_fma_f64 v[107:108], -v[101:102], v[103:104], 1.0
	v_fma_f64 v[103:104], v[103:104], v[107:108], v[103:104]
	v_mul_f64 v[107:108], v[105:106], v[103:104]
	v_fma_f64 v[101:102], -v[101:102], v[107:108], v[105:106]
	v_div_fmas_f64 v[101:102], v[101:102], v[103:104], v[107:108]
	v_div_fixup_f64 v[101:102], v[101:102], v[99:100], v[97:98]
	v_fma_f64 v[97:98], v[97:98], v[101:102], v[99:100]
	v_div_scale_f64 v[99:100], s[6:7], v[97:98], v[97:98], 1.0
	v_div_scale_f64 v[107:108], vcc, 1.0, v[97:98], 1.0
	v_rcp_f64_e32 v[103:104], v[99:100]
	v_fma_f64 v[105:106], -v[99:100], v[103:104], 1.0
	v_fma_f64 v[103:104], v[103:104], v[105:106], v[103:104]
	v_fma_f64 v[105:106], -v[99:100], v[103:104], 1.0
	v_fma_f64 v[103:104], v[103:104], v[105:106], v[103:104]
	v_mul_f64 v[105:106], v[107:108], v[103:104]
	v_fma_f64 v[99:100], -v[99:100], v[105:106], v[107:108]
	v_div_fmas_f64 v[99:100], v[99:100], v[103:104], v[105:106]
	v_div_fixup_f64 v[103:104], v[99:100], v[97:98], 1.0
                                        ; implicit-def: $vgpr97_vgpr98
	v_mul_f64 v[101:102], v[101:102], v[103:104]
	v_xor_b32_e32 v104, 0x80000000, v104
.LBB107_365:
	s_andn2_saveexec_b64 s[2:3], s[2:3]
	s_cbranch_execz .LBB107_367
; %bb.366:
	v_div_scale_f64 v[101:102], s[6:7], v[97:98], v[97:98], v[99:100]
	v_rcp_f64_e32 v[103:104], v[101:102]
	v_fma_f64 v[105:106], -v[101:102], v[103:104], 1.0
	v_fma_f64 v[103:104], v[103:104], v[105:106], v[103:104]
	v_div_scale_f64 v[105:106], vcc, v[99:100], v[97:98], v[99:100]
	v_fma_f64 v[107:108], -v[101:102], v[103:104], 1.0
	v_fma_f64 v[103:104], v[103:104], v[107:108], v[103:104]
	v_mul_f64 v[107:108], v[105:106], v[103:104]
	v_fma_f64 v[101:102], -v[101:102], v[107:108], v[105:106]
	v_div_fmas_f64 v[101:102], v[101:102], v[103:104], v[107:108]
	v_div_fixup_f64 v[103:104], v[101:102], v[97:98], v[99:100]
	v_fma_f64 v[97:98], v[99:100], v[103:104], v[97:98]
	v_div_scale_f64 v[99:100], s[6:7], v[97:98], v[97:98], 1.0
	v_div_scale_f64 v[107:108], vcc, 1.0, v[97:98], 1.0
	v_rcp_f64_e32 v[101:102], v[99:100]
	v_fma_f64 v[105:106], -v[99:100], v[101:102], 1.0
	v_fma_f64 v[101:102], v[101:102], v[105:106], v[101:102]
	v_fma_f64 v[105:106], -v[99:100], v[101:102], 1.0
	v_fma_f64 v[101:102], v[101:102], v[105:106], v[101:102]
	v_mul_f64 v[105:106], v[107:108], v[101:102]
	v_fma_f64 v[99:100], -v[99:100], v[105:106], v[107:108]
	v_div_fmas_f64 v[99:100], v[99:100], v[101:102], v[105:106]
	v_div_fixup_f64 v[101:102], v[99:100], v[97:98], 1.0
	v_mul_f64 v[103:104], v[103:104], -v[101:102]
.LBB107_367:
	s_or_b64 exec, exec, s[2:3]
	ds_write2_b64 v127, v[101:102], v[103:104] offset1:1
.LBB107_368:
	s_or_b64 exec, exec, s[4:5]
	s_waitcnt lgkmcnt(0)
	s_barrier
	ds_read2_b64 v[97:100], v127 offset1:1
	v_cmp_lt_u32_e32 vcc, 40, v0
	s_waitcnt lgkmcnt(0)
	buffer_store_dword v97, off, s[20:23], 0 offset:1512 ; 4-byte Folded Spill
	s_nop 0
	buffer_store_dword v98, off, s[20:23], 0 offset:1516 ; 4-byte Folded Spill
	buffer_store_dword v99, off, s[20:23], 0 offset:1520 ; 4-byte Folded Spill
	;; [unrolled: 1-line block ×3, first 2 shown]
	s_and_saveexec_b64 s[2:3], vcc
	s_cbranch_execz .LBB107_370
; %bb.369:
	buffer_load_dword v99, off, s[20:23], 0 offset:1512 ; 4-byte Folded Reload
	buffer_load_dword v100, off, s[20:23], 0 offset:1516 ; 4-byte Folded Reload
	;; [unrolled: 1-line block ×4, first 2 shown]
	s_waitcnt vmcnt(2)
	v_mul_f64 v[97:98], v[99:100], v[51:52]
	s_waitcnt vmcnt(0)
	v_mul_f64 v[51:52], v[101:102], v[51:52]
	v_fma_f64 v[97:98], v[101:102], v[49:50], v[97:98]
	v_fma_f64 v[49:50], v[99:100], v[49:50], -v[51:52]
	ds_read2_b64 v[99:102], v125 offset0:82 offset1:83
	s_waitcnt lgkmcnt(0)
	v_mul_f64 v[51:52], v[101:102], v[97:98]
	v_fma_f64 v[51:52], v[99:100], v[49:50], -v[51:52]
	v_mul_f64 v[99:100], v[99:100], v[97:98]
	v_add_f64 v[45:46], v[45:46], -v[51:52]
	v_fma_f64 v[99:100], v[101:102], v[49:50], v[99:100]
	v_add_f64 v[47:48], v[47:48], -v[99:100]
	ds_read2_b64 v[99:102], v125 offset0:84 offset1:85
	s_waitcnt lgkmcnt(0)
	v_mul_f64 v[51:52], v[101:102], v[97:98]
	v_fma_f64 v[51:52], v[99:100], v[49:50], -v[51:52]
	v_mul_f64 v[99:100], v[99:100], v[97:98]
	v_add_f64 v[41:42], v[41:42], -v[51:52]
	v_fma_f64 v[99:100], v[101:102], v[49:50], v[99:100]
	v_add_f64 v[43:44], v[43:44], -v[99:100]
	;; [unrolled: 8-line block ×12, first 2 shown]
	ds_read2_b64 v[99:102], v125 offset0:106 offset1:107
	s_waitcnt lgkmcnt(0)
	v_mul_f64 v[51:52], v[101:102], v[97:98]
	v_fma_f64 v[51:52], v[99:100], v[49:50], -v[51:52]
	v_mul_f64 v[99:100], v[99:100], v[97:98]
	v_add_f64 v[121:122], v[121:122], -v[51:52]
	v_fma_f64 v[99:100], v[101:102], v[49:50], v[99:100]
	v_mov_b32_e32 v51, v97
	v_mov_b32_e32 v52, v98
	v_add_f64 v[123:124], v[123:124], -v[99:100]
.LBB107_370:
	s_or_b64 exec, exec, s[2:3]
	v_cmp_eq_u32_e32 vcc, 41, v0
	s_waitcnt vmcnt(0)
	s_barrier
	s_and_saveexec_b64 s[4:5], vcc
	s_cbranch_execz .LBB107_377
; %bb.371:
	ds_write2_b64 v127, v[45:46], v[47:48] offset1:1
	ds_write2_b64 v125, v[41:42], v[43:44] offset0:84 offset1:85
	ds_write2_b64 v125, v[37:38], v[39:40] offset0:86 offset1:87
	ds_write2_b64 v125, v[33:34], v[35:36] offset0:88 offset1:89
	ds_write2_b64 v125, v[29:30], v[31:32] offset0:90 offset1:91
	ds_write2_b64 v125, v[25:26], v[27:28] offset0:92 offset1:93
	ds_write2_b64 v125, v[21:22], v[23:24] offset0:94 offset1:95
	ds_write2_b64 v125, v[17:18], v[19:20] offset0:96 offset1:97
	ds_write2_b64 v125, v[13:14], v[15:16] offset0:98 offset1:99
	ds_write2_b64 v125, v[9:10], v[11:12] offset0:100 offset1:101
	ds_write2_b64 v125, v[5:6], v[7:8] offset0:102 offset1:103
	ds_write2_b64 v125, v[1:2], v[3:4] offset0:104 offset1:105
	ds_write2_b64 v125, v[121:122], v[123:124] offset0:106 offset1:107
	ds_read2_b64 v[97:100], v127 offset1:1
	s_waitcnt lgkmcnt(0)
	v_cmp_neq_f64_e32 vcc, 0, v[97:98]
	v_cmp_neq_f64_e64 s[2:3], 0, v[99:100]
	s_or_b64 s[2:3], vcc, s[2:3]
	s_and_b64 exec, exec, s[2:3]
	s_cbranch_execz .LBB107_377
; %bb.372:
	v_cmp_ngt_f64_e64 s[2:3], |v[97:98]|, |v[99:100]|
                                        ; implicit-def: $vgpr101_vgpr102
	s_and_saveexec_b64 s[6:7], s[2:3]
	s_xor_b64 s[2:3], exec, s[6:7]
                                        ; implicit-def: $vgpr103_vgpr104
	s_cbranch_execz .LBB107_374
; %bb.373:
	v_div_scale_f64 v[101:102], s[6:7], v[99:100], v[99:100], v[97:98]
	v_rcp_f64_e32 v[103:104], v[101:102]
	v_fma_f64 v[105:106], -v[101:102], v[103:104], 1.0
	v_fma_f64 v[103:104], v[103:104], v[105:106], v[103:104]
	v_div_scale_f64 v[105:106], vcc, v[97:98], v[99:100], v[97:98]
	v_fma_f64 v[107:108], -v[101:102], v[103:104], 1.0
	v_fma_f64 v[103:104], v[103:104], v[107:108], v[103:104]
	v_mul_f64 v[107:108], v[105:106], v[103:104]
	v_fma_f64 v[101:102], -v[101:102], v[107:108], v[105:106]
	v_div_fmas_f64 v[101:102], v[101:102], v[103:104], v[107:108]
	v_div_fixup_f64 v[101:102], v[101:102], v[99:100], v[97:98]
	v_fma_f64 v[97:98], v[97:98], v[101:102], v[99:100]
	v_div_scale_f64 v[99:100], s[6:7], v[97:98], v[97:98], 1.0
	v_div_scale_f64 v[107:108], vcc, 1.0, v[97:98], 1.0
	v_rcp_f64_e32 v[103:104], v[99:100]
	v_fma_f64 v[105:106], -v[99:100], v[103:104], 1.0
	v_fma_f64 v[103:104], v[103:104], v[105:106], v[103:104]
	v_fma_f64 v[105:106], -v[99:100], v[103:104], 1.0
	v_fma_f64 v[103:104], v[103:104], v[105:106], v[103:104]
	v_mul_f64 v[105:106], v[107:108], v[103:104]
	v_fma_f64 v[99:100], -v[99:100], v[105:106], v[107:108]
	v_div_fmas_f64 v[99:100], v[99:100], v[103:104], v[105:106]
	v_div_fixup_f64 v[103:104], v[99:100], v[97:98], 1.0
                                        ; implicit-def: $vgpr97_vgpr98
	v_mul_f64 v[101:102], v[101:102], v[103:104]
	v_xor_b32_e32 v104, 0x80000000, v104
.LBB107_374:
	s_andn2_saveexec_b64 s[2:3], s[2:3]
	s_cbranch_execz .LBB107_376
; %bb.375:
	v_div_scale_f64 v[101:102], s[6:7], v[97:98], v[97:98], v[99:100]
	v_rcp_f64_e32 v[103:104], v[101:102]
	v_fma_f64 v[105:106], -v[101:102], v[103:104], 1.0
	v_fma_f64 v[103:104], v[103:104], v[105:106], v[103:104]
	v_div_scale_f64 v[105:106], vcc, v[99:100], v[97:98], v[99:100]
	v_fma_f64 v[107:108], -v[101:102], v[103:104], 1.0
	v_fma_f64 v[103:104], v[103:104], v[107:108], v[103:104]
	v_mul_f64 v[107:108], v[105:106], v[103:104]
	v_fma_f64 v[101:102], -v[101:102], v[107:108], v[105:106]
	v_div_fmas_f64 v[101:102], v[101:102], v[103:104], v[107:108]
	v_div_fixup_f64 v[103:104], v[101:102], v[97:98], v[99:100]
	v_fma_f64 v[97:98], v[99:100], v[103:104], v[97:98]
	v_div_scale_f64 v[99:100], s[6:7], v[97:98], v[97:98], 1.0
	v_div_scale_f64 v[107:108], vcc, 1.0, v[97:98], 1.0
	v_rcp_f64_e32 v[101:102], v[99:100]
	v_fma_f64 v[105:106], -v[99:100], v[101:102], 1.0
	v_fma_f64 v[101:102], v[101:102], v[105:106], v[101:102]
	v_fma_f64 v[105:106], -v[99:100], v[101:102], 1.0
	v_fma_f64 v[101:102], v[101:102], v[105:106], v[101:102]
	v_mul_f64 v[105:106], v[107:108], v[101:102]
	v_fma_f64 v[99:100], -v[99:100], v[105:106], v[107:108]
	v_div_fmas_f64 v[99:100], v[99:100], v[101:102], v[105:106]
	v_div_fixup_f64 v[101:102], v[99:100], v[97:98], 1.0
	v_mul_f64 v[103:104], v[103:104], -v[101:102]
.LBB107_376:
	s_or_b64 exec, exec, s[2:3]
	ds_write2_b64 v127, v[101:102], v[103:104] offset1:1
.LBB107_377:
	s_or_b64 exec, exec, s[4:5]
	s_waitcnt lgkmcnt(0)
	s_barrier
	ds_read2_b64 v[97:100], v127 offset1:1
	v_cmp_lt_u32_e32 vcc, 41, v0
	s_waitcnt lgkmcnt(0)
	buffer_store_dword v97, off, s[20:23], 0 offset:1528 ; 4-byte Folded Spill
	s_nop 0
	buffer_store_dword v98, off, s[20:23], 0 offset:1532 ; 4-byte Folded Spill
	buffer_store_dword v99, off, s[20:23], 0 offset:1536 ; 4-byte Folded Spill
	;; [unrolled: 1-line block ×3, first 2 shown]
	s_and_saveexec_b64 s[2:3], vcc
	s_cbranch_execz .LBB107_379
; %bb.378:
	buffer_load_dword v99, off, s[20:23], 0 offset:1528 ; 4-byte Folded Reload
	buffer_load_dword v100, off, s[20:23], 0 offset:1532 ; 4-byte Folded Reload
	;; [unrolled: 1-line block ×4, first 2 shown]
	s_waitcnt vmcnt(2)
	v_mul_f64 v[97:98], v[99:100], v[47:48]
	s_waitcnt vmcnt(0)
	v_mul_f64 v[47:48], v[101:102], v[47:48]
	v_fma_f64 v[97:98], v[101:102], v[45:46], v[97:98]
	v_fma_f64 v[45:46], v[99:100], v[45:46], -v[47:48]
	ds_read2_b64 v[99:102], v125 offset0:84 offset1:85
	s_waitcnt lgkmcnt(0)
	v_mul_f64 v[47:48], v[101:102], v[97:98]
	v_fma_f64 v[47:48], v[99:100], v[45:46], -v[47:48]
	v_mul_f64 v[99:100], v[99:100], v[97:98]
	v_add_f64 v[41:42], v[41:42], -v[47:48]
	v_fma_f64 v[99:100], v[101:102], v[45:46], v[99:100]
	v_add_f64 v[43:44], v[43:44], -v[99:100]
	ds_read2_b64 v[99:102], v125 offset0:86 offset1:87
	s_waitcnt lgkmcnt(0)
	v_mul_f64 v[47:48], v[101:102], v[97:98]
	v_fma_f64 v[47:48], v[99:100], v[45:46], -v[47:48]
	v_mul_f64 v[99:100], v[99:100], v[97:98]
	v_add_f64 v[37:38], v[37:38], -v[47:48]
	v_fma_f64 v[99:100], v[101:102], v[45:46], v[99:100]
	v_add_f64 v[39:40], v[39:40], -v[99:100]
	;; [unrolled: 8-line block ×11, first 2 shown]
	ds_read2_b64 v[99:102], v125 offset0:106 offset1:107
	s_waitcnt lgkmcnt(0)
	v_mul_f64 v[47:48], v[101:102], v[97:98]
	v_fma_f64 v[47:48], v[99:100], v[45:46], -v[47:48]
	v_mul_f64 v[99:100], v[99:100], v[97:98]
	v_add_f64 v[121:122], v[121:122], -v[47:48]
	v_fma_f64 v[99:100], v[101:102], v[45:46], v[99:100]
	v_mov_b32_e32 v47, v97
	v_mov_b32_e32 v48, v98
	v_add_f64 v[123:124], v[123:124], -v[99:100]
.LBB107_379:
	s_or_b64 exec, exec, s[2:3]
	v_cmp_eq_u32_e32 vcc, 42, v0
	s_waitcnt vmcnt(0)
	s_barrier
	s_and_saveexec_b64 s[4:5], vcc
	s_cbranch_execz .LBB107_386
; %bb.380:
	ds_write2_b64 v127, v[41:42], v[43:44] offset1:1
	ds_write2_b64 v125, v[37:38], v[39:40] offset0:86 offset1:87
	ds_write2_b64 v125, v[33:34], v[35:36] offset0:88 offset1:89
	;; [unrolled: 1-line block ×11, first 2 shown]
	ds_read2_b64 v[97:100], v127 offset1:1
	s_waitcnt lgkmcnt(0)
	v_cmp_neq_f64_e32 vcc, 0, v[97:98]
	v_cmp_neq_f64_e64 s[2:3], 0, v[99:100]
	s_or_b64 s[2:3], vcc, s[2:3]
	s_and_b64 exec, exec, s[2:3]
	s_cbranch_execz .LBB107_386
; %bb.381:
	v_cmp_ngt_f64_e64 s[2:3], |v[97:98]|, |v[99:100]|
                                        ; implicit-def: $vgpr101_vgpr102
	s_and_saveexec_b64 s[6:7], s[2:3]
	s_xor_b64 s[2:3], exec, s[6:7]
                                        ; implicit-def: $vgpr103_vgpr104
	s_cbranch_execz .LBB107_383
; %bb.382:
	v_div_scale_f64 v[101:102], s[6:7], v[99:100], v[99:100], v[97:98]
	v_rcp_f64_e32 v[103:104], v[101:102]
	v_fma_f64 v[105:106], -v[101:102], v[103:104], 1.0
	v_fma_f64 v[103:104], v[103:104], v[105:106], v[103:104]
	v_div_scale_f64 v[105:106], vcc, v[97:98], v[99:100], v[97:98]
	v_fma_f64 v[107:108], -v[101:102], v[103:104], 1.0
	v_fma_f64 v[103:104], v[103:104], v[107:108], v[103:104]
	v_mul_f64 v[107:108], v[105:106], v[103:104]
	v_fma_f64 v[101:102], -v[101:102], v[107:108], v[105:106]
	v_div_fmas_f64 v[101:102], v[101:102], v[103:104], v[107:108]
	v_div_fixup_f64 v[101:102], v[101:102], v[99:100], v[97:98]
	v_fma_f64 v[97:98], v[97:98], v[101:102], v[99:100]
	v_div_scale_f64 v[99:100], s[6:7], v[97:98], v[97:98], 1.0
	v_div_scale_f64 v[107:108], vcc, 1.0, v[97:98], 1.0
	v_rcp_f64_e32 v[103:104], v[99:100]
	v_fma_f64 v[105:106], -v[99:100], v[103:104], 1.0
	v_fma_f64 v[103:104], v[103:104], v[105:106], v[103:104]
	v_fma_f64 v[105:106], -v[99:100], v[103:104], 1.0
	v_fma_f64 v[103:104], v[103:104], v[105:106], v[103:104]
	v_mul_f64 v[105:106], v[107:108], v[103:104]
	v_fma_f64 v[99:100], -v[99:100], v[105:106], v[107:108]
	v_div_fmas_f64 v[99:100], v[99:100], v[103:104], v[105:106]
	v_div_fixup_f64 v[103:104], v[99:100], v[97:98], 1.0
                                        ; implicit-def: $vgpr97_vgpr98
	v_mul_f64 v[101:102], v[101:102], v[103:104]
	v_xor_b32_e32 v104, 0x80000000, v104
.LBB107_383:
	s_andn2_saveexec_b64 s[2:3], s[2:3]
	s_cbranch_execz .LBB107_385
; %bb.384:
	v_div_scale_f64 v[101:102], s[6:7], v[97:98], v[97:98], v[99:100]
	v_rcp_f64_e32 v[103:104], v[101:102]
	v_fma_f64 v[105:106], -v[101:102], v[103:104], 1.0
	v_fma_f64 v[103:104], v[103:104], v[105:106], v[103:104]
	v_div_scale_f64 v[105:106], vcc, v[99:100], v[97:98], v[99:100]
	v_fma_f64 v[107:108], -v[101:102], v[103:104], 1.0
	v_fma_f64 v[103:104], v[103:104], v[107:108], v[103:104]
	v_mul_f64 v[107:108], v[105:106], v[103:104]
	v_fma_f64 v[101:102], -v[101:102], v[107:108], v[105:106]
	v_div_fmas_f64 v[101:102], v[101:102], v[103:104], v[107:108]
	v_div_fixup_f64 v[103:104], v[101:102], v[97:98], v[99:100]
	v_fma_f64 v[97:98], v[99:100], v[103:104], v[97:98]
	v_div_scale_f64 v[99:100], s[6:7], v[97:98], v[97:98], 1.0
	v_div_scale_f64 v[107:108], vcc, 1.0, v[97:98], 1.0
	v_rcp_f64_e32 v[101:102], v[99:100]
	v_fma_f64 v[105:106], -v[99:100], v[101:102], 1.0
	v_fma_f64 v[101:102], v[101:102], v[105:106], v[101:102]
	v_fma_f64 v[105:106], -v[99:100], v[101:102], 1.0
	v_fma_f64 v[101:102], v[101:102], v[105:106], v[101:102]
	v_mul_f64 v[105:106], v[107:108], v[101:102]
	v_fma_f64 v[99:100], -v[99:100], v[105:106], v[107:108]
	v_div_fmas_f64 v[99:100], v[99:100], v[101:102], v[105:106]
	v_div_fixup_f64 v[101:102], v[99:100], v[97:98], 1.0
	v_mul_f64 v[103:104], v[103:104], -v[101:102]
.LBB107_385:
	s_or_b64 exec, exec, s[2:3]
	ds_write2_b64 v127, v[101:102], v[103:104] offset1:1
.LBB107_386:
	s_or_b64 exec, exec, s[4:5]
	s_waitcnt lgkmcnt(0)
	s_barrier
	ds_read2_b64 v[97:100], v127 offset1:1
	v_cmp_lt_u32_e32 vcc, 42, v0
	s_waitcnt lgkmcnt(0)
	buffer_store_dword v97, off, s[20:23], 0 offset:1544 ; 4-byte Folded Spill
	s_nop 0
	buffer_store_dword v98, off, s[20:23], 0 offset:1548 ; 4-byte Folded Spill
	buffer_store_dword v99, off, s[20:23], 0 offset:1552 ; 4-byte Folded Spill
	;; [unrolled: 1-line block ×3, first 2 shown]
	s_and_saveexec_b64 s[2:3], vcc
	s_cbranch_execz .LBB107_388
; %bb.387:
	buffer_load_dword v99, off, s[20:23], 0 offset:1544 ; 4-byte Folded Reload
	buffer_load_dword v100, off, s[20:23], 0 offset:1548 ; 4-byte Folded Reload
	buffer_load_dword v101, off, s[20:23], 0 offset:1552 ; 4-byte Folded Reload
	buffer_load_dword v102, off, s[20:23], 0 offset:1556 ; 4-byte Folded Reload
	s_waitcnt vmcnt(2)
	v_mul_f64 v[97:98], v[99:100], v[43:44]
	s_waitcnt vmcnt(0)
	v_mul_f64 v[43:44], v[101:102], v[43:44]
	v_fma_f64 v[97:98], v[101:102], v[41:42], v[97:98]
	v_fma_f64 v[41:42], v[99:100], v[41:42], -v[43:44]
	ds_read2_b64 v[99:102], v125 offset0:86 offset1:87
	s_waitcnt lgkmcnt(0)
	v_mul_f64 v[43:44], v[101:102], v[97:98]
	v_fma_f64 v[43:44], v[99:100], v[41:42], -v[43:44]
	v_mul_f64 v[99:100], v[99:100], v[97:98]
	v_add_f64 v[37:38], v[37:38], -v[43:44]
	v_fma_f64 v[99:100], v[101:102], v[41:42], v[99:100]
	v_add_f64 v[39:40], v[39:40], -v[99:100]
	ds_read2_b64 v[99:102], v125 offset0:88 offset1:89
	s_waitcnt lgkmcnt(0)
	v_mul_f64 v[43:44], v[101:102], v[97:98]
	v_fma_f64 v[43:44], v[99:100], v[41:42], -v[43:44]
	v_mul_f64 v[99:100], v[99:100], v[97:98]
	v_add_f64 v[33:34], v[33:34], -v[43:44]
	v_fma_f64 v[99:100], v[101:102], v[41:42], v[99:100]
	v_add_f64 v[35:36], v[35:36], -v[99:100]
	ds_read2_b64 v[99:102], v125 offset0:90 offset1:91
	s_waitcnt lgkmcnt(0)
	v_mul_f64 v[43:44], v[101:102], v[97:98]
	v_fma_f64 v[43:44], v[99:100], v[41:42], -v[43:44]
	v_mul_f64 v[99:100], v[99:100], v[97:98]
	v_add_f64 v[29:30], v[29:30], -v[43:44]
	v_fma_f64 v[99:100], v[101:102], v[41:42], v[99:100]
	v_add_f64 v[31:32], v[31:32], -v[99:100]
	ds_read2_b64 v[99:102], v125 offset0:92 offset1:93
	s_waitcnt lgkmcnt(0)
	v_mul_f64 v[43:44], v[101:102], v[97:98]
	v_fma_f64 v[43:44], v[99:100], v[41:42], -v[43:44]
	v_mul_f64 v[99:100], v[99:100], v[97:98]
	v_add_f64 v[25:26], v[25:26], -v[43:44]
	v_fma_f64 v[99:100], v[101:102], v[41:42], v[99:100]
	v_add_f64 v[27:28], v[27:28], -v[99:100]
	ds_read2_b64 v[99:102], v125 offset0:94 offset1:95
	s_waitcnt lgkmcnt(0)
	v_mul_f64 v[43:44], v[101:102], v[97:98]
	v_fma_f64 v[43:44], v[99:100], v[41:42], -v[43:44]
	v_mul_f64 v[99:100], v[99:100], v[97:98]
	v_add_f64 v[21:22], v[21:22], -v[43:44]
	v_fma_f64 v[99:100], v[101:102], v[41:42], v[99:100]
	v_add_f64 v[23:24], v[23:24], -v[99:100]
	ds_read2_b64 v[99:102], v125 offset0:96 offset1:97
	s_waitcnt lgkmcnt(0)
	v_mul_f64 v[43:44], v[101:102], v[97:98]
	v_fma_f64 v[43:44], v[99:100], v[41:42], -v[43:44]
	v_mul_f64 v[99:100], v[99:100], v[97:98]
	v_add_f64 v[17:18], v[17:18], -v[43:44]
	v_fma_f64 v[99:100], v[101:102], v[41:42], v[99:100]
	v_add_f64 v[19:20], v[19:20], -v[99:100]
	ds_read2_b64 v[99:102], v125 offset0:98 offset1:99
	s_waitcnt lgkmcnt(0)
	v_mul_f64 v[43:44], v[101:102], v[97:98]
	v_fma_f64 v[43:44], v[99:100], v[41:42], -v[43:44]
	v_mul_f64 v[99:100], v[99:100], v[97:98]
	v_add_f64 v[13:14], v[13:14], -v[43:44]
	v_fma_f64 v[99:100], v[101:102], v[41:42], v[99:100]
	v_add_f64 v[15:16], v[15:16], -v[99:100]
	ds_read2_b64 v[99:102], v125 offset0:100 offset1:101
	s_waitcnt lgkmcnt(0)
	v_mul_f64 v[43:44], v[101:102], v[97:98]
	v_fma_f64 v[43:44], v[99:100], v[41:42], -v[43:44]
	v_mul_f64 v[99:100], v[99:100], v[97:98]
	v_add_f64 v[9:10], v[9:10], -v[43:44]
	v_fma_f64 v[99:100], v[101:102], v[41:42], v[99:100]
	v_add_f64 v[11:12], v[11:12], -v[99:100]
	ds_read2_b64 v[99:102], v125 offset0:102 offset1:103
	s_waitcnt lgkmcnt(0)
	v_mul_f64 v[43:44], v[101:102], v[97:98]
	v_fma_f64 v[43:44], v[99:100], v[41:42], -v[43:44]
	v_mul_f64 v[99:100], v[99:100], v[97:98]
	v_add_f64 v[5:6], v[5:6], -v[43:44]
	v_fma_f64 v[99:100], v[101:102], v[41:42], v[99:100]
	v_add_f64 v[7:8], v[7:8], -v[99:100]
	ds_read2_b64 v[99:102], v125 offset0:104 offset1:105
	s_waitcnt lgkmcnt(0)
	v_mul_f64 v[43:44], v[101:102], v[97:98]
	v_fma_f64 v[43:44], v[99:100], v[41:42], -v[43:44]
	v_mul_f64 v[99:100], v[99:100], v[97:98]
	v_add_f64 v[1:2], v[1:2], -v[43:44]
	v_fma_f64 v[99:100], v[101:102], v[41:42], v[99:100]
	v_add_f64 v[3:4], v[3:4], -v[99:100]
	ds_read2_b64 v[99:102], v125 offset0:106 offset1:107
	s_waitcnt lgkmcnt(0)
	v_mul_f64 v[43:44], v[101:102], v[97:98]
	v_fma_f64 v[43:44], v[99:100], v[41:42], -v[43:44]
	v_mul_f64 v[99:100], v[99:100], v[97:98]
	v_add_f64 v[121:122], v[121:122], -v[43:44]
	v_fma_f64 v[99:100], v[101:102], v[41:42], v[99:100]
	v_mov_b32_e32 v43, v97
	v_mov_b32_e32 v44, v98
	v_add_f64 v[123:124], v[123:124], -v[99:100]
.LBB107_388:
	s_or_b64 exec, exec, s[2:3]
	v_cmp_eq_u32_e32 vcc, 43, v0
	s_waitcnt vmcnt(0)
	s_barrier
	s_and_saveexec_b64 s[4:5], vcc
	s_cbranch_execz .LBB107_395
; %bb.389:
	ds_write2_b64 v127, v[37:38], v[39:40] offset1:1
	ds_write2_b64 v125, v[33:34], v[35:36] offset0:88 offset1:89
	ds_write2_b64 v125, v[29:30], v[31:32] offset0:90 offset1:91
	;; [unrolled: 1-line block ×10, first 2 shown]
	ds_read2_b64 v[97:100], v127 offset1:1
	s_waitcnt lgkmcnt(0)
	v_cmp_neq_f64_e32 vcc, 0, v[97:98]
	v_cmp_neq_f64_e64 s[2:3], 0, v[99:100]
	s_or_b64 s[2:3], vcc, s[2:3]
	s_and_b64 exec, exec, s[2:3]
	s_cbranch_execz .LBB107_395
; %bb.390:
	v_cmp_ngt_f64_e64 s[2:3], |v[97:98]|, |v[99:100]|
                                        ; implicit-def: $vgpr101_vgpr102
	s_and_saveexec_b64 s[6:7], s[2:3]
	s_xor_b64 s[2:3], exec, s[6:7]
                                        ; implicit-def: $vgpr103_vgpr104
	s_cbranch_execz .LBB107_392
; %bb.391:
	v_div_scale_f64 v[101:102], s[6:7], v[99:100], v[99:100], v[97:98]
	v_rcp_f64_e32 v[103:104], v[101:102]
	v_fma_f64 v[105:106], -v[101:102], v[103:104], 1.0
	v_fma_f64 v[103:104], v[103:104], v[105:106], v[103:104]
	v_div_scale_f64 v[105:106], vcc, v[97:98], v[99:100], v[97:98]
	v_fma_f64 v[107:108], -v[101:102], v[103:104], 1.0
	v_fma_f64 v[103:104], v[103:104], v[107:108], v[103:104]
	v_mul_f64 v[107:108], v[105:106], v[103:104]
	v_fma_f64 v[101:102], -v[101:102], v[107:108], v[105:106]
	v_div_fmas_f64 v[101:102], v[101:102], v[103:104], v[107:108]
	v_div_fixup_f64 v[101:102], v[101:102], v[99:100], v[97:98]
	v_fma_f64 v[97:98], v[97:98], v[101:102], v[99:100]
	v_div_scale_f64 v[99:100], s[6:7], v[97:98], v[97:98], 1.0
	v_div_scale_f64 v[107:108], vcc, 1.0, v[97:98], 1.0
	v_rcp_f64_e32 v[103:104], v[99:100]
	v_fma_f64 v[105:106], -v[99:100], v[103:104], 1.0
	v_fma_f64 v[103:104], v[103:104], v[105:106], v[103:104]
	v_fma_f64 v[105:106], -v[99:100], v[103:104], 1.0
	v_fma_f64 v[103:104], v[103:104], v[105:106], v[103:104]
	v_mul_f64 v[105:106], v[107:108], v[103:104]
	v_fma_f64 v[99:100], -v[99:100], v[105:106], v[107:108]
	v_div_fmas_f64 v[99:100], v[99:100], v[103:104], v[105:106]
	v_div_fixup_f64 v[103:104], v[99:100], v[97:98], 1.0
                                        ; implicit-def: $vgpr97_vgpr98
	v_mul_f64 v[101:102], v[101:102], v[103:104]
	v_xor_b32_e32 v104, 0x80000000, v104
.LBB107_392:
	s_andn2_saveexec_b64 s[2:3], s[2:3]
	s_cbranch_execz .LBB107_394
; %bb.393:
	v_div_scale_f64 v[101:102], s[6:7], v[97:98], v[97:98], v[99:100]
	v_rcp_f64_e32 v[103:104], v[101:102]
	v_fma_f64 v[105:106], -v[101:102], v[103:104], 1.0
	v_fma_f64 v[103:104], v[103:104], v[105:106], v[103:104]
	v_div_scale_f64 v[105:106], vcc, v[99:100], v[97:98], v[99:100]
	v_fma_f64 v[107:108], -v[101:102], v[103:104], 1.0
	v_fma_f64 v[103:104], v[103:104], v[107:108], v[103:104]
	v_mul_f64 v[107:108], v[105:106], v[103:104]
	v_fma_f64 v[101:102], -v[101:102], v[107:108], v[105:106]
	v_div_fmas_f64 v[101:102], v[101:102], v[103:104], v[107:108]
	v_div_fixup_f64 v[103:104], v[101:102], v[97:98], v[99:100]
	v_fma_f64 v[97:98], v[99:100], v[103:104], v[97:98]
	v_div_scale_f64 v[99:100], s[6:7], v[97:98], v[97:98], 1.0
	v_div_scale_f64 v[107:108], vcc, 1.0, v[97:98], 1.0
	v_rcp_f64_e32 v[101:102], v[99:100]
	v_fma_f64 v[105:106], -v[99:100], v[101:102], 1.0
	v_fma_f64 v[101:102], v[101:102], v[105:106], v[101:102]
	v_fma_f64 v[105:106], -v[99:100], v[101:102], 1.0
	v_fma_f64 v[101:102], v[101:102], v[105:106], v[101:102]
	v_mul_f64 v[105:106], v[107:108], v[101:102]
	v_fma_f64 v[99:100], -v[99:100], v[105:106], v[107:108]
	v_div_fmas_f64 v[99:100], v[99:100], v[101:102], v[105:106]
	v_div_fixup_f64 v[101:102], v[99:100], v[97:98], 1.0
	v_mul_f64 v[103:104], v[103:104], -v[101:102]
.LBB107_394:
	s_or_b64 exec, exec, s[2:3]
	ds_write2_b64 v127, v[101:102], v[103:104] offset1:1
.LBB107_395:
	s_or_b64 exec, exec, s[4:5]
	s_waitcnt lgkmcnt(0)
	s_barrier
	ds_read2_b64 v[97:100], v127 offset1:1
	v_cmp_lt_u32_e32 vcc, 43, v0
	s_waitcnt lgkmcnt(0)
	buffer_store_dword v97, off, s[20:23], 0 offset:1560 ; 4-byte Folded Spill
	s_nop 0
	buffer_store_dword v98, off, s[20:23], 0 offset:1564 ; 4-byte Folded Spill
	buffer_store_dword v99, off, s[20:23], 0 offset:1568 ; 4-byte Folded Spill
	;; [unrolled: 1-line block ×3, first 2 shown]
	s_and_saveexec_b64 s[2:3], vcc
	s_cbranch_execz .LBB107_397
; %bb.396:
	buffer_load_dword v99, off, s[20:23], 0 offset:1560 ; 4-byte Folded Reload
	buffer_load_dword v100, off, s[20:23], 0 offset:1564 ; 4-byte Folded Reload
	;; [unrolled: 1-line block ×4, first 2 shown]
	s_waitcnt vmcnt(2)
	v_mul_f64 v[97:98], v[99:100], v[39:40]
	s_waitcnt vmcnt(0)
	v_mul_f64 v[39:40], v[101:102], v[39:40]
	v_fma_f64 v[97:98], v[101:102], v[37:38], v[97:98]
	v_fma_f64 v[37:38], v[99:100], v[37:38], -v[39:40]
	ds_read2_b64 v[99:102], v125 offset0:88 offset1:89
	s_waitcnt lgkmcnt(0)
	v_mul_f64 v[39:40], v[101:102], v[97:98]
	v_fma_f64 v[39:40], v[99:100], v[37:38], -v[39:40]
	v_mul_f64 v[99:100], v[99:100], v[97:98]
	v_add_f64 v[33:34], v[33:34], -v[39:40]
	v_fma_f64 v[99:100], v[101:102], v[37:38], v[99:100]
	v_add_f64 v[35:36], v[35:36], -v[99:100]
	ds_read2_b64 v[99:102], v125 offset0:90 offset1:91
	s_waitcnt lgkmcnt(0)
	v_mul_f64 v[39:40], v[101:102], v[97:98]
	v_fma_f64 v[39:40], v[99:100], v[37:38], -v[39:40]
	v_mul_f64 v[99:100], v[99:100], v[97:98]
	v_add_f64 v[29:30], v[29:30], -v[39:40]
	v_fma_f64 v[99:100], v[101:102], v[37:38], v[99:100]
	v_add_f64 v[31:32], v[31:32], -v[99:100]
	;; [unrolled: 8-line block ×9, first 2 shown]
	ds_read2_b64 v[99:102], v125 offset0:106 offset1:107
	s_waitcnt lgkmcnt(0)
	v_mul_f64 v[39:40], v[101:102], v[97:98]
	v_fma_f64 v[39:40], v[99:100], v[37:38], -v[39:40]
	v_mul_f64 v[99:100], v[99:100], v[97:98]
	v_add_f64 v[121:122], v[121:122], -v[39:40]
	v_fma_f64 v[99:100], v[101:102], v[37:38], v[99:100]
	v_mov_b32_e32 v39, v97
	v_mov_b32_e32 v40, v98
	v_add_f64 v[123:124], v[123:124], -v[99:100]
.LBB107_397:
	s_or_b64 exec, exec, s[2:3]
	v_cmp_eq_u32_e32 vcc, 44, v0
	s_waitcnt vmcnt(0)
	s_barrier
	s_and_saveexec_b64 s[4:5], vcc
	s_cbranch_execz .LBB107_404
; %bb.398:
	ds_write2_b64 v127, v[33:34], v[35:36] offset1:1
	ds_write2_b64 v125, v[29:30], v[31:32] offset0:90 offset1:91
	ds_write2_b64 v125, v[25:26], v[27:28] offset0:92 offset1:93
	;; [unrolled: 1-line block ×9, first 2 shown]
	ds_read2_b64 v[97:100], v127 offset1:1
	s_waitcnt lgkmcnt(0)
	v_cmp_neq_f64_e32 vcc, 0, v[97:98]
	v_cmp_neq_f64_e64 s[2:3], 0, v[99:100]
	s_or_b64 s[2:3], vcc, s[2:3]
	s_and_b64 exec, exec, s[2:3]
	s_cbranch_execz .LBB107_404
; %bb.399:
	v_cmp_ngt_f64_e64 s[2:3], |v[97:98]|, |v[99:100]|
                                        ; implicit-def: $vgpr101_vgpr102
	s_and_saveexec_b64 s[6:7], s[2:3]
	s_xor_b64 s[2:3], exec, s[6:7]
                                        ; implicit-def: $vgpr103_vgpr104
	s_cbranch_execz .LBB107_401
; %bb.400:
	v_div_scale_f64 v[101:102], s[6:7], v[99:100], v[99:100], v[97:98]
	v_rcp_f64_e32 v[103:104], v[101:102]
	v_fma_f64 v[105:106], -v[101:102], v[103:104], 1.0
	v_fma_f64 v[103:104], v[103:104], v[105:106], v[103:104]
	v_div_scale_f64 v[105:106], vcc, v[97:98], v[99:100], v[97:98]
	v_fma_f64 v[107:108], -v[101:102], v[103:104], 1.0
	v_fma_f64 v[103:104], v[103:104], v[107:108], v[103:104]
	v_mul_f64 v[107:108], v[105:106], v[103:104]
	v_fma_f64 v[101:102], -v[101:102], v[107:108], v[105:106]
	v_div_fmas_f64 v[101:102], v[101:102], v[103:104], v[107:108]
	v_div_fixup_f64 v[101:102], v[101:102], v[99:100], v[97:98]
	v_fma_f64 v[97:98], v[97:98], v[101:102], v[99:100]
	v_div_scale_f64 v[99:100], s[6:7], v[97:98], v[97:98], 1.0
	v_div_scale_f64 v[107:108], vcc, 1.0, v[97:98], 1.0
	v_rcp_f64_e32 v[103:104], v[99:100]
	v_fma_f64 v[105:106], -v[99:100], v[103:104], 1.0
	v_fma_f64 v[103:104], v[103:104], v[105:106], v[103:104]
	v_fma_f64 v[105:106], -v[99:100], v[103:104], 1.0
	v_fma_f64 v[103:104], v[103:104], v[105:106], v[103:104]
	v_mul_f64 v[105:106], v[107:108], v[103:104]
	v_fma_f64 v[99:100], -v[99:100], v[105:106], v[107:108]
	v_div_fmas_f64 v[99:100], v[99:100], v[103:104], v[105:106]
	v_div_fixup_f64 v[103:104], v[99:100], v[97:98], 1.0
                                        ; implicit-def: $vgpr97_vgpr98
	v_mul_f64 v[101:102], v[101:102], v[103:104]
	v_xor_b32_e32 v104, 0x80000000, v104
.LBB107_401:
	s_andn2_saveexec_b64 s[2:3], s[2:3]
	s_cbranch_execz .LBB107_403
; %bb.402:
	v_div_scale_f64 v[101:102], s[6:7], v[97:98], v[97:98], v[99:100]
	v_rcp_f64_e32 v[103:104], v[101:102]
	v_fma_f64 v[105:106], -v[101:102], v[103:104], 1.0
	v_fma_f64 v[103:104], v[103:104], v[105:106], v[103:104]
	v_div_scale_f64 v[105:106], vcc, v[99:100], v[97:98], v[99:100]
	v_fma_f64 v[107:108], -v[101:102], v[103:104], 1.0
	v_fma_f64 v[103:104], v[103:104], v[107:108], v[103:104]
	v_mul_f64 v[107:108], v[105:106], v[103:104]
	v_fma_f64 v[101:102], -v[101:102], v[107:108], v[105:106]
	v_div_fmas_f64 v[101:102], v[101:102], v[103:104], v[107:108]
	v_div_fixup_f64 v[103:104], v[101:102], v[97:98], v[99:100]
	v_fma_f64 v[97:98], v[99:100], v[103:104], v[97:98]
	v_div_scale_f64 v[99:100], s[6:7], v[97:98], v[97:98], 1.0
	v_div_scale_f64 v[107:108], vcc, 1.0, v[97:98], 1.0
	v_rcp_f64_e32 v[101:102], v[99:100]
	v_fma_f64 v[105:106], -v[99:100], v[101:102], 1.0
	v_fma_f64 v[101:102], v[101:102], v[105:106], v[101:102]
	v_fma_f64 v[105:106], -v[99:100], v[101:102], 1.0
	v_fma_f64 v[101:102], v[101:102], v[105:106], v[101:102]
	v_mul_f64 v[105:106], v[107:108], v[101:102]
	v_fma_f64 v[99:100], -v[99:100], v[105:106], v[107:108]
	v_div_fmas_f64 v[99:100], v[99:100], v[101:102], v[105:106]
	v_div_fixup_f64 v[101:102], v[99:100], v[97:98], 1.0
	v_mul_f64 v[103:104], v[103:104], -v[101:102]
.LBB107_403:
	s_or_b64 exec, exec, s[2:3]
	ds_write2_b64 v127, v[101:102], v[103:104] offset1:1
.LBB107_404:
	s_or_b64 exec, exec, s[4:5]
	s_waitcnt lgkmcnt(0)
	s_barrier
	ds_read2_b64 v[97:100], v127 offset1:1
	v_cmp_lt_u32_e32 vcc, 44, v0
	s_waitcnt lgkmcnt(0)
	buffer_store_dword v97, off, s[20:23], 0 offset:1576 ; 4-byte Folded Spill
	s_nop 0
	buffer_store_dword v98, off, s[20:23], 0 offset:1580 ; 4-byte Folded Spill
	buffer_store_dword v99, off, s[20:23], 0 offset:1584 ; 4-byte Folded Spill
	;; [unrolled: 1-line block ×3, first 2 shown]
	s_and_saveexec_b64 s[2:3], vcc
	s_cbranch_execz .LBB107_406
; %bb.405:
	buffer_load_dword v99, off, s[20:23], 0 offset:1576 ; 4-byte Folded Reload
	buffer_load_dword v100, off, s[20:23], 0 offset:1580 ; 4-byte Folded Reload
	;; [unrolled: 1-line block ×4, first 2 shown]
	s_waitcnt vmcnt(2)
	v_mul_f64 v[97:98], v[99:100], v[35:36]
	s_waitcnt vmcnt(0)
	v_mul_f64 v[35:36], v[101:102], v[35:36]
	v_fma_f64 v[97:98], v[101:102], v[33:34], v[97:98]
	v_fma_f64 v[33:34], v[99:100], v[33:34], -v[35:36]
	ds_read2_b64 v[99:102], v125 offset0:90 offset1:91
	s_waitcnt lgkmcnt(0)
	v_mul_f64 v[35:36], v[101:102], v[97:98]
	v_fma_f64 v[35:36], v[99:100], v[33:34], -v[35:36]
	v_mul_f64 v[99:100], v[99:100], v[97:98]
	v_add_f64 v[29:30], v[29:30], -v[35:36]
	v_fma_f64 v[99:100], v[101:102], v[33:34], v[99:100]
	v_add_f64 v[31:32], v[31:32], -v[99:100]
	ds_read2_b64 v[99:102], v125 offset0:92 offset1:93
	s_waitcnt lgkmcnt(0)
	v_mul_f64 v[35:36], v[101:102], v[97:98]
	v_fma_f64 v[35:36], v[99:100], v[33:34], -v[35:36]
	v_mul_f64 v[99:100], v[99:100], v[97:98]
	v_add_f64 v[25:26], v[25:26], -v[35:36]
	v_fma_f64 v[99:100], v[101:102], v[33:34], v[99:100]
	v_add_f64 v[27:28], v[27:28], -v[99:100]
	;; [unrolled: 8-line block ×8, first 2 shown]
	ds_read2_b64 v[99:102], v125 offset0:106 offset1:107
	s_waitcnt lgkmcnt(0)
	v_mul_f64 v[35:36], v[101:102], v[97:98]
	v_fma_f64 v[35:36], v[99:100], v[33:34], -v[35:36]
	v_mul_f64 v[99:100], v[99:100], v[97:98]
	v_add_f64 v[121:122], v[121:122], -v[35:36]
	v_fma_f64 v[99:100], v[101:102], v[33:34], v[99:100]
	v_mov_b32_e32 v35, v97
	v_mov_b32_e32 v36, v98
	v_add_f64 v[123:124], v[123:124], -v[99:100]
.LBB107_406:
	s_or_b64 exec, exec, s[2:3]
	v_cmp_eq_u32_e32 vcc, 45, v0
	s_waitcnt vmcnt(0)
	s_barrier
	s_and_saveexec_b64 s[4:5], vcc
	s_cbranch_execz .LBB107_413
; %bb.407:
	ds_write2_b64 v127, v[29:30], v[31:32] offset1:1
	ds_write2_b64 v125, v[25:26], v[27:28] offset0:92 offset1:93
	ds_write2_b64 v125, v[21:22], v[23:24] offset0:94 offset1:95
	;; [unrolled: 1-line block ×8, first 2 shown]
	ds_read2_b64 v[97:100], v127 offset1:1
	s_waitcnt lgkmcnt(0)
	v_cmp_neq_f64_e32 vcc, 0, v[97:98]
	v_cmp_neq_f64_e64 s[2:3], 0, v[99:100]
	s_or_b64 s[2:3], vcc, s[2:3]
	s_and_b64 exec, exec, s[2:3]
	s_cbranch_execz .LBB107_413
; %bb.408:
	v_cmp_ngt_f64_e64 s[2:3], |v[97:98]|, |v[99:100]|
                                        ; implicit-def: $vgpr101_vgpr102
	s_and_saveexec_b64 s[6:7], s[2:3]
	s_xor_b64 s[2:3], exec, s[6:7]
                                        ; implicit-def: $vgpr103_vgpr104
	s_cbranch_execz .LBB107_410
; %bb.409:
	v_div_scale_f64 v[101:102], s[6:7], v[99:100], v[99:100], v[97:98]
	v_rcp_f64_e32 v[103:104], v[101:102]
	v_fma_f64 v[105:106], -v[101:102], v[103:104], 1.0
	v_fma_f64 v[103:104], v[103:104], v[105:106], v[103:104]
	v_div_scale_f64 v[105:106], vcc, v[97:98], v[99:100], v[97:98]
	v_fma_f64 v[107:108], -v[101:102], v[103:104], 1.0
	v_fma_f64 v[103:104], v[103:104], v[107:108], v[103:104]
	v_mul_f64 v[107:108], v[105:106], v[103:104]
	v_fma_f64 v[101:102], -v[101:102], v[107:108], v[105:106]
	v_div_fmas_f64 v[101:102], v[101:102], v[103:104], v[107:108]
	v_div_fixup_f64 v[101:102], v[101:102], v[99:100], v[97:98]
	v_fma_f64 v[97:98], v[97:98], v[101:102], v[99:100]
	v_div_scale_f64 v[99:100], s[6:7], v[97:98], v[97:98], 1.0
	v_div_scale_f64 v[107:108], vcc, 1.0, v[97:98], 1.0
	v_rcp_f64_e32 v[103:104], v[99:100]
	v_fma_f64 v[105:106], -v[99:100], v[103:104], 1.0
	v_fma_f64 v[103:104], v[103:104], v[105:106], v[103:104]
	v_fma_f64 v[105:106], -v[99:100], v[103:104], 1.0
	v_fma_f64 v[103:104], v[103:104], v[105:106], v[103:104]
	v_mul_f64 v[105:106], v[107:108], v[103:104]
	v_fma_f64 v[99:100], -v[99:100], v[105:106], v[107:108]
	v_div_fmas_f64 v[99:100], v[99:100], v[103:104], v[105:106]
	v_div_fixup_f64 v[103:104], v[99:100], v[97:98], 1.0
                                        ; implicit-def: $vgpr97_vgpr98
	v_mul_f64 v[101:102], v[101:102], v[103:104]
	v_xor_b32_e32 v104, 0x80000000, v104
.LBB107_410:
	s_andn2_saveexec_b64 s[2:3], s[2:3]
	s_cbranch_execz .LBB107_412
; %bb.411:
	v_div_scale_f64 v[101:102], s[6:7], v[97:98], v[97:98], v[99:100]
	v_rcp_f64_e32 v[103:104], v[101:102]
	v_fma_f64 v[105:106], -v[101:102], v[103:104], 1.0
	v_fma_f64 v[103:104], v[103:104], v[105:106], v[103:104]
	v_div_scale_f64 v[105:106], vcc, v[99:100], v[97:98], v[99:100]
	v_fma_f64 v[107:108], -v[101:102], v[103:104], 1.0
	v_fma_f64 v[103:104], v[103:104], v[107:108], v[103:104]
	v_mul_f64 v[107:108], v[105:106], v[103:104]
	v_fma_f64 v[101:102], -v[101:102], v[107:108], v[105:106]
	v_div_fmas_f64 v[101:102], v[101:102], v[103:104], v[107:108]
	v_div_fixup_f64 v[103:104], v[101:102], v[97:98], v[99:100]
	v_fma_f64 v[97:98], v[99:100], v[103:104], v[97:98]
	v_div_scale_f64 v[99:100], s[6:7], v[97:98], v[97:98], 1.0
	v_div_scale_f64 v[107:108], vcc, 1.0, v[97:98], 1.0
	v_rcp_f64_e32 v[101:102], v[99:100]
	v_fma_f64 v[105:106], -v[99:100], v[101:102], 1.0
	v_fma_f64 v[101:102], v[101:102], v[105:106], v[101:102]
	v_fma_f64 v[105:106], -v[99:100], v[101:102], 1.0
	v_fma_f64 v[101:102], v[101:102], v[105:106], v[101:102]
	v_mul_f64 v[105:106], v[107:108], v[101:102]
	v_fma_f64 v[99:100], -v[99:100], v[105:106], v[107:108]
	v_div_fmas_f64 v[99:100], v[99:100], v[101:102], v[105:106]
	v_div_fixup_f64 v[101:102], v[99:100], v[97:98], 1.0
	v_mul_f64 v[103:104], v[103:104], -v[101:102]
.LBB107_412:
	s_or_b64 exec, exec, s[2:3]
	ds_write2_b64 v127, v[101:102], v[103:104] offset1:1
.LBB107_413:
	s_or_b64 exec, exec, s[4:5]
	s_waitcnt lgkmcnt(0)
	s_barrier
	ds_read2_b64 v[97:100], v127 offset1:1
	v_cmp_lt_u32_e32 vcc, 45, v0
	s_waitcnt lgkmcnt(0)
	buffer_store_dword v97, off, s[20:23], 0 offset:1592 ; 4-byte Folded Spill
	s_nop 0
	buffer_store_dword v98, off, s[20:23], 0 offset:1596 ; 4-byte Folded Spill
	buffer_store_dword v99, off, s[20:23], 0 offset:1600 ; 4-byte Folded Spill
	;; [unrolled: 1-line block ×3, first 2 shown]
	s_and_saveexec_b64 s[2:3], vcc
	s_cbranch_execz .LBB107_415
; %bb.414:
	buffer_load_dword v99, off, s[20:23], 0 offset:1592 ; 4-byte Folded Reload
	buffer_load_dword v100, off, s[20:23], 0 offset:1596 ; 4-byte Folded Reload
	;; [unrolled: 1-line block ×4, first 2 shown]
	s_waitcnt vmcnt(2)
	v_mul_f64 v[97:98], v[99:100], v[31:32]
	s_waitcnt vmcnt(0)
	v_mul_f64 v[31:32], v[101:102], v[31:32]
	v_fma_f64 v[97:98], v[101:102], v[29:30], v[97:98]
	v_fma_f64 v[29:30], v[99:100], v[29:30], -v[31:32]
	ds_read2_b64 v[99:102], v125 offset0:92 offset1:93
	s_waitcnt lgkmcnt(0)
	v_mul_f64 v[31:32], v[101:102], v[97:98]
	v_fma_f64 v[31:32], v[99:100], v[29:30], -v[31:32]
	v_mul_f64 v[99:100], v[99:100], v[97:98]
	v_add_f64 v[25:26], v[25:26], -v[31:32]
	v_fma_f64 v[99:100], v[101:102], v[29:30], v[99:100]
	v_add_f64 v[27:28], v[27:28], -v[99:100]
	ds_read2_b64 v[99:102], v125 offset0:94 offset1:95
	s_waitcnt lgkmcnt(0)
	v_mul_f64 v[31:32], v[101:102], v[97:98]
	v_fma_f64 v[31:32], v[99:100], v[29:30], -v[31:32]
	v_mul_f64 v[99:100], v[99:100], v[97:98]
	v_add_f64 v[21:22], v[21:22], -v[31:32]
	v_fma_f64 v[99:100], v[101:102], v[29:30], v[99:100]
	v_add_f64 v[23:24], v[23:24], -v[99:100]
	;; [unrolled: 8-line block ×7, first 2 shown]
	ds_read2_b64 v[99:102], v125 offset0:106 offset1:107
	s_waitcnt lgkmcnt(0)
	v_mul_f64 v[31:32], v[101:102], v[97:98]
	v_fma_f64 v[31:32], v[99:100], v[29:30], -v[31:32]
	v_mul_f64 v[99:100], v[99:100], v[97:98]
	v_add_f64 v[121:122], v[121:122], -v[31:32]
	v_fma_f64 v[99:100], v[101:102], v[29:30], v[99:100]
	v_mov_b32_e32 v31, v97
	v_mov_b32_e32 v32, v98
	v_add_f64 v[123:124], v[123:124], -v[99:100]
.LBB107_415:
	s_or_b64 exec, exec, s[2:3]
	v_cmp_eq_u32_e32 vcc, 46, v0
	s_waitcnt vmcnt(0)
	s_barrier
	s_and_saveexec_b64 s[4:5], vcc
	s_cbranch_execz .LBB107_422
; %bb.416:
	ds_write2_b64 v127, v[25:26], v[27:28] offset1:1
	ds_write2_b64 v125, v[21:22], v[23:24] offset0:94 offset1:95
	ds_write2_b64 v125, v[17:18], v[19:20] offset0:96 offset1:97
	;; [unrolled: 1-line block ×7, first 2 shown]
	ds_read2_b64 v[97:100], v127 offset1:1
	s_waitcnt lgkmcnt(0)
	v_cmp_neq_f64_e32 vcc, 0, v[97:98]
	v_cmp_neq_f64_e64 s[2:3], 0, v[99:100]
	s_or_b64 s[2:3], vcc, s[2:3]
	s_and_b64 exec, exec, s[2:3]
	s_cbranch_execz .LBB107_422
; %bb.417:
	v_cmp_ngt_f64_e64 s[2:3], |v[97:98]|, |v[99:100]|
                                        ; implicit-def: $vgpr101_vgpr102
	s_and_saveexec_b64 s[6:7], s[2:3]
	s_xor_b64 s[2:3], exec, s[6:7]
                                        ; implicit-def: $vgpr103_vgpr104
	s_cbranch_execz .LBB107_419
; %bb.418:
	v_div_scale_f64 v[101:102], s[6:7], v[99:100], v[99:100], v[97:98]
	v_rcp_f64_e32 v[103:104], v[101:102]
	v_fma_f64 v[105:106], -v[101:102], v[103:104], 1.0
	v_fma_f64 v[103:104], v[103:104], v[105:106], v[103:104]
	v_div_scale_f64 v[105:106], vcc, v[97:98], v[99:100], v[97:98]
	v_fma_f64 v[107:108], -v[101:102], v[103:104], 1.0
	v_fma_f64 v[103:104], v[103:104], v[107:108], v[103:104]
	v_mul_f64 v[107:108], v[105:106], v[103:104]
	v_fma_f64 v[101:102], -v[101:102], v[107:108], v[105:106]
	v_div_fmas_f64 v[101:102], v[101:102], v[103:104], v[107:108]
	v_div_fixup_f64 v[101:102], v[101:102], v[99:100], v[97:98]
	v_fma_f64 v[97:98], v[97:98], v[101:102], v[99:100]
	v_div_scale_f64 v[99:100], s[6:7], v[97:98], v[97:98], 1.0
	v_div_scale_f64 v[107:108], vcc, 1.0, v[97:98], 1.0
	v_rcp_f64_e32 v[103:104], v[99:100]
	v_fma_f64 v[105:106], -v[99:100], v[103:104], 1.0
	v_fma_f64 v[103:104], v[103:104], v[105:106], v[103:104]
	v_fma_f64 v[105:106], -v[99:100], v[103:104], 1.0
	v_fma_f64 v[103:104], v[103:104], v[105:106], v[103:104]
	v_mul_f64 v[105:106], v[107:108], v[103:104]
	v_fma_f64 v[99:100], -v[99:100], v[105:106], v[107:108]
	v_div_fmas_f64 v[99:100], v[99:100], v[103:104], v[105:106]
	v_div_fixup_f64 v[103:104], v[99:100], v[97:98], 1.0
                                        ; implicit-def: $vgpr97_vgpr98
	v_mul_f64 v[101:102], v[101:102], v[103:104]
	v_xor_b32_e32 v104, 0x80000000, v104
.LBB107_419:
	s_andn2_saveexec_b64 s[2:3], s[2:3]
	s_cbranch_execz .LBB107_421
; %bb.420:
	v_div_scale_f64 v[101:102], s[6:7], v[97:98], v[97:98], v[99:100]
	v_rcp_f64_e32 v[103:104], v[101:102]
	v_fma_f64 v[105:106], -v[101:102], v[103:104], 1.0
	v_fma_f64 v[103:104], v[103:104], v[105:106], v[103:104]
	v_div_scale_f64 v[105:106], vcc, v[99:100], v[97:98], v[99:100]
	v_fma_f64 v[107:108], -v[101:102], v[103:104], 1.0
	v_fma_f64 v[103:104], v[103:104], v[107:108], v[103:104]
	v_mul_f64 v[107:108], v[105:106], v[103:104]
	v_fma_f64 v[101:102], -v[101:102], v[107:108], v[105:106]
	v_div_fmas_f64 v[101:102], v[101:102], v[103:104], v[107:108]
	v_div_fixup_f64 v[103:104], v[101:102], v[97:98], v[99:100]
	v_fma_f64 v[97:98], v[99:100], v[103:104], v[97:98]
	v_div_scale_f64 v[99:100], s[6:7], v[97:98], v[97:98], 1.0
	v_div_scale_f64 v[107:108], vcc, 1.0, v[97:98], 1.0
	v_rcp_f64_e32 v[101:102], v[99:100]
	v_fma_f64 v[105:106], -v[99:100], v[101:102], 1.0
	v_fma_f64 v[101:102], v[101:102], v[105:106], v[101:102]
	v_fma_f64 v[105:106], -v[99:100], v[101:102], 1.0
	v_fma_f64 v[101:102], v[101:102], v[105:106], v[101:102]
	v_mul_f64 v[105:106], v[107:108], v[101:102]
	v_fma_f64 v[99:100], -v[99:100], v[105:106], v[107:108]
	v_div_fmas_f64 v[99:100], v[99:100], v[101:102], v[105:106]
	v_div_fixup_f64 v[101:102], v[99:100], v[97:98], 1.0
	v_mul_f64 v[103:104], v[103:104], -v[101:102]
.LBB107_421:
	s_or_b64 exec, exec, s[2:3]
	ds_write2_b64 v127, v[101:102], v[103:104] offset1:1
.LBB107_422:
	s_or_b64 exec, exec, s[4:5]
	s_waitcnt lgkmcnt(0)
	s_barrier
	ds_read2_b64 v[97:100], v127 offset1:1
	v_cmp_lt_u32_e32 vcc, 46, v0
	s_waitcnt lgkmcnt(0)
	buffer_store_dword v97, off, s[20:23], 0 offset:1608 ; 4-byte Folded Spill
	s_nop 0
	buffer_store_dword v98, off, s[20:23], 0 offset:1612 ; 4-byte Folded Spill
	buffer_store_dword v99, off, s[20:23], 0 offset:1616 ; 4-byte Folded Spill
	buffer_store_dword v100, off, s[20:23], 0 offset:1620 ; 4-byte Folded Spill
	s_and_saveexec_b64 s[2:3], vcc
	s_cbranch_execz .LBB107_424
; %bb.423:
	buffer_load_dword v99, off, s[20:23], 0 offset:1608 ; 4-byte Folded Reload
	buffer_load_dword v100, off, s[20:23], 0 offset:1612 ; 4-byte Folded Reload
	;; [unrolled: 1-line block ×4, first 2 shown]
	s_waitcnt vmcnt(2)
	v_mul_f64 v[97:98], v[99:100], v[27:28]
	s_waitcnt vmcnt(0)
	v_mul_f64 v[27:28], v[101:102], v[27:28]
	v_fma_f64 v[97:98], v[101:102], v[25:26], v[97:98]
	v_fma_f64 v[25:26], v[99:100], v[25:26], -v[27:28]
	ds_read2_b64 v[99:102], v125 offset0:94 offset1:95
	s_waitcnt lgkmcnt(0)
	v_mul_f64 v[27:28], v[101:102], v[97:98]
	v_fma_f64 v[27:28], v[99:100], v[25:26], -v[27:28]
	v_mul_f64 v[99:100], v[99:100], v[97:98]
	v_add_f64 v[21:22], v[21:22], -v[27:28]
	v_fma_f64 v[99:100], v[101:102], v[25:26], v[99:100]
	v_add_f64 v[23:24], v[23:24], -v[99:100]
	ds_read2_b64 v[99:102], v125 offset0:96 offset1:97
	s_waitcnt lgkmcnt(0)
	v_mul_f64 v[27:28], v[101:102], v[97:98]
	v_fma_f64 v[27:28], v[99:100], v[25:26], -v[27:28]
	v_mul_f64 v[99:100], v[99:100], v[97:98]
	v_add_f64 v[17:18], v[17:18], -v[27:28]
	v_fma_f64 v[99:100], v[101:102], v[25:26], v[99:100]
	v_add_f64 v[19:20], v[19:20], -v[99:100]
	;; [unrolled: 8-line block ×6, first 2 shown]
	ds_read2_b64 v[99:102], v125 offset0:106 offset1:107
	s_waitcnt lgkmcnt(0)
	v_mul_f64 v[27:28], v[101:102], v[97:98]
	v_fma_f64 v[27:28], v[99:100], v[25:26], -v[27:28]
	v_mul_f64 v[99:100], v[99:100], v[97:98]
	v_add_f64 v[121:122], v[121:122], -v[27:28]
	v_fma_f64 v[99:100], v[101:102], v[25:26], v[99:100]
	v_mov_b32_e32 v27, v97
	v_mov_b32_e32 v28, v98
	v_add_f64 v[123:124], v[123:124], -v[99:100]
.LBB107_424:
	s_or_b64 exec, exec, s[2:3]
	v_cmp_eq_u32_e32 vcc, 47, v0
	s_waitcnt vmcnt(0)
	s_barrier
	s_and_saveexec_b64 s[4:5], vcc
	s_cbranch_execz .LBB107_431
; %bb.425:
	ds_write2_b64 v127, v[21:22], v[23:24] offset1:1
	ds_write2_b64 v125, v[17:18], v[19:20] offset0:96 offset1:97
	ds_write2_b64 v125, v[13:14], v[15:16] offset0:98 offset1:99
	;; [unrolled: 1-line block ×6, first 2 shown]
	ds_read2_b64 v[97:100], v127 offset1:1
	s_waitcnt lgkmcnt(0)
	v_cmp_neq_f64_e32 vcc, 0, v[97:98]
	v_cmp_neq_f64_e64 s[2:3], 0, v[99:100]
	s_or_b64 s[2:3], vcc, s[2:3]
	s_and_b64 exec, exec, s[2:3]
	s_cbranch_execz .LBB107_431
; %bb.426:
	v_cmp_ngt_f64_e64 s[2:3], |v[97:98]|, |v[99:100]|
                                        ; implicit-def: $vgpr101_vgpr102
	s_and_saveexec_b64 s[6:7], s[2:3]
	s_xor_b64 s[2:3], exec, s[6:7]
                                        ; implicit-def: $vgpr103_vgpr104
	s_cbranch_execz .LBB107_428
; %bb.427:
	v_div_scale_f64 v[101:102], s[6:7], v[99:100], v[99:100], v[97:98]
	v_rcp_f64_e32 v[103:104], v[101:102]
	v_fma_f64 v[105:106], -v[101:102], v[103:104], 1.0
	v_fma_f64 v[103:104], v[103:104], v[105:106], v[103:104]
	v_div_scale_f64 v[105:106], vcc, v[97:98], v[99:100], v[97:98]
	v_fma_f64 v[107:108], -v[101:102], v[103:104], 1.0
	v_fma_f64 v[103:104], v[103:104], v[107:108], v[103:104]
	v_mul_f64 v[107:108], v[105:106], v[103:104]
	v_fma_f64 v[101:102], -v[101:102], v[107:108], v[105:106]
	v_div_fmas_f64 v[101:102], v[101:102], v[103:104], v[107:108]
	v_div_fixup_f64 v[101:102], v[101:102], v[99:100], v[97:98]
	v_fma_f64 v[97:98], v[97:98], v[101:102], v[99:100]
	v_div_scale_f64 v[99:100], s[6:7], v[97:98], v[97:98], 1.0
	v_div_scale_f64 v[107:108], vcc, 1.0, v[97:98], 1.0
	v_rcp_f64_e32 v[103:104], v[99:100]
	v_fma_f64 v[105:106], -v[99:100], v[103:104], 1.0
	v_fma_f64 v[103:104], v[103:104], v[105:106], v[103:104]
	v_fma_f64 v[105:106], -v[99:100], v[103:104], 1.0
	v_fma_f64 v[103:104], v[103:104], v[105:106], v[103:104]
	v_mul_f64 v[105:106], v[107:108], v[103:104]
	v_fma_f64 v[99:100], -v[99:100], v[105:106], v[107:108]
	v_div_fmas_f64 v[99:100], v[99:100], v[103:104], v[105:106]
	v_div_fixup_f64 v[103:104], v[99:100], v[97:98], 1.0
                                        ; implicit-def: $vgpr97_vgpr98
	v_mul_f64 v[101:102], v[101:102], v[103:104]
	v_xor_b32_e32 v104, 0x80000000, v104
.LBB107_428:
	s_andn2_saveexec_b64 s[2:3], s[2:3]
	s_cbranch_execz .LBB107_430
; %bb.429:
	v_div_scale_f64 v[101:102], s[6:7], v[97:98], v[97:98], v[99:100]
	v_rcp_f64_e32 v[103:104], v[101:102]
	v_fma_f64 v[105:106], -v[101:102], v[103:104], 1.0
	v_fma_f64 v[103:104], v[103:104], v[105:106], v[103:104]
	v_div_scale_f64 v[105:106], vcc, v[99:100], v[97:98], v[99:100]
	v_fma_f64 v[107:108], -v[101:102], v[103:104], 1.0
	v_fma_f64 v[103:104], v[103:104], v[107:108], v[103:104]
	v_mul_f64 v[107:108], v[105:106], v[103:104]
	v_fma_f64 v[101:102], -v[101:102], v[107:108], v[105:106]
	v_div_fmas_f64 v[101:102], v[101:102], v[103:104], v[107:108]
	v_div_fixup_f64 v[103:104], v[101:102], v[97:98], v[99:100]
	v_fma_f64 v[97:98], v[99:100], v[103:104], v[97:98]
	v_div_scale_f64 v[99:100], s[6:7], v[97:98], v[97:98], 1.0
	v_div_scale_f64 v[107:108], vcc, 1.0, v[97:98], 1.0
	v_rcp_f64_e32 v[101:102], v[99:100]
	v_fma_f64 v[105:106], -v[99:100], v[101:102], 1.0
	v_fma_f64 v[101:102], v[101:102], v[105:106], v[101:102]
	v_fma_f64 v[105:106], -v[99:100], v[101:102], 1.0
	v_fma_f64 v[101:102], v[101:102], v[105:106], v[101:102]
	v_mul_f64 v[105:106], v[107:108], v[101:102]
	v_fma_f64 v[99:100], -v[99:100], v[105:106], v[107:108]
	v_div_fmas_f64 v[99:100], v[99:100], v[101:102], v[105:106]
	v_div_fixup_f64 v[101:102], v[99:100], v[97:98], 1.0
	v_mul_f64 v[103:104], v[103:104], -v[101:102]
.LBB107_430:
	s_or_b64 exec, exec, s[2:3]
	ds_write2_b64 v127, v[101:102], v[103:104] offset1:1
.LBB107_431:
	s_or_b64 exec, exec, s[4:5]
	s_waitcnt lgkmcnt(0)
	s_barrier
	ds_read2_b64 v[97:100], v127 offset1:1
	v_cmp_lt_u32_e32 vcc, 47, v0
	s_waitcnt lgkmcnt(0)
	buffer_store_dword v97, off, s[20:23], 0 offset:1624 ; 4-byte Folded Spill
	s_nop 0
	buffer_store_dword v98, off, s[20:23], 0 offset:1628 ; 4-byte Folded Spill
	buffer_store_dword v99, off, s[20:23], 0 offset:1632 ; 4-byte Folded Spill
	;; [unrolled: 1-line block ×3, first 2 shown]
	s_and_saveexec_b64 s[2:3], vcc
	s_cbranch_execz .LBB107_433
; %bb.432:
	buffer_load_dword v99, off, s[20:23], 0 offset:1624 ; 4-byte Folded Reload
	buffer_load_dword v100, off, s[20:23], 0 offset:1628 ; 4-byte Folded Reload
	;; [unrolled: 1-line block ×4, first 2 shown]
	s_waitcnt vmcnt(2)
	v_mul_f64 v[97:98], v[99:100], v[23:24]
	s_waitcnt vmcnt(0)
	v_mul_f64 v[23:24], v[101:102], v[23:24]
	v_fma_f64 v[97:98], v[101:102], v[21:22], v[97:98]
	v_fma_f64 v[21:22], v[99:100], v[21:22], -v[23:24]
	ds_read2_b64 v[99:102], v125 offset0:96 offset1:97
	s_waitcnt lgkmcnt(0)
	v_mul_f64 v[23:24], v[101:102], v[97:98]
	v_fma_f64 v[23:24], v[99:100], v[21:22], -v[23:24]
	v_mul_f64 v[99:100], v[99:100], v[97:98]
	v_add_f64 v[17:18], v[17:18], -v[23:24]
	v_fma_f64 v[99:100], v[101:102], v[21:22], v[99:100]
	v_add_f64 v[19:20], v[19:20], -v[99:100]
	ds_read2_b64 v[99:102], v125 offset0:98 offset1:99
	s_waitcnt lgkmcnt(0)
	v_mul_f64 v[23:24], v[101:102], v[97:98]
	v_fma_f64 v[23:24], v[99:100], v[21:22], -v[23:24]
	v_mul_f64 v[99:100], v[99:100], v[97:98]
	v_add_f64 v[13:14], v[13:14], -v[23:24]
	v_fma_f64 v[99:100], v[101:102], v[21:22], v[99:100]
	v_add_f64 v[15:16], v[15:16], -v[99:100]
	;; [unrolled: 8-line block ×5, first 2 shown]
	ds_read2_b64 v[99:102], v125 offset0:106 offset1:107
	s_waitcnt lgkmcnt(0)
	v_mul_f64 v[23:24], v[101:102], v[97:98]
	v_fma_f64 v[23:24], v[99:100], v[21:22], -v[23:24]
	v_mul_f64 v[99:100], v[99:100], v[97:98]
	v_add_f64 v[121:122], v[121:122], -v[23:24]
	v_fma_f64 v[99:100], v[101:102], v[21:22], v[99:100]
	v_mov_b32_e32 v23, v97
	v_mov_b32_e32 v24, v98
	v_add_f64 v[123:124], v[123:124], -v[99:100]
.LBB107_433:
	s_or_b64 exec, exec, s[2:3]
	v_cmp_eq_u32_e32 vcc, 48, v0
	s_waitcnt vmcnt(0)
	s_barrier
	s_and_saveexec_b64 s[4:5], vcc
	s_cbranch_execz .LBB107_440
; %bb.434:
	ds_write2_b64 v127, v[17:18], v[19:20] offset1:1
	ds_write2_b64 v125, v[13:14], v[15:16] offset0:98 offset1:99
	ds_write2_b64 v125, v[9:10], v[11:12] offset0:100 offset1:101
	ds_write2_b64 v125, v[5:6], v[7:8] offset0:102 offset1:103
	ds_write2_b64 v125, v[1:2], v[3:4] offset0:104 offset1:105
	ds_write2_b64 v125, v[121:122], v[123:124] offset0:106 offset1:107
	ds_read2_b64 v[97:100], v127 offset1:1
	s_waitcnt lgkmcnt(0)
	v_cmp_neq_f64_e32 vcc, 0, v[97:98]
	v_cmp_neq_f64_e64 s[2:3], 0, v[99:100]
	s_or_b64 s[2:3], vcc, s[2:3]
	s_and_b64 exec, exec, s[2:3]
	s_cbranch_execz .LBB107_440
; %bb.435:
	v_cmp_ngt_f64_e64 s[2:3], |v[97:98]|, |v[99:100]|
                                        ; implicit-def: $vgpr101_vgpr102
	s_and_saveexec_b64 s[6:7], s[2:3]
	s_xor_b64 s[2:3], exec, s[6:7]
                                        ; implicit-def: $vgpr103_vgpr104
	s_cbranch_execz .LBB107_437
; %bb.436:
	v_div_scale_f64 v[101:102], s[6:7], v[99:100], v[99:100], v[97:98]
	v_rcp_f64_e32 v[103:104], v[101:102]
	v_fma_f64 v[105:106], -v[101:102], v[103:104], 1.0
	v_fma_f64 v[103:104], v[103:104], v[105:106], v[103:104]
	v_div_scale_f64 v[105:106], vcc, v[97:98], v[99:100], v[97:98]
	v_fma_f64 v[107:108], -v[101:102], v[103:104], 1.0
	v_fma_f64 v[103:104], v[103:104], v[107:108], v[103:104]
	v_mul_f64 v[107:108], v[105:106], v[103:104]
	v_fma_f64 v[101:102], -v[101:102], v[107:108], v[105:106]
	v_div_fmas_f64 v[101:102], v[101:102], v[103:104], v[107:108]
	v_div_fixup_f64 v[101:102], v[101:102], v[99:100], v[97:98]
	v_fma_f64 v[97:98], v[97:98], v[101:102], v[99:100]
	v_div_scale_f64 v[99:100], s[6:7], v[97:98], v[97:98], 1.0
	v_div_scale_f64 v[107:108], vcc, 1.0, v[97:98], 1.0
	v_rcp_f64_e32 v[103:104], v[99:100]
	v_fma_f64 v[105:106], -v[99:100], v[103:104], 1.0
	v_fma_f64 v[103:104], v[103:104], v[105:106], v[103:104]
	v_fma_f64 v[105:106], -v[99:100], v[103:104], 1.0
	v_fma_f64 v[103:104], v[103:104], v[105:106], v[103:104]
	v_mul_f64 v[105:106], v[107:108], v[103:104]
	v_fma_f64 v[99:100], -v[99:100], v[105:106], v[107:108]
	v_div_fmas_f64 v[99:100], v[99:100], v[103:104], v[105:106]
	v_div_fixup_f64 v[103:104], v[99:100], v[97:98], 1.0
                                        ; implicit-def: $vgpr97_vgpr98
	v_mul_f64 v[101:102], v[101:102], v[103:104]
	v_xor_b32_e32 v104, 0x80000000, v104
.LBB107_437:
	s_andn2_saveexec_b64 s[2:3], s[2:3]
	s_cbranch_execz .LBB107_439
; %bb.438:
	v_div_scale_f64 v[101:102], s[6:7], v[97:98], v[97:98], v[99:100]
	v_rcp_f64_e32 v[103:104], v[101:102]
	v_fma_f64 v[105:106], -v[101:102], v[103:104], 1.0
	v_fma_f64 v[103:104], v[103:104], v[105:106], v[103:104]
	v_div_scale_f64 v[105:106], vcc, v[99:100], v[97:98], v[99:100]
	v_fma_f64 v[107:108], -v[101:102], v[103:104], 1.0
	v_fma_f64 v[103:104], v[103:104], v[107:108], v[103:104]
	v_mul_f64 v[107:108], v[105:106], v[103:104]
	v_fma_f64 v[101:102], -v[101:102], v[107:108], v[105:106]
	v_div_fmas_f64 v[101:102], v[101:102], v[103:104], v[107:108]
	v_div_fixup_f64 v[103:104], v[101:102], v[97:98], v[99:100]
	v_fma_f64 v[97:98], v[99:100], v[103:104], v[97:98]
	v_div_scale_f64 v[99:100], s[6:7], v[97:98], v[97:98], 1.0
	v_div_scale_f64 v[107:108], vcc, 1.0, v[97:98], 1.0
	v_rcp_f64_e32 v[101:102], v[99:100]
	v_fma_f64 v[105:106], -v[99:100], v[101:102], 1.0
	v_fma_f64 v[101:102], v[101:102], v[105:106], v[101:102]
	v_fma_f64 v[105:106], -v[99:100], v[101:102], 1.0
	v_fma_f64 v[101:102], v[101:102], v[105:106], v[101:102]
	v_mul_f64 v[105:106], v[107:108], v[101:102]
	v_fma_f64 v[99:100], -v[99:100], v[105:106], v[107:108]
	v_div_fmas_f64 v[99:100], v[99:100], v[101:102], v[105:106]
	v_div_fixup_f64 v[101:102], v[99:100], v[97:98], 1.0
	v_mul_f64 v[103:104], v[103:104], -v[101:102]
.LBB107_439:
	s_or_b64 exec, exec, s[2:3]
	ds_write2_b64 v127, v[101:102], v[103:104] offset1:1
.LBB107_440:
	s_or_b64 exec, exec, s[4:5]
	s_waitcnt lgkmcnt(0)
	s_barrier
	ds_read2_b64 v[97:100], v127 offset1:1
	v_cmp_lt_u32_e32 vcc, 48, v0
	s_waitcnt lgkmcnt(0)
	buffer_store_dword v97, off, s[20:23], 0 offset:1640 ; 4-byte Folded Spill
	s_nop 0
	buffer_store_dword v98, off, s[20:23], 0 offset:1644 ; 4-byte Folded Spill
	buffer_store_dword v99, off, s[20:23], 0 offset:1648 ; 4-byte Folded Spill
	;; [unrolled: 1-line block ×3, first 2 shown]
	s_and_saveexec_b64 s[2:3], vcc
	s_cbranch_execz .LBB107_442
; %bb.441:
	buffer_load_dword v103, off, s[20:23], 0 offset:1640 ; 4-byte Folded Reload
	buffer_load_dword v104, off, s[20:23], 0 offset:1644 ; 4-byte Folded Reload
	;; [unrolled: 1-line block ×4, first 2 shown]
	s_waitcnt vmcnt(2)
	v_mul_f64 v[97:98], v[103:104], v[19:20]
	s_waitcnt vmcnt(0)
	v_mul_f64 v[19:20], v[105:106], v[19:20]
	v_fma_f64 v[101:102], v[105:106], v[17:18], v[97:98]
	ds_read2_b64 v[97:100], v125 offset0:98 offset1:99
	v_fma_f64 v[17:18], v[103:104], v[17:18], -v[19:20]
	s_waitcnt lgkmcnt(0)
	v_mul_f64 v[19:20], v[99:100], v[101:102]
	v_fma_f64 v[19:20], v[97:98], v[17:18], -v[19:20]
	v_mul_f64 v[97:98], v[97:98], v[101:102]
	v_add_f64 v[13:14], v[13:14], -v[19:20]
	v_fma_f64 v[97:98], v[99:100], v[17:18], v[97:98]
	v_add_f64 v[15:16], v[15:16], -v[97:98]
	ds_read2_b64 v[97:100], v125 offset0:100 offset1:101
	s_waitcnt lgkmcnt(0)
	v_mul_f64 v[19:20], v[99:100], v[101:102]
	v_fma_f64 v[19:20], v[97:98], v[17:18], -v[19:20]
	v_mul_f64 v[97:98], v[97:98], v[101:102]
	v_add_f64 v[9:10], v[9:10], -v[19:20]
	v_fma_f64 v[97:98], v[99:100], v[17:18], v[97:98]
	v_add_f64 v[11:12], v[11:12], -v[97:98]
	ds_read2_b64 v[97:100], v125 offset0:102 offset1:103
	;; [unrolled: 8-line block ×4, first 2 shown]
	s_waitcnt lgkmcnt(0)
	v_mul_f64 v[19:20], v[99:100], v[101:102]
	v_fma_f64 v[19:20], v[97:98], v[17:18], -v[19:20]
	v_mul_f64 v[97:98], v[97:98], v[101:102]
	v_add_f64 v[121:122], v[121:122], -v[19:20]
	v_fma_f64 v[97:98], v[99:100], v[17:18], v[97:98]
	v_mov_b32_e32 v19, v101
	v_mov_b32_e32 v20, v102
	v_add_f64 v[123:124], v[123:124], -v[97:98]
.LBB107_442:
	s_or_b64 exec, exec, s[2:3]
	v_cmp_eq_u32_e32 vcc, 49, v0
	s_waitcnt vmcnt(0)
	s_barrier
	s_and_saveexec_b64 s[4:5], vcc
	s_cbranch_execz .LBB107_449
; %bb.443:
	ds_write2_b64 v127, v[13:14], v[15:16] offset1:1
	ds_write2_b64 v125, v[9:10], v[11:12] offset0:100 offset1:101
	ds_write2_b64 v125, v[5:6], v[7:8] offset0:102 offset1:103
	;; [unrolled: 1-line block ×4, first 2 shown]
	ds_read2_b64 v[97:100], v127 offset1:1
	s_waitcnt lgkmcnt(0)
	v_cmp_neq_f64_e32 vcc, 0, v[97:98]
	v_cmp_neq_f64_e64 s[2:3], 0, v[99:100]
	s_or_b64 s[2:3], vcc, s[2:3]
	s_and_b64 exec, exec, s[2:3]
	s_cbranch_execz .LBB107_449
; %bb.444:
	v_cmp_ngt_f64_e64 s[2:3], |v[97:98]|, |v[99:100]|
                                        ; implicit-def: $vgpr101_vgpr102
	s_and_saveexec_b64 s[6:7], s[2:3]
	s_xor_b64 s[2:3], exec, s[6:7]
                                        ; implicit-def: $vgpr103_vgpr104
	s_cbranch_execz .LBB107_446
; %bb.445:
	v_div_scale_f64 v[101:102], s[6:7], v[99:100], v[99:100], v[97:98]
	v_rcp_f64_e32 v[103:104], v[101:102]
	v_fma_f64 v[105:106], -v[101:102], v[103:104], 1.0
	v_fma_f64 v[103:104], v[103:104], v[105:106], v[103:104]
	v_div_scale_f64 v[105:106], vcc, v[97:98], v[99:100], v[97:98]
	v_fma_f64 v[107:108], -v[101:102], v[103:104], 1.0
	v_fma_f64 v[103:104], v[103:104], v[107:108], v[103:104]
	v_mul_f64 v[107:108], v[105:106], v[103:104]
	v_fma_f64 v[101:102], -v[101:102], v[107:108], v[105:106]
	v_div_fmas_f64 v[101:102], v[101:102], v[103:104], v[107:108]
	v_div_fixup_f64 v[101:102], v[101:102], v[99:100], v[97:98]
	v_fma_f64 v[97:98], v[97:98], v[101:102], v[99:100]
	v_div_scale_f64 v[99:100], s[6:7], v[97:98], v[97:98], 1.0
	v_div_scale_f64 v[107:108], vcc, 1.0, v[97:98], 1.0
	v_rcp_f64_e32 v[103:104], v[99:100]
	v_fma_f64 v[105:106], -v[99:100], v[103:104], 1.0
	v_fma_f64 v[103:104], v[103:104], v[105:106], v[103:104]
	v_fma_f64 v[105:106], -v[99:100], v[103:104], 1.0
	v_fma_f64 v[103:104], v[103:104], v[105:106], v[103:104]
	v_mul_f64 v[105:106], v[107:108], v[103:104]
	v_fma_f64 v[99:100], -v[99:100], v[105:106], v[107:108]
	v_div_fmas_f64 v[99:100], v[99:100], v[103:104], v[105:106]
	v_div_fixup_f64 v[103:104], v[99:100], v[97:98], 1.0
                                        ; implicit-def: $vgpr97_vgpr98
	v_mul_f64 v[101:102], v[101:102], v[103:104]
	v_xor_b32_e32 v104, 0x80000000, v104
.LBB107_446:
	s_andn2_saveexec_b64 s[2:3], s[2:3]
	s_cbranch_execz .LBB107_448
; %bb.447:
	v_div_scale_f64 v[101:102], s[6:7], v[97:98], v[97:98], v[99:100]
	v_rcp_f64_e32 v[103:104], v[101:102]
	v_fma_f64 v[105:106], -v[101:102], v[103:104], 1.0
	v_fma_f64 v[103:104], v[103:104], v[105:106], v[103:104]
	v_div_scale_f64 v[105:106], vcc, v[99:100], v[97:98], v[99:100]
	v_fma_f64 v[107:108], -v[101:102], v[103:104], 1.0
	v_fma_f64 v[103:104], v[103:104], v[107:108], v[103:104]
	v_mul_f64 v[107:108], v[105:106], v[103:104]
	v_fma_f64 v[101:102], -v[101:102], v[107:108], v[105:106]
	v_div_fmas_f64 v[101:102], v[101:102], v[103:104], v[107:108]
	v_div_fixup_f64 v[103:104], v[101:102], v[97:98], v[99:100]
	v_fma_f64 v[97:98], v[99:100], v[103:104], v[97:98]
	v_div_scale_f64 v[99:100], s[6:7], v[97:98], v[97:98], 1.0
	v_div_scale_f64 v[107:108], vcc, 1.0, v[97:98], 1.0
	v_rcp_f64_e32 v[101:102], v[99:100]
	v_fma_f64 v[105:106], -v[99:100], v[101:102], 1.0
	v_fma_f64 v[101:102], v[101:102], v[105:106], v[101:102]
	v_fma_f64 v[105:106], -v[99:100], v[101:102], 1.0
	v_fma_f64 v[101:102], v[101:102], v[105:106], v[101:102]
	v_mul_f64 v[105:106], v[107:108], v[101:102]
	v_fma_f64 v[99:100], -v[99:100], v[105:106], v[107:108]
	v_div_fmas_f64 v[99:100], v[99:100], v[101:102], v[105:106]
	v_div_fixup_f64 v[101:102], v[99:100], v[97:98], 1.0
	v_mul_f64 v[103:104], v[103:104], -v[101:102]
.LBB107_448:
	s_or_b64 exec, exec, s[2:3]
	ds_write2_b64 v127, v[101:102], v[103:104] offset1:1
.LBB107_449:
	s_or_b64 exec, exec, s[4:5]
	s_waitcnt lgkmcnt(0)
	s_barrier
	ds_read2_b64 v[97:100], v127 offset1:1
	v_cmp_lt_u32_e32 vcc, 49, v0
	s_waitcnt lgkmcnt(0)
	buffer_store_dword v97, off, s[20:23], 0 offset:1656 ; 4-byte Folded Spill
	s_nop 0
	buffer_store_dword v98, off, s[20:23], 0 offset:1660 ; 4-byte Folded Spill
	buffer_store_dword v99, off, s[20:23], 0 offset:1664 ; 4-byte Folded Spill
	buffer_store_dword v100, off, s[20:23], 0 offset:1668 ; 4-byte Folded Spill
	s_and_saveexec_b64 s[2:3], vcc
	s_cbranch_execz .LBB107_451
; %bb.450:
	buffer_load_dword v103, off, s[20:23], 0 offset:1656 ; 4-byte Folded Reload
	buffer_load_dword v104, off, s[20:23], 0 offset:1660 ; 4-byte Folded Reload
	;; [unrolled: 1-line block ×4, first 2 shown]
	s_waitcnt vmcnt(2)
	v_mul_f64 v[97:98], v[103:104], v[15:16]
	s_waitcnt vmcnt(0)
	v_mul_f64 v[15:16], v[105:106], v[15:16]
	v_fma_f64 v[101:102], v[105:106], v[13:14], v[97:98]
	ds_read2_b64 v[97:100], v125 offset0:100 offset1:101
	v_fma_f64 v[13:14], v[103:104], v[13:14], -v[15:16]
	s_waitcnt lgkmcnt(0)
	v_mul_f64 v[15:16], v[99:100], v[101:102]
	v_fma_f64 v[15:16], v[97:98], v[13:14], -v[15:16]
	v_mul_f64 v[97:98], v[97:98], v[101:102]
	v_add_f64 v[9:10], v[9:10], -v[15:16]
	v_fma_f64 v[97:98], v[99:100], v[13:14], v[97:98]
	v_add_f64 v[11:12], v[11:12], -v[97:98]
	ds_read2_b64 v[97:100], v125 offset0:102 offset1:103
	s_waitcnt lgkmcnt(0)
	v_mul_f64 v[15:16], v[99:100], v[101:102]
	v_fma_f64 v[15:16], v[97:98], v[13:14], -v[15:16]
	v_mul_f64 v[97:98], v[97:98], v[101:102]
	v_add_f64 v[5:6], v[5:6], -v[15:16]
	v_fma_f64 v[97:98], v[99:100], v[13:14], v[97:98]
	v_add_f64 v[7:8], v[7:8], -v[97:98]
	ds_read2_b64 v[97:100], v125 offset0:104 offset1:105
	;; [unrolled: 8-line block ×3, first 2 shown]
	s_waitcnt lgkmcnt(0)
	v_mul_f64 v[15:16], v[99:100], v[101:102]
	v_fma_f64 v[15:16], v[97:98], v[13:14], -v[15:16]
	v_mul_f64 v[97:98], v[97:98], v[101:102]
	v_add_f64 v[121:122], v[121:122], -v[15:16]
	v_fma_f64 v[97:98], v[99:100], v[13:14], v[97:98]
	v_mov_b32_e32 v15, v101
	v_mov_b32_e32 v16, v102
	v_add_f64 v[123:124], v[123:124], -v[97:98]
.LBB107_451:
	s_or_b64 exec, exec, s[2:3]
	v_cmp_eq_u32_e32 vcc, 50, v0
	s_waitcnt vmcnt(0)
	s_barrier
	s_and_saveexec_b64 s[4:5], vcc
	s_cbranch_execz .LBB107_458
; %bb.452:
	ds_write2_b64 v127, v[9:10], v[11:12] offset1:1
	ds_write2_b64 v125, v[5:6], v[7:8] offset0:102 offset1:103
	ds_write2_b64 v125, v[1:2], v[3:4] offset0:104 offset1:105
	;; [unrolled: 1-line block ×3, first 2 shown]
	ds_read2_b64 v[97:100], v127 offset1:1
	s_waitcnt lgkmcnt(0)
	v_cmp_neq_f64_e32 vcc, 0, v[97:98]
	v_cmp_neq_f64_e64 s[2:3], 0, v[99:100]
	s_or_b64 s[2:3], vcc, s[2:3]
	s_and_b64 exec, exec, s[2:3]
	s_cbranch_execz .LBB107_458
; %bb.453:
	v_cmp_ngt_f64_e64 s[2:3], |v[97:98]|, |v[99:100]|
                                        ; implicit-def: $vgpr101_vgpr102
	s_and_saveexec_b64 s[6:7], s[2:3]
	s_xor_b64 s[2:3], exec, s[6:7]
                                        ; implicit-def: $vgpr103_vgpr104
	s_cbranch_execz .LBB107_455
; %bb.454:
	v_div_scale_f64 v[101:102], s[6:7], v[99:100], v[99:100], v[97:98]
	v_rcp_f64_e32 v[103:104], v[101:102]
	v_fma_f64 v[105:106], -v[101:102], v[103:104], 1.0
	v_fma_f64 v[103:104], v[103:104], v[105:106], v[103:104]
	v_div_scale_f64 v[105:106], vcc, v[97:98], v[99:100], v[97:98]
	v_fma_f64 v[107:108], -v[101:102], v[103:104], 1.0
	v_fma_f64 v[103:104], v[103:104], v[107:108], v[103:104]
	v_mul_f64 v[107:108], v[105:106], v[103:104]
	v_fma_f64 v[101:102], -v[101:102], v[107:108], v[105:106]
	v_div_fmas_f64 v[101:102], v[101:102], v[103:104], v[107:108]
	v_div_fixup_f64 v[101:102], v[101:102], v[99:100], v[97:98]
	v_fma_f64 v[97:98], v[97:98], v[101:102], v[99:100]
	v_div_scale_f64 v[99:100], s[6:7], v[97:98], v[97:98], 1.0
	v_div_scale_f64 v[107:108], vcc, 1.0, v[97:98], 1.0
	v_rcp_f64_e32 v[103:104], v[99:100]
	v_fma_f64 v[105:106], -v[99:100], v[103:104], 1.0
	v_fma_f64 v[103:104], v[103:104], v[105:106], v[103:104]
	v_fma_f64 v[105:106], -v[99:100], v[103:104], 1.0
	v_fma_f64 v[103:104], v[103:104], v[105:106], v[103:104]
	v_mul_f64 v[105:106], v[107:108], v[103:104]
	v_fma_f64 v[99:100], -v[99:100], v[105:106], v[107:108]
	v_div_fmas_f64 v[99:100], v[99:100], v[103:104], v[105:106]
	v_div_fixup_f64 v[103:104], v[99:100], v[97:98], 1.0
                                        ; implicit-def: $vgpr97_vgpr98
	v_mul_f64 v[101:102], v[101:102], v[103:104]
	v_xor_b32_e32 v104, 0x80000000, v104
.LBB107_455:
	s_andn2_saveexec_b64 s[2:3], s[2:3]
	s_cbranch_execz .LBB107_457
; %bb.456:
	v_div_scale_f64 v[101:102], s[6:7], v[97:98], v[97:98], v[99:100]
	v_rcp_f64_e32 v[103:104], v[101:102]
	v_fma_f64 v[105:106], -v[101:102], v[103:104], 1.0
	v_fma_f64 v[103:104], v[103:104], v[105:106], v[103:104]
	v_div_scale_f64 v[105:106], vcc, v[99:100], v[97:98], v[99:100]
	v_fma_f64 v[107:108], -v[101:102], v[103:104], 1.0
	v_fma_f64 v[103:104], v[103:104], v[107:108], v[103:104]
	v_mul_f64 v[107:108], v[105:106], v[103:104]
	v_fma_f64 v[101:102], -v[101:102], v[107:108], v[105:106]
	v_div_fmas_f64 v[101:102], v[101:102], v[103:104], v[107:108]
	v_div_fixup_f64 v[103:104], v[101:102], v[97:98], v[99:100]
	v_fma_f64 v[97:98], v[99:100], v[103:104], v[97:98]
	v_div_scale_f64 v[99:100], s[6:7], v[97:98], v[97:98], 1.0
	v_div_scale_f64 v[107:108], vcc, 1.0, v[97:98], 1.0
	v_rcp_f64_e32 v[101:102], v[99:100]
	v_fma_f64 v[105:106], -v[99:100], v[101:102], 1.0
	v_fma_f64 v[101:102], v[101:102], v[105:106], v[101:102]
	v_fma_f64 v[105:106], -v[99:100], v[101:102], 1.0
	v_fma_f64 v[101:102], v[101:102], v[105:106], v[101:102]
	v_mul_f64 v[105:106], v[107:108], v[101:102]
	v_fma_f64 v[99:100], -v[99:100], v[105:106], v[107:108]
	v_div_fmas_f64 v[99:100], v[99:100], v[101:102], v[105:106]
	v_div_fixup_f64 v[101:102], v[99:100], v[97:98], 1.0
	v_mul_f64 v[103:104], v[103:104], -v[101:102]
.LBB107_457:
	s_or_b64 exec, exec, s[2:3]
	ds_write2_b64 v127, v[101:102], v[103:104] offset1:1
.LBB107_458:
	s_or_b64 exec, exec, s[4:5]
	s_waitcnt lgkmcnt(0)
	s_barrier
	ds_read2_b64 v[97:100], v127 offset1:1
	v_cmp_lt_u32_e32 vcc, 50, v0
	s_waitcnt lgkmcnt(0)
	buffer_store_dword v97, off, s[20:23], 0 offset:1672 ; 4-byte Folded Spill
	s_nop 0
	buffer_store_dword v98, off, s[20:23], 0 offset:1676 ; 4-byte Folded Spill
	buffer_store_dword v99, off, s[20:23], 0 offset:1680 ; 4-byte Folded Spill
	;; [unrolled: 1-line block ×3, first 2 shown]
	s_and_saveexec_b64 s[2:3], vcc
	s_cbranch_execz .LBB107_460
; %bb.459:
	buffer_load_dword v103, off, s[20:23], 0 offset:1672 ; 4-byte Folded Reload
	buffer_load_dword v104, off, s[20:23], 0 offset:1676 ; 4-byte Folded Reload
	;; [unrolled: 1-line block ×4, first 2 shown]
	s_waitcnt vmcnt(2)
	v_mul_f64 v[97:98], v[103:104], v[11:12]
	s_waitcnt vmcnt(0)
	v_mul_f64 v[11:12], v[105:106], v[11:12]
	v_fma_f64 v[101:102], v[105:106], v[9:10], v[97:98]
	ds_read2_b64 v[97:100], v125 offset0:102 offset1:103
	v_fma_f64 v[9:10], v[103:104], v[9:10], -v[11:12]
	s_waitcnt lgkmcnt(0)
	v_mul_f64 v[11:12], v[99:100], v[101:102]
	v_fma_f64 v[11:12], v[97:98], v[9:10], -v[11:12]
	v_mul_f64 v[97:98], v[97:98], v[101:102]
	v_add_f64 v[5:6], v[5:6], -v[11:12]
	v_fma_f64 v[97:98], v[99:100], v[9:10], v[97:98]
	v_add_f64 v[7:8], v[7:8], -v[97:98]
	ds_read2_b64 v[97:100], v125 offset0:104 offset1:105
	s_waitcnt lgkmcnt(0)
	v_mul_f64 v[11:12], v[99:100], v[101:102]
	v_fma_f64 v[11:12], v[97:98], v[9:10], -v[11:12]
	v_mul_f64 v[97:98], v[97:98], v[101:102]
	v_add_f64 v[1:2], v[1:2], -v[11:12]
	v_fma_f64 v[97:98], v[99:100], v[9:10], v[97:98]
	v_add_f64 v[3:4], v[3:4], -v[97:98]
	ds_read2_b64 v[97:100], v125 offset0:106 offset1:107
	s_waitcnt lgkmcnt(0)
	v_mul_f64 v[11:12], v[99:100], v[101:102]
	v_fma_f64 v[11:12], v[97:98], v[9:10], -v[11:12]
	v_mul_f64 v[97:98], v[97:98], v[101:102]
	v_add_f64 v[121:122], v[121:122], -v[11:12]
	v_fma_f64 v[97:98], v[99:100], v[9:10], v[97:98]
	v_mov_b32_e32 v11, v101
	v_mov_b32_e32 v12, v102
	v_add_f64 v[123:124], v[123:124], -v[97:98]
.LBB107_460:
	s_or_b64 exec, exec, s[2:3]
	v_cmp_eq_u32_e32 vcc, 51, v0
	s_waitcnt vmcnt(0)
	s_barrier
	s_and_saveexec_b64 s[4:5], vcc
	s_cbranch_execz .LBB107_467
; %bb.461:
	ds_write2_b64 v127, v[5:6], v[7:8] offset1:1
	ds_write2_b64 v125, v[1:2], v[3:4] offset0:104 offset1:105
	ds_write2_b64 v125, v[121:122], v[123:124] offset0:106 offset1:107
	ds_read2_b64 v[97:100], v127 offset1:1
	s_waitcnt lgkmcnt(0)
	v_cmp_neq_f64_e32 vcc, 0, v[97:98]
	v_cmp_neq_f64_e64 s[2:3], 0, v[99:100]
	s_or_b64 s[2:3], vcc, s[2:3]
	s_and_b64 exec, exec, s[2:3]
	s_cbranch_execz .LBB107_467
; %bb.462:
	v_cmp_ngt_f64_e64 s[2:3], |v[97:98]|, |v[99:100]|
                                        ; implicit-def: $vgpr101_vgpr102
	s_and_saveexec_b64 s[6:7], s[2:3]
	s_xor_b64 s[2:3], exec, s[6:7]
                                        ; implicit-def: $vgpr103_vgpr104
	s_cbranch_execz .LBB107_464
; %bb.463:
	v_div_scale_f64 v[101:102], s[6:7], v[99:100], v[99:100], v[97:98]
	v_rcp_f64_e32 v[103:104], v[101:102]
	v_fma_f64 v[105:106], -v[101:102], v[103:104], 1.0
	v_fma_f64 v[103:104], v[103:104], v[105:106], v[103:104]
	v_div_scale_f64 v[105:106], vcc, v[97:98], v[99:100], v[97:98]
	v_fma_f64 v[107:108], -v[101:102], v[103:104], 1.0
	v_fma_f64 v[103:104], v[103:104], v[107:108], v[103:104]
	v_mul_f64 v[107:108], v[105:106], v[103:104]
	v_fma_f64 v[101:102], -v[101:102], v[107:108], v[105:106]
	v_div_fmas_f64 v[101:102], v[101:102], v[103:104], v[107:108]
	v_div_fixup_f64 v[101:102], v[101:102], v[99:100], v[97:98]
	v_fma_f64 v[97:98], v[97:98], v[101:102], v[99:100]
	v_div_scale_f64 v[99:100], s[6:7], v[97:98], v[97:98], 1.0
	v_div_scale_f64 v[107:108], vcc, 1.0, v[97:98], 1.0
	v_rcp_f64_e32 v[103:104], v[99:100]
	v_fma_f64 v[105:106], -v[99:100], v[103:104], 1.0
	v_fma_f64 v[103:104], v[103:104], v[105:106], v[103:104]
	v_fma_f64 v[105:106], -v[99:100], v[103:104], 1.0
	v_fma_f64 v[103:104], v[103:104], v[105:106], v[103:104]
	v_mul_f64 v[105:106], v[107:108], v[103:104]
	v_fma_f64 v[99:100], -v[99:100], v[105:106], v[107:108]
	v_div_fmas_f64 v[99:100], v[99:100], v[103:104], v[105:106]
	v_div_fixup_f64 v[103:104], v[99:100], v[97:98], 1.0
                                        ; implicit-def: $vgpr97_vgpr98
	v_mul_f64 v[101:102], v[101:102], v[103:104]
	v_xor_b32_e32 v104, 0x80000000, v104
.LBB107_464:
	s_andn2_saveexec_b64 s[2:3], s[2:3]
	s_cbranch_execz .LBB107_466
; %bb.465:
	v_div_scale_f64 v[101:102], s[6:7], v[97:98], v[97:98], v[99:100]
	v_rcp_f64_e32 v[103:104], v[101:102]
	v_fma_f64 v[105:106], -v[101:102], v[103:104], 1.0
	v_fma_f64 v[103:104], v[103:104], v[105:106], v[103:104]
	v_div_scale_f64 v[105:106], vcc, v[99:100], v[97:98], v[99:100]
	v_fma_f64 v[107:108], -v[101:102], v[103:104], 1.0
	v_fma_f64 v[103:104], v[103:104], v[107:108], v[103:104]
	v_mul_f64 v[107:108], v[105:106], v[103:104]
	v_fma_f64 v[101:102], -v[101:102], v[107:108], v[105:106]
	v_div_fmas_f64 v[101:102], v[101:102], v[103:104], v[107:108]
	v_div_fixup_f64 v[103:104], v[101:102], v[97:98], v[99:100]
	v_fma_f64 v[97:98], v[99:100], v[103:104], v[97:98]
	v_div_scale_f64 v[99:100], s[6:7], v[97:98], v[97:98], 1.0
	v_div_scale_f64 v[107:108], vcc, 1.0, v[97:98], 1.0
	v_rcp_f64_e32 v[101:102], v[99:100]
	v_fma_f64 v[105:106], -v[99:100], v[101:102], 1.0
	v_fma_f64 v[101:102], v[101:102], v[105:106], v[101:102]
	v_fma_f64 v[105:106], -v[99:100], v[101:102], 1.0
	v_fma_f64 v[101:102], v[101:102], v[105:106], v[101:102]
	v_mul_f64 v[105:106], v[107:108], v[101:102]
	v_fma_f64 v[99:100], -v[99:100], v[105:106], v[107:108]
	v_div_fmas_f64 v[99:100], v[99:100], v[101:102], v[105:106]
	v_div_fixup_f64 v[101:102], v[99:100], v[97:98], 1.0
	v_mul_f64 v[103:104], v[103:104], -v[101:102]
.LBB107_466:
	s_or_b64 exec, exec, s[2:3]
	ds_write2_b64 v127, v[101:102], v[103:104] offset1:1
.LBB107_467:
	s_or_b64 exec, exec, s[4:5]
	s_waitcnt lgkmcnt(0)
	s_barrier
	ds_read2_b64 v[101:104], v127 offset1:1
	v_cmp_lt_u32_e32 vcc, 51, v0
	s_and_saveexec_b64 s[2:3], vcc
	s_cbranch_execz .LBB107_469
; %bb.468:
	s_waitcnt lgkmcnt(0)
	v_mul_f64 v[97:98], v[101:102], v[7:8]
	v_mul_f64 v[7:8], v[103:104], v[7:8]
	v_fma_f64 v[105:106], v[103:104], v[5:6], v[97:98]
	ds_read2_b64 v[97:100], v125 offset0:104 offset1:105
	v_fma_f64 v[5:6], v[101:102], v[5:6], -v[7:8]
	s_waitcnt lgkmcnt(0)
	v_mul_f64 v[7:8], v[99:100], v[105:106]
	v_fma_f64 v[7:8], v[97:98], v[5:6], -v[7:8]
	v_mul_f64 v[97:98], v[97:98], v[105:106]
	v_add_f64 v[1:2], v[1:2], -v[7:8]
	v_fma_f64 v[97:98], v[99:100], v[5:6], v[97:98]
	v_add_f64 v[3:4], v[3:4], -v[97:98]
	ds_read2_b64 v[97:100], v125 offset0:106 offset1:107
	s_waitcnt lgkmcnt(0)
	v_mul_f64 v[7:8], v[99:100], v[105:106]
	v_fma_f64 v[7:8], v[97:98], v[5:6], -v[7:8]
	v_mul_f64 v[97:98], v[97:98], v[105:106]
	v_add_f64 v[121:122], v[121:122], -v[7:8]
	v_fma_f64 v[97:98], v[99:100], v[5:6], v[97:98]
	v_mov_b32_e32 v7, v105
	v_mov_b32_e32 v8, v106
	v_add_f64 v[123:124], v[123:124], -v[97:98]
.LBB107_469:
	s_or_b64 exec, exec, s[2:3]
	s_waitcnt lgkmcnt(0)
	s_barrier
	v_cmp_eq_u32_e32 vcc, 52, v0
	s_mov_b64 s[4:5], exec
	s_and_b64 s[2:3], s[4:5], vcc
	buffer_store_dword v93, off, s[20:23], 0 offset:880 ; 4-byte Folded Spill
	s_nop 0
	buffer_store_dword v94, off, s[20:23], 0 offset:884 ; 4-byte Folded Spill
	buffer_store_dword v95, off, s[20:23], 0 offset:888 ; 4-byte Folded Spill
	;; [unrolled: 1-line block ×3, first 2 shown]
	s_mov_b64 exec, s[2:3]
	s_cbranch_execz .LBB107_476
; %bb.470:
	ds_write2_b64 v127, v[1:2], v[3:4] offset1:1
	ds_write2_b64 v125, v[121:122], v[123:124] offset0:106 offset1:107
	ds_read2_b64 v[97:100], v127 offset1:1
	s_waitcnt lgkmcnt(0)
	v_cmp_neq_f64_e32 vcc, 0, v[97:98]
	v_cmp_neq_f64_e64 s[2:3], 0, v[99:100]
	s_or_b64 s[2:3], vcc, s[2:3]
	s_and_b64 exec, exec, s[2:3]
	s_cbranch_execz .LBB107_476
; %bb.471:
	v_cmp_ngt_f64_e64 s[2:3], |v[97:98]|, |v[99:100]|
                                        ; implicit-def: $vgpr105_vgpr106
	s_and_saveexec_b64 s[6:7], s[2:3]
	s_xor_b64 s[2:3], exec, s[6:7]
                                        ; implicit-def: $vgpr107_vgpr108
	s_cbranch_execz .LBB107_473
; %bb.472:
	v_div_scale_f64 v[105:106], s[6:7], v[99:100], v[99:100], v[97:98]
	v_div_scale_f64 v[95:96], vcc, v[97:98], v[99:100], v[97:98]
	v_rcp_f64_e32 v[107:108], v[105:106]
	v_fma_f64 v[93:94], -v[105:106], v[107:108], 1.0
	v_fma_f64 v[93:94], v[107:108], v[93:94], v[107:108]
	v_fma_f64 v[107:108], -v[105:106], v[93:94], 1.0
	v_fma_f64 v[93:94], v[93:94], v[107:108], v[93:94]
	v_mul_f64 v[107:108], v[95:96], v[93:94]
	v_fma_f64 v[95:96], -v[105:106], v[107:108], v[95:96]
	v_div_fmas_f64 v[93:94], v[95:96], v[93:94], v[107:108]
	v_div_fixup_f64 v[93:94], v[93:94], v[99:100], v[97:98]
	v_fma_f64 v[95:96], v[97:98], v[93:94], v[99:100]
	v_div_scale_f64 v[97:98], s[6:7], v[95:96], v[95:96], 1.0
	v_div_scale_f64 v[107:108], vcc, 1.0, v[95:96], 1.0
	v_rcp_f64_e32 v[99:100], v[97:98]
	v_fma_f64 v[105:106], -v[97:98], v[99:100], 1.0
	v_fma_f64 v[99:100], v[99:100], v[105:106], v[99:100]
	v_fma_f64 v[105:106], -v[97:98], v[99:100], 1.0
	v_fma_f64 v[99:100], v[99:100], v[105:106], v[99:100]
	v_mul_f64 v[105:106], v[107:108], v[99:100]
	v_fma_f64 v[97:98], -v[97:98], v[105:106], v[107:108]
	v_div_fmas_f64 v[97:98], v[97:98], v[99:100], v[105:106]
	v_div_fixup_f64 v[107:108], v[97:98], v[95:96], 1.0
                                        ; implicit-def: $vgpr97_vgpr98
	v_mul_f64 v[105:106], v[93:94], v[107:108]
	v_xor_b32_e32 v108, 0x80000000, v108
.LBB107_473:
	s_andn2_saveexec_b64 s[2:3], s[2:3]
	s_cbranch_execz .LBB107_475
; %bb.474:
	v_div_scale_f64 v[93:94], s[6:7], v[97:98], v[97:98], v[99:100]
	v_rcp_f64_e32 v[95:96], v[93:94]
	v_fma_f64 v[105:106], -v[93:94], v[95:96], 1.0
	v_fma_f64 v[95:96], v[95:96], v[105:106], v[95:96]
	v_div_scale_f64 v[105:106], vcc, v[99:100], v[97:98], v[99:100]
	v_fma_f64 v[107:108], -v[93:94], v[95:96], 1.0
	v_fma_f64 v[95:96], v[95:96], v[107:108], v[95:96]
	v_mul_f64 v[107:108], v[105:106], v[95:96]
	v_fma_f64 v[93:94], -v[93:94], v[107:108], v[105:106]
	v_div_fmas_f64 v[93:94], v[93:94], v[95:96], v[107:108]
	v_div_fixup_f64 v[93:94], v[93:94], v[97:98], v[99:100]
	v_fma_f64 v[95:96], v[99:100], v[93:94], v[97:98]
	v_div_scale_f64 v[97:98], s[6:7], v[95:96], v[95:96], 1.0
	v_div_scale_f64 v[107:108], vcc, 1.0, v[95:96], 1.0
	v_rcp_f64_e32 v[99:100], v[97:98]
	v_fma_f64 v[105:106], -v[97:98], v[99:100], 1.0
	v_fma_f64 v[99:100], v[99:100], v[105:106], v[99:100]
	v_fma_f64 v[105:106], -v[97:98], v[99:100], 1.0
	v_fma_f64 v[99:100], v[99:100], v[105:106], v[99:100]
	v_mul_f64 v[105:106], v[107:108], v[99:100]
	v_fma_f64 v[97:98], -v[97:98], v[105:106], v[107:108]
	v_div_fmas_f64 v[97:98], v[97:98], v[99:100], v[105:106]
	v_div_fixup_f64 v[105:106], v[97:98], v[95:96], 1.0
	v_mul_f64 v[107:108], v[93:94], -v[105:106]
.LBB107_475:
	s_or_b64 exec, exec, s[2:3]
	ds_write2_b64 v127, v[105:106], v[107:108] offset1:1
.LBB107_476:
	s_or_b64 exec, exec, s[4:5]
	s_waitcnt vmcnt(0) lgkmcnt(0)
	s_barrier
	ds_read2_b64 v[97:100], v127 offset1:1
	v_cmp_lt_u32_e32 vcc, 52, v0
	s_and_saveexec_b64 s[2:3], vcc
	s_cbranch_execz .LBB107_478
; %bb.477:
	s_waitcnt lgkmcnt(0)
	v_mul_f64 v[93:94], v[97:98], v[3:4]
	v_mul_f64 v[3:4], v[99:100], v[3:4]
	ds_read2_b64 v[105:108], v125 offset0:106 offset1:107
	v_fma_f64 v[93:94], v[99:100], v[1:2], v[93:94]
	v_fma_f64 v[1:2], v[97:98], v[1:2], -v[3:4]
	s_waitcnt lgkmcnt(0)
	v_mul_f64 v[3:4], v[107:108], v[93:94]
	v_mul_f64 v[95:96], v[105:106], v[93:94]
	v_fma_f64 v[3:4], v[105:106], v[1:2], -v[3:4]
	v_fma_f64 v[95:96], v[107:108], v[1:2], v[95:96]
	v_add_f64 v[121:122], v[121:122], -v[3:4]
	v_add_f64 v[123:124], v[123:124], -v[95:96]
	v_mov_b32_e32 v3, v93
	v_mov_b32_e32 v4, v94
.LBB107_478:
	s_or_b64 exec, exec, s[2:3]
	v_cmp_eq_u32_e32 vcc, 53, v0
	s_waitcnt lgkmcnt(0)
	s_barrier
	s_and_saveexec_b64 s[4:5], vcc
	s_cbranch_execz .LBB107_485
; %bb.479:
	v_cmp_neq_f64_e32 vcc, 0, v[121:122]
	v_cmp_neq_f64_e64 s[2:3], 0, v[123:124]
	ds_write2_b64 v127, v[121:122], v[123:124] offset1:1
	s_or_b64 s[2:3], vcc, s[2:3]
	s_and_b64 exec, exec, s[2:3]
	s_cbranch_execz .LBB107_485
; %bb.480:
	v_cmp_ngt_f64_e64 s[2:3], |v[121:122]|, |v[123:124]|
                                        ; implicit-def: $vgpr105_vgpr106
	s_mov_b64 s[6:7], exec
	s_and_b64 s[8:9], s[6:7], s[2:3]
	s_xor_b64 s[2:3], s[8:9], s[6:7]
                                        ; implicit-def: $vgpr107_vgpr108
	buffer_store_dword v97, off, s[20:23], 0 offset:1696 ; 4-byte Folded Spill
	s_nop 0
	buffer_store_dword v98, off, s[20:23], 0 offset:1700 ; 4-byte Folded Spill
	buffer_store_dword v99, off, s[20:23], 0 offset:1704 ; 4-byte Folded Spill
	;; [unrolled: 1-line block ×3, first 2 shown]
	s_mov_b64 exec, s[8:9]
	s_cbranch_execz .LBB107_482
; %bb.481:
	v_div_scale_f64 v[93:94], s[6:7], v[123:124], v[123:124], v[121:122]
	v_mov_b32_e32 v97, v101
	v_mov_b32_e32 v98, v102
	;; [unrolled: 1-line block ×8, first 2 shown]
	v_rcp_f64_e32 v[95:96], v[93:94]
	v_fma_f64 v[105:106], -v[93:94], v[95:96], 1.0
	v_fma_f64 v[95:96], v[95:96], v[105:106], v[95:96]
	v_div_scale_f64 v[105:106], vcc, v[121:122], v[123:124], v[121:122]
	v_fma_f64 v[107:108], -v[93:94], v[95:96], 1.0
	v_fma_f64 v[95:96], v[95:96], v[107:108], v[95:96]
	v_mul_f64 v[107:108], v[105:106], v[95:96]
	v_fma_f64 v[93:94], -v[93:94], v[107:108], v[105:106]
	v_div_fmas_f64 v[93:94], v[93:94], v[95:96], v[107:108]
	v_div_fixup_f64 v[93:94], v[93:94], v[123:124], v[121:122]
	v_fma_f64 v[95:96], v[121:122], v[93:94], v[123:124]
	v_mov_b32_e32 v124, v112
	v_mov_b32_e32 v123, v111
	;; [unrolled: 1-line block ×7, first 2 shown]
	v_div_scale_f64 v[105:106], s[6:7], v[95:96], v[95:96], 1.0
	v_mov_b32_e32 v109, v1
	v_mov_b32_e32 v1, v5
	;; [unrolled: 1-line block ×14, first 2 shown]
	v_rcp_f64_e32 v[107:108], v[105:106]
	v_mov_b32_e32 v14, v18
	v_mov_b32_e32 v15, v19
	;; [unrolled: 1-line block ×15, first 2 shown]
	v_fma_f64 v[125:126], -v[105:106], v[107:108], 1.0
	v_mov_b32_e32 v29, v33
	v_mov_b32_e32 v30, v34
	;; [unrolled: 1-line block ×29, first 2 shown]
	v_fma_f64 v[107:108], v[107:108], v[125:126], v[107:108]
	v_mov_b32_e32 v54, v58
	v_mov_b32_e32 v55, v59
	;; [unrolled: 1-line block ×32, first 2 shown]
	v_fma_f64 v[125:126], -v[105:106], v[107:108], 1.0
	v_mov_b32_e32 v90, v118
	v_mov_b32_e32 v91, v119
	;; [unrolled: 1-line block ×3, first 2 shown]
	v_div_scale_f64 v[117:118], vcc, 1.0, v[95:96], 1.0
	v_fma_f64 v[107:108], v[107:108], v[125:126], v[107:108]
	v_mul_f64 v[119:120], v[117:118], v[107:108]
	v_fma_f64 v[105:106], -v[105:106], v[119:120], v[117:118]
	s_nop 0
	v_div_fmas_f64 v[105:106], v[105:106], v[107:108], v[119:120]
	v_mov_b32_e32 v120, v92
	v_mov_b32_e32 v119, v91
	;; [unrolled: 1-line block ×108, first 2 shown]
	buffer_load_dword v97, off, s[20:23], 0 offset:1696 ; 4-byte Folded Reload
	buffer_load_dword v98, off, s[20:23], 0 offset:1700 ; 4-byte Folded Reload
	;; [unrolled: 1-line block ×4, first 2 shown]
	v_div_fixup_f64 v[107:108], v[105:106], v[95:96], 1.0
	v_mul_f64 v[105:106], v[93:94], v[107:108]
	v_xor_b32_e32 v108, 0x80000000, v108
.LBB107_482:
	s_andn2_saveexec_b64 s[2:3], s[2:3]
	s_cbranch_execz .LBB107_484
; %bb.483:
	v_div_scale_f64 v[93:94], s[6:7], v[121:122], v[121:122], v[123:124]
	s_waitcnt vmcnt(0)
	v_mov_b32_e32 v97, v101
	v_mov_b32_e32 v98, v102
	;; [unrolled: 1-line block ×8, first 2 shown]
	v_rcp_f64_e32 v[95:96], v[93:94]
	v_fma_f64 v[105:106], -v[93:94], v[95:96], 1.0
	v_fma_f64 v[95:96], v[95:96], v[105:106], v[95:96]
	v_div_scale_f64 v[105:106], vcc, v[123:124], v[121:122], v[123:124]
	v_fma_f64 v[107:108], -v[93:94], v[95:96], 1.0
	v_fma_f64 v[95:96], v[95:96], v[107:108], v[95:96]
	v_mul_f64 v[107:108], v[105:106], v[95:96]
	v_fma_f64 v[93:94], -v[93:94], v[107:108], v[105:106]
	v_div_fmas_f64 v[93:94], v[93:94], v[95:96], v[107:108]
	v_div_fixup_f64 v[93:94], v[93:94], v[121:122], v[123:124]
	v_fma_f64 v[95:96], v[123:124], v[93:94], v[121:122]
	v_mov_b32_e32 v124, v112
	v_mov_b32_e32 v123, v111
	v_mov_b32_e32 v122, v110
	v_mov_b32_e32 v121, v109
	v_mov_b32_e32 v112, v4
	v_mov_b32_e32 v111, v3
	v_mov_b32_e32 v110, v2
	v_div_scale_f64 v[105:106], s[6:7], v[95:96], v[95:96], 1.0
	v_mov_b32_e32 v109, v1
	v_mov_b32_e32 v1, v5
	;; [unrolled: 1-line block ×26, first 2 shown]
	v_rcp_f64_e32 v[107:108], v[105:106]
	v_mov_b32_e32 v26, v30
	v_mov_b32_e32 v27, v31
	;; [unrolled: 1-line block ×67, first 2 shown]
	v_fma_f64 v[117:118], -v[105:106], v[107:108], 1.0
	v_div_scale_f64 v[119:120], vcc, 1.0, v[95:96], 1.0
	v_fma_f64 v[107:108], v[107:108], v[117:118], v[107:108]
	v_fma_f64 v[117:118], -v[105:106], v[107:108], 1.0
	v_fma_f64 v[107:108], v[107:108], v[117:118], v[107:108]
	v_mul_f64 v[117:118], v[119:120], v[107:108]
	v_fma_f64 v[105:106], -v[105:106], v[117:118], v[119:120]
	v_div_fmas_f64 v[105:106], v[105:106], v[107:108], v[117:118]
	v_mov_b32_e32 v120, v92
	v_mov_b32_e32 v119, v91
	;; [unrolled: 1-line block ×108, first 2 shown]
	buffer_load_dword v97, off, s[20:23], 0 offset:1696 ; 4-byte Folded Reload
	buffer_load_dword v98, off, s[20:23], 0 offset:1700 ; 4-byte Folded Reload
	;; [unrolled: 1-line block ×4, first 2 shown]
	v_div_fixup_f64 v[105:106], v[105:106], v[95:96], 1.0
	v_mul_f64 v[107:108], v[93:94], -v[105:106]
.LBB107_484:
	s_or_b64 exec, exec, s[2:3]
	ds_write2_b64 v127, v[105:106], v[107:108] offset1:1
.LBB107_485:
	s_or_b64 exec, exec, s[4:5]
	s_waitcnt vmcnt(0) lgkmcnt(0)
	s_barrier
	ds_read2_b64 v[105:108], v127 offset1:1
	s_waitcnt lgkmcnt(0)
	s_barrier
	s_and_saveexec_b64 s[2:3], s[0:1]
	s_cbranch_execz .LBB107_488
; %bb.486:
	buffer_load_dword v93, off, s[20:23], 0 offset:912 ; 4-byte Folded Reload
	buffer_load_dword v94, off, s[20:23], 0 offset:916 ; 4-byte Folded Reload
	;; [unrolled: 1-line block ×4, first 2 shown]
	s_nop 0
	buffer_store_dword v81, off, s[20:23], 0 offset:912 ; 4-byte Folded Spill
	s_nop 0
	buffer_store_dword v82, off, s[20:23], 0 offset:916 ; 4-byte Folded Spill
	buffer_store_dword v83, off, s[20:23], 0 offset:920 ; 4-byte Folded Spill
	;; [unrolled: 1-line block ×3, first 2 shown]
	v_mov_b32_e32 v81, v89
	v_mov_b32_e32 v82, v90
	v_mov_b32_e32 v83, v91
	v_mov_b32_e32 v84, v92
	v_mov_b32_e32 v87, v117
	v_mov_b32_e32 v88, v118
	v_mov_b32_e32 v89, v119
	v_mov_b32_e32 v90, v120
	buffer_load_dword v117, off, s[20:23], 0 offset:928 ; 4-byte Folded Reload
	buffer_load_dword v118, off, s[20:23], 0 offset:932 ; 4-byte Folded Reload
	;; [unrolled: 1-line block ×4, first 2 shown]
	s_waitcnt vmcnt(10)
	v_cmp_eq_f64_e32 vcc, 0, v[93:94]
	s_waitcnt vmcnt(8)
	v_cmp_eq_f64_e64 s[0:1], 0, v[95:96]
	s_and_b64 s[4:5], vcc, s[0:1]
	s_waitcnt vmcnt(2)
	v_cmp_neq_f64_e32 vcc, 0, v[117:118]
	s_waitcnt vmcnt(0)
	v_cmp_neq_f64_e64 s[0:1], 0, v[119:120]
	v_cndmask_b32_e64 v93, 0, 1, s[4:5]
	s_or_b64 s[0:1], vcc, s[0:1]
	s_or_b64 vcc, s[0:1], s[4:5]
	v_cndmask_b32_e32 v93, 2, v93, vcc
	v_cmp_eq_f64_e32 vcc, 0, v[87:88]
	v_cmp_eq_f64_e64 s[0:1], 0, v[89:90]
	buffer_load_dword v87, off, s[20:23], 0 offset:968 ; 4-byte Folded Reload
	buffer_load_dword v88, off, s[20:23], 0 offset:972 ; 4-byte Folded Reload
	buffer_load_dword v89, off, s[20:23], 0 offset:976 ; 4-byte Folded Reload
	buffer_load_dword v90, off, s[20:23], 0 offset:980 ; 4-byte Folded Reload
	s_and_b64 s[0:1], vcc, s[0:1]
	v_cmp_eq_u32_e32 vcc, 0, v93
	s_and_b64 s[0:1], s[0:1], vcc
	v_cndmask_b32_e64 v93, v93, 3, s[0:1]
	s_waitcnt vmcnt(2)
	v_cmp_eq_f64_e32 vcc, 0, v[87:88]
	s_waitcnt vmcnt(0)
	v_cmp_eq_f64_e64 s[0:1], 0, v[89:90]
	buffer_load_dword v87, off, s[20:23], 0 offset:984 ; 4-byte Folded Reload
	buffer_load_dword v88, off, s[20:23], 0 offset:988 ; 4-byte Folded Reload
	buffer_load_dword v89, off, s[20:23], 0 offset:992 ; 4-byte Folded Reload
	buffer_load_dword v90, off, s[20:23], 0 offset:996 ; 4-byte Folded Reload
	s_and_b64 s[0:1], vcc, s[0:1]
	v_cmp_eq_u32_e32 vcc, 0, v93
	s_and_b64 s[0:1], s[0:1], vcc
	v_cndmask_b32_e64 v93, v93, 4, s[0:1]
	s_waitcnt vmcnt(2)
	v_cmp_eq_f64_e32 vcc, 0, v[87:88]
	s_waitcnt vmcnt(0)
	;; [unrolled: 12-line block ×28, first 2 shown]
	v_cmp_eq_f64_e64 s[0:1], 0, v[89:90]
	s_and_b64 s[0:1], vcc, s[0:1]
	v_cmp_eq_u32_e32 vcc, 0, v93
	s_and_b64 s[0:1], s[0:1], vcc
	v_cndmask_b32_e64 v93, v93, 31, s[0:1]
	v_cmp_eq_f64_e32 vcc, 0, v[81:82]
	v_cmp_eq_f64_e64 s[0:1], 0, v[83:84]
	buffer_load_dword v81, off, s[20:23], 0 offset:912 ; 4-byte Folded Reload
	buffer_load_dword v82, off, s[20:23], 0 offset:916 ; 4-byte Folded Reload
	;; [unrolled: 1-line block ×8, first 2 shown]
	s_and_b64 s[0:1], vcc, s[0:1]
	v_cmp_eq_u32_e32 vcc, 0, v93
	s_and_b64 s[0:1], s[0:1], vcc
	v_cndmask_b32_e64 v93, v93, 32, s[0:1]
	v_cmp_eq_f64_e32 vcc, 0, v[113:114]
	v_cmp_eq_f64_e64 s[0:1], 0, v[115:116]
	s_and_b64 s[0:1], vcc, s[0:1]
	v_cmp_eq_u32_e32 vcc, 0, v93
	s_and_b64 s[0:1], s[0:1], vcc
	v_cndmask_b32_e64 v93, v93, 33, s[0:1]
	v_cmp_eq_f64_e32 vcc, 0, v[109:110]
	v_cmp_eq_f64_e64 s[0:1], 0, v[111:112]
	s_and_b64 s[0:1], vcc, s[0:1]
	v_cmp_eq_u32_e32 vcc, 0, v93
	s_and_b64 s[0:1], s[0:1], vcc
	v_cndmask_b32_e64 v93, v93, 34, s[0:1]
	s_waitcnt vmcnt(2)
	v_cmp_eq_f64_e32 vcc, 0, v[87:88]
	s_waitcnt vmcnt(0)
	v_cmp_eq_f64_e64 s[0:1], 0, v[89:90]
	buffer_load_dword v87, off, s[20:23], 0 offset:1432 ; 4-byte Folded Reload
	buffer_load_dword v88, off, s[20:23], 0 offset:1436 ; 4-byte Folded Reload
	buffer_load_dword v89, off, s[20:23], 0 offset:1440 ; 4-byte Folded Reload
	buffer_load_dword v90, off, s[20:23], 0 offset:1444 ; 4-byte Folded Reload
	s_and_b64 s[0:1], vcc, s[0:1]
	v_cmp_eq_u32_e32 vcc, 0, v93
	s_and_b64 s[0:1], s[0:1], vcc
	v_cndmask_b32_e64 v93, v93, 35, s[0:1]
	s_waitcnt vmcnt(2)
	v_cmp_eq_f64_e32 vcc, 0, v[87:88]
	s_waitcnt vmcnt(0)
	v_cmp_eq_f64_e64 s[0:1], 0, v[89:90]
	buffer_load_dword v87, off, s[20:23], 0 offset:1448 ; 4-byte Folded Reload
	buffer_load_dword v88, off, s[20:23], 0 offset:1452 ; 4-byte Folded Reload
	buffer_load_dword v89, off, s[20:23], 0 offset:1456 ; 4-byte Folded Reload
	buffer_load_dword v90, off, s[20:23], 0 offset:1460 ; 4-byte Folded Reload
	;; [unrolled: 12-line block ×16, first 2 shown]
	s_and_b64 s[0:1], vcc, s[0:1]
	v_cmp_eq_u32_e32 vcc, 0, v93
	s_and_b64 s[0:1], s[0:1], vcc
	v_cndmask_b32_e64 v93, v93, 50, s[0:1]
	s_waitcnt vmcnt(2)
	v_cmp_eq_f64_e32 vcc, 0, v[87:88]
	buffer_load_dword v87, off, s[20:23], 0 offset:1688 ; 4-byte Folded Reload
	buffer_load_dword v88, off, s[20:23], 0 offset:1692 ; 4-byte Folded Reload
	s_waitcnt vmcnt(2)
	v_cmp_eq_f64_e64 s[0:1], 0, v[89:90]
	s_and_b64 s[0:1], vcc, s[0:1]
	v_cmp_eq_u32_e32 vcc, 0, v93
	s_and_b64 s[0:1], s[0:1], vcc
	v_cndmask_b32_e64 v93, v93, 51, s[0:1]
	v_cmp_eq_f64_e32 vcc, 0, v[101:102]
	v_cmp_eq_f64_e64 s[0:1], 0, v[103:104]
	s_and_b64 s[0:1], vcc, s[0:1]
	v_cmp_eq_u32_e32 vcc, 0, v93
	s_and_b64 s[0:1], s[0:1], vcc
	v_cndmask_b32_e64 v93, v93, 52, s[0:1]
	v_cmp_eq_f64_e32 vcc, 0, v[97:98]
	v_cmp_eq_f64_e64 s[0:1], 0, v[99:100]
	s_and_b64 s[0:1], vcc, s[0:1]
	v_cmp_eq_u32_e32 vcc, 0, v93
	s_and_b64 s[0:1], s[0:1], vcc
	v_cndmask_b32_e64 v93, v93, 53, s[0:1]
	v_cmp_eq_f64_e32 vcc, 0, v[105:106]
	v_cmp_eq_f64_e64 s[0:1], 0, v[107:108]
	s_and_b64 s[0:1], vcc, s[0:1]
	v_cmp_eq_u32_e32 vcc, 0, v93
	s_and_b64 s[0:1], s[0:1], vcc
	v_cndmask_b32_e64 v99, v93, 54, s[0:1]
	v_cmp_ne_u32_e64 s[0:1], 0, v99
	s_waitcnt vmcnt(0)
	v_lshlrev_b64 v[93:94], 2, v[87:88]
	v_add_co_u32_e32 v97, vcc, s10, v93
	v_mov_b32_e32 v93, s11
	v_addc_co_u32_e32 v98, vcc, v93, v94, vcc
	global_load_dword v93, v[97:98], off
	s_waitcnt vmcnt(0)
	v_cmp_eq_u32_e32 vcc, 0, v93
	s_and_b64 s[0:1], vcc, s[0:1]
	s_and_b64 exec, exec, s[0:1]
	s_cbranch_execz .LBB107_488
; %bb.487:
	v_add_u32_e32 v93, s13, v99
	global_store_dword v[97:98], v93, off
.LBB107_488:
	s_or_b64 exec, exec, s[2:3]
	buffer_load_dword v87, off, s[20:23], 0 offset:896 ; 4-byte Folded Reload
	buffer_load_dword v88, off, s[20:23], 0 offset:900 ; 4-byte Folded Reload
	;; [unrolled: 1-line block ×6, first 2 shown]
	v_cmp_lt_u32_e32 vcc, 53, v0
	s_waitcnt vmcnt(0)
	global_store_dwordx4 v[87:88], v[93:96], off
	buffer_load_dword v87, off, s[20:23], 0 offset:904 ; 4-byte Folded Reload
	s_nop 0
	buffer_load_dword v88, off, s[20:23], 0 offset:908 ; 4-byte Folded Reload
	buffer_load_dword v93, off, s[20:23], 0 offset:464 ; 4-byte Folded Reload
	buffer_load_dword v94, off, s[20:23], 0 offset:468 ; 4-byte Folded Reload
	buffer_load_dword v95, off, s[20:23], 0 offset:472 ; 4-byte Folded Reload
	buffer_load_dword v96, off, s[20:23], 0 offset:476 ; 4-byte Folded Reload
	s_waitcnt vmcnt(0)
	global_store_dwordx4 v[87:88], v[93:96], off
	buffer_load_dword v87, off, s[20:23], 0 offset:864 ; 4-byte Folded Reload
	s_nop 0
	buffer_load_dword v88, off, s[20:23], 0 offset:868 ; 4-byte Folded Reload
	buffer_load_dword v93, off, s[20:23], 0 offset:448 ; 4-byte Folded Reload
	buffer_load_dword v94, off, s[20:23], 0 offset:452 ; 4-byte Folded Reload
	buffer_load_dword v95, off, s[20:23], 0 offset:456 ; 4-byte Folded Reload
	buffer_load_dword v96, off, s[20:23], 0 offset:460 ; 4-byte Folded Reload
	;; [unrolled: 9-line block ×5, first 2 shown]
	v_mul_f64 v[95:96], v[107:108], v[123:124]
	v_fma_f64 v[95:96], v[105:106], v[121:122], -v[95:96]
	v_cndmask_b32_e32 v98, v122, v96, vcc
	v_cndmask_b32_e32 v97, v121, v95, vcc
	s_waitcnt vmcnt(0)
	global_store_dwordx4 v[87:88], v[91:94], off
	buffer_load_dword v87, off, s[20:23], 0 offset:496 ; 4-byte Folded Reload
	s_nop 0
	buffer_load_dword v88, off, s[20:23], 0 offset:500 ; 4-byte Folded Reload
	buffer_load_dword v89, off, s[20:23], 0 offset:384 ; 4-byte Folded Reload
	;; [unrolled: 1-line block ×5, first 2 shown]
	v_mul_f64 v[93:94], v[105:106], v[123:124]
	v_fma_f64 v[93:94], v[107:108], v[121:122], v[93:94]
	v_cndmask_b32_e32 v100, v124, v94, vcc
	v_cndmask_b32_e32 v99, v123, v93, vcc
	s_waitcnt vmcnt(0)
	global_store_dwordx4 v[87:88], v[89:92], off
	buffer_load_dword v87, off, s[20:23], 0 offset:368 ; 4-byte Folded Reload
	s_nop 0
	buffer_load_dword v88, off, s[20:23], 0 offset:372 ; 4-byte Folded Reload
	buffer_load_dword v89, off, s[20:23], 0 offset:376 ; 4-byte Folded Reload
	buffer_load_dword v90, off, s[20:23], 0 offset:380 ; 4-byte Folded Reload
	s_waitcnt vmcnt(0)
	global_store_dwordx4 v[85:86], v[87:90], off
	buffer_load_dword v85, off, s[20:23], 0 offset:504 ; 4-byte Folded Reload
	s_nop 0
	buffer_load_dword v86, off, s[20:23], 0 offset:508 ; 4-byte Folded Reload
	buffer_load_dword v87, off, s[20:23], 0 offset:352 ; 4-byte Folded Reload
	buffer_load_dword v88, off, s[20:23], 0 offset:356 ; 4-byte Folded Reload
	buffer_load_dword v89, off, s[20:23], 0 offset:360 ; 4-byte Folded Reload
	buffer_load_dword v90, off, s[20:23], 0 offset:364 ; 4-byte Folded Reload
	s_waitcnt vmcnt(0)
	global_store_dwordx4 v[85:86], v[87:90], off
	buffer_load_dword v85, off, s[20:23], 0 offset:512 ; 4-byte Folded Reload
	s_nop 0
	buffer_load_dword v86, off, s[20:23], 0 offset:516 ; 4-byte Folded Reload
	buffer_load_dword v87, off, s[20:23], 0 offset:336 ; 4-byte Folded Reload
	;; [unrolled: 9-line block ×22, first 2 shown]
	buffer_load_dword v88, off, s[20:23], 0 offset:20 ; 4-byte Folded Reload
	buffer_load_dword v89, off, s[20:23], 0 offset:24 ; 4-byte Folded Reload
	;; [unrolled: 1-line block ×3, first 2 shown]
	s_waitcnt vmcnt(0)
	global_store_dwordx4 v[85:86], v[87:90], off
	buffer_load_dword v85, off, s[20:23], 0 offset:680 ; 4-byte Folded Reload
	s_nop 0
	buffer_load_dword v86, off, s[20:23], 0 offset:684 ; 4-byte Folded Reload
	buffer_load_dword v87, off, s[20:23], 0 ; 4-byte Folded Reload
	buffer_load_dword v88, off, s[20:23], 0 offset:4 ; 4-byte Folded Reload
	buffer_load_dword v89, off, s[20:23], 0 offset:8 ; 4-byte Folded Reload
	;; [unrolled: 1-line block ×3, first 2 shown]
	s_waitcnt vmcnt(0)
	global_store_dwordx4 v[85:86], v[87:90], off
	buffer_load_dword v85, off, s[20:23], 0 offset:688 ; 4-byte Folded Reload
	s_nop 0
	buffer_load_dword v86, off, s[20:23], 0 offset:692 ; 4-byte Folded Reload
	buffer_load_dword v87, off, s[20:23], 0 offset:880 ; 4-byte Folded Reload
	buffer_load_dword v88, off, s[20:23], 0 offset:884 ; 4-byte Folded Reload
	buffer_load_dword v89, off, s[20:23], 0 offset:888 ; 4-byte Folded Reload
	buffer_load_dword v90, off, s[20:23], 0 offset:892 ; 4-byte Folded Reload
	s_waitcnt vmcnt(0)
	global_store_dwordx4 v[85:86], v[87:90], off
	buffer_load_dword v85, off, s[20:23], 0 offset:696 ; 4-byte Folded Reload
	s_nop 0
	buffer_load_dword v86, off, s[20:23], 0 offset:700 ; 4-byte Folded Reload
	s_waitcnt vmcnt(0)
	global_store_dwordx4 v[85:86], v[81:84], off
	buffer_load_dword v81, off, s[20:23], 0 offset:704 ; 4-byte Folded Reload
	s_nop 0
	buffer_load_dword v82, off, s[20:23], 0 offset:708 ; 4-byte Folded Reload
	;; [unrolled: 5-line block ×22, first 2 shown]
	s_waitcnt vmcnt(0)
	global_store_dwordx4 v[0:1], v[97:100], off
.LBB107_489:
	s_endpgm
	.section	.rodata,"a",@progbits
	.p2align	6, 0x0
	.amdhsa_kernel _ZN9rocsolver6v33100L23getf2_npvt_small_kernelILi54E19rocblas_complex_numIdEiiPS3_EEvT1_T3_lS5_lPT2_S5_S5_
		.amdhsa_group_segment_fixed_size 0
		.amdhsa_private_segment_fixed_size 1716
		.amdhsa_kernarg_size 312
		.amdhsa_user_sgpr_count 6
		.amdhsa_user_sgpr_private_segment_buffer 1
		.amdhsa_user_sgpr_dispatch_ptr 0
		.amdhsa_user_sgpr_queue_ptr 0
		.amdhsa_user_sgpr_kernarg_segment_ptr 1
		.amdhsa_user_sgpr_dispatch_id 0
		.amdhsa_user_sgpr_flat_scratch_init 0
		.amdhsa_user_sgpr_private_segment_size 0
		.amdhsa_uses_dynamic_stack 0
		.amdhsa_system_sgpr_private_segment_wavefront_offset 1
		.amdhsa_system_sgpr_workgroup_id_x 1
		.amdhsa_system_sgpr_workgroup_id_y 1
		.amdhsa_system_sgpr_workgroup_id_z 0
		.amdhsa_system_sgpr_workgroup_info 0
		.amdhsa_system_vgpr_workitem_id 1
		.amdhsa_next_free_vgpr 128
		.amdhsa_next_free_sgpr 24
		.amdhsa_reserve_vcc 1
		.amdhsa_reserve_flat_scratch 0
		.amdhsa_float_round_mode_32 0
		.amdhsa_float_round_mode_16_64 0
		.amdhsa_float_denorm_mode_32 3
		.amdhsa_float_denorm_mode_16_64 3
		.amdhsa_dx10_clamp 1
		.amdhsa_ieee_mode 1
		.amdhsa_fp16_overflow 0
		.amdhsa_exception_fp_ieee_invalid_op 0
		.amdhsa_exception_fp_denorm_src 0
		.amdhsa_exception_fp_ieee_div_zero 0
		.amdhsa_exception_fp_ieee_overflow 0
		.amdhsa_exception_fp_ieee_underflow 0
		.amdhsa_exception_fp_ieee_inexact 0
		.amdhsa_exception_int_div_zero 0
	.end_amdhsa_kernel
	.section	.text._ZN9rocsolver6v33100L23getf2_npvt_small_kernelILi54E19rocblas_complex_numIdEiiPS3_EEvT1_T3_lS5_lPT2_S5_S5_,"axG",@progbits,_ZN9rocsolver6v33100L23getf2_npvt_small_kernelILi54E19rocblas_complex_numIdEiiPS3_EEvT1_T3_lS5_lPT2_S5_S5_,comdat
.Lfunc_end107:
	.size	_ZN9rocsolver6v33100L23getf2_npvt_small_kernelILi54E19rocblas_complex_numIdEiiPS3_EEvT1_T3_lS5_lPT2_S5_S5_, .Lfunc_end107-_ZN9rocsolver6v33100L23getf2_npvt_small_kernelILi54E19rocblas_complex_numIdEiiPS3_EEvT1_T3_lS5_lPT2_S5_S5_
                                        ; -- End function
	.set _ZN9rocsolver6v33100L23getf2_npvt_small_kernelILi54E19rocblas_complex_numIdEiiPS3_EEvT1_T3_lS5_lPT2_S5_S5_.num_vgpr, 128
	.set _ZN9rocsolver6v33100L23getf2_npvt_small_kernelILi54E19rocblas_complex_numIdEiiPS3_EEvT1_T3_lS5_lPT2_S5_S5_.num_agpr, 0
	.set _ZN9rocsolver6v33100L23getf2_npvt_small_kernelILi54E19rocblas_complex_numIdEiiPS3_EEvT1_T3_lS5_lPT2_S5_S5_.numbered_sgpr, 24
	.set _ZN9rocsolver6v33100L23getf2_npvt_small_kernelILi54E19rocblas_complex_numIdEiiPS3_EEvT1_T3_lS5_lPT2_S5_S5_.num_named_barrier, 0
	.set _ZN9rocsolver6v33100L23getf2_npvt_small_kernelILi54E19rocblas_complex_numIdEiiPS3_EEvT1_T3_lS5_lPT2_S5_S5_.private_seg_size, 1716
	.set _ZN9rocsolver6v33100L23getf2_npvt_small_kernelILi54E19rocblas_complex_numIdEiiPS3_EEvT1_T3_lS5_lPT2_S5_S5_.uses_vcc, 1
	.set _ZN9rocsolver6v33100L23getf2_npvt_small_kernelILi54E19rocblas_complex_numIdEiiPS3_EEvT1_T3_lS5_lPT2_S5_S5_.uses_flat_scratch, 0
	.set _ZN9rocsolver6v33100L23getf2_npvt_small_kernelILi54E19rocblas_complex_numIdEiiPS3_EEvT1_T3_lS5_lPT2_S5_S5_.has_dyn_sized_stack, 0
	.set _ZN9rocsolver6v33100L23getf2_npvt_small_kernelILi54E19rocblas_complex_numIdEiiPS3_EEvT1_T3_lS5_lPT2_S5_S5_.has_recursion, 0
	.set _ZN9rocsolver6v33100L23getf2_npvt_small_kernelILi54E19rocblas_complex_numIdEiiPS3_EEvT1_T3_lS5_lPT2_S5_S5_.has_indirect_call, 0
	.section	.AMDGPU.csdata,"",@progbits
; Kernel info:
; codeLenInByte = 199276
; TotalNumSgprs: 28
; NumVgprs: 128
; ScratchSize: 1716
; MemoryBound: 1
; FloatMode: 240
; IeeeMode: 1
; LDSByteSize: 0 bytes/workgroup (compile time only)
; SGPRBlocks: 3
; VGPRBlocks: 31
; NumSGPRsForWavesPerEU: 28
; NumVGPRsForWavesPerEU: 128
; Occupancy: 2
; WaveLimiterHint : 0
; COMPUTE_PGM_RSRC2:SCRATCH_EN: 1
; COMPUTE_PGM_RSRC2:USER_SGPR: 6
; COMPUTE_PGM_RSRC2:TRAP_HANDLER: 0
; COMPUTE_PGM_RSRC2:TGID_X_EN: 1
; COMPUTE_PGM_RSRC2:TGID_Y_EN: 1
; COMPUTE_PGM_RSRC2:TGID_Z_EN: 0
; COMPUTE_PGM_RSRC2:TIDIG_COMP_CNT: 1
	.section	.text._ZN9rocsolver6v33100L18getf2_small_kernelILi55E19rocblas_complex_numIdEiiPS3_EEvT1_T3_lS5_lPS5_llPT2_S5_S5_S7_l,"axG",@progbits,_ZN9rocsolver6v33100L18getf2_small_kernelILi55E19rocblas_complex_numIdEiiPS3_EEvT1_T3_lS5_lPS5_llPT2_S5_S5_S7_l,comdat
	.globl	_ZN9rocsolver6v33100L18getf2_small_kernelILi55E19rocblas_complex_numIdEiiPS3_EEvT1_T3_lS5_lPS5_llPT2_S5_S5_S7_l ; -- Begin function _ZN9rocsolver6v33100L18getf2_small_kernelILi55E19rocblas_complex_numIdEiiPS3_EEvT1_T3_lS5_lPS5_llPT2_S5_S5_S7_l
	.p2align	8
	.type	_ZN9rocsolver6v33100L18getf2_small_kernelILi55E19rocblas_complex_numIdEiiPS3_EEvT1_T3_lS5_lPS5_llPT2_S5_S5_S7_l,@function
_ZN9rocsolver6v33100L18getf2_small_kernelILi55E19rocblas_complex_numIdEiiPS3_EEvT1_T3_lS5_lPS5_llPT2_S5_S5_S7_l: ; @_ZN9rocsolver6v33100L18getf2_small_kernelILi55E19rocblas_complex_numIdEiiPS3_EEvT1_T3_lS5_lPS5_llPT2_S5_S5_S7_l
; %bb.0:
	s_mov_b64 s[26:27], s[2:3]
	s_mov_b64 s[24:25], s[0:1]
	s_load_dword s0, s[4:5], 0x6c
	s_load_dwordx2 s[16:17], s[4:5], 0x48
	s_add_u32 s24, s24, s8
	s_addc_u32 s25, s25, 0
	s_waitcnt lgkmcnt(0)
	s_lshr_b32 s0, s0, 16
	s_mul_i32 s7, s7, s0
	v_add_u32_e32 v5, s7, v1
	v_cmp_gt_i32_e32 vcc, s16, v5
	s_and_saveexec_b64 s[0:1], vcc
	s_cbranch_execnz .LBB108_1
; %bb.1157:
	s_getpc_b64 s[28:29]
.Lpost_getpc22:
	s_add_u32 s28, s28, (.LBB108_1156-.Lpost_getpc22)&4294967295
	s_addc_u32 s29, s29, (.LBB108_1156-.Lpost_getpc22)>>32
	s_setpc_b64 s[28:29]
.LBB108_1:
	s_load_dwordx4 s[0:3], s[4:5], 0x50
	v_mov_b32_e32 v2, 0
	v_ashrrev_i32_e32 v6, 31, v5
	v_mov_b32_e32 v3, 0
	buffer_store_dword v2, off, s[24:27], 0 offset:452 ; 4-byte Folded Spill
	s_nop 0
	buffer_store_dword v3, off, s[24:27], 0 offset:456 ; 4-byte Folded Spill
	s_waitcnt lgkmcnt(0)
	s_cmp_eq_u64 s[0:1], 0
	s_cselect_b64 s[6:7], -1, 0
	s_and_b64 vcc, exec, s[6:7]
	s_cbranch_vccnz .LBB108_3
; %bb.2:
	v_mul_lo_u32 v7, s3, v5
	v_mul_lo_u32 v4, s2, v6
	v_mad_u64_u32 v[2:3], s[2:3], s2, v5, 0
	v_add3_u32 v3, v3, v4, v7
	v_lshlrev_b64 v[2:3], 2, v[2:3]
	v_mov_b32_e32 v4, s1
	v_add_co_u32_e32 v2, vcc, s0, v2
	v_addc_co_u32_e32 v3, vcc, v4, v3, vcc
	buffer_store_dword v2, off, s[24:27], 0 offset:452 ; 4-byte Folded Spill
	s_nop 0
	buffer_store_dword v3, off, s[24:27], 0 offset:456 ; 4-byte Folded Spill
.LBB108_3:
	s_load_dwordx8 s[8:15], s[4:5], 0x20
	s_load_dwordx4 s[20:23], s[4:5], 0x8
	s_load_dword s2, s[4:5], 0x18
	v_lshlrev_b32_e32 v76, 4, v0
	v_mov_b32_e32 v127, v0
	s_waitcnt lgkmcnt(0)
	v_mul_lo_u32 v7, s9, v5
	v_mul_lo_u32 v4, s8, v6
	buffer_store_dword v5, off, s[24:27], 0 offset:512 ; 4-byte Folded Spill
	s_nop 0
	buffer_store_dword v6, off, s[24:27], 0 offset:516 ; 4-byte Folded Spill
	s_add_i32 s16, s2, s2
	s_ashr_i32 s3, s2, 31
	v_mad_u64_u32 v[2:3], s[0:1], s8, v5, 0
	v_mov_b32_e32 v5, s21
	s_lshl_b64 s[0:1], s[22:23], 4
	v_add3_u32 v3, v3, v4, v7
	v_lshlrev_b64 v[2:3], 4, v[2:3]
	s_lshl_b64 s[8:9], s[2:3], 4
	v_add_co_u32_e32 v4, vcc, s20, v2
	v_addc_co_u32_e32 v2, vcc, v5, v3, vcc
	v_add_co_u32_e32 v85, vcc, s0, v4
	v_add_u32_e32 v4, s16, v0
	v_mov_b32_e32 v3, s1
	v_ashrrev_i32_e32 v5, 31, v4
	v_addc_co_u32_e32 v75, vcc, v2, v3, vcc
	v_lshlrev_b64 v[2:3], 4, v[4:5]
	v_add_u32_e32 v6, s2, v4
	v_ashrrev_i32_e32 v7, 31, v6
	v_add_co_u32_e32 v77, vcc, v85, v2
	v_lshlrev_b64 v[4:5], 4, v[6:7]
	v_add_u32_e32 v8, s2, v6
	v_addc_co_u32_e32 v78, vcc, v75, v3, vcc
	v_ashrrev_i32_e32 v9, 31, v8
	v_add_co_u32_e32 v79, vcc, v85, v4
	v_lshlrev_b64 v[6:7], 4, v[8:9]
	v_add_u32_e32 v10, s2, v8
	v_addc_co_u32_e32 v80, vcc, v75, v5, vcc
	;; [unrolled: 5-line block ×34, first 2 shown]
	v_ashrrev_i32_e32 v73, 31, v72
	v_add_co_u32_e32 v70, vcc, v85, v70
	v_lshlrev_b64 v[73:74], 4, v[72:73]
	v_addc_co_u32_e32 v71, vcc, v75, v71, vcc
	v_add_u32_e32 v72, s2, v72
	v_add_co_u32_e32 v117, vcc, v85, v73
	v_ashrrev_i32_e32 v73, 31, v72
	v_addc_co_u32_e32 v118, vcc, v75, v74, vcc
	v_lshlrev_b64 v[73:74], 4, v[72:73]
	v_add_u32_e32 v72, s2, v72
	v_add_co_u32_e32 v119, vcc, v85, v73
	v_ashrrev_i32_e32 v73, 31, v72
	v_addc_co_u32_e32 v120, vcc, v75, v74, vcc
	v_lshlrev_b64 v[73:74], 4, v[72:73]
	;; [unrolled: 5-line block ×16, first 2 shown]
	v_add_u32_e32 v72, s2, v72
	v_add_co_u32_e32 v95, vcc, v85, v73
	v_ashrrev_i32_e32 v73, 31, v72
	v_lshlrev_b64 v[72:73], 4, v[72:73]
	v_addc_co_u32_e32 v96, vcc, v75, v74, vcc
	v_add_co_u32_e32 v89, vcc, v85, v72
	v_addc_co_u32_e32 v90, vcc, v75, v73, vcc
	v_add_co_u32_e32 v74, vcc, v85, v76
	buffer_store_dword v75, off, s[24:27], 0 offset:508 ; 4-byte Folded Spill
	v_addc_co_u32_e32 v75, vcc, 0, v75, vcc
	v_mov_b32_e32 v0, s9
	v_add_co_u32_e32 v72, vcc, s8, v74
	buffer_store_dword v85, off, s[24:27], 0 offset:520 ; 4-byte Folded Spill
	v_addc_co_u32_e32 v73, vcc, v75, v0, vcc
	global_load_dwordx4 v[85:88], v[74:75], off
	s_nop 0
	global_load_dwordx4 v[72:75], v[72:73], off
	s_waitcnt vmcnt(0)
	buffer_store_dword v72, off, s[24:27], 0 offset:476 ; 4-byte Folded Spill
	s_nop 0
	buffer_store_dword v73, off, s[24:27], 0 offset:480 ; 4-byte Folded Spill
	buffer_store_dword v74, off, s[24:27], 0 offset:484 ; 4-byte Folded Spill
	;; [unrolled: 1-line block ×4, first 2 shown]
	s_nop 0
	buffer_store_dword v86, off, s[24:27], 0 offset:496 ; 4-byte Folded Spill
	buffer_store_dword v87, off, s[24:27], 0 offset:500 ; 4-byte Folded Spill
	;; [unrolled: 1-line block ×3, first 2 shown]
	global_load_dwordx4 v[72:75], v[77:78], off
	s_load_dword s3, s[4:5], 0x0
	s_waitcnt lgkmcnt(0)
	s_max_i32 s0, s3, 55
	v_mul_lo_u32 v91, s0, v1
	s_load_dwordx2 s[4:5], s[4:5], 0x40
	s_cmp_lt_i32 s3, 2
	v_lshl_add_u32 v0, v91, 4, 0
	v_add_u32_e32 v1, v0, v76
	ds_write2_b64 v1, v[85:86], v[87:88] offset1:1
	s_waitcnt vmcnt(0)
	buffer_store_dword v72, off, s[24:27], 0 offset:460 ; 4-byte Folded Spill
	s_nop 0
	buffer_store_dword v73, off, s[24:27], 0 offset:464 ; 4-byte Folded Spill
	buffer_store_dword v74, off, s[24:27], 0 offset:468 ; 4-byte Folded Spill
	buffer_store_dword v75, off, s[24:27], 0 offset:472 ; 4-byte Folded Spill
	global_load_dwordx4 v[72:75], v[79:80], off
	s_waitcnt vmcnt(0)
	buffer_store_dword v72, off, s[24:27], 0 offset:436 ; 4-byte Folded Spill
	s_nop 0
	buffer_store_dword v73, off, s[24:27], 0 offset:440 ; 4-byte Folded Spill
	buffer_store_dword v74, off, s[24:27], 0 offset:444 ; 4-byte Folded Spill
	buffer_store_dword v75, off, s[24:27], 0 offset:448 ; 4-byte Folded Spill
	global_load_dwordx4 v[72:75], v[6:7], off
	;; [unrolled: 7-line block ×28, first 2 shown]
	global_load_dwordx4 v[85:88], v[60:61], off
	global_load_dwordx4 v[109:112], v[62:63], off
	;; [unrolled: 1-line block ×5, first 2 shown]
	s_waitcnt vmcnt(0)
	buffer_store_dword v6, off, s[24:27], 0 ; 4-byte Folded Spill
	s_nop 0
	buffer_store_dword v7, off, s[24:27], 0 offset:4 ; 4-byte Folded Spill
	buffer_store_dword v8, off, s[24:27], 0 offset:8 ; 4-byte Folded Spill
	;; [unrolled: 1-line block ×3, first 2 shown]
	global_load_dwordx4 v[69:72], v[70:71], off
	s_nop 0
	global_load_dwordx4 v[65:68], v[117:118], off
	global_load_dwordx4 v[61:64], v[119:120], off
	;; [unrolled: 1-line block ×18, first 2 shown]
	s_waitcnt vmcnt(0) lgkmcnt(0)
	s_barrier
	ds_read2_b64 v[117:120], v0 offset1:1
	v_lshlrev_b32_e32 v95, 4, v91
	v_mov_b32_e32 v89, 0
	s_cbranch_scc1 .LBB108_6
; %bb.4:
	v_add3_u32 v90, v95, 0, 16
	s_mov_b32 s0, 1
	v_mov_b32_e32 v89, 0
.LBB108_5:                              ; =>This Inner Loop Header: Depth=1
	s_waitcnt lgkmcnt(0)
	v_cmp_gt_f64_e32 vcc, 0, v[117:118]
	v_xor_b32_e32 v96, 0x80000000, v118
	ds_read2_b64 v[91:94], v90 offset1:1
	v_xor_b32_e32 v98, 0x80000000, v120
	v_add_u32_e32 v90, 16, v90
	s_waitcnt lgkmcnt(0)
	v_xor_b32_e32 v100, 0x80000000, v94
	v_cndmask_b32_e32 v97, v118, v96, vcc
	v_cmp_gt_f64_e32 vcc, 0, v[119:120]
	v_mov_b32_e32 v96, v117
	v_cndmask_b32_e32 v99, v120, v98, vcc
	v_cmp_gt_f64_e32 vcc, 0, v[91:92]
	v_mov_b32_e32 v98, v119
	v_add_f64 v[96:97], v[96:97], v[98:99]
	v_xor_b32_e32 v98, 0x80000000, v92
	v_cndmask_b32_e32 v99, v92, v98, vcc
	v_cmp_gt_f64_e32 vcc, 0, v[93:94]
	v_mov_b32_e32 v98, v91
	v_cndmask_b32_e32 v101, v94, v100, vcc
	v_mov_b32_e32 v100, v93
	v_add_f64 v[98:99], v[98:99], v[100:101]
	v_cmp_lt_f64_e32 vcc, v[96:97], v[98:99]
	v_cndmask_b32_e32 v117, v117, v91, vcc
	v_mov_b32_e32 v91, s0
	s_add_i32 s0, s0, 1
	v_cndmask_b32_e32 v118, v118, v92, vcc
	v_cndmask_b32_e32 v120, v120, v94, vcc
	;; [unrolled: 1-line block ×4, first 2 shown]
	s_cmp_eq_u32 s3, s0
	s_cbranch_scc0 .LBB108_5
.LBB108_6:
	s_waitcnt lgkmcnt(0)
	v_cmp_neq_f64_e32 vcc, 0, v[117:118]
	v_cmp_neq_f64_e64 s[0:1], 0, v[119:120]
	v_mov_b32_e32 v84, v76
	v_mov_b32_e32 v83, v75
	;; [unrolled: 1-line block ×7, first 2 shown]
	s_or_b64 s[18:19], vcc, s[0:1]
	s_and_saveexec_b64 s[0:1], s[18:19]
	s_cbranch_execz .LBB108_12
; %bb.7:
	v_cmp_ngt_f64_e64 s[18:19], |v[117:118]|, |v[119:120]|
	s_and_saveexec_b64 s[20:21], s[18:19]
	s_xor_b64 s[18:19], exec, s[20:21]
	s_cbranch_execz .LBB108_9
; %bb.8:
	v_div_scale_f64 v[90:91], s[20:21], v[119:120], v[119:120], v[117:118]
	v_rcp_f64_e32 v[92:93], v[90:91]
	v_fma_f64 v[96:97], -v[90:91], v[92:93], 1.0
	v_fma_f64 v[92:93], v[92:93], v[96:97], v[92:93]
	v_div_scale_f64 v[96:97], vcc, v[117:118], v[119:120], v[117:118]
	v_fma_f64 v[98:99], -v[90:91], v[92:93], 1.0
	v_fma_f64 v[92:93], v[92:93], v[98:99], v[92:93]
	v_mul_f64 v[98:99], v[96:97], v[92:93]
	v_fma_f64 v[90:91], -v[90:91], v[98:99], v[96:97]
	v_div_fmas_f64 v[90:91], v[90:91], v[92:93], v[98:99]
	v_div_fixup_f64 v[90:91], v[90:91], v[119:120], v[117:118]
	v_fma_f64 v[92:93], v[117:118], v[90:91], v[119:120]
	v_div_scale_f64 v[96:97], s[20:21], v[92:93], v[92:93], 1.0
	v_div_scale_f64 v[102:103], vcc, 1.0, v[92:93], 1.0
	v_rcp_f64_e32 v[98:99], v[96:97]
	v_fma_f64 v[100:101], -v[96:97], v[98:99], 1.0
	v_fma_f64 v[98:99], v[98:99], v[100:101], v[98:99]
	v_fma_f64 v[100:101], -v[96:97], v[98:99], 1.0
	v_fma_f64 v[98:99], v[98:99], v[100:101], v[98:99]
	v_mul_f64 v[100:101], v[102:103], v[98:99]
	v_fma_f64 v[96:97], -v[96:97], v[100:101], v[102:103]
	v_div_fmas_f64 v[96:97], v[96:97], v[98:99], v[100:101]
	v_div_fixup_f64 v[119:120], v[96:97], v[92:93], 1.0
	v_mov_b32_e32 v93, v127
	v_mul_f64 v[117:118], v[90:91], v[119:120]
	v_xor_b32_e32 v120, 0x80000000, v120
.LBB108_9:
	s_andn2_saveexec_b64 s[18:19], s[18:19]
	s_cbranch_execz .LBB108_11
; %bb.10:
	v_div_scale_f64 v[90:91], s[20:21], v[117:118], v[117:118], v[119:120]
	v_rcp_f64_e32 v[92:93], v[90:91]
	v_fma_f64 v[96:97], -v[90:91], v[92:93], 1.0
	v_fma_f64 v[92:93], v[92:93], v[96:97], v[92:93]
	v_div_scale_f64 v[96:97], vcc, v[119:120], v[117:118], v[119:120]
	v_fma_f64 v[98:99], -v[90:91], v[92:93], 1.0
	v_fma_f64 v[92:93], v[92:93], v[98:99], v[92:93]
	v_mul_f64 v[98:99], v[96:97], v[92:93]
	v_fma_f64 v[90:91], -v[90:91], v[98:99], v[96:97]
	v_div_fmas_f64 v[90:91], v[90:91], v[92:93], v[98:99]
	v_div_fixup_f64 v[90:91], v[90:91], v[117:118], v[119:120]
	v_fma_f64 v[92:93], v[119:120], v[90:91], v[117:118]
	v_div_scale_f64 v[96:97], s[20:21], v[92:93], v[92:93], 1.0
	v_div_scale_f64 v[102:103], vcc, 1.0, v[92:93], 1.0
	v_rcp_f64_e32 v[98:99], v[96:97]
	v_fma_f64 v[100:101], -v[96:97], v[98:99], 1.0
	v_fma_f64 v[98:99], v[98:99], v[100:101], v[98:99]
	v_fma_f64 v[100:101], -v[96:97], v[98:99], 1.0
	v_fma_f64 v[98:99], v[98:99], v[100:101], v[98:99]
	v_mul_f64 v[100:101], v[102:103], v[98:99]
	v_fma_f64 v[96:97], -v[96:97], v[100:101], v[102:103]
	v_div_fmas_f64 v[96:97], v[96:97], v[98:99], v[100:101]
	v_div_fixup_f64 v[117:118], v[96:97], v[92:93], 1.0
	v_mov_b32_e32 v93, v127
	v_mul_f64 v[119:120], v[90:91], -v[117:118]
.LBB108_11:
	s_or_b64 exec, exec, s[18:19]
	v_mov_b32_e32 v96, 0
	v_mov_b32_e32 v94, 2
.LBB108_12:
	s_or_b64 exec, exec, s[0:1]
	v_cmp_ne_u32_e32 vcc, v93, v89
	s_and_saveexec_b64 s[0:1], vcc
	s_xor_b64 s[0:1], exec, s[0:1]
	s_cbranch_execz .LBB108_18
; %bb.13:
	v_cmp_eq_u32_e32 vcc, 0, v93
	s_and_saveexec_b64 s[18:19], vcc
	s_cbranch_execz .LBB108_17
; %bb.14:
	v_cmp_ne_u32_e32 vcc, 0, v89
	s_xor_b64 s[20:21], s[6:7], -1
	s_and_b64 s[22:23], s[20:21], vcc
	s_and_saveexec_b64 s[20:21], s[22:23]
	s_cbranch_execz .LBB108_16
; %bb.15:
	buffer_load_dword v81, off, s[24:27], 0 offset:452 ; 4-byte Folded Reload
	buffer_load_dword v82, off, s[24:27], 0 offset:456 ; 4-byte Folded Reload
	v_ashrrev_i32_e32 v90, 31, v89
	v_lshlrev_b64 v[90:91], 2, v[89:90]
	s_waitcnt vmcnt(1)
	v_add_co_u32_e32 v90, vcc, v81, v90
	s_waitcnt vmcnt(0)
	v_addc_co_u32_e32 v91, vcc, v82, v91, vcc
	global_load_dword v92, v[90:91], off
	global_load_dword v93, v[81:82], off
	s_waitcnt vmcnt(1)
	global_store_dword v[81:82], v92, off
	v_mov_b32_e32 v84, v76
	v_mov_b32_e32 v83, v75
	;; [unrolled: 1-line block ×4, first 2 shown]
	s_waitcnt vmcnt(1)
	global_store_dword v[90:91], v93, off
.LBB108_16:
	s_or_b64 exec, exec, s[20:21]
	v_mov_b32_e32 v93, v89
.LBB108_17:
	s_or_b64 exec, exec, s[18:19]
.LBB108_18:
	s_or_saveexec_b64 s[0:1], s[0:1]
	buffer_store_dword v93, off, s[24:27], 0 offset:368 ; 4-byte Folded Spill
	s_xor_b64 exec, exec, s[0:1]
	s_cbranch_execz .LBB108_20
; %bb.19:
	buffer_load_dword v73, off, s[24:27], 0 offset:476 ; 4-byte Folded Reload
	buffer_load_dword v74, off, s[24:27], 0 offset:480 ; 4-byte Folded Reload
	;; [unrolled: 1-line block ×4, first 2 shown]
	v_mov_b32_e32 v93, 0
	s_waitcnt vmcnt(0)
	ds_write2_b64 v0, v[73:74], v[75:76] offset0:2 offset1:3
	buffer_load_dword v73, off, s[24:27], 0 offset:460 ; 4-byte Folded Reload
	buffer_load_dword v74, off, s[24:27], 0 offset:464 ; 4-byte Folded Reload
	buffer_load_dword v75, off, s[24:27], 0 offset:468 ; 4-byte Folded Reload
	buffer_load_dword v76, off, s[24:27], 0 offset:472 ; 4-byte Folded Reload
	s_waitcnt vmcnt(0)
	ds_write2_b64 v0, v[73:74], v[75:76] offset0:4 offset1:5
	buffer_load_dword v73, off, s[24:27], 0 offset:436 ; 4-byte Folded Reload
	buffer_load_dword v74, off, s[24:27], 0 offset:440 ; 4-byte Folded Reload
	buffer_load_dword v75, off, s[24:27], 0 offset:444 ; 4-byte Folded Reload
	buffer_load_dword v76, off, s[24:27], 0 offset:448 ; 4-byte Folded Reload
	;; [unrolled: 6-line block ×28, first 2 shown]
	s_waitcnt vmcnt(0)
	ds_write2_b64 v0, v[73:74], v[75:76] offset0:58 offset1:59
	ds_write2_b64 v0, v[81:82], v[83:84] offset0:60 offset1:61
	;; [unrolled: 1-line block ×6, first 2 shown]
	buffer_load_dword v73, off, s[24:27], 0 ; 4-byte Folded Reload
	buffer_load_dword v74, off, s[24:27], 0 offset:4 ; 4-byte Folded Reload
	buffer_load_dword v75, off, s[24:27], 0 offset:8 ; 4-byte Folded Reload
	;; [unrolled: 1-line block ×3, first 2 shown]
	s_waitcnt vmcnt(0)
	ds_write2_b64 v0, v[73:74], v[75:76] offset0:70 offset1:71
	ds_write2_b64 v0, v[69:70], v[71:72] offset0:72 offset1:73
	;; [unrolled: 1-line block ×20, first 2 shown]
.LBB108_20:
	s_or_b64 exec, exec, s[0:1]
	v_cmp_lt_i32_e32 vcc, 0, v93
	s_waitcnt vmcnt(0) lgkmcnt(0)
	s_barrier
	s_and_saveexec_b64 s[0:1], vcc
	s_cbranch_execz .LBB108_22
; %bb.21:
	buffer_load_dword v99, off, s[24:27], 0 offset:492 ; 4-byte Folded Reload
	buffer_load_dword v100, off, s[24:27], 0 offset:496 ; 4-byte Folded Reload
	;; [unrolled: 1-line block ×4, first 2 shown]
	s_waitcnt vmcnt(0)
	v_mul_f64 v[89:90], v[119:120], v[101:102]
	v_fma_f64 v[125:126], v[117:118], v[99:100], -v[89:90]
	v_mul_f64 v[89:90], v[117:118], v[101:102]
	v_fma_f64 v[101:102], v[119:120], v[99:100], v[89:90]
	ds_read2_b64 v[89:92], v0 offset0:2 offset1:3
	buffer_load_dword v73, off, s[24:27], 0 offset:476 ; 4-byte Folded Reload
	buffer_load_dword v74, off, s[24:27], 0 offset:480 ; 4-byte Folded Reload
	buffer_load_dword v75, off, s[24:27], 0 offset:484 ; 4-byte Folded Reload
	buffer_load_dword v76, off, s[24:27], 0 offset:488 ; 4-byte Folded Reload
	s_waitcnt lgkmcnt(0)
	v_mul_f64 v[97:98], v[91:92], v[101:102]
	v_fma_f64 v[97:98], v[89:90], v[125:126], -v[97:98]
	v_mul_f64 v[89:90], v[89:90], v[101:102]
	v_fma_f64 v[89:90], v[91:92], v[125:126], v[89:90]
	s_waitcnt vmcnt(2)
	v_add_f64 v[73:74], v[73:74], -v[97:98]
	s_waitcnt vmcnt(0)
	v_add_f64 v[75:76], v[75:76], -v[89:90]
	buffer_store_dword v73, off, s[24:27], 0 offset:476 ; 4-byte Folded Spill
	s_nop 0
	buffer_store_dword v74, off, s[24:27], 0 offset:480 ; 4-byte Folded Spill
	buffer_store_dword v75, off, s[24:27], 0 offset:484 ; 4-byte Folded Spill
	buffer_store_dword v76, off, s[24:27], 0 offset:488 ; 4-byte Folded Spill
	ds_read2_b64 v[89:92], v0 offset0:4 offset1:5
	buffer_load_dword v73, off, s[24:27], 0 offset:460 ; 4-byte Folded Reload
	buffer_load_dword v74, off, s[24:27], 0 offset:464 ; 4-byte Folded Reload
	buffer_load_dword v75, off, s[24:27], 0 offset:468 ; 4-byte Folded Reload
	buffer_load_dword v76, off, s[24:27], 0 offset:472 ; 4-byte Folded Reload
	s_waitcnt lgkmcnt(0)
	v_mul_f64 v[97:98], v[91:92], v[101:102]
	v_fma_f64 v[97:98], v[89:90], v[125:126], -v[97:98]
	v_mul_f64 v[89:90], v[89:90], v[101:102]
	v_fma_f64 v[89:90], v[91:92], v[125:126], v[89:90]
	s_waitcnt vmcnt(2)
	v_add_f64 v[73:74], v[73:74], -v[97:98]
	s_waitcnt vmcnt(0)
	v_add_f64 v[75:76], v[75:76], -v[89:90]
	buffer_store_dword v73, off, s[24:27], 0 offset:460 ; 4-byte Folded Spill
	s_nop 0
	buffer_store_dword v74, off, s[24:27], 0 offset:464 ; 4-byte Folded Spill
	buffer_store_dword v75, off, s[24:27], 0 offset:468 ; 4-byte Folded Spill
	buffer_store_dword v76, off, s[24:27], 0 offset:472 ; 4-byte Folded Spill
	;; [unrolled: 19-line block ×29, first 2 shown]
	ds_read2_b64 v[89:92], v0 offset0:60 offset1:61
	s_waitcnt lgkmcnt(0)
	v_mul_f64 v[97:98], v[91:92], v[101:102]
	v_fma_f64 v[97:98], v[89:90], v[125:126], -v[97:98]
	v_mul_f64 v[89:90], v[89:90], v[101:102]
	v_add_f64 v[81:82], v[81:82], -v[97:98]
	v_fma_f64 v[89:90], v[91:92], v[125:126], v[89:90]
	v_add_f64 v[83:84], v[83:84], -v[89:90]
	ds_read2_b64 v[89:92], v0 offset0:62 offset1:63
	s_waitcnt lgkmcnt(0)
	v_mul_f64 v[97:98], v[91:92], v[101:102]
	v_fma_f64 v[97:98], v[89:90], v[125:126], -v[97:98]
	v_mul_f64 v[89:90], v[89:90], v[101:102]
	v_add_f64 v[85:86], v[85:86], -v[97:98]
	v_fma_f64 v[89:90], v[91:92], v[125:126], v[89:90]
	v_add_f64 v[87:88], v[87:88], -v[89:90]
	;; [unrolled: 8-line block ×5, first 2 shown]
	ds_read2_b64 v[89:92], v0 offset0:70 offset1:71
	buffer_load_dword v73, off, s[24:27], 0 ; 4-byte Folded Reload
	buffer_load_dword v74, off, s[24:27], 0 offset:4 ; 4-byte Folded Reload
	buffer_load_dword v75, off, s[24:27], 0 offset:8 ; 4-byte Folded Reload
	;; [unrolled: 1-line block ×3, first 2 shown]
	s_waitcnt lgkmcnt(0)
	v_mul_f64 v[97:98], v[91:92], v[101:102]
	v_fma_f64 v[97:98], v[89:90], v[125:126], -v[97:98]
	v_mul_f64 v[89:90], v[89:90], v[101:102]
	v_fma_f64 v[89:90], v[91:92], v[125:126], v[89:90]
	s_waitcnt vmcnt(2)
	v_add_f64 v[73:74], v[73:74], -v[97:98]
	s_waitcnt vmcnt(0)
	v_add_f64 v[75:76], v[75:76], -v[89:90]
	buffer_store_dword v73, off, s[24:27], 0 ; 4-byte Folded Spill
	s_nop 0
	buffer_store_dword v74, off, s[24:27], 0 offset:4 ; 4-byte Folded Spill
	buffer_store_dword v75, off, s[24:27], 0 offset:8 ; 4-byte Folded Spill
	buffer_store_dword v76, off, s[24:27], 0 offset:12 ; 4-byte Folded Spill
	ds_read2_b64 v[89:92], v0 offset0:72 offset1:73
	s_waitcnt lgkmcnt(0)
	v_mul_f64 v[97:98], v[91:92], v[101:102]
	v_fma_f64 v[97:98], v[89:90], v[125:126], -v[97:98]
	v_mul_f64 v[89:90], v[89:90], v[101:102]
	v_add_f64 v[69:70], v[69:70], -v[97:98]
	v_fma_f64 v[89:90], v[91:92], v[125:126], v[89:90]
	v_add_f64 v[71:72], v[71:72], -v[89:90]
	ds_read2_b64 v[89:92], v0 offset0:74 offset1:75
	s_waitcnt lgkmcnt(0)
	v_mul_f64 v[97:98], v[91:92], v[101:102]
	v_fma_f64 v[97:98], v[89:90], v[125:126], -v[97:98]
	v_mul_f64 v[89:90], v[89:90], v[101:102]
	v_add_f64 v[65:66], v[65:66], -v[97:98]
	v_fma_f64 v[89:90], v[91:92], v[125:126], v[89:90]
	v_add_f64 v[67:68], v[67:68], -v[89:90]
	ds_read2_b64 v[89:92], v0 offset0:76 offset1:77
	s_waitcnt lgkmcnt(0)
	v_mul_f64 v[97:98], v[91:92], v[101:102]
	v_fma_f64 v[97:98], v[89:90], v[125:126], -v[97:98]
	v_mul_f64 v[89:90], v[89:90], v[101:102]
	v_add_f64 v[61:62], v[61:62], -v[97:98]
	v_fma_f64 v[89:90], v[91:92], v[125:126], v[89:90]
	v_add_f64 v[63:64], v[63:64], -v[89:90]
	ds_read2_b64 v[89:92], v0 offset0:78 offset1:79
	s_waitcnt lgkmcnt(0)
	v_mul_f64 v[97:98], v[91:92], v[101:102]
	v_fma_f64 v[97:98], v[89:90], v[125:126], -v[97:98]
	v_mul_f64 v[89:90], v[89:90], v[101:102]
	v_add_f64 v[57:58], v[57:58], -v[97:98]
	v_fma_f64 v[89:90], v[91:92], v[125:126], v[89:90]
	v_add_f64 v[59:60], v[59:60], -v[89:90]
	ds_read2_b64 v[89:92], v0 offset0:80 offset1:81
	s_waitcnt lgkmcnt(0)
	v_mul_f64 v[97:98], v[91:92], v[101:102]
	v_fma_f64 v[97:98], v[89:90], v[125:126], -v[97:98]
	v_mul_f64 v[89:90], v[89:90], v[101:102]
	v_add_f64 v[53:54], v[53:54], -v[97:98]
	v_fma_f64 v[89:90], v[91:92], v[125:126], v[89:90]
	v_add_f64 v[55:56], v[55:56], -v[89:90]
	ds_read2_b64 v[89:92], v0 offset0:82 offset1:83
	s_waitcnt lgkmcnt(0)
	v_mul_f64 v[97:98], v[91:92], v[101:102]
	v_fma_f64 v[97:98], v[89:90], v[125:126], -v[97:98]
	v_mul_f64 v[89:90], v[89:90], v[101:102]
	v_add_f64 v[49:50], v[49:50], -v[97:98]
	v_fma_f64 v[89:90], v[91:92], v[125:126], v[89:90]
	v_add_f64 v[51:52], v[51:52], -v[89:90]
	ds_read2_b64 v[89:92], v0 offset0:84 offset1:85
	s_waitcnt lgkmcnt(0)
	v_mul_f64 v[97:98], v[91:92], v[101:102]
	v_fma_f64 v[97:98], v[89:90], v[125:126], -v[97:98]
	v_mul_f64 v[89:90], v[89:90], v[101:102]
	v_add_f64 v[45:46], v[45:46], -v[97:98]
	v_fma_f64 v[89:90], v[91:92], v[125:126], v[89:90]
	v_add_f64 v[47:48], v[47:48], -v[89:90]
	ds_read2_b64 v[89:92], v0 offset0:86 offset1:87
	s_waitcnt lgkmcnt(0)
	v_mul_f64 v[97:98], v[91:92], v[101:102]
	v_fma_f64 v[97:98], v[89:90], v[125:126], -v[97:98]
	v_mul_f64 v[89:90], v[89:90], v[101:102]
	v_add_f64 v[41:42], v[41:42], -v[97:98]
	v_fma_f64 v[89:90], v[91:92], v[125:126], v[89:90]
	v_add_f64 v[43:44], v[43:44], -v[89:90]
	ds_read2_b64 v[89:92], v0 offset0:88 offset1:89
	s_waitcnt lgkmcnt(0)
	v_mul_f64 v[97:98], v[91:92], v[101:102]
	v_fma_f64 v[97:98], v[89:90], v[125:126], -v[97:98]
	v_mul_f64 v[89:90], v[89:90], v[101:102]
	v_add_f64 v[37:38], v[37:38], -v[97:98]
	v_fma_f64 v[89:90], v[91:92], v[125:126], v[89:90]
	v_add_f64 v[39:40], v[39:40], -v[89:90]
	ds_read2_b64 v[89:92], v0 offset0:90 offset1:91
	s_waitcnt lgkmcnt(0)
	v_mul_f64 v[97:98], v[91:92], v[101:102]
	v_fma_f64 v[97:98], v[89:90], v[125:126], -v[97:98]
	v_mul_f64 v[89:90], v[89:90], v[101:102]
	v_add_f64 v[33:34], v[33:34], -v[97:98]
	v_fma_f64 v[89:90], v[91:92], v[125:126], v[89:90]
	v_add_f64 v[35:36], v[35:36], -v[89:90]
	ds_read2_b64 v[89:92], v0 offset0:92 offset1:93
	s_waitcnt lgkmcnt(0)
	v_mul_f64 v[97:98], v[91:92], v[101:102]
	v_fma_f64 v[97:98], v[89:90], v[125:126], -v[97:98]
	v_mul_f64 v[89:90], v[89:90], v[101:102]
	v_add_f64 v[29:30], v[29:30], -v[97:98]
	v_fma_f64 v[89:90], v[91:92], v[125:126], v[89:90]
	v_add_f64 v[31:32], v[31:32], -v[89:90]
	ds_read2_b64 v[89:92], v0 offset0:94 offset1:95
	s_waitcnt lgkmcnt(0)
	v_mul_f64 v[97:98], v[91:92], v[101:102]
	v_fma_f64 v[97:98], v[89:90], v[125:126], -v[97:98]
	v_mul_f64 v[89:90], v[89:90], v[101:102]
	v_add_f64 v[25:26], v[25:26], -v[97:98]
	v_fma_f64 v[89:90], v[91:92], v[125:126], v[89:90]
	v_add_f64 v[27:28], v[27:28], -v[89:90]
	ds_read2_b64 v[89:92], v0 offset0:96 offset1:97
	s_waitcnt lgkmcnt(0)
	v_mul_f64 v[97:98], v[91:92], v[101:102]
	v_fma_f64 v[97:98], v[89:90], v[125:126], -v[97:98]
	v_mul_f64 v[89:90], v[89:90], v[101:102]
	v_add_f64 v[21:22], v[21:22], -v[97:98]
	v_fma_f64 v[89:90], v[91:92], v[125:126], v[89:90]
	v_add_f64 v[23:24], v[23:24], -v[89:90]
	ds_read2_b64 v[89:92], v0 offset0:98 offset1:99
	s_waitcnt lgkmcnt(0)
	v_mul_f64 v[97:98], v[91:92], v[101:102]
	v_fma_f64 v[97:98], v[89:90], v[125:126], -v[97:98]
	v_mul_f64 v[89:90], v[89:90], v[101:102]
	v_add_f64 v[17:18], v[17:18], -v[97:98]
	v_fma_f64 v[89:90], v[91:92], v[125:126], v[89:90]
	v_add_f64 v[19:20], v[19:20], -v[89:90]
	ds_read2_b64 v[89:92], v0 offset0:100 offset1:101
	s_waitcnt lgkmcnt(0)
	v_mul_f64 v[97:98], v[91:92], v[101:102]
	v_fma_f64 v[97:98], v[89:90], v[125:126], -v[97:98]
	v_mul_f64 v[89:90], v[89:90], v[101:102]
	v_add_f64 v[13:14], v[13:14], -v[97:98]
	v_fma_f64 v[89:90], v[91:92], v[125:126], v[89:90]
	v_add_f64 v[15:16], v[15:16], -v[89:90]
	ds_read2_b64 v[89:92], v0 offset0:102 offset1:103
	s_waitcnt lgkmcnt(0)
	v_mul_f64 v[97:98], v[91:92], v[101:102]
	v_fma_f64 v[97:98], v[89:90], v[125:126], -v[97:98]
	v_mul_f64 v[89:90], v[89:90], v[101:102]
	v_add_f64 v[9:10], v[9:10], -v[97:98]
	v_fma_f64 v[89:90], v[91:92], v[125:126], v[89:90]
	v_add_f64 v[11:12], v[11:12], -v[89:90]
	ds_read2_b64 v[89:92], v0 offset0:104 offset1:105
	s_waitcnt lgkmcnt(0)
	v_mul_f64 v[97:98], v[91:92], v[101:102]
	v_fma_f64 v[97:98], v[89:90], v[125:126], -v[97:98]
	v_mul_f64 v[89:90], v[89:90], v[101:102]
	v_add_f64 v[5:6], v[5:6], -v[97:98]
	v_fma_f64 v[89:90], v[91:92], v[125:126], v[89:90]
	v_add_f64 v[7:8], v[7:8], -v[89:90]
	ds_read2_b64 v[89:92], v0 offset0:106 offset1:107
	s_waitcnt lgkmcnt(0)
	v_mul_f64 v[97:98], v[91:92], v[101:102]
	v_fma_f64 v[97:98], v[89:90], v[125:126], -v[97:98]
	v_mul_f64 v[89:90], v[89:90], v[101:102]
	v_add_f64 v[1:2], v[1:2], -v[97:98]
	v_fma_f64 v[89:90], v[91:92], v[125:126], v[89:90]
	ds_read2_b64 v[97:100], v0 offset0:108 offset1:109
	s_waitcnt lgkmcnt(0)
	v_mul_f64 v[91:92], v[97:98], v[101:102]
	v_add_f64 v[3:4], v[3:4], -v[89:90]
	v_mul_f64 v[89:90], v[99:100], v[101:102]
	v_fma_f64 v[91:92], v[99:100], v[125:126], v[91:92]
	v_mov_b32_e32 v99, v125
	v_mov_b32_e32 v100, v126
	v_fma_f64 v[89:90], v[97:98], v[125:126], -v[89:90]
	buffer_store_dword v99, off, s[24:27], 0 offset:492 ; 4-byte Folded Spill
	s_nop 0
	buffer_store_dword v100, off, s[24:27], 0 offset:496 ; 4-byte Folded Spill
	buffer_store_dword v101, off, s[24:27], 0 offset:500 ; 4-byte Folded Spill
	;; [unrolled: 1-line block ×3, first 2 shown]
	v_add_f64 v[123:124], v[123:124], -v[91:92]
	v_add_f64 v[121:122], v[121:122], -v[89:90]
.LBB108_22:
	s_or_b64 exec, exec, s[0:1]
	s_waitcnt vmcnt(0)
	s_barrier
	buffer_load_dword v73, off, s[24:27], 0 offset:476 ; 4-byte Folded Reload
	buffer_load_dword v74, off, s[24:27], 0 offset:480 ; 4-byte Folded Reload
	;; [unrolled: 1-line block ×4, first 2 shown]
	v_lshl_add_u32 v89, v93, 4, v0
	s_cmp_lt_i32 s3, 3
	s_waitcnt vmcnt(0)
	ds_write2_b64 v89, v[73:74], v[75:76] offset1:1
	s_waitcnt lgkmcnt(0)
	s_barrier
	ds_read2_b64 v[117:120], v0 offset0:2 offset1:3
	v_mov_b32_e32 v89, 1
	s_cbranch_scc1 .LBB108_25
; %bb.23:
	v_add3_u32 v90, v95, 0, 32
	s_mov_b32 s0, 2
	v_mov_b32_e32 v89, 1
.LBB108_24:                             ; =>This Inner Loop Header: Depth=1
	s_waitcnt lgkmcnt(0)
	v_cmp_gt_f64_e32 vcc, 0, v[117:118]
	v_xor_b32_e32 v91, 0x80000000, v118
	ds_read2_b64 v[97:100], v90 offset1:1
	v_xor_b32_e32 v101, 0x80000000, v120
	v_add_u32_e32 v90, 16, v90
	s_waitcnt lgkmcnt(0)
	v_xor_b32_e32 v103, 0x80000000, v100
	v_cndmask_b32_e32 v92, v118, v91, vcc
	v_cmp_gt_f64_e32 vcc, 0, v[119:120]
	v_mov_b32_e32 v91, v117
	v_cndmask_b32_e32 v102, v120, v101, vcc
	v_cmp_gt_f64_e32 vcc, 0, v[97:98]
	v_mov_b32_e32 v101, v119
	v_add_f64 v[91:92], v[91:92], v[101:102]
	v_xor_b32_e32 v101, 0x80000000, v98
	v_cndmask_b32_e32 v102, v98, v101, vcc
	v_cmp_gt_f64_e32 vcc, 0, v[99:100]
	v_mov_b32_e32 v101, v97
	v_cndmask_b32_e32 v104, v100, v103, vcc
	v_mov_b32_e32 v103, v99
	v_add_f64 v[101:102], v[101:102], v[103:104]
	v_cmp_lt_f64_e32 vcc, v[91:92], v[101:102]
	v_mov_b32_e32 v91, s0
	s_add_i32 s0, s0, 1
	s_cmp_lg_u32 s3, s0
	v_cndmask_b32_e32 v118, v118, v98, vcc
	v_cndmask_b32_e32 v117, v117, v97, vcc
	;; [unrolled: 1-line block ×5, first 2 shown]
	s_cbranch_scc1 .LBB108_24
.LBB108_25:
	s_waitcnt lgkmcnt(0)
	v_cmp_neq_f64_e32 vcc, 0, v[117:118]
	v_cmp_neq_f64_e64 s[0:1], 0, v[119:120]
	s_or_b64 s[18:19], vcc, s[0:1]
	s_and_saveexec_b64 s[0:1], s[18:19]
	s_cbranch_execz .LBB108_31
; %bb.26:
	v_cmp_ngt_f64_e64 s[18:19], |v[117:118]|, |v[119:120]|
	s_and_saveexec_b64 s[20:21], s[18:19]
	s_xor_b64 s[18:19], exec, s[20:21]
	s_cbranch_execz .LBB108_28
; %bb.27:
	v_div_scale_f64 v[90:91], s[20:21], v[119:120], v[119:120], v[117:118]
	v_rcp_f64_e32 v[97:98], v[90:91]
	v_fma_f64 v[99:100], -v[90:91], v[97:98], 1.0
	v_fma_f64 v[97:98], v[97:98], v[99:100], v[97:98]
	v_div_scale_f64 v[99:100], vcc, v[117:118], v[119:120], v[117:118]
	v_fma_f64 v[101:102], -v[90:91], v[97:98], 1.0
	v_fma_f64 v[97:98], v[97:98], v[101:102], v[97:98]
	v_mul_f64 v[101:102], v[99:100], v[97:98]
	v_fma_f64 v[90:91], -v[90:91], v[101:102], v[99:100]
	v_div_fmas_f64 v[90:91], v[90:91], v[97:98], v[101:102]
	v_div_fixup_f64 v[90:91], v[90:91], v[119:120], v[117:118]
	v_fma_f64 v[97:98], v[117:118], v[90:91], v[119:120]
	v_div_scale_f64 v[99:100], s[20:21], v[97:98], v[97:98], 1.0
	v_div_scale_f64 v[105:106], vcc, 1.0, v[97:98], 1.0
	v_rcp_f64_e32 v[101:102], v[99:100]
	v_fma_f64 v[103:104], -v[99:100], v[101:102], 1.0
	v_fma_f64 v[101:102], v[101:102], v[103:104], v[101:102]
	v_fma_f64 v[103:104], -v[99:100], v[101:102], 1.0
	v_fma_f64 v[101:102], v[101:102], v[103:104], v[101:102]
	v_mul_f64 v[103:104], v[105:106], v[101:102]
	v_fma_f64 v[99:100], -v[99:100], v[103:104], v[105:106]
	v_div_fmas_f64 v[99:100], v[99:100], v[101:102], v[103:104]
	v_div_fixup_f64 v[119:120], v[99:100], v[97:98], 1.0
	v_mul_f64 v[117:118], v[90:91], v[119:120]
	v_xor_b32_e32 v120, 0x80000000, v120
.LBB108_28:
	s_andn2_saveexec_b64 s[18:19], s[18:19]
	s_cbranch_execz .LBB108_30
; %bb.29:
	v_div_scale_f64 v[90:91], s[20:21], v[117:118], v[117:118], v[119:120]
	v_rcp_f64_e32 v[97:98], v[90:91]
	v_fma_f64 v[99:100], -v[90:91], v[97:98], 1.0
	v_fma_f64 v[97:98], v[97:98], v[99:100], v[97:98]
	v_div_scale_f64 v[99:100], vcc, v[119:120], v[117:118], v[119:120]
	v_fma_f64 v[101:102], -v[90:91], v[97:98], 1.0
	v_fma_f64 v[97:98], v[97:98], v[101:102], v[97:98]
	v_mul_f64 v[101:102], v[99:100], v[97:98]
	v_fma_f64 v[90:91], -v[90:91], v[101:102], v[99:100]
	v_div_fmas_f64 v[90:91], v[90:91], v[97:98], v[101:102]
	v_div_fixup_f64 v[90:91], v[90:91], v[117:118], v[119:120]
	v_fma_f64 v[97:98], v[119:120], v[90:91], v[117:118]
	v_div_scale_f64 v[99:100], s[20:21], v[97:98], v[97:98], 1.0
	v_div_scale_f64 v[105:106], vcc, 1.0, v[97:98], 1.0
	v_rcp_f64_e32 v[101:102], v[99:100]
	v_fma_f64 v[103:104], -v[99:100], v[101:102], 1.0
	v_fma_f64 v[101:102], v[101:102], v[103:104], v[101:102]
	v_fma_f64 v[103:104], -v[99:100], v[101:102], 1.0
	v_fma_f64 v[101:102], v[101:102], v[103:104], v[101:102]
	v_mul_f64 v[103:104], v[105:106], v[101:102]
	v_fma_f64 v[99:100], -v[99:100], v[103:104], v[105:106]
	v_div_fmas_f64 v[99:100], v[99:100], v[101:102], v[103:104]
	v_div_fixup_f64 v[117:118], v[99:100], v[97:98], 1.0
	v_mul_f64 v[119:120], v[90:91], -v[117:118]
.LBB108_30:
	s_or_b64 exec, exec, s[18:19]
	v_mov_b32_e32 v94, v96
.LBB108_31:
	s_or_b64 exec, exec, s[0:1]
	v_cmp_ne_u32_e32 vcc, v93, v89
	s_and_saveexec_b64 s[0:1], vcc
	s_xor_b64 s[0:1], exec, s[0:1]
	s_cbranch_execz .LBB108_37
; %bb.32:
	v_cmp_eq_u32_e32 vcc, 1, v93
	s_and_saveexec_b64 s[18:19], vcc
	s_cbranch_execz .LBB108_36
; %bb.33:
	v_cmp_ne_u32_e32 vcc, 1, v89
	s_xor_b64 s[20:21], s[6:7], -1
	s_and_b64 s[22:23], s[20:21], vcc
	s_and_saveexec_b64 s[20:21], s[22:23]
	s_cbranch_execz .LBB108_35
; %bb.34:
	v_mov_b32_e32 v73, v81
	v_mov_b32_e32 v74, v82
	;; [unrolled: 1-line block ×4, first 2 shown]
	buffer_load_dword v81, off, s[24:27], 0 offset:452 ; 4-byte Folded Reload
	buffer_load_dword v82, off, s[24:27], 0 offset:456 ; 4-byte Folded Reload
	v_ashrrev_i32_e32 v90, 31, v89
	v_lshlrev_b64 v[90:91], 2, v[89:90]
	s_waitcnt vmcnt(1)
	v_add_co_u32_e32 v90, vcc, v81, v90
	s_waitcnt vmcnt(0)
	v_addc_co_u32_e32 v91, vcc, v82, v91, vcc
	global_load_dword v92, v[90:91], off
	global_load_dword v93, v[81:82], off offset:4
	s_waitcnt vmcnt(1)
	global_store_dword v[81:82], v92, off offset:4
	v_mov_b32_e32 v84, v76
	v_mov_b32_e32 v83, v75
	;; [unrolled: 1-line block ×4, first 2 shown]
	s_waitcnt vmcnt(1)
	global_store_dword v[90:91], v93, off
.LBB108_35:
	s_or_b64 exec, exec, s[20:21]
	v_mov_b32_e32 v93, v89
	v_mov_b32_e32 v73, v89
	buffer_store_dword v73, off, s[24:27], 0 offset:368 ; 4-byte Folded Spill
.LBB108_36:
	s_or_b64 exec, exec, s[18:19]
.LBB108_37:
	s_andn2_saveexec_b64 s[0:1], s[0:1]
	s_cbranch_execz .LBB108_39
; %bb.38:
	buffer_load_dword v73, off, s[24:27], 0 offset:460 ; 4-byte Folded Reload
	buffer_load_dword v74, off, s[24:27], 0 offset:464 ; 4-byte Folded Reload
	buffer_load_dword v75, off, s[24:27], 0 offset:468 ; 4-byte Folded Reload
	buffer_load_dword v76, off, s[24:27], 0 offset:472 ; 4-byte Folded Reload
	v_mov_b32_e32 v93, 1
	s_waitcnt vmcnt(0)
	ds_write2_b64 v0, v[73:74], v[75:76] offset0:4 offset1:5
	buffer_load_dword v73, off, s[24:27], 0 offset:436 ; 4-byte Folded Reload
	buffer_load_dword v74, off, s[24:27], 0 offset:440 ; 4-byte Folded Reload
	buffer_load_dword v75, off, s[24:27], 0 offset:444 ; 4-byte Folded Reload
	buffer_load_dword v76, off, s[24:27], 0 offset:448 ; 4-byte Folded Reload
	s_waitcnt vmcnt(0)
	ds_write2_b64 v0, v[73:74], v[75:76] offset0:6 offset1:7
	buffer_load_dword v73, off, s[24:27], 0 offset:420 ; 4-byte Folded Reload
	buffer_load_dword v74, off, s[24:27], 0 offset:424 ; 4-byte Folded Reload
	buffer_load_dword v75, off, s[24:27], 0 offset:428 ; 4-byte Folded Reload
	buffer_load_dword v76, off, s[24:27], 0 offset:432 ; 4-byte Folded Reload
	;; [unrolled: 6-line block ×27, first 2 shown]
	s_waitcnt vmcnt(0)
	ds_write2_b64 v0, v[73:74], v[75:76] offset0:58 offset1:59
	ds_write2_b64 v0, v[81:82], v[83:84] offset0:60 offset1:61
	;; [unrolled: 1-line block ×6, first 2 shown]
	buffer_load_dword v73, off, s[24:27], 0 ; 4-byte Folded Reload
	buffer_load_dword v74, off, s[24:27], 0 offset:4 ; 4-byte Folded Reload
	buffer_load_dword v75, off, s[24:27], 0 offset:8 ; 4-byte Folded Reload
	;; [unrolled: 1-line block ×3, first 2 shown]
	s_waitcnt vmcnt(0)
	ds_write2_b64 v0, v[73:74], v[75:76] offset0:70 offset1:71
	ds_write2_b64 v0, v[69:70], v[71:72] offset0:72 offset1:73
	;; [unrolled: 1-line block ×20, first 2 shown]
.LBB108_39:
	s_or_b64 exec, exec, s[0:1]
	v_cmp_lt_i32_e32 vcc, 1, v93
	s_waitcnt vmcnt(0) lgkmcnt(0)
	s_barrier
	s_and_saveexec_b64 s[0:1], vcc
	s_cbranch_execz .LBB108_41
; %bb.40:
	buffer_load_dword v98, off, s[24:27], 0 offset:476 ; 4-byte Folded Reload
	buffer_load_dword v99, off, s[24:27], 0 offset:480 ; 4-byte Folded Reload
	;; [unrolled: 1-line block ×4, first 2 shown]
	s_waitcnt vmcnt(0)
	v_mul_f64 v[89:90], v[119:120], v[100:101]
	v_fma_f64 v[125:126], v[117:118], v[98:99], -v[89:90]
	v_mul_f64 v[89:90], v[117:118], v[100:101]
	v_fma_f64 v[100:101], v[119:120], v[98:99], v[89:90]
	ds_read2_b64 v[89:92], v0 offset0:4 offset1:5
	buffer_load_dword v73, off, s[24:27], 0 offset:460 ; 4-byte Folded Reload
	buffer_load_dword v74, off, s[24:27], 0 offset:464 ; 4-byte Folded Reload
	buffer_load_dword v75, off, s[24:27], 0 offset:468 ; 4-byte Folded Reload
	buffer_load_dword v76, off, s[24:27], 0 offset:472 ; 4-byte Folded Reload
	s_waitcnt lgkmcnt(0)
	v_mul_f64 v[96:97], v[91:92], v[100:101]
	v_fma_f64 v[96:97], v[89:90], v[125:126], -v[96:97]
	v_mul_f64 v[89:90], v[89:90], v[100:101]
	v_fma_f64 v[89:90], v[91:92], v[125:126], v[89:90]
	s_waitcnt vmcnt(2)
	v_add_f64 v[73:74], v[73:74], -v[96:97]
	s_waitcnt vmcnt(0)
	v_add_f64 v[75:76], v[75:76], -v[89:90]
	buffer_store_dword v73, off, s[24:27], 0 offset:460 ; 4-byte Folded Spill
	s_nop 0
	buffer_store_dword v74, off, s[24:27], 0 offset:464 ; 4-byte Folded Spill
	buffer_store_dword v75, off, s[24:27], 0 offset:468 ; 4-byte Folded Spill
	buffer_store_dword v76, off, s[24:27], 0 offset:472 ; 4-byte Folded Spill
	ds_read2_b64 v[89:92], v0 offset0:6 offset1:7
	buffer_load_dword v73, off, s[24:27], 0 offset:436 ; 4-byte Folded Reload
	buffer_load_dword v74, off, s[24:27], 0 offset:440 ; 4-byte Folded Reload
	buffer_load_dword v75, off, s[24:27], 0 offset:444 ; 4-byte Folded Reload
	buffer_load_dword v76, off, s[24:27], 0 offset:448 ; 4-byte Folded Reload
	s_waitcnt lgkmcnt(0)
	v_mul_f64 v[96:97], v[91:92], v[100:101]
	v_fma_f64 v[96:97], v[89:90], v[125:126], -v[96:97]
	v_mul_f64 v[89:90], v[89:90], v[100:101]
	v_fma_f64 v[89:90], v[91:92], v[125:126], v[89:90]
	s_waitcnt vmcnt(2)
	v_add_f64 v[73:74], v[73:74], -v[96:97]
	s_waitcnt vmcnt(0)
	v_add_f64 v[75:76], v[75:76], -v[89:90]
	buffer_store_dword v73, off, s[24:27], 0 offset:436 ; 4-byte Folded Spill
	s_nop 0
	buffer_store_dword v74, off, s[24:27], 0 offset:440 ; 4-byte Folded Spill
	buffer_store_dword v75, off, s[24:27], 0 offset:444 ; 4-byte Folded Spill
	buffer_store_dword v76, off, s[24:27], 0 offset:448 ; 4-byte Folded Spill
	;; [unrolled: 19-line block ×28, first 2 shown]
	ds_read2_b64 v[89:92], v0 offset0:60 offset1:61
	s_waitcnt lgkmcnt(0)
	v_mul_f64 v[96:97], v[91:92], v[100:101]
	v_fma_f64 v[96:97], v[89:90], v[125:126], -v[96:97]
	v_mul_f64 v[89:90], v[89:90], v[100:101]
	v_add_f64 v[81:82], v[81:82], -v[96:97]
	v_fma_f64 v[89:90], v[91:92], v[125:126], v[89:90]
	v_add_f64 v[83:84], v[83:84], -v[89:90]
	ds_read2_b64 v[89:92], v0 offset0:62 offset1:63
	s_waitcnt lgkmcnt(0)
	v_mul_f64 v[96:97], v[91:92], v[100:101]
	v_fma_f64 v[96:97], v[89:90], v[125:126], -v[96:97]
	v_mul_f64 v[89:90], v[89:90], v[100:101]
	v_add_f64 v[85:86], v[85:86], -v[96:97]
	v_fma_f64 v[89:90], v[91:92], v[125:126], v[89:90]
	v_add_f64 v[87:88], v[87:88], -v[89:90]
	;; [unrolled: 8-line block ×5, first 2 shown]
	ds_read2_b64 v[89:92], v0 offset0:70 offset1:71
	buffer_load_dword v73, off, s[24:27], 0 ; 4-byte Folded Reload
	buffer_load_dword v74, off, s[24:27], 0 offset:4 ; 4-byte Folded Reload
	buffer_load_dword v75, off, s[24:27], 0 offset:8 ; 4-byte Folded Reload
	;; [unrolled: 1-line block ×3, first 2 shown]
	s_waitcnt lgkmcnt(0)
	v_mul_f64 v[96:97], v[91:92], v[100:101]
	v_fma_f64 v[96:97], v[89:90], v[125:126], -v[96:97]
	v_mul_f64 v[89:90], v[89:90], v[100:101]
	v_fma_f64 v[89:90], v[91:92], v[125:126], v[89:90]
	s_waitcnt vmcnt(2)
	v_add_f64 v[73:74], v[73:74], -v[96:97]
	s_waitcnt vmcnt(0)
	v_add_f64 v[75:76], v[75:76], -v[89:90]
	buffer_store_dword v73, off, s[24:27], 0 ; 4-byte Folded Spill
	s_nop 0
	buffer_store_dword v74, off, s[24:27], 0 offset:4 ; 4-byte Folded Spill
	buffer_store_dword v75, off, s[24:27], 0 offset:8 ; 4-byte Folded Spill
	;; [unrolled: 1-line block ×3, first 2 shown]
	ds_read2_b64 v[89:92], v0 offset0:72 offset1:73
	s_waitcnt lgkmcnt(0)
	v_mul_f64 v[96:97], v[91:92], v[100:101]
	v_fma_f64 v[96:97], v[89:90], v[125:126], -v[96:97]
	v_mul_f64 v[89:90], v[89:90], v[100:101]
	v_add_f64 v[69:70], v[69:70], -v[96:97]
	v_fma_f64 v[89:90], v[91:92], v[125:126], v[89:90]
	v_add_f64 v[71:72], v[71:72], -v[89:90]
	ds_read2_b64 v[89:92], v0 offset0:74 offset1:75
	s_waitcnt lgkmcnt(0)
	v_mul_f64 v[96:97], v[91:92], v[100:101]
	v_fma_f64 v[96:97], v[89:90], v[125:126], -v[96:97]
	v_mul_f64 v[89:90], v[89:90], v[100:101]
	v_add_f64 v[65:66], v[65:66], -v[96:97]
	v_fma_f64 v[89:90], v[91:92], v[125:126], v[89:90]
	v_add_f64 v[67:68], v[67:68], -v[89:90]
	;; [unrolled: 8-line block ×17, first 2 shown]
	ds_read2_b64 v[89:92], v0 offset0:106 offset1:107
	s_waitcnt lgkmcnt(0)
	v_mul_f64 v[96:97], v[91:92], v[100:101]
	v_fma_f64 v[96:97], v[89:90], v[125:126], -v[96:97]
	v_mul_f64 v[89:90], v[89:90], v[100:101]
	v_add_f64 v[1:2], v[1:2], -v[96:97]
	v_fma_f64 v[89:90], v[91:92], v[125:126], v[89:90]
	ds_read2_b64 v[96:99], v0 offset0:108 offset1:109
	s_waitcnt lgkmcnt(0)
	v_mul_f64 v[91:92], v[96:97], v[100:101]
	v_add_f64 v[3:4], v[3:4], -v[89:90]
	v_mul_f64 v[89:90], v[98:99], v[100:101]
	v_fma_f64 v[91:92], v[98:99], v[125:126], v[91:92]
	v_mov_b32_e32 v98, v125
	v_mov_b32_e32 v99, v126
	v_fma_f64 v[89:90], v[96:97], v[125:126], -v[89:90]
	buffer_store_dword v98, off, s[24:27], 0 offset:476 ; 4-byte Folded Spill
	s_nop 0
	buffer_store_dword v99, off, s[24:27], 0 offset:480 ; 4-byte Folded Spill
	buffer_store_dword v100, off, s[24:27], 0 offset:484 ; 4-byte Folded Spill
	;; [unrolled: 1-line block ×3, first 2 shown]
	v_add_f64 v[123:124], v[123:124], -v[91:92]
	v_add_f64 v[121:122], v[121:122], -v[89:90]
.LBB108_41:
	s_or_b64 exec, exec, s[0:1]
	s_waitcnt vmcnt(0)
	s_barrier
	buffer_load_dword v73, off, s[24:27], 0 offset:460 ; 4-byte Folded Reload
	buffer_load_dword v74, off, s[24:27], 0 offset:464 ; 4-byte Folded Reload
	;; [unrolled: 1-line block ×4, first 2 shown]
	v_lshl_add_u32 v89, v93, 4, v0
	s_cmp_lt_i32 s3, 4
	s_waitcnt vmcnt(0)
	ds_write2_b64 v89, v[73:74], v[75:76] offset1:1
	s_waitcnt lgkmcnt(0)
	s_barrier
	ds_read2_b64 v[117:120], v0 offset0:4 offset1:5
	v_mov_b32_e32 v89, 2
	s_cbranch_scc1 .LBB108_44
; %bb.42:
	v_add3_u32 v90, v95, 0, 48
	s_mov_b32 s0, 3
	v_mov_b32_e32 v89, 2
.LBB108_43:                             ; =>This Inner Loop Header: Depth=1
	s_waitcnt lgkmcnt(0)
	v_cmp_gt_f64_e32 vcc, 0, v[117:118]
	v_xor_b32_e32 v91, 0x80000000, v118
	ds_read2_b64 v[96:99], v90 offset1:1
	v_xor_b32_e32 v100, 0x80000000, v120
	v_add_u32_e32 v90, 16, v90
	s_waitcnt lgkmcnt(0)
	v_xor_b32_e32 v102, 0x80000000, v99
	v_cndmask_b32_e32 v92, v118, v91, vcc
	v_cmp_gt_f64_e32 vcc, 0, v[119:120]
	v_mov_b32_e32 v91, v117
	v_cndmask_b32_e32 v101, v120, v100, vcc
	v_cmp_gt_f64_e32 vcc, 0, v[96:97]
	v_mov_b32_e32 v100, v119
	v_add_f64 v[91:92], v[91:92], v[100:101]
	v_xor_b32_e32 v100, 0x80000000, v97
	v_cndmask_b32_e32 v101, v97, v100, vcc
	v_cmp_gt_f64_e32 vcc, 0, v[98:99]
	v_mov_b32_e32 v100, v96
	v_cndmask_b32_e32 v103, v99, v102, vcc
	v_mov_b32_e32 v102, v98
	v_add_f64 v[100:101], v[100:101], v[102:103]
	v_cmp_lt_f64_e32 vcc, v[91:92], v[100:101]
	v_mov_b32_e32 v91, s0
	s_add_i32 s0, s0, 1
	s_cmp_lg_u32 s3, s0
	v_cndmask_b32_e32 v118, v118, v97, vcc
	v_cndmask_b32_e32 v117, v117, v96, vcc
	;; [unrolled: 1-line block ×5, first 2 shown]
	s_cbranch_scc1 .LBB108_43
.LBB108_44:
	s_waitcnt lgkmcnt(0)
	v_cmp_eq_f64_e32 vcc, 0, v[117:118]
	v_cmp_eq_f64_e64 s[0:1], 0, v[119:120]
	s_and_b64 s[0:1], vcc, s[0:1]
	s_and_saveexec_b64 s[18:19], s[0:1]
	s_xor_b64 s[0:1], exec, s[18:19]
; %bb.45:
	v_cmp_ne_u32_e32 vcc, 0, v94
	v_cndmask_b32_e32 v94, 3, v94, vcc
; %bb.46:
	s_andn2_saveexec_b64 s[0:1], s[0:1]
	s_cbranch_execz .LBB108_52
; %bb.47:
	v_cmp_ngt_f64_e64 s[18:19], |v[117:118]|, |v[119:120]|
	s_and_saveexec_b64 s[20:21], s[18:19]
	s_xor_b64 s[18:19], exec, s[20:21]
	s_cbranch_execz .LBB108_49
; %bb.48:
	v_div_scale_f64 v[90:91], s[20:21], v[119:120], v[119:120], v[117:118]
	v_rcp_f64_e32 v[96:97], v[90:91]
	v_fma_f64 v[98:99], -v[90:91], v[96:97], 1.0
	v_fma_f64 v[96:97], v[96:97], v[98:99], v[96:97]
	v_div_scale_f64 v[98:99], vcc, v[117:118], v[119:120], v[117:118]
	v_fma_f64 v[100:101], -v[90:91], v[96:97], 1.0
	v_fma_f64 v[96:97], v[96:97], v[100:101], v[96:97]
	v_mul_f64 v[100:101], v[98:99], v[96:97]
	v_fma_f64 v[90:91], -v[90:91], v[100:101], v[98:99]
	v_div_fmas_f64 v[90:91], v[90:91], v[96:97], v[100:101]
	v_div_fixup_f64 v[90:91], v[90:91], v[119:120], v[117:118]
	v_fma_f64 v[96:97], v[117:118], v[90:91], v[119:120]
	v_div_scale_f64 v[98:99], s[20:21], v[96:97], v[96:97], 1.0
	v_div_scale_f64 v[104:105], vcc, 1.0, v[96:97], 1.0
	v_rcp_f64_e32 v[100:101], v[98:99]
	v_fma_f64 v[102:103], -v[98:99], v[100:101], 1.0
	v_fma_f64 v[100:101], v[100:101], v[102:103], v[100:101]
	v_fma_f64 v[102:103], -v[98:99], v[100:101], 1.0
	v_fma_f64 v[100:101], v[100:101], v[102:103], v[100:101]
	v_mul_f64 v[102:103], v[104:105], v[100:101]
	v_fma_f64 v[98:99], -v[98:99], v[102:103], v[104:105]
	v_div_fmas_f64 v[98:99], v[98:99], v[100:101], v[102:103]
	v_div_fixup_f64 v[119:120], v[98:99], v[96:97], 1.0
	v_mul_f64 v[117:118], v[90:91], v[119:120]
	v_xor_b32_e32 v120, 0x80000000, v120
.LBB108_49:
	s_andn2_saveexec_b64 s[18:19], s[18:19]
	s_cbranch_execz .LBB108_51
; %bb.50:
	v_div_scale_f64 v[90:91], s[20:21], v[117:118], v[117:118], v[119:120]
	v_rcp_f64_e32 v[96:97], v[90:91]
	v_fma_f64 v[98:99], -v[90:91], v[96:97], 1.0
	v_fma_f64 v[96:97], v[96:97], v[98:99], v[96:97]
	v_div_scale_f64 v[98:99], vcc, v[119:120], v[117:118], v[119:120]
	v_fma_f64 v[100:101], -v[90:91], v[96:97], 1.0
	v_fma_f64 v[96:97], v[96:97], v[100:101], v[96:97]
	v_mul_f64 v[100:101], v[98:99], v[96:97]
	v_fma_f64 v[90:91], -v[90:91], v[100:101], v[98:99]
	v_div_fmas_f64 v[90:91], v[90:91], v[96:97], v[100:101]
	v_div_fixup_f64 v[90:91], v[90:91], v[117:118], v[119:120]
	v_fma_f64 v[96:97], v[119:120], v[90:91], v[117:118]
	v_div_scale_f64 v[98:99], s[20:21], v[96:97], v[96:97], 1.0
	v_div_scale_f64 v[104:105], vcc, 1.0, v[96:97], 1.0
	v_rcp_f64_e32 v[100:101], v[98:99]
	v_fma_f64 v[102:103], -v[98:99], v[100:101], 1.0
	v_fma_f64 v[100:101], v[100:101], v[102:103], v[100:101]
	v_fma_f64 v[102:103], -v[98:99], v[100:101], 1.0
	v_fma_f64 v[100:101], v[100:101], v[102:103], v[100:101]
	v_mul_f64 v[102:103], v[104:105], v[100:101]
	v_fma_f64 v[98:99], -v[98:99], v[102:103], v[104:105]
	v_div_fmas_f64 v[98:99], v[98:99], v[100:101], v[102:103]
	v_div_fixup_f64 v[117:118], v[98:99], v[96:97], 1.0
	v_mul_f64 v[119:120], v[90:91], -v[117:118]
.LBB108_51:
	s_or_b64 exec, exec, s[18:19]
.LBB108_52:
	s_or_b64 exec, exec, s[0:1]
	v_cmp_ne_u32_e32 vcc, v93, v89
	s_and_saveexec_b64 s[0:1], vcc
	s_xor_b64 s[0:1], exec, s[0:1]
	s_cbranch_execz .LBB108_58
; %bb.53:
	v_cmp_eq_u32_e32 vcc, 2, v93
	s_and_saveexec_b64 s[18:19], vcc
	s_cbranch_execz .LBB108_57
; %bb.54:
	v_cmp_ne_u32_e32 vcc, 2, v89
	s_xor_b64 s[20:21], s[6:7], -1
	s_and_b64 s[22:23], s[20:21], vcc
	s_and_saveexec_b64 s[20:21], s[22:23]
	s_cbranch_execz .LBB108_56
; %bb.55:
	v_mov_b32_e32 v73, v81
	v_mov_b32_e32 v74, v82
	;; [unrolled: 1-line block ×4, first 2 shown]
	buffer_load_dword v81, off, s[24:27], 0 offset:452 ; 4-byte Folded Reload
	buffer_load_dword v82, off, s[24:27], 0 offset:456 ; 4-byte Folded Reload
	v_ashrrev_i32_e32 v90, 31, v89
	v_lshlrev_b64 v[90:91], 2, v[89:90]
	s_waitcnt vmcnt(1)
	v_add_co_u32_e32 v90, vcc, v81, v90
	s_waitcnt vmcnt(0)
	v_addc_co_u32_e32 v91, vcc, v82, v91, vcc
	global_load_dword v92, v[90:91], off
	global_load_dword v93, v[81:82], off offset:8
	s_waitcnt vmcnt(1)
	global_store_dword v[81:82], v92, off offset:8
	v_mov_b32_e32 v84, v76
	v_mov_b32_e32 v83, v75
	;; [unrolled: 1-line block ×4, first 2 shown]
	s_waitcnt vmcnt(1)
	global_store_dword v[90:91], v93, off
.LBB108_56:
	s_or_b64 exec, exec, s[20:21]
	v_mov_b32_e32 v93, v89
	v_mov_b32_e32 v73, v89
	buffer_store_dword v73, off, s[24:27], 0 offset:368 ; 4-byte Folded Spill
.LBB108_57:
	s_or_b64 exec, exec, s[18:19]
.LBB108_58:
	s_andn2_saveexec_b64 s[0:1], s[0:1]
	s_cbranch_execz .LBB108_60
; %bb.59:
	buffer_load_dword v73, off, s[24:27], 0 offset:436 ; 4-byte Folded Reload
	buffer_load_dword v74, off, s[24:27], 0 offset:440 ; 4-byte Folded Reload
	;; [unrolled: 1-line block ×4, first 2 shown]
	v_mov_b32_e32 v93, 2
	s_waitcnt vmcnt(0)
	ds_write2_b64 v0, v[73:74], v[75:76] offset0:6 offset1:7
	buffer_load_dword v73, off, s[24:27], 0 offset:420 ; 4-byte Folded Reload
	buffer_load_dword v74, off, s[24:27], 0 offset:424 ; 4-byte Folded Reload
	buffer_load_dword v75, off, s[24:27], 0 offset:428 ; 4-byte Folded Reload
	buffer_load_dword v76, off, s[24:27], 0 offset:432 ; 4-byte Folded Reload
	s_waitcnt vmcnt(0)
	ds_write2_b64 v0, v[73:74], v[75:76] offset0:8 offset1:9
	buffer_load_dword v73, off, s[24:27], 0 offset:404 ; 4-byte Folded Reload
	buffer_load_dword v74, off, s[24:27], 0 offset:408 ; 4-byte Folded Reload
	buffer_load_dword v75, off, s[24:27], 0 offset:412 ; 4-byte Folded Reload
	buffer_load_dword v76, off, s[24:27], 0 offset:416 ; 4-byte Folded Reload
	;; [unrolled: 6-line block ×26, first 2 shown]
	s_waitcnt vmcnt(0)
	ds_write2_b64 v0, v[73:74], v[75:76] offset0:58 offset1:59
	ds_write2_b64 v0, v[81:82], v[83:84] offset0:60 offset1:61
	;; [unrolled: 1-line block ×6, first 2 shown]
	buffer_load_dword v73, off, s[24:27], 0 ; 4-byte Folded Reload
	buffer_load_dword v74, off, s[24:27], 0 offset:4 ; 4-byte Folded Reload
	buffer_load_dword v75, off, s[24:27], 0 offset:8 ; 4-byte Folded Reload
	;; [unrolled: 1-line block ×3, first 2 shown]
	s_waitcnt vmcnt(0)
	ds_write2_b64 v0, v[73:74], v[75:76] offset0:70 offset1:71
	ds_write2_b64 v0, v[69:70], v[71:72] offset0:72 offset1:73
	;; [unrolled: 1-line block ×20, first 2 shown]
.LBB108_60:
	s_or_b64 exec, exec, s[0:1]
	v_cmp_lt_i32_e32 vcc, 2, v93
	s_waitcnt vmcnt(0) lgkmcnt(0)
	s_barrier
	s_and_saveexec_b64 s[0:1], vcc
	s_cbranch_execz .LBB108_62
; %bb.61:
	buffer_load_dword v98, off, s[24:27], 0 offset:460 ; 4-byte Folded Reload
	buffer_load_dword v99, off, s[24:27], 0 offset:464 ; 4-byte Folded Reload
	;; [unrolled: 1-line block ×4, first 2 shown]
	s_waitcnt vmcnt(0)
	v_mul_f64 v[89:90], v[119:120], v[100:101]
	v_fma_f64 v[125:126], v[117:118], v[98:99], -v[89:90]
	v_mul_f64 v[89:90], v[117:118], v[100:101]
	v_fma_f64 v[100:101], v[119:120], v[98:99], v[89:90]
	ds_read2_b64 v[89:92], v0 offset0:6 offset1:7
	buffer_load_dword v73, off, s[24:27], 0 offset:436 ; 4-byte Folded Reload
	buffer_load_dword v74, off, s[24:27], 0 offset:440 ; 4-byte Folded Reload
	buffer_load_dword v75, off, s[24:27], 0 offset:444 ; 4-byte Folded Reload
	buffer_load_dword v76, off, s[24:27], 0 offset:448 ; 4-byte Folded Reload
	s_waitcnt lgkmcnt(0)
	v_mul_f64 v[96:97], v[91:92], v[100:101]
	v_fma_f64 v[96:97], v[89:90], v[125:126], -v[96:97]
	v_mul_f64 v[89:90], v[89:90], v[100:101]
	v_fma_f64 v[89:90], v[91:92], v[125:126], v[89:90]
	s_waitcnt vmcnt(2)
	v_add_f64 v[73:74], v[73:74], -v[96:97]
	s_waitcnt vmcnt(0)
	v_add_f64 v[75:76], v[75:76], -v[89:90]
	buffer_store_dword v73, off, s[24:27], 0 offset:436 ; 4-byte Folded Spill
	s_nop 0
	buffer_store_dword v74, off, s[24:27], 0 offset:440 ; 4-byte Folded Spill
	buffer_store_dword v75, off, s[24:27], 0 offset:444 ; 4-byte Folded Spill
	buffer_store_dword v76, off, s[24:27], 0 offset:448 ; 4-byte Folded Spill
	ds_read2_b64 v[89:92], v0 offset0:8 offset1:9
	buffer_load_dword v73, off, s[24:27], 0 offset:420 ; 4-byte Folded Reload
	buffer_load_dword v74, off, s[24:27], 0 offset:424 ; 4-byte Folded Reload
	buffer_load_dword v75, off, s[24:27], 0 offset:428 ; 4-byte Folded Reload
	buffer_load_dword v76, off, s[24:27], 0 offset:432 ; 4-byte Folded Reload
	s_waitcnt lgkmcnt(0)
	v_mul_f64 v[96:97], v[91:92], v[100:101]
	v_fma_f64 v[96:97], v[89:90], v[125:126], -v[96:97]
	v_mul_f64 v[89:90], v[89:90], v[100:101]
	v_fma_f64 v[89:90], v[91:92], v[125:126], v[89:90]
	s_waitcnt vmcnt(2)
	v_add_f64 v[73:74], v[73:74], -v[96:97]
	s_waitcnt vmcnt(0)
	v_add_f64 v[75:76], v[75:76], -v[89:90]
	buffer_store_dword v73, off, s[24:27], 0 offset:420 ; 4-byte Folded Spill
	s_nop 0
	buffer_store_dword v74, off, s[24:27], 0 offset:424 ; 4-byte Folded Spill
	buffer_store_dword v75, off, s[24:27], 0 offset:428 ; 4-byte Folded Spill
	buffer_store_dword v76, off, s[24:27], 0 offset:432 ; 4-byte Folded Spill
	;; [unrolled: 19-line block ×27, first 2 shown]
	ds_read2_b64 v[89:92], v0 offset0:60 offset1:61
	s_waitcnt lgkmcnt(0)
	v_mul_f64 v[96:97], v[91:92], v[100:101]
	v_fma_f64 v[96:97], v[89:90], v[125:126], -v[96:97]
	v_mul_f64 v[89:90], v[89:90], v[100:101]
	v_add_f64 v[81:82], v[81:82], -v[96:97]
	v_fma_f64 v[89:90], v[91:92], v[125:126], v[89:90]
	v_add_f64 v[83:84], v[83:84], -v[89:90]
	ds_read2_b64 v[89:92], v0 offset0:62 offset1:63
	s_waitcnt lgkmcnt(0)
	v_mul_f64 v[96:97], v[91:92], v[100:101]
	v_fma_f64 v[96:97], v[89:90], v[125:126], -v[96:97]
	v_mul_f64 v[89:90], v[89:90], v[100:101]
	v_add_f64 v[85:86], v[85:86], -v[96:97]
	v_fma_f64 v[89:90], v[91:92], v[125:126], v[89:90]
	v_add_f64 v[87:88], v[87:88], -v[89:90]
	;; [unrolled: 8-line block ×5, first 2 shown]
	ds_read2_b64 v[89:92], v0 offset0:70 offset1:71
	buffer_load_dword v73, off, s[24:27], 0 ; 4-byte Folded Reload
	buffer_load_dword v74, off, s[24:27], 0 offset:4 ; 4-byte Folded Reload
	buffer_load_dword v75, off, s[24:27], 0 offset:8 ; 4-byte Folded Reload
	;; [unrolled: 1-line block ×3, first 2 shown]
	s_waitcnt lgkmcnt(0)
	v_mul_f64 v[96:97], v[91:92], v[100:101]
	v_fma_f64 v[96:97], v[89:90], v[125:126], -v[96:97]
	v_mul_f64 v[89:90], v[89:90], v[100:101]
	v_fma_f64 v[89:90], v[91:92], v[125:126], v[89:90]
	s_waitcnt vmcnt(2)
	v_add_f64 v[73:74], v[73:74], -v[96:97]
	s_waitcnt vmcnt(0)
	v_add_f64 v[75:76], v[75:76], -v[89:90]
	buffer_store_dword v73, off, s[24:27], 0 ; 4-byte Folded Spill
	s_nop 0
	buffer_store_dword v74, off, s[24:27], 0 offset:4 ; 4-byte Folded Spill
	buffer_store_dword v75, off, s[24:27], 0 offset:8 ; 4-byte Folded Spill
	;; [unrolled: 1-line block ×3, first 2 shown]
	ds_read2_b64 v[89:92], v0 offset0:72 offset1:73
	s_waitcnt lgkmcnt(0)
	v_mul_f64 v[96:97], v[91:92], v[100:101]
	v_fma_f64 v[96:97], v[89:90], v[125:126], -v[96:97]
	v_mul_f64 v[89:90], v[89:90], v[100:101]
	v_add_f64 v[69:70], v[69:70], -v[96:97]
	v_fma_f64 v[89:90], v[91:92], v[125:126], v[89:90]
	v_add_f64 v[71:72], v[71:72], -v[89:90]
	ds_read2_b64 v[89:92], v0 offset0:74 offset1:75
	s_waitcnt lgkmcnt(0)
	v_mul_f64 v[96:97], v[91:92], v[100:101]
	v_fma_f64 v[96:97], v[89:90], v[125:126], -v[96:97]
	v_mul_f64 v[89:90], v[89:90], v[100:101]
	v_add_f64 v[65:66], v[65:66], -v[96:97]
	v_fma_f64 v[89:90], v[91:92], v[125:126], v[89:90]
	v_add_f64 v[67:68], v[67:68], -v[89:90]
	;; [unrolled: 8-line block ×17, first 2 shown]
	ds_read2_b64 v[89:92], v0 offset0:106 offset1:107
	s_waitcnt lgkmcnt(0)
	v_mul_f64 v[96:97], v[91:92], v[100:101]
	v_fma_f64 v[96:97], v[89:90], v[125:126], -v[96:97]
	v_mul_f64 v[89:90], v[89:90], v[100:101]
	v_add_f64 v[1:2], v[1:2], -v[96:97]
	v_fma_f64 v[89:90], v[91:92], v[125:126], v[89:90]
	ds_read2_b64 v[96:99], v0 offset0:108 offset1:109
	s_waitcnt lgkmcnt(0)
	v_mul_f64 v[91:92], v[96:97], v[100:101]
	v_add_f64 v[3:4], v[3:4], -v[89:90]
	v_mul_f64 v[89:90], v[98:99], v[100:101]
	v_fma_f64 v[91:92], v[98:99], v[125:126], v[91:92]
	v_mov_b32_e32 v98, v125
	v_mov_b32_e32 v99, v126
	v_fma_f64 v[89:90], v[96:97], v[125:126], -v[89:90]
	buffer_store_dword v98, off, s[24:27], 0 offset:460 ; 4-byte Folded Spill
	s_nop 0
	buffer_store_dword v99, off, s[24:27], 0 offset:464 ; 4-byte Folded Spill
	buffer_store_dword v100, off, s[24:27], 0 offset:468 ; 4-byte Folded Spill
	;; [unrolled: 1-line block ×3, first 2 shown]
	v_add_f64 v[123:124], v[123:124], -v[91:92]
	v_add_f64 v[121:122], v[121:122], -v[89:90]
.LBB108_62:
	s_or_b64 exec, exec, s[0:1]
	s_waitcnt vmcnt(0)
	s_barrier
	buffer_load_dword v73, off, s[24:27], 0 offset:436 ; 4-byte Folded Reload
	buffer_load_dword v74, off, s[24:27], 0 offset:440 ; 4-byte Folded Reload
	;; [unrolled: 1-line block ×4, first 2 shown]
	v_lshl_add_u32 v89, v93, 4, v0
	s_mov_b32 s0, 4
	s_cmp_lt_i32 s3, 5
	s_waitcnt vmcnt(0)
	ds_write2_b64 v89, v[73:74], v[75:76] offset1:1
	s_waitcnt lgkmcnt(0)
	s_barrier
	ds_read2_b64 v[117:120], v0 offset0:6 offset1:7
	v_mov_b32_e32 v89, 3
	s_cbranch_scc1 .LBB108_65
; %bb.63:
	v_add3_u32 v90, v95, 0, 64
	v_mov_b32_e32 v89, 3
.LBB108_64:                             ; =>This Inner Loop Header: Depth=1
	s_waitcnt lgkmcnt(0)
	v_cmp_gt_f64_e32 vcc, 0, v[117:118]
	v_xor_b32_e32 v91, 0x80000000, v118
	ds_read2_b64 v[95:98], v90 offset1:1
	v_xor_b32_e32 v99, 0x80000000, v120
	v_add_u32_e32 v90, 16, v90
	s_waitcnt lgkmcnt(0)
	v_xor_b32_e32 v101, 0x80000000, v98
	v_cndmask_b32_e32 v92, v118, v91, vcc
	v_cmp_gt_f64_e32 vcc, 0, v[119:120]
	v_mov_b32_e32 v91, v117
	v_cndmask_b32_e32 v100, v120, v99, vcc
	v_cmp_gt_f64_e32 vcc, 0, v[95:96]
	v_mov_b32_e32 v99, v119
	v_add_f64 v[91:92], v[91:92], v[99:100]
	v_xor_b32_e32 v99, 0x80000000, v96
	v_cndmask_b32_e32 v100, v96, v99, vcc
	v_cmp_gt_f64_e32 vcc, 0, v[97:98]
	v_mov_b32_e32 v99, v95
	v_cndmask_b32_e32 v102, v98, v101, vcc
	v_mov_b32_e32 v101, v97
	v_add_f64 v[99:100], v[99:100], v[101:102]
	v_cmp_lt_f64_e32 vcc, v[91:92], v[99:100]
	v_mov_b32_e32 v91, s0
	s_add_i32 s0, s0, 1
	s_cmp_lg_u32 s3, s0
	v_cndmask_b32_e32 v118, v118, v96, vcc
	v_cndmask_b32_e32 v117, v117, v95, vcc
	;; [unrolled: 1-line block ×5, first 2 shown]
	s_cbranch_scc1 .LBB108_64
.LBB108_65:
	s_waitcnt lgkmcnt(0)
	v_cmp_eq_f64_e32 vcc, 0, v[117:118]
	v_cmp_eq_f64_e64 s[0:1], 0, v[119:120]
	s_and_b64 s[0:1], vcc, s[0:1]
	s_and_saveexec_b64 s[18:19], s[0:1]
	s_xor_b64 s[0:1], exec, s[18:19]
; %bb.66:
	v_cmp_ne_u32_e32 vcc, 0, v94
	v_cndmask_b32_e32 v94, 4, v94, vcc
; %bb.67:
	s_andn2_saveexec_b64 s[0:1], s[0:1]
	s_cbranch_execz .LBB108_73
; %bb.68:
	v_cmp_ngt_f64_e64 s[18:19], |v[117:118]|, |v[119:120]|
	s_and_saveexec_b64 s[20:21], s[18:19]
	s_xor_b64 s[18:19], exec, s[20:21]
	s_cbranch_execz .LBB108_70
; %bb.69:
	v_div_scale_f64 v[90:91], s[20:21], v[119:120], v[119:120], v[117:118]
	v_rcp_f64_e32 v[95:96], v[90:91]
	v_fma_f64 v[97:98], -v[90:91], v[95:96], 1.0
	v_fma_f64 v[95:96], v[95:96], v[97:98], v[95:96]
	v_div_scale_f64 v[97:98], vcc, v[117:118], v[119:120], v[117:118]
	v_fma_f64 v[99:100], -v[90:91], v[95:96], 1.0
	v_fma_f64 v[95:96], v[95:96], v[99:100], v[95:96]
	v_mul_f64 v[99:100], v[97:98], v[95:96]
	v_fma_f64 v[90:91], -v[90:91], v[99:100], v[97:98]
	v_div_fmas_f64 v[90:91], v[90:91], v[95:96], v[99:100]
	v_div_fixup_f64 v[90:91], v[90:91], v[119:120], v[117:118]
	v_fma_f64 v[95:96], v[117:118], v[90:91], v[119:120]
	v_div_scale_f64 v[97:98], s[20:21], v[95:96], v[95:96], 1.0
	v_div_scale_f64 v[103:104], vcc, 1.0, v[95:96], 1.0
	v_rcp_f64_e32 v[99:100], v[97:98]
	v_fma_f64 v[101:102], -v[97:98], v[99:100], 1.0
	v_fma_f64 v[99:100], v[99:100], v[101:102], v[99:100]
	v_fma_f64 v[101:102], -v[97:98], v[99:100], 1.0
	v_fma_f64 v[99:100], v[99:100], v[101:102], v[99:100]
	v_mul_f64 v[101:102], v[103:104], v[99:100]
	v_fma_f64 v[97:98], -v[97:98], v[101:102], v[103:104]
	v_div_fmas_f64 v[97:98], v[97:98], v[99:100], v[101:102]
	v_div_fixup_f64 v[119:120], v[97:98], v[95:96], 1.0
	v_mul_f64 v[117:118], v[90:91], v[119:120]
	v_xor_b32_e32 v120, 0x80000000, v120
.LBB108_70:
	s_andn2_saveexec_b64 s[18:19], s[18:19]
	s_cbranch_execz .LBB108_72
; %bb.71:
	v_div_scale_f64 v[90:91], s[20:21], v[117:118], v[117:118], v[119:120]
	v_rcp_f64_e32 v[95:96], v[90:91]
	v_fma_f64 v[97:98], -v[90:91], v[95:96], 1.0
	v_fma_f64 v[95:96], v[95:96], v[97:98], v[95:96]
	v_div_scale_f64 v[97:98], vcc, v[119:120], v[117:118], v[119:120]
	v_fma_f64 v[99:100], -v[90:91], v[95:96], 1.0
	v_fma_f64 v[95:96], v[95:96], v[99:100], v[95:96]
	v_mul_f64 v[99:100], v[97:98], v[95:96]
	v_fma_f64 v[90:91], -v[90:91], v[99:100], v[97:98]
	v_div_fmas_f64 v[90:91], v[90:91], v[95:96], v[99:100]
	v_div_fixup_f64 v[90:91], v[90:91], v[117:118], v[119:120]
	v_fma_f64 v[95:96], v[119:120], v[90:91], v[117:118]
	v_div_scale_f64 v[97:98], s[20:21], v[95:96], v[95:96], 1.0
	v_div_scale_f64 v[103:104], vcc, 1.0, v[95:96], 1.0
	v_rcp_f64_e32 v[99:100], v[97:98]
	v_fma_f64 v[101:102], -v[97:98], v[99:100], 1.0
	v_fma_f64 v[99:100], v[99:100], v[101:102], v[99:100]
	v_fma_f64 v[101:102], -v[97:98], v[99:100], 1.0
	v_fma_f64 v[99:100], v[99:100], v[101:102], v[99:100]
	v_mul_f64 v[101:102], v[103:104], v[99:100]
	v_fma_f64 v[97:98], -v[97:98], v[101:102], v[103:104]
	v_div_fmas_f64 v[97:98], v[97:98], v[99:100], v[101:102]
	v_div_fixup_f64 v[117:118], v[97:98], v[95:96], 1.0
	v_mul_f64 v[119:120], v[90:91], -v[117:118]
.LBB108_72:
	s_or_b64 exec, exec, s[18:19]
.LBB108_73:
	s_or_b64 exec, exec, s[0:1]
	v_cmp_ne_u32_e32 vcc, v93, v89
	s_and_saveexec_b64 s[0:1], vcc
	s_xor_b64 s[0:1], exec, s[0:1]
	s_cbranch_execz .LBB108_79
; %bb.74:
	v_cmp_eq_u32_e32 vcc, 3, v93
	s_and_saveexec_b64 s[18:19], vcc
	s_cbranch_execz .LBB108_78
; %bb.75:
	v_cmp_ne_u32_e32 vcc, 3, v89
	s_xor_b64 s[20:21], s[6:7], -1
	s_and_b64 s[22:23], s[20:21], vcc
	s_and_saveexec_b64 s[20:21], s[22:23]
	s_cbranch_execz .LBB108_77
; %bb.76:
	v_mov_b32_e32 v73, v81
	v_mov_b32_e32 v74, v82
	;; [unrolled: 1-line block ×4, first 2 shown]
	buffer_load_dword v81, off, s[24:27], 0 offset:452 ; 4-byte Folded Reload
	buffer_load_dword v82, off, s[24:27], 0 offset:456 ; 4-byte Folded Reload
	v_ashrrev_i32_e32 v90, 31, v89
	v_lshlrev_b64 v[90:91], 2, v[89:90]
	s_waitcnt vmcnt(1)
	v_add_co_u32_e32 v90, vcc, v81, v90
	s_waitcnt vmcnt(0)
	v_addc_co_u32_e32 v91, vcc, v82, v91, vcc
	global_load_dword v92, v[90:91], off
	global_load_dword v93, v[81:82], off offset:12
	s_waitcnt vmcnt(1)
	global_store_dword v[81:82], v92, off offset:12
	v_mov_b32_e32 v84, v76
	v_mov_b32_e32 v83, v75
	;; [unrolled: 1-line block ×4, first 2 shown]
	s_waitcnt vmcnt(1)
	global_store_dword v[90:91], v93, off
.LBB108_77:
	s_or_b64 exec, exec, s[20:21]
	v_mov_b32_e32 v93, v89
	v_mov_b32_e32 v73, v89
	buffer_store_dword v73, off, s[24:27], 0 offset:368 ; 4-byte Folded Spill
.LBB108_78:
	s_or_b64 exec, exec, s[18:19]
.LBB108_79:
	s_andn2_saveexec_b64 s[0:1], s[0:1]
	s_cbranch_execz .LBB108_81
; %bb.80:
	buffer_load_dword v73, off, s[24:27], 0 offset:420 ; 4-byte Folded Reload
	buffer_load_dword v74, off, s[24:27], 0 offset:424 ; 4-byte Folded Reload
	;; [unrolled: 1-line block ×4, first 2 shown]
	v_mov_b32_e32 v93, 3
	s_waitcnt vmcnt(0)
	ds_write2_b64 v0, v[73:74], v[75:76] offset0:8 offset1:9
	buffer_load_dword v73, off, s[24:27], 0 offset:404 ; 4-byte Folded Reload
	buffer_load_dword v74, off, s[24:27], 0 offset:408 ; 4-byte Folded Reload
	buffer_load_dword v75, off, s[24:27], 0 offset:412 ; 4-byte Folded Reload
	buffer_load_dword v76, off, s[24:27], 0 offset:416 ; 4-byte Folded Reload
	s_waitcnt vmcnt(0)
	ds_write2_b64 v0, v[73:74], v[75:76] offset0:10 offset1:11
	buffer_load_dword v73, off, s[24:27], 0 offset:388 ; 4-byte Folded Reload
	buffer_load_dword v74, off, s[24:27], 0 offset:392 ; 4-byte Folded Reload
	buffer_load_dword v75, off, s[24:27], 0 offset:396 ; 4-byte Folded Reload
	buffer_load_dword v76, off, s[24:27], 0 offset:400 ; 4-byte Folded Reload
	;; [unrolled: 6-line block ×25, first 2 shown]
	s_waitcnt vmcnt(0)
	ds_write2_b64 v0, v[73:74], v[75:76] offset0:58 offset1:59
	ds_write2_b64 v0, v[81:82], v[83:84] offset0:60 offset1:61
	;; [unrolled: 1-line block ×6, first 2 shown]
	buffer_load_dword v73, off, s[24:27], 0 ; 4-byte Folded Reload
	buffer_load_dword v74, off, s[24:27], 0 offset:4 ; 4-byte Folded Reload
	buffer_load_dword v75, off, s[24:27], 0 offset:8 ; 4-byte Folded Reload
	;; [unrolled: 1-line block ×3, first 2 shown]
	s_waitcnt vmcnt(0)
	ds_write2_b64 v0, v[73:74], v[75:76] offset0:70 offset1:71
	ds_write2_b64 v0, v[69:70], v[71:72] offset0:72 offset1:73
	;; [unrolled: 1-line block ×20, first 2 shown]
.LBB108_81:
	s_or_b64 exec, exec, s[0:1]
	v_cmp_lt_i32_e32 vcc, 3, v93
	s_waitcnt vmcnt(0) lgkmcnt(0)
	s_barrier
	s_and_saveexec_b64 s[0:1], vcc
	s_cbranch_execz .LBB108_83
; %bb.82:
	buffer_load_dword v97, off, s[24:27], 0 offset:436 ; 4-byte Folded Reload
	buffer_load_dword v98, off, s[24:27], 0 offset:440 ; 4-byte Folded Reload
	;; [unrolled: 1-line block ×4, first 2 shown]
	s_waitcnt vmcnt(0)
	v_mul_f64 v[89:90], v[119:120], v[99:100]
	v_fma_f64 v[125:126], v[117:118], v[97:98], -v[89:90]
	v_mul_f64 v[89:90], v[117:118], v[99:100]
	v_fma_f64 v[99:100], v[119:120], v[97:98], v[89:90]
	ds_read2_b64 v[89:92], v0 offset0:8 offset1:9
	buffer_load_dword v73, off, s[24:27], 0 offset:420 ; 4-byte Folded Reload
	buffer_load_dword v74, off, s[24:27], 0 offset:424 ; 4-byte Folded Reload
	buffer_load_dword v75, off, s[24:27], 0 offset:428 ; 4-byte Folded Reload
	buffer_load_dword v76, off, s[24:27], 0 offset:432 ; 4-byte Folded Reload
	s_waitcnt lgkmcnt(0)
	v_mul_f64 v[95:96], v[91:92], v[99:100]
	v_fma_f64 v[95:96], v[89:90], v[125:126], -v[95:96]
	v_mul_f64 v[89:90], v[89:90], v[99:100]
	v_fma_f64 v[89:90], v[91:92], v[125:126], v[89:90]
	s_waitcnt vmcnt(2)
	v_add_f64 v[73:74], v[73:74], -v[95:96]
	s_waitcnt vmcnt(0)
	v_add_f64 v[75:76], v[75:76], -v[89:90]
	buffer_store_dword v73, off, s[24:27], 0 offset:420 ; 4-byte Folded Spill
	s_nop 0
	buffer_store_dword v74, off, s[24:27], 0 offset:424 ; 4-byte Folded Spill
	buffer_store_dword v75, off, s[24:27], 0 offset:428 ; 4-byte Folded Spill
	buffer_store_dword v76, off, s[24:27], 0 offset:432 ; 4-byte Folded Spill
	ds_read2_b64 v[89:92], v0 offset0:10 offset1:11
	buffer_load_dword v73, off, s[24:27], 0 offset:404 ; 4-byte Folded Reload
	buffer_load_dword v74, off, s[24:27], 0 offset:408 ; 4-byte Folded Reload
	buffer_load_dword v75, off, s[24:27], 0 offset:412 ; 4-byte Folded Reload
	buffer_load_dword v76, off, s[24:27], 0 offset:416 ; 4-byte Folded Reload
	s_waitcnt lgkmcnt(0)
	v_mul_f64 v[95:96], v[91:92], v[99:100]
	v_fma_f64 v[95:96], v[89:90], v[125:126], -v[95:96]
	v_mul_f64 v[89:90], v[89:90], v[99:100]
	v_fma_f64 v[89:90], v[91:92], v[125:126], v[89:90]
	s_waitcnt vmcnt(2)
	v_add_f64 v[73:74], v[73:74], -v[95:96]
	s_waitcnt vmcnt(0)
	v_add_f64 v[75:76], v[75:76], -v[89:90]
	buffer_store_dword v73, off, s[24:27], 0 offset:404 ; 4-byte Folded Spill
	s_nop 0
	buffer_store_dword v74, off, s[24:27], 0 offset:408 ; 4-byte Folded Spill
	buffer_store_dword v75, off, s[24:27], 0 offset:412 ; 4-byte Folded Spill
	buffer_store_dword v76, off, s[24:27], 0 offset:416 ; 4-byte Folded Spill
	;; [unrolled: 19-line block ×26, first 2 shown]
	ds_read2_b64 v[89:92], v0 offset0:60 offset1:61
	s_waitcnt lgkmcnt(0)
	v_mul_f64 v[95:96], v[91:92], v[99:100]
	v_fma_f64 v[95:96], v[89:90], v[125:126], -v[95:96]
	v_mul_f64 v[89:90], v[89:90], v[99:100]
	v_add_f64 v[81:82], v[81:82], -v[95:96]
	v_fma_f64 v[89:90], v[91:92], v[125:126], v[89:90]
	v_add_f64 v[83:84], v[83:84], -v[89:90]
	ds_read2_b64 v[89:92], v0 offset0:62 offset1:63
	s_waitcnt lgkmcnt(0)
	v_mul_f64 v[95:96], v[91:92], v[99:100]
	v_fma_f64 v[95:96], v[89:90], v[125:126], -v[95:96]
	v_mul_f64 v[89:90], v[89:90], v[99:100]
	v_add_f64 v[85:86], v[85:86], -v[95:96]
	v_fma_f64 v[89:90], v[91:92], v[125:126], v[89:90]
	v_add_f64 v[87:88], v[87:88], -v[89:90]
	;; [unrolled: 8-line block ×5, first 2 shown]
	ds_read2_b64 v[89:92], v0 offset0:70 offset1:71
	buffer_load_dword v73, off, s[24:27], 0 ; 4-byte Folded Reload
	buffer_load_dword v74, off, s[24:27], 0 offset:4 ; 4-byte Folded Reload
	buffer_load_dword v75, off, s[24:27], 0 offset:8 ; 4-byte Folded Reload
	;; [unrolled: 1-line block ×3, first 2 shown]
	s_waitcnt lgkmcnt(0)
	v_mul_f64 v[95:96], v[91:92], v[99:100]
	v_fma_f64 v[95:96], v[89:90], v[125:126], -v[95:96]
	v_mul_f64 v[89:90], v[89:90], v[99:100]
	v_fma_f64 v[89:90], v[91:92], v[125:126], v[89:90]
	s_waitcnt vmcnt(2)
	v_add_f64 v[73:74], v[73:74], -v[95:96]
	s_waitcnt vmcnt(0)
	v_add_f64 v[75:76], v[75:76], -v[89:90]
	buffer_store_dword v73, off, s[24:27], 0 ; 4-byte Folded Spill
	s_nop 0
	buffer_store_dword v74, off, s[24:27], 0 offset:4 ; 4-byte Folded Spill
	buffer_store_dword v75, off, s[24:27], 0 offset:8 ; 4-byte Folded Spill
	;; [unrolled: 1-line block ×3, first 2 shown]
	ds_read2_b64 v[89:92], v0 offset0:72 offset1:73
	s_waitcnt lgkmcnt(0)
	v_mul_f64 v[95:96], v[91:92], v[99:100]
	v_fma_f64 v[95:96], v[89:90], v[125:126], -v[95:96]
	v_mul_f64 v[89:90], v[89:90], v[99:100]
	v_add_f64 v[69:70], v[69:70], -v[95:96]
	v_fma_f64 v[89:90], v[91:92], v[125:126], v[89:90]
	v_add_f64 v[71:72], v[71:72], -v[89:90]
	ds_read2_b64 v[89:92], v0 offset0:74 offset1:75
	s_waitcnt lgkmcnt(0)
	v_mul_f64 v[95:96], v[91:92], v[99:100]
	v_fma_f64 v[95:96], v[89:90], v[125:126], -v[95:96]
	v_mul_f64 v[89:90], v[89:90], v[99:100]
	v_add_f64 v[65:66], v[65:66], -v[95:96]
	v_fma_f64 v[89:90], v[91:92], v[125:126], v[89:90]
	v_add_f64 v[67:68], v[67:68], -v[89:90]
	;; [unrolled: 8-line block ×17, first 2 shown]
	ds_read2_b64 v[89:92], v0 offset0:106 offset1:107
	s_waitcnt lgkmcnt(0)
	v_mul_f64 v[95:96], v[91:92], v[99:100]
	v_fma_f64 v[95:96], v[89:90], v[125:126], -v[95:96]
	v_mul_f64 v[89:90], v[89:90], v[99:100]
	v_add_f64 v[1:2], v[1:2], -v[95:96]
	v_fma_f64 v[89:90], v[91:92], v[125:126], v[89:90]
	ds_read2_b64 v[95:98], v0 offset0:108 offset1:109
	s_waitcnt lgkmcnt(0)
	v_mul_f64 v[91:92], v[95:96], v[99:100]
	v_add_f64 v[3:4], v[3:4], -v[89:90]
	v_mul_f64 v[89:90], v[97:98], v[99:100]
	v_fma_f64 v[91:92], v[97:98], v[125:126], v[91:92]
	v_mov_b32_e32 v97, v125
	v_mov_b32_e32 v98, v126
	v_fma_f64 v[89:90], v[95:96], v[125:126], -v[89:90]
	buffer_store_dword v97, off, s[24:27], 0 offset:436 ; 4-byte Folded Spill
	s_nop 0
	buffer_store_dword v98, off, s[24:27], 0 offset:440 ; 4-byte Folded Spill
	buffer_store_dword v99, off, s[24:27], 0 offset:444 ; 4-byte Folded Spill
	buffer_store_dword v100, off, s[24:27], 0 offset:448 ; 4-byte Folded Spill
	v_add_f64 v[123:124], v[123:124], -v[91:92]
	v_add_f64 v[121:122], v[121:122], -v[89:90]
.LBB108_83:
	s_or_b64 exec, exec, s[0:1]
	s_waitcnt vmcnt(0)
	s_barrier
	buffer_load_dword v73, off, s[24:27], 0 offset:420 ; 4-byte Folded Reload
	buffer_load_dword v74, off, s[24:27], 0 offset:424 ; 4-byte Folded Reload
	;; [unrolled: 1-line block ×4, first 2 shown]
	v_lshl_add_u32 v89, v93, 4, v0
	s_cmp_lt_i32 s3, 6
	s_waitcnt vmcnt(0)
	ds_write2_b64 v89, v[73:74], v[75:76] offset1:1
	s_waitcnt lgkmcnt(0)
	s_barrier
	ds_read2_b64 v[117:120], v0 offset0:8 offset1:9
	v_mov_b32_e32 v89, 4
	s_cbranch_scc1 .LBB108_86
; %bb.84:
	v_mov_b32_e32 v89, 4
	v_add_u32_e32 v90, 0x50, v0
	s_mov_b32 s0, 5
.LBB108_85:                             ; =>This Inner Loop Header: Depth=1
	s_waitcnt lgkmcnt(0)
	v_cmp_gt_f64_e32 vcc, 0, v[117:118]
	v_xor_b32_e32 v91, 0x80000000, v118
	ds_read2_b64 v[95:98], v90 offset1:1
	v_xor_b32_e32 v99, 0x80000000, v120
	v_add_u32_e32 v90, 16, v90
	s_waitcnt lgkmcnt(0)
	v_xor_b32_e32 v101, 0x80000000, v98
	v_cndmask_b32_e32 v92, v118, v91, vcc
	v_cmp_gt_f64_e32 vcc, 0, v[119:120]
	v_mov_b32_e32 v91, v117
	v_cndmask_b32_e32 v100, v120, v99, vcc
	v_cmp_gt_f64_e32 vcc, 0, v[95:96]
	v_mov_b32_e32 v99, v119
	v_add_f64 v[91:92], v[91:92], v[99:100]
	v_xor_b32_e32 v99, 0x80000000, v96
	v_cndmask_b32_e32 v100, v96, v99, vcc
	v_cmp_gt_f64_e32 vcc, 0, v[97:98]
	v_mov_b32_e32 v99, v95
	v_cndmask_b32_e32 v102, v98, v101, vcc
	v_mov_b32_e32 v101, v97
	v_add_f64 v[99:100], v[99:100], v[101:102]
	v_cmp_lt_f64_e32 vcc, v[91:92], v[99:100]
	v_mov_b32_e32 v91, s0
	s_add_i32 s0, s0, 1
	s_cmp_lg_u32 s3, s0
	v_cndmask_b32_e32 v118, v118, v96, vcc
	v_cndmask_b32_e32 v117, v117, v95, vcc
	;; [unrolled: 1-line block ×5, first 2 shown]
	s_cbranch_scc1 .LBB108_85
.LBB108_86:
	s_waitcnt lgkmcnt(0)
	v_cmp_eq_f64_e32 vcc, 0, v[117:118]
	v_cmp_eq_f64_e64 s[0:1], 0, v[119:120]
	s_and_b64 s[0:1], vcc, s[0:1]
	s_and_saveexec_b64 s[18:19], s[0:1]
	s_xor_b64 s[0:1], exec, s[18:19]
; %bb.87:
	v_cmp_ne_u32_e32 vcc, 0, v94
	v_cndmask_b32_e32 v94, 5, v94, vcc
; %bb.88:
	s_andn2_saveexec_b64 s[0:1], s[0:1]
	s_cbranch_execz .LBB108_94
; %bb.89:
	v_cmp_ngt_f64_e64 s[18:19], |v[117:118]|, |v[119:120]|
	s_and_saveexec_b64 s[20:21], s[18:19]
	s_xor_b64 s[18:19], exec, s[20:21]
	s_cbranch_execz .LBB108_91
; %bb.90:
	v_div_scale_f64 v[90:91], s[20:21], v[119:120], v[119:120], v[117:118]
	v_rcp_f64_e32 v[95:96], v[90:91]
	v_fma_f64 v[97:98], -v[90:91], v[95:96], 1.0
	v_fma_f64 v[95:96], v[95:96], v[97:98], v[95:96]
	v_div_scale_f64 v[97:98], vcc, v[117:118], v[119:120], v[117:118]
	v_fma_f64 v[99:100], -v[90:91], v[95:96], 1.0
	v_fma_f64 v[95:96], v[95:96], v[99:100], v[95:96]
	v_mul_f64 v[99:100], v[97:98], v[95:96]
	v_fma_f64 v[90:91], -v[90:91], v[99:100], v[97:98]
	v_div_fmas_f64 v[90:91], v[90:91], v[95:96], v[99:100]
	v_div_fixup_f64 v[90:91], v[90:91], v[119:120], v[117:118]
	v_fma_f64 v[95:96], v[117:118], v[90:91], v[119:120]
	v_div_scale_f64 v[97:98], s[20:21], v[95:96], v[95:96], 1.0
	v_div_scale_f64 v[103:104], vcc, 1.0, v[95:96], 1.0
	v_rcp_f64_e32 v[99:100], v[97:98]
	v_fma_f64 v[101:102], -v[97:98], v[99:100], 1.0
	v_fma_f64 v[99:100], v[99:100], v[101:102], v[99:100]
	v_fma_f64 v[101:102], -v[97:98], v[99:100], 1.0
	v_fma_f64 v[99:100], v[99:100], v[101:102], v[99:100]
	v_mul_f64 v[101:102], v[103:104], v[99:100]
	v_fma_f64 v[97:98], -v[97:98], v[101:102], v[103:104]
	v_div_fmas_f64 v[97:98], v[97:98], v[99:100], v[101:102]
	v_div_fixup_f64 v[119:120], v[97:98], v[95:96], 1.0
	v_mul_f64 v[117:118], v[90:91], v[119:120]
	v_xor_b32_e32 v120, 0x80000000, v120
.LBB108_91:
	s_andn2_saveexec_b64 s[18:19], s[18:19]
	s_cbranch_execz .LBB108_93
; %bb.92:
	v_div_scale_f64 v[90:91], s[20:21], v[117:118], v[117:118], v[119:120]
	v_rcp_f64_e32 v[95:96], v[90:91]
	v_fma_f64 v[97:98], -v[90:91], v[95:96], 1.0
	v_fma_f64 v[95:96], v[95:96], v[97:98], v[95:96]
	v_div_scale_f64 v[97:98], vcc, v[119:120], v[117:118], v[119:120]
	v_fma_f64 v[99:100], -v[90:91], v[95:96], 1.0
	v_fma_f64 v[95:96], v[95:96], v[99:100], v[95:96]
	v_mul_f64 v[99:100], v[97:98], v[95:96]
	v_fma_f64 v[90:91], -v[90:91], v[99:100], v[97:98]
	v_div_fmas_f64 v[90:91], v[90:91], v[95:96], v[99:100]
	v_div_fixup_f64 v[90:91], v[90:91], v[117:118], v[119:120]
	v_fma_f64 v[95:96], v[119:120], v[90:91], v[117:118]
	v_div_scale_f64 v[97:98], s[20:21], v[95:96], v[95:96], 1.0
	v_div_scale_f64 v[103:104], vcc, 1.0, v[95:96], 1.0
	v_rcp_f64_e32 v[99:100], v[97:98]
	v_fma_f64 v[101:102], -v[97:98], v[99:100], 1.0
	v_fma_f64 v[99:100], v[99:100], v[101:102], v[99:100]
	v_fma_f64 v[101:102], -v[97:98], v[99:100], 1.0
	v_fma_f64 v[99:100], v[99:100], v[101:102], v[99:100]
	v_mul_f64 v[101:102], v[103:104], v[99:100]
	v_fma_f64 v[97:98], -v[97:98], v[101:102], v[103:104]
	v_div_fmas_f64 v[97:98], v[97:98], v[99:100], v[101:102]
	v_div_fixup_f64 v[117:118], v[97:98], v[95:96], 1.0
	v_mul_f64 v[119:120], v[90:91], -v[117:118]
.LBB108_93:
	s_or_b64 exec, exec, s[18:19]
.LBB108_94:
	s_or_b64 exec, exec, s[0:1]
	v_cmp_ne_u32_e32 vcc, v93, v89
	s_and_saveexec_b64 s[0:1], vcc
	s_xor_b64 s[0:1], exec, s[0:1]
	s_cbranch_execz .LBB108_100
; %bb.95:
	v_cmp_eq_u32_e32 vcc, 4, v93
	s_and_saveexec_b64 s[18:19], vcc
	s_cbranch_execz .LBB108_99
; %bb.96:
	v_cmp_ne_u32_e32 vcc, 4, v89
	s_xor_b64 s[20:21], s[6:7], -1
	s_and_b64 s[22:23], s[20:21], vcc
	s_and_saveexec_b64 s[20:21], s[22:23]
	s_cbranch_execz .LBB108_98
; %bb.97:
	v_mov_b32_e32 v73, v81
	v_mov_b32_e32 v74, v82
	;; [unrolled: 1-line block ×4, first 2 shown]
	buffer_load_dword v81, off, s[24:27], 0 offset:452 ; 4-byte Folded Reload
	buffer_load_dword v82, off, s[24:27], 0 offset:456 ; 4-byte Folded Reload
	v_ashrrev_i32_e32 v90, 31, v89
	v_lshlrev_b64 v[90:91], 2, v[89:90]
	s_waitcnt vmcnt(1)
	v_add_co_u32_e32 v90, vcc, v81, v90
	s_waitcnt vmcnt(0)
	v_addc_co_u32_e32 v91, vcc, v82, v91, vcc
	global_load_dword v92, v[90:91], off
	global_load_dword v93, v[81:82], off offset:16
	s_waitcnt vmcnt(1)
	global_store_dword v[81:82], v92, off offset:16
	v_mov_b32_e32 v84, v76
	v_mov_b32_e32 v83, v75
	;; [unrolled: 1-line block ×4, first 2 shown]
	s_waitcnt vmcnt(1)
	global_store_dword v[90:91], v93, off
.LBB108_98:
	s_or_b64 exec, exec, s[20:21]
	v_mov_b32_e32 v93, v89
	v_mov_b32_e32 v73, v89
	buffer_store_dword v73, off, s[24:27], 0 offset:368 ; 4-byte Folded Spill
.LBB108_99:
	s_or_b64 exec, exec, s[18:19]
.LBB108_100:
	s_andn2_saveexec_b64 s[0:1], s[0:1]
	s_cbranch_execz .LBB108_102
; %bb.101:
	buffer_load_dword v73, off, s[24:27], 0 offset:404 ; 4-byte Folded Reload
	buffer_load_dword v74, off, s[24:27], 0 offset:408 ; 4-byte Folded Reload
	;; [unrolled: 1-line block ×4, first 2 shown]
	v_mov_b32_e32 v93, 4
	s_waitcnt vmcnt(0)
	ds_write2_b64 v0, v[73:74], v[75:76] offset0:10 offset1:11
	buffer_load_dword v73, off, s[24:27], 0 offset:388 ; 4-byte Folded Reload
	buffer_load_dword v74, off, s[24:27], 0 offset:392 ; 4-byte Folded Reload
	buffer_load_dword v75, off, s[24:27], 0 offset:396 ; 4-byte Folded Reload
	buffer_load_dword v76, off, s[24:27], 0 offset:400 ; 4-byte Folded Reload
	s_waitcnt vmcnt(0)
	ds_write2_b64 v0, v[73:74], v[75:76] offset0:12 offset1:13
	buffer_load_dword v73, off, s[24:27], 0 offset:372 ; 4-byte Folded Reload
	buffer_load_dword v74, off, s[24:27], 0 offset:376 ; 4-byte Folded Reload
	buffer_load_dword v75, off, s[24:27], 0 offset:380 ; 4-byte Folded Reload
	buffer_load_dword v76, off, s[24:27], 0 offset:384 ; 4-byte Folded Reload
	;; [unrolled: 6-line block ×24, first 2 shown]
	s_waitcnt vmcnt(0)
	ds_write2_b64 v0, v[73:74], v[75:76] offset0:58 offset1:59
	ds_write2_b64 v0, v[81:82], v[83:84] offset0:60 offset1:61
	;; [unrolled: 1-line block ×6, first 2 shown]
	buffer_load_dword v73, off, s[24:27], 0 ; 4-byte Folded Reload
	buffer_load_dword v74, off, s[24:27], 0 offset:4 ; 4-byte Folded Reload
	buffer_load_dword v75, off, s[24:27], 0 offset:8 ; 4-byte Folded Reload
	;; [unrolled: 1-line block ×3, first 2 shown]
	s_waitcnt vmcnt(0)
	ds_write2_b64 v0, v[73:74], v[75:76] offset0:70 offset1:71
	ds_write2_b64 v0, v[69:70], v[71:72] offset0:72 offset1:73
	;; [unrolled: 1-line block ×20, first 2 shown]
.LBB108_102:
	s_or_b64 exec, exec, s[0:1]
	v_cmp_lt_i32_e32 vcc, 4, v93
	s_waitcnt vmcnt(0) lgkmcnt(0)
	s_barrier
	s_and_saveexec_b64 s[0:1], vcc
	s_cbranch_execz .LBB108_104
; %bb.103:
	buffer_load_dword v97, off, s[24:27], 0 offset:420 ; 4-byte Folded Reload
	buffer_load_dword v98, off, s[24:27], 0 offset:424 ; 4-byte Folded Reload
	;; [unrolled: 1-line block ×4, first 2 shown]
	s_waitcnt vmcnt(0)
	v_mul_f64 v[89:90], v[119:120], v[99:100]
	v_fma_f64 v[125:126], v[117:118], v[97:98], -v[89:90]
	v_mul_f64 v[89:90], v[117:118], v[99:100]
	v_fma_f64 v[99:100], v[119:120], v[97:98], v[89:90]
	ds_read2_b64 v[89:92], v0 offset0:10 offset1:11
	buffer_load_dword v73, off, s[24:27], 0 offset:404 ; 4-byte Folded Reload
	buffer_load_dword v74, off, s[24:27], 0 offset:408 ; 4-byte Folded Reload
	buffer_load_dword v75, off, s[24:27], 0 offset:412 ; 4-byte Folded Reload
	buffer_load_dword v76, off, s[24:27], 0 offset:416 ; 4-byte Folded Reload
	s_waitcnt lgkmcnt(0)
	v_mul_f64 v[95:96], v[91:92], v[99:100]
	v_fma_f64 v[95:96], v[89:90], v[125:126], -v[95:96]
	v_mul_f64 v[89:90], v[89:90], v[99:100]
	v_fma_f64 v[89:90], v[91:92], v[125:126], v[89:90]
	s_waitcnt vmcnt(2)
	v_add_f64 v[73:74], v[73:74], -v[95:96]
	s_waitcnt vmcnt(0)
	v_add_f64 v[75:76], v[75:76], -v[89:90]
	buffer_store_dword v73, off, s[24:27], 0 offset:404 ; 4-byte Folded Spill
	s_nop 0
	buffer_store_dword v74, off, s[24:27], 0 offset:408 ; 4-byte Folded Spill
	buffer_store_dword v75, off, s[24:27], 0 offset:412 ; 4-byte Folded Spill
	buffer_store_dword v76, off, s[24:27], 0 offset:416 ; 4-byte Folded Spill
	ds_read2_b64 v[89:92], v0 offset0:12 offset1:13
	buffer_load_dword v73, off, s[24:27], 0 offset:388 ; 4-byte Folded Reload
	buffer_load_dword v74, off, s[24:27], 0 offset:392 ; 4-byte Folded Reload
	buffer_load_dword v75, off, s[24:27], 0 offset:396 ; 4-byte Folded Reload
	buffer_load_dword v76, off, s[24:27], 0 offset:400 ; 4-byte Folded Reload
	s_waitcnt lgkmcnt(0)
	v_mul_f64 v[95:96], v[91:92], v[99:100]
	v_fma_f64 v[95:96], v[89:90], v[125:126], -v[95:96]
	v_mul_f64 v[89:90], v[89:90], v[99:100]
	v_fma_f64 v[89:90], v[91:92], v[125:126], v[89:90]
	s_waitcnt vmcnt(2)
	v_add_f64 v[73:74], v[73:74], -v[95:96]
	s_waitcnt vmcnt(0)
	v_add_f64 v[75:76], v[75:76], -v[89:90]
	buffer_store_dword v73, off, s[24:27], 0 offset:388 ; 4-byte Folded Spill
	s_nop 0
	buffer_store_dword v74, off, s[24:27], 0 offset:392 ; 4-byte Folded Spill
	buffer_store_dword v75, off, s[24:27], 0 offset:396 ; 4-byte Folded Spill
	buffer_store_dword v76, off, s[24:27], 0 offset:400 ; 4-byte Folded Spill
	;; [unrolled: 19-line block ×25, first 2 shown]
	ds_read2_b64 v[89:92], v0 offset0:60 offset1:61
	s_waitcnt lgkmcnt(0)
	v_mul_f64 v[95:96], v[91:92], v[99:100]
	v_fma_f64 v[95:96], v[89:90], v[125:126], -v[95:96]
	v_mul_f64 v[89:90], v[89:90], v[99:100]
	v_add_f64 v[81:82], v[81:82], -v[95:96]
	v_fma_f64 v[89:90], v[91:92], v[125:126], v[89:90]
	v_add_f64 v[83:84], v[83:84], -v[89:90]
	ds_read2_b64 v[89:92], v0 offset0:62 offset1:63
	s_waitcnt lgkmcnt(0)
	v_mul_f64 v[95:96], v[91:92], v[99:100]
	v_fma_f64 v[95:96], v[89:90], v[125:126], -v[95:96]
	v_mul_f64 v[89:90], v[89:90], v[99:100]
	v_add_f64 v[85:86], v[85:86], -v[95:96]
	v_fma_f64 v[89:90], v[91:92], v[125:126], v[89:90]
	v_add_f64 v[87:88], v[87:88], -v[89:90]
	;; [unrolled: 8-line block ×5, first 2 shown]
	ds_read2_b64 v[89:92], v0 offset0:70 offset1:71
	buffer_load_dword v73, off, s[24:27], 0 ; 4-byte Folded Reload
	buffer_load_dword v74, off, s[24:27], 0 offset:4 ; 4-byte Folded Reload
	buffer_load_dword v75, off, s[24:27], 0 offset:8 ; 4-byte Folded Reload
	;; [unrolled: 1-line block ×3, first 2 shown]
	s_waitcnt lgkmcnt(0)
	v_mul_f64 v[95:96], v[91:92], v[99:100]
	v_fma_f64 v[95:96], v[89:90], v[125:126], -v[95:96]
	v_mul_f64 v[89:90], v[89:90], v[99:100]
	v_fma_f64 v[89:90], v[91:92], v[125:126], v[89:90]
	s_waitcnt vmcnt(2)
	v_add_f64 v[73:74], v[73:74], -v[95:96]
	s_waitcnt vmcnt(0)
	v_add_f64 v[75:76], v[75:76], -v[89:90]
	buffer_store_dword v73, off, s[24:27], 0 ; 4-byte Folded Spill
	s_nop 0
	buffer_store_dword v74, off, s[24:27], 0 offset:4 ; 4-byte Folded Spill
	buffer_store_dword v75, off, s[24:27], 0 offset:8 ; 4-byte Folded Spill
	;; [unrolled: 1-line block ×3, first 2 shown]
	ds_read2_b64 v[89:92], v0 offset0:72 offset1:73
	s_waitcnt lgkmcnt(0)
	v_mul_f64 v[95:96], v[91:92], v[99:100]
	v_fma_f64 v[95:96], v[89:90], v[125:126], -v[95:96]
	v_mul_f64 v[89:90], v[89:90], v[99:100]
	v_add_f64 v[69:70], v[69:70], -v[95:96]
	v_fma_f64 v[89:90], v[91:92], v[125:126], v[89:90]
	v_add_f64 v[71:72], v[71:72], -v[89:90]
	ds_read2_b64 v[89:92], v0 offset0:74 offset1:75
	s_waitcnt lgkmcnt(0)
	v_mul_f64 v[95:96], v[91:92], v[99:100]
	v_fma_f64 v[95:96], v[89:90], v[125:126], -v[95:96]
	v_mul_f64 v[89:90], v[89:90], v[99:100]
	v_add_f64 v[65:66], v[65:66], -v[95:96]
	v_fma_f64 v[89:90], v[91:92], v[125:126], v[89:90]
	v_add_f64 v[67:68], v[67:68], -v[89:90]
	;; [unrolled: 8-line block ×17, first 2 shown]
	ds_read2_b64 v[89:92], v0 offset0:106 offset1:107
	s_waitcnt lgkmcnt(0)
	v_mul_f64 v[95:96], v[91:92], v[99:100]
	v_fma_f64 v[95:96], v[89:90], v[125:126], -v[95:96]
	v_mul_f64 v[89:90], v[89:90], v[99:100]
	v_add_f64 v[1:2], v[1:2], -v[95:96]
	v_fma_f64 v[89:90], v[91:92], v[125:126], v[89:90]
	ds_read2_b64 v[95:98], v0 offset0:108 offset1:109
	s_waitcnt lgkmcnt(0)
	v_mul_f64 v[91:92], v[95:96], v[99:100]
	v_add_f64 v[3:4], v[3:4], -v[89:90]
	v_mul_f64 v[89:90], v[97:98], v[99:100]
	v_fma_f64 v[91:92], v[97:98], v[125:126], v[91:92]
	v_mov_b32_e32 v97, v125
	v_mov_b32_e32 v98, v126
	v_fma_f64 v[89:90], v[95:96], v[125:126], -v[89:90]
	buffer_store_dword v97, off, s[24:27], 0 offset:420 ; 4-byte Folded Spill
	s_nop 0
	buffer_store_dword v98, off, s[24:27], 0 offset:424 ; 4-byte Folded Spill
	buffer_store_dword v99, off, s[24:27], 0 offset:428 ; 4-byte Folded Spill
	buffer_store_dword v100, off, s[24:27], 0 offset:432 ; 4-byte Folded Spill
	v_add_f64 v[123:124], v[123:124], -v[91:92]
	v_add_f64 v[121:122], v[121:122], -v[89:90]
.LBB108_104:
	s_or_b64 exec, exec, s[0:1]
	s_waitcnt vmcnt(0)
	s_barrier
	buffer_load_dword v73, off, s[24:27], 0 offset:404 ; 4-byte Folded Reload
	buffer_load_dword v74, off, s[24:27], 0 offset:408 ; 4-byte Folded Reload
	;; [unrolled: 1-line block ×4, first 2 shown]
	v_lshl_add_u32 v89, v93, 4, v0
	s_cmp_lt_i32 s3, 7
	s_waitcnt vmcnt(0)
	ds_write2_b64 v89, v[73:74], v[75:76] offset1:1
	s_waitcnt lgkmcnt(0)
	s_barrier
	ds_read2_b64 v[117:120], v0 offset0:10 offset1:11
	v_mov_b32_e32 v89, 5
	s_cbranch_scc1 .LBB108_107
; %bb.105:
	v_add_u32_e32 v90, 0x60, v0
	s_mov_b32 s0, 6
	v_mov_b32_e32 v89, 5
.LBB108_106:                            ; =>This Inner Loop Header: Depth=1
	s_waitcnt lgkmcnt(0)
	v_cmp_gt_f64_e32 vcc, 0, v[117:118]
	v_xor_b32_e32 v91, 0x80000000, v118
	ds_read2_b64 v[95:98], v90 offset1:1
	v_xor_b32_e32 v99, 0x80000000, v120
	v_add_u32_e32 v90, 16, v90
	s_waitcnt lgkmcnt(0)
	v_xor_b32_e32 v101, 0x80000000, v98
	v_cndmask_b32_e32 v92, v118, v91, vcc
	v_cmp_gt_f64_e32 vcc, 0, v[119:120]
	v_mov_b32_e32 v91, v117
	v_cndmask_b32_e32 v100, v120, v99, vcc
	v_cmp_gt_f64_e32 vcc, 0, v[95:96]
	v_mov_b32_e32 v99, v119
	v_add_f64 v[91:92], v[91:92], v[99:100]
	v_xor_b32_e32 v99, 0x80000000, v96
	v_cndmask_b32_e32 v100, v96, v99, vcc
	v_cmp_gt_f64_e32 vcc, 0, v[97:98]
	v_mov_b32_e32 v99, v95
	v_cndmask_b32_e32 v102, v98, v101, vcc
	v_mov_b32_e32 v101, v97
	v_add_f64 v[99:100], v[99:100], v[101:102]
	v_cmp_lt_f64_e32 vcc, v[91:92], v[99:100]
	v_mov_b32_e32 v91, s0
	s_add_i32 s0, s0, 1
	s_cmp_lg_u32 s3, s0
	v_cndmask_b32_e32 v118, v118, v96, vcc
	v_cndmask_b32_e32 v117, v117, v95, vcc
	;; [unrolled: 1-line block ×5, first 2 shown]
	s_cbranch_scc1 .LBB108_106
.LBB108_107:
	s_waitcnt lgkmcnt(0)
	v_cmp_eq_f64_e32 vcc, 0, v[117:118]
	v_cmp_eq_f64_e64 s[0:1], 0, v[119:120]
	s_and_b64 s[0:1], vcc, s[0:1]
	s_and_saveexec_b64 s[18:19], s[0:1]
	s_xor_b64 s[0:1], exec, s[18:19]
; %bb.108:
	v_cmp_ne_u32_e32 vcc, 0, v94
	v_cndmask_b32_e32 v94, 6, v94, vcc
; %bb.109:
	s_andn2_saveexec_b64 s[0:1], s[0:1]
	s_cbranch_execz .LBB108_115
; %bb.110:
	v_cmp_ngt_f64_e64 s[18:19], |v[117:118]|, |v[119:120]|
	s_and_saveexec_b64 s[20:21], s[18:19]
	s_xor_b64 s[18:19], exec, s[20:21]
	s_cbranch_execz .LBB108_112
; %bb.111:
	v_div_scale_f64 v[90:91], s[20:21], v[119:120], v[119:120], v[117:118]
	v_rcp_f64_e32 v[95:96], v[90:91]
	v_fma_f64 v[97:98], -v[90:91], v[95:96], 1.0
	v_fma_f64 v[95:96], v[95:96], v[97:98], v[95:96]
	v_div_scale_f64 v[97:98], vcc, v[117:118], v[119:120], v[117:118]
	v_fma_f64 v[99:100], -v[90:91], v[95:96], 1.0
	v_fma_f64 v[95:96], v[95:96], v[99:100], v[95:96]
	v_mul_f64 v[99:100], v[97:98], v[95:96]
	v_fma_f64 v[90:91], -v[90:91], v[99:100], v[97:98]
	v_div_fmas_f64 v[90:91], v[90:91], v[95:96], v[99:100]
	v_div_fixup_f64 v[90:91], v[90:91], v[119:120], v[117:118]
	v_fma_f64 v[95:96], v[117:118], v[90:91], v[119:120]
	v_div_scale_f64 v[97:98], s[20:21], v[95:96], v[95:96], 1.0
	v_div_scale_f64 v[103:104], vcc, 1.0, v[95:96], 1.0
	v_rcp_f64_e32 v[99:100], v[97:98]
	v_fma_f64 v[101:102], -v[97:98], v[99:100], 1.0
	v_fma_f64 v[99:100], v[99:100], v[101:102], v[99:100]
	v_fma_f64 v[101:102], -v[97:98], v[99:100], 1.0
	v_fma_f64 v[99:100], v[99:100], v[101:102], v[99:100]
	v_mul_f64 v[101:102], v[103:104], v[99:100]
	v_fma_f64 v[97:98], -v[97:98], v[101:102], v[103:104]
	v_div_fmas_f64 v[97:98], v[97:98], v[99:100], v[101:102]
	v_div_fixup_f64 v[119:120], v[97:98], v[95:96], 1.0
	v_mul_f64 v[117:118], v[90:91], v[119:120]
	v_xor_b32_e32 v120, 0x80000000, v120
.LBB108_112:
	s_andn2_saveexec_b64 s[18:19], s[18:19]
	s_cbranch_execz .LBB108_114
; %bb.113:
	v_div_scale_f64 v[90:91], s[20:21], v[117:118], v[117:118], v[119:120]
	v_rcp_f64_e32 v[95:96], v[90:91]
	v_fma_f64 v[97:98], -v[90:91], v[95:96], 1.0
	v_fma_f64 v[95:96], v[95:96], v[97:98], v[95:96]
	v_div_scale_f64 v[97:98], vcc, v[119:120], v[117:118], v[119:120]
	v_fma_f64 v[99:100], -v[90:91], v[95:96], 1.0
	v_fma_f64 v[95:96], v[95:96], v[99:100], v[95:96]
	v_mul_f64 v[99:100], v[97:98], v[95:96]
	v_fma_f64 v[90:91], -v[90:91], v[99:100], v[97:98]
	v_div_fmas_f64 v[90:91], v[90:91], v[95:96], v[99:100]
	v_div_fixup_f64 v[90:91], v[90:91], v[117:118], v[119:120]
	v_fma_f64 v[95:96], v[119:120], v[90:91], v[117:118]
	v_div_scale_f64 v[97:98], s[20:21], v[95:96], v[95:96], 1.0
	v_div_scale_f64 v[103:104], vcc, 1.0, v[95:96], 1.0
	v_rcp_f64_e32 v[99:100], v[97:98]
	v_fma_f64 v[101:102], -v[97:98], v[99:100], 1.0
	v_fma_f64 v[99:100], v[99:100], v[101:102], v[99:100]
	v_fma_f64 v[101:102], -v[97:98], v[99:100], 1.0
	v_fma_f64 v[99:100], v[99:100], v[101:102], v[99:100]
	v_mul_f64 v[101:102], v[103:104], v[99:100]
	v_fma_f64 v[97:98], -v[97:98], v[101:102], v[103:104]
	v_div_fmas_f64 v[97:98], v[97:98], v[99:100], v[101:102]
	v_div_fixup_f64 v[117:118], v[97:98], v[95:96], 1.0
	v_mul_f64 v[119:120], v[90:91], -v[117:118]
.LBB108_114:
	s_or_b64 exec, exec, s[18:19]
.LBB108_115:
	s_or_b64 exec, exec, s[0:1]
	v_cmp_ne_u32_e32 vcc, v93, v89
	s_and_saveexec_b64 s[0:1], vcc
	s_xor_b64 s[0:1], exec, s[0:1]
	s_cbranch_execz .LBB108_121
; %bb.116:
	v_cmp_eq_u32_e32 vcc, 5, v93
	s_and_saveexec_b64 s[18:19], vcc
	s_cbranch_execz .LBB108_120
; %bb.117:
	v_cmp_ne_u32_e32 vcc, 5, v89
	s_xor_b64 s[20:21], s[6:7], -1
	s_and_b64 s[22:23], s[20:21], vcc
	s_and_saveexec_b64 s[20:21], s[22:23]
	s_cbranch_execz .LBB108_119
; %bb.118:
	v_mov_b32_e32 v73, v81
	v_mov_b32_e32 v74, v82
	;; [unrolled: 1-line block ×4, first 2 shown]
	buffer_load_dword v81, off, s[24:27], 0 offset:452 ; 4-byte Folded Reload
	buffer_load_dword v82, off, s[24:27], 0 offset:456 ; 4-byte Folded Reload
	v_ashrrev_i32_e32 v90, 31, v89
	v_lshlrev_b64 v[90:91], 2, v[89:90]
	s_waitcnt vmcnt(1)
	v_add_co_u32_e32 v90, vcc, v81, v90
	s_waitcnt vmcnt(0)
	v_addc_co_u32_e32 v91, vcc, v82, v91, vcc
	global_load_dword v92, v[90:91], off
	global_load_dword v93, v[81:82], off offset:20
	s_waitcnt vmcnt(1)
	global_store_dword v[81:82], v92, off offset:20
	v_mov_b32_e32 v84, v76
	v_mov_b32_e32 v83, v75
	;; [unrolled: 1-line block ×4, first 2 shown]
	s_waitcnt vmcnt(1)
	global_store_dword v[90:91], v93, off
.LBB108_119:
	s_or_b64 exec, exec, s[20:21]
	v_mov_b32_e32 v93, v89
	v_mov_b32_e32 v73, v89
	buffer_store_dword v73, off, s[24:27], 0 offset:368 ; 4-byte Folded Spill
.LBB108_120:
	s_or_b64 exec, exec, s[18:19]
.LBB108_121:
	s_andn2_saveexec_b64 s[0:1], s[0:1]
	s_cbranch_execz .LBB108_123
; %bb.122:
	buffer_load_dword v73, off, s[24:27], 0 offset:388 ; 4-byte Folded Reload
	buffer_load_dword v74, off, s[24:27], 0 offset:392 ; 4-byte Folded Reload
	;; [unrolled: 1-line block ×4, first 2 shown]
	v_mov_b32_e32 v93, 5
	s_waitcnt vmcnt(0)
	ds_write2_b64 v0, v[73:74], v[75:76] offset0:12 offset1:13
	buffer_load_dword v73, off, s[24:27], 0 offset:372 ; 4-byte Folded Reload
	buffer_load_dword v74, off, s[24:27], 0 offset:376 ; 4-byte Folded Reload
	buffer_load_dword v75, off, s[24:27], 0 offset:380 ; 4-byte Folded Reload
	buffer_load_dword v76, off, s[24:27], 0 offset:384 ; 4-byte Folded Reload
	s_waitcnt vmcnt(0)
	ds_write2_b64 v0, v[73:74], v[75:76] offset0:14 offset1:15
	buffer_load_dword v73, off, s[24:27], 0 offset:352 ; 4-byte Folded Reload
	buffer_load_dword v74, off, s[24:27], 0 offset:356 ; 4-byte Folded Reload
	buffer_load_dword v75, off, s[24:27], 0 offset:360 ; 4-byte Folded Reload
	buffer_load_dword v76, off, s[24:27], 0 offset:364 ; 4-byte Folded Reload
	;; [unrolled: 6-line block ×23, first 2 shown]
	s_waitcnt vmcnt(0)
	ds_write2_b64 v0, v[73:74], v[75:76] offset0:58 offset1:59
	ds_write2_b64 v0, v[81:82], v[83:84] offset0:60 offset1:61
	;; [unrolled: 1-line block ×6, first 2 shown]
	buffer_load_dword v73, off, s[24:27], 0 ; 4-byte Folded Reload
	buffer_load_dword v74, off, s[24:27], 0 offset:4 ; 4-byte Folded Reload
	buffer_load_dword v75, off, s[24:27], 0 offset:8 ; 4-byte Folded Reload
	buffer_load_dword v76, off, s[24:27], 0 offset:12 ; 4-byte Folded Reload
	s_waitcnt vmcnt(0)
	ds_write2_b64 v0, v[73:74], v[75:76] offset0:70 offset1:71
	ds_write2_b64 v0, v[69:70], v[71:72] offset0:72 offset1:73
	;; [unrolled: 1-line block ×20, first 2 shown]
.LBB108_123:
	s_or_b64 exec, exec, s[0:1]
	v_cmp_lt_i32_e32 vcc, 5, v93
	s_waitcnt vmcnt(0) lgkmcnt(0)
	s_barrier
	s_and_saveexec_b64 s[0:1], vcc
	s_cbranch_execz .LBB108_125
; %bb.124:
	buffer_load_dword v97, off, s[24:27], 0 offset:404 ; 4-byte Folded Reload
	buffer_load_dword v98, off, s[24:27], 0 offset:408 ; 4-byte Folded Reload
	;; [unrolled: 1-line block ×4, first 2 shown]
	s_waitcnt vmcnt(0)
	v_mul_f64 v[89:90], v[119:120], v[99:100]
	v_fma_f64 v[125:126], v[117:118], v[97:98], -v[89:90]
	v_mul_f64 v[89:90], v[117:118], v[99:100]
	v_fma_f64 v[99:100], v[119:120], v[97:98], v[89:90]
	ds_read2_b64 v[89:92], v0 offset0:12 offset1:13
	buffer_load_dword v73, off, s[24:27], 0 offset:388 ; 4-byte Folded Reload
	buffer_load_dword v74, off, s[24:27], 0 offset:392 ; 4-byte Folded Reload
	buffer_load_dword v75, off, s[24:27], 0 offset:396 ; 4-byte Folded Reload
	buffer_load_dword v76, off, s[24:27], 0 offset:400 ; 4-byte Folded Reload
	s_waitcnt lgkmcnt(0)
	v_mul_f64 v[95:96], v[91:92], v[99:100]
	v_fma_f64 v[95:96], v[89:90], v[125:126], -v[95:96]
	v_mul_f64 v[89:90], v[89:90], v[99:100]
	v_fma_f64 v[89:90], v[91:92], v[125:126], v[89:90]
	s_waitcnt vmcnt(2)
	v_add_f64 v[73:74], v[73:74], -v[95:96]
	s_waitcnt vmcnt(0)
	v_add_f64 v[75:76], v[75:76], -v[89:90]
	buffer_store_dword v73, off, s[24:27], 0 offset:388 ; 4-byte Folded Spill
	s_nop 0
	buffer_store_dword v74, off, s[24:27], 0 offset:392 ; 4-byte Folded Spill
	buffer_store_dword v75, off, s[24:27], 0 offset:396 ; 4-byte Folded Spill
	buffer_store_dword v76, off, s[24:27], 0 offset:400 ; 4-byte Folded Spill
	ds_read2_b64 v[89:92], v0 offset0:14 offset1:15
	buffer_load_dword v73, off, s[24:27], 0 offset:372 ; 4-byte Folded Reload
	buffer_load_dword v74, off, s[24:27], 0 offset:376 ; 4-byte Folded Reload
	buffer_load_dword v75, off, s[24:27], 0 offset:380 ; 4-byte Folded Reload
	buffer_load_dword v76, off, s[24:27], 0 offset:384 ; 4-byte Folded Reload
	s_waitcnt lgkmcnt(0)
	v_mul_f64 v[95:96], v[91:92], v[99:100]
	v_fma_f64 v[95:96], v[89:90], v[125:126], -v[95:96]
	v_mul_f64 v[89:90], v[89:90], v[99:100]
	v_fma_f64 v[89:90], v[91:92], v[125:126], v[89:90]
	s_waitcnt vmcnt(2)
	v_add_f64 v[73:74], v[73:74], -v[95:96]
	s_waitcnt vmcnt(0)
	v_add_f64 v[75:76], v[75:76], -v[89:90]
	buffer_store_dword v73, off, s[24:27], 0 offset:372 ; 4-byte Folded Spill
	s_nop 0
	buffer_store_dword v74, off, s[24:27], 0 offset:376 ; 4-byte Folded Spill
	buffer_store_dword v75, off, s[24:27], 0 offset:380 ; 4-byte Folded Spill
	buffer_store_dword v76, off, s[24:27], 0 offset:384 ; 4-byte Folded Spill
	;; [unrolled: 19-line block ×24, first 2 shown]
	ds_read2_b64 v[89:92], v0 offset0:60 offset1:61
	s_waitcnt lgkmcnt(0)
	v_mul_f64 v[95:96], v[91:92], v[99:100]
	v_fma_f64 v[95:96], v[89:90], v[125:126], -v[95:96]
	v_mul_f64 v[89:90], v[89:90], v[99:100]
	v_add_f64 v[81:82], v[81:82], -v[95:96]
	v_fma_f64 v[89:90], v[91:92], v[125:126], v[89:90]
	v_add_f64 v[83:84], v[83:84], -v[89:90]
	ds_read2_b64 v[89:92], v0 offset0:62 offset1:63
	s_waitcnt lgkmcnt(0)
	v_mul_f64 v[95:96], v[91:92], v[99:100]
	v_fma_f64 v[95:96], v[89:90], v[125:126], -v[95:96]
	v_mul_f64 v[89:90], v[89:90], v[99:100]
	v_add_f64 v[85:86], v[85:86], -v[95:96]
	v_fma_f64 v[89:90], v[91:92], v[125:126], v[89:90]
	v_add_f64 v[87:88], v[87:88], -v[89:90]
	;; [unrolled: 8-line block ×5, first 2 shown]
	ds_read2_b64 v[89:92], v0 offset0:70 offset1:71
	buffer_load_dword v73, off, s[24:27], 0 ; 4-byte Folded Reload
	buffer_load_dword v74, off, s[24:27], 0 offset:4 ; 4-byte Folded Reload
	buffer_load_dword v75, off, s[24:27], 0 offset:8 ; 4-byte Folded Reload
	buffer_load_dword v76, off, s[24:27], 0 offset:12 ; 4-byte Folded Reload
	s_waitcnt lgkmcnt(0)
	v_mul_f64 v[95:96], v[91:92], v[99:100]
	v_fma_f64 v[95:96], v[89:90], v[125:126], -v[95:96]
	v_mul_f64 v[89:90], v[89:90], v[99:100]
	v_fma_f64 v[89:90], v[91:92], v[125:126], v[89:90]
	s_waitcnt vmcnt(2)
	v_add_f64 v[73:74], v[73:74], -v[95:96]
	s_waitcnt vmcnt(0)
	v_add_f64 v[75:76], v[75:76], -v[89:90]
	buffer_store_dword v73, off, s[24:27], 0 ; 4-byte Folded Spill
	s_nop 0
	buffer_store_dword v74, off, s[24:27], 0 offset:4 ; 4-byte Folded Spill
	buffer_store_dword v75, off, s[24:27], 0 offset:8 ; 4-byte Folded Spill
	;; [unrolled: 1-line block ×3, first 2 shown]
	ds_read2_b64 v[89:92], v0 offset0:72 offset1:73
	s_waitcnt lgkmcnt(0)
	v_mul_f64 v[95:96], v[91:92], v[99:100]
	v_fma_f64 v[95:96], v[89:90], v[125:126], -v[95:96]
	v_mul_f64 v[89:90], v[89:90], v[99:100]
	v_add_f64 v[69:70], v[69:70], -v[95:96]
	v_fma_f64 v[89:90], v[91:92], v[125:126], v[89:90]
	v_add_f64 v[71:72], v[71:72], -v[89:90]
	ds_read2_b64 v[89:92], v0 offset0:74 offset1:75
	s_waitcnt lgkmcnt(0)
	v_mul_f64 v[95:96], v[91:92], v[99:100]
	v_fma_f64 v[95:96], v[89:90], v[125:126], -v[95:96]
	v_mul_f64 v[89:90], v[89:90], v[99:100]
	v_add_f64 v[65:66], v[65:66], -v[95:96]
	v_fma_f64 v[89:90], v[91:92], v[125:126], v[89:90]
	v_add_f64 v[67:68], v[67:68], -v[89:90]
	ds_read2_b64 v[89:92], v0 offset0:76 offset1:77
	s_waitcnt lgkmcnt(0)
	v_mul_f64 v[95:96], v[91:92], v[99:100]
	v_fma_f64 v[95:96], v[89:90], v[125:126], -v[95:96]
	v_mul_f64 v[89:90], v[89:90], v[99:100]
	v_add_f64 v[61:62], v[61:62], -v[95:96]
	v_fma_f64 v[89:90], v[91:92], v[125:126], v[89:90]
	v_add_f64 v[63:64], v[63:64], -v[89:90]
	ds_read2_b64 v[89:92], v0 offset0:78 offset1:79
	s_waitcnt lgkmcnt(0)
	v_mul_f64 v[95:96], v[91:92], v[99:100]
	v_fma_f64 v[95:96], v[89:90], v[125:126], -v[95:96]
	v_mul_f64 v[89:90], v[89:90], v[99:100]
	v_add_f64 v[57:58], v[57:58], -v[95:96]
	v_fma_f64 v[89:90], v[91:92], v[125:126], v[89:90]
	v_add_f64 v[59:60], v[59:60], -v[89:90]
	ds_read2_b64 v[89:92], v0 offset0:80 offset1:81
	s_waitcnt lgkmcnt(0)
	v_mul_f64 v[95:96], v[91:92], v[99:100]
	v_fma_f64 v[95:96], v[89:90], v[125:126], -v[95:96]
	v_mul_f64 v[89:90], v[89:90], v[99:100]
	v_add_f64 v[53:54], v[53:54], -v[95:96]
	v_fma_f64 v[89:90], v[91:92], v[125:126], v[89:90]
	v_add_f64 v[55:56], v[55:56], -v[89:90]
	ds_read2_b64 v[89:92], v0 offset0:82 offset1:83
	s_waitcnt lgkmcnt(0)
	v_mul_f64 v[95:96], v[91:92], v[99:100]
	v_fma_f64 v[95:96], v[89:90], v[125:126], -v[95:96]
	v_mul_f64 v[89:90], v[89:90], v[99:100]
	v_add_f64 v[49:50], v[49:50], -v[95:96]
	v_fma_f64 v[89:90], v[91:92], v[125:126], v[89:90]
	v_add_f64 v[51:52], v[51:52], -v[89:90]
	ds_read2_b64 v[89:92], v0 offset0:84 offset1:85
	s_waitcnt lgkmcnt(0)
	v_mul_f64 v[95:96], v[91:92], v[99:100]
	v_fma_f64 v[95:96], v[89:90], v[125:126], -v[95:96]
	v_mul_f64 v[89:90], v[89:90], v[99:100]
	v_add_f64 v[45:46], v[45:46], -v[95:96]
	v_fma_f64 v[89:90], v[91:92], v[125:126], v[89:90]
	v_add_f64 v[47:48], v[47:48], -v[89:90]
	ds_read2_b64 v[89:92], v0 offset0:86 offset1:87
	s_waitcnt lgkmcnt(0)
	v_mul_f64 v[95:96], v[91:92], v[99:100]
	v_fma_f64 v[95:96], v[89:90], v[125:126], -v[95:96]
	v_mul_f64 v[89:90], v[89:90], v[99:100]
	v_add_f64 v[41:42], v[41:42], -v[95:96]
	v_fma_f64 v[89:90], v[91:92], v[125:126], v[89:90]
	v_add_f64 v[43:44], v[43:44], -v[89:90]
	ds_read2_b64 v[89:92], v0 offset0:88 offset1:89
	s_waitcnt lgkmcnt(0)
	v_mul_f64 v[95:96], v[91:92], v[99:100]
	v_fma_f64 v[95:96], v[89:90], v[125:126], -v[95:96]
	v_mul_f64 v[89:90], v[89:90], v[99:100]
	v_add_f64 v[37:38], v[37:38], -v[95:96]
	v_fma_f64 v[89:90], v[91:92], v[125:126], v[89:90]
	v_add_f64 v[39:40], v[39:40], -v[89:90]
	ds_read2_b64 v[89:92], v0 offset0:90 offset1:91
	s_waitcnt lgkmcnt(0)
	v_mul_f64 v[95:96], v[91:92], v[99:100]
	v_fma_f64 v[95:96], v[89:90], v[125:126], -v[95:96]
	v_mul_f64 v[89:90], v[89:90], v[99:100]
	v_add_f64 v[33:34], v[33:34], -v[95:96]
	v_fma_f64 v[89:90], v[91:92], v[125:126], v[89:90]
	v_add_f64 v[35:36], v[35:36], -v[89:90]
	ds_read2_b64 v[89:92], v0 offset0:92 offset1:93
	s_waitcnt lgkmcnt(0)
	v_mul_f64 v[95:96], v[91:92], v[99:100]
	v_fma_f64 v[95:96], v[89:90], v[125:126], -v[95:96]
	v_mul_f64 v[89:90], v[89:90], v[99:100]
	v_add_f64 v[29:30], v[29:30], -v[95:96]
	v_fma_f64 v[89:90], v[91:92], v[125:126], v[89:90]
	v_add_f64 v[31:32], v[31:32], -v[89:90]
	ds_read2_b64 v[89:92], v0 offset0:94 offset1:95
	s_waitcnt lgkmcnt(0)
	v_mul_f64 v[95:96], v[91:92], v[99:100]
	v_fma_f64 v[95:96], v[89:90], v[125:126], -v[95:96]
	v_mul_f64 v[89:90], v[89:90], v[99:100]
	v_add_f64 v[25:26], v[25:26], -v[95:96]
	v_fma_f64 v[89:90], v[91:92], v[125:126], v[89:90]
	v_add_f64 v[27:28], v[27:28], -v[89:90]
	ds_read2_b64 v[89:92], v0 offset0:96 offset1:97
	s_waitcnt lgkmcnt(0)
	v_mul_f64 v[95:96], v[91:92], v[99:100]
	v_fma_f64 v[95:96], v[89:90], v[125:126], -v[95:96]
	v_mul_f64 v[89:90], v[89:90], v[99:100]
	v_add_f64 v[21:22], v[21:22], -v[95:96]
	v_fma_f64 v[89:90], v[91:92], v[125:126], v[89:90]
	v_add_f64 v[23:24], v[23:24], -v[89:90]
	ds_read2_b64 v[89:92], v0 offset0:98 offset1:99
	s_waitcnt lgkmcnt(0)
	v_mul_f64 v[95:96], v[91:92], v[99:100]
	v_fma_f64 v[95:96], v[89:90], v[125:126], -v[95:96]
	v_mul_f64 v[89:90], v[89:90], v[99:100]
	v_add_f64 v[17:18], v[17:18], -v[95:96]
	v_fma_f64 v[89:90], v[91:92], v[125:126], v[89:90]
	v_add_f64 v[19:20], v[19:20], -v[89:90]
	ds_read2_b64 v[89:92], v0 offset0:100 offset1:101
	s_waitcnt lgkmcnt(0)
	v_mul_f64 v[95:96], v[91:92], v[99:100]
	v_fma_f64 v[95:96], v[89:90], v[125:126], -v[95:96]
	v_mul_f64 v[89:90], v[89:90], v[99:100]
	v_add_f64 v[13:14], v[13:14], -v[95:96]
	v_fma_f64 v[89:90], v[91:92], v[125:126], v[89:90]
	v_add_f64 v[15:16], v[15:16], -v[89:90]
	ds_read2_b64 v[89:92], v0 offset0:102 offset1:103
	s_waitcnt lgkmcnt(0)
	v_mul_f64 v[95:96], v[91:92], v[99:100]
	v_fma_f64 v[95:96], v[89:90], v[125:126], -v[95:96]
	v_mul_f64 v[89:90], v[89:90], v[99:100]
	v_add_f64 v[9:10], v[9:10], -v[95:96]
	v_fma_f64 v[89:90], v[91:92], v[125:126], v[89:90]
	v_add_f64 v[11:12], v[11:12], -v[89:90]
	ds_read2_b64 v[89:92], v0 offset0:104 offset1:105
	s_waitcnt lgkmcnt(0)
	v_mul_f64 v[95:96], v[91:92], v[99:100]
	v_fma_f64 v[95:96], v[89:90], v[125:126], -v[95:96]
	v_mul_f64 v[89:90], v[89:90], v[99:100]
	v_add_f64 v[5:6], v[5:6], -v[95:96]
	v_fma_f64 v[89:90], v[91:92], v[125:126], v[89:90]
	v_add_f64 v[7:8], v[7:8], -v[89:90]
	ds_read2_b64 v[89:92], v0 offset0:106 offset1:107
	s_waitcnt lgkmcnt(0)
	v_mul_f64 v[95:96], v[91:92], v[99:100]
	v_fma_f64 v[95:96], v[89:90], v[125:126], -v[95:96]
	v_mul_f64 v[89:90], v[89:90], v[99:100]
	v_add_f64 v[1:2], v[1:2], -v[95:96]
	v_fma_f64 v[89:90], v[91:92], v[125:126], v[89:90]
	ds_read2_b64 v[95:98], v0 offset0:108 offset1:109
	s_waitcnt lgkmcnt(0)
	v_mul_f64 v[91:92], v[95:96], v[99:100]
	v_add_f64 v[3:4], v[3:4], -v[89:90]
	v_mul_f64 v[89:90], v[97:98], v[99:100]
	v_fma_f64 v[91:92], v[97:98], v[125:126], v[91:92]
	v_mov_b32_e32 v97, v125
	v_mov_b32_e32 v98, v126
	v_fma_f64 v[89:90], v[95:96], v[125:126], -v[89:90]
	buffer_store_dword v97, off, s[24:27], 0 offset:404 ; 4-byte Folded Spill
	s_nop 0
	buffer_store_dword v98, off, s[24:27], 0 offset:408 ; 4-byte Folded Spill
	buffer_store_dword v99, off, s[24:27], 0 offset:412 ; 4-byte Folded Spill
	;; [unrolled: 1-line block ×3, first 2 shown]
	v_add_f64 v[123:124], v[123:124], -v[91:92]
	v_add_f64 v[121:122], v[121:122], -v[89:90]
.LBB108_125:
	s_or_b64 exec, exec, s[0:1]
	s_waitcnt vmcnt(0)
	s_barrier
	buffer_load_dword v73, off, s[24:27], 0 offset:388 ; 4-byte Folded Reload
	buffer_load_dword v74, off, s[24:27], 0 offset:392 ; 4-byte Folded Reload
	;; [unrolled: 1-line block ×4, first 2 shown]
	v_lshl_add_u32 v89, v93, 4, v0
	s_cmp_lt_i32 s3, 8
	s_waitcnt vmcnt(0)
	ds_write2_b64 v89, v[73:74], v[75:76] offset1:1
	s_waitcnt lgkmcnt(0)
	s_barrier
	ds_read2_b64 v[117:120], v0 offset0:12 offset1:13
	v_mov_b32_e32 v89, 6
	s_cbranch_scc1 .LBB108_128
; %bb.126:
	v_add_u32_e32 v90, 0x70, v0
	s_mov_b32 s0, 7
	v_mov_b32_e32 v89, 6
.LBB108_127:                            ; =>This Inner Loop Header: Depth=1
	s_waitcnt lgkmcnt(0)
	v_cmp_gt_f64_e32 vcc, 0, v[117:118]
	v_xor_b32_e32 v91, 0x80000000, v118
	ds_read2_b64 v[95:98], v90 offset1:1
	v_xor_b32_e32 v99, 0x80000000, v120
	v_add_u32_e32 v90, 16, v90
	s_waitcnt lgkmcnt(0)
	v_xor_b32_e32 v101, 0x80000000, v98
	v_cndmask_b32_e32 v92, v118, v91, vcc
	v_cmp_gt_f64_e32 vcc, 0, v[119:120]
	v_mov_b32_e32 v91, v117
	v_cndmask_b32_e32 v100, v120, v99, vcc
	v_cmp_gt_f64_e32 vcc, 0, v[95:96]
	v_mov_b32_e32 v99, v119
	v_add_f64 v[91:92], v[91:92], v[99:100]
	v_xor_b32_e32 v99, 0x80000000, v96
	v_cndmask_b32_e32 v100, v96, v99, vcc
	v_cmp_gt_f64_e32 vcc, 0, v[97:98]
	v_mov_b32_e32 v99, v95
	v_cndmask_b32_e32 v102, v98, v101, vcc
	v_mov_b32_e32 v101, v97
	v_add_f64 v[99:100], v[99:100], v[101:102]
	v_cmp_lt_f64_e32 vcc, v[91:92], v[99:100]
	v_mov_b32_e32 v91, s0
	s_add_i32 s0, s0, 1
	s_cmp_lg_u32 s3, s0
	v_cndmask_b32_e32 v118, v118, v96, vcc
	v_cndmask_b32_e32 v117, v117, v95, vcc
	v_cndmask_b32_e32 v120, v120, v98, vcc
	v_cndmask_b32_e32 v119, v119, v97, vcc
	v_cndmask_b32_e32 v89, v89, v91, vcc
	s_cbranch_scc1 .LBB108_127
.LBB108_128:
	s_waitcnt lgkmcnt(0)
	v_cmp_eq_f64_e32 vcc, 0, v[117:118]
	v_cmp_eq_f64_e64 s[0:1], 0, v[119:120]
	s_and_b64 s[0:1], vcc, s[0:1]
	s_and_saveexec_b64 s[18:19], s[0:1]
	s_xor_b64 s[0:1], exec, s[18:19]
; %bb.129:
	v_cmp_ne_u32_e32 vcc, 0, v94
	v_cndmask_b32_e32 v94, 7, v94, vcc
; %bb.130:
	s_andn2_saveexec_b64 s[0:1], s[0:1]
	s_cbranch_execz .LBB108_136
; %bb.131:
	v_cmp_ngt_f64_e64 s[18:19], |v[117:118]|, |v[119:120]|
	s_and_saveexec_b64 s[20:21], s[18:19]
	s_xor_b64 s[18:19], exec, s[20:21]
	s_cbranch_execz .LBB108_133
; %bb.132:
	v_div_scale_f64 v[90:91], s[20:21], v[119:120], v[119:120], v[117:118]
	v_rcp_f64_e32 v[95:96], v[90:91]
	v_fma_f64 v[97:98], -v[90:91], v[95:96], 1.0
	v_fma_f64 v[95:96], v[95:96], v[97:98], v[95:96]
	v_div_scale_f64 v[97:98], vcc, v[117:118], v[119:120], v[117:118]
	v_fma_f64 v[99:100], -v[90:91], v[95:96], 1.0
	v_fma_f64 v[95:96], v[95:96], v[99:100], v[95:96]
	v_mul_f64 v[99:100], v[97:98], v[95:96]
	v_fma_f64 v[90:91], -v[90:91], v[99:100], v[97:98]
	v_div_fmas_f64 v[90:91], v[90:91], v[95:96], v[99:100]
	v_div_fixup_f64 v[90:91], v[90:91], v[119:120], v[117:118]
	v_fma_f64 v[95:96], v[117:118], v[90:91], v[119:120]
	v_div_scale_f64 v[97:98], s[20:21], v[95:96], v[95:96], 1.0
	v_div_scale_f64 v[103:104], vcc, 1.0, v[95:96], 1.0
	v_rcp_f64_e32 v[99:100], v[97:98]
	v_fma_f64 v[101:102], -v[97:98], v[99:100], 1.0
	v_fma_f64 v[99:100], v[99:100], v[101:102], v[99:100]
	v_fma_f64 v[101:102], -v[97:98], v[99:100], 1.0
	v_fma_f64 v[99:100], v[99:100], v[101:102], v[99:100]
	v_mul_f64 v[101:102], v[103:104], v[99:100]
	v_fma_f64 v[97:98], -v[97:98], v[101:102], v[103:104]
	v_div_fmas_f64 v[97:98], v[97:98], v[99:100], v[101:102]
	v_div_fixup_f64 v[119:120], v[97:98], v[95:96], 1.0
	v_mul_f64 v[117:118], v[90:91], v[119:120]
	v_xor_b32_e32 v120, 0x80000000, v120
.LBB108_133:
	s_andn2_saveexec_b64 s[18:19], s[18:19]
	s_cbranch_execz .LBB108_135
; %bb.134:
	v_div_scale_f64 v[90:91], s[20:21], v[117:118], v[117:118], v[119:120]
	v_rcp_f64_e32 v[95:96], v[90:91]
	v_fma_f64 v[97:98], -v[90:91], v[95:96], 1.0
	v_fma_f64 v[95:96], v[95:96], v[97:98], v[95:96]
	v_div_scale_f64 v[97:98], vcc, v[119:120], v[117:118], v[119:120]
	v_fma_f64 v[99:100], -v[90:91], v[95:96], 1.0
	v_fma_f64 v[95:96], v[95:96], v[99:100], v[95:96]
	v_mul_f64 v[99:100], v[97:98], v[95:96]
	v_fma_f64 v[90:91], -v[90:91], v[99:100], v[97:98]
	v_div_fmas_f64 v[90:91], v[90:91], v[95:96], v[99:100]
	v_div_fixup_f64 v[90:91], v[90:91], v[117:118], v[119:120]
	v_fma_f64 v[95:96], v[119:120], v[90:91], v[117:118]
	v_div_scale_f64 v[97:98], s[20:21], v[95:96], v[95:96], 1.0
	v_div_scale_f64 v[103:104], vcc, 1.0, v[95:96], 1.0
	v_rcp_f64_e32 v[99:100], v[97:98]
	v_fma_f64 v[101:102], -v[97:98], v[99:100], 1.0
	v_fma_f64 v[99:100], v[99:100], v[101:102], v[99:100]
	v_fma_f64 v[101:102], -v[97:98], v[99:100], 1.0
	v_fma_f64 v[99:100], v[99:100], v[101:102], v[99:100]
	v_mul_f64 v[101:102], v[103:104], v[99:100]
	v_fma_f64 v[97:98], -v[97:98], v[101:102], v[103:104]
	v_div_fmas_f64 v[97:98], v[97:98], v[99:100], v[101:102]
	v_div_fixup_f64 v[117:118], v[97:98], v[95:96], 1.0
	v_mul_f64 v[119:120], v[90:91], -v[117:118]
.LBB108_135:
	s_or_b64 exec, exec, s[18:19]
.LBB108_136:
	s_or_b64 exec, exec, s[0:1]
	v_cmp_ne_u32_e32 vcc, v93, v89
	s_and_saveexec_b64 s[0:1], vcc
	s_xor_b64 s[0:1], exec, s[0:1]
	s_cbranch_execz .LBB108_142
; %bb.137:
	v_cmp_eq_u32_e32 vcc, 6, v93
	s_and_saveexec_b64 s[18:19], vcc
	s_cbranch_execz .LBB108_141
; %bb.138:
	v_cmp_ne_u32_e32 vcc, 6, v89
	s_xor_b64 s[20:21], s[6:7], -1
	s_and_b64 s[22:23], s[20:21], vcc
	s_and_saveexec_b64 s[20:21], s[22:23]
	s_cbranch_execz .LBB108_140
; %bb.139:
	v_mov_b32_e32 v73, v81
	v_mov_b32_e32 v74, v82
	;; [unrolled: 1-line block ×4, first 2 shown]
	buffer_load_dword v81, off, s[24:27], 0 offset:452 ; 4-byte Folded Reload
	buffer_load_dword v82, off, s[24:27], 0 offset:456 ; 4-byte Folded Reload
	v_ashrrev_i32_e32 v90, 31, v89
	v_lshlrev_b64 v[90:91], 2, v[89:90]
	s_waitcnt vmcnt(1)
	v_add_co_u32_e32 v90, vcc, v81, v90
	s_waitcnt vmcnt(0)
	v_addc_co_u32_e32 v91, vcc, v82, v91, vcc
	global_load_dword v92, v[90:91], off
	global_load_dword v93, v[81:82], off offset:24
	s_waitcnt vmcnt(1)
	global_store_dword v[81:82], v92, off offset:24
	v_mov_b32_e32 v84, v76
	v_mov_b32_e32 v83, v75
	;; [unrolled: 1-line block ×4, first 2 shown]
	s_waitcnt vmcnt(1)
	global_store_dword v[90:91], v93, off
.LBB108_140:
	s_or_b64 exec, exec, s[20:21]
	v_mov_b32_e32 v93, v89
	v_mov_b32_e32 v73, v89
	buffer_store_dword v73, off, s[24:27], 0 offset:368 ; 4-byte Folded Spill
.LBB108_141:
	s_or_b64 exec, exec, s[18:19]
.LBB108_142:
	s_andn2_saveexec_b64 s[0:1], s[0:1]
	s_cbranch_execz .LBB108_144
; %bb.143:
	buffer_load_dword v73, off, s[24:27], 0 offset:372 ; 4-byte Folded Reload
	buffer_load_dword v74, off, s[24:27], 0 offset:376 ; 4-byte Folded Reload
	;; [unrolled: 1-line block ×4, first 2 shown]
	v_mov_b32_e32 v93, 6
	s_waitcnt vmcnt(0)
	ds_write2_b64 v0, v[73:74], v[75:76] offset0:14 offset1:15
	buffer_load_dword v73, off, s[24:27], 0 offset:352 ; 4-byte Folded Reload
	buffer_load_dword v74, off, s[24:27], 0 offset:356 ; 4-byte Folded Reload
	buffer_load_dword v75, off, s[24:27], 0 offset:360 ; 4-byte Folded Reload
	buffer_load_dword v76, off, s[24:27], 0 offset:364 ; 4-byte Folded Reload
	s_waitcnt vmcnt(0)
	ds_write2_b64 v0, v[73:74], v[75:76] offset0:16 offset1:17
	buffer_load_dword v73, off, s[24:27], 0 offset:336 ; 4-byte Folded Reload
	buffer_load_dword v74, off, s[24:27], 0 offset:340 ; 4-byte Folded Reload
	buffer_load_dword v75, off, s[24:27], 0 offset:344 ; 4-byte Folded Reload
	buffer_load_dword v76, off, s[24:27], 0 offset:348 ; 4-byte Folded Reload
	;; [unrolled: 6-line block ×22, first 2 shown]
	s_waitcnt vmcnt(0)
	ds_write2_b64 v0, v[73:74], v[75:76] offset0:58 offset1:59
	ds_write2_b64 v0, v[81:82], v[83:84] offset0:60 offset1:61
	ds_write2_b64 v0, v[85:86], v[87:88] offset0:62 offset1:63
	ds_write2_b64 v0, v[109:110], v[111:112] offset0:64 offset1:65
	ds_write2_b64 v0, v[113:114], v[115:116] offset0:66 offset1:67
	ds_write2_b64 v0, v[77:78], v[79:80] offset0:68 offset1:69
	buffer_load_dword v73, off, s[24:27], 0 ; 4-byte Folded Reload
	buffer_load_dword v74, off, s[24:27], 0 offset:4 ; 4-byte Folded Reload
	buffer_load_dword v75, off, s[24:27], 0 offset:8 ; 4-byte Folded Reload
	;; [unrolled: 1-line block ×3, first 2 shown]
	s_waitcnt vmcnt(0)
	ds_write2_b64 v0, v[73:74], v[75:76] offset0:70 offset1:71
	ds_write2_b64 v0, v[69:70], v[71:72] offset0:72 offset1:73
	;; [unrolled: 1-line block ×20, first 2 shown]
.LBB108_144:
	s_or_b64 exec, exec, s[0:1]
	v_cmp_lt_i32_e32 vcc, 6, v93
	s_waitcnt vmcnt(0) lgkmcnt(0)
	s_barrier
	s_and_saveexec_b64 s[0:1], vcc
	s_cbranch_execz .LBB108_146
; %bb.145:
	buffer_load_dword v97, off, s[24:27], 0 offset:388 ; 4-byte Folded Reload
	buffer_load_dword v98, off, s[24:27], 0 offset:392 ; 4-byte Folded Reload
	;; [unrolled: 1-line block ×4, first 2 shown]
	s_waitcnt vmcnt(0)
	v_mul_f64 v[89:90], v[119:120], v[99:100]
	v_fma_f64 v[125:126], v[117:118], v[97:98], -v[89:90]
	v_mul_f64 v[89:90], v[117:118], v[99:100]
	v_fma_f64 v[99:100], v[119:120], v[97:98], v[89:90]
	ds_read2_b64 v[89:92], v0 offset0:14 offset1:15
	buffer_load_dword v73, off, s[24:27], 0 offset:372 ; 4-byte Folded Reload
	buffer_load_dword v74, off, s[24:27], 0 offset:376 ; 4-byte Folded Reload
	buffer_load_dword v75, off, s[24:27], 0 offset:380 ; 4-byte Folded Reload
	buffer_load_dword v76, off, s[24:27], 0 offset:384 ; 4-byte Folded Reload
	s_waitcnt lgkmcnt(0)
	v_mul_f64 v[95:96], v[91:92], v[99:100]
	v_fma_f64 v[95:96], v[89:90], v[125:126], -v[95:96]
	v_mul_f64 v[89:90], v[89:90], v[99:100]
	v_fma_f64 v[89:90], v[91:92], v[125:126], v[89:90]
	s_waitcnt vmcnt(2)
	v_add_f64 v[73:74], v[73:74], -v[95:96]
	s_waitcnt vmcnt(0)
	v_add_f64 v[75:76], v[75:76], -v[89:90]
	buffer_store_dword v73, off, s[24:27], 0 offset:372 ; 4-byte Folded Spill
	s_nop 0
	buffer_store_dword v74, off, s[24:27], 0 offset:376 ; 4-byte Folded Spill
	buffer_store_dword v75, off, s[24:27], 0 offset:380 ; 4-byte Folded Spill
	buffer_store_dword v76, off, s[24:27], 0 offset:384 ; 4-byte Folded Spill
	ds_read2_b64 v[89:92], v0 offset0:16 offset1:17
	buffer_load_dword v73, off, s[24:27], 0 offset:352 ; 4-byte Folded Reload
	buffer_load_dword v74, off, s[24:27], 0 offset:356 ; 4-byte Folded Reload
	buffer_load_dword v75, off, s[24:27], 0 offset:360 ; 4-byte Folded Reload
	buffer_load_dword v76, off, s[24:27], 0 offset:364 ; 4-byte Folded Reload
	s_waitcnt lgkmcnt(0)
	v_mul_f64 v[95:96], v[91:92], v[99:100]
	v_fma_f64 v[95:96], v[89:90], v[125:126], -v[95:96]
	v_mul_f64 v[89:90], v[89:90], v[99:100]
	v_fma_f64 v[89:90], v[91:92], v[125:126], v[89:90]
	s_waitcnt vmcnt(2)
	v_add_f64 v[73:74], v[73:74], -v[95:96]
	s_waitcnt vmcnt(0)
	v_add_f64 v[75:76], v[75:76], -v[89:90]
	buffer_store_dword v73, off, s[24:27], 0 offset:352 ; 4-byte Folded Spill
	s_nop 0
	buffer_store_dword v74, off, s[24:27], 0 offset:356 ; 4-byte Folded Spill
	buffer_store_dword v75, off, s[24:27], 0 offset:360 ; 4-byte Folded Spill
	buffer_store_dword v76, off, s[24:27], 0 offset:364 ; 4-byte Folded Spill
	;; [unrolled: 19-line block ×23, first 2 shown]
	ds_read2_b64 v[89:92], v0 offset0:60 offset1:61
	s_waitcnt lgkmcnt(0)
	v_mul_f64 v[95:96], v[91:92], v[99:100]
	v_fma_f64 v[95:96], v[89:90], v[125:126], -v[95:96]
	v_mul_f64 v[89:90], v[89:90], v[99:100]
	v_add_f64 v[81:82], v[81:82], -v[95:96]
	v_fma_f64 v[89:90], v[91:92], v[125:126], v[89:90]
	v_add_f64 v[83:84], v[83:84], -v[89:90]
	ds_read2_b64 v[89:92], v0 offset0:62 offset1:63
	s_waitcnt lgkmcnt(0)
	v_mul_f64 v[95:96], v[91:92], v[99:100]
	v_fma_f64 v[95:96], v[89:90], v[125:126], -v[95:96]
	v_mul_f64 v[89:90], v[89:90], v[99:100]
	v_add_f64 v[85:86], v[85:86], -v[95:96]
	v_fma_f64 v[89:90], v[91:92], v[125:126], v[89:90]
	v_add_f64 v[87:88], v[87:88], -v[89:90]
	;; [unrolled: 8-line block ×5, first 2 shown]
	ds_read2_b64 v[89:92], v0 offset0:70 offset1:71
	buffer_load_dword v73, off, s[24:27], 0 ; 4-byte Folded Reload
	buffer_load_dword v74, off, s[24:27], 0 offset:4 ; 4-byte Folded Reload
	buffer_load_dword v75, off, s[24:27], 0 offset:8 ; 4-byte Folded Reload
	;; [unrolled: 1-line block ×3, first 2 shown]
	s_waitcnt lgkmcnt(0)
	v_mul_f64 v[95:96], v[91:92], v[99:100]
	v_fma_f64 v[95:96], v[89:90], v[125:126], -v[95:96]
	v_mul_f64 v[89:90], v[89:90], v[99:100]
	v_fma_f64 v[89:90], v[91:92], v[125:126], v[89:90]
	s_waitcnt vmcnt(2)
	v_add_f64 v[73:74], v[73:74], -v[95:96]
	s_waitcnt vmcnt(0)
	v_add_f64 v[75:76], v[75:76], -v[89:90]
	buffer_store_dword v73, off, s[24:27], 0 ; 4-byte Folded Spill
	s_nop 0
	buffer_store_dword v74, off, s[24:27], 0 offset:4 ; 4-byte Folded Spill
	buffer_store_dword v75, off, s[24:27], 0 offset:8 ; 4-byte Folded Spill
	;; [unrolled: 1-line block ×3, first 2 shown]
	ds_read2_b64 v[89:92], v0 offset0:72 offset1:73
	s_waitcnt lgkmcnt(0)
	v_mul_f64 v[95:96], v[91:92], v[99:100]
	v_fma_f64 v[95:96], v[89:90], v[125:126], -v[95:96]
	v_mul_f64 v[89:90], v[89:90], v[99:100]
	v_add_f64 v[69:70], v[69:70], -v[95:96]
	v_fma_f64 v[89:90], v[91:92], v[125:126], v[89:90]
	v_add_f64 v[71:72], v[71:72], -v[89:90]
	ds_read2_b64 v[89:92], v0 offset0:74 offset1:75
	s_waitcnt lgkmcnt(0)
	v_mul_f64 v[95:96], v[91:92], v[99:100]
	v_fma_f64 v[95:96], v[89:90], v[125:126], -v[95:96]
	v_mul_f64 v[89:90], v[89:90], v[99:100]
	v_add_f64 v[65:66], v[65:66], -v[95:96]
	v_fma_f64 v[89:90], v[91:92], v[125:126], v[89:90]
	v_add_f64 v[67:68], v[67:68], -v[89:90]
	;; [unrolled: 8-line block ×17, first 2 shown]
	ds_read2_b64 v[89:92], v0 offset0:106 offset1:107
	s_waitcnt lgkmcnt(0)
	v_mul_f64 v[95:96], v[91:92], v[99:100]
	v_fma_f64 v[95:96], v[89:90], v[125:126], -v[95:96]
	v_mul_f64 v[89:90], v[89:90], v[99:100]
	v_add_f64 v[1:2], v[1:2], -v[95:96]
	v_fma_f64 v[89:90], v[91:92], v[125:126], v[89:90]
	ds_read2_b64 v[95:98], v0 offset0:108 offset1:109
	s_waitcnt lgkmcnt(0)
	v_mul_f64 v[91:92], v[95:96], v[99:100]
	v_add_f64 v[3:4], v[3:4], -v[89:90]
	v_mul_f64 v[89:90], v[97:98], v[99:100]
	v_fma_f64 v[91:92], v[97:98], v[125:126], v[91:92]
	v_mov_b32_e32 v97, v125
	v_mov_b32_e32 v98, v126
	v_fma_f64 v[89:90], v[95:96], v[125:126], -v[89:90]
	buffer_store_dword v97, off, s[24:27], 0 offset:388 ; 4-byte Folded Spill
	s_nop 0
	buffer_store_dword v98, off, s[24:27], 0 offset:392 ; 4-byte Folded Spill
	buffer_store_dword v99, off, s[24:27], 0 offset:396 ; 4-byte Folded Spill
	;; [unrolled: 1-line block ×3, first 2 shown]
	v_add_f64 v[123:124], v[123:124], -v[91:92]
	v_add_f64 v[121:122], v[121:122], -v[89:90]
.LBB108_146:
	s_or_b64 exec, exec, s[0:1]
	s_waitcnt vmcnt(0)
	s_barrier
	buffer_load_dword v73, off, s[24:27], 0 offset:372 ; 4-byte Folded Reload
	buffer_load_dword v74, off, s[24:27], 0 offset:376 ; 4-byte Folded Reload
	;; [unrolled: 1-line block ×4, first 2 shown]
	v_lshl_add_u32 v89, v93, 4, v0
	s_cmp_lt_i32 s3, 9
	s_waitcnt vmcnt(0)
	ds_write2_b64 v89, v[73:74], v[75:76] offset1:1
	s_waitcnt lgkmcnt(0)
	s_barrier
	ds_read2_b64 v[117:120], v0 offset0:14 offset1:15
	v_mov_b32_e32 v89, 7
	s_cbranch_scc1 .LBB108_149
; %bb.147:
	v_add_u32_e32 v90, 0x80, v0
	s_mov_b32 s0, 8
	v_mov_b32_e32 v89, 7
.LBB108_148:                            ; =>This Inner Loop Header: Depth=1
	s_waitcnt lgkmcnt(0)
	v_cmp_gt_f64_e32 vcc, 0, v[117:118]
	v_xor_b32_e32 v91, 0x80000000, v118
	ds_read2_b64 v[95:98], v90 offset1:1
	v_xor_b32_e32 v99, 0x80000000, v120
	v_add_u32_e32 v90, 16, v90
	s_waitcnt lgkmcnt(0)
	v_xor_b32_e32 v101, 0x80000000, v98
	v_cndmask_b32_e32 v92, v118, v91, vcc
	v_cmp_gt_f64_e32 vcc, 0, v[119:120]
	v_mov_b32_e32 v91, v117
	v_cndmask_b32_e32 v100, v120, v99, vcc
	v_cmp_gt_f64_e32 vcc, 0, v[95:96]
	v_mov_b32_e32 v99, v119
	v_add_f64 v[91:92], v[91:92], v[99:100]
	v_xor_b32_e32 v99, 0x80000000, v96
	v_cndmask_b32_e32 v100, v96, v99, vcc
	v_cmp_gt_f64_e32 vcc, 0, v[97:98]
	v_mov_b32_e32 v99, v95
	v_cndmask_b32_e32 v102, v98, v101, vcc
	v_mov_b32_e32 v101, v97
	v_add_f64 v[99:100], v[99:100], v[101:102]
	v_cmp_lt_f64_e32 vcc, v[91:92], v[99:100]
	v_mov_b32_e32 v91, s0
	s_add_i32 s0, s0, 1
	s_cmp_lg_u32 s3, s0
	v_cndmask_b32_e32 v118, v118, v96, vcc
	v_cndmask_b32_e32 v117, v117, v95, vcc
	;; [unrolled: 1-line block ×5, first 2 shown]
	s_cbranch_scc1 .LBB108_148
.LBB108_149:
	s_waitcnt lgkmcnt(0)
	v_cmp_eq_f64_e32 vcc, 0, v[117:118]
	v_cmp_eq_f64_e64 s[0:1], 0, v[119:120]
	s_and_b64 s[0:1], vcc, s[0:1]
	s_and_saveexec_b64 s[18:19], s[0:1]
	s_xor_b64 s[0:1], exec, s[18:19]
; %bb.150:
	v_cmp_ne_u32_e32 vcc, 0, v94
	v_cndmask_b32_e32 v94, 8, v94, vcc
; %bb.151:
	s_andn2_saveexec_b64 s[0:1], s[0:1]
	s_cbranch_execz .LBB108_157
; %bb.152:
	v_cmp_ngt_f64_e64 s[18:19], |v[117:118]|, |v[119:120]|
	s_and_saveexec_b64 s[20:21], s[18:19]
	s_xor_b64 s[18:19], exec, s[20:21]
	s_cbranch_execz .LBB108_154
; %bb.153:
	v_div_scale_f64 v[90:91], s[20:21], v[119:120], v[119:120], v[117:118]
	v_rcp_f64_e32 v[95:96], v[90:91]
	v_fma_f64 v[97:98], -v[90:91], v[95:96], 1.0
	v_fma_f64 v[95:96], v[95:96], v[97:98], v[95:96]
	v_div_scale_f64 v[97:98], vcc, v[117:118], v[119:120], v[117:118]
	v_fma_f64 v[99:100], -v[90:91], v[95:96], 1.0
	v_fma_f64 v[95:96], v[95:96], v[99:100], v[95:96]
	v_mul_f64 v[99:100], v[97:98], v[95:96]
	v_fma_f64 v[90:91], -v[90:91], v[99:100], v[97:98]
	v_div_fmas_f64 v[90:91], v[90:91], v[95:96], v[99:100]
	v_div_fixup_f64 v[90:91], v[90:91], v[119:120], v[117:118]
	v_fma_f64 v[95:96], v[117:118], v[90:91], v[119:120]
	v_div_scale_f64 v[97:98], s[20:21], v[95:96], v[95:96], 1.0
	v_div_scale_f64 v[103:104], vcc, 1.0, v[95:96], 1.0
	v_rcp_f64_e32 v[99:100], v[97:98]
	v_fma_f64 v[101:102], -v[97:98], v[99:100], 1.0
	v_fma_f64 v[99:100], v[99:100], v[101:102], v[99:100]
	v_fma_f64 v[101:102], -v[97:98], v[99:100], 1.0
	v_fma_f64 v[99:100], v[99:100], v[101:102], v[99:100]
	v_mul_f64 v[101:102], v[103:104], v[99:100]
	v_fma_f64 v[97:98], -v[97:98], v[101:102], v[103:104]
	v_div_fmas_f64 v[97:98], v[97:98], v[99:100], v[101:102]
	v_div_fixup_f64 v[119:120], v[97:98], v[95:96], 1.0
	v_mul_f64 v[117:118], v[90:91], v[119:120]
	v_xor_b32_e32 v120, 0x80000000, v120
.LBB108_154:
	s_andn2_saveexec_b64 s[18:19], s[18:19]
	s_cbranch_execz .LBB108_156
; %bb.155:
	v_div_scale_f64 v[90:91], s[20:21], v[117:118], v[117:118], v[119:120]
	v_rcp_f64_e32 v[95:96], v[90:91]
	v_fma_f64 v[97:98], -v[90:91], v[95:96], 1.0
	v_fma_f64 v[95:96], v[95:96], v[97:98], v[95:96]
	v_div_scale_f64 v[97:98], vcc, v[119:120], v[117:118], v[119:120]
	v_fma_f64 v[99:100], -v[90:91], v[95:96], 1.0
	v_fma_f64 v[95:96], v[95:96], v[99:100], v[95:96]
	v_mul_f64 v[99:100], v[97:98], v[95:96]
	v_fma_f64 v[90:91], -v[90:91], v[99:100], v[97:98]
	v_div_fmas_f64 v[90:91], v[90:91], v[95:96], v[99:100]
	v_div_fixup_f64 v[90:91], v[90:91], v[117:118], v[119:120]
	v_fma_f64 v[95:96], v[119:120], v[90:91], v[117:118]
	v_div_scale_f64 v[97:98], s[20:21], v[95:96], v[95:96], 1.0
	v_div_scale_f64 v[103:104], vcc, 1.0, v[95:96], 1.0
	v_rcp_f64_e32 v[99:100], v[97:98]
	v_fma_f64 v[101:102], -v[97:98], v[99:100], 1.0
	v_fma_f64 v[99:100], v[99:100], v[101:102], v[99:100]
	v_fma_f64 v[101:102], -v[97:98], v[99:100], 1.0
	v_fma_f64 v[99:100], v[99:100], v[101:102], v[99:100]
	v_mul_f64 v[101:102], v[103:104], v[99:100]
	v_fma_f64 v[97:98], -v[97:98], v[101:102], v[103:104]
	v_div_fmas_f64 v[97:98], v[97:98], v[99:100], v[101:102]
	v_div_fixup_f64 v[117:118], v[97:98], v[95:96], 1.0
	v_mul_f64 v[119:120], v[90:91], -v[117:118]
.LBB108_156:
	s_or_b64 exec, exec, s[18:19]
.LBB108_157:
	s_or_b64 exec, exec, s[0:1]
	v_cmp_ne_u32_e32 vcc, v93, v89
	s_and_saveexec_b64 s[0:1], vcc
	s_xor_b64 s[0:1], exec, s[0:1]
	s_cbranch_execz .LBB108_163
; %bb.158:
	v_cmp_eq_u32_e32 vcc, 7, v93
	s_and_saveexec_b64 s[18:19], vcc
	s_cbranch_execz .LBB108_162
; %bb.159:
	v_cmp_ne_u32_e32 vcc, 7, v89
	s_xor_b64 s[20:21], s[6:7], -1
	s_and_b64 s[22:23], s[20:21], vcc
	s_and_saveexec_b64 s[20:21], s[22:23]
	s_cbranch_execz .LBB108_161
; %bb.160:
	v_mov_b32_e32 v73, v81
	v_mov_b32_e32 v74, v82
	;; [unrolled: 1-line block ×4, first 2 shown]
	buffer_load_dword v81, off, s[24:27], 0 offset:452 ; 4-byte Folded Reload
	buffer_load_dword v82, off, s[24:27], 0 offset:456 ; 4-byte Folded Reload
	v_ashrrev_i32_e32 v90, 31, v89
	v_lshlrev_b64 v[90:91], 2, v[89:90]
	s_waitcnt vmcnt(1)
	v_add_co_u32_e32 v90, vcc, v81, v90
	s_waitcnt vmcnt(0)
	v_addc_co_u32_e32 v91, vcc, v82, v91, vcc
	global_load_dword v92, v[90:91], off
	global_load_dword v93, v[81:82], off offset:28
	s_waitcnt vmcnt(1)
	global_store_dword v[81:82], v92, off offset:28
	v_mov_b32_e32 v84, v76
	v_mov_b32_e32 v83, v75
	;; [unrolled: 1-line block ×4, first 2 shown]
	s_waitcnt vmcnt(1)
	global_store_dword v[90:91], v93, off
.LBB108_161:
	s_or_b64 exec, exec, s[20:21]
	v_mov_b32_e32 v93, v89
	v_mov_b32_e32 v73, v89
	buffer_store_dword v73, off, s[24:27], 0 offset:368 ; 4-byte Folded Spill
.LBB108_162:
	s_or_b64 exec, exec, s[18:19]
.LBB108_163:
	s_andn2_saveexec_b64 s[0:1], s[0:1]
	s_cbranch_execz .LBB108_165
; %bb.164:
	buffer_load_dword v73, off, s[24:27], 0 offset:352 ; 4-byte Folded Reload
	buffer_load_dword v74, off, s[24:27], 0 offset:356 ; 4-byte Folded Reload
	;; [unrolled: 1-line block ×4, first 2 shown]
	v_mov_b32_e32 v93, 7
	s_waitcnt vmcnt(0)
	ds_write2_b64 v0, v[73:74], v[75:76] offset0:16 offset1:17
	buffer_load_dword v73, off, s[24:27], 0 offset:336 ; 4-byte Folded Reload
	buffer_load_dword v74, off, s[24:27], 0 offset:340 ; 4-byte Folded Reload
	buffer_load_dword v75, off, s[24:27], 0 offset:344 ; 4-byte Folded Reload
	buffer_load_dword v76, off, s[24:27], 0 offset:348 ; 4-byte Folded Reload
	s_waitcnt vmcnt(0)
	ds_write2_b64 v0, v[73:74], v[75:76] offset0:18 offset1:19
	buffer_load_dword v73, off, s[24:27], 0 offset:320 ; 4-byte Folded Reload
	buffer_load_dword v74, off, s[24:27], 0 offset:324 ; 4-byte Folded Reload
	buffer_load_dword v75, off, s[24:27], 0 offset:328 ; 4-byte Folded Reload
	buffer_load_dword v76, off, s[24:27], 0 offset:332 ; 4-byte Folded Reload
	;; [unrolled: 6-line block ×21, first 2 shown]
	s_waitcnt vmcnt(0)
	ds_write2_b64 v0, v[73:74], v[75:76] offset0:58 offset1:59
	ds_write2_b64 v0, v[81:82], v[83:84] offset0:60 offset1:61
	;; [unrolled: 1-line block ×6, first 2 shown]
	buffer_load_dword v73, off, s[24:27], 0 ; 4-byte Folded Reload
	buffer_load_dword v74, off, s[24:27], 0 offset:4 ; 4-byte Folded Reload
	buffer_load_dword v75, off, s[24:27], 0 offset:8 ; 4-byte Folded Reload
	;; [unrolled: 1-line block ×3, first 2 shown]
	s_waitcnt vmcnt(0)
	ds_write2_b64 v0, v[73:74], v[75:76] offset0:70 offset1:71
	ds_write2_b64 v0, v[69:70], v[71:72] offset0:72 offset1:73
	;; [unrolled: 1-line block ×20, first 2 shown]
.LBB108_165:
	s_or_b64 exec, exec, s[0:1]
	v_cmp_lt_i32_e32 vcc, 7, v93
	s_waitcnt vmcnt(0) lgkmcnt(0)
	s_barrier
	s_and_saveexec_b64 s[0:1], vcc
	s_cbranch_execz .LBB108_167
; %bb.166:
	buffer_load_dword v97, off, s[24:27], 0 offset:372 ; 4-byte Folded Reload
	buffer_load_dword v98, off, s[24:27], 0 offset:376 ; 4-byte Folded Reload
	;; [unrolled: 1-line block ×4, first 2 shown]
	s_waitcnt vmcnt(0)
	v_mul_f64 v[89:90], v[119:120], v[99:100]
	v_fma_f64 v[125:126], v[117:118], v[97:98], -v[89:90]
	v_mul_f64 v[89:90], v[117:118], v[99:100]
	v_fma_f64 v[99:100], v[119:120], v[97:98], v[89:90]
	ds_read2_b64 v[89:92], v0 offset0:16 offset1:17
	buffer_load_dword v73, off, s[24:27], 0 offset:352 ; 4-byte Folded Reload
	buffer_load_dword v74, off, s[24:27], 0 offset:356 ; 4-byte Folded Reload
	buffer_load_dword v75, off, s[24:27], 0 offset:360 ; 4-byte Folded Reload
	buffer_load_dword v76, off, s[24:27], 0 offset:364 ; 4-byte Folded Reload
	s_waitcnt lgkmcnt(0)
	v_mul_f64 v[95:96], v[91:92], v[99:100]
	v_fma_f64 v[95:96], v[89:90], v[125:126], -v[95:96]
	v_mul_f64 v[89:90], v[89:90], v[99:100]
	v_fma_f64 v[89:90], v[91:92], v[125:126], v[89:90]
	s_waitcnt vmcnt(2)
	v_add_f64 v[73:74], v[73:74], -v[95:96]
	s_waitcnt vmcnt(0)
	v_add_f64 v[75:76], v[75:76], -v[89:90]
	buffer_store_dword v73, off, s[24:27], 0 offset:352 ; 4-byte Folded Spill
	s_nop 0
	buffer_store_dword v74, off, s[24:27], 0 offset:356 ; 4-byte Folded Spill
	buffer_store_dword v75, off, s[24:27], 0 offset:360 ; 4-byte Folded Spill
	buffer_store_dword v76, off, s[24:27], 0 offset:364 ; 4-byte Folded Spill
	ds_read2_b64 v[89:92], v0 offset0:18 offset1:19
	buffer_load_dword v73, off, s[24:27], 0 offset:336 ; 4-byte Folded Reload
	buffer_load_dword v74, off, s[24:27], 0 offset:340 ; 4-byte Folded Reload
	buffer_load_dword v75, off, s[24:27], 0 offset:344 ; 4-byte Folded Reload
	buffer_load_dword v76, off, s[24:27], 0 offset:348 ; 4-byte Folded Reload
	s_waitcnt lgkmcnt(0)
	v_mul_f64 v[95:96], v[91:92], v[99:100]
	v_fma_f64 v[95:96], v[89:90], v[125:126], -v[95:96]
	v_mul_f64 v[89:90], v[89:90], v[99:100]
	v_fma_f64 v[89:90], v[91:92], v[125:126], v[89:90]
	s_waitcnt vmcnt(2)
	v_add_f64 v[73:74], v[73:74], -v[95:96]
	s_waitcnt vmcnt(0)
	v_add_f64 v[75:76], v[75:76], -v[89:90]
	buffer_store_dword v73, off, s[24:27], 0 offset:336 ; 4-byte Folded Spill
	s_nop 0
	buffer_store_dword v74, off, s[24:27], 0 offset:340 ; 4-byte Folded Spill
	buffer_store_dword v75, off, s[24:27], 0 offset:344 ; 4-byte Folded Spill
	buffer_store_dword v76, off, s[24:27], 0 offset:348 ; 4-byte Folded Spill
	;; [unrolled: 19-line block ×22, first 2 shown]
	ds_read2_b64 v[89:92], v0 offset0:60 offset1:61
	s_waitcnt lgkmcnt(0)
	v_mul_f64 v[95:96], v[91:92], v[99:100]
	v_fma_f64 v[95:96], v[89:90], v[125:126], -v[95:96]
	v_mul_f64 v[89:90], v[89:90], v[99:100]
	v_add_f64 v[81:82], v[81:82], -v[95:96]
	v_fma_f64 v[89:90], v[91:92], v[125:126], v[89:90]
	v_add_f64 v[83:84], v[83:84], -v[89:90]
	ds_read2_b64 v[89:92], v0 offset0:62 offset1:63
	s_waitcnt lgkmcnt(0)
	v_mul_f64 v[95:96], v[91:92], v[99:100]
	v_fma_f64 v[95:96], v[89:90], v[125:126], -v[95:96]
	v_mul_f64 v[89:90], v[89:90], v[99:100]
	v_add_f64 v[85:86], v[85:86], -v[95:96]
	v_fma_f64 v[89:90], v[91:92], v[125:126], v[89:90]
	v_add_f64 v[87:88], v[87:88], -v[89:90]
	;; [unrolled: 8-line block ×5, first 2 shown]
	ds_read2_b64 v[89:92], v0 offset0:70 offset1:71
	buffer_load_dword v73, off, s[24:27], 0 ; 4-byte Folded Reload
	buffer_load_dword v74, off, s[24:27], 0 offset:4 ; 4-byte Folded Reload
	buffer_load_dword v75, off, s[24:27], 0 offset:8 ; 4-byte Folded Reload
	;; [unrolled: 1-line block ×3, first 2 shown]
	s_waitcnt lgkmcnt(0)
	v_mul_f64 v[95:96], v[91:92], v[99:100]
	v_fma_f64 v[95:96], v[89:90], v[125:126], -v[95:96]
	v_mul_f64 v[89:90], v[89:90], v[99:100]
	v_fma_f64 v[89:90], v[91:92], v[125:126], v[89:90]
	s_waitcnt vmcnt(2)
	v_add_f64 v[73:74], v[73:74], -v[95:96]
	s_waitcnt vmcnt(0)
	v_add_f64 v[75:76], v[75:76], -v[89:90]
	buffer_store_dword v73, off, s[24:27], 0 ; 4-byte Folded Spill
	s_nop 0
	buffer_store_dword v74, off, s[24:27], 0 offset:4 ; 4-byte Folded Spill
	buffer_store_dword v75, off, s[24:27], 0 offset:8 ; 4-byte Folded Spill
	;; [unrolled: 1-line block ×3, first 2 shown]
	ds_read2_b64 v[89:92], v0 offset0:72 offset1:73
	s_waitcnt lgkmcnt(0)
	v_mul_f64 v[95:96], v[91:92], v[99:100]
	v_fma_f64 v[95:96], v[89:90], v[125:126], -v[95:96]
	v_mul_f64 v[89:90], v[89:90], v[99:100]
	v_add_f64 v[69:70], v[69:70], -v[95:96]
	v_fma_f64 v[89:90], v[91:92], v[125:126], v[89:90]
	v_add_f64 v[71:72], v[71:72], -v[89:90]
	ds_read2_b64 v[89:92], v0 offset0:74 offset1:75
	s_waitcnt lgkmcnt(0)
	v_mul_f64 v[95:96], v[91:92], v[99:100]
	v_fma_f64 v[95:96], v[89:90], v[125:126], -v[95:96]
	v_mul_f64 v[89:90], v[89:90], v[99:100]
	v_add_f64 v[65:66], v[65:66], -v[95:96]
	v_fma_f64 v[89:90], v[91:92], v[125:126], v[89:90]
	v_add_f64 v[67:68], v[67:68], -v[89:90]
	;; [unrolled: 8-line block ×17, first 2 shown]
	ds_read2_b64 v[89:92], v0 offset0:106 offset1:107
	s_waitcnt lgkmcnt(0)
	v_mul_f64 v[95:96], v[91:92], v[99:100]
	v_fma_f64 v[95:96], v[89:90], v[125:126], -v[95:96]
	v_mul_f64 v[89:90], v[89:90], v[99:100]
	v_add_f64 v[1:2], v[1:2], -v[95:96]
	v_fma_f64 v[89:90], v[91:92], v[125:126], v[89:90]
	ds_read2_b64 v[95:98], v0 offset0:108 offset1:109
	s_waitcnt lgkmcnt(0)
	v_mul_f64 v[91:92], v[95:96], v[99:100]
	v_add_f64 v[3:4], v[3:4], -v[89:90]
	v_mul_f64 v[89:90], v[97:98], v[99:100]
	v_fma_f64 v[91:92], v[97:98], v[125:126], v[91:92]
	v_mov_b32_e32 v97, v125
	v_mov_b32_e32 v98, v126
	v_fma_f64 v[89:90], v[95:96], v[125:126], -v[89:90]
	buffer_store_dword v97, off, s[24:27], 0 offset:372 ; 4-byte Folded Spill
	s_nop 0
	buffer_store_dword v98, off, s[24:27], 0 offset:376 ; 4-byte Folded Spill
	buffer_store_dword v99, off, s[24:27], 0 offset:380 ; 4-byte Folded Spill
	;; [unrolled: 1-line block ×3, first 2 shown]
	v_add_f64 v[123:124], v[123:124], -v[91:92]
	v_add_f64 v[121:122], v[121:122], -v[89:90]
.LBB108_167:
	s_or_b64 exec, exec, s[0:1]
	s_waitcnt vmcnt(0)
	s_barrier
	buffer_load_dword v73, off, s[24:27], 0 offset:352 ; 4-byte Folded Reload
	buffer_load_dword v74, off, s[24:27], 0 offset:356 ; 4-byte Folded Reload
	;; [unrolled: 1-line block ×4, first 2 shown]
	v_lshl_add_u32 v89, v93, 4, v0
	s_cmp_lt_i32 s3, 10
	s_waitcnt vmcnt(0)
	ds_write2_b64 v89, v[73:74], v[75:76] offset1:1
	s_waitcnt lgkmcnt(0)
	s_barrier
	ds_read2_b64 v[117:120], v0 offset0:16 offset1:17
	v_mov_b32_e32 v89, 8
	s_cbranch_scc1 .LBB108_170
; %bb.168:
	v_add_u32_e32 v90, 0x90, v0
	s_mov_b32 s0, 9
	v_mov_b32_e32 v89, 8
.LBB108_169:                            ; =>This Inner Loop Header: Depth=1
	s_waitcnt lgkmcnt(0)
	v_cmp_gt_f64_e32 vcc, 0, v[117:118]
	v_xor_b32_e32 v91, 0x80000000, v118
	ds_read2_b64 v[95:98], v90 offset1:1
	v_xor_b32_e32 v99, 0x80000000, v120
	v_add_u32_e32 v90, 16, v90
	s_waitcnt lgkmcnt(0)
	v_xor_b32_e32 v101, 0x80000000, v98
	v_cndmask_b32_e32 v92, v118, v91, vcc
	v_cmp_gt_f64_e32 vcc, 0, v[119:120]
	v_mov_b32_e32 v91, v117
	v_cndmask_b32_e32 v100, v120, v99, vcc
	v_cmp_gt_f64_e32 vcc, 0, v[95:96]
	v_mov_b32_e32 v99, v119
	v_add_f64 v[91:92], v[91:92], v[99:100]
	v_xor_b32_e32 v99, 0x80000000, v96
	v_cndmask_b32_e32 v100, v96, v99, vcc
	v_cmp_gt_f64_e32 vcc, 0, v[97:98]
	v_mov_b32_e32 v99, v95
	v_cndmask_b32_e32 v102, v98, v101, vcc
	v_mov_b32_e32 v101, v97
	v_add_f64 v[99:100], v[99:100], v[101:102]
	v_cmp_lt_f64_e32 vcc, v[91:92], v[99:100]
	v_mov_b32_e32 v91, s0
	s_add_i32 s0, s0, 1
	s_cmp_lg_u32 s3, s0
	v_cndmask_b32_e32 v118, v118, v96, vcc
	v_cndmask_b32_e32 v117, v117, v95, vcc
	;; [unrolled: 1-line block ×5, first 2 shown]
	s_cbranch_scc1 .LBB108_169
.LBB108_170:
	s_waitcnt lgkmcnt(0)
	v_cmp_eq_f64_e32 vcc, 0, v[117:118]
	v_cmp_eq_f64_e64 s[0:1], 0, v[119:120]
	s_and_b64 s[0:1], vcc, s[0:1]
	s_and_saveexec_b64 s[18:19], s[0:1]
	s_xor_b64 s[0:1], exec, s[18:19]
; %bb.171:
	v_cmp_ne_u32_e32 vcc, 0, v94
	v_cndmask_b32_e32 v94, 9, v94, vcc
; %bb.172:
	s_andn2_saveexec_b64 s[0:1], s[0:1]
	s_cbranch_execz .LBB108_178
; %bb.173:
	v_cmp_ngt_f64_e64 s[18:19], |v[117:118]|, |v[119:120]|
	s_and_saveexec_b64 s[20:21], s[18:19]
	s_xor_b64 s[18:19], exec, s[20:21]
	s_cbranch_execz .LBB108_175
; %bb.174:
	v_div_scale_f64 v[90:91], s[20:21], v[119:120], v[119:120], v[117:118]
	v_rcp_f64_e32 v[95:96], v[90:91]
	v_fma_f64 v[97:98], -v[90:91], v[95:96], 1.0
	v_fma_f64 v[95:96], v[95:96], v[97:98], v[95:96]
	v_div_scale_f64 v[97:98], vcc, v[117:118], v[119:120], v[117:118]
	v_fma_f64 v[99:100], -v[90:91], v[95:96], 1.0
	v_fma_f64 v[95:96], v[95:96], v[99:100], v[95:96]
	v_mul_f64 v[99:100], v[97:98], v[95:96]
	v_fma_f64 v[90:91], -v[90:91], v[99:100], v[97:98]
	v_div_fmas_f64 v[90:91], v[90:91], v[95:96], v[99:100]
	v_div_fixup_f64 v[90:91], v[90:91], v[119:120], v[117:118]
	v_fma_f64 v[95:96], v[117:118], v[90:91], v[119:120]
	v_div_scale_f64 v[97:98], s[20:21], v[95:96], v[95:96], 1.0
	v_div_scale_f64 v[103:104], vcc, 1.0, v[95:96], 1.0
	v_rcp_f64_e32 v[99:100], v[97:98]
	v_fma_f64 v[101:102], -v[97:98], v[99:100], 1.0
	v_fma_f64 v[99:100], v[99:100], v[101:102], v[99:100]
	v_fma_f64 v[101:102], -v[97:98], v[99:100], 1.0
	v_fma_f64 v[99:100], v[99:100], v[101:102], v[99:100]
	v_mul_f64 v[101:102], v[103:104], v[99:100]
	v_fma_f64 v[97:98], -v[97:98], v[101:102], v[103:104]
	v_div_fmas_f64 v[97:98], v[97:98], v[99:100], v[101:102]
	v_div_fixup_f64 v[119:120], v[97:98], v[95:96], 1.0
	v_mul_f64 v[117:118], v[90:91], v[119:120]
	v_xor_b32_e32 v120, 0x80000000, v120
.LBB108_175:
	s_andn2_saveexec_b64 s[18:19], s[18:19]
	s_cbranch_execz .LBB108_177
; %bb.176:
	v_div_scale_f64 v[90:91], s[20:21], v[117:118], v[117:118], v[119:120]
	v_rcp_f64_e32 v[95:96], v[90:91]
	v_fma_f64 v[97:98], -v[90:91], v[95:96], 1.0
	v_fma_f64 v[95:96], v[95:96], v[97:98], v[95:96]
	v_div_scale_f64 v[97:98], vcc, v[119:120], v[117:118], v[119:120]
	v_fma_f64 v[99:100], -v[90:91], v[95:96], 1.0
	v_fma_f64 v[95:96], v[95:96], v[99:100], v[95:96]
	v_mul_f64 v[99:100], v[97:98], v[95:96]
	v_fma_f64 v[90:91], -v[90:91], v[99:100], v[97:98]
	v_div_fmas_f64 v[90:91], v[90:91], v[95:96], v[99:100]
	v_div_fixup_f64 v[90:91], v[90:91], v[117:118], v[119:120]
	v_fma_f64 v[95:96], v[119:120], v[90:91], v[117:118]
	v_div_scale_f64 v[97:98], s[20:21], v[95:96], v[95:96], 1.0
	v_div_scale_f64 v[103:104], vcc, 1.0, v[95:96], 1.0
	v_rcp_f64_e32 v[99:100], v[97:98]
	v_fma_f64 v[101:102], -v[97:98], v[99:100], 1.0
	v_fma_f64 v[99:100], v[99:100], v[101:102], v[99:100]
	v_fma_f64 v[101:102], -v[97:98], v[99:100], 1.0
	v_fma_f64 v[99:100], v[99:100], v[101:102], v[99:100]
	v_mul_f64 v[101:102], v[103:104], v[99:100]
	v_fma_f64 v[97:98], -v[97:98], v[101:102], v[103:104]
	v_div_fmas_f64 v[97:98], v[97:98], v[99:100], v[101:102]
	v_div_fixup_f64 v[117:118], v[97:98], v[95:96], 1.0
	v_mul_f64 v[119:120], v[90:91], -v[117:118]
.LBB108_177:
	s_or_b64 exec, exec, s[18:19]
.LBB108_178:
	s_or_b64 exec, exec, s[0:1]
	v_cmp_ne_u32_e32 vcc, v93, v89
	s_and_saveexec_b64 s[0:1], vcc
	s_xor_b64 s[0:1], exec, s[0:1]
	s_cbranch_execz .LBB108_184
; %bb.179:
	v_cmp_eq_u32_e32 vcc, 8, v93
	s_and_saveexec_b64 s[18:19], vcc
	s_cbranch_execz .LBB108_183
; %bb.180:
	v_cmp_ne_u32_e32 vcc, 8, v89
	s_xor_b64 s[20:21], s[6:7], -1
	s_and_b64 s[22:23], s[20:21], vcc
	s_and_saveexec_b64 s[20:21], s[22:23]
	s_cbranch_execz .LBB108_182
; %bb.181:
	v_mov_b32_e32 v73, v81
	v_mov_b32_e32 v74, v82
	;; [unrolled: 1-line block ×4, first 2 shown]
	buffer_load_dword v81, off, s[24:27], 0 offset:452 ; 4-byte Folded Reload
	buffer_load_dword v82, off, s[24:27], 0 offset:456 ; 4-byte Folded Reload
	v_ashrrev_i32_e32 v90, 31, v89
	v_lshlrev_b64 v[90:91], 2, v[89:90]
	s_waitcnt vmcnt(1)
	v_add_co_u32_e32 v90, vcc, v81, v90
	s_waitcnt vmcnt(0)
	v_addc_co_u32_e32 v91, vcc, v82, v91, vcc
	global_load_dword v92, v[90:91], off
	global_load_dword v93, v[81:82], off offset:32
	s_waitcnt vmcnt(1)
	global_store_dword v[81:82], v92, off offset:32
	v_mov_b32_e32 v84, v76
	v_mov_b32_e32 v83, v75
	;; [unrolled: 1-line block ×4, first 2 shown]
	s_waitcnt vmcnt(1)
	global_store_dword v[90:91], v93, off
.LBB108_182:
	s_or_b64 exec, exec, s[20:21]
	v_mov_b32_e32 v93, v89
	v_mov_b32_e32 v73, v89
	buffer_store_dword v73, off, s[24:27], 0 offset:368 ; 4-byte Folded Spill
.LBB108_183:
	s_or_b64 exec, exec, s[18:19]
.LBB108_184:
	s_andn2_saveexec_b64 s[0:1], s[0:1]
	s_cbranch_execz .LBB108_186
; %bb.185:
	buffer_load_dword v73, off, s[24:27], 0 offset:336 ; 4-byte Folded Reload
	buffer_load_dword v74, off, s[24:27], 0 offset:340 ; 4-byte Folded Reload
	;; [unrolled: 1-line block ×4, first 2 shown]
	v_mov_b32_e32 v93, 8
	s_waitcnt vmcnt(0)
	ds_write2_b64 v0, v[73:74], v[75:76] offset0:18 offset1:19
	buffer_load_dword v73, off, s[24:27], 0 offset:320 ; 4-byte Folded Reload
	buffer_load_dword v74, off, s[24:27], 0 offset:324 ; 4-byte Folded Reload
	buffer_load_dword v75, off, s[24:27], 0 offset:328 ; 4-byte Folded Reload
	buffer_load_dword v76, off, s[24:27], 0 offset:332 ; 4-byte Folded Reload
	s_waitcnt vmcnt(0)
	ds_write2_b64 v0, v[73:74], v[75:76] offset0:20 offset1:21
	buffer_load_dword v73, off, s[24:27], 0 offset:304 ; 4-byte Folded Reload
	buffer_load_dword v74, off, s[24:27], 0 offset:308 ; 4-byte Folded Reload
	buffer_load_dword v75, off, s[24:27], 0 offset:312 ; 4-byte Folded Reload
	buffer_load_dword v76, off, s[24:27], 0 offset:316 ; 4-byte Folded Reload
	;; [unrolled: 6-line block ×20, first 2 shown]
	s_waitcnt vmcnt(0)
	ds_write2_b64 v0, v[73:74], v[75:76] offset0:58 offset1:59
	ds_write2_b64 v0, v[81:82], v[83:84] offset0:60 offset1:61
	;; [unrolled: 1-line block ×6, first 2 shown]
	buffer_load_dword v73, off, s[24:27], 0 ; 4-byte Folded Reload
	buffer_load_dword v74, off, s[24:27], 0 offset:4 ; 4-byte Folded Reload
	buffer_load_dword v75, off, s[24:27], 0 offset:8 ; 4-byte Folded Reload
	;; [unrolled: 1-line block ×3, first 2 shown]
	s_waitcnt vmcnt(0)
	ds_write2_b64 v0, v[73:74], v[75:76] offset0:70 offset1:71
	ds_write2_b64 v0, v[69:70], v[71:72] offset0:72 offset1:73
	;; [unrolled: 1-line block ×20, first 2 shown]
.LBB108_186:
	s_or_b64 exec, exec, s[0:1]
	v_cmp_lt_i32_e32 vcc, 8, v93
	s_waitcnt vmcnt(0) lgkmcnt(0)
	s_barrier
	s_and_saveexec_b64 s[0:1], vcc
	s_cbranch_execz .LBB108_188
; %bb.187:
	buffer_load_dword v97, off, s[24:27], 0 offset:352 ; 4-byte Folded Reload
	buffer_load_dword v98, off, s[24:27], 0 offset:356 ; 4-byte Folded Reload
	;; [unrolled: 1-line block ×4, first 2 shown]
	s_waitcnt vmcnt(0)
	v_mul_f64 v[89:90], v[119:120], v[99:100]
	v_fma_f64 v[125:126], v[117:118], v[97:98], -v[89:90]
	v_mul_f64 v[89:90], v[117:118], v[99:100]
	v_fma_f64 v[99:100], v[119:120], v[97:98], v[89:90]
	ds_read2_b64 v[89:92], v0 offset0:18 offset1:19
	buffer_load_dword v73, off, s[24:27], 0 offset:336 ; 4-byte Folded Reload
	buffer_load_dword v74, off, s[24:27], 0 offset:340 ; 4-byte Folded Reload
	buffer_load_dword v75, off, s[24:27], 0 offset:344 ; 4-byte Folded Reload
	buffer_load_dword v76, off, s[24:27], 0 offset:348 ; 4-byte Folded Reload
	s_waitcnt lgkmcnt(0)
	v_mul_f64 v[95:96], v[91:92], v[99:100]
	v_fma_f64 v[95:96], v[89:90], v[125:126], -v[95:96]
	v_mul_f64 v[89:90], v[89:90], v[99:100]
	v_fma_f64 v[89:90], v[91:92], v[125:126], v[89:90]
	s_waitcnt vmcnt(2)
	v_add_f64 v[73:74], v[73:74], -v[95:96]
	s_waitcnt vmcnt(0)
	v_add_f64 v[75:76], v[75:76], -v[89:90]
	buffer_store_dword v73, off, s[24:27], 0 offset:336 ; 4-byte Folded Spill
	s_nop 0
	buffer_store_dword v74, off, s[24:27], 0 offset:340 ; 4-byte Folded Spill
	buffer_store_dword v75, off, s[24:27], 0 offset:344 ; 4-byte Folded Spill
	buffer_store_dword v76, off, s[24:27], 0 offset:348 ; 4-byte Folded Spill
	ds_read2_b64 v[89:92], v0 offset0:20 offset1:21
	buffer_load_dword v73, off, s[24:27], 0 offset:320 ; 4-byte Folded Reload
	buffer_load_dword v74, off, s[24:27], 0 offset:324 ; 4-byte Folded Reload
	buffer_load_dword v75, off, s[24:27], 0 offset:328 ; 4-byte Folded Reload
	buffer_load_dword v76, off, s[24:27], 0 offset:332 ; 4-byte Folded Reload
	s_waitcnt lgkmcnt(0)
	v_mul_f64 v[95:96], v[91:92], v[99:100]
	v_fma_f64 v[95:96], v[89:90], v[125:126], -v[95:96]
	v_mul_f64 v[89:90], v[89:90], v[99:100]
	v_fma_f64 v[89:90], v[91:92], v[125:126], v[89:90]
	s_waitcnt vmcnt(2)
	v_add_f64 v[73:74], v[73:74], -v[95:96]
	s_waitcnt vmcnt(0)
	v_add_f64 v[75:76], v[75:76], -v[89:90]
	buffer_store_dword v73, off, s[24:27], 0 offset:320 ; 4-byte Folded Spill
	s_nop 0
	buffer_store_dword v74, off, s[24:27], 0 offset:324 ; 4-byte Folded Spill
	buffer_store_dword v75, off, s[24:27], 0 offset:328 ; 4-byte Folded Spill
	buffer_store_dword v76, off, s[24:27], 0 offset:332 ; 4-byte Folded Spill
	;; [unrolled: 19-line block ×21, first 2 shown]
	ds_read2_b64 v[89:92], v0 offset0:60 offset1:61
	s_waitcnt lgkmcnt(0)
	v_mul_f64 v[95:96], v[91:92], v[99:100]
	v_fma_f64 v[95:96], v[89:90], v[125:126], -v[95:96]
	v_mul_f64 v[89:90], v[89:90], v[99:100]
	v_add_f64 v[81:82], v[81:82], -v[95:96]
	v_fma_f64 v[89:90], v[91:92], v[125:126], v[89:90]
	v_add_f64 v[83:84], v[83:84], -v[89:90]
	ds_read2_b64 v[89:92], v0 offset0:62 offset1:63
	s_waitcnt lgkmcnt(0)
	v_mul_f64 v[95:96], v[91:92], v[99:100]
	v_fma_f64 v[95:96], v[89:90], v[125:126], -v[95:96]
	v_mul_f64 v[89:90], v[89:90], v[99:100]
	v_add_f64 v[85:86], v[85:86], -v[95:96]
	v_fma_f64 v[89:90], v[91:92], v[125:126], v[89:90]
	v_add_f64 v[87:88], v[87:88], -v[89:90]
	;; [unrolled: 8-line block ×5, first 2 shown]
	ds_read2_b64 v[89:92], v0 offset0:70 offset1:71
	buffer_load_dword v73, off, s[24:27], 0 ; 4-byte Folded Reload
	buffer_load_dword v74, off, s[24:27], 0 offset:4 ; 4-byte Folded Reload
	buffer_load_dword v75, off, s[24:27], 0 offset:8 ; 4-byte Folded Reload
	;; [unrolled: 1-line block ×3, first 2 shown]
	s_waitcnt lgkmcnt(0)
	v_mul_f64 v[95:96], v[91:92], v[99:100]
	v_fma_f64 v[95:96], v[89:90], v[125:126], -v[95:96]
	v_mul_f64 v[89:90], v[89:90], v[99:100]
	v_fma_f64 v[89:90], v[91:92], v[125:126], v[89:90]
	s_waitcnt vmcnt(2)
	v_add_f64 v[73:74], v[73:74], -v[95:96]
	s_waitcnt vmcnt(0)
	v_add_f64 v[75:76], v[75:76], -v[89:90]
	buffer_store_dword v73, off, s[24:27], 0 ; 4-byte Folded Spill
	s_nop 0
	buffer_store_dword v74, off, s[24:27], 0 offset:4 ; 4-byte Folded Spill
	buffer_store_dword v75, off, s[24:27], 0 offset:8 ; 4-byte Folded Spill
	;; [unrolled: 1-line block ×3, first 2 shown]
	ds_read2_b64 v[89:92], v0 offset0:72 offset1:73
	s_waitcnt lgkmcnt(0)
	v_mul_f64 v[95:96], v[91:92], v[99:100]
	v_fma_f64 v[95:96], v[89:90], v[125:126], -v[95:96]
	v_mul_f64 v[89:90], v[89:90], v[99:100]
	v_add_f64 v[69:70], v[69:70], -v[95:96]
	v_fma_f64 v[89:90], v[91:92], v[125:126], v[89:90]
	v_add_f64 v[71:72], v[71:72], -v[89:90]
	ds_read2_b64 v[89:92], v0 offset0:74 offset1:75
	s_waitcnt lgkmcnt(0)
	v_mul_f64 v[95:96], v[91:92], v[99:100]
	v_fma_f64 v[95:96], v[89:90], v[125:126], -v[95:96]
	v_mul_f64 v[89:90], v[89:90], v[99:100]
	v_add_f64 v[65:66], v[65:66], -v[95:96]
	v_fma_f64 v[89:90], v[91:92], v[125:126], v[89:90]
	v_add_f64 v[67:68], v[67:68], -v[89:90]
	ds_read2_b64 v[89:92], v0 offset0:76 offset1:77
	s_waitcnt lgkmcnt(0)
	v_mul_f64 v[95:96], v[91:92], v[99:100]
	v_fma_f64 v[95:96], v[89:90], v[125:126], -v[95:96]
	v_mul_f64 v[89:90], v[89:90], v[99:100]
	v_add_f64 v[61:62], v[61:62], -v[95:96]
	v_fma_f64 v[89:90], v[91:92], v[125:126], v[89:90]
	v_add_f64 v[63:64], v[63:64], -v[89:90]
	ds_read2_b64 v[89:92], v0 offset0:78 offset1:79
	s_waitcnt lgkmcnt(0)
	v_mul_f64 v[95:96], v[91:92], v[99:100]
	v_fma_f64 v[95:96], v[89:90], v[125:126], -v[95:96]
	v_mul_f64 v[89:90], v[89:90], v[99:100]
	v_add_f64 v[57:58], v[57:58], -v[95:96]
	v_fma_f64 v[89:90], v[91:92], v[125:126], v[89:90]
	v_add_f64 v[59:60], v[59:60], -v[89:90]
	ds_read2_b64 v[89:92], v0 offset0:80 offset1:81
	s_waitcnt lgkmcnt(0)
	v_mul_f64 v[95:96], v[91:92], v[99:100]
	v_fma_f64 v[95:96], v[89:90], v[125:126], -v[95:96]
	v_mul_f64 v[89:90], v[89:90], v[99:100]
	v_add_f64 v[53:54], v[53:54], -v[95:96]
	v_fma_f64 v[89:90], v[91:92], v[125:126], v[89:90]
	v_add_f64 v[55:56], v[55:56], -v[89:90]
	ds_read2_b64 v[89:92], v0 offset0:82 offset1:83
	s_waitcnt lgkmcnt(0)
	v_mul_f64 v[95:96], v[91:92], v[99:100]
	v_fma_f64 v[95:96], v[89:90], v[125:126], -v[95:96]
	v_mul_f64 v[89:90], v[89:90], v[99:100]
	v_add_f64 v[49:50], v[49:50], -v[95:96]
	v_fma_f64 v[89:90], v[91:92], v[125:126], v[89:90]
	v_add_f64 v[51:52], v[51:52], -v[89:90]
	ds_read2_b64 v[89:92], v0 offset0:84 offset1:85
	s_waitcnt lgkmcnt(0)
	v_mul_f64 v[95:96], v[91:92], v[99:100]
	v_fma_f64 v[95:96], v[89:90], v[125:126], -v[95:96]
	v_mul_f64 v[89:90], v[89:90], v[99:100]
	v_add_f64 v[45:46], v[45:46], -v[95:96]
	v_fma_f64 v[89:90], v[91:92], v[125:126], v[89:90]
	v_add_f64 v[47:48], v[47:48], -v[89:90]
	ds_read2_b64 v[89:92], v0 offset0:86 offset1:87
	s_waitcnt lgkmcnt(0)
	v_mul_f64 v[95:96], v[91:92], v[99:100]
	v_fma_f64 v[95:96], v[89:90], v[125:126], -v[95:96]
	v_mul_f64 v[89:90], v[89:90], v[99:100]
	v_add_f64 v[41:42], v[41:42], -v[95:96]
	v_fma_f64 v[89:90], v[91:92], v[125:126], v[89:90]
	v_add_f64 v[43:44], v[43:44], -v[89:90]
	ds_read2_b64 v[89:92], v0 offset0:88 offset1:89
	s_waitcnt lgkmcnt(0)
	v_mul_f64 v[95:96], v[91:92], v[99:100]
	v_fma_f64 v[95:96], v[89:90], v[125:126], -v[95:96]
	v_mul_f64 v[89:90], v[89:90], v[99:100]
	v_add_f64 v[37:38], v[37:38], -v[95:96]
	v_fma_f64 v[89:90], v[91:92], v[125:126], v[89:90]
	v_add_f64 v[39:40], v[39:40], -v[89:90]
	ds_read2_b64 v[89:92], v0 offset0:90 offset1:91
	s_waitcnt lgkmcnt(0)
	v_mul_f64 v[95:96], v[91:92], v[99:100]
	v_fma_f64 v[95:96], v[89:90], v[125:126], -v[95:96]
	v_mul_f64 v[89:90], v[89:90], v[99:100]
	v_add_f64 v[33:34], v[33:34], -v[95:96]
	v_fma_f64 v[89:90], v[91:92], v[125:126], v[89:90]
	v_add_f64 v[35:36], v[35:36], -v[89:90]
	ds_read2_b64 v[89:92], v0 offset0:92 offset1:93
	s_waitcnt lgkmcnt(0)
	v_mul_f64 v[95:96], v[91:92], v[99:100]
	v_fma_f64 v[95:96], v[89:90], v[125:126], -v[95:96]
	v_mul_f64 v[89:90], v[89:90], v[99:100]
	v_add_f64 v[29:30], v[29:30], -v[95:96]
	v_fma_f64 v[89:90], v[91:92], v[125:126], v[89:90]
	v_add_f64 v[31:32], v[31:32], -v[89:90]
	ds_read2_b64 v[89:92], v0 offset0:94 offset1:95
	s_waitcnt lgkmcnt(0)
	v_mul_f64 v[95:96], v[91:92], v[99:100]
	v_fma_f64 v[95:96], v[89:90], v[125:126], -v[95:96]
	v_mul_f64 v[89:90], v[89:90], v[99:100]
	v_add_f64 v[25:26], v[25:26], -v[95:96]
	v_fma_f64 v[89:90], v[91:92], v[125:126], v[89:90]
	v_add_f64 v[27:28], v[27:28], -v[89:90]
	ds_read2_b64 v[89:92], v0 offset0:96 offset1:97
	s_waitcnt lgkmcnt(0)
	v_mul_f64 v[95:96], v[91:92], v[99:100]
	v_fma_f64 v[95:96], v[89:90], v[125:126], -v[95:96]
	v_mul_f64 v[89:90], v[89:90], v[99:100]
	v_add_f64 v[21:22], v[21:22], -v[95:96]
	v_fma_f64 v[89:90], v[91:92], v[125:126], v[89:90]
	v_add_f64 v[23:24], v[23:24], -v[89:90]
	ds_read2_b64 v[89:92], v0 offset0:98 offset1:99
	s_waitcnt lgkmcnt(0)
	v_mul_f64 v[95:96], v[91:92], v[99:100]
	v_fma_f64 v[95:96], v[89:90], v[125:126], -v[95:96]
	v_mul_f64 v[89:90], v[89:90], v[99:100]
	v_add_f64 v[17:18], v[17:18], -v[95:96]
	v_fma_f64 v[89:90], v[91:92], v[125:126], v[89:90]
	v_add_f64 v[19:20], v[19:20], -v[89:90]
	ds_read2_b64 v[89:92], v0 offset0:100 offset1:101
	s_waitcnt lgkmcnt(0)
	v_mul_f64 v[95:96], v[91:92], v[99:100]
	v_fma_f64 v[95:96], v[89:90], v[125:126], -v[95:96]
	v_mul_f64 v[89:90], v[89:90], v[99:100]
	v_add_f64 v[13:14], v[13:14], -v[95:96]
	v_fma_f64 v[89:90], v[91:92], v[125:126], v[89:90]
	v_add_f64 v[15:16], v[15:16], -v[89:90]
	ds_read2_b64 v[89:92], v0 offset0:102 offset1:103
	s_waitcnt lgkmcnt(0)
	v_mul_f64 v[95:96], v[91:92], v[99:100]
	v_fma_f64 v[95:96], v[89:90], v[125:126], -v[95:96]
	v_mul_f64 v[89:90], v[89:90], v[99:100]
	v_add_f64 v[9:10], v[9:10], -v[95:96]
	v_fma_f64 v[89:90], v[91:92], v[125:126], v[89:90]
	v_add_f64 v[11:12], v[11:12], -v[89:90]
	ds_read2_b64 v[89:92], v0 offset0:104 offset1:105
	s_waitcnt lgkmcnt(0)
	v_mul_f64 v[95:96], v[91:92], v[99:100]
	v_fma_f64 v[95:96], v[89:90], v[125:126], -v[95:96]
	v_mul_f64 v[89:90], v[89:90], v[99:100]
	v_add_f64 v[5:6], v[5:6], -v[95:96]
	v_fma_f64 v[89:90], v[91:92], v[125:126], v[89:90]
	v_add_f64 v[7:8], v[7:8], -v[89:90]
	ds_read2_b64 v[89:92], v0 offset0:106 offset1:107
	s_waitcnt lgkmcnt(0)
	v_mul_f64 v[95:96], v[91:92], v[99:100]
	v_fma_f64 v[95:96], v[89:90], v[125:126], -v[95:96]
	v_mul_f64 v[89:90], v[89:90], v[99:100]
	v_add_f64 v[1:2], v[1:2], -v[95:96]
	v_fma_f64 v[89:90], v[91:92], v[125:126], v[89:90]
	ds_read2_b64 v[95:98], v0 offset0:108 offset1:109
	s_waitcnt lgkmcnt(0)
	v_mul_f64 v[91:92], v[95:96], v[99:100]
	v_add_f64 v[3:4], v[3:4], -v[89:90]
	v_mul_f64 v[89:90], v[97:98], v[99:100]
	v_fma_f64 v[91:92], v[97:98], v[125:126], v[91:92]
	v_mov_b32_e32 v97, v125
	v_mov_b32_e32 v98, v126
	v_fma_f64 v[89:90], v[95:96], v[125:126], -v[89:90]
	buffer_store_dword v97, off, s[24:27], 0 offset:352 ; 4-byte Folded Spill
	s_nop 0
	buffer_store_dword v98, off, s[24:27], 0 offset:356 ; 4-byte Folded Spill
	buffer_store_dword v99, off, s[24:27], 0 offset:360 ; 4-byte Folded Spill
	;; [unrolled: 1-line block ×3, first 2 shown]
	v_add_f64 v[123:124], v[123:124], -v[91:92]
	v_add_f64 v[121:122], v[121:122], -v[89:90]
.LBB108_188:
	s_or_b64 exec, exec, s[0:1]
	s_waitcnt vmcnt(0)
	s_barrier
	buffer_load_dword v73, off, s[24:27], 0 offset:336 ; 4-byte Folded Reload
	buffer_load_dword v74, off, s[24:27], 0 offset:340 ; 4-byte Folded Reload
	;; [unrolled: 1-line block ×4, first 2 shown]
	v_lshl_add_u32 v89, v93, 4, v0
	s_cmp_lt_i32 s3, 11
	s_waitcnt vmcnt(0)
	ds_write2_b64 v89, v[73:74], v[75:76] offset1:1
	s_waitcnt lgkmcnt(0)
	s_barrier
	ds_read2_b64 v[117:120], v0 offset0:18 offset1:19
	v_mov_b32_e32 v89, 9
	s_cbranch_scc1 .LBB108_191
; %bb.189:
	v_add_u32_e32 v90, 0xa0, v0
	s_mov_b32 s0, 10
	v_mov_b32_e32 v89, 9
.LBB108_190:                            ; =>This Inner Loop Header: Depth=1
	s_waitcnt lgkmcnt(0)
	v_cmp_gt_f64_e32 vcc, 0, v[117:118]
	v_xor_b32_e32 v91, 0x80000000, v118
	ds_read2_b64 v[95:98], v90 offset1:1
	v_xor_b32_e32 v99, 0x80000000, v120
	v_add_u32_e32 v90, 16, v90
	s_waitcnt lgkmcnt(0)
	v_xor_b32_e32 v101, 0x80000000, v98
	v_cndmask_b32_e32 v92, v118, v91, vcc
	v_cmp_gt_f64_e32 vcc, 0, v[119:120]
	v_mov_b32_e32 v91, v117
	v_cndmask_b32_e32 v100, v120, v99, vcc
	v_cmp_gt_f64_e32 vcc, 0, v[95:96]
	v_mov_b32_e32 v99, v119
	v_add_f64 v[91:92], v[91:92], v[99:100]
	v_xor_b32_e32 v99, 0x80000000, v96
	v_cndmask_b32_e32 v100, v96, v99, vcc
	v_cmp_gt_f64_e32 vcc, 0, v[97:98]
	v_mov_b32_e32 v99, v95
	v_cndmask_b32_e32 v102, v98, v101, vcc
	v_mov_b32_e32 v101, v97
	v_add_f64 v[99:100], v[99:100], v[101:102]
	v_cmp_lt_f64_e32 vcc, v[91:92], v[99:100]
	v_mov_b32_e32 v91, s0
	s_add_i32 s0, s0, 1
	s_cmp_lg_u32 s3, s0
	v_cndmask_b32_e32 v118, v118, v96, vcc
	v_cndmask_b32_e32 v117, v117, v95, vcc
	;; [unrolled: 1-line block ×5, first 2 shown]
	s_cbranch_scc1 .LBB108_190
.LBB108_191:
	s_waitcnt lgkmcnt(0)
	v_cmp_eq_f64_e32 vcc, 0, v[117:118]
	v_cmp_eq_f64_e64 s[0:1], 0, v[119:120]
	s_and_b64 s[0:1], vcc, s[0:1]
	s_and_saveexec_b64 s[18:19], s[0:1]
	s_xor_b64 s[0:1], exec, s[18:19]
; %bb.192:
	v_cmp_ne_u32_e32 vcc, 0, v94
	v_cndmask_b32_e32 v94, 10, v94, vcc
; %bb.193:
	s_andn2_saveexec_b64 s[0:1], s[0:1]
	s_cbranch_execz .LBB108_199
; %bb.194:
	v_cmp_ngt_f64_e64 s[18:19], |v[117:118]|, |v[119:120]|
	s_and_saveexec_b64 s[20:21], s[18:19]
	s_xor_b64 s[18:19], exec, s[20:21]
	s_cbranch_execz .LBB108_196
; %bb.195:
	v_div_scale_f64 v[90:91], s[20:21], v[119:120], v[119:120], v[117:118]
	v_rcp_f64_e32 v[95:96], v[90:91]
	v_fma_f64 v[97:98], -v[90:91], v[95:96], 1.0
	v_fma_f64 v[95:96], v[95:96], v[97:98], v[95:96]
	v_div_scale_f64 v[97:98], vcc, v[117:118], v[119:120], v[117:118]
	v_fma_f64 v[99:100], -v[90:91], v[95:96], 1.0
	v_fma_f64 v[95:96], v[95:96], v[99:100], v[95:96]
	v_mul_f64 v[99:100], v[97:98], v[95:96]
	v_fma_f64 v[90:91], -v[90:91], v[99:100], v[97:98]
	v_div_fmas_f64 v[90:91], v[90:91], v[95:96], v[99:100]
	v_div_fixup_f64 v[90:91], v[90:91], v[119:120], v[117:118]
	v_fma_f64 v[95:96], v[117:118], v[90:91], v[119:120]
	v_div_scale_f64 v[97:98], s[20:21], v[95:96], v[95:96], 1.0
	v_div_scale_f64 v[103:104], vcc, 1.0, v[95:96], 1.0
	v_rcp_f64_e32 v[99:100], v[97:98]
	v_fma_f64 v[101:102], -v[97:98], v[99:100], 1.0
	v_fma_f64 v[99:100], v[99:100], v[101:102], v[99:100]
	v_fma_f64 v[101:102], -v[97:98], v[99:100], 1.0
	v_fma_f64 v[99:100], v[99:100], v[101:102], v[99:100]
	v_mul_f64 v[101:102], v[103:104], v[99:100]
	v_fma_f64 v[97:98], -v[97:98], v[101:102], v[103:104]
	v_div_fmas_f64 v[97:98], v[97:98], v[99:100], v[101:102]
	v_div_fixup_f64 v[119:120], v[97:98], v[95:96], 1.0
	v_mul_f64 v[117:118], v[90:91], v[119:120]
	v_xor_b32_e32 v120, 0x80000000, v120
.LBB108_196:
	s_andn2_saveexec_b64 s[18:19], s[18:19]
	s_cbranch_execz .LBB108_198
; %bb.197:
	v_div_scale_f64 v[90:91], s[20:21], v[117:118], v[117:118], v[119:120]
	v_rcp_f64_e32 v[95:96], v[90:91]
	v_fma_f64 v[97:98], -v[90:91], v[95:96], 1.0
	v_fma_f64 v[95:96], v[95:96], v[97:98], v[95:96]
	v_div_scale_f64 v[97:98], vcc, v[119:120], v[117:118], v[119:120]
	v_fma_f64 v[99:100], -v[90:91], v[95:96], 1.0
	v_fma_f64 v[95:96], v[95:96], v[99:100], v[95:96]
	v_mul_f64 v[99:100], v[97:98], v[95:96]
	v_fma_f64 v[90:91], -v[90:91], v[99:100], v[97:98]
	v_div_fmas_f64 v[90:91], v[90:91], v[95:96], v[99:100]
	v_div_fixup_f64 v[90:91], v[90:91], v[117:118], v[119:120]
	v_fma_f64 v[95:96], v[119:120], v[90:91], v[117:118]
	v_div_scale_f64 v[97:98], s[20:21], v[95:96], v[95:96], 1.0
	v_div_scale_f64 v[103:104], vcc, 1.0, v[95:96], 1.0
	v_rcp_f64_e32 v[99:100], v[97:98]
	v_fma_f64 v[101:102], -v[97:98], v[99:100], 1.0
	v_fma_f64 v[99:100], v[99:100], v[101:102], v[99:100]
	v_fma_f64 v[101:102], -v[97:98], v[99:100], 1.0
	v_fma_f64 v[99:100], v[99:100], v[101:102], v[99:100]
	v_mul_f64 v[101:102], v[103:104], v[99:100]
	v_fma_f64 v[97:98], -v[97:98], v[101:102], v[103:104]
	v_div_fmas_f64 v[97:98], v[97:98], v[99:100], v[101:102]
	v_div_fixup_f64 v[117:118], v[97:98], v[95:96], 1.0
	v_mul_f64 v[119:120], v[90:91], -v[117:118]
.LBB108_198:
	s_or_b64 exec, exec, s[18:19]
.LBB108_199:
	s_or_b64 exec, exec, s[0:1]
	v_cmp_ne_u32_e32 vcc, v93, v89
	s_and_saveexec_b64 s[0:1], vcc
	s_xor_b64 s[0:1], exec, s[0:1]
	s_cbranch_execz .LBB108_205
; %bb.200:
	v_cmp_eq_u32_e32 vcc, 9, v93
	s_and_saveexec_b64 s[18:19], vcc
	s_cbranch_execz .LBB108_204
; %bb.201:
	v_cmp_ne_u32_e32 vcc, 9, v89
	s_xor_b64 s[20:21], s[6:7], -1
	s_and_b64 s[22:23], s[20:21], vcc
	s_and_saveexec_b64 s[20:21], s[22:23]
	s_cbranch_execz .LBB108_203
; %bb.202:
	v_mov_b32_e32 v73, v81
	v_mov_b32_e32 v74, v82
	;; [unrolled: 1-line block ×4, first 2 shown]
	buffer_load_dword v81, off, s[24:27], 0 offset:452 ; 4-byte Folded Reload
	buffer_load_dword v82, off, s[24:27], 0 offset:456 ; 4-byte Folded Reload
	v_ashrrev_i32_e32 v90, 31, v89
	v_lshlrev_b64 v[90:91], 2, v[89:90]
	s_waitcnt vmcnt(1)
	v_add_co_u32_e32 v90, vcc, v81, v90
	s_waitcnt vmcnt(0)
	v_addc_co_u32_e32 v91, vcc, v82, v91, vcc
	global_load_dword v92, v[90:91], off
	global_load_dword v93, v[81:82], off offset:36
	s_waitcnt vmcnt(1)
	global_store_dword v[81:82], v92, off offset:36
	v_mov_b32_e32 v84, v76
	v_mov_b32_e32 v83, v75
	;; [unrolled: 1-line block ×4, first 2 shown]
	s_waitcnt vmcnt(1)
	global_store_dword v[90:91], v93, off
.LBB108_203:
	s_or_b64 exec, exec, s[20:21]
	v_mov_b32_e32 v93, v89
	v_mov_b32_e32 v73, v89
	buffer_store_dword v73, off, s[24:27], 0 offset:368 ; 4-byte Folded Spill
.LBB108_204:
	s_or_b64 exec, exec, s[18:19]
.LBB108_205:
	s_andn2_saveexec_b64 s[0:1], s[0:1]
	s_cbranch_execz .LBB108_207
; %bb.206:
	buffer_load_dword v73, off, s[24:27], 0 offset:320 ; 4-byte Folded Reload
	buffer_load_dword v74, off, s[24:27], 0 offset:324 ; 4-byte Folded Reload
	;; [unrolled: 1-line block ×4, first 2 shown]
	v_mov_b32_e32 v93, 9
	s_waitcnt vmcnt(0)
	ds_write2_b64 v0, v[73:74], v[75:76] offset0:20 offset1:21
	buffer_load_dword v73, off, s[24:27], 0 offset:304 ; 4-byte Folded Reload
	buffer_load_dword v74, off, s[24:27], 0 offset:308 ; 4-byte Folded Reload
	buffer_load_dword v75, off, s[24:27], 0 offset:312 ; 4-byte Folded Reload
	buffer_load_dword v76, off, s[24:27], 0 offset:316 ; 4-byte Folded Reload
	s_waitcnt vmcnt(0)
	ds_write2_b64 v0, v[73:74], v[75:76] offset0:22 offset1:23
	buffer_load_dword v73, off, s[24:27], 0 offset:288 ; 4-byte Folded Reload
	buffer_load_dword v74, off, s[24:27], 0 offset:292 ; 4-byte Folded Reload
	buffer_load_dword v75, off, s[24:27], 0 offset:296 ; 4-byte Folded Reload
	buffer_load_dword v76, off, s[24:27], 0 offset:300 ; 4-byte Folded Reload
	;; [unrolled: 6-line block ×19, first 2 shown]
	s_waitcnt vmcnt(0)
	ds_write2_b64 v0, v[73:74], v[75:76] offset0:58 offset1:59
	ds_write2_b64 v0, v[81:82], v[83:84] offset0:60 offset1:61
	;; [unrolled: 1-line block ×6, first 2 shown]
	buffer_load_dword v73, off, s[24:27], 0 ; 4-byte Folded Reload
	buffer_load_dword v74, off, s[24:27], 0 offset:4 ; 4-byte Folded Reload
	buffer_load_dword v75, off, s[24:27], 0 offset:8 ; 4-byte Folded Reload
	;; [unrolled: 1-line block ×3, first 2 shown]
	s_waitcnt vmcnt(0)
	ds_write2_b64 v0, v[73:74], v[75:76] offset0:70 offset1:71
	ds_write2_b64 v0, v[69:70], v[71:72] offset0:72 offset1:73
	ds_write2_b64 v0, v[65:66], v[67:68] offset0:74 offset1:75
	ds_write2_b64 v0, v[61:62], v[63:64] offset0:76 offset1:77
	ds_write2_b64 v0, v[57:58], v[59:60] offset0:78 offset1:79
	ds_write2_b64 v0, v[53:54], v[55:56] offset0:80 offset1:81
	ds_write2_b64 v0, v[49:50], v[51:52] offset0:82 offset1:83
	ds_write2_b64 v0, v[45:46], v[47:48] offset0:84 offset1:85
	ds_write2_b64 v0, v[41:42], v[43:44] offset0:86 offset1:87
	ds_write2_b64 v0, v[37:38], v[39:40] offset0:88 offset1:89
	ds_write2_b64 v0, v[33:34], v[35:36] offset0:90 offset1:91
	ds_write2_b64 v0, v[29:30], v[31:32] offset0:92 offset1:93
	ds_write2_b64 v0, v[25:26], v[27:28] offset0:94 offset1:95
	ds_write2_b64 v0, v[21:22], v[23:24] offset0:96 offset1:97
	ds_write2_b64 v0, v[17:18], v[19:20] offset0:98 offset1:99
	ds_write2_b64 v0, v[13:14], v[15:16] offset0:100 offset1:101
	ds_write2_b64 v0, v[9:10], v[11:12] offset0:102 offset1:103
	ds_write2_b64 v0, v[5:6], v[7:8] offset0:104 offset1:105
	ds_write2_b64 v0, v[1:2], v[3:4] offset0:106 offset1:107
	ds_write2_b64 v0, v[121:122], v[123:124] offset0:108 offset1:109
.LBB108_207:
	s_or_b64 exec, exec, s[0:1]
	v_cmp_lt_i32_e32 vcc, 9, v93
	s_waitcnt vmcnt(0) lgkmcnt(0)
	s_barrier
	s_and_saveexec_b64 s[0:1], vcc
	s_cbranch_execz .LBB108_209
; %bb.208:
	buffer_load_dword v97, off, s[24:27], 0 offset:336 ; 4-byte Folded Reload
	buffer_load_dword v98, off, s[24:27], 0 offset:340 ; 4-byte Folded Reload
	buffer_load_dword v99, off, s[24:27], 0 offset:344 ; 4-byte Folded Reload
	buffer_load_dword v100, off, s[24:27], 0 offset:348 ; 4-byte Folded Reload
	s_waitcnt vmcnt(0)
	v_mul_f64 v[89:90], v[119:120], v[99:100]
	v_fma_f64 v[125:126], v[117:118], v[97:98], -v[89:90]
	v_mul_f64 v[89:90], v[117:118], v[99:100]
	v_fma_f64 v[99:100], v[119:120], v[97:98], v[89:90]
	ds_read2_b64 v[89:92], v0 offset0:20 offset1:21
	buffer_load_dword v73, off, s[24:27], 0 offset:320 ; 4-byte Folded Reload
	buffer_load_dword v74, off, s[24:27], 0 offset:324 ; 4-byte Folded Reload
	buffer_load_dword v75, off, s[24:27], 0 offset:328 ; 4-byte Folded Reload
	buffer_load_dword v76, off, s[24:27], 0 offset:332 ; 4-byte Folded Reload
	s_waitcnt lgkmcnt(0)
	v_mul_f64 v[95:96], v[91:92], v[99:100]
	v_fma_f64 v[95:96], v[89:90], v[125:126], -v[95:96]
	v_mul_f64 v[89:90], v[89:90], v[99:100]
	v_fma_f64 v[89:90], v[91:92], v[125:126], v[89:90]
	s_waitcnt vmcnt(2)
	v_add_f64 v[73:74], v[73:74], -v[95:96]
	s_waitcnt vmcnt(0)
	v_add_f64 v[75:76], v[75:76], -v[89:90]
	buffer_store_dword v73, off, s[24:27], 0 offset:320 ; 4-byte Folded Spill
	s_nop 0
	buffer_store_dword v74, off, s[24:27], 0 offset:324 ; 4-byte Folded Spill
	buffer_store_dword v75, off, s[24:27], 0 offset:328 ; 4-byte Folded Spill
	buffer_store_dword v76, off, s[24:27], 0 offset:332 ; 4-byte Folded Spill
	ds_read2_b64 v[89:92], v0 offset0:22 offset1:23
	buffer_load_dword v73, off, s[24:27], 0 offset:304 ; 4-byte Folded Reload
	buffer_load_dword v74, off, s[24:27], 0 offset:308 ; 4-byte Folded Reload
	buffer_load_dword v75, off, s[24:27], 0 offset:312 ; 4-byte Folded Reload
	buffer_load_dword v76, off, s[24:27], 0 offset:316 ; 4-byte Folded Reload
	s_waitcnt lgkmcnt(0)
	v_mul_f64 v[95:96], v[91:92], v[99:100]
	v_fma_f64 v[95:96], v[89:90], v[125:126], -v[95:96]
	v_mul_f64 v[89:90], v[89:90], v[99:100]
	v_fma_f64 v[89:90], v[91:92], v[125:126], v[89:90]
	s_waitcnt vmcnt(2)
	v_add_f64 v[73:74], v[73:74], -v[95:96]
	s_waitcnt vmcnt(0)
	v_add_f64 v[75:76], v[75:76], -v[89:90]
	buffer_store_dword v73, off, s[24:27], 0 offset:304 ; 4-byte Folded Spill
	s_nop 0
	buffer_store_dword v74, off, s[24:27], 0 offset:308 ; 4-byte Folded Spill
	buffer_store_dword v75, off, s[24:27], 0 offset:312 ; 4-byte Folded Spill
	buffer_store_dword v76, off, s[24:27], 0 offset:316 ; 4-byte Folded Spill
	;; [unrolled: 19-line block ×20, first 2 shown]
	ds_read2_b64 v[89:92], v0 offset0:60 offset1:61
	s_waitcnt lgkmcnt(0)
	v_mul_f64 v[95:96], v[91:92], v[99:100]
	v_fma_f64 v[95:96], v[89:90], v[125:126], -v[95:96]
	v_mul_f64 v[89:90], v[89:90], v[99:100]
	v_add_f64 v[81:82], v[81:82], -v[95:96]
	v_fma_f64 v[89:90], v[91:92], v[125:126], v[89:90]
	v_add_f64 v[83:84], v[83:84], -v[89:90]
	ds_read2_b64 v[89:92], v0 offset0:62 offset1:63
	s_waitcnt lgkmcnt(0)
	v_mul_f64 v[95:96], v[91:92], v[99:100]
	v_fma_f64 v[95:96], v[89:90], v[125:126], -v[95:96]
	v_mul_f64 v[89:90], v[89:90], v[99:100]
	v_add_f64 v[85:86], v[85:86], -v[95:96]
	v_fma_f64 v[89:90], v[91:92], v[125:126], v[89:90]
	v_add_f64 v[87:88], v[87:88], -v[89:90]
	;; [unrolled: 8-line block ×5, first 2 shown]
	ds_read2_b64 v[89:92], v0 offset0:70 offset1:71
	buffer_load_dword v73, off, s[24:27], 0 ; 4-byte Folded Reload
	buffer_load_dword v74, off, s[24:27], 0 offset:4 ; 4-byte Folded Reload
	buffer_load_dword v75, off, s[24:27], 0 offset:8 ; 4-byte Folded Reload
	;; [unrolled: 1-line block ×3, first 2 shown]
	s_waitcnt lgkmcnt(0)
	v_mul_f64 v[95:96], v[91:92], v[99:100]
	v_fma_f64 v[95:96], v[89:90], v[125:126], -v[95:96]
	v_mul_f64 v[89:90], v[89:90], v[99:100]
	v_fma_f64 v[89:90], v[91:92], v[125:126], v[89:90]
	s_waitcnt vmcnt(2)
	v_add_f64 v[73:74], v[73:74], -v[95:96]
	s_waitcnt vmcnt(0)
	v_add_f64 v[75:76], v[75:76], -v[89:90]
	buffer_store_dword v73, off, s[24:27], 0 ; 4-byte Folded Spill
	s_nop 0
	buffer_store_dword v74, off, s[24:27], 0 offset:4 ; 4-byte Folded Spill
	buffer_store_dword v75, off, s[24:27], 0 offset:8 ; 4-byte Folded Spill
	;; [unrolled: 1-line block ×3, first 2 shown]
	ds_read2_b64 v[89:92], v0 offset0:72 offset1:73
	s_waitcnt lgkmcnt(0)
	v_mul_f64 v[95:96], v[91:92], v[99:100]
	v_fma_f64 v[95:96], v[89:90], v[125:126], -v[95:96]
	v_mul_f64 v[89:90], v[89:90], v[99:100]
	v_add_f64 v[69:70], v[69:70], -v[95:96]
	v_fma_f64 v[89:90], v[91:92], v[125:126], v[89:90]
	v_add_f64 v[71:72], v[71:72], -v[89:90]
	ds_read2_b64 v[89:92], v0 offset0:74 offset1:75
	s_waitcnt lgkmcnt(0)
	v_mul_f64 v[95:96], v[91:92], v[99:100]
	v_fma_f64 v[95:96], v[89:90], v[125:126], -v[95:96]
	v_mul_f64 v[89:90], v[89:90], v[99:100]
	v_add_f64 v[65:66], v[65:66], -v[95:96]
	v_fma_f64 v[89:90], v[91:92], v[125:126], v[89:90]
	v_add_f64 v[67:68], v[67:68], -v[89:90]
	ds_read2_b64 v[89:92], v0 offset0:76 offset1:77
	s_waitcnt lgkmcnt(0)
	v_mul_f64 v[95:96], v[91:92], v[99:100]
	v_fma_f64 v[95:96], v[89:90], v[125:126], -v[95:96]
	v_mul_f64 v[89:90], v[89:90], v[99:100]
	v_add_f64 v[61:62], v[61:62], -v[95:96]
	v_fma_f64 v[89:90], v[91:92], v[125:126], v[89:90]
	v_add_f64 v[63:64], v[63:64], -v[89:90]
	ds_read2_b64 v[89:92], v0 offset0:78 offset1:79
	s_waitcnt lgkmcnt(0)
	v_mul_f64 v[95:96], v[91:92], v[99:100]
	v_fma_f64 v[95:96], v[89:90], v[125:126], -v[95:96]
	v_mul_f64 v[89:90], v[89:90], v[99:100]
	v_add_f64 v[57:58], v[57:58], -v[95:96]
	v_fma_f64 v[89:90], v[91:92], v[125:126], v[89:90]
	v_add_f64 v[59:60], v[59:60], -v[89:90]
	ds_read2_b64 v[89:92], v0 offset0:80 offset1:81
	s_waitcnt lgkmcnt(0)
	v_mul_f64 v[95:96], v[91:92], v[99:100]
	v_fma_f64 v[95:96], v[89:90], v[125:126], -v[95:96]
	v_mul_f64 v[89:90], v[89:90], v[99:100]
	v_add_f64 v[53:54], v[53:54], -v[95:96]
	v_fma_f64 v[89:90], v[91:92], v[125:126], v[89:90]
	v_add_f64 v[55:56], v[55:56], -v[89:90]
	ds_read2_b64 v[89:92], v0 offset0:82 offset1:83
	s_waitcnt lgkmcnt(0)
	v_mul_f64 v[95:96], v[91:92], v[99:100]
	v_fma_f64 v[95:96], v[89:90], v[125:126], -v[95:96]
	v_mul_f64 v[89:90], v[89:90], v[99:100]
	v_add_f64 v[49:50], v[49:50], -v[95:96]
	v_fma_f64 v[89:90], v[91:92], v[125:126], v[89:90]
	v_add_f64 v[51:52], v[51:52], -v[89:90]
	ds_read2_b64 v[89:92], v0 offset0:84 offset1:85
	s_waitcnt lgkmcnt(0)
	v_mul_f64 v[95:96], v[91:92], v[99:100]
	v_fma_f64 v[95:96], v[89:90], v[125:126], -v[95:96]
	v_mul_f64 v[89:90], v[89:90], v[99:100]
	v_add_f64 v[45:46], v[45:46], -v[95:96]
	v_fma_f64 v[89:90], v[91:92], v[125:126], v[89:90]
	v_add_f64 v[47:48], v[47:48], -v[89:90]
	ds_read2_b64 v[89:92], v0 offset0:86 offset1:87
	s_waitcnt lgkmcnt(0)
	v_mul_f64 v[95:96], v[91:92], v[99:100]
	v_fma_f64 v[95:96], v[89:90], v[125:126], -v[95:96]
	v_mul_f64 v[89:90], v[89:90], v[99:100]
	v_add_f64 v[41:42], v[41:42], -v[95:96]
	v_fma_f64 v[89:90], v[91:92], v[125:126], v[89:90]
	v_add_f64 v[43:44], v[43:44], -v[89:90]
	ds_read2_b64 v[89:92], v0 offset0:88 offset1:89
	s_waitcnt lgkmcnt(0)
	v_mul_f64 v[95:96], v[91:92], v[99:100]
	v_fma_f64 v[95:96], v[89:90], v[125:126], -v[95:96]
	v_mul_f64 v[89:90], v[89:90], v[99:100]
	v_add_f64 v[37:38], v[37:38], -v[95:96]
	v_fma_f64 v[89:90], v[91:92], v[125:126], v[89:90]
	v_add_f64 v[39:40], v[39:40], -v[89:90]
	ds_read2_b64 v[89:92], v0 offset0:90 offset1:91
	s_waitcnt lgkmcnt(0)
	v_mul_f64 v[95:96], v[91:92], v[99:100]
	v_fma_f64 v[95:96], v[89:90], v[125:126], -v[95:96]
	v_mul_f64 v[89:90], v[89:90], v[99:100]
	v_add_f64 v[33:34], v[33:34], -v[95:96]
	v_fma_f64 v[89:90], v[91:92], v[125:126], v[89:90]
	v_add_f64 v[35:36], v[35:36], -v[89:90]
	ds_read2_b64 v[89:92], v0 offset0:92 offset1:93
	s_waitcnt lgkmcnt(0)
	v_mul_f64 v[95:96], v[91:92], v[99:100]
	v_fma_f64 v[95:96], v[89:90], v[125:126], -v[95:96]
	v_mul_f64 v[89:90], v[89:90], v[99:100]
	v_add_f64 v[29:30], v[29:30], -v[95:96]
	v_fma_f64 v[89:90], v[91:92], v[125:126], v[89:90]
	v_add_f64 v[31:32], v[31:32], -v[89:90]
	ds_read2_b64 v[89:92], v0 offset0:94 offset1:95
	s_waitcnt lgkmcnt(0)
	v_mul_f64 v[95:96], v[91:92], v[99:100]
	v_fma_f64 v[95:96], v[89:90], v[125:126], -v[95:96]
	v_mul_f64 v[89:90], v[89:90], v[99:100]
	v_add_f64 v[25:26], v[25:26], -v[95:96]
	v_fma_f64 v[89:90], v[91:92], v[125:126], v[89:90]
	v_add_f64 v[27:28], v[27:28], -v[89:90]
	ds_read2_b64 v[89:92], v0 offset0:96 offset1:97
	s_waitcnt lgkmcnt(0)
	v_mul_f64 v[95:96], v[91:92], v[99:100]
	v_fma_f64 v[95:96], v[89:90], v[125:126], -v[95:96]
	v_mul_f64 v[89:90], v[89:90], v[99:100]
	v_add_f64 v[21:22], v[21:22], -v[95:96]
	v_fma_f64 v[89:90], v[91:92], v[125:126], v[89:90]
	v_add_f64 v[23:24], v[23:24], -v[89:90]
	ds_read2_b64 v[89:92], v0 offset0:98 offset1:99
	s_waitcnt lgkmcnt(0)
	v_mul_f64 v[95:96], v[91:92], v[99:100]
	v_fma_f64 v[95:96], v[89:90], v[125:126], -v[95:96]
	v_mul_f64 v[89:90], v[89:90], v[99:100]
	v_add_f64 v[17:18], v[17:18], -v[95:96]
	v_fma_f64 v[89:90], v[91:92], v[125:126], v[89:90]
	v_add_f64 v[19:20], v[19:20], -v[89:90]
	ds_read2_b64 v[89:92], v0 offset0:100 offset1:101
	s_waitcnt lgkmcnt(0)
	v_mul_f64 v[95:96], v[91:92], v[99:100]
	v_fma_f64 v[95:96], v[89:90], v[125:126], -v[95:96]
	v_mul_f64 v[89:90], v[89:90], v[99:100]
	v_add_f64 v[13:14], v[13:14], -v[95:96]
	v_fma_f64 v[89:90], v[91:92], v[125:126], v[89:90]
	v_add_f64 v[15:16], v[15:16], -v[89:90]
	ds_read2_b64 v[89:92], v0 offset0:102 offset1:103
	s_waitcnt lgkmcnt(0)
	v_mul_f64 v[95:96], v[91:92], v[99:100]
	v_fma_f64 v[95:96], v[89:90], v[125:126], -v[95:96]
	v_mul_f64 v[89:90], v[89:90], v[99:100]
	v_add_f64 v[9:10], v[9:10], -v[95:96]
	v_fma_f64 v[89:90], v[91:92], v[125:126], v[89:90]
	v_add_f64 v[11:12], v[11:12], -v[89:90]
	ds_read2_b64 v[89:92], v0 offset0:104 offset1:105
	s_waitcnt lgkmcnt(0)
	v_mul_f64 v[95:96], v[91:92], v[99:100]
	v_fma_f64 v[95:96], v[89:90], v[125:126], -v[95:96]
	v_mul_f64 v[89:90], v[89:90], v[99:100]
	v_add_f64 v[5:6], v[5:6], -v[95:96]
	v_fma_f64 v[89:90], v[91:92], v[125:126], v[89:90]
	v_add_f64 v[7:8], v[7:8], -v[89:90]
	ds_read2_b64 v[89:92], v0 offset0:106 offset1:107
	s_waitcnt lgkmcnt(0)
	v_mul_f64 v[95:96], v[91:92], v[99:100]
	v_fma_f64 v[95:96], v[89:90], v[125:126], -v[95:96]
	v_mul_f64 v[89:90], v[89:90], v[99:100]
	v_add_f64 v[1:2], v[1:2], -v[95:96]
	v_fma_f64 v[89:90], v[91:92], v[125:126], v[89:90]
	ds_read2_b64 v[95:98], v0 offset0:108 offset1:109
	s_waitcnt lgkmcnt(0)
	v_mul_f64 v[91:92], v[95:96], v[99:100]
	v_add_f64 v[3:4], v[3:4], -v[89:90]
	v_mul_f64 v[89:90], v[97:98], v[99:100]
	v_fma_f64 v[91:92], v[97:98], v[125:126], v[91:92]
	v_mov_b32_e32 v97, v125
	v_mov_b32_e32 v98, v126
	v_fma_f64 v[89:90], v[95:96], v[125:126], -v[89:90]
	buffer_store_dword v97, off, s[24:27], 0 offset:336 ; 4-byte Folded Spill
	s_nop 0
	buffer_store_dword v98, off, s[24:27], 0 offset:340 ; 4-byte Folded Spill
	buffer_store_dword v99, off, s[24:27], 0 offset:344 ; 4-byte Folded Spill
	;; [unrolled: 1-line block ×3, first 2 shown]
	v_add_f64 v[123:124], v[123:124], -v[91:92]
	v_add_f64 v[121:122], v[121:122], -v[89:90]
.LBB108_209:
	s_or_b64 exec, exec, s[0:1]
	s_waitcnt vmcnt(0)
	s_barrier
	buffer_load_dword v73, off, s[24:27], 0 offset:320 ; 4-byte Folded Reload
	buffer_load_dword v74, off, s[24:27], 0 offset:324 ; 4-byte Folded Reload
	;; [unrolled: 1-line block ×4, first 2 shown]
	v_lshl_add_u32 v89, v93, 4, v0
	s_cmp_lt_i32 s3, 12
	s_waitcnt vmcnt(0)
	ds_write2_b64 v89, v[73:74], v[75:76] offset1:1
	s_waitcnt lgkmcnt(0)
	s_barrier
	ds_read2_b64 v[117:120], v0 offset0:20 offset1:21
	v_mov_b32_e32 v89, 10
	s_cbranch_scc1 .LBB108_212
; %bb.210:
	v_add_u32_e32 v90, 0xb0, v0
	s_mov_b32 s0, 11
	v_mov_b32_e32 v89, 10
.LBB108_211:                            ; =>This Inner Loop Header: Depth=1
	s_waitcnt lgkmcnt(0)
	v_cmp_gt_f64_e32 vcc, 0, v[117:118]
	v_xor_b32_e32 v91, 0x80000000, v118
	ds_read2_b64 v[95:98], v90 offset1:1
	v_xor_b32_e32 v99, 0x80000000, v120
	v_add_u32_e32 v90, 16, v90
	s_waitcnt lgkmcnt(0)
	v_xor_b32_e32 v101, 0x80000000, v98
	v_cndmask_b32_e32 v92, v118, v91, vcc
	v_cmp_gt_f64_e32 vcc, 0, v[119:120]
	v_mov_b32_e32 v91, v117
	v_cndmask_b32_e32 v100, v120, v99, vcc
	v_cmp_gt_f64_e32 vcc, 0, v[95:96]
	v_mov_b32_e32 v99, v119
	v_add_f64 v[91:92], v[91:92], v[99:100]
	v_xor_b32_e32 v99, 0x80000000, v96
	v_cndmask_b32_e32 v100, v96, v99, vcc
	v_cmp_gt_f64_e32 vcc, 0, v[97:98]
	v_mov_b32_e32 v99, v95
	v_cndmask_b32_e32 v102, v98, v101, vcc
	v_mov_b32_e32 v101, v97
	v_add_f64 v[99:100], v[99:100], v[101:102]
	v_cmp_lt_f64_e32 vcc, v[91:92], v[99:100]
	v_mov_b32_e32 v91, s0
	s_add_i32 s0, s0, 1
	s_cmp_lg_u32 s3, s0
	v_cndmask_b32_e32 v118, v118, v96, vcc
	v_cndmask_b32_e32 v117, v117, v95, vcc
	;; [unrolled: 1-line block ×5, first 2 shown]
	s_cbranch_scc1 .LBB108_211
.LBB108_212:
	s_waitcnt lgkmcnt(0)
	v_cmp_eq_f64_e32 vcc, 0, v[117:118]
	v_cmp_eq_f64_e64 s[0:1], 0, v[119:120]
	s_and_b64 s[0:1], vcc, s[0:1]
	s_and_saveexec_b64 s[18:19], s[0:1]
	s_xor_b64 s[0:1], exec, s[18:19]
; %bb.213:
	v_cmp_ne_u32_e32 vcc, 0, v94
	v_cndmask_b32_e32 v94, 11, v94, vcc
; %bb.214:
	s_andn2_saveexec_b64 s[0:1], s[0:1]
	s_cbranch_execz .LBB108_220
; %bb.215:
	v_cmp_ngt_f64_e64 s[18:19], |v[117:118]|, |v[119:120]|
	s_and_saveexec_b64 s[20:21], s[18:19]
	s_xor_b64 s[18:19], exec, s[20:21]
	s_cbranch_execz .LBB108_217
; %bb.216:
	v_div_scale_f64 v[90:91], s[20:21], v[119:120], v[119:120], v[117:118]
	v_rcp_f64_e32 v[95:96], v[90:91]
	v_fma_f64 v[97:98], -v[90:91], v[95:96], 1.0
	v_fma_f64 v[95:96], v[95:96], v[97:98], v[95:96]
	v_div_scale_f64 v[97:98], vcc, v[117:118], v[119:120], v[117:118]
	v_fma_f64 v[99:100], -v[90:91], v[95:96], 1.0
	v_fma_f64 v[95:96], v[95:96], v[99:100], v[95:96]
	v_mul_f64 v[99:100], v[97:98], v[95:96]
	v_fma_f64 v[90:91], -v[90:91], v[99:100], v[97:98]
	v_div_fmas_f64 v[90:91], v[90:91], v[95:96], v[99:100]
	v_div_fixup_f64 v[90:91], v[90:91], v[119:120], v[117:118]
	v_fma_f64 v[95:96], v[117:118], v[90:91], v[119:120]
	v_div_scale_f64 v[97:98], s[20:21], v[95:96], v[95:96], 1.0
	v_div_scale_f64 v[103:104], vcc, 1.0, v[95:96], 1.0
	v_rcp_f64_e32 v[99:100], v[97:98]
	v_fma_f64 v[101:102], -v[97:98], v[99:100], 1.0
	v_fma_f64 v[99:100], v[99:100], v[101:102], v[99:100]
	v_fma_f64 v[101:102], -v[97:98], v[99:100], 1.0
	v_fma_f64 v[99:100], v[99:100], v[101:102], v[99:100]
	v_mul_f64 v[101:102], v[103:104], v[99:100]
	v_fma_f64 v[97:98], -v[97:98], v[101:102], v[103:104]
	v_div_fmas_f64 v[97:98], v[97:98], v[99:100], v[101:102]
	v_div_fixup_f64 v[119:120], v[97:98], v[95:96], 1.0
	v_mul_f64 v[117:118], v[90:91], v[119:120]
	v_xor_b32_e32 v120, 0x80000000, v120
.LBB108_217:
	s_andn2_saveexec_b64 s[18:19], s[18:19]
	s_cbranch_execz .LBB108_219
; %bb.218:
	v_div_scale_f64 v[90:91], s[20:21], v[117:118], v[117:118], v[119:120]
	v_rcp_f64_e32 v[95:96], v[90:91]
	v_fma_f64 v[97:98], -v[90:91], v[95:96], 1.0
	v_fma_f64 v[95:96], v[95:96], v[97:98], v[95:96]
	v_div_scale_f64 v[97:98], vcc, v[119:120], v[117:118], v[119:120]
	v_fma_f64 v[99:100], -v[90:91], v[95:96], 1.0
	v_fma_f64 v[95:96], v[95:96], v[99:100], v[95:96]
	v_mul_f64 v[99:100], v[97:98], v[95:96]
	v_fma_f64 v[90:91], -v[90:91], v[99:100], v[97:98]
	v_div_fmas_f64 v[90:91], v[90:91], v[95:96], v[99:100]
	v_div_fixup_f64 v[90:91], v[90:91], v[117:118], v[119:120]
	v_fma_f64 v[95:96], v[119:120], v[90:91], v[117:118]
	v_div_scale_f64 v[97:98], s[20:21], v[95:96], v[95:96], 1.0
	v_div_scale_f64 v[103:104], vcc, 1.0, v[95:96], 1.0
	v_rcp_f64_e32 v[99:100], v[97:98]
	v_fma_f64 v[101:102], -v[97:98], v[99:100], 1.0
	v_fma_f64 v[99:100], v[99:100], v[101:102], v[99:100]
	v_fma_f64 v[101:102], -v[97:98], v[99:100], 1.0
	v_fma_f64 v[99:100], v[99:100], v[101:102], v[99:100]
	v_mul_f64 v[101:102], v[103:104], v[99:100]
	v_fma_f64 v[97:98], -v[97:98], v[101:102], v[103:104]
	v_div_fmas_f64 v[97:98], v[97:98], v[99:100], v[101:102]
	v_div_fixup_f64 v[117:118], v[97:98], v[95:96], 1.0
	v_mul_f64 v[119:120], v[90:91], -v[117:118]
.LBB108_219:
	s_or_b64 exec, exec, s[18:19]
.LBB108_220:
	s_or_b64 exec, exec, s[0:1]
	v_cmp_ne_u32_e32 vcc, v93, v89
	s_and_saveexec_b64 s[0:1], vcc
	s_xor_b64 s[0:1], exec, s[0:1]
	s_cbranch_execz .LBB108_226
; %bb.221:
	v_cmp_eq_u32_e32 vcc, 10, v93
	s_and_saveexec_b64 s[18:19], vcc
	s_cbranch_execz .LBB108_225
; %bb.222:
	v_cmp_ne_u32_e32 vcc, 10, v89
	s_xor_b64 s[20:21], s[6:7], -1
	s_and_b64 s[22:23], s[20:21], vcc
	s_and_saveexec_b64 s[20:21], s[22:23]
	s_cbranch_execz .LBB108_224
; %bb.223:
	v_mov_b32_e32 v73, v81
	v_mov_b32_e32 v74, v82
	;; [unrolled: 1-line block ×4, first 2 shown]
	buffer_load_dword v81, off, s[24:27], 0 offset:452 ; 4-byte Folded Reload
	buffer_load_dword v82, off, s[24:27], 0 offset:456 ; 4-byte Folded Reload
	v_ashrrev_i32_e32 v90, 31, v89
	v_lshlrev_b64 v[90:91], 2, v[89:90]
	s_waitcnt vmcnt(1)
	v_add_co_u32_e32 v90, vcc, v81, v90
	s_waitcnt vmcnt(0)
	v_addc_co_u32_e32 v91, vcc, v82, v91, vcc
	global_load_dword v92, v[90:91], off
	global_load_dword v93, v[81:82], off offset:40
	s_waitcnt vmcnt(1)
	global_store_dword v[81:82], v92, off offset:40
	v_mov_b32_e32 v84, v76
	v_mov_b32_e32 v83, v75
	;; [unrolled: 1-line block ×4, first 2 shown]
	s_waitcnt vmcnt(1)
	global_store_dword v[90:91], v93, off
.LBB108_224:
	s_or_b64 exec, exec, s[20:21]
	v_mov_b32_e32 v93, v89
	v_mov_b32_e32 v73, v89
	buffer_store_dword v73, off, s[24:27], 0 offset:368 ; 4-byte Folded Spill
.LBB108_225:
	s_or_b64 exec, exec, s[18:19]
.LBB108_226:
	s_andn2_saveexec_b64 s[0:1], s[0:1]
	s_cbranch_execz .LBB108_228
; %bb.227:
	buffer_load_dword v73, off, s[24:27], 0 offset:304 ; 4-byte Folded Reload
	buffer_load_dword v74, off, s[24:27], 0 offset:308 ; 4-byte Folded Reload
	;; [unrolled: 1-line block ×4, first 2 shown]
	v_mov_b32_e32 v93, 10
	s_waitcnt vmcnt(0)
	ds_write2_b64 v0, v[73:74], v[75:76] offset0:22 offset1:23
	buffer_load_dword v73, off, s[24:27], 0 offset:288 ; 4-byte Folded Reload
	buffer_load_dword v74, off, s[24:27], 0 offset:292 ; 4-byte Folded Reload
	buffer_load_dword v75, off, s[24:27], 0 offset:296 ; 4-byte Folded Reload
	buffer_load_dword v76, off, s[24:27], 0 offset:300 ; 4-byte Folded Reload
	s_waitcnt vmcnt(0)
	ds_write2_b64 v0, v[73:74], v[75:76] offset0:24 offset1:25
	buffer_load_dword v73, off, s[24:27], 0 offset:272 ; 4-byte Folded Reload
	buffer_load_dword v74, off, s[24:27], 0 offset:276 ; 4-byte Folded Reload
	buffer_load_dword v75, off, s[24:27], 0 offset:280 ; 4-byte Folded Reload
	buffer_load_dword v76, off, s[24:27], 0 offset:284 ; 4-byte Folded Reload
	;; [unrolled: 6-line block ×18, first 2 shown]
	s_waitcnt vmcnt(0)
	ds_write2_b64 v0, v[73:74], v[75:76] offset0:58 offset1:59
	ds_write2_b64 v0, v[81:82], v[83:84] offset0:60 offset1:61
	;; [unrolled: 1-line block ×6, first 2 shown]
	buffer_load_dword v73, off, s[24:27], 0 ; 4-byte Folded Reload
	buffer_load_dword v74, off, s[24:27], 0 offset:4 ; 4-byte Folded Reload
	buffer_load_dword v75, off, s[24:27], 0 offset:8 ; 4-byte Folded Reload
	;; [unrolled: 1-line block ×3, first 2 shown]
	s_waitcnt vmcnt(0)
	ds_write2_b64 v0, v[73:74], v[75:76] offset0:70 offset1:71
	ds_write2_b64 v0, v[69:70], v[71:72] offset0:72 offset1:73
	;; [unrolled: 1-line block ×20, first 2 shown]
.LBB108_228:
	s_or_b64 exec, exec, s[0:1]
	v_cmp_lt_i32_e32 vcc, 10, v93
	s_waitcnt vmcnt(0) lgkmcnt(0)
	s_barrier
	s_and_saveexec_b64 s[0:1], vcc
	s_cbranch_execz .LBB108_230
; %bb.229:
	buffer_load_dword v97, off, s[24:27], 0 offset:320 ; 4-byte Folded Reload
	buffer_load_dword v98, off, s[24:27], 0 offset:324 ; 4-byte Folded Reload
	;; [unrolled: 1-line block ×4, first 2 shown]
	s_waitcnt vmcnt(0)
	v_mul_f64 v[89:90], v[119:120], v[99:100]
	v_fma_f64 v[125:126], v[117:118], v[97:98], -v[89:90]
	v_mul_f64 v[89:90], v[117:118], v[99:100]
	v_fma_f64 v[99:100], v[119:120], v[97:98], v[89:90]
	ds_read2_b64 v[89:92], v0 offset0:22 offset1:23
	buffer_load_dword v73, off, s[24:27], 0 offset:304 ; 4-byte Folded Reload
	buffer_load_dword v74, off, s[24:27], 0 offset:308 ; 4-byte Folded Reload
	buffer_load_dword v75, off, s[24:27], 0 offset:312 ; 4-byte Folded Reload
	buffer_load_dword v76, off, s[24:27], 0 offset:316 ; 4-byte Folded Reload
	s_waitcnt lgkmcnt(0)
	v_mul_f64 v[95:96], v[91:92], v[99:100]
	v_fma_f64 v[95:96], v[89:90], v[125:126], -v[95:96]
	v_mul_f64 v[89:90], v[89:90], v[99:100]
	v_fma_f64 v[89:90], v[91:92], v[125:126], v[89:90]
	s_waitcnt vmcnt(2)
	v_add_f64 v[73:74], v[73:74], -v[95:96]
	s_waitcnt vmcnt(0)
	v_add_f64 v[75:76], v[75:76], -v[89:90]
	buffer_store_dword v73, off, s[24:27], 0 offset:304 ; 4-byte Folded Spill
	s_nop 0
	buffer_store_dword v74, off, s[24:27], 0 offset:308 ; 4-byte Folded Spill
	buffer_store_dword v75, off, s[24:27], 0 offset:312 ; 4-byte Folded Spill
	buffer_store_dword v76, off, s[24:27], 0 offset:316 ; 4-byte Folded Spill
	ds_read2_b64 v[89:92], v0 offset0:24 offset1:25
	buffer_load_dword v73, off, s[24:27], 0 offset:288 ; 4-byte Folded Reload
	buffer_load_dword v74, off, s[24:27], 0 offset:292 ; 4-byte Folded Reload
	buffer_load_dword v75, off, s[24:27], 0 offset:296 ; 4-byte Folded Reload
	buffer_load_dword v76, off, s[24:27], 0 offset:300 ; 4-byte Folded Reload
	s_waitcnt lgkmcnt(0)
	v_mul_f64 v[95:96], v[91:92], v[99:100]
	v_fma_f64 v[95:96], v[89:90], v[125:126], -v[95:96]
	v_mul_f64 v[89:90], v[89:90], v[99:100]
	v_fma_f64 v[89:90], v[91:92], v[125:126], v[89:90]
	s_waitcnt vmcnt(2)
	v_add_f64 v[73:74], v[73:74], -v[95:96]
	s_waitcnt vmcnt(0)
	v_add_f64 v[75:76], v[75:76], -v[89:90]
	buffer_store_dword v73, off, s[24:27], 0 offset:288 ; 4-byte Folded Spill
	s_nop 0
	buffer_store_dword v74, off, s[24:27], 0 offset:292 ; 4-byte Folded Spill
	buffer_store_dword v75, off, s[24:27], 0 offset:296 ; 4-byte Folded Spill
	buffer_store_dword v76, off, s[24:27], 0 offset:300 ; 4-byte Folded Spill
	;; [unrolled: 19-line block ×19, first 2 shown]
	ds_read2_b64 v[89:92], v0 offset0:60 offset1:61
	s_waitcnt lgkmcnt(0)
	v_mul_f64 v[95:96], v[91:92], v[99:100]
	v_fma_f64 v[95:96], v[89:90], v[125:126], -v[95:96]
	v_mul_f64 v[89:90], v[89:90], v[99:100]
	v_add_f64 v[81:82], v[81:82], -v[95:96]
	v_fma_f64 v[89:90], v[91:92], v[125:126], v[89:90]
	v_add_f64 v[83:84], v[83:84], -v[89:90]
	ds_read2_b64 v[89:92], v0 offset0:62 offset1:63
	s_waitcnt lgkmcnt(0)
	v_mul_f64 v[95:96], v[91:92], v[99:100]
	v_fma_f64 v[95:96], v[89:90], v[125:126], -v[95:96]
	v_mul_f64 v[89:90], v[89:90], v[99:100]
	v_add_f64 v[85:86], v[85:86], -v[95:96]
	v_fma_f64 v[89:90], v[91:92], v[125:126], v[89:90]
	v_add_f64 v[87:88], v[87:88], -v[89:90]
	;; [unrolled: 8-line block ×5, first 2 shown]
	ds_read2_b64 v[89:92], v0 offset0:70 offset1:71
	buffer_load_dword v73, off, s[24:27], 0 ; 4-byte Folded Reload
	buffer_load_dword v74, off, s[24:27], 0 offset:4 ; 4-byte Folded Reload
	buffer_load_dword v75, off, s[24:27], 0 offset:8 ; 4-byte Folded Reload
	;; [unrolled: 1-line block ×3, first 2 shown]
	s_waitcnt lgkmcnt(0)
	v_mul_f64 v[95:96], v[91:92], v[99:100]
	v_fma_f64 v[95:96], v[89:90], v[125:126], -v[95:96]
	v_mul_f64 v[89:90], v[89:90], v[99:100]
	v_fma_f64 v[89:90], v[91:92], v[125:126], v[89:90]
	s_waitcnt vmcnt(2)
	v_add_f64 v[73:74], v[73:74], -v[95:96]
	s_waitcnt vmcnt(0)
	v_add_f64 v[75:76], v[75:76], -v[89:90]
	buffer_store_dword v73, off, s[24:27], 0 ; 4-byte Folded Spill
	s_nop 0
	buffer_store_dword v74, off, s[24:27], 0 offset:4 ; 4-byte Folded Spill
	buffer_store_dword v75, off, s[24:27], 0 offset:8 ; 4-byte Folded Spill
	;; [unrolled: 1-line block ×3, first 2 shown]
	ds_read2_b64 v[89:92], v0 offset0:72 offset1:73
	s_waitcnt lgkmcnt(0)
	v_mul_f64 v[95:96], v[91:92], v[99:100]
	v_fma_f64 v[95:96], v[89:90], v[125:126], -v[95:96]
	v_mul_f64 v[89:90], v[89:90], v[99:100]
	v_add_f64 v[69:70], v[69:70], -v[95:96]
	v_fma_f64 v[89:90], v[91:92], v[125:126], v[89:90]
	v_add_f64 v[71:72], v[71:72], -v[89:90]
	ds_read2_b64 v[89:92], v0 offset0:74 offset1:75
	s_waitcnt lgkmcnt(0)
	v_mul_f64 v[95:96], v[91:92], v[99:100]
	v_fma_f64 v[95:96], v[89:90], v[125:126], -v[95:96]
	v_mul_f64 v[89:90], v[89:90], v[99:100]
	v_add_f64 v[65:66], v[65:66], -v[95:96]
	v_fma_f64 v[89:90], v[91:92], v[125:126], v[89:90]
	v_add_f64 v[67:68], v[67:68], -v[89:90]
	;; [unrolled: 8-line block ×17, first 2 shown]
	ds_read2_b64 v[89:92], v0 offset0:106 offset1:107
	s_waitcnt lgkmcnt(0)
	v_mul_f64 v[95:96], v[91:92], v[99:100]
	v_fma_f64 v[95:96], v[89:90], v[125:126], -v[95:96]
	v_mul_f64 v[89:90], v[89:90], v[99:100]
	v_add_f64 v[1:2], v[1:2], -v[95:96]
	v_fma_f64 v[89:90], v[91:92], v[125:126], v[89:90]
	ds_read2_b64 v[95:98], v0 offset0:108 offset1:109
	s_waitcnt lgkmcnt(0)
	v_mul_f64 v[91:92], v[95:96], v[99:100]
	v_add_f64 v[3:4], v[3:4], -v[89:90]
	v_mul_f64 v[89:90], v[97:98], v[99:100]
	v_fma_f64 v[91:92], v[97:98], v[125:126], v[91:92]
	v_mov_b32_e32 v97, v125
	v_mov_b32_e32 v98, v126
	v_fma_f64 v[89:90], v[95:96], v[125:126], -v[89:90]
	buffer_store_dword v97, off, s[24:27], 0 offset:320 ; 4-byte Folded Spill
	s_nop 0
	buffer_store_dword v98, off, s[24:27], 0 offset:324 ; 4-byte Folded Spill
	buffer_store_dword v99, off, s[24:27], 0 offset:328 ; 4-byte Folded Spill
	;; [unrolled: 1-line block ×3, first 2 shown]
	v_add_f64 v[123:124], v[123:124], -v[91:92]
	v_add_f64 v[121:122], v[121:122], -v[89:90]
.LBB108_230:
	s_or_b64 exec, exec, s[0:1]
	s_waitcnt vmcnt(0)
	s_barrier
	buffer_load_dword v73, off, s[24:27], 0 offset:304 ; 4-byte Folded Reload
	buffer_load_dword v74, off, s[24:27], 0 offset:308 ; 4-byte Folded Reload
	;; [unrolled: 1-line block ×4, first 2 shown]
	v_lshl_add_u32 v89, v93, 4, v0
	s_cmp_lt_i32 s3, 13
	s_waitcnt vmcnt(0)
	ds_write2_b64 v89, v[73:74], v[75:76] offset1:1
	s_waitcnt lgkmcnt(0)
	s_barrier
	ds_read2_b64 v[117:120], v0 offset0:22 offset1:23
	v_mov_b32_e32 v89, 11
	s_cbranch_scc1 .LBB108_233
; %bb.231:
	v_add_u32_e32 v90, 0xc0, v0
	s_mov_b32 s0, 12
	v_mov_b32_e32 v89, 11
.LBB108_232:                            ; =>This Inner Loop Header: Depth=1
	s_waitcnt lgkmcnt(0)
	v_cmp_gt_f64_e32 vcc, 0, v[117:118]
	v_xor_b32_e32 v91, 0x80000000, v118
	ds_read2_b64 v[95:98], v90 offset1:1
	v_xor_b32_e32 v99, 0x80000000, v120
	v_add_u32_e32 v90, 16, v90
	s_waitcnt lgkmcnt(0)
	v_xor_b32_e32 v101, 0x80000000, v98
	v_cndmask_b32_e32 v92, v118, v91, vcc
	v_cmp_gt_f64_e32 vcc, 0, v[119:120]
	v_mov_b32_e32 v91, v117
	v_cndmask_b32_e32 v100, v120, v99, vcc
	v_cmp_gt_f64_e32 vcc, 0, v[95:96]
	v_mov_b32_e32 v99, v119
	v_add_f64 v[91:92], v[91:92], v[99:100]
	v_xor_b32_e32 v99, 0x80000000, v96
	v_cndmask_b32_e32 v100, v96, v99, vcc
	v_cmp_gt_f64_e32 vcc, 0, v[97:98]
	v_mov_b32_e32 v99, v95
	v_cndmask_b32_e32 v102, v98, v101, vcc
	v_mov_b32_e32 v101, v97
	v_add_f64 v[99:100], v[99:100], v[101:102]
	v_cmp_lt_f64_e32 vcc, v[91:92], v[99:100]
	v_mov_b32_e32 v91, s0
	s_add_i32 s0, s0, 1
	s_cmp_lg_u32 s3, s0
	v_cndmask_b32_e32 v118, v118, v96, vcc
	v_cndmask_b32_e32 v117, v117, v95, vcc
	;; [unrolled: 1-line block ×5, first 2 shown]
	s_cbranch_scc1 .LBB108_232
.LBB108_233:
	s_waitcnt lgkmcnt(0)
	v_cmp_eq_f64_e32 vcc, 0, v[117:118]
	v_cmp_eq_f64_e64 s[0:1], 0, v[119:120]
	s_and_b64 s[0:1], vcc, s[0:1]
	s_and_saveexec_b64 s[18:19], s[0:1]
	s_xor_b64 s[0:1], exec, s[18:19]
; %bb.234:
	v_cmp_ne_u32_e32 vcc, 0, v94
	v_cndmask_b32_e32 v94, 12, v94, vcc
; %bb.235:
	s_andn2_saveexec_b64 s[0:1], s[0:1]
	s_cbranch_execz .LBB108_241
; %bb.236:
	v_cmp_ngt_f64_e64 s[18:19], |v[117:118]|, |v[119:120]|
	s_and_saveexec_b64 s[20:21], s[18:19]
	s_xor_b64 s[18:19], exec, s[20:21]
	s_cbranch_execz .LBB108_238
; %bb.237:
	v_div_scale_f64 v[90:91], s[20:21], v[119:120], v[119:120], v[117:118]
	v_rcp_f64_e32 v[95:96], v[90:91]
	v_fma_f64 v[97:98], -v[90:91], v[95:96], 1.0
	v_fma_f64 v[95:96], v[95:96], v[97:98], v[95:96]
	v_div_scale_f64 v[97:98], vcc, v[117:118], v[119:120], v[117:118]
	v_fma_f64 v[99:100], -v[90:91], v[95:96], 1.0
	v_fma_f64 v[95:96], v[95:96], v[99:100], v[95:96]
	v_mul_f64 v[99:100], v[97:98], v[95:96]
	v_fma_f64 v[90:91], -v[90:91], v[99:100], v[97:98]
	v_div_fmas_f64 v[90:91], v[90:91], v[95:96], v[99:100]
	v_div_fixup_f64 v[90:91], v[90:91], v[119:120], v[117:118]
	v_fma_f64 v[95:96], v[117:118], v[90:91], v[119:120]
	v_div_scale_f64 v[97:98], s[20:21], v[95:96], v[95:96], 1.0
	v_div_scale_f64 v[103:104], vcc, 1.0, v[95:96], 1.0
	v_rcp_f64_e32 v[99:100], v[97:98]
	v_fma_f64 v[101:102], -v[97:98], v[99:100], 1.0
	v_fma_f64 v[99:100], v[99:100], v[101:102], v[99:100]
	v_fma_f64 v[101:102], -v[97:98], v[99:100], 1.0
	v_fma_f64 v[99:100], v[99:100], v[101:102], v[99:100]
	v_mul_f64 v[101:102], v[103:104], v[99:100]
	v_fma_f64 v[97:98], -v[97:98], v[101:102], v[103:104]
	v_div_fmas_f64 v[97:98], v[97:98], v[99:100], v[101:102]
	v_div_fixup_f64 v[119:120], v[97:98], v[95:96], 1.0
	v_mul_f64 v[117:118], v[90:91], v[119:120]
	v_xor_b32_e32 v120, 0x80000000, v120
.LBB108_238:
	s_andn2_saveexec_b64 s[18:19], s[18:19]
	s_cbranch_execz .LBB108_240
; %bb.239:
	v_div_scale_f64 v[90:91], s[20:21], v[117:118], v[117:118], v[119:120]
	v_rcp_f64_e32 v[95:96], v[90:91]
	v_fma_f64 v[97:98], -v[90:91], v[95:96], 1.0
	v_fma_f64 v[95:96], v[95:96], v[97:98], v[95:96]
	v_div_scale_f64 v[97:98], vcc, v[119:120], v[117:118], v[119:120]
	v_fma_f64 v[99:100], -v[90:91], v[95:96], 1.0
	v_fma_f64 v[95:96], v[95:96], v[99:100], v[95:96]
	v_mul_f64 v[99:100], v[97:98], v[95:96]
	v_fma_f64 v[90:91], -v[90:91], v[99:100], v[97:98]
	v_div_fmas_f64 v[90:91], v[90:91], v[95:96], v[99:100]
	v_div_fixup_f64 v[90:91], v[90:91], v[117:118], v[119:120]
	v_fma_f64 v[95:96], v[119:120], v[90:91], v[117:118]
	v_div_scale_f64 v[97:98], s[20:21], v[95:96], v[95:96], 1.0
	v_div_scale_f64 v[103:104], vcc, 1.0, v[95:96], 1.0
	v_rcp_f64_e32 v[99:100], v[97:98]
	v_fma_f64 v[101:102], -v[97:98], v[99:100], 1.0
	v_fma_f64 v[99:100], v[99:100], v[101:102], v[99:100]
	v_fma_f64 v[101:102], -v[97:98], v[99:100], 1.0
	v_fma_f64 v[99:100], v[99:100], v[101:102], v[99:100]
	v_mul_f64 v[101:102], v[103:104], v[99:100]
	v_fma_f64 v[97:98], -v[97:98], v[101:102], v[103:104]
	v_div_fmas_f64 v[97:98], v[97:98], v[99:100], v[101:102]
	v_div_fixup_f64 v[117:118], v[97:98], v[95:96], 1.0
	v_mul_f64 v[119:120], v[90:91], -v[117:118]
.LBB108_240:
	s_or_b64 exec, exec, s[18:19]
.LBB108_241:
	s_or_b64 exec, exec, s[0:1]
	v_cmp_ne_u32_e32 vcc, v93, v89
	s_and_saveexec_b64 s[0:1], vcc
	s_xor_b64 s[0:1], exec, s[0:1]
	s_cbranch_execz .LBB108_247
; %bb.242:
	v_cmp_eq_u32_e32 vcc, 11, v93
	s_and_saveexec_b64 s[18:19], vcc
	s_cbranch_execz .LBB108_246
; %bb.243:
	v_cmp_ne_u32_e32 vcc, 11, v89
	s_xor_b64 s[20:21], s[6:7], -1
	s_and_b64 s[22:23], s[20:21], vcc
	s_and_saveexec_b64 s[20:21], s[22:23]
	s_cbranch_execz .LBB108_245
; %bb.244:
	v_mov_b32_e32 v73, v81
	v_mov_b32_e32 v74, v82
	;; [unrolled: 1-line block ×4, first 2 shown]
	buffer_load_dword v81, off, s[24:27], 0 offset:452 ; 4-byte Folded Reload
	buffer_load_dword v82, off, s[24:27], 0 offset:456 ; 4-byte Folded Reload
	v_ashrrev_i32_e32 v90, 31, v89
	v_lshlrev_b64 v[90:91], 2, v[89:90]
	s_waitcnt vmcnt(1)
	v_add_co_u32_e32 v90, vcc, v81, v90
	s_waitcnt vmcnt(0)
	v_addc_co_u32_e32 v91, vcc, v82, v91, vcc
	global_load_dword v92, v[90:91], off
	global_load_dword v93, v[81:82], off offset:44
	s_waitcnt vmcnt(1)
	global_store_dword v[81:82], v92, off offset:44
	v_mov_b32_e32 v84, v76
	v_mov_b32_e32 v83, v75
	;; [unrolled: 1-line block ×4, first 2 shown]
	s_waitcnt vmcnt(1)
	global_store_dword v[90:91], v93, off
.LBB108_245:
	s_or_b64 exec, exec, s[20:21]
	v_mov_b32_e32 v93, v89
	v_mov_b32_e32 v73, v89
	buffer_store_dword v73, off, s[24:27], 0 offset:368 ; 4-byte Folded Spill
.LBB108_246:
	s_or_b64 exec, exec, s[18:19]
.LBB108_247:
	s_andn2_saveexec_b64 s[0:1], s[0:1]
	s_cbranch_execz .LBB108_249
; %bb.248:
	buffer_load_dword v73, off, s[24:27], 0 offset:288 ; 4-byte Folded Reload
	buffer_load_dword v74, off, s[24:27], 0 offset:292 ; 4-byte Folded Reload
	;; [unrolled: 1-line block ×4, first 2 shown]
	v_mov_b32_e32 v93, 11
	s_waitcnt vmcnt(0)
	ds_write2_b64 v0, v[73:74], v[75:76] offset0:24 offset1:25
	buffer_load_dword v73, off, s[24:27], 0 offset:272 ; 4-byte Folded Reload
	buffer_load_dword v74, off, s[24:27], 0 offset:276 ; 4-byte Folded Reload
	buffer_load_dword v75, off, s[24:27], 0 offset:280 ; 4-byte Folded Reload
	buffer_load_dword v76, off, s[24:27], 0 offset:284 ; 4-byte Folded Reload
	s_waitcnt vmcnt(0)
	ds_write2_b64 v0, v[73:74], v[75:76] offset0:26 offset1:27
	buffer_load_dword v73, off, s[24:27], 0 offset:256 ; 4-byte Folded Reload
	buffer_load_dword v74, off, s[24:27], 0 offset:260 ; 4-byte Folded Reload
	buffer_load_dword v75, off, s[24:27], 0 offset:264 ; 4-byte Folded Reload
	buffer_load_dword v76, off, s[24:27], 0 offset:268 ; 4-byte Folded Reload
	;; [unrolled: 6-line block ×17, first 2 shown]
	s_waitcnt vmcnt(0)
	ds_write2_b64 v0, v[73:74], v[75:76] offset0:58 offset1:59
	ds_write2_b64 v0, v[81:82], v[83:84] offset0:60 offset1:61
	;; [unrolled: 1-line block ×6, first 2 shown]
	buffer_load_dword v73, off, s[24:27], 0 ; 4-byte Folded Reload
	buffer_load_dword v74, off, s[24:27], 0 offset:4 ; 4-byte Folded Reload
	buffer_load_dword v75, off, s[24:27], 0 offset:8 ; 4-byte Folded Reload
	;; [unrolled: 1-line block ×3, first 2 shown]
	s_waitcnt vmcnt(0)
	ds_write2_b64 v0, v[73:74], v[75:76] offset0:70 offset1:71
	ds_write2_b64 v0, v[69:70], v[71:72] offset0:72 offset1:73
	;; [unrolled: 1-line block ×20, first 2 shown]
.LBB108_249:
	s_or_b64 exec, exec, s[0:1]
	v_cmp_lt_i32_e32 vcc, 11, v93
	s_waitcnt vmcnt(0) lgkmcnt(0)
	s_barrier
	s_and_saveexec_b64 s[0:1], vcc
	s_cbranch_execz .LBB108_251
; %bb.250:
	buffer_load_dword v97, off, s[24:27], 0 offset:304 ; 4-byte Folded Reload
	buffer_load_dword v98, off, s[24:27], 0 offset:308 ; 4-byte Folded Reload
	buffer_load_dword v99, off, s[24:27], 0 offset:312 ; 4-byte Folded Reload
	buffer_load_dword v100, off, s[24:27], 0 offset:316 ; 4-byte Folded Reload
	s_waitcnt vmcnt(0)
	v_mul_f64 v[89:90], v[119:120], v[99:100]
	v_fma_f64 v[125:126], v[117:118], v[97:98], -v[89:90]
	v_mul_f64 v[89:90], v[117:118], v[99:100]
	v_fma_f64 v[99:100], v[119:120], v[97:98], v[89:90]
	ds_read2_b64 v[89:92], v0 offset0:24 offset1:25
	buffer_load_dword v73, off, s[24:27], 0 offset:288 ; 4-byte Folded Reload
	buffer_load_dword v74, off, s[24:27], 0 offset:292 ; 4-byte Folded Reload
	buffer_load_dword v75, off, s[24:27], 0 offset:296 ; 4-byte Folded Reload
	buffer_load_dword v76, off, s[24:27], 0 offset:300 ; 4-byte Folded Reload
	s_waitcnt lgkmcnt(0)
	v_mul_f64 v[95:96], v[91:92], v[99:100]
	v_fma_f64 v[95:96], v[89:90], v[125:126], -v[95:96]
	v_mul_f64 v[89:90], v[89:90], v[99:100]
	v_fma_f64 v[89:90], v[91:92], v[125:126], v[89:90]
	s_waitcnt vmcnt(2)
	v_add_f64 v[73:74], v[73:74], -v[95:96]
	s_waitcnt vmcnt(0)
	v_add_f64 v[75:76], v[75:76], -v[89:90]
	buffer_store_dword v73, off, s[24:27], 0 offset:288 ; 4-byte Folded Spill
	s_nop 0
	buffer_store_dword v74, off, s[24:27], 0 offset:292 ; 4-byte Folded Spill
	buffer_store_dword v75, off, s[24:27], 0 offset:296 ; 4-byte Folded Spill
	buffer_store_dword v76, off, s[24:27], 0 offset:300 ; 4-byte Folded Spill
	ds_read2_b64 v[89:92], v0 offset0:26 offset1:27
	buffer_load_dword v73, off, s[24:27], 0 offset:272 ; 4-byte Folded Reload
	buffer_load_dword v74, off, s[24:27], 0 offset:276 ; 4-byte Folded Reload
	buffer_load_dword v75, off, s[24:27], 0 offset:280 ; 4-byte Folded Reload
	buffer_load_dword v76, off, s[24:27], 0 offset:284 ; 4-byte Folded Reload
	s_waitcnt lgkmcnt(0)
	v_mul_f64 v[95:96], v[91:92], v[99:100]
	v_fma_f64 v[95:96], v[89:90], v[125:126], -v[95:96]
	v_mul_f64 v[89:90], v[89:90], v[99:100]
	v_fma_f64 v[89:90], v[91:92], v[125:126], v[89:90]
	s_waitcnt vmcnt(2)
	v_add_f64 v[73:74], v[73:74], -v[95:96]
	s_waitcnt vmcnt(0)
	v_add_f64 v[75:76], v[75:76], -v[89:90]
	buffer_store_dword v73, off, s[24:27], 0 offset:272 ; 4-byte Folded Spill
	s_nop 0
	buffer_store_dword v74, off, s[24:27], 0 offset:276 ; 4-byte Folded Spill
	buffer_store_dword v75, off, s[24:27], 0 offset:280 ; 4-byte Folded Spill
	buffer_store_dword v76, off, s[24:27], 0 offset:284 ; 4-byte Folded Spill
	;; [unrolled: 19-line block ×18, first 2 shown]
	ds_read2_b64 v[89:92], v0 offset0:60 offset1:61
	s_waitcnt lgkmcnt(0)
	v_mul_f64 v[95:96], v[91:92], v[99:100]
	v_fma_f64 v[95:96], v[89:90], v[125:126], -v[95:96]
	v_mul_f64 v[89:90], v[89:90], v[99:100]
	v_add_f64 v[81:82], v[81:82], -v[95:96]
	v_fma_f64 v[89:90], v[91:92], v[125:126], v[89:90]
	v_add_f64 v[83:84], v[83:84], -v[89:90]
	ds_read2_b64 v[89:92], v0 offset0:62 offset1:63
	s_waitcnt lgkmcnt(0)
	v_mul_f64 v[95:96], v[91:92], v[99:100]
	v_fma_f64 v[95:96], v[89:90], v[125:126], -v[95:96]
	v_mul_f64 v[89:90], v[89:90], v[99:100]
	v_add_f64 v[85:86], v[85:86], -v[95:96]
	v_fma_f64 v[89:90], v[91:92], v[125:126], v[89:90]
	v_add_f64 v[87:88], v[87:88], -v[89:90]
	;; [unrolled: 8-line block ×5, first 2 shown]
	ds_read2_b64 v[89:92], v0 offset0:70 offset1:71
	buffer_load_dword v73, off, s[24:27], 0 ; 4-byte Folded Reload
	buffer_load_dword v74, off, s[24:27], 0 offset:4 ; 4-byte Folded Reload
	buffer_load_dword v75, off, s[24:27], 0 offset:8 ; 4-byte Folded Reload
	;; [unrolled: 1-line block ×3, first 2 shown]
	s_waitcnt lgkmcnt(0)
	v_mul_f64 v[95:96], v[91:92], v[99:100]
	v_fma_f64 v[95:96], v[89:90], v[125:126], -v[95:96]
	v_mul_f64 v[89:90], v[89:90], v[99:100]
	v_fma_f64 v[89:90], v[91:92], v[125:126], v[89:90]
	s_waitcnt vmcnt(2)
	v_add_f64 v[73:74], v[73:74], -v[95:96]
	s_waitcnt vmcnt(0)
	v_add_f64 v[75:76], v[75:76], -v[89:90]
	buffer_store_dword v73, off, s[24:27], 0 ; 4-byte Folded Spill
	s_nop 0
	buffer_store_dword v74, off, s[24:27], 0 offset:4 ; 4-byte Folded Spill
	buffer_store_dword v75, off, s[24:27], 0 offset:8 ; 4-byte Folded Spill
	;; [unrolled: 1-line block ×3, first 2 shown]
	ds_read2_b64 v[89:92], v0 offset0:72 offset1:73
	s_waitcnt lgkmcnt(0)
	v_mul_f64 v[95:96], v[91:92], v[99:100]
	v_fma_f64 v[95:96], v[89:90], v[125:126], -v[95:96]
	v_mul_f64 v[89:90], v[89:90], v[99:100]
	v_add_f64 v[69:70], v[69:70], -v[95:96]
	v_fma_f64 v[89:90], v[91:92], v[125:126], v[89:90]
	v_add_f64 v[71:72], v[71:72], -v[89:90]
	ds_read2_b64 v[89:92], v0 offset0:74 offset1:75
	s_waitcnt lgkmcnt(0)
	v_mul_f64 v[95:96], v[91:92], v[99:100]
	v_fma_f64 v[95:96], v[89:90], v[125:126], -v[95:96]
	v_mul_f64 v[89:90], v[89:90], v[99:100]
	v_add_f64 v[65:66], v[65:66], -v[95:96]
	v_fma_f64 v[89:90], v[91:92], v[125:126], v[89:90]
	v_add_f64 v[67:68], v[67:68], -v[89:90]
	;; [unrolled: 8-line block ×17, first 2 shown]
	ds_read2_b64 v[89:92], v0 offset0:106 offset1:107
	s_waitcnt lgkmcnt(0)
	v_mul_f64 v[95:96], v[91:92], v[99:100]
	v_fma_f64 v[95:96], v[89:90], v[125:126], -v[95:96]
	v_mul_f64 v[89:90], v[89:90], v[99:100]
	v_add_f64 v[1:2], v[1:2], -v[95:96]
	v_fma_f64 v[89:90], v[91:92], v[125:126], v[89:90]
	ds_read2_b64 v[95:98], v0 offset0:108 offset1:109
	s_waitcnt lgkmcnt(0)
	v_mul_f64 v[91:92], v[95:96], v[99:100]
	v_add_f64 v[3:4], v[3:4], -v[89:90]
	v_mul_f64 v[89:90], v[97:98], v[99:100]
	v_fma_f64 v[91:92], v[97:98], v[125:126], v[91:92]
	v_mov_b32_e32 v97, v125
	v_mov_b32_e32 v98, v126
	v_fma_f64 v[89:90], v[95:96], v[125:126], -v[89:90]
	buffer_store_dword v97, off, s[24:27], 0 offset:304 ; 4-byte Folded Spill
	s_nop 0
	buffer_store_dword v98, off, s[24:27], 0 offset:308 ; 4-byte Folded Spill
	buffer_store_dword v99, off, s[24:27], 0 offset:312 ; 4-byte Folded Spill
	;; [unrolled: 1-line block ×3, first 2 shown]
	v_add_f64 v[123:124], v[123:124], -v[91:92]
	v_add_f64 v[121:122], v[121:122], -v[89:90]
.LBB108_251:
	s_or_b64 exec, exec, s[0:1]
	s_waitcnt vmcnt(0)
	s_barrier
	buffer_load_dword v73, off, s[24:27], 0 offset:288 ; 4-byte Folded Reload
	buffer_load_dword v74, off, s[24:27], 0 offset:292 ; 4-byte Folded Reload
	;; [unrolled: 1-line block ×4, first 2 shown]
	v_lshl_add_u32 v89, v93, 4, v0
	s_cmp_lt_i32 s3, 14
	s_waitcnt vmcnt(0)
	ds_write2_b64 v89, v[73:74], v[75:76] offset1:1
	s_waitcnt lgkmcnt(0)
	s_barrier
	ds_read2_b64 v[117:120], v0 offset0:24 offset1:25
	v_mov_b32_e32 v89, 12
	s_cbranch_scc1 .LBB108_254
; %bb.252:
	v_add_u32_e32 v90, 0xd0, v0
	s_mov_b32 s0, 13
	v_mov_b32_e32 v89, 12
.LBB108_253:                            ; =>This Inner Loop Header: Depth=1
	s_waitcnt lgkmcnt(0)
	v_cmp_gt_f64_e32 vcc, 0, v[117:118]
	v_xor_b32_e32 v91, 0x80000000, v118
	ds_read2_b64 v[95:98], v90 offset1:1
	v_xor_b32_e32 v99, 0x80000000, v120
	v_add_u32_e32 v90, 16, v90
	s_waitcnt lgkmcnt(0)
	v_xor_b32_e32 v101, 0x80000000, v98
	v_cndmask_b32_e32 v92, v118, v91, vcc
	v_cmp_gt_f64_e32 vcc, 0, v[119:120]
	v_mov_b32_e32 v91, v117
	v_cndmask_b32_e32 v100, v120, v99, vcc
	v_cmp_gt_f64_e32 vcc, 0, v[95:96]
	v_mov_b32_e32 v99, v119
	v_add_f64 v[91:92], v[91:92], v[99:100]
	v_xor_b32_e32 v99, 0x80000000, v96
	v_cndmask_b32_e32 v100, v96, v99, vcc
	v_cmp_gt_f64_e32 vcc, 0, v[97:98]
	v_mov_b32_e32 v99, v95
	v_cndmask_b32_e32 v102, v98, v101, vcc
	v_mov_b32_e32 v101, v97
	v_add_f64 v[99:100], v[99:100], v[101:102]
	v_cmp_lt_f64_e32 vcc, v[91:92], v[99:100]
	v_mov_b32_e32 v91, s0
	s_add_i32 s0, s0, 1
	s_cmp_lg_u32 s3, s0
	v_cndmask_b32_e32 v118, v118, v96, vcc
	v_cndmask_b32_e32 v117, v117, v95, vcc
	;; [unrolled: 1-line block ×5, first 2 shown]
	s_cbranch_scc1 .LBB108_253
.LBB108_254:
	s_waitcnt lgkmcnt(0)
	v_cmp_eq_f64_e32 vcc, 0, v[117:118]
	v_cmp_eq_f64_e64 s[0:1], 0, v[119:120]
	s_and_b64 s[0:1], vcc, s[0:1]
	s_and_saveexec_b64 s[18:19], s[0:1]
	s_xor_b64 s[0:1], exec, s[18:19]
; %bb.255:
	v_cmp_ne_u32_e32 vcc, 0, v94
	v_cndmask_b32_e32 v94, 13, v94, vcc
; %bb.256:
	s_andn2_saveexec_b64 s[0:1], s[0:1]
	s_cbranch_execz .LBB108_262
; %bb.257:
	v_cmp_ngt_f64_e64 s[18:19], |v[117:118]|, |v[119:120]|
	s_and_saveexec_b64 s[20:21], s[18:19]
	s_xor_b64 s[18:19], exec, s[20:21]
	s_cbranch_execz .LBB108_259
; %bb.258:
	v_div_scale_f64 v[90:91], s[20:21], v[119:120], v[119:120], v[117:118]
	v_rcp_f64_e32 v[95:96], v[90:91]
	v_fma_f64 v[97:98], -v[90:91], v[95:96], 1.0
	v_fma_f64 v[95:96], v[95:96], v[97:98], v[95:96]
	v_div_scale_f64 v[97:98], vcc, v[117:118], v[119:120], v[117:118]
	v_fma_f64 v[99:100], -v[90:91], v[95:96], 1.0
	v_fma_f64 v[95:96], v[95:96], v[99:100], v[95:96]
	v_mul_f64 v[99:100], v[97:98], v[95:96]
	v_fma_f64 v[90:91], -v[90:91], v[99:100], v[97:98]
	v_div_fmas_f64 v[90:91], v[90:91], v[95:96], v[99:100]
	v_div_fixup_f64 v[90:91], v[90:91], v[119:120], v[117:118]
	v_fma_f64 v[95:96], v[117:118], v[90:91], v[119:120]
	v_div_scale_f64 v[97:98], s[20:21], v[95:96], v[95:96], 1.0
	v_div_scale_f64 v[103:104], vcc, 1.0, v[95:96], 1.0
	v_rcp_f64_e32 v[99:100], v[97:98]
	v_fma_f64 v[101:102], -v[97:98], v[99:100], 1.0
	v_fma_f64 v[99:100], v[99:100], v[101:102], v[99:100]
	v_fma_f64 v[101:102], -v[97:98], v[99:100], 1.0
	v_fma_f64 v[99:100], v[99:100], v[101:102], v[99:100]
	v_mul_f64 v[101:102], v[103:104], v[99:100]
	v_fma_f64 v[97:98], -v[97:98], v[101:102], v[103:104]
	v_div_fmas_f64 v[97:98], v[97:98], v[99:100], v[101:102]
	v_div_fixup_f64 v[119:120], v[97:98], v[95:96], 1.0
	v_mul_f64 v[117:118], v[90:91], v[119:120]
	v_xor_b32_e32 v120, 0x80000000, v120
.LBB108_259:
	s_andn2_saveexec_b64 s[18:19], s[18:19]
	s_cbranch_execz .LBB108_261
; %bb.260:
	v_div_scale_f64 v[90:91], s[20:21], v[117:118], v[117:118], v[119:120]
	v_rcp_f64_e32 v[95:96], v[90:91]
	v_fma_f64 v[97:98], -v[90:91], v[95:96], 1.0
	v_fma_f64 v[95:96], v[95:96], v[97:98], v[95:96]
	v_div_scale_f64 v[97:98], vcc, v[119:120], v[117:118], v[119:120]
	v_fma_f64 v[99:100], -v[90:91], v[95:96], 1.0
	v_fma_f64 v[95:96], v[95:96], v[99:100], v[95:96]
	v_mul_f64 v[99:100], v[97:98], v[95:96]
	v_fma_f64 v[90:91], -v[90:91], v[99:100], v[97:98]
	v_div_fmas_f64 v[90:91], v[90:91], v[95:96], v[99:100]
	v_div_fixup_f64 v[90:91], v[90:91], v[117:118], v[119:120]
	v_fma_f64 v[95:96], v[119:120], v[90:91], v[117:118]
	v_div_scale_f64 v[97:98], s[20:21], v[95:96], v[95:96], 1.0
	v_div_scale_f64 v[103:104], vcc, 1.0, v[95:96], 1.0
	v_rcp_f64_e32 v[99:100], v[97:98]
	v_fma_f64 v[101:102], -v[97:98], v[99:100], 1.0
	v_fma_f64 v[99:100], v[99:100], v[101:102], v[99:100]
	v_fma_f64 v[101:102], -v[97:98], v[99:100], 1.0
	v_fma_f64 v[99:100], v[99:100], v[101:102], v[99:100]
	v_mul_f64 v[101:102], v[103:104], v[99:100]
	v_fma_f64 v[97:98], -v[97:98], v[101:102], v[103:104]
	v_div_fmas_f64 v[97:98], v[97:98], v[99:100], v[101:102]
	v_div_fixup_f64 v[117:118], v[97:98], v[95:96], 1.0
	v_mul_f64 v[119:120], v[90:91], -v[117:118]
.LBB108_261:
	s_or_b64 exec, exec, s[18:19]
.LBB108_262:
	s_or_b64 exec, exec, s[0:1]
	v_cmp_ne_u32_e32 vcc, v93, v89
	s_and_saveexec_b64 s[0:1], vcc
	s_xor_b64 s[0:1], exec, s[0:1]
	s_cbranch_execz .LBB108_268
; %bb.263:
	v_cmp_eq_u32_e32 vcc, 12, v93
	s_and_saveexec_b64 s[18:19], vcc
	s_cbranch_execz .LBB108_267
; %bb.264:
	v_cmp_ne_u32_e32 vcc, 12, v89
	s_xor_b64 s[20:21], s[6:7], -1
	s_and_b64 s[22:23], s[20:21], vcc
	s_and_saveexec_b64 s[20:21], s[22:23]
	s_cbranch_execz .LBB108_266
; %bb.265:
	v_mov_b32_e32 v73, v81
	v_mov_b32_e32 v74, v82
	;; [unrolled: 1-line block ×4, first 2 shown]
	buffer_load_dword v81, off, s[24:27], 0 offset:452 ; 4-byte Folded Reload
	buffer_load_dword v82, off, s[24:27], 0 offset:456 ; 4-byte Folded Reload
	v_ashrrev_i32_e32 v90, 31, v89
	v_lshlrev_b64 v[90:91], 2, v[89:90]
	s_waitcnt vmcnt(1)
	v_add_co_u32_e32 v90, vcc, v81, v90
	s_waitcnt vmcnt(0)
	v_addc_co_u32_e32 v91, vcc, v82, v91, vcc
	global_load_dword v92, v[90:91], off
	global_load_dword v93, v[81:82], off offset:48
	s_waitcnt vmcnt(1)
	global_store_dword v[81:82], v92, off offset:48
	v_mov_b32_e32 v84, v76
	v_mov_b32_e32 v83, v75
	;; [unrolled: 1-line block ×4, first 2 shown]
	s_waitcnt vmcnt(1)
	global_store_dword v[90:91], v93, off
.LBB108_266:
	s_or_b64 exec, exec, s[20:21]
	v_mov_b32_e32 v93, v89
	v_mov_b32_e32 v73, v89
	buffer_store_dword v73, off, s[24:27], 0 offset:368 ; 4-byte Folded Spill
.LBB108_267:
	s_or_b64 exec, exec, s[18:19]
.LBB108_268:
	s_andn2_saveexec_b64 s[0:1], s[0:1]
	s_cbranch_execz .LBB108_270
; %bb.269:
	buffer_load_dword v73, off, s[24:27], 0 offset:272 ; 4-byte Folded Reload
	buffer_load_dword v74, off, s[24:27], 0 offset:276 ; 4-byte Folded Reload
	;; [unrolled: 1-line block ×4, first 2 shown]
	v_mov_b32_e32 v93, 12
	s_waitcnt vmcnt(0)
	ds_write2_b64 v0, v[73:74], v[75:76] offset0:26 offset1:27
	buffer_load_dword v73, off, s[24:27], 0 offset:256 ; 4-byte Folded Reload
	buffer_load_dword v74, off, s[24:27], 0 offset:260 ; 4-byte Folded Reload
	buffer_load_dword v75, off, s[24:27], 0 offset:264 ; 4-byte Folded Reload
	buffer_load_dword v76, off, s[24:27], 0 offset:268 ; 4-byte Folded Reload
	s_waitcnt vmcnt(0)
	ds_write2_b64 v0, v[73:74], v[75:76] offset0:28 offset1:29
	buffer_load_dword v73, off, s[24:27], 0 offset:240 ; 4-byte Folded Reload
	buffer_load_dword v74, off, s[24:27], 0 offset:244 ; 4-byte Folded Reload
	buffer_load_dword v75, off, s[24:27], 0 offset:248 ; 4-byte Folded Reload
	buffer_load_dword v76, off, s[24:27], 0 offset:252 ; 4-byte Folded Reload
	s_waitcnt vmcnt(0)
	ds_write2_b64 v0, v[73:74], v[75:76] offset0:30 offset1:31
	buffer_load_dword v73, off, s[24:27], 0 offset:224 ; 4-byte Folded Reload
	buffer_load_dword v74, off, s[24:27], 0 offset:228 ; 4-byte Folded Reload
	buffer_load_dword v75, off, s[24:27], 0 offset:232 ; 4-byte Folded Reload
	buffer_load_dword v76, off, s[24:27], 0 offset:236 ; 4-byte Folded Reload
	s_waitcnt vmcnt(0)
	ds_write2_b64 v0, v[73:74], v[75:76] offset0:32 offset1:33
	buffer_load_dword v73, off, s[24:27], 0 offset:208 ; 4-byte Folded Reload
	buffer_load_dword v74, off, s[24:27], 0 offset:212 ; 4-byte Folded Reload
	buffer_load_dword v75, off, s[24:27], 0 offset:216 ; 4-byte Folded Reload
	buffer_load_dword v76, off, s[24:27], 0 offset:220 ; 4-byte Folded Reload
	s_waitcnt vmcnt(0)
	ds_write2_b64 v0, v[73:74], v[75:76] offset0:34 offset1:35
	buffer_load_dword v73, off, s[24:27], 0 offset:192 ; 4-byte Folded Reload
	buffer_load_dword v74, off, s[24:27], 0 offset:196 ; 4-byte Folded Reload
	buffer_load_dword v75, off, s[24:27], 0 offset:200 ; 4-byte Folded Reload
	buffer_load_dword v76, off, s[24:27], 0 offset:204 ; 4-byte Folded Reload
	s_waitcnt vmcnt(0)
	ds_write2_b64 v0, v[73:74], v[75:76] offset0:36 offset1:37
	buffer_load_dword v73, off, s[24:27], 0 offset:176 ; 4-byte Folded Reload
	buffer_load_dword v74, off, s[24:27], 0 offset:180 ; 4-byte Folded Reload
	buffer_load_dword v75, off, s[24:27], 0 offset:184 ; 4-byte Folded Reload
	buffer_load_dword v76, off, s[24:27], 0 offset:188 ; 4-byte Folded Reload
	s_waitcnt vmcnt(0)
	ds_write2_b64 v0, v[73:74], v[75:76] offset0:38 offset1:39
	buffer_load_dword v73, off, s[24:27], 0 offset:160 ; 4-byte Folded Reload
	buffer_load_dword v74, off, s[24:27], 0 offset:164 ; 4-byte Folded Reload
	buffer_load_dword v75, off, s[24:27], 0 offset:168 ; 4-byte Folded Reload
	buffer_load_dword v76, off, s[24:27], 0 offset:172 ; 4-byte Folded Reload
	s_waitcnt vmcnt(0)
	ds_write2_b64 v0, v[73:74], v[75:76] offset0:40 offset1:41
	buffer_load_dword v73, off, s[24:27], 0 offset:144 ; 4-byte Folded Reload
	buffer_load_dword v74, off, s[24:27], 0 offset:148 ; 4-byte Folded Reload
	buffer_load_dword v75, off, s[24:27], 0 offset:152 ; 4-byte Folded Reload
	buffer_load_dword v76, off, s[24:27], 0 offset:156 ; 4-byte Folded Reload
	s_waitcnt vmcnt(0)
	ds_write2_b64 v0, v[73:74], v[75:76] offset0:42 offset1:43
	buffer_load_dword v73, off, s[24:27], 0 offset:128 ; 4-byte Folded Reload
	buffer_load_dword v74, off, s[24:27], 0 offset:132 ; 4-byte Folded Reload
	buffer_load_dword v75, off, s[24:27], 0 offset:136 ; 4-byte Folded Reload
	buffer_load_dword v76, off, s[24:27], 0 offset:140 ; 4-byte Folded Reload
	s_waitcnt vmcnt(0)
	ds_write2_b64 v0, v[73:74], v[75:76] offset0:44 offset1:45
	buffer_load_dword v73, off, s[24:27], 0 offset:112 ; 4-byte Folded Reload
	buffer_load_dword v74, off, s[24:27], 0 offset:116 ; 4-byte Folded Reload
	buffer_load_dword v75, off, s[24:27], 0 offset:120 ; 4-byte Folded Reload
	buffer_load_dword v76, off, s[24:27], 0 offset:124 ; 4-byte Folded Reload
	s_waitcnt vmcnt(0)
	ds_write2_b64 v0, v[73:74], v[75:76] offset0:46 offset1:47
	buffer_load_dword v73, off, s[24:27], 0 offset:96 ; 4-byte Folded Reload
	buffer_load_dword v74, off, s[24:27], 0 offset:100 ; 4-byte Folded Reload
	buffer_load_dword v75, off, s[24:27], 0 offset:104 ; 4-byte Folded Reload
	buffer_load_dword v76, off, s[24:27], 0 offset:108 ; 4-byte Folded Reload
	s_waitcnt vmcnt(0)
	ds_write2_b64 v0, v[73:74], v[75:76] offset0:48 offset1:49
	buffer_load_dword v73, off, s[24:27], 0 offset:80 ; 4-byte Folded Reload
	buffer_load_dword v74, off, s[24:27], 0 offset:84 ; 4-byte Folded Reload
	buffer_load_dword v75, off, s[24:27], 0 offset:88 ; 4-byte Folded Reload
	buffer_load_dword v76, off, s[24:27], 0 offset:92 ; 4-byte Folded Reload
	s_waitcnt vmcnt(0)
	ds_write2_b64 v0, v[73:74], v[75:76] offset0:50 offset1:51
	buffer_load_dword v73, off, s[24:27], 0 offset:64 ; 4-byte Folded Reload
	buffer_load_dword v74, off, s[24:27], 0 offset:68 ; 4-byte Folded Reload
	buffer_load_dword v75, off, s[24:27], 0 offset:72 ; 4-byte Folded Reload
	buffer_load_dword v76, off, s[24:27], 0 offset:76 ; 4-byte Folded Reload
	s_waitcnt vmcnt(0)
	ds_write2_b64 v0, v[73:74], v[75:76] offset0:52 offset1:53
	buffer_load_dword v73, off, s[24:27], 0 offset:48 ; 4-byte Folded Reload
	buffer_load_dword v74, off, s[24:27], 0 offset:52 ; 4-byte Folded Reload
	buffer_load_dword v75, off, s[24:27], 0 offset:56 ; 4-byte Folded Reload
	buffer_load_dword v76, off, s[24:27], 0 offset:60 ; 4-byte Folded Reload
	s_waitcnt vmcnt(0)
	ds_write2_b64 v0, v[73:74], v[75:76] offset0:54 offset1:55
	buffer_load_dword v73, off, s[24:27], 0 offset:32 ; 4-byte Folded Reload
	buffer_load_dword v74, off, s[24:27], 0 offset:36 ; 4-byte Folded Reload
	buffer_load_dword v75, off, s[24:27], 0 offset:40 ; 4-byte Folded Reload
	buffer_load_dword v76, off, s[24:27], 0 offset:44 ; 4-byte Folded Reload
	s_waitcnt vmcnt(0)
	ds_write2_b64 v0, v[73:74], v[75:76] offset0:56 offset1:57
	buffer_load_dword v73, off, s[24:27], 0 offset:16 ; 4-byte Folded Reload
	buffer_load_dword v74, off, s[24:27], 0 offset:20 ; 4-byte Folded Reload
	buffer_load_dword v75, off, s[24:27], 0 offset:24 ; 4-byte Folded Reload
	buffer_load_dword v76, off, s[24:27], 0 offset:28 ; 4-byte Folded Reload
	s_waitcnt vmcnt(0)
	ds_write2_b64 v0, v[73:74], v[75:76] offset0:58 offset1:59
	ds_write2_b64 v0, v[81:82], v[83:84] offset0:60 offset1:61
	;; [unrolled: 1-line block ×6, first 2 shown]
	buffer_load_dword v73, off, s[24:27], 0 ; 4-byte Folded Reload
	buffer_load_dword v74, off, s[24:27], 0 offset:4 ; 4-byte Folded Reload
	buffer_load_dword v75, off, s[24:27], 0 offset:8 ; 4-byte Folded Reload
	buffer_load_dword v76, off, s[24:27], 0 offset:12 ; 4-byte Folded Reload
	s_waitcnt vmcnt(0)
	ds_write2_b64 v0, v[73:74], v[75:76] offset0:70 offset1:71
	ds_write2_b64 v0, v[69:70], v[71:72] offset0:72 offset1:73
	;; [unrolled: 1-line block ×20, first 2 shown]
.LBB108_270:
	s_or_b64 exec, exec, s[0:1]
	v_cmp_lt_i32_e32 vcc, 12, v93
	s_waitcnt vmcnt(0) lgkmcnt(0)
	s_barrier
	s_and_saveexec_b64 s[0:1], vcc
	s_cbranch_execz .LBB108_272
; %bb.271:
	buffer_load_dword v95, off, s[24:27], 0 offset:288 ; 4-byte Folded Reload
	buffer_load_dword v96, off, s[24:27], 0 offset:292 ; 4-byte Folded Reload
	;; [unrolled: 1-line block ×4, first 2 shown]
	s_waitcnt vmcnt(0)
	v_mul_f64 v[89:90], v[119:120], v[97:98]
	v_fma_f64 v[125:126], v[117:118], v[95:96], -v[89:90]
	v_mul_f64 v[89:90], v[117:118], v[97:98]
	v_fma_f64 v[97:98], v[119:120], v[95:96], v[89:90]
	ds_read2_b64 v[89:92], v0 offset0:26 offset1:27
	buffer_load_dword v73, off, s[24:27], 0 offset:272 ; 4-byte Folded Reload
	buffer_load_dword v74, off, s[24:27], 0 offset:276 ; 4-byte Folded Reload
	buffer_load_dword v75, off, s[24:27], 0 offset:280 ; 4-byte Folded Reload
	buffer_load_dword v76, off, s[24:27], 0 offset:284 ; 4-byte Folded Reload
	s_waitcnt lgkmcnt(0)
	v_mul_f64 v[95:96], v[91:92], v[97:98]
	v_fma_f64 v[95:96], v[89:90], v[125:126], -v[95:96]
	v_mul_f64 v[89:90], v[89:90], v[97:98]
	v_fma_f64 v[89:90], v[91:92], v[125:126], v[89:90]
	s_waitcnt vmcnt(2)
	v_add_f64 v[73:74], v[73:74], -v[95:96]
	s_waitcnt vmcnt(0)
	v_add_f64 v[75:76], v[75:76], -v[89:90]
	buffer_store_dword v73, off, s[24:27], 0 offset:272 ; 4-byte Folded Spill
	s_nop 0
	buffer_store_dword v74, off, s[24:27], 0 offset:276 ; 4-byte Folded Spill
	buffer_store_dword v75, off, s[24:27], 0 offset:280 ; 4-byte Folded Spill
	buffer_store_dword v76, off, s[24:27], 0 offset:284 ; 4-byte Folded Spill
	ds_read2_b64 v[89:92], v0 offset0:28 offset1:29
	buffer_load_dword v73, off, s[24:27], 0 offset:256 ; 4-byte Folded Reload
	buffer_load_dword v74, off, s[24:27], 0 offset:260 ; 4-byte Folded Reload
	buffer_load_dword v75, off, s[24:27], 0 offset:264 ; 4-byte Folded Reload
	buffer_load_dword v76, off, s[24:27], 0 offset:268 ; 4-byte Folded Reload
	s_waitcnt lgkmcnt(0)
	v_mul_f64 v[95:96], v[91:92], v[97:98]
	v_fma_f64 v[95:96], v[89:90], v[125:126], -v[95:96]
	v_mul_f64 v[89:90], v[89:90], v[97:98]
	v_fma_f64 v[89:90], v[91:92], v[125:126], v[89:90]
	s_waitcnt vmcnt(2)
	v_add_f64 v[73:74], v[73:74], -v[95:96]
	s_waitcnt vmcnt(0)
	v_add_f64 v[75:76], v[75:76], -v[89:90]
	buffer_store_dword v73, off, s[24:27], 0 offset:256 ; 4-byte Folded Spill
	s_nop 0
	buffer_store_dword v74, off, s[24:27], 0 offset:260 ; 4-byte Folded Spill
	buffer_store_dword v75, off, s[24:27], 0 offset:264 ; 4-byte Folded Spill
	buffer_store_dword v76, off, s[24:27], 0 offset:268 ; 4-byte Folded Spill
	;; [unrolled: 19-line block ×17, first 2 shown]
	ds_read2_b64 v[89:92], v0 offset0:60 offset1:61
	s_waitcnt lgkmcnt(0)
	v_mul_f64 v[95:96], v[91:92], v[97:98]
	v_fma_f64 v[95:96], v[89:90], v[125:126], -v[95:96]
	v_mul_f64 v[89:90], v[89:90], v[97:98]
	v_add_f64 v[81:82], v[81:82], -v[95:96]
	v_fma_f64 v[89:90], v[91:92], v[125:126], v[89:90]
	v_add_f64 v[83:84], v[83:84], -v[89:90]
	ds_read2_b64 v[89:92], v0 offset0:62 offset1:63
	s_waitcnt lgkmcnt(0)
	v_mul_f64 v[95:96], v[91:92], v[97:98]
	v_fma_f64 v[95:96], v[89:90], v[125:126], -v[95:96]
	v_mul_f64 v[89:90], v[89:90], v[97:98]
	v_add_f64 v[85:86], v[85:86], -v[95:96]
	v_fma_f64 v[89:90], v[91:92], v[125:126], v[89:90]
	v_add_f64 v[87:88], v[87:88], -v[89:90]
	;; [unrolled: 8-line block ×5, first 2 shown]
	ds_read2_b64 v[89:92], v0 offset0:70 offset1:71
	buffer_load_dword v73, off, s[24:27], 0 ; 4-byte Folded Reload
	buffer_load_dword v74, off, s[24:27], 0 offset:4 ; 4-byte Folded Reload
	buffer_load_dword v75, off, s[24:27], 0 offset:8 ; 4-byte Folded Reload
	buffer_load_dword v76, off, s[24:27], 0 offset:12 ; 4-byte Folded Reload
	s_waitcnt lgkmcnt(0)
	v_mul_f64 v[95:96], v[91:92], v[97:98]
	v_fma_f64 v[95:96], v[89:90], v[125:126], -v[95:96]
	v_mul_f64 v[89:90], v[89:90], v[97:98]
	v_fma_f64 v[89:90], v[91:92], v[125:126], v[89:90]
	s_waitcnt vmcnt(2)
	v_add_f64 v[73:74], v[73:74], -v[95:96]
	s_waitcnt vmcnt(0)
	v_add_f64 v[75:76], v[75:76], -v[89:90]
	buffer_store_dword v73, off, s[24:27], 0 ; 4-byte Folded Spill
	s_nop 0
	buffer_store_dword v74, off, s[24:27], 0 offset:4 ; 4-byte Folded Spill
	buffer_store_dword v75, off, s[24:27], 0 offset:8 ; 4-byte Folded Spill
	;; [unrolled: 1-line block ×3, first 2 shown]
	ds_read2_b64 v[89:92], v0 offset0:72 offset1:73
	s_waitcnt lgkmcnt(0)
	v_mul_f64 v[95:96], v[91:92], v[97:98]
	v_fma_f64 v[95:96], v[89:90], v[125:126], -v[95:96]
	v_mul_f64 v[89:90], v[89:90], v[97:98]
	v_add_f64 v[69:70], v[69:70], -v[95:96]
	v_fma_f64 v[89:90], v[91:92], v[125:126], v[89:90]
	v_add_f64 v[71:72], v[71:72], -v[89:90]
	ds_read2_b64 v[89:92], v0 offset0:74 offset1:75
	s_waitcnt lgkmcnt(0)
	v_mul_f64 v[95:96], v[91:92], v[97:98]
	v_fma_f64 v[95:96], v[89:90], v[125:126], -v[95:96]
	v_mul_f64 v[89:90], v[89:90], v[97:98]
	v_add_f64 v[65:66], v[65:66], -v[95:96]
	v_fma_f64 v[89:90], v[91:92], v[125:126], v[89:90]
	v_add_f64 v[67:68], v[67:68], -v[89:90]
	;; [unrolled: 8-line block ×18, first 2 shown]
	ds_read2_b64 v[89:92], v0 offset0:108 offset1:109
	s_waitcnt lgkmcnt(0)
	v_mul_f64 v[95:96], v[91:92], v[97:98]
	v_fma_f64 v[95:96], v[89:90], v[125:126], -v[95:96]
	v_mul_f64 v[89:90], v[89:90], v[97:98]
	v_add_f64 v[121:122], v[121:122], -v[95:96]
	v_fma_f64 v[89:90], v[91:92], v[125:126], v[89:90]
	v_mov_b32_e32 v95, v125
	v_mov_b32_e32 v96, v126
	buffer_store_dword v95, off, s[24:27], 0 offset:288 ; 4-byte Folded Spill
	s_nop 0
	buffer_store_dword v96, off, s[24:27], 0 offset:292 ; 4-byte Folded Spill
	buffer_store_dword v97, off, s[24:27], 0 offset:296 ; 4-byte Folded Spill
	;; [unrolled: 1-line block ×3, first 2 shown]
	v_add_f64 v[123:124], v[123:124], -v[89:90]
.LBB108_272:
	s_or_b64 exec, exec, s[0:1]
	s_waitcnt vmcnt(0)
	s_barrier
	buffer_load_dword v73, off, s[24:27], 0 offset:272 ; 4-byte Folded Reload
	buffer_load_dword v74, off, s[24:27], 0 offset:276 ; 4-byte Folded Reload
	;; [unrolled: 1-line block ×4, first 2 shown]
	v_lshl_add_u32 v89, v93, 4, v0
	s_cmp_lt_i32 s3, 15
	s_waitcnt vmcnt(0)
	ds_write2_b64 v89, v[73:74], v[75:76] offset1:1
	s_waitcnt lgkmcnt(0)
	s_barrier
	ds_read2_b64 v[117:120], v0 offset0:26 offset1:27
	v_mov_b32_e32 v89, 13
	s_cbranch_scc1 .LBB108_275
; %bb.273:
	v_add_u32_e32 v90, 0xe0, v0
	s_mov_b32 s0, 14
	v_mov_b32_e32 v89, 13
.LBB108_274:                            ; =>This Inner Loop Header: Depth=1
	s_waitcnt lgkmcnt(0)
	v_cmp_gt_f64_e32 vcc, 0, v[117:118]
	v_xor_b32_e32 v91, 0x80000000, v118
	ds_read2_b64 v[95:98], v90 offset1:1
	v_xor_b32_e32 v99, 0x80000000, v120
	v_add_u32_e32 v90, 16, v90
	s_waitcnt lgkmcnt(0)
	v_xor_b32_e32 v101, 0x80000000, v98
	v_cndmask_b32_e32 v92, v118, v91, vcc
	v_cmp_gt_f64_e32 vcc, 0, v[119:120]
	v_mov_b32_e32 v91, v117
	v_cndmask_b32_e32 v100, v120, v99, vcc
	v_cmp_gt_f64_e32 vcc, 0, v[95:96]
	v_mov_b32_e32 v99, v119
	v_add_f64 v[91:92], v[91:92], v[99:100]
	v_xor_b32_e32 v99, 0x80000000, v96
	v_cndmask_b32_e32 v100, v96, v99, vcc
	v_cmp_gt_f64_e32 vcc, 0, v[97:98]
	v_mov_b32_e32 v99, v95
	v_cndmask_b32_e32 v102, v98, v101, vcc
	v_mov_b32_e32 v101, v97
	v_add_f64 v[99:100], v[99:100], v[101:102]
	v_cmp_lt_f64_e32 vcc, v[91:92], v[99:100]
	v_mov_b32_e32 v91, s0
	s_add_i32 s0, s0, 1
	s_cmp_lg_u32 s3, s0
	v_cndmask_b32_e32 v118, v118, v96, vcc
	v_cndmask_b32_e32 v117, v117, v95, vcc
	;; [unrolled: 1-line block ×5, first 2 shown]
	s_cbranch_scc1 .LBB108_274
.LBB108_275:
	s_waitcnt lgkmcnt(0)
	v_cmp_eq_f64_e32 vcc, 0, v[117:118]
	v_cmp_eq_f64_e64 s[0:1], 0, v[119:120]
	s_and_b64 s[0:1], vcc, s[0:1]
	s_and_saveexec_b64 s[18:19], s[0:1]
	s_xor_b64 s[0:1], exec, s[18:19]
; %bb.276:
	v_cmp_ne_u32_e32 vcc, 0, v94
	v_cndmask_b32_e32 v94, 14, v94, vcc
; %bb.277:
	s_andn2_saveexec_b64 s[0:1], s[0:1]
	s_cbranch_execz .LBB108_283
; %bb.278:
	v_cmp_ngt_f64_e64 s[18:19], |v[117:118]|, |v[119:120]|
	s_and_saveexec_b64 s[20:21], s[18:19]
	s_xor_b64 s[18:19], exec, s[20:21]
	s_cbranch_execz .LBB108_280
; %bb.279:
	v_div_scale_f64 v[90:91], s[20:21], v[119:120], v[119:120], v[117:118]
	v_rcp_f64_e32 v[95:96], v[90:91]
	v_fma_f64 v[97:98], -v[90:91], v[95:96], 1.0
	v_fma_f64 v[95:96], v[95:96], v[97:98], v[95:96]
	v_div_scale_f64 v[97:98], vcc, v[117:118], v[119:120], v[117:118]
	v_fma_f64 v[99:100], -v[90:91], v[95:96], 1.0
	v_fma_f64 v[95:96], v[95:96], v[99:100], v[95:96]
	v_mul_f64 v[99:100], v[97:98], v[95:96]
	v_fma_f64 v[90:91], -v[90:91], v[99:100], v[97:98]
	v_div_fmas_f64 v[90:91], v[90:91], v[95:96], v[99:100]
	v_div_fixup_f64 v[90:91], v[90:91], v[119:120], v[117:118]
	v_fma_f64 v[95:96], v[117:118], v[90:91], v[119:120]
	v_div_scale_f64 v[97:98], s[20:21], v[95:96], v[95:96], 1.0
	v_div_scale_f64 v[103:104], vcc, 1.0, v[95:96], 1.0
	v_rcp_f64_e32 v[99:100], v[97:98]
	v_fma_f64 v[101:102], -v[97:98], v[99:100], 1.0
	v_fma_f64 v[99:100], v[99:100], v[101:102], v[99:100]
	v_fma_f64 v[101:102], -v[97:98], v[99:100], 1.0
	v_fma_f64 v[99:100], v[99:100], v[101:102], v[99:100]
	v_mul_f64 v[101:102], v[103:104], v[99:100]
	v_fma_f64 v[97:98], -v[97:98], v[101:102], v[103:104]
	v_div_fmas_f64 v[97:98], v[97:98], v[99:100], v[101:102]
	v_div_fixup_f64 v[119:120], v[97:98], v[95:96], 1.0
	v_mul_f64 v[117:118], v[90:91], v[119:120]
	v_xor_b32_e32 v120, 0x80000000, v120
.LBB108_280:
	s_andn2_saveexec_b64 s[18:19], s[18:19]
	s_cbranch_execz .LBB108_282
; %bb.281:
	v_div_scale_f64 v[90:91], s[20:21], v[117:118], v[117:118], v[119:120]
	v_rcp_f64_e32 v[95:96], v[90:91]
	v_fma_f64 v[97:98], -v[90:91], v[95:96], 1.0
	v_fma_f64 v[95:96], v[95:96], v[97:98], v[95:96]
	v_div_scale_f64 v[97:98], vcc, v[119:120], v[117:118], v[119:120]
	v_fma_f64 v[99:100], -v[90:91], v[95:96], 1.0
	v_fma_f64 v[95:96], v[95:96], v[99:100], v[95:96]
	v_mul_f64 v[99:100], v[97:98], v[95:96]
	v_fma_f64 v[90:91], -v[90:91], v[99:100], v[97:98]
	v_div_fmas_f64 v[90:91], v[90:91], v[95:96], v[99:100]
	v_div_fixup_f64 v[90:91], v[90:91], v[117:118], v[119:120]
	v_fma_f64 v[95:96], v[119:120], v[90:91], v[117:118]
	v_div_scale_f64 v[97:98], s[20:21], v[95:96], v[95:96], 1.0
	v_div_scale_f64 v[103:104], vcc, 1.0, v[95:96], 1.0
	v_rcp_f64_e32 v[99:100], v[97:98]
	v_fma_f64 v[101:102], -v[97:98], v[99:100], 1.0
	v_fma_f64 v[99:100], v[99:100], v[101:102], v[99:100]
	v_fma_f64 v[101:102], -v[97:98], v[99:100], 1.0
	v_fma_f64 v[99:100], v[99:100], v[101:102], v[99:100]
	v_mul_f64 v[101:102], v[103:104], v[99:100]
	v_fma_f64 v[97:98], -v[97:98], v[101:102], v[103:104]
	v_div_fmas_f64 v[97:98], v[97:98], v[99:100], v[101:102]
	v_div_fixup_f64 v[117:118], v[97:98], v[95:96], 1.0
	v_mul_f64 v[119:120], v[90:91], -v[117:118]
.LBB108_282:
	s_or_b64 exec, exec, s[18:19]
.LBB108_283:
	s_or_b64 exec, exec, s[0:1]
	v_cmp_ne_u32_e32 vcc, v93, v89
	s_and_saveexec_b64 s[0:1], vcc
	s_xor_b64 s[0:1], exec, s[0:1]
	s_cbranch_execz .LBB108_289
; %bb.284:
	v_cmp_eq_u32_e32 vcc, 13, v93
	s_and_saveexec_b64 s[18:19], vcc
	s_cbranch_execz .LBB108_288
; %bb.285:
	v_cmp_ne_u32_e32 vcc, 13, v89
	s_xor_b64 s[20:21], s[6:7], -1
	s_and_b64 s[22:23], s[20:21], vcc
	s_and_saveexec_b64 s[20:21], s[22:23]
	s_cbranch_execz .LBB108_287
; %bb.286:
	v_mov_b32_e32 v73, v81
	v_mov_b32_e32 v74, v82
	;; [unrolled: 1-line block ×4, first 2 shown]
	buffer_load_dword v81, off, s[24:27], 0 offset:452 ; 4-byte Folded Reload
	buffer_load_dword v82, off, s[24:27], 0 offset:456 ; 4-byte Folded Reload
	v_ashrrev_i32_e32 v90, 31, v89
	v_lshlrev_b64 v[90:91], 2, v[89:90]
	s_waitcnt vmcnt(1)
	v_add_co_u32_e32 v90, vcc, v81, v90
	s_waitcnt vmcnt(0)
	v_addc_co_u32_e32 v91, vcc, v82, v91, vcc
	global_load_dword v92, v[90:91], off
	global_load_dword v93, v[81:82], off offset:52
	s_waitcnt vmcnt(1)
	global_store_dword v[81:82], v92, off offset:52
	v_mov_b32_e32 v84, v76
	v_mov_b32_e32 v83, v75
	;; [unrolled: 1-line block ×4, first 2 shown]
	s_waitcnt vmcnt(1)
	global_store_dword v[90:91], v93, off
.LBB108_287:
	s_or_b64 exec, exec, s[20:21]
	v_mov_b32_e32 v93, v89
	v_mov_b32_e32 v73, v89
	buffer_store_dword v73, off, s[24:27], 0 offset:368 ; 4-byte Folded Spill
.LBB108_288:
	s_or_b64 exec, exec, s[18:19]
.LBB108_289:
	s_andn2_saveexec_b64 s[0:1], s[0:1]
	s_cbranch_execz .LBB108_291
; %bb.290:
	buffer_load_dword v73, off, s[24:27], 0 offset:256 ; 4-byte Folded Reload
	buffer_load_dword v74, off, s[24:27], 0 offset:260 ; 4-byte Folded Reload
	;; [unrolled: 1-line block ×4, first 2 shown]
	v_mov_b32_e32 v93, 13
	s_waitcnt vmcnt(0)
	ds_write2_b64 v0, v[73:74], v[75:76] offset0:28 offset1:29
	buffer_load_dword v73, off, s[24:27], 0 offset:240 ; 4-byte Folded Reload
	buffer_load_dword v74, off, s[24:27], 0 offset:244 ; 4-byte Folded Reload
	buffer_load_dword v75, off, s[24:27], 0 offset:248 ; 4-byte Folded Reload
	buffer_load_dword v76, off, s[24:27], 0 offset:252 ; 4-byte Folded Reload
	s_waitcnt vmcnt(0)
	ds_write2_b64 v0, v[73:74], v[75:76] offset0:30 offset1:31
	buffer_load_dword v73, off, s[24:27], 0 offset:224 ; 4-byte Folded Reload
	buffer_load_dword v74, off, s[24:27], 0 offset:228 ; 4-byte Folded Reload
	buffer_load_dword v75, off, s[24:27], 0 offset:232 ; 4-byte Folded Reload
	buffer_load_dword v76, off, s[24:27], 0 offset:236 ; 4-byte Folded Reload
	;; [unrolled: 6-line block ×15, first 2 shown]
	s_waitcnt vmcnt(0)
	ds_write2_b64 v0, v[73:74], v[75:76] offset0:58 offset1:59
	ds_write2_b64 v0, v[81:82], v[83:84] offset0:60 offset1:61
	;; [unrolled: 1-line block ×6, first 2 shown]
	buffer_load_dword v73, off, s[24:27], 0 ; 4-byte Folded Reload
	buffer_load_dword v74, off, s[24:27], 0 offset:4 ; 4-byte Folded Reload
	buffer_load_dword v75, off, s[24:27], 0 offset:8 ; 4-byte Folded Reload
	;; [unrolled: 1-line block ×3, first 2 shown]
	s_waitcnt vmcnt(0)
	ds_write2_b64 v0, v[73:74], v[75:76] offset0:70 offset1:71
	ds_write2_b64 v0, v[69:70], v[71:72] offset0:72 offset1:73
	;; [unrolled: 1-line block ×20, first 2 shown]
.LBB108_291:
	s_or_b64 exec, exec, s[0:1]
	v_cmp_lt_i32_e32 vcc, 13, v93
	s_waitcnt vmcnt(0) lgkmcnt(0)
	s_barrier
	s_and_saveexec_b64 s[0:1], vcc
	s_cbranch_execz .LBB108_293
; %bb.292:
	buffer_load_dword v95, off, s[24:27], 0 offset:272 ; 4-byte Folded Reload
	buffer_load_dword v96, off, s[24:27], 0 offset:276 ; 4-byte Folded Reload
	;; [unrolled: 1-line block ×4, first 2 shown]
	s_waitcnt vmcnt(0)
	v_mul_f64 v[89:90], v[119:120], v[97:98]
	v_fma_f64 v[125:126], v[117:118], v[95:96], -v[89:90]
	v_mul_f64 v[89:90], v[117:118], v[97:98]
	v_fma_f64 v[97:98], v[119:120], v[95:96], v[89:90]
	ds_read2_b64 v[89:92], v0 offset0:28 offset1:29
	buffer_load_dword v73, off, s[24:27], 0 offset:256 ; 4-byte Folded Reload
	buffer_load_dword v74, off, s[24:27], 0 offset:260 ; 4-byte Folded Reload
	buffer_load_dword v75, off, s[24:27], 0 offset:264 ; 4-byte Folded Reload
	buffer_load_dword v76, off, s[24:27], 0 offset:268 ; 4-byte Folded Reload
	s_waitcnt lgkmcnt(0)
	v_mul_f64 v[95:96], v[91:92], v[97:98]
	v_fma_f64 v[95:96], v[89:90], v[125:126], -v[95:96]
	v_mul_f64 v[89:90], v[89:90], v[97:98]
	v_fma_f64 v[89:90], v[91:92], v[125:126], v[89:90]
	s_waitcnt vmcnt(2)
	v_add_f64 v[73:74], v[73:74], -v[95:96]
	s_waitcnt vmcnt(0)
	v_add_f64 v[75:76], v[75:76], -v[89:90]
	buffer_store_dword v73, off, s[24:27], 0 offset:256 ; 4-byte Folded Spill
	s_nop 0
	buffer_store_dword v74, off, s[24:27], 0 offset:260 ; 4-byte Folded Spill
	buffer_store_dword v75, off, s[24:27], 0 offset:264 ; 4-byte Folded Spill
	buffer_store_dword v76, off, s[24:27], 0 offset:268 ; 4-byte Folded Spill
	ds_read2_b64 v[89:92], v0 offset0:30 offset1:31
	buffer_load_dword v73, off, s[24:27], 0 offset:240 ; 4-byte Folded Reload
	buffer_load_dword v74, off, s[24:27], 0 offset:244 ; 4-byte Folded Reload
	buffer_load_dword v75, off, s[24:27], 0 offset:248 ; 4-byte Folded Reload
	buffer_load_dword v76, off, s[24:27], 0 offset:252 ; 4-byte Folded Reload
	s_waitcnt lgkmcnt(0)
	v_mul_f64 v[95:96], v[91:92], v[97:98]
	v_fma_f64 v[95:96], v[89:90], v[125:126], -v[95:96]
	v_mul_f64 v[89:90], v[89:90], v[97:98]
	v_fma_f64 v[89:90], v[91:92], v[125:126], v[89:90]
	s_waitcnt vmcnt(2)
	v_add_f64 v[73:74], v[73:74], -v[95:96]
	s_waitcnt vmcnt(0)
	v_add_f64 v[75:76], v[75:76], -v[89:90]
	buffer_store_dword v73, off, s[24:27], 0 offset:240 ; 4-byte Folded Spill
	s_nop 0
	buffer_store_dword v74, off, s[24:27], 0 offset:244 ; 4-byte Folded Spill
	buffer_store_dword v75, off, s[24:27], 0 offset:248 ; 4-byte Folded Spill
	buffer_store_dword v76, off, s[24:27], 0 offset:252 ; 4-byte Folded Spill
	;; [unrolled: 19-line block ×16, first 2 shown]
	ds_read2_b64 v[89:92], v0 offset0:60 offset1:61
	s_waitcnt lgkmcnt(0)
	v_mul_f64 v[95:96], v[91:92], v[97:98]
	v_fma_f64 v[95:96], v[89:90], v[125:126], -v[95:96]
	v_mul_f64 v[89:90], v[89:90], v[97:98]
	v_add_f64 v[81:82], v[81:82], -v[95:96]
	v_fma_f64 v[89:90], v[91:92], v[125:126], v[89:90]
	v_add_f64 v[83:84], v[83:84], -v[89:90]
	ds_read2_b64 v[89:92], v0 offset0:62 offset1:63
	s_waitcnt lgkmcnt(0)
	v_mul_f64 v[95:96], v[91:92], v[97:98]
	v_fma_f64 v[95:96], v[89:90], v[125:126], -v[95:96]
	v_mul_f64 v[89:90], v[89:90], v[97:98]
	v_add_f64 v[85:86], v[85:86], -v[95:96]
	v_fma_f64 v[89:90], v[91:92], v[125:126], v[89:90]
	v_add_f64 v[87:88], v[87:88], -v[89:90]
	;; [unrolled: 8-line block ×5, first 2 shown]
	ds_read2_b64 v[89:92], v0 offset0:70 offset1:71
	buffer_load_dword v73, off, s[24:27], 0 ; 4-byte Folded Reload
	buffer_load_dword v74, off, s[24:27], 0 offset:4 ; 4-byte Folded Reload
	buffer_load_dword v75, off, s[24:27], 0 offset:8 ; 4-byte Folded Reload
	buffer_load_dword v76, off, s[24:27], 0 offset:12 ; 4-byte Folded Reload
	s_waitcnt lgkmcnt(0)
	v_mul_f64 v[95:96], v[91:92], v[97:98]
	v_fma_f64 v[95:96], v[89:90], v[125:126], -v[95:96]
	v_mul_f64 v[89:90], v[89:90], v[97:98]
	v_fma_f64 v[89:90], v[91:92], v[125:126], v[89:90]
	s_waitcnt vmcnt(2)
	v_add_f64 v[73:74], v[73:74], -v[95:96]
	s_waitcnt vmcnt(0)
	v_add_f64 v[75:76], v[75:76], -v[89:90]
	buffer_store_dword v73, off, s[24:27], 0 ; 4-byte Folded Spill
	s_nop 0
	buffer_store_dword v74, off, s[24:27], 0 offset:4 ; 4-byte Folded Spill
	buffer_store_dword v75, off, s[24:27], 0 offset:8 ; 4-byte Folded Spill
	;; [unrolled: 1-line block ×3, first 2 shown]
	ds_read2_b64 v[89:92], v0 offset0:72 offset1:73
	s_waitcnt lgkmcnt(0)
	v_mul_f64 v[95:96], v[91:92], v[97:98]
	v_fma_f64 v[95:96], v[89:90], v[125:126], -v[95:96]
	v_mul_f64 v[89:90], v[89:90], v[97:98]
	v_add_f64 v[69:70], v[69:70], -v[95:96]
	v_fma_f64 v[89:90], v[91:92], v[125:126], v[89:90]
	v_add_f64 v[71:72], v[71:72], -v[89:90]
	ds_read2_b64 v[89:92], v0 offset0:74 offset1:75
	s_waitcnt lgkmcnt(0)
	v_mul_f64 v[95:96], v[91:92], v[97:98]
	v_fma_f64 v[95:96], v[89:90], v[125:126], -v[95:96]
	v_mul_f64 v[89:90], v[89:90], v[97:98]
	v_add_f64 v[65:66], v[65:66], -v[95:96]
	v_fma_f64 v[89:90], v[91:92], v[125:126], v[89:90]
	v_add_f64 v[67:68], v[67:68], -v[89:90]
	;; [unrolled: 8-line block ×18, first 2 shown]
	ds_read2_b64 v[89:92], v0 offset0:108 offset1:109
	s_waitcnt lgkmcnt(0)
	v_mul_f64 v[95:96], v[91:92], v[97:98]
	v_fma_f64 v[95:96], v[89:90], v[125:126], -v[95:96]
	v_mul_f64 v[89:90], v[89:90], v[97:98]
	v_add_f64 v[121:122], v[121:122], -v[95:96]
	v_fma_f64 v[89:90], v[91:92], v[125:126], v[89:90]
	v_mov_b32_e32 v95, v125
	v_mov_b32_e32 v96, v126
	buffer_store_dword v95, off, s[24:27], 0 offset:272 ; 4-byte Folded Spill
	s_nop 0
	buffer_store_dword v96, off, s[24:27], 0 offset:276 ; 4-byte Folded Spill
	buffer_store_dword v97, off, s[24:27], 0 offset:280 ; 4-byte Folded Spill
	;; [unrolled: 1-line block ×3, first 2 shown]
	v_add_f64 v[123:124], v[123:124], -v[89:90]
.LBB108_293:
	s_or_b64 exec, exec, s[0:1]
	s_waitcnt vmcnt(0)
	s_barrier
	buffer_load_dword v73, off, s[24:27], 0 offset:256 ; 4-byte Folded Reload
	buffer_load_dword v74, off, s[24:27], 0 offset:260 ; 4-byte Folded Reload
	;; [unrolled: 1-line block ×4, first 2 shown]
	v_lshl_add_u32 v89, v93, 4, v0
	s_cmp_lt_i32 s3, 16
	s_waitcnt vmcnt(0)
	ds_write2_b64 v89, v[73:74], v[75:76] offset1:1
	s_waitcnt lgkmcnt(0)
	s_barrier
	ds_read2_b64 v[117:120], v0 offset0:28 offset1:29
	v_mov_b32_e32 v89, 14
	s_cbranch_scc1 .LBB108_296
; %bb.294:
	v_add_u32_e32 v90, 0xf0, v0
	s_mov_b32 s0, 15
	v_mov_b32_e32 v89, 14
.LBB108_295:                            ; =>This Inner Loop Header: Depth=1
	s_waitcnt lgkmcnt(0)
	v_cmp_gt_f64_e32 vcc, 0, v[117:118]
	v_xor_b32_e32 v91, 0x80000000, v118
	ds_read2_b64 v[95:98], v90 offset1:1
	v_xor_b32_e32 v99, 0x80000000, v120
	v_add_u32_e32 v90, 16, v90
	s_waitcnt lgkmcnt(0)
	v_xor_b32_e32 v101, 0x80000000, v98
	v_cndmask_b32_e32 v92, v118, v91, vcc
	v_cmp_gt_f64_e32 vcc, 0, v[119:120]
	v_mov_b32_e32 v91, v117
	v_cndmask_b32_e32 v100, v120, v99, vcc
	v_cmp_gt_f64_e32 vcc, 0, v[95:96]
	v_mov_b32_e32 v99, v119
	v_add_f64 v[91:92], v[91:92], v[99:100]
	v_xor_b32_e32 v99, 0x80000000, v96
	v_cndmask_b32_e32 v100, v96, v99, vcc
	v_cmp_gt_f64_e32 vcc, 0, v[97:98]
	v_mov_b32_e32 v99, v95
	v_cndmask_b32_e32 v102, v98, v101, vcc
	v_mov_b32_e32 v101, v97
	v_add_f64 v[99:100], v[99:100], v[101:102]
	v_cmp_lt_f64_e32 vcc, v[91:92], v[99:100]
	v_mov_b32_e32 v91, s0
	s_add_i32 s0, s0, 1
	s_cmp_lg_u32 s3, s0
	v_cndmask_b32_e32 v118, v118, v96, vcc
	v_cndmask_b32_e32 v117, v117, v95, vcc
	;; [unrolled: 1-line block ×5, first 2 shown]
	s_cbranch_scc1 .LBB108_295
.LBB108_296:
	s_waitcnt lgkmcnt(0)
	v_cmp_eq_f64_e32 vcc, 0, v[117:118]
	v_cmp_eq_f64_e64 s[0:1], 0, v[119:120]
	s_and_b64 s[0:1], vcc, s[0:1]
	s_and_saveexec_b64 s[18:19], s[0:1]
	s_xor_b64 s[0:1], exec, s[18:19]
; %bb.297:
	v_cmp_ne_u32_e32 vcc, 0, v94
	v_cndmask_b32_e32 v94, 15, v94, vcc
; %bb.298:
	s_andn2_saveexec_b64 s[0:1], s[0:1]
	s_cbranch_execz .LBB108_304
; %bb.299:
	v_cmp_ngt_f64_e64 s[18:19], |v[117:118]|, |v[119:120]|
	s_and_saveexec_b64 s[20:21], s[18:19]
	s_xor_b64 s[18:19], exec, s[20:21]
	s_cbranch_execz .LBB108_301
; %bb.300:
	v_div_scale_f64 v[90:91], s[20:21], v[119:120], v[119:120], v[117:118]
	v_rcp_f64_e32 v[95:96], v[90:91]
	v_fma_f64 v[97:98], -v[90:91], v[95:96], 1.0
	v_fma_f64 v[95:96], v[95:96], v[97:98], v[95:96]
	v_div_scale_f64 v[97:98], vcc, v[117:118], v[119:120], v[117:118]
	v_fma_f64 v[99:100], -v[90:91], v[95:96], 1.0
	v_fma_f64 v[95:96], v[95:96], v[99:100], v[95:96]
	v_mul_f64 v[99:100], v[97:98], v[95:96]
	v_fma_f64 v[90:91], -v[90:91], v[99:100], v[97:98]
	v_div_fmas_f64 v[90:91], v[90:91], v[95:96], v[99:100]
	v_div_fixup_f64 v[90:91], v[90:91], v[119:120], v[117:118]
	v_fma_f64 v[95:96], v[117:118], v[90:91], v[119:120]
	v_div_scale_f64 v[97:98], s[20:21], v[95:96], v[95:96], 1.0
	v_div_scale_f64 v[103:104], vcc, 1.0, v[95:96], 1.0
	v_rcp_f64_e32 v[99:100], v[97:98]
	v_fma_f64 v[101:102], -v[97:98], v[99:100], 1.0
	v_fma_f64 v[99:100], v[99:100], v[101:102], v[99:100]
	v_fma_f64 v[101:102], -v[97:98], v[99:100], 1.0
	v_fma_f64 v[99:100], v[99:100], v[101:102], v[99:100]
	v_mul_f64 v[101:102], v[103:104], v[99:100]
	v_fma_f64 v[97:98], -v[97:98], v[101:102], v[103:104]
	v_div_fmas_f64 v[97:98], v[97:98], v[99:100], v[101:102]
	v_div_fixup_f64 v[119:120], v[97:98], v[95:96], 1.0
	v_mul_f64 v[117:118], v[90:91], v[119:120]
	v_xor_b32_e32 v120, 0x80000000, v120
.LBB108_301:
	s_andn2_saveexec_b64 s[18:19], s[18:19]
	s_cbranch_execz .LBB108_303
; %bb.302:
	v_div_scale_f64 v[90:91], s[20:21], v[117:118], v[117:118], v[119:120]
	v_rcp_f64_e32 v[95:96], v[90:91]
	v_fma_f64 v[97:98], -v[90:91], v[95:96], 1.0
	v_fma_f64 v[95:96], v[95:96], v[97:98], v[95:96]
	v_div_scale_f64 v[97:98], vcc, v[119:120], v[117:118], v[119:120]
	v_fma_f64 v[99:100], -v[90:91], v[95:96], 1.0
	v_fma_f64 v[95:96], v[95:96], v[99:100], v[95:96]
	v_mul_f64 v[99:100], v[97:98], v[95:96]
	v_fma_f64 v[90:91], -v[90:91], v[99:100], v[97:98]
	v_div_fmas_f64 v[90:91], v[90:91], v[95:96], v[99:100]
	v_div_fixup_f64 v[90:91], v[90:91], v[117:118], v[119:120]
	v_fma_f64 v[95:96], v[119:120], v[90:91], v[117:118]
	v_div_scale_f64 v[97:98], s[20:21], v[95:96], v[95:96], 1.0
	v_div_scale_f64 v[103:104], vcc, 1.0, v[95:96], 1.0
	v_rcp_f64_e32 v[99:100], v[97:98]
	v_fma_f64 v[101:102], -v[97:98], v[99:100], 1.0
	v_fma_f64 v[99:100], v[99:100], v[101:102], v[99:100]
	v_fma_f64 v[101:102], -v[97:98], v[99:100], 1.0
	v_fma_f64 v[99:100], v[99:100], v[101:102], v[99:100]
	v_mul_f64 v[101:102], v[103:104], v[99:100]
	v_fma_f64 v[97:98], -v[97:98], v[101:102], v[103:104]
	v_div_fmas_f64 v[97:98], v[97:98], v[99:100], v[101:102]
	v_div_fixup_f64 v[117:118], v[97:98], v[95:96], 1.0
	v_mul_f64 v[119:120], v[90:91], -v[117:118]
.LBB108_303:
	s_or_b64 exec, exec, s[18:19]
.LBB108_304:
	s_or_b64 exec, exec, s[0:1]
	v_cmp_ne_u32_e32 vcc, v93, v89
	s_and_saveexec_b64 s[0:1], vcc
	s_xor_b64 s[0:1], exec, s[0:1]
	s_cbranch_execz .LBB108_310
; %bb.305:
	v_cmp_eq_u32_e32 vcc, 14, v93
	s_and_saveexec_b64 s[18:19], vcc
	s_cbranch_execz .LBB108_309
; %bb.306:
	v_cmp_ne_u32_e32 vcc, 14, v89
	s_xor_b64 s[20:21], s[6:7], -1
	s_and_b64 s[22:23], s[20:21], vcc
	s_and_saveexec_b64 s[20:21], s[22:23]
	s_cbranch_execz .LBB108_308
; %bb.307:
	v_mov_b32_e32 v73, v81
	v_mov_b32_e32 v74, v82
	;; [unrolled: 1-line block ×4, first 2 shown]
	buffer_load_dword v81, off, s[24:27], 0 offset:452 ; 4-byte Folded Reload
	buffer_load_dword v82, off, s[24:27], 0 offset:456 ; 4-byte Folded Reload
	v_ashrrev_i32_e32 v90, 31, v89
	v_lshlrev_b64 v[90:91], 2, v[89:90]
	s_waitcnt vmcnt(1)
	v_add_co_u32_e32 v90, vcc, v81, v90
	s_waitcnt vmcnt(0)
	v_addc_co_u32_e32 v91, vcc, v82, v91, vcc
	global_load_dword v92, v[90:91], off
	global_load_dword v93, v[81:82], off offset:56
	s_waitcnt vmcnt(1)
	global_store_dword v[81:82], v92, off offset:56
	v_mov_b32_e32 v84, v76
	v_mov_b32_e32 v83, v75
	;; [unrolled: 1-line block ×4, first 2 shown]
	s_waitcnt vmcnt(1)
	global_store_dword v[90:91], v93, off
.LBB108_308:
	s_or_b64 exec, exec, s[20:21]
	v_mov_b32_e32 v93, v89
	v_mov_b32_e32 v73, v89
	buffer_store_dword v73, off, s[24:27], 0 offset:368 ; 4-byte Folded Spill
.LBB108_309:
	s_or_b64 exec, exec, s[18:19]
.LBB108_310:
	s_andn2_saveexec_b64 s[0:1], s[0:1]
	s_cbranch_execz .LBB108_312
; %bb.311:
	buffer_load_dword v73, off, s[24:27], 0 offset:240 ; 4-byte Folded Reload
	buffer_load_dword v74, off, s[24:27], 0 offset:244 ; 4-byte Folded Reload
	;; [unrolled: 1-line block ×4, first 2 shown]
	v_mov_b32_e32 v93, 14
	s_waitcnt vmcnt(0)
	ds_write2_b64 v0, v[73:74], v[75:76] offset0:30 offset1:31
	buffer_load_dword v73, off, s[24:27], 0 offset:224 ; 4-byte Folded Reload
	buffer_load_dword v74, off, s[24:27], 0 offset:228 ; 4-byte Folded Reload
	buffer_load_dword v75, off, s[24:27], 0 offset:232 ; 4-byte Folded Reload
	buffer_load_dword v76, off, s[24:27], 0 offset:236 ; 4-byte Folded Reload
	s_waitcnt vmcnt(0)
	ds_write2_b64 v0, v[73:74], v[75:76] offset0:32 offset1:33
	buffer_load_dword v73, off, s[24:27], 0 offset:208 ; 4-byte Folded Reload
	buffer_load_dword v74, off, s[24:27], 0 offset:212 ; 4-byte Folded Reload
	buffer_load_dword v75, off, s[24:27], 0 offset:216 ; 4-byte Folded Reload
	buffer_load_dword v76, off, s[24:27], 0 offset:220 ; 4-byte Folded Reload
	;; [unrolled: 6-line block ×14, first 2 shown]
	s_waitcnt vmcnt(0)
	ds_write2_b64 v0, v[73:74], v[75:76] offset0:58 offset1:59
	ds_write2_b64 v0, v[81:82], v[83:84] offset0:60 offset1:61
	;; [unrolled: 1-line block ×6, first 2 shown]
	buffer_load_dword v73, off, s[24:27], 0 ; 4-byte Folded Reload
	buffer_load_dword v74, off, s[24:27], 0 offset:4 ; 4-byte Folded Reload
	buffer_load_dword v75, off, s[24:27], 0 offset:8 ; 4-byte Folded Reload
	;; [unrolled: 1-line block ×3, first 2 shown]
	s_waitcnt vmcnt(0)
	ds_write2_b64 v0, v[73:74], v[75:76] offset0:70 offset1:71
	ds_write2_b64 v0, v[69:70], v[71:72] offset0:72 offset1:73
	;; [unrolled: 1-line block ×20, first 2 shown]
.LBB108_312:
	s_or_b64 exec, exec, s[0:1]
	v_cmp_lt_i32_e32 vcc, 14, v93
	s_waitcnt vmcnt(0) lgkmcnt(0)
	s_barrier
	s_and_saveexec_b64 s[0:1], vcc
	s_cbranch_execz .LBB108_314
; %bb.313:
	buffer_load_dword v95, off, s[24:27], 0 offset:256 ; 4-byte Folded Reload
	buffer_load_dword v96, off, s[24:27], 0 offset:260 ; 4-byte Folded Reload
	;; [unrolled: 1-line block ×4, first 2 shown]
	s_waitcnt vmcnt(0)
	v_mul_f64 v[89:90], v[119:120], v[97:98]
	v_fma_f64 v[125:126], v[117:118], v[95:96], -v[89:90]
	v_mul_f64 v[89:90], v[117:118], v[97:98]
	v_fma_f64 v[97:98], v[119:120], v[95:96], v[89:90]
	ds_read2_b64 v[89:92], v0 offset0:30 offset1:31
	buffer_load_dword v73, off, s[24:27], 0 offset:240 ; 4-byte Folded Reload
	buffer_load_dword v74, off, s[24:27], 0 offset:244 ; 4-byte Folded Reload
	buffer_load_dword v75, off, s[24:27], 0 offset:248 ; 4-byte Folded Reload
	buffer_load_dword v76, off, s[24:27], 0 offset:252 ; 4-byte Folded Reload
	s_waitcnt lgkmcnt(0)
	v_mul_f64 v[95:96], v[91:92], v[97:98]
	v_fma_f64 v[95:96], v[89:90], v[125:126], -v[95:96]
	v_mul_f64 v[89:90], v[89:90], v[97:98]
	v_fma_f64 v[89:90], v[91:92], v[125:126], v[89:90]
	s_waitcnt vmcnt(2)
	v_add_f64 v[73:74], v[73:74], -v[95:96]
	s_waitcnt vmcnt(0)
	v_add_f64 v[75:76], v[75:76], -v[89:90]
	buffer_store_dword v73, off, s[24:27], 0 offset:240 ; 4-byte Folded Spill
	s_nop 0
	buffer_store_dword v74, off, s[24:27], 0 offset:244 ; 4-byte Folded Spill
	buffer_store_dword v75, off, s[24:27], 0 offset:248 ; 4-byte Folded Spill
	buffer_store_dword v76, off, s[24:27], 0 offset:252 ; 4-byte Folded Spill
	ds_read2_b64 v[89:92], v0 offset0:32 offset1:33
	buffer_load_dword v73, off, s[24:27], 0 offset:224 ; 4-byte Folded Reload
	buffer_load_dword v74, off, s[24:27], 0 offset:228 ; 4-byte Folded Reload
	buffer_load_dword v75, off, s[24:27], 0 offset:232 ; 4-byte Folded Reload
	buffer_load_dword v76, off, s[24:27], 0 offset:236 ; 4-byte Folded Reload
	s_waitcnt lgkmcnt(0)
	v_mul_f64 v[95:96], v[91:92], v[97:98]
	v_fma_f64 v[95:96], v[89:90], v[125:126], -v[95:96]
	v_mul_f64 v[89:90], v[89:90], v[97:98]
	v_fma_f64 v[89:90], v[91:92], v[125:126], v[89:90]
	s_waitcnt vmcnt(2)
	v_add_f64 v[73:74], v[73:74], -v[95:96]
	s_waitcnt vmcnt(0)
	v_add_f64 v[75:76], v[75:76], -v[89:90]
	buffer_store_dword v73, off, s[24:27], 0 offset:224 ; 4-byte Folded Spill
	s_nop 0
	buffer_store_dword v74, off, s[24:27], 0 offset:228 ; 4-byte Folded Spill
	buffer_store_dword v75, off, s[24:27], 0 offset:232 ; 4-byte Folded Spill
	buffer_store_dword v76, off, s[24:27], 0 offset:236 ; 4-byte Folded Spill
	;; [unrolled: 19-line block ×15, first 2 shown]
	ds_read2_b64 v[89:92], v0 offset0:60 offset1:61
	s_waitcnt lgkmcnt(0)
	v_mul_f64 v[95:96], v[91:92], v[97:98]
	v_fma_f64 v[95:96], v[89:90], v[125:126], -v[95:96]
	v_mul_f64 v[89:90], v[89:90], v[97:98]
	v_add_f64 v[81:82], v[81:82], -v[95:96]
	v_fma_f64 v[89:90], v[91:92], v[125:126], v[89:90]
	v_add_f64 v[83:84], v[83:84], -v[89:90]
	ds_read2_b64 v[89:92], v0 offset0:62 offset1:63
	s_waitcnt lgkmcnt(0)
	v_mul_f64 v[95:96], v[91:92], v[97:98]
	v_fma_f64 v[95:96], v[89:90], v[125:126], -v[95:96]
	v_mul_f64 v[89:90], v[89:90], v[97:98]
	v_add_f64 v[85:86], v[85:86], -v[95:96]
	v_fma_f64 v[89:90], v[91:92], v[125:126], v[89:90]
	v_add_f64 v[87:88], v[87:88], -v[89:90]
	;; [unrolled: 8-line block ×5, first 2 shown]
	ds_read2_b64 v[89:92], v0 offset0:70 offset1:71
	buffer_load_dword v73, off, s[24:27], 0 ; 4-byte Folded Reload
	buffer_load_dword v74, off, s[24:27], 0 offset:4 ; 4-byte Folded Reload
	buffer_load_dword v75, off, s[24:27], 0 offset:8 ; 4-byte Folded Reload
	;; [unrolled: 1-line block ×3, first 2 shown]
	s_waitcnt lgkmcnt(0)
	v_mul_f64 v[95:96], v[91:92], v[97:98]
	v_fma_f64 v[95:96], v[89:90], v[125:126], -v[95:96]
	v_mul_f64 v[89:90], v[89:90], v[97:98]
	v_fma_f64 v[89:90], v[91:92], v[125:126], v[89:90]
	s_waitcnt vmcnt(2)
	v_add_f64 v[73:74], v[73:74], -v[95:96]
	s_waitcnt vmcnt(0)
	v_add_f64 v[75:76], v[75:76], -v[89:90]
	buffer_store_dword v73, off, s[24:27], 0 ; 4-byte Folded Spill
	s_nop 0
	buffer_store_dword v74, off, s[24:27], 0 offset:4 ; 4-byte Folded Spill
	buffer_store_dword v75, off, s[24:27], 0 offset:8 ; 4-byte Folded Spill
	;; [unrolled: 1-line block ×3, first 2 shown]
	ds_read2_b64 v[89:92], v0 offset0:72 offset1:73
	s_waitcnt lgkmcnt(0)
	v_mul_f64 v[95:96], v[91:92], v[97:98]
	v_fma_f64 v[95:96], v[89:90], v[125:126], -v[95:96]
	v_mul_f64 v[89:90], v[89:90], v[97:98]
	v_add_f64 v[69:70], v[69:70], -v[95:96]
	v_fma_f64 v[89:90], v[91:92], v[125:126], v[89:90]
	v_add_f64 v[71:72], v[71:72], -v[89:90]
	ds_read2_b64 v[89:92], v0 offset0:74 offset1:75
	s_waitcnt lgkmcnt(0)
	v_mul_f64 v[95:96], v[91:92], v[97:98]
	v_fma_f64 v[95:96], v[89:90], v[125:126], -v[95:96]
	v_mul_f64 v[89:90], v[89:90], v[97:98]
	v_add_f64 v[65:66], v[65:66], -v[95:96]
	v_fma_f64 v[89:90], v[91:92], v[125:126], v[89:90]
	v_add_f64 v[67:68], v[67:68], -v[89:90]
	ds_read2_b64 v[89:92], v0 offset0:76 offset1:77
	s_waitcnt lgkmcnt(0)
	v_mul_f64 v[95:96], v[91:92], v[97:98]
	v_fma_f64 v[95:96], v[89:90], v[125:126], -v[95:96]
	v_mul_f64 v[89:90], v[89:90], v[97:98]
	v_add_f64 v[61:62], v[61:62], -v[95:96]
	v_fma_f64 v[89:90], v[91:92], v[125:126], v[89:90]
	v_add_f64 v[63:64], v[63:64], -v[89:90]
	ds_read2_b64 v[89:92], v0 offset0:78 offset1:79
	s_waitcnt lgkmcnt(0)
	v_mul_f64 v[95:96], v[91:92], v[97:98]
	v_fma_f64 v[95:96], v[89:90], v[125:126], -v[95:96]
	v_mul_f64 v[89:90], v[89:90], v[97:98]
	v_add_f64 v[57:58], v[57:58], -v[95:96]
	v_fma_f64 v[89:90], v[91:92], v[125:126], v[89:90]
	v_add_f64 v[59:60], v[59:60], -v[89:90]
	ds_read2_b64 v[89:92], v0 offset0:80 offset1:81
	s_waitcnt lgkmcnt(0)
	v_mul_f64 v[95:96], v[91:92], v[97:98]
	v_fma_f64 v[95:96], v[89:90], v[125:126], -v[95:96]
	v_mul_f64 v[89:90], v[89:90], v[97:98]
	v_add_f64 v[53:54], v[53:54], -v[95:96]
	v_fma_f64 v[89:90], v[91:92], v[125:126], v[89:90]
	v_add_f64 v[55:56], v[55:56], -v[89:90]
	ds_read2_b64 v[89:92], v0 offset0:82 offset1:83
	s_waitcnt lgkmcnt(0)
	v_mul_f64 v[95:96], v[91:92], v[97:98]
	v_fma_f64 v[95:96], v[89:90], v[125:126], -v[95:96]
	v_mul_f64 v[89:90], v[89:90], v[97:98]
	v_add_f64 v[49:50], v[49:50], -v[95:96]
	v_fma_f64 v[89:90], v[91:92], v[125:126], v[89:90]
	v_add_f64 v[51:52], v[51:52], -v[89:90]
	ds_read2_b64 v[89:92], v0 offset0:84 offset1:85
	s_waitcnt lgkmcnt(0)
	v_mul_f64 v[95:96], v[91:92], v[97:98]
	v_fma_f64 v[95:96], v[89:90], v[125:126], -v[95:96]
	v_mul_f64 v[89:90], v[89:90], v[97:98]
	v_add_f64 v[45:46], v[45:46], -v[95:96]
	v_fma_f64 v[89:90], v[91:92], v[125:126], v[89:90]
	v_add_f64 v[47:48], v[47:48], -v[89:90]
	ds_read2_b64 v[89:92], v0 offset0:86 offset1:87
	s_waitcnt lgkmcnt(0)
	v_mul_f64 v[95:96], v[91:92], v[97:98]
	v_fma_f64 v[95:96], v[89:90], v[125:126], -v[95:96]
	v_mul_f64 v[89:90], v[89:90], v[97:98]
	v_add_f64 v[41:42], v[41:42], -v[95:96]
	v_fma_f64 v[89:90], v[91:92], v[125:126], v[89:90]
	v_add_f64 v[43:44], v[43:44], -v[89:90]
	ds_read2_b64 v[89:92], v0 offset0:88 offset1:89
	s_waitcnt lgkmcnt(0)
	v_mul_f64 v[95:96], v[91:92], v[97:98]
	v_fma_f64 v[95:96], v[89:90], v[125:126], -v[95:96]
	v_mul_f64 v[89:90], v[89:90], v[97:98]
	v_add_f64 v[37:38], v[37:38], -v[95:96]
	v_fma_f64 v[89:90], v[91:92], v[125:126], v[89:90]
	v_add_f64 v[39:40], v[39:40], -v[89:90]
	ds_read2_b64 v[89:92], v0 offset0:90 offset1:91
	s_waitcnt lgkmcnt(0)
	v_mul_f64 v[95:96], v[91:92], v[97:98]
	v_fma_f64 v[95:96], v[89:90], v[125:126], -v[95:96]
	v_mul_f64 v[89:90], v[89:90], v[97:98]
	v_add_f64 v[33:34], v[33:34], -v[95:96]
	v_fma_f64 v[89:90], v[91:92], v[125:126], v[89:90]
	v_add_f64 v[35:36], v[35:36], -v[89:90]
	ds_read2_b64 v[89:92], v0 offset0:92 offset1:93
	s_waitcnt lgkmcnt(0)
	v_mul_f64 v[95:96], v[91:92], v[97:98]
	v_fma_f64 v[95:96], v[89:90], v[125:126], -v[95:96]
	v_mul_f64 v[89:90], v[89:90], v[97:98]
	v_add_f64 v[29:30], v[29:30], -v[95:96]
	v_fma_f64 v[89:90], v[91:92], v[125:126], v[89:90]
	v_add_f64 v[31:32], v[31:32], -v[89:90]
	ds_read2_b64 v[89:92], v0 offset0:94 offset1:95
	s_waitcnt lgkmcnt(0)
	v_mul_f64 v[95:96], v[91:92], v[97:98]
	v_fma_f64 v[95:96], v[89:90], v[125:126], -v[95:96]
	v_mul_f64 v[89:90], v[89:90], v[97:98]
	v_add_f64 v[25:26], v[25:26], -v[95:96]
	v_fma_f64 v[89:90], v[91:92], v[125:126], v[89:90]
	v_add_f64 v[27:28], v[27:28], -v[89:90]
	ds_read2_b64 v[89:92], v0 offset0:96 offset1:97
	s_waitcnt lgkmcnt(0)
	v_mul_f64 v[95:96], v[91:92], v[97:98]
	v_fma_f64 v[95:96], v[89:90], v[125:126], -v[95:96]
	v_mul_f64 v[89:90], v[89:90], v[97:98]
	v_add_f64 v[21:22], v[21:22], -v[95:96]
	v_fma_f64 v[89:90], v[91:92], v[125:126], v[89:90]
	v_add_f64 v[23:24], v[23:24], -v[89:90]
	ds_read2_b64 v[89:92], v0 offset0:98 offset1:99
	s_waitcnt lgkmcnt(0)
	v_mul_f64 v[95:96], v[91:92], v[97:98]
	v_fma_f64 v[95:96], v[89:90], v[125:126], -v[95:96]
	v_mul_f64 v[89:90], v[89:90], v[97:98]
	v_add_f64 v[17:18], v[17:18], -v[95:96]
	v_fma_f64 v[89:90], v[91:92], v[125:126], v[89:90]
	v_add_f64 v[19:20], v[19:20], -v[89:90]
	ds_read2_b64 v[89:92], v0 offset0:100 offset1:101
	s_waitcnt lgkmcnt(0)
	v_mul_f64 v[95:96], v[91:92], v[97:98]
	v_fma_f64 v[95:96], v[89:90], v[125:126], -v[95:96]
	v_mul_f64 v[89:90], v[89:90], v[97:98]
	v_add_f64 v[13:14], v[13:14], -v[95:96]
	v_fma_f64 v[89:90], v[91:92], v[125:126], v[89:90]
	v_add_f64 v[15:16], v[15:16], -v[89:90]
	ds_read2_b64 v[89:92], v0 offset0:102 offset1:103
	s_waitcnt lgkmcnt(0)
	v_mul_f64 v[95:96], v[91:92], v[97:98]
	v_fma_f64 v[95:96], v[89:90], v[125:126], -v[95:96]
	v_mul_f64 v[89:90], v[89:90], v[97:98]
	v_add_f64 v[9:10], v[9:10], -v[95:96]
	v_fma_f64 v[89:90], v[91:92], v[125:126], v[89:90]
	v_add_f64 v[11:12], v[11:12], -v[89:90]
	ds_read2_b64 v[89:92], v0 offset0:104 offset1:105
	s_waitcnt lgkmcnt(0)
	v_mul_f64 v[95:96], v[91:92], v[97:98]
	v_fma_f64 v[95:96], v[89:90], v[125:126], -v[95:96]
	v_mul_f64 v[89:90], v[89:90], v[97:98]
	v_add_f64 v[5:6], v[5:6], -v[95:96]
	v_fma_f64 v[89:90], v[91:92], v[125:126], v[89:90]
	v_add_f64 v[7:8], v[7:8], -v[89:90]
	ds_read2_b64 v[89:92], v0 offset0:106 offset1:107
	s_waitcnt lgkmcnt(0)
	v_mul_f64 v[95:96], v[91:92], v[97:98]
	v_fma_f64 v[95:96], v[89:90], v[125:126], -v[95:96]
	v_mul_f64 v[89:90], v[89:90], v[97:98]
	v_add_f64 v[1:2], v[1:2], -v[95:96]
	v_fma_f64 v[89:90], v[91:92], v[125:126], v[89:90]
	v_add_f64 v[3:4], v[3:4], -v[89:90]
	ds_read2_b64 v[89:92], v0 offset0:108 offset1:109
	s_waitcnt lgkmcnt(0)
	v_mul_f64 v[95:96], v[91:92], v[97:98]
	v_fma_f64 v[95:96], v[89:90], v[125:126], -v[95:96]
	v_mul_f64 v[89:90], v[89:90], v[97:98]
	v_add_f64 v[121:122], v[121:122], -v[95:96]
	v_fma_f64 v[89:90], v[91:92], v[125:126], v[89:90]
	v_mov_b32_e32 v95, v125
	v_mov_b32_e32 v96, v126
	buffer_store_dword v95, off, s[24:27], 0 offset:256 ; 4-byte Folded Spill
	s_nop 0
	buffer_store_dword v96, off, s[24:27], 0 offset:260 ; 4-byte Folded Spill
	buffer_store_dword v97, off, s[24:27], 0 offset:264 ; 4-byte Folded Spill
	;; [unrolled: 1-line block ×3, first 2 shown]
	v_add_f64 v[123:124], v[123:124], -v[89:90]
.LBB108_314:
	s_or_b64 exec, exec, s[0:1]
	s_waitcnt vmcnt(0)
	s_barrier
	buffer_load_dword v73, off, s[24:27], 0 offset:240 ; 4-byte Folded Reload
	buffer_load_dword v74, off, s[24:27], 0 offset:244 ; 4-byte Folded Reload
	;; [unrolled: 1-line block ×4, first 2 shown]
	v_lshl_add_u32 v89, v93, 4, v0
	s_cmp_lt_i32 s3, 17
	s_waitcnt vmcnt(0)
	ds_write2_b64 v89, v[73:74], v[75:76] offset1:1
	s_waitcnt lgkmcnt(0)
	s_barrier
	ds_read2_b64 v[117:120], v0 offset0:30 offset1:31
	v_mov_b32_e32 v89, 15
	s_cbranch_scc1 .LBB108_317
; %bb.315:
	v_add_u32_e32 v90, 0x100, v0
	s_mov_b32 s0, 16
	v_mov_b32_e32 v89, 15
.LBB108_316:                            ; =>This Inner Loop Header: Depth=1
	s_waitcnt lgkmcnt(0)
	v_cmp_gt_f64_e32 vcc, 0, v[117:118]
	v_xor_b32_e32 v91, 0x80000000, v118
	ds_read2_b64 v[95:98], v90 offset1:1
	v_xor_b32_e32 v99, 0x80000000, v120
	v_add_u32_e32 v90, 16, v90
	s_waitcnt lgkmcnt(0)
	v_xor_b32_e32 v101, 0x80000000, v98
	v_cndmask_b32_e32 v92, v118, v91, vcc
	v_cmp_gt_f64_e32 vcc, 0, v[119:120]
	v_mov_b32_e32 v91, v117
	v_cndmask_b32_e32 v100, v120, v99, vcc
	v_cmp_gt_f64_e32 vcc, 0, v[95:96]
	v_mov_b32_e32 v99, v119
	v_add_f64 v[91:92], v[91:92], v[99:100]
	v_xor_b32_e32 v99, 0x80000000, v96
	v_cndmask_b32_e32 v100, v96, v99, vcc
	v_cmp_gt_f64_e32 vcc, 0, v[97:98]
	v_mov_b32_e32 v99, v95
	v_cndmask_b32_e32 v102, v98, v101, vcc
	v_mov_b32_e32 v101, v97
	v_add_f64 v[99:100], v[99:100], v[101:102]
	v_cmp_lt_f64_e32 vcc, v[91:92], v[99:100]
	v_mov_b32_e32 v91, s0
	s_add_i32 s0, s0, 1
	s_cmp_lg_u32 s3, s0
	v_cndmask_b32_e32 v118, v118, v96, vcc
	v_cndmask_b32_e32 v117, v117, v95, vcc
	;; [unrolled: 1-line block ×5, first 2 shown]
	s_cbranch_scc1 .LBB108_316
.LBB108_317:
	s_waitcnt lgkmcnt(0)
	v_cmp_eq_f64_e32 vcc, 0, v[117:118]
	v_cmp_eq_f64_e64 s[0:1], 0, v[119:120]
	s_and_b64 s[0:1], vcc, s[0:1]
	s_and_saveexec_b64 s[18:19], s[0:1]
	s_xor_b64 s[0:1], exec, s[18:19]
; %bb.318:
	v_cmp_ne_u32_e32 vcc, 0, v94
	v_cndmask_b32_e32 v94, 16, v94, vcc
; %bb.319:
	s_andn2_saveexec_b64 s[0:1], s[0:1]
	s_cbranch_execz .LBB108_325
; %bb.320:
	v_cmp_ngt_f64_e64 s[18:19], |v[117:118]|, |v[119:120]|
	s_and_saveexec_b64 s[20:21], s[18:19]
	s_xor_b64 s[18:19], exec, s[20:21]
	s_cbranch_execz .LBB108_322
; %bb.321:
	v_div_scale_f64 v[90:91], s[20:21], v[119:120], v[119:120], v[117:118]
	v_rcp_f64_e32 v[95:96], v[90:91]
	v_fma_f64 v[97:98], -v[90:91], v[95:96], 1.0
	v_fma_f64 v[95:96], v[95:96], v[97:98], v[95:96]
	v_div_scale_f64 v[97:98], vcc, v[117:118], v[119:120], v[117:118]
	v_fma_f64 v[99:100], -v[90:91], v[95:96], 1.0
	v_fma_f64 v[95:96], v[95:96], v[99:100], v[95:96]
	v_mul_f64 v[99:100], v[97:98], v[95:96]
	v_fma_f64 v[90:91], -v[90:91], v[99:100], v[97:98]
	v_div_fmas_f64 v[90:91], v[90:91], v[95:96], v[99:100]
	v_div_fixup_f64 v[90:91], v[90:91], v[119:120], v[117:118]
	v_fma_f64 v[95:96], v[117:118], v[90:91], v[119:120]
	v_div_scale_f64 v[97:98], s[20:21], v[95:96], v[95:96], 1.0
	v_div_scale_f64 v[103:104], vcc, 1.0, v[95:96], 1.0
	v_rcp_f64_e32 v[99:100], v[97:98]
	v_fma_f64 v[101:102], -v[97:98], v[99:100], 1.0
	v_fma_f64 v[99:100], v[99:100], v[101:102], v[99:100]
	v_fma_f64 v[101:102], -v[97:98], v[99:100], 1.0
	v_fma_f64 v[99:100], v[99:100], v[101:102], v[99:100]
	v_mul_f64 v[101:102], v[103:104], v[99:100]
	v_fma_f64 v[97:98], -v[97:98], v[101:102], v[103:104]
	v_div_fmas_f64 v[97:98], v[97:98], v[99:100], v[101:102]
	v_div_fixup_f64 v[119:120], v[97:98], v[95:96], 1.0
	v_mul_f64 v[117:118], v[90:91], v[119:120]
	v_xor_b32_e32 v120, 0x80000000, v120
.LBB108_322:
	s_andn2_saveexec_b64 s[18:19], s[18:19]
	s_cbranch_execz .LBB108_324
; %bb.323:
	v_div_scale_f64 v[90:91], s[20:21], v[117:118], v[117:118], v[119:120]
	v_rcp_f64_e32 v[95:96], v[90:91]
	v_fma_f64 v[97:98], -v[90:91], v[95:96], 1.0
	v_fma_f64 v[95:96], v[95:96], v[97:98], v[95:96]
	v_div_scale_f64 v[97:98], vcc, v[119:120], v[117:118], v[119:120]
	v_fma_f64 v[99:100], -v[90:91], v[95:96], 1.0
	v_fma_f64 v[95:96], v[95:96], v[99:100], v[95:96]
	v_mul_f64 v[99:100], v[97:98], v[95:96]
	v_fma_f64 v[90:91], -v[90:91], v[99:100], v[97:98]
	v_div_fmas_f64 v[90:91], v[90:91], v[95:96], v[99:100]
	v_div_fixup_f64 v[90:91], v[90:91], v[117:118], v[119:120]
	v_fma_f64 v[95:96], v[119:120], v[90:91], v[117:118]
	v_div_scale_f64 v[97:98], s[20:21], v[95:96], v[95:96], 1.0
	v_div_scale_f64 v[103:104], vcc, 1.0, v[95:96], 1.0
	v_rcp_f64_e32 v[99:100], v[97:98]
	v_fma_f64 v[101:102], -v[97:98], v[99:100], 1.0
	v_fma_f64 v[99:100], v[99:100], v[101:102], v[99:100]
	v_fma_f64 v[101:102], -v[97:98], v[99:100], 1.0
	v_fma_f64 v[99:100], v[99:100], v[101:102], v[99:100]
	v_mul_f64 v[101:102], v[103:104], v[99:100]
	v_fma_f64 v[97:98], -v[97:98], v[101:102], v[103:104]
	v_div_fmas_f64 v[97:98], v[97:98], v[99:100], v[101:102]
	v_div_fixup_f64 v[117:118], v[97:98], v[95:96], 1.0
	v_mul_f64 v[119:120], v[90:91], -v[117:118]
.LBB108_324:
	s_or_b64 exec, exec, s[18:19]
.LBB108_325:
	s_or_b64 exec, exec, s[0:1]
	v_cmp_ne_u32_e32 vcc, v93, v89
	s_and_saveexec_b64 s[0:1], vcc
	s_xor_b64 s[0:1], exec, s[0:1]
	s_cbranch_execz .LBB108_331
; %bb.326:
	v_cmp_eq_u32_e32 vcc, 15, v93
	s_and_saveexec_b64 s[18:19], vcc
	s_cbranch_execz .LBB108_330
; %bb.327:
	v_cmp_ne_u32_e32 vcc, 15, v89
	s_xor_b64 s[20:21], s[6:7], -1
	s_and_b64 s[22:23], s[20:21], vcc
	s_and_saveexec_b64 s[20:21], s[22:23]
	s_cbranch_execz .LBB108_329
; %bb.328:
	v_mov_b32_e32 v73, v81
	v_mov_b32_e32 v74, v82
	v_mov_b32_e32 v75, v83
	v_mov_b32_e32 v76, v84
	buffer_load_dword v81, off, s[24:27], 0 offset:452 ; 4-byte Folded Reload
	buffer_load_dword v82, off, s[24:27], 0 offset:456 ; 4-byte Folded Reload
	v_ashrrev_i32_e32 v90, 31, v89
	v_lshlrev_b64 v[90:91], 2, v[89:90]
	s_waitcnt vmcnt(1)
	v_add_co_u32_e32 v90, vcc, v81, v90
	s_waitcnt vmcnt(0)
	v_addc_co_u32_e32 v91, vcc, v82, v91, vcc
	global_load_dword v92, v[90:91], off
	global_load_dword v93, v[81:82], off offset:60
	s_waitcnt vmcnt(1)
	global_store_dword v[81:82], v92, off offset:60
	v_mov_b32_e32 v84, v76
	v_mov_b32_e32 v83, v75
	;; [unrolled: 1-line block ×4, first 2 shown]
	s_waitcnt vmcnt(1)
	global_store_dword v[90:91], v93, off
.LBB108_329:
	s_or_b64 exec, exec, s[20:21]
	v_mov_b32_e32 v93, v89
	v_mov_b32_e32 v73, v89
	buffer_store_dword v73, off, s[24:27], 0 offset:368 ; 4-byte Folded Spill
.LBB108_330:
	s_or_b64 exec, exec, s[18:19]
.LBB108_331:
	s_andn2_saveexec_b64 s[0:1], s[0:1]
	s_cbranch_execz .LBB108_333
; %bb.332:
	buffer_load_dword v73, off, s[24:27], 0 offset:224 ; 4-byte Folded Reload
	buffer_load_dword v74, off, s[24:27], 0 offset:228 ; 4-byte Folded Reload
	;; [unrolled: 1-line block ×4, first 2 shown]
	v_mov_b32_e32 v93, 15
	s_waitcnt vmcnt(0)
	ds_write2_b64 v0, v[73:74], v[75:76] offset0:32 offset1:33
	buffer_load_dword v73, off, s[24:27], 0 offset:208 ; 4-byte Folded Reload
	buffer_load_dword v74, off, s[24:27], 0 offset:212 ; 4-byte Folded Reload
	buffer_load_dword v75, off, s[24:27], 0 offset:216 ; 4-byte Folded Reload
	buffer_load_dword v76, off, s[24:27], 0 offset:220 ; 4-byte Folded Reload
	s_waitcnt vmcnt(0)
	ds_write2_b64 v0, v[73:74], v[75:76] offset0:34 offset1:35
	buffer_load_dword v73, off, s[24:27], 0 offset:192 ; 4-byte Folded Reload
	buffer_load_dword v74, off, s[24:27], 0 offset:196 ; 4-byte Folded Reload
	buffer_load_dword v75, off, s[24:27], 0 offset:200 ; 4-byte Folded Reload
	buffer_load_dword v76, off, s[24:27], 0 offset:204 ; 4-byte Folded Reload
	;; [unrolled: 6-line block ×13, first 2 shown]
	s_waitcnt vmcnt(0)
	ds_write2_b64 v0, v[73:74], v[75:76] offset0:58 offset1:59
	ds_write2_b64 v0, v[81:82], v[83:84] offset0:60 offset1:61
	;; [unrolled: 1-line block ×6, first 2 shown]
	buffer_load_dword v73, off, s[24:27], 0 ; 4-byte Folded Reload
	buffer_load_dword v74, off, s[24:27], 0 offset:4 ; 4-byte Folded Reload
	buffer_load_dword v75, off, s[24:27], 0 offset:8 ; 4-byte Folded Reload
	;; [unrolled: 1-line block ×3, first 2 shown]
	s_waitcnt vmcnt(0)
	ds_write2_b64 v0, v[73:74], v[75:76] offset0:70 offset1:71
	ds_write2_b64 v0, v[69:70], v[71:72] offset0:72 offset1:73
	ds_write2_b64 v0, v[65:66], v[67:68] offset0:74 offset1:75
	ds_write2_b64 v0, v[61:62], v[63:64] offset0:76 offset1:77
	ds_write2_b64 v0, v[57:58], v[59:60] offset0:78 offset1:79
	ds_write2_b64 v0, v[53:54], v[55:56] offset0:80 offset1:81
	ds_write2_b64 v0, v[49:50], v[51:52] offset0:82 offset1:83
	ds_write2_b64 v0, v[45:46], v[47:48] offset0:84 offset1:85
	ds_write2_b64 v0, v[41:42], v[43:44] offset0:86 offset1:87
	ds_write2_b64 v0, v[37:38], v[39:40] offset0:88 offset1:89
	ds_write2_b64 v0, v[33:34], v[35:36] offset0:90 offset1:91
	ds_write2_b64 v0, v[29:30], v[31:32] offset0:92 offset1:93
	ds_write2_b64 v0, v[25:26], v[27:28] offset0:94 offset1:95
	ds_write2_b64 v0, v[21:22], v[23:24] offset0:96 offset1:97
	ds_write2_b64 v0, v[17:18], v[19:20] offset0:98 offset1:99
	ds_write2_b64 v0, v[13:14], v[15:16] offset0:100 offset1:101
	ds_write2_b64 v0, v[9:10], v[11:12] offset0:102 offset1:103
	ds_write2_b64 v0, v[5:6], v[7:8] offset0:104 offset1:105
	ds_write2_b64 v0, v[1:2], v[3:4] offset0:106 offset1:107
	ds_write2_b64 v0, v[121:122], v[123:124] offset0:108 offset1:109
.LBB108_333:
	s_or_b64 exec, exec, s[0:1]
	v_cmp_lt_i32_e32 vcc, 15, v93
	s_waitcnt vmcnt(0) lgkmcnt(0)
	s_barrier
	s_and_saveexec_b64 s[0:1], vcc
	s_cbranch_execz .LBB108_335
; %bb.334:
	buffer_load_dword v95, off, s[24:27], 0 offset:240 ; 4-byte Folded Reload
	buffer_load_dword v96, off, s[24:27], 0 offset:244 ; 4-byte Folded Reload
	;; [unrolled: 1-line block ×4, first 2 shown]
	s_waitcnt vmcnt(0)
	v_mul_f64 v[89:90], v[119:120], v[97:98]
	v_fma_f64 v[125:126], v[117:118], v[95:96], -v[89:90]
	v_mul_f64 v[89:90], v[117:118], v[97:98]
	v_fma_f64 v[97:98], v[119:120], v[95:96], v[89:90]
	ds_read2_b64 v[89:92], v0 offset0:32 offset1:33
	buffer_load_dword v73, off, s[24:27], 0 offset:224 ; 4-byte Folded Reload
	buffer_load_dword v74, off, s[24:27], 0 offset:228 ; 4-byte Folded Reload
	buffer_load_dword v75, off, s[24:27], 0 offset:232 ; 4-byte Folded Reload
	buffer_load_dword v76, off, s[24:27], 0 offset:236 ; 4-byte Folded Reload
	s_waitcnt lgkmcnt(0)
	v_mul_f64 v[95:96], v[91:92], v[97:98]
	v_fma_f64 v[95:96], v[89:90], v[125:126], -v[95:96]
	v_mul_f64 v[89:90], v[89:90], v[97:98]
	v_fma_f64 v[89:90], v[91:92], v[125:126], v[89:90]
	s_waitcnt vmcnt(2)
	v_add_f64 v[73:74], v[73:74], -v[95:96]
	s_waitcnt vmcnt(0)
	v_add_f64 v[75:76], v[75:76], -v[89:90]
	buffer_store_dword v73, off, s[24:27], 0 offset:224 ; 4-byte Folded Spill
	s_nop 0
	buffer_store_dword v74, off, s[24:27], 0 offset:228 ; 4-byte Folded Spill
	buffer_store_dword v75, off, s[24:27], 0 offset:232 ; 4-byte Folded Spill
	buffer_store_dword v76, off, s[24:27], 0 offset:236 ; 4-byte Folded Spill
	ds_read2_b64 v[89:92], v0 offset0:34 offset1:35
	buffer_load_dword v73, off, s[24:27], 0 offset:208 ; 4-byte Folded Reload
	buffer_load_dword v74, off, s[24:27], 0 offset:212 ; 4-byte Folded Reload
	buffer_load_dword v75, off, s[24:27], 0 offset:216 ; 4-byte Folded Reload
	buffer_load_dword v76, off, s[24:27], 0 offset:220 ; 4-byte Folded Reload
	s_waitcnt lgkmcnt(0)
	v_mul_f64 v[95:96], v[91:92], v[97:98]
	v_fma_f64 v[95:96], v[89:90], v[125:126], -v[95:96]
	v_mul_f64 v[89:90], v[89:90], v[97:98]
	v_fma_f64 v[89:90], v[91:92], v[125:126], v[89:90]
	s_waitcnt vmcnt(2)
	v_add_f64 v[73:74], v[73:74], -v[95:96]
	s_waitcnt vmcnt(0)
	v_add_f64 v[75:76], v[75:76], -v[89:90]
	buffer_store_dword v73, off, s[24:27], 0 offset:208 ; 4-byte Folded Spill
	s_nop 0
	buffer_store_dword v74, off, s[24:27], 0 offset:212 ; 4-byte Folded Spill
	buffer_store_dword v75, off, s[24:27], 0 offset:216 ; 4-byte Folded Spill
	buffer_store_dword v76, off, s[24:27], 0 offset:220 ; 4-byte Folded Spill
	;; [unrolled: 19-line block ×14, first 2 shown]
	ds_read2_b64 v[89:92], v0 offset0:60 offset1:61
	s_waitcnt lgkmcnt(0)
	v_mul_f64 v[95:96], v[91:92], v[97:98]
	v_fma_f64 v[95:96], v[89:90], v[125:126], -v[95:96]
	v_mul_f64 v[89:90], v[89:90], v[97:98]
	v_add_f64 v[81:82], v[81:82], -v[95:96]
	v_fma_f64 v[89:90], v[91:92], v[125:126], v[89:90]
	v_add_f64 v[83:84], v[83:84], -v[89:90]
	ds_read2_b64 v[89:92], v0 offset0:62 offset1:63
	s_waitcnt lgkmcnt(0)
	v_mul_f64 v[95:96], v[91:92], v[97:98]
	v_fma_f64 v[95:96], v[89:90], v[125:126], -v[95:96]
	v_mul_f64 v[89:90], v[89:90], v[97:98]
	v_add_f64 v[85:86], v[85:86], -v[95:96]
	v_fma_f64 v[89:90], v[91:92], v[125:126], v[89:90]
	v_add_f64 v[87:88], v[87:88], -v[89:90]
	;; [unrolled: 8-line block ×5, first 2 shown]
	ds_read2_b64 v[89:92], v0 offset0:70 offset1:71
	buffer_load_dword v73, off, s[24:27], 0 ; 4-byte Folded Reload
	buffer_load_dword v74, off, s[24:27], 0 offset:4 ; 4-byte Folded Reload
	buffer_load_dword v75, off, s[24:27], 0 offset:8 ; 4-byte Folded Reload
	;; [unrolled: 1-line block ×3, first 2 shown]
	s_waitcnt lgkmcnt(0)
	v_mul_f64 v[95:96], v[91:92], v[97:98]
	v_fma_f64 v[95:96], v[89:90], v[125:126], -v[95:96]
	v_mul_f64 v[89:90], v[89:90], v[97:98]
	v_fma_f64 v[89:90], v[91:92], v[125:126], v[89:90]
	s_waitcnt vmcnt(2)
	v_add_f64 v[73:74], v[73:74], -v[95:96]
	s_waitcnt vmcnt(0)
	v_add_f64 v[75:76], v[75:76], -v[89:90]
	buffer_store_dword v73, off, s[24:27], 0 ; 4-byte Folded Spill
	s_nop 0
	buffer_store_dword v74, off, s[24:27], 0 offset:4 ; 4-byte Folded Spill
	buffer_store_dword v75, off, s[24:27], 0 offset:8 ; 4-byte Folded Spill
	;; [unrolled: 1-line block ×3, first 2 shown]
	ds_read2_b64 v[89:92], v0 offset0:72 offset1:73
	s_waitcnt lgkmcnt(0)
	v_mul_f64 v[95:96], v[91:92], v[97:98]
	v_fma_f64 v[95:96], v[89:90], v[125:126], -v[95:96]
	v_mul_f64 v[89:90], v[89:90], v[97:98]
	v_add_f64 v[69:70], v[69:70], -v[95:96]
	v_fma_f64 v[89:90], v[91:92], v[125:126], v[89:90]
	v_add_f64 v[71:72], v[71:72], -v[89:90]
	ds_read2_b64 v[89:92], v0 offset0:74 offset1:75
	s_waitcnt lgkmcnt(0)
	v_mul_f64 v[95:96], v[91:92], v[97:98]
	v_fma_f64 v[95:96], v[89:90], v[125:126], -v[95:96]
	v_mul_f64 v[89:90], v[89:90], v[97:98]
	v_add_f64 v[65:66], v[65:66], -v[95:96]
	v_fma_f64 v[89:90], v[91:92], v[125:126], v[89:90]
	v_add_f64 v[67:68], v[67:68], -v[89:90]
	;; [unrolled: 8-line block ×18, first 2 shown]
	ds_read2_b64 v[89:92], v0 offset0:108 offset1:109
	s_waitcnt lgkmcnt(0)
	v_mul_f64 v[95:96], v[91:92], v[97:98]
	v_fma_f64 v[95:96], v[89:90], v[125:126], -v[95:96]
	v_mul_f64 v[89:90], v[89:90], v[97:98]
	v_add_f64 v[121:122], v[121:122], -v[95:96]
	v_fma_f64 v[89:90], v[91:92], v[125:126], v[89:90]
	v_mov_b32_e32 v95, v125
	v_mov_b32_e32 v96, v126
	buffer_store_dword v95, off, s[24:27], 0 offset:240 ; 4-byte Folded Spill
	s_nop 0
	buffer_store_dword v96, off, s[24:27], 0 offset:244 ; 4-byte Folded Spill
	buffer_store_dword v97, off, s[24:27], 0 offset:248 ; 4-byte Folded Spill
	;; [unrolled: 1-line block ×3, first 2 shown]
	v_add_f64 v[123:124], v[123:124], -v[89:90]
.LBB108_335:
	s_or_b64 exec, exec, s[0:1]
	s_waitcnt vmcnt(0)
	s_barrier
	buffer_load_dword v73, off, s[24:27], 0 offset:224 ; 4-byte Folded Reload
	buffer_load_dword v74, off, s[24:27], 0 offset:228 ; 4-byte Folded Reload
	;; [unrolled: 1-line block ×4, first 2 shown]
	v_lshl_add_u32 v89, v93, 4, v0
	s_cmp_lt_i32 s3, 18
	s_waitcnt vmcnt(0)
	ds_write2_b64 v89, v[73:74], v[75:76] offset1:1
	s_waitcnt lgkmcnt(0)
	s_barrier
	ds_read2_b64 v[117:120], v0 offset0:32 offset1:33
	v_mov_b32_e32 v89, 16
	s_cbranch_scc1 .LBB108_338
; %bb.336:
	v_add_u32_e32 v90, 0x110, v0
	s_mov_b32 s0, 17
	v_mov_b32_e32 v89, 16
.LBB108_337:                            ; =>This Inner Loop Header: Depth=1
	s_waitcnt lgkmcnt(0)
	v_cmp_gt_f64_e32 vcc, 0, v[117:118]
	v_xor_b32_e32 v91, 0x80000000, v118
	ds_read2_b64 v[95:98], v90 offset1:1
	v_xor_b32_e32 v99, 0x80000000, v120
	v_add_u32_e32 v90, 16, v90
	s_waitcnt lgkmcnt(0)
	v_xor_b32_e32 v101, 0x80000000, v98
	v_cndmask_b32_e32 v92, v118, v91, vcc
	v_cmp_gt_f64_e32 vcc, 0, v[119:120]
	v_mov_b32_e32 v91, v117
	v_cndmask_b32_e32 v100, v120, v99, vcc
	v_cmp_gt_f64_e32 vcc, 0, v[95:96]
	v_mov_b32_e32 v99, v119
	v_add_f64 v[91:92], v[91:92], v[99:100]
	v_xor_b32_e32 v99, 0x80000000, v96
	v_cndmask_b32_e32 v100, v96, v99, vcc
	v_cmp_gt_f64_e32 vcc, 0, v[97:98]
	v_mov_b32_e32 v99, v95
	v_cndmask_b32_e32 v102, v98, v101, vcc
	v_mov_b32_e32 v101, v97
	v_add_f64 v[99:100], v[99:100], v[101:102]
	v_cmp_lt_f64_e32 vcc, v[91:92], v[99:100]
	v_mov_b32_e32 v91, s0
	s_add_i32 s0, s0, 1
	s_cmp_lg_u32 s3, s0
	v_cndmask_b32_e32 v118, v118, v96, vcc
	v_cndmask_b32_e32 v117, v117, v95, vcc
	;; [unrolled: 1-line block ×5, first 2 shown]
	s_cbranch_scc1 .LBB108_337
.LBB108_338:
	s_waitcnt lgkmcnt(0)
	v_cmp_eq_f64_e32 vcc, 0, v[117:118]
	v_cmp_eq_f64_e64 s[0:1], 0, v[119:120]
	s_and_b64 s[0:1], vcc, s[0:1]
	s_and_saveexec_b64 s[18:19], s[0:1]
	s_xor_b64 s[0:1], exec, s[18:19]
; %bb.339:
	v_cmp_ne_u32_e32 vcc, 0, v94
	v_cndmask_b32_e32 v94, 17, v94, vcc
; %bb.340:
	s_andn2_saveexec_b64 s[0:1], s[0:1]
	s_cbranch_execz .LBB108_346
; %bb.341:
	v_cmp_ngt_f64_e64 s[18:19], |v[117:118]|, |v[119:120]|
	s_and_saveexec_b64 s[20:21], s[18:19]
	s_xor_b64 s[18:19], exec, s[20:21]
	s_cbranch_execz .LBB108_343
; %bb.342:
	v_div_scale_f64 v[90:91], s[20:21], v[119:120], v[119:120], v[117:118]
	v_rcp_f64_e32 v[95:96], v[90:91]
	v_fma_f64 v[97:98], -v[90:91], v[95:96], 1.0
	v_fma_f64 v[95:96], v[95:96], v[97:98], v[95:96]
	v_div_scale_f64 v[97:98], vcc, v[117:118], v[119:120], v[117:118]
	v_fma_f64 v[99:100], -v[90:91], v[95:96], 1.0
	v_fma_f64 v[95:96], v[95:96], v[99:100], v[95:96]
	v_mul_f64 v[99:100], v[97:98], v[95:96]
	v_fma_f64 v[90:91], -v[90:91], v[99:100], v[97:98]
	v_div_fmas_f64 v[90:91], v[90:91], v[95:96], v[99:100]
	v_div_fixup_f64 v[90:91], v[90:91], v[119:120], v[117:118]
	v_fma_f64 v[95:96], v[117:118], v[90:91], v[119:120]
	v_div_scale_f64 v[97:98], s[20:21], v[95:96], v[95:96], 1.0
	v_div_scale_f64 v[103:104], vcc, 1.0, v[95:96], 1.0
	v_rcp_f64_e32 v[99:100], v[97:98]
	v_fma_f64 v[101:102], -v[97:98], v[99:100], 1.0
	v_fma_f64 v[99:100], v[99:100], v[101:102], v[99:100]
	v_fma_f64 v[101:102], -v[97:98], v[99:100], 1.0
	v_fma_f64 v[99:100], v[99:100], v[101:102], v[99:100]
	v_mul_f64 v[101:102], v[103:104], v[99:100]
	v_fma_f64 v[97:98], -v[97:98], v[101:102], v[103:104]
	v_div_fmas_f64 v[97:98], v[97:98], v[99:100], v[101:102]
	v_div_fixup_f64 v[119:120], v[97:98], v[95:96], 1.0
	v_mul_f64 v[117:118], v[90:91], v[119:120]
	v_xor_b32_e32 v120, 0x80000000, v120
.LBB108_343:
	s_andn2_saveexec_b64 s[18:19], s[18:19]
	s_cbranch_execz .LBB108_345
; %bb.344:
	v_div_scale_f64 v[90:91], s[20:21], v[117:118], v[117:118], v[119:120]
	v_rcp_f64_e32 v[95:96], v[90:91]
	v_fma_f64 v[97:98], -v[90:91], v[95:96], 1.0
	v_fma_f64 v[95:96], v[95:96], v[97:98], v[95:96]
	v_div_scale_f64 v[97:98], vcc, v[119:120], v[117:118], v[119:120]
	v_fma_f64 v[99:100], -v[90:91], v[95:96], 1.0
	v_fma_f64 v[95:96], v[95:96], v[99:100], v[95:96]
	v_mul_f64 v[99:100], v[97:98], v[95:96]
	v_fma_f64 v[90:91], -v[90:91], v[99:100], v[97:98]
	v_div_fmas_f64 v[90:91], v[90:91], v[95:96], v[99:100]
	v_div_fixup_f64 v[90:91], v[90:91], v[117:118], v[119:120]
	v_fma_f64 v[95:96], v[119:120], v[90:91], v[117:118]
	v_div_scale_f64 v[97:98], s[20:21], v[95:96], v[95:96], 1.0
	v_div_scale_f64 v[103:104], vcc, 1.0, v[95:96], 1.0
	v_rcp_f64_e32 v[99:100], v[97:98]
	v_fma_f64 v[101:102], -v[97:98], v[99:100], 1.0
	v_fma_f64 v[99:100], v[99:100], v[101:102], v[99:100]
	v_fma_f64 v[101:102], -v[97:98], v[99:100], 1.0
	v_fma_f64 v[99:100], v[99:100], v[101:102], v[99:100]
	v_mul_f64 v[101:102], v[103:104], v[99:100]
	v_fma_f64 v[97:98], -v[97:98], v[101:102], v[103:104]
	v_div_fmas_f64 v[97:98], v[97:98], v[99:100], v[101:102]
	v_div_fixup_f64 v[117:118], v[97:98], v[95:96], 1.0
	v_mul_f64 v[119:120], v[90:91], -v[117:118]
.LBB108_345:
	s_or_b64 exec, exec, s[18:19]
.LBB108_346:
	s_or_b64 exec, exec, s[0:1]
	v_cmp_ne_u32_e32 vcc, v93, v89
	s_and_saveexec_b64 s[0:1], vcc
	s_xor_b64 s[0:1], exec, s[0:1]
	s_cbranch_execz .LBB108_352
; %bb.347:
	v_cmp_eq_u32_e32 vcc, 16, v93
	s_and_saveexec_b64 s[18:19], vcc
	s_cbranch_execz .LBB108_351
; %bb.348:
	v_cmp_ne_u32_e32 vcc, 16, v89
	s_xor_b64 s[20:21], s[6:7], -1
	s_and_b64 s[22:23], s[20:21], vcc
	s_and_saveexec_b64 s[20:21], s[22:23]
	s_cbranch_execz .LBB108_350
; %bb.349:
	v_mov_b32_e32 v73, v81
	v_mov_b32_e32 v74, v82
	;; [unrolled: 1-line block ×4, first 2 shown]
	buffer_load_dword v81, off, s[24:27], 0 offset:452 ; 4-byte Folded Reload
	buffer_load_dword v82, off, s[24:27], 0 offset:456 ; 4-byte Folded Reload
	v_ashrrev_i32_e32 v90, 31, v89
	v_lshlrev_b64 v[90:91], 2, v[89:90]
	s_waitcnt vmcnt(1)
	v_add_co_u32_e32 v90, vcc, v81, v90
	s_waitcnt vmcnt(0)
	v_addc_co_u32_e32 v91, vcc, v82, v91, vcc
	global_load_dword v92, v[90:91], off
	global_load_dword v93, v[81:82], off offset:64
	s_waitcnt vmcnt(1)
	global_store_dword v[81:82], v92, off offset:64
	v_mov_b32_e32 v84, v76
	v_mov_b32_e32 v83, v75
	;; [unrolled: 1-line block ×4, first 2 shown]
	s_waitcnt vmcnt(1)
	global_store_dword v[90:91], v93, off
.LBB108_350:
	s_or_b64 exec, exec, s[20:21]
	v_mov_b32_e32 v93, v89
	v_mov_b32_e32 v73, v89
	buffer_store_dword v73, off, s[24:27], 0 offset:368 ; 4-byte Folded Spill
.LBB108_351:
	s_or_b64 exec, exec, s[18:19]
.LBB108_352:
	s_andn2_saveexec_b64 s[0:1], s[0:1]
	s_cbranch_execz .LBB108_354
; %bb.353:
	buffer_load_dword v73, off, s[24:27], 0 offset:208 ; 4-byte Folded Reload
	buffer_load_dword v74, off, s[24:27], 0 offset:212 ; 4-byte Folded Reload
	;; [unrolled: 1-line block ×4, first 2 shown]
	v_mov_b32_e32 v93, 16
	s_waitcnt vmcnt(0)
	ds_write2_b64 v0, v[73:74], v[75:76] offset0:34 offset1:35
	buffer_load_dword v73, off, s[24:27], 0 offset:192 ; 4-byte Folded Reload
	buffer_load_dword v74, off, s[24:27], 0 offset:196 ; 4-byte Folded Reload
	buffer_load_dword v75, off, s[24:27], 0 offset:200 ; 4-byte Folded Reload
	buffer_load_dword v76, off, s[24:27], 0 offset:204 ; 4-byte Folded Reload
	s_waitcnt vmcnt(0)
	ds_write2_b64 v0, v[73:74], v[75:76] offset0:36 offset1:37
	buffer_load_dword v73, off, s[24:27], 0 offset:176 ; 4-byte Folded Reload
	buffer_load_dword v74, off, s[24:27], 0 offset:180 ; 4-byte Folded Reload
	buffer_load_dword v75, off, s[24:27], 0 offset:184 ; 4-byte Folded Reload
	buffer_load_dword v76, off, s[24:27], 0 offset:188 ; 4-byte Folded Reload
	;; [unrolled: 6-line block ×12, first 2 shown]
	s_waitcnt vmcnt(0)
	ds_write2_b64 v0, v[73:74], v[75:76] offset0:58 offset1:59
	ds_write2_b64 v0, v[81:82], v[83:84] offset0:60 offset1:61
	;; [unrolled: 1-line block ×6, first 2 shown]
	buffer_load_dword v73, off, s[24:27], 0 ; 4-byte Folded Reload
	buffer_load_dword v74, off, s[24:27], 0 offset:4 ; 4-byte Folded Reload
	buffer_load_dword v75, off, s[24:27], 0 offset:8 ; 4-byte Folded Reload
	;; [unrolled: 1-line block ×3, first 2 shown]
	s_waitcnt vmcnt(0)
	ds_write2_b64 v0, v[73:74], v[75:76] offset0:70 offset1:71
	ds_write2_b64 v0, v[69:70], v[71:72] offset0:72 offset1:73
	;; [unrolled: 1-line block ×20, first 2 shown]
.LBB108_354:
	s_or_b64 exec, exec, s[0:1]
	v_cmp_lt_i32_e32 vcc, 16, v93
	s_waitcnt vmcnt(0) lgkmcnt(0)
	s_barrier
	s_and_saveexec_b64 s[0:1], vcc
	s_cbranch_execz .LBB108_356
; %bb.355:
	buffer_load_dword v95, off, s[24:27], 0 offset:224 ; 4-byte Folded Reload
	buffer_load_dword v96, off, s[24:27], 0 offset:228 ; 4-byte Folded Reload
	buffer_load_dword v97, off, s[24:27], 0 offset:232 ; 4-byte Folded Reload
	buffer_load_dword v98, off, s[24:27], 0 offset:236 ; 4-byte Folded Reload
	s_waitcnt vmcnt(0)
	v_mul_f64 v[89:90], v[119:120], v[97:98]
	v_fma_f64 v[125:126], v[117:118], v[95:96], -v[89:90]
	v_mul_f64 v[89:90], v[117:118], v[97:98]
	v_fma_f64 v[97:98], v[119:120], v[95:96], v[89:90]
	ds_read2_b64 v[89:92], v0 offset0:34 offset1:35
	buffer_load_dword v73, off, s[24:27], 0 offset:208 ; 4-byte Folded Reload
	buffer_load_dword v74, off, s[24:27], 0 offset:212 ; 4-byte Folded Reload
	buffer_load_dword v75, off, s[24:27], 0 offset:216 ; 4-byte Folded Reload
	buffer_load_dword v76, off, s[24:27], 0 offset:220 ; 4-byte Folded Reload
	s_waitcnt lgkmcnt(0)
	v_mul_f64 v[95:96], v[91:92], v[97:98]
	v_fma_f64 v[95:96], v[89:90], v[125:126], -v[95:96]
	v_mul_f64 v[89:90], v[89:90], v[97:98]
	v_fma_f64 v[89:90], v[91:92], v[125:126], v[89:90]
	s_waitcnt vmcnt(2)
	v_add_f64 v[73:74], v[73:74], -v[95:96]
	s_waitcnt vmcnt(0)
	v_add_f64 v[75:76], v[75:76], -v[89:90]
	buffer_store_dword v73, off, s[24:27], 0 offset:208 ; 4-byte Folded Spill
	s_nop 0
	buffer_store_dword v74, off, s[24:27], 0 offset:212 ; 4-byte Folded Spill
	buffer_store_dword v75, off, s[24:27], 0 offset:216 ; 4-byte Folded Spill
	buffer_store_dword v76, off, s[24:27], 0 offset:220 ; 4-byte Folded Spill
	ds_read2_b64 v[89:92], v0 offset0:36 offset1:37
	buffer_load_dword v73, off, s[24:27], 0 offset:192 ; 4-byte Folded Reload
	buffer_load_dword v74, off, s[24:27], 0 offset:196 ; 4-byte Folded Reload
	buffer_load_dword v75, off, s[24:27], 0 offset:200 ; 4-byte Folded Reload
	buffer_load_dword v76, off, s[24:27], 0 offset:204 ; 4-byte Folded Reload
	s_waitcnt lgkmcnt(0)
	v_mul_f64 v[95:96], v[91:92], v[97:98]
	v_fma_f64 v[95:96], v[89:90], v[125:126], -v[95:96]
	v_mul_f64 v[89:90], v[89:90], v[97:98]
	v_fma_f64 v[89:90], v[91:92], v[125:126], v[89:90]
	s_waitcnt vmcnt(2)
	v_add_f64 v[73:74], v[73:74], -v[95:96]
	s_waitcnt vmcnt(0)
	v_add_f64 v[75:76], v[75:76], -v[89:90]
	buffer_store_dword v73, off, s[24:27], 0 offset:192 ; 4-byte Folded Spill
	s_nop 0
	buffer_store_dword v74, off, s[24:27], 0 offset:196 ; 4-byte Folded Spill
	buffer_store_dword v75, off, s[24:27], 0 offset:200 ; 4-byte Folded Spill
	buffer_store_dword v76, off, s[24:27], 0 offset:204 ; 4-byte Folded Spill
	;; [unrolled: 19-line block ×13, first 2 shown]
	ds_read2_b64 v[89:92], v0 offset0:60 offset1:61
	s_waitcnt lgkmcnt(0)
	v_mul_f64 v[95:96], v[91:92], v[97:98]
	v_fma_f64 v[95:96], v[89:90], v[125:126], -v[95:96]
	v_mul_f64 v[89:90], v[89:90], v[97:98]
	v_add_f64 v[81:82], v[81:82], -v[95:96]
	v_fma_f64 v[89:90], v[91:92], v[125:126], v[89:90]
	v_add_f64 v[83:84], v[83:84], -v[89:90]
	ds_read2_b64 v[89:92], v0 offset0:62 offset1:63
	s_waitcnt lgkmcnt(0)
	v_mul_f64 v[95:96], v[91:92], v[97:98]
	v_fma_f64 v[95:96], v[89:90], v[125:126], -v[95:96]
	v_mul_f64 v[89:90], v[89:90], v[97:98]
	v_add_f64 v[85:86], v[85:86], -v[95:96]
	v_fma_f64 v[89:90], v[91:92], v[125:126], v[89:90]
	v_add_f64 v[87:88], v[87:88], -v[89:90]
	;; [unrolled: 8-line block ×5, first 2 shown]
	ds_read2_b64 v[89:92], v0 offset0:70 offset1:71
	buffer_load_dword v73, off, s[24:27], 0 ; 4-byte Folded Reload
	buffer_load_dword v74, off, s[24:27], 0 offset:4 ; 4-byte Folded Reload
	buffer_load_dword v75, off, s[24:27], 0 offset:8 ; 4-byte Folded Reload
	;; [unrolled: 1-line block ×3, first 2 shown]
	s_waitcnt lgkmcnt(0)
	v_mul_f64 v[95:96], v[91:92], v[97:98]
	v_fma_f64 v[95:96], v[89:90], v[125:126], -v[95:96]
	v_mul_f64 v[89:90], v[89:90], v[97:98]
	v_fma_f64 v[89:90], v[91:92], v[125:126], v[89:90]
	s_waitcnt vmcnt(2)
	v_add_f64 v[73:74], v[73:74], -v[95:96]
	s_waitcnt vmcnt(0)
	v_add_f64 v[75:76], v[75:76], -v[89:90]
	buffer_store_dword v73, off, s[24:27], 0 ; 4-byte Folded Spill
	s_nop 0
	buffer_store_dword v74, off, s[24:27], 0 offset:4 ; 4-byte Folded Spill
	buffer_store_dword v75, off, s[24:27], 0 offset:8 ; 4-byte Folded Spill
	;; [unrolled: 1-line block ×3, first 2 shown]
	ds_read2_b64 v[89:92], v0 offset0:72 offset1:73
	s_waitcnt lgkmcnt(0)
	v_mul_f64 v[95:96], v[91:92], v[97:98]
	v_fma_f64 v[95:96], v[89:90], v[125:126], -v[95:96]
	v_mul_f64 v[89:90], v[89:90], v[97:98]
	v_add_f64 v[69:70], v[69:70], -v[95:96]
	v_fma_f64 v[89:90], v[91:92], v[125:126], v[89:90]
	v_add_f64 v[71:72], v[71:72], -v[89:90]
	ds_read2_b64 v[89:92], v0 offset0:74 offset1:75
	s_waitcnt lgkmcnt(0)
	v_mul_f64 v[95:96], v[91:92], v[97:98]
	v_fma_f64 v[95:96], v[89:90], v[125:126], -v[95:96]
	v_mul_f64 v[89:90], v[89:90], v[97:98]
	v_add_f64 v[65:66], v[65:66], -v[95:96]
	v_fma_f64 v[89:90], v[91:92], v[125:126], v[89:90]
	v_add_f64 v[67:68], v[67:68], -v[89:90]
	;; [unrolled: 8-line block ×18, first 2 shown]
	ds_read2_b64 v[89:92], v0 offset0:108 offset1:109
	s_waitcnt lgkmcnt(0)
	v_mul_f64 v[95:96], v[91:92], v[97:98]
	v_fma_f64 v[95:96], v[89:90], v[125:126], -v[95:96]
	v_mul_f64 v[89:90], v[89:90], v[97:98]
	v_add_f64 v[121:122], v[121:122], -v[95:96]
	v_fma_f64 v[89:90], v[91:92], v[125:126], v[89:90]
	v_mov_b32_e32 v95, v125
	v_mov_b32_e32 v96, v126
	buffer_store_dword v95, off, s[24:27], 0 offset:224 ; 4-byte Folded Spill
	s_nop 0
	buffer_store_dword v96, off, s[24:27], 0 offset:228 ; 4-byte Folded Spill
	buffer_store_dword v97, off, s[24:27], 0 offset:232 ; 4-byte Folded Spill
	;; [unrolled: 1-line block ×3, first 2 shown]
	v_add_f64 v[123:124], v[123:124], -v[89:90]
.LBB108_356:
	s_or_b64 exec, exec, s[0:1]
	s_waitcnt vmcnt(0)
	s_barrier
	buffer_load_dword v73, off, s[24:27], 0 offset:208 ; 4-byte Folded Reload
	buffer_load_dword v74, off, s[24:27], 0 offset:212 ; 4-byte Folded Reload
	;; [unrolled: 1-line block ×4, first 2 shown]
	v_lshl_add_u32 v89, v93, 4, v0
	s_cmp_lt_i32 s3, 19
	s_waitcnt vmcnt(0)
	ds_write2_b64 v89, v[73:74], v[75:76] offset1:1
	s_waitcnt lgkmcnt(0)
	s_barrier
	ds_read2_b64 v[117:120], v0 offset0:34 offset1:35
	v_mov_b32_e32 v89, 17
	s_cbranch_scc1 .LBB108_359
; %bb.357:
	v_add_u32_e32 v90, 0x120, v0
	s_mov_b32 s0, 18
	v_mov_b32_e32 v89, 17
.LBB108_358:                            ; =>This Inner Loop Header: Depth=1
	s_waitcnt lgkmcnt(0)
	v_cmp_gt_f64_e32 vcc, 0, v[117:118]
	v_xor_b32_e32 v91, 0x80000000, v118
	ds_read2_b64 v[95:98], v90 offset1:1
	v_xor_b32_e32 v99, 0x80000000, v120
	v_add_u32_e32 v90, 16, v90
	s_waitcnt lgkmcnt(0)
	v_xor_b32_e32 v101, 0x80000000, v98
	v_cndmask_b32_e32 v92, v118, v91, vcc
	v_cmp_gt_f64_e32 vcc, 0, v[119:120]
	v_mov_b32_e32 v91, v117
	v_cndmask_b32_e32 v100, v120, v99, vcc
	v_cmp_gt_f64_e32 vcc, 0, v[95:96]
	v_mov_b32_e32 v99, v119
	v_add_f64 v[91:92], v[91:92], v[99:100]
	v_xor_b32_e32 v99, 0x80000000, v96
	v_cndmask_b32_e32 v100, v96, v99, vcc
	v_cmp_gt_f64_e32 vcc, 0, v[97:98]
	v_mov_b32_e32 v99, v95
	v_cndmask_b32_e32 v102, v98, v101, vcc
	v_mov_b32_e32 v101, v97
	v_add_f64 v[99:100], v[99:100], v[101:102]
	v_cmp_lt_f64_e32 vcc, v[91:92], v[99:100]
	v_mov_b32_e32 v91, s0
	s_add_i32 s0, s0, 1
	s_cmp_lg_u32 s3, s0
	v_cndmask_b32_e32 v118, v118, v96, vcc
	v_cndmask_b32_e32 v117, v117, v95, vcc
	;; [unrolled: 1-line block ×5, first 2 shown]
	s_cbranch_scc1 .LBB108_358
.LBB108_359:
	s_waitcnt lgkmcnt(0)
	v_cmp_eq_f64_e32 vcc, 0, v[117:118]
	v_cmp_eq_f64_e64 s[0:1], 0, v[119:120]
	s_and_b64 s[0:1], vcc, s[0:1]
	s_and_saveexec_b64 s[18:19], s[0:1]
	s_xor_b64 s[0:1], exec, s[18:19]
; %bb.360:
	v_cmp_ne_u32_e32 vcc, 0, v94
	v_cndmask_b32_e32 v94, 18, v94, vcc
; %bb.361:
	s_andn2_saveexec_b64 s[0:1], s[0:1]
	s_cbranch_execz .LBB108_367
; %bb.362:
	v_cmp_ngt_f64_e64 s[18:19], |v[117:118]|, |v[119:120]|
	s_and_saveexec_b64 s[20:21], s[18:19]
	s_xor_b64 s[18:19], exec, s[20:21]
	s_cbranch_execz .LBB108_364
; %bb.363:
	v_div_scale_f64 v[90:91], s[20:21], v[119:120], v[119:120], v[117:118]
	v_rcp_f64_e32 v[95:96], v[90:91]
	v_fma_f64 v[97:98], -v[90:91], v[95:96], 1.0
	v_fma_f64 v[95:96], v[95:96], v[97:98], v[95:96]
	v_div_scale_f64 v[97:98], vcc, v[117:118], v[119:120], v[117:118]
	v_fma_f64 v[99:100], -v[90:91], v[95:96], 1.0
	v_fma_f64 v[95:96], v[95:96], v[99:100], v[95:96]
	v_mul_f64 v[99:100], v[97:98], v[95:96]
	v_fma_f64 v[90:91], -v[90:91], v[99:100], v[97:98]
	v_div_fmas_f64 v[90:91], v[90:91], v[95:96], v[99:100]
	v_div_fixup_f64 v[90:91], v[90:91], v[119:120], v[117:118]
	v_fma_f64 v[95:96], v[117:118], v[90:91], v[119:120]
	v_div_scale_f64 v[97:98], s[20:21], v[95:96], v[95:96], 1.0
	v_div_scale_f64 v[103:104], vcc, 1.0, v[95:96], 1.0
	v_rcp_f64_e32 v[99:100], v[97:98]
	v_fma_f64 v[101:102], -v[97:98], v[99:100], 1.0
	v_fma_f64 v[99:100], v[99:100], v[101:102], v[99:100]
	v_fma_f64 v[101:102], -v[97:98], v[99:100], 1.0
	v_fma_f64 v[99:100], v[99:100], v[101:102], v[99:100]
	v_mul_f64 v[101:102], v[103:104], v[99:100]
	v_fma_f64 v[97:98], -v[97:98], v[101:102], v[103:104]
	v_div_fmas_f64 v[97:98], v[97:98], v[99:100], v[101:102]
	v_div_fixup_f64 v[119:120], v[97:98], v[95:96], 1.0
	v_mul_f64 v[117:118], v[90:91], v[119:120]
	v_xor_b32_e32 v120, 0x80000000, v120
.LBB108_364:
	s_andn2_saveexec_b64 s[18:19], s[18:19]
	s_cbranch_execz .LBB108_366
; %bb.365:
	v_div_scale_f64 v[90:91], s[20:21], v[117:118], v[117:118], v[119:120]
	v_rcp_f64_e32 v[95:96], v[90:91]
	v_fma_f64 v[97:98], -v[90:91], v[95:96], 1.0
	v_fma_f64 v[95:96], v[95:96], v[97:98], v[95:96]
	v_div_scale_f64 v[97:98], vcc, v[119:120], v[117:118], v[119:120]
	v_fma_f64 v[99:100], -v[90:91], v[95:96], 1.0
	v_fma_f64 v[95:96], v[95:96], v[99:100], v[95:96]
	v_mul_f64 v[99:100], v[97:98], v[95:96]
	v_fma_f64 v[90:91], -v[90:91], v[99:100], v[97:98]
	v_div_fmas_f64 v[90:91], v[90:91], v[95:96], v[99:100]
	v_div_fixup_f64 v[90:91], v[90:91], v[117:118], v[119:120]
	v_fma_f64 v[95:96], v[119:120], v[90:91], v[117:118]
	v_div_scale_f64 v[97:98], s[20:21], v[95:96], v[95:96], 1.0
	v_div_scale_f64 v[103:104], vcc, 1.0, v[95:96], 1.0
	v_rcp_f64_e32 v[99:100], v[97:98]
	v_fma_f64 v[101:102], -v[97:98], v[99:100], 1.0
	v_fma_f64 v[99:100], v[99:100], v[101:102], v[99:100]
	v_fma_f64 v[101:102], -v[97:98], v[99:100], 1.0
	v_fma_f64 v[99:100], v[99:100], v[101:102], v[99:100]
	v_mul_f64 v[101:102], v[103:104], v[99:100]
	v_fma_f64 v[97:98], -v[97:98], v[101:102], v[103:104]
	v_div_fmas_f64 v[97:98], v[97:98], v[99:100], v[101:102]
	v_div_fixup_f64 v[117:118], v[97:98], v[95:96], 1.0
	v_mul_f64 v[119:120], v[90:91], -v[117:118]
.LBB108_366:
	s_or_b64 exec, exec, s[18:19]
.LBB108_367:
	s_or_b64 exec, exec, s[0:1]
	v_cmp_ne_u32_e32 vcc, v93, v89
	s_and_saveexec_b64 s[0:1], vcc
	s_xor_b64 s[0:1], exec, s[0:1]
	s_cbranch_execz .LBB108_373
; %bb.368:
	v_cmp_eq_u32_e32 vcc, 17, v93
	s_and_saveexec_b64 s[18:19], vcc
	s_cbranch_execz .LBB108_372
; %bb.369:
	v_cmp_ne_u32_e32 vcc, 17, v89
	s_xor_b64 s[20:21], s[6:7], -1
	s_and_b64 s[22:23], s[20:21], vcc
	s_and_saveexec_b64 s[20:21], s[22:23]
	s_cbranch_execz .LBB108_371
; %bb.370:
	v_mov_b32_e32 v73, v81
	v_mov_b32_e32 v74, v82
	;; [unrolled: 1-line block ×4, first 2 shown]
	buffer_load_dword v81, off, s[24:27], 0 offset:452 ; 4-byte Folded Reload
	buffer_load_dword v82, off, s[24:27], 0 offset:456 ; 4-byte Folded Reload
	v_ashrrev_i32_e32 v90, 31, v89
	v_lshlrev_b64 v[90:91], 2, v[89:90]
	s_waitcnt vmcnt(1)
	v_add_co_u32_e32 v90, vcc, v81, v90
	s_waitcnt vmcnt(0)
	v_addc_co_u32_e32 v91, vcc, v82, v91, vcc
	global_load_dword v92, v[90:91], off
	global_load_dword v93, v[81:82], off offset:68
	s_waitcnt vmcnt(1)
	global_store_dword v[81:82], v92, off offset:68
	v_mov_b32_e32 v84, v76
	v_mov_b32_e32 v83, v75
	;; [unrolled: 1-line block ×4, first 2 shown]
	s_waitcnt vmcnt(1)
	global_store_dword v[90:91], v93, off
.LBB108_371:
	s_or_b64 exec, exec, s[20:21]
	v_mov_b32_e32 v93, v89
	v_mov_b32_e32 v73, v89
	buffer_store_dword v73, off, s[24:27], 0 offset:368 ; 4-byte Folded Spill
.LBB108_372:
	s_or_b64 exec, exec, s[18:19]
.LBB108_373:
	s_andn2_saveexec_b64 s[0:1], s[0:1]
	s_cbranch_execz .LBB108_375
; %bb.374:
	buffer_load_dword v73, off, s[24:27], 0 offset:192 ; 4-byte Folded Reload
	buffer_load_dword v74, off, s[24:27], 0 offset:196 ; 4-byte Folded Reload
	;; [unrolled: 1-line block ×4, first 2 shown]
	v_mov_b32_e32 v93, 17
	s_waitcnt vmcnt(0)
	ds_write2_b64 v0, v[73:74], v[75:76] offset0:36 offset1:37
	buffer_load_dword v73, off, s[24:27], 0 offset:176 ; 4-byte Folded Reload
	buffer_load_dword v74, off, s[24:27], 0 offset:180 ; 4-byte Folded Reload
	buffer_load_dword v75, off, s[24:27], 0 offset:184 ; 4-byte Folded Reload
	buffer_load_dword v76, off, s[24:27], 0 offset:188 ; 4-byte Folded Reload
	s_waitcnt vmcnt(0)
	ds_write2_b64 v0, v[73:74], v[75:76] offset0:38 offset1:39
	buffer_load_dword v73, off, s[24:27], 0 offset:160 ; 4-byte Folded Reload
	buffer_load_dword v74, off, s[24:27], 0 offset:164 ; 4-byte Folded Reload
	buffer_load_dword v75, off, s[24:27], 0 offset:168 ; 4-byte Folded Reload
	buffer_load_dword v76, off, s[24:27], 0 offset:172 ; 4-byte Folded Reload
	;; [unrolled: 6-line block ×11, first 2 shown]
	s_waitcnt vmcnt(0)
	ds_write2_b64 v0, v[73:74], v[75:76] offset0:58 offset1:59
	ds_write2_b64 v0, v[81:82], v[83:84] offset0:60 offset1:61
	;; [unrolled: 1-line block ×6, first 2 shown]
	buffer_load_dword v73, off, s[24:27], 0 ; 4-byte Folded Reload
	buffer_load_dword v74, off, s[24:27], 0 offset:4 ; 4-byte Folded Reload
	buffer_load_dword v75, off, s[24:27], 0 offset:8 ; 4-byte Folded Reload
	;; [unrolled: 1-line block ×3, first 2 shown]
	s_waitcnt vmcnt(0)
	ds_write2_b64 v0, v[73:74], v[75:76] offset0:70 offset1:71
	ds_write2_b64 v0, v[69:70], v[71:72] offset0:72 offset1:73
	ds_write2_b64 v0, v[65:66], v[67:68] offset0:74 offset1:75
	ds_write2_b64 v0, v[61:62], v[63:64] offset0:76 offset1:77
	ds_write2_b64 v0, v[57:58], v[59:60] offset0:78 offset1:79
	ds_write2_b64 v0, v[53:54], v[55:56] offset0:80 offset1:81
	ds_write2_b64 v0, v[49:50], v[51:52] offset0:82 offset1:83
	ds_write2_b64 v0, v[45:46], v[47:48] offset0:84 offset1:85
	ds_write2_b64 v0, v[41:42], v[43:44] offset0:86 offset1:87
	ds_write2_b64 v0, v[37:38], v[39:40] offset0:88 offset1:89
	ds_write2_b64 v0, v[33:34], v[35:36] offset0:90 offset1:91
	ds_write2_b64 v0, v[29:30], v[31:32] offset0:92 offset1:93
	ds_write2_b64 v0, v[25:26], v[27:28] offset0:94 offset1:95
	ds_write2_b64 v0, v[21:22], v[23:24] offset0:96 offset1:97
	ds_write2_b64 v0, v[17:18], v[19:20] offset0:98 offset1:99
	ds_write2_b64 v0, v[13:14], v[15:16] offset0:100 offset1:101
	ds_write2_b64 v0, v[9:10], v[11:12] offset0:102 offset1:103
	ds_write2_b64 v0, v[5:6], v[7:8] offset0:104 offset1:105
	ds_write2_b64 v0, v[1:2], v[3:4] offset0:106 offset1:107
	ds_write2_b64 v0, v[121:122], v[123:124] offset0:108 offset1:109
.LBB108_375:
	s_or_b64 exec, exec, s[0:1]
	v_cmp_lt_i32_e32 vcc, 17, v93
	s_waitcnt vmcnt(0) lgkmcnt(0)
	s_barrier
	s_and_saveexec_b64 s[0:1], vcc
	s_cbranch_execz .LBB108_377
; %bb.376:
	buffer_load_dword v95, off, s[24:27], 0 offset:208 ; 4-byte Folded Reload
	buffer_load_dword v96, off, s[24:27], 0 offset:212 ; 4-byte Folded Reload
	;; [unrolled: 1-line block ×4, first 2 shown]
	s_waitcnt vmcnt(0)
	v_mul_f64 v[89:90], v[119:120], v[97:98]
	v_fma_f64 v[125:126], v[117:118], v[95:96], -v[89:90]
	v_mul_f64 v[89:90], v[117:118], v[97:98]
	v_fma_f64 v[97:98], v[119:120], v[95:96], v[89:90]
	ds_read2_b64 v[89:92], v0 offset0:36 offset1:37
	buffer_load_dword v73, off, s[24:27], 0 offset:192 ; 4-byte Folded Reload
	buffer_load_dword v74, off, s[24:27], 0 offset:196 ; 4-byte Folded Reload
	buffer_load_dword v75, off, s[24:27], 0 offset:200 ; 4-byte Folded Reload
	buffer_load_dword v76, off, s[24:27], 0 offset:204 ; 4-byte Folded Reload
	s_waitcnt lgkmcnt(0)
	v_mul_f64 v[95:96], v[91:92], v[97:98]
	v_fma_f64 v[95:96], v[89:90], v[125:126], -v[95:96]
	v_mul_f64 v[89:90], v[89:90], v[97:98]
	v_fma_f64 v[89:90], v[91:92], v[125:126], v[89:90]
	s_waitcnt vmcnt(2)
	v_add_f64 v[73:74], v[73:74], -v[95:96]
	s_waitcnt vmcnt(0)
	v_add_f64 v[75:76], v[75:76], -v[89:90]
	buffer_store_dword v73, off, s[24:27], 0 offset:192 ; 4-byte Folded Spill
	s_nop 0
	buffer_store_dword v74, off, s[24:27], 0 offset:196 ; 4-byte Folded Spill
	buffer_store_dword v75, off, s[24:27], 0 offset:200 ; 4-byte Folded Spill
	buffer_store_dword v76, off, s[24:27], 0 offset:204 ; 4-byte Folded Spill
	ds_read2_b64 v[89:92], v0 offset0:38 offset1:39
	buffer_load_dword v73, off, s[24:27], 0 offset:176 ; 4-byte Folded Reload
	buffer_load_dword v74, off, s[24:27], 0 offset:180 ; 4-byte Folded Reload
	buffer_load_dword v75, off, s[24:27], 0 offset:184 ; 4-byte Folded Reload
	buffer_load_dword v76, off, s[24:27], 0 offset:188 ; 4-byte Folded Reload
	s_waitcnt lgkmcnt(0)
	v_mul_f64 v[95:96], v[91:92], v[97:98]
	v_fma_f64 v[95:96], v[89:90], v[125:126], -v[95:96]
	v_mul_f64 v[89:90], v[89:90], v[97:98]
	v_fma_f64 v[89:90], v[91:92], v[125:126], v[89:90]
	s_waitcnt vmcnt(2)
	v_add_f64 v[73:74], v[73:74], -v[95:96]
	s_waitcnt vmcnt(0)
	v_add_f64 v[75:76], v[75:76], -v[89:90]
	buffer_store_dword v73, off, s[24:27], 0 offset:176 ; 4-byte Folded Spill
	s_nop 0
	buffer_store_dword v74, off, s[24:27], 0 offset:180 ; 4-byte Folded Spill
	buffer_store_dword v75, off, s[24:27], 0 offset:184 ; 4-byte Folded Spill
	buffer_store_dword v76, off, s[24:27], 0 offset:188 ; 4-byte Folded Spill
	;; [unrolled: 19-line block ×12, first 2 shown]
	ds_read2_b64 v[89:92], v0 offset0:60 offset1:61
	s_waitcnt lgkmcnt(0)
	v_mul_f64 v[95:96], v[91:92], v[97:98]
	v_fma_f64 v[95:96], v[89:90], v[125:126], -v[95:96]
	v_mul_f64 v[89:90], v[89:90], v[97:98]
	v_add_f64 v[81:82], v[81:82], -v[95:96]
	v_fma_f64 v[89:90], v[91:92], v[125:126], v[89:90]
	v_add_f64 v[83:84], v[83:84], -v[89:90]
	ds_read2_b64 v[89:92], v0 offset0:62 offset1:63
	s_waitcnt lgkmcnt(0)
	v_mul_f64 v[95:96], v[91:92], v[97:98]
	v_fma_f64 v[95:96], v[89:90], v[125:126], -v[95:96]
	v_mul_f64 v[89:90], v[89:90], v[97:98]
	v_add_f64 v[85:86], v[85:86], -v[95:96]
	v_fma_f64 v[89:90], v[91:92], v[125:126], v[89:90]
	v_add_f64 v[87:88], v[87:88], -v[89:90]
	;; [unrolled: 8-line block ×5, first 2 shown]
	ds_read2_b64 v[89:92], v0 offset0:70 offset1:71
	buffer_load_dword v73, off, s[24:27], 0 ; 4-byte Folded Reload
	buffer_load_dword v74, off, s[24:27], 0 offset:4 ; 4-byte Folded Reload
	buffer_load_dword v75, off, s[24:27], 0 offset:8 ; 4-byte Folded Reload
	buffer_load_dword v76, off, s[24:27], 0 offset:12 ; 4-byte Folded Reload
	s_waitcnt lgkmcnt(0)
	v_mul_f64 v[95:96], v[91:92], v[97:98]
	v_fma_f64 v[95:96], v[89:90], v[125:126], -v[95:96]
	v_mul_f64 v[89:90], v[89:90], v[97:98]
	v_fma_f64 v[89:90], v[91:92], v[125:126], v[89:90]
	s_waitcnt vmcnt(2)
	v_add_f64 v[73:74], v[73:74], -v[95:96]
	s_waitcnt vmcnt(0)
	v_add_f64 v[75:76], v[75:76], -v[89:90]
	buffer_store_dword v73, off, s[24:27], 0 ; 4-byte Folded Spill
	s_nop 0
	buffer_store_dword v74, off, s[24:27], 0 offset:4 ; 4-byte Folded Spill
	buffer_store_dword v75, off, s[24:27], 0 offset:8 ; 4-byte Folded Spill
	;; [unrolled: 1-line block ×3, first 2 shown]
	ds_read2_b64 v[89:92], v0 offset0:72 offset1:73
	s_waitcnt lgkmcnt(0)
	v_mul_f64 v[95:96], v[91:92], v[97:98]
	v_fma_f64 v[95:96], v[89:90], v[125:126], -v[95:96]
	v_mul_f64 v[89:90], v[89:90], v[97:98]
	v_add_f64 v[69:70], v[69:70], -v[95:96]
	v_fma_f64 v[89:90], v[91:92], v[125:126], v[89:90]
	v_add_f64 v[71:72], v[71:72], -v[89:90]
	ds_read2_b64 v[89:92], v0 offset0:74 offset1:75
	s_waitcnt lgkmcnt(0)
	v_mul_f64 v[95:96], v[91:92], v[97:98]
	v_fma_f64 v[95:96], v[89:90], v[125:126], -v[95:96]
	v_mul_f64 v[89:90], v[89:90], v[97:98]
	v_add_f64 v[65:66], v[65:66], -v[95:96]
	v_fma_f64 v[89:90], v[91:92], v[125:126], v[89:90]
	v_add_f64 v[67:68], v[67:68], -v[89:90]
	ds_read2_b64 v[89:92], v0 offset0:76 offset1:77
	s_waitcnt lgkmcnt(0)
	v_mul_f64 v[95:96], v[91:92], v[97:98]
	v_fma_f64 v[95:96], v[89:90], v[125:126], -v[95:96]
	v_mul_f64 v[89:90], v[89:90], v[97:98]
	v_add_f64 v[61:62], v[61:62], -v[95:96]
	v_fma_f64 v[89:90], v[91:92], v[125:126], v[89:90]
	v_add_f64 v[63:64], v[63:64], -v[89:90]
	ds_read2_b64 v[89:92], v0 offset0:78 offset1:79
	s_waitcnt lgkmcnt(0)
	v_mul_f64 v[95:96], v[91:92], v[97:98]
	v_fma_f64 v[95:96], v[89:90], v[125:126], -v[95:96]
	v_mul_f64 v[89:90], v[89:90], v[97:98]
	v_add_f64 v[57:58], v[57:58], -v[95:96]
	v_fma_f64 v[89:90], v[91:92], v[125:126], v[89:90]
	v_add_f64 v[59:60], v[59:60], -v[89:90]
	ds_read2_b64 v[89:92], v0 offset0:80 offset1:81
	s_waitcnt lgkmcnt(0)
	v_mul_f64 v[95:96], v[91:92], v[97:98]
	v_fma_f64 v[95:96], v[89:90], v[125:126], -v[95:96]
	v_mul_f64 v[89:90], v[89:90], v[97:98]
	v_add_f64 v[53:54], v[53:54], -v[95:96]
	v_fma_f64 v[89:90], v[91:92], v[125:126], v[89:90]
	v_add_f64 v[55:56], v[55:56], -v[89:90]
	ds_read2_b64 v[89:92], v0 offset0:82 offset1:83
	s_waitcnt lgkmcnt(0)
	v_mul_f64 v[95:96], v[91:92], v[97:98]
	v_fma_f64 v[95:96], v[89:90], v[125:126], -v[95:96]
	v_mul_f64 v[89:90], v[89:90], v[97:98]
	v_add_f64 v[49:50], v[49:50], -v[95:96]
	v_fma_f64 v[89:90], v[91:92], v[125:126], v[89:90]
	v_add_f64 v[51:52], v[51:52], -v[89:90]
	ds_read2_b64 v[89:92], v0 offset0:84 offset1:85
	s_waitcnt lgkmcnt(0)
	v_mul_f64 v[95:96], v[91:92], v[97:98]
	v_fma_f64 v[95:96], v[89:90], v[125:126], -v[95:96]
	v_mul_f64 v[89:90], v[89:90], v[97:98]
	v_add_f64 v[45:46], v[45:46], -v[95:96]
	v_fma_f64 v[89:90], v[91:92], v[125:126], v[89:90]
	v_add_f64 v[47:48], v[47:48], -v[89:90]
	ds_read2_b64 v[89:92], v0 offset0:86 offset1:87
	s_waitcnt lgkmcnt(0)
	v_mul_f64 v[95:96], v[91:92], v[97:98]
	v_fma_f64 v[95:96], v[89:90], v[125:126], -v[95:96]
	v_mul_f64 v[89:90], v[89:90], v[97:98]
	v_add_f64 v[41:42], v[41:42], -v[95:96]
	v_fma_f64 v[89:90], v[91:92], v[125:126], v[89:90]
	v_add_f64 v[43:44], v[43:44], -v[89:90]
	ds_read2_b64 v[89:92], v0 offset0:88 offset1:89
	s_waitcnt lgkmcnt(0)
	v_mul_f64 v[95:96], v[91:92], v[97:98]
	v_fma_f64 v[95:96], v[89:90], v[125:126], -v[95:96]
	v_mul_f64 v[89:90], v[89:90], v[97:98]
	v_add_f64 v[37:38], v[37:38], -v[95:96]
	v_fma_f64 v[89:90], v[91:92], v[125:126], v[89:90]
	v_add_f64 v[39:40], v[39:40], -v[89:90]
	ds_read2_b64 v[89:92], v0 offset0:90 offset1:91
	s_waitcnt lgkmcnt(0)
	v_mul_f64 v[95:96], v[91:92], v[97:98]
	v_fma_f64 v[95:96], v[89:90], v[125:126], -v[95:96]
	v_mul_f64 v[89:90], v[89:90], v[97:98]
	v_add_f64 v[33:34], v[33:34], -v[95:96]
	v_fma_f64 v[89:90], v[91:92], v[125:126], v[89:90]
	v_add_f64 v[35:36], v[35:36], -v[89:90]
	ds_read2_b64 v[89:92], v0 offset0:92 offset1:93
	s_waitcnt lgkmcnt(0)
	v_mul_f64 v[95:96], v[91:92], v[97:98]
	v_fma_f64 v[95:96], v[89:90], v[125:126], -v[95:96]
	v_mul_f64 v[89:90], v[89:90], v[97:98]
	v_add_f64 v[29:30], v[29:30], -v[95:96]
	v_fma_f64 v[89:90], v[91:92], v[125:126], v[89:90]
	v_add_f64 v[31:32], v[31:32], -v[89:90]
	ds_read2_b64 v[89:92], v0 offset0:94 offset1:95
	s_waitcnt lgkmcnt(0)
	v_mul_f64 v[95:96], v[91:92], v[97:98]
	v_fma_f64 v[95:96], v[89:90], v[125:126], -v[95:96]
	v_mul_f64 v[89:90], v[89:90], v[97:98]
	v_add_f64 v[25:26], v[25:26], -v[95:96]
	v_fma_f64 v[89:90], v[91:92], v[125:126], v[89:90]
	v_add_f64 v[27:28], v[27:28], -v[89:90]
	ds_read2_b64 v[89:92], v0 offset0:96 offset1:97
	s_waitcnt lgkmcnt(0)
	v_mul_f64 v[95:96], v[91:92], v[97:98]
	v_fma_f64 v[95:96], v[89:90], v[125:126], -v[95:96]
	v_mul_f64 v[89:90], v[89:90], v[97:98]
	v_add_f64 v[21:22], v[21:22], -v[95:96]
	v_fma_f64 v[89:90], v[91:92], v[125:126], v[89:90]
	v_add_f64 v[23:24], v[23:24], -v[89:90]
	ds_read2_b64 v[89:92], v0 offset0:98 offset1:99
	s_waitcnt lgkmcnt(0)
	v_mul_f64 v[95:96], v[91:92], v[97:98]
	v_fma_f64 v[95:96], v[89:90], v[125:126], -v[95:96]
	v_mul_f64 v[89:90], v[89:90], v[97:98]
	v_add_f64 v[17:18], v[17:18], -v[95:96]
	v_fma_f64 v[89:90], v[91:92], v[125:126], v[89:90]
	v_add_f64 v[19:20], v[19:20], -v[89:90]
	ds_read2_b64 v[89:92], v0 offset0:100 offset1:101
	s_waitcnt lgkmcnt(0)
	v_mul_f64 v[95:96], v[91:92], v[97:98]
	v_fma_f64 v[95:96], v[89:90], v[125:126], -v[95:96]
	v_mul_f64 v[89:90], v[89:90], v[97:98]
	v_add_f64 v[13:14], v[13:14], -v[95:96]
	v_fma_f64 v[89:90], v[91:92], v[125:126], v[89:90]
	v_add_f64 v[15:16], v[15:16], -v[89:90]
	ds_read2_b64 v[89:92], v0 offset0:102 offset1:103
	s_waitcnt lgkmcnt(0)
	v_mul_f64 v[95:96], v[91:92], v[97:98]
	v_fma_f64 v[95:96], v[89:90], v[125:126], -v[95:96]
	v_mul_f64 v[89:90], v[89:90], v[97:98]
	v_add_f64 v[9:10], v[9:10], -v[95:96]
	v_fma_f64 v[89:90], v[91:92], v[125:126], v[89:90]
	v_add_f64 v[11:12], v[11:12], -v[89:90]
	ds_read2_b64 v[89:92], v0 offset0:104 offset1:105
	s_waitcnt lgkmcnt(0)
	v_mul_f64 v[95:96], v[91:92], v[97:98]
	v_fma_f64 v[95:96], v[89:90], v[125:126], -v[95:96]
	v_mul_f64 v[89:90], v[89:90], v[97:98]
	v_add_f64 v[5:6], v[5:6], -v[95:96]
	v_fma_f64 v[89:90], v[91:92], v[125:126], v[89:90]
	v_add_f64 v[7:8], v[7:8], -v[89:90]
	ds_read2_b64 v[89:92], v0 offset0:106 offset1:107
	s_waitcnt lgkmcnt(0)
	v_mul_f64 v[95:96], v[91:92], v[97:98]
	v_fma_f64 v[95:96], v[89:90], v[125:126], -v[95:96]
	v_mul_f64 v[89:90], v[89:90], v[97:98]
	v_add_f64 v[1:2], v[1:2], -v[95:96]
	v_fma_f64 v[89:90], v[91:92], v[125:126], v[89:90]
	v_add_f64 v[3:4], v[3:4], -v[89:90]
	ds_read2_b64 v[89:92], v0 offset0:108 offset1:109
	s_waitcnt lgkmcnt(0)
	v_mul_f64 v[95:96], v[91:92], v[97:98]
	v_fma_f64 v[95:96], v[89:90], v[125:126], -v[95:96]
	v_mul_f64 v[89:90], v[89:90], v[97:98]
	v_add_f64 v[121:122], v[121:122], -v[95:96]
	v_fma_f64 v[89:90], v[91:92], v[125:126], v[89:90]
	v_mov_b32_e32 v95, v125
	v_mov_b32_e32 v96, v126
	buffer_store_dword v95, off, s[24:27], 0 offset:208 ; 4-byte Folded Spill
	s_nop 0
	buffer_store_dword v96, off, s[24:27], 0 offset:212 ; 4-byte Folded Spill
	buffer_store_dword v97, off, s[24:27], 0 offset:216 ; 4-byte Folded Spill
	;; [unrolled: 1-line block ×3, first 2 shown]
	v_add_f64 v[123:124], v[123:124], -v[89:90]
.LBB108_377:
	s_or_b64 exec, exec, s[0:1]
	s_waitcnt vmcnt(0)
	s_barrier
	buffer_load_dword v73, off, s[24:27], 0 offset:192 ; 4-byte Folded Reload
	buffer_load_dword v74, off, s[24:27], 0 offset:196 ; 4-byte Folded Reload
	;; [unrolled: 1-line block ×4, first 2 shown]
	v_lshl_add_u32 v89, v93, 4, v0
	s_cmp_lt_i32 s3, 20
	s_waitcnt vmcnt(0)
	ds_write2_b64 v89, v[73:74], v[75:76] offset1:1
	s_waitcnt lgkmcnt(0)
	s_barrier
	ds_read2_b64 v[117:120], v0 offset0:36 offset1:37
	v_mov_b32_e32 v89, 18
	s_cbranch_scc1 .LBB108_380
; %bb.378:
	v_add_u32_e32 v90, 0x130, v0
	s_mov_b32 s0, 19
	v_mov_b32_e32 v89, 18
.LBB108_379:                            ; =>This Inner Loop Header: Depth=1
	s_waitcnt lgkmcnt(0)
	v_cmp_gt_f64_e32 vcc, 0, v[117:118]
	v_xor_b32_e32 v91, 0x80000000, v118
	ds_read2_b64 v[95:98], v90 offset1:1
	v_xor_b32_e32 v99, 0x80000000, v120
	v_add_u32_e32 v90, 16, v90
	s_waitcnt lgkmcnt(0)
	v_xor_b32_e32 v101, 0x80000000, v98
	v_cndmask_b32_e32 v92, v118, v91, vcc
	v_cmp_gt_f64_e32 vcc, 0, v[119:120]
	v_mov_b32_e32 v91, v117
	v_cndmask_b32_e32 v100, v120, v99, vcc
	v_cmp_gt_f64_e32 vcc, 0, v[95:96]
	v_mov_b32_e32 v99, v119
	v_add_f64 v[91:92], v[91:92], v[99:100]
	v_xor_b32_e32 v99, 0x80000000, v96
	v_cndmask_b32_e32 v100, v96, v99, vcc
	v_cmp_gt_f64_e32 vcc, 0, v[97:98]
	v_mov_b32_e32 v99, v95
	v_cndmask_b32_e32 v102, v98, v101, vcc
	v_mov_b32_e32 v101, v97
	v_add_f64 v[99:100], v[99:100], v[101:102]
	v_cmp_lt_f64_e32 vcc, v[91:92], v[99:100]
	v_mov_b32_e32 v91, s0
	s_add_i32 s0, s0, 1
	s_cmp_lg_u32 s3, s0
	v_cndmask_b32_e32 v118, v118, v96, vcc
	v_cndmask_b32_e32 v117, v117, v95, vcc
	;; [unrolled: 1-line block ×5, first 2 shown]
	s_cbranch_scc1 .LBB108_379
.LBB108_380:
	s_waitcnt lgkmcnt(0)
	v_cmp_eq_f64_e32 vcc, 0, v[117:118]
	v_cmp_eq_f64_e64 s[0:1], 0, v[119:120]
	s_and_b64 s[0:1], vcc, s[0:1]
	s_and_saveexec_b64 s[18:19], s[0:1]
	s_xor_b64 s[0:1], exec, s[18:19]
; %bb.381:
	v_cmp_ne_u32_e32 vcc, 0, v94
	v_cndmask_b32_e32 v94, 19, v94, vcc
; %bb.382:
	s_andn2_saveexec_b64 s[0:1], s[0:1]
	s_cbranch_execz .LBB108_388
; %bb.383:
	v_cmp_ngt_f64_e64 s[18:19], |v[117:118]|, |v[119:120]|
	s_and_saveexec_b64 s[20:21], s[18:19]
	s_xor_b64 s[18:19], exec, s[20:21]
	s_cbranch_execz .LBB108_385
; %bb.384:
	v_div_scale_f64 v[90:91], s[20:21], v[119:120], v[119:120], v[117:118]
	v_rcp_f64_e32 v[95:96], v[90:91]
	v_fma_f64 v[97:98], -v[90:91], v[95:96], 1.0
	v_fma_f64 v[95:96], v[95:96], v[97:98], v[95:96]
	v_div_scale_f64 v[97:98], vcc, v[117:118], v[119:120], v[117:118]
	v_fma_f64 v[99:100], -v[90:91], v[95:96], 1.0
	v_fma_f64 v[95:96], v[95:96], v[99:100], v[95:96]
	v_mul_f64 v[99:100], v[97:98], v[95:96]
	v_fma_f64 v[90:91], -v[90:91], v[99:100], v[97:98]
	v_div_fmas_f64 v[90:91], v[90:91], v[95:96], v[99:100]
	v_div_fixup_f64 v[90:91], v[90:91], v[119:120], v[117:118]
	v_fma_f64 v[95:96], v[117:118], v[90:91], v[119:120]
	v_div_scale_f64 v[97:98], s[20:21], v[95:96], v[95:96], 1.0
	v_div_scale_f64 v[103:104], vcc, 1.0, v[95:96], 1.0
	v_rcp_f64_e32 v[99:100], v[97:98]
	v_fma_f64 v[101:102], -v[97:98], v[99:100], 1.0
	v_fma_f64 v[99:100], v[99:100], v[101:102], v[99:100]
	v_fma_f64 v[101:102], -v[97:98], v[99:100], 1.0
	v_fma_f64 v[99:100], v[99:100], v[101:102], v[99:100]
	v_mul_f64 v[101:102], v[103:104], v[99:100]
	v_fma_f64 v[97:98], -v[97:98], v[101:102], v[103:104]
	v_div_fmas_f64 v[97:98], v[97:98], v[99:100], v[101:102]
	v_div_fixup_f64 v[119:120], v[97:98], v[95:96], 1.0
	v_mul_f64 v[117:118], v[90:91], v[119:120]
	v_xor_b32_e32 v120, 0x80000000, v120
.LBB108_385:
	s_andn2_saveexec_b64 s[18:19], s[18:19]
	s_cbranch_execz .LBB108_387
; %bb.386:
	v_div_scale_f64 v[90:91], s[20:21], v[117:118], v[117:118], v[119:120]
	v_rcp_f64_e32 v[95:96], v[90:91]
	v_fma_f64 v[97:98], -v[90:91], v[95:96], 1.0
	v_fma_f64 v[95:96], v[95:96], v[97:98], v[95:96]
	v_div_scale_f64 v[97:98], vcc, v[119:120], v[117:118], v[119:120]
	v_fma_f64 v[99:100], -v[90:91], v[95:96], 1.0
	v_fma_f64 v[95:96], v[95:96], v[99:100], v[95:96]
	v_mul_f64 v[99:100], v[97:98], v[95:96]
	v_fma_f64 v[90:91], -v[90:91], v[99:100], v[97:98]
	v_div_fmas_f64 v[90:91], v[90:91], v[95:96], v[99:100]
	v_div_fixup_f64 v[90:91], v[90:91], v[117:118], v[119:120]
	v_fma_f64 v[95:96], v[119:120], v[90:91], v[117:118]
	v_div_scale_f64 v[97:98], s[20:21], v[95:96], v[95:96], 1.0
	v_div_scale_f64 v[103:104], vcc, 1.0, v[95:96], 1.0
	v_rcp_f64_e32 v[99:100], v[97:98]
	v_fma_f64 v[101:102], -v[97:98], v[99:100], 1.0
	v_fma_f64 v[99:100], v[99:100], v[101:102], v[99:100]
	v_fma_f64 v[101:102], -v[97:98], v[99:100], 1.0
	v_fma_f64 v[99:100], v[99:100], v[101:102], v[99:100]
	v_mul_f64 v[101:102], v[103:104], v[99:100]
	v_fma_f64 v[97:98], -v[97:98], v[101:102], v[103:104]
	v_div_fmas_f64 v[97:98], v[97:98], v[99:100], v[101:102]
	v_div_fixup_f64 v[117:118], v[97:98], v[95:96], 1.0
	v_mul_f64 v[119:120], v[90:91], -v[117:118]
.LBB108_387:
	s_or_b64 exec, exec, s[18:19]
.LBB108_388:
	s_or_b64 exec, exec, s[0:1]
	v_cmp_ne_u32_e32 vcc, v93, v89
	s_and_saveexec_b64 s[0:1], vcc
	s_xor_b64 s[0:1], exec, s[0:1]
	s_cbranch_execz .LBB108_394
; %bb.389:
	v_cmp_eq_u32_e32 vcc, 18, v93
	s_and_saveexec_b64 s[18:19], vcc
	s_cbranch_execz .LBB108_393
; %bb.390:
	v_cmp_ne_u32_e32 vcc, 18, v89
	s_xor_b64 s[20:21], s[6:7], -1
	s_and_b64 s[22:23], s[20:21], vcc
	s_and_saveexec_b64 s[20:21], s[22:23]
	s_cbranch_execz .LBB108_392
; %bb.391:
	v_mov_b32_e32 v73, v81
	v_mov_b32_e32 v74, v82
	v_mov_b32_e32 v75, v83
	v_mov_b32_e32 v76, v84
	buffer_load_dword v81, off, s[24:27], 0 offset:452 ; 4-byte Folded Reload
	buffer_load_dword v82, off, s[24:27], 0 offset:456 ; 4-byte Folded Reload
	v_ashrrev_i32_e32 v90, 31, v89
	v_lshlrev_b64 v[90:91], 2, v[89:90]
	s_waitcnt vmcnt(1)
	v_add_co_u32_e32 v90, vcc, v81, v90
	s_waitcnt vmcnt(0)
	v_addc_co_u32_e32 v91, vcc, v82, v91, vcc
	global_load_dword v92, v[90:91], off
	global_load_dword v93, v[81:82], off offset:72
	s_waitcnt vmcnt(1)
	global_store_dword v[81:82], v92, off offset:72
	v_mov_b32_e32 v84, v76
	v_mov_b32_e32 v83, v75
	;; [unrolled: 1-line block ×4, first 2 shown]
	s_waitcnt vmcnt(1)
	global_store_dword v[90:91], v93, off
.LBB108_392:
	s_or_b64 exec, exec, s[20:21]
	v_mov_b32_e32 v93, v89
	v_mov_b32_e32 v73, v89
	buffer_store_dword v73, off, s[24:27], 0 offset:368 ; 4-byte Folded Spill
.LBB108_393:
	s_or_b64 exec, exec, s[18:19]
.LBB108_394:
	s_andn2_saveexec_b64 s[0:1], s[0:1]
	s_cbranch_execz .LBB108_396
; %bb.395:
	buffer_load_dword v73, off, s[24:27], 0 offset:176 ; 4-byte Folded Reload
	buffer_load_dword v74, off, s[24:27], 0 offset:180 ; 4-byte Folded Reload
	;; [unrolled: 1-line block ×4, first 2 shown]
	v_mov_b32_e32 v93, 18
	s_waitcnt vmcnt(0)
	ds_write2_b64 v0, v[73:74], v[75:76] offset0:38 offset1:39
	buffer_load_dword v73, off, s[24:27], 0 offset:160 ; 4-byte Folded Reload
	buffer_load_dword v74, off, s[24:27], 0 offset:164 ; 4-byte Folded Reload
	buffer_load_dword v75, off, s[24:27], 0 offset:168 ; 4-byte Folded Reload
	buffer_load_dword v76, off, s[24:27], 0 offset:172 ; 4-byte Folded Reload
	s_waitcnt vmcnt(0)
	ds_write2_b64 v0, v[73:74], v[75:76] offset0:40 offset1:41
	buffer_load_dword v73, off, s[24:27], 0 offset:144 ; 4-byte Folded Reload
	buffer_load_dword v74, off, s[24:27], 0 offset:148 ; 4-byte Folded Reload
	buffer_load_dword v75, off, s[24:27], 0 offset:152 ; 4-byte Folded Reload
	buffer_load_dword v76, off, s[24:27], 0 offset:156 ; 4-byte Folded Reload
	;; [unrolled: 6-line block ×10, first 2 shown]
	s_waitcnt vmcnt(0)
	ds_write2_b64 v0, v[73:74], v[75:76] offset0:58 offset1:59
	ds_write2_b64 v0, v[81:82], v[83:84] offset0:60 offset1:61
	;; [unrolled: 1-line block ×6, first 2 shown]
	buffer_load_dword v73, off, s[24:27], 0 ; 4-byte Folded Reload
	buffer_load_dword v74, off, s[24:27], 0 offset:4 ; 4-byte Folded Reload
	buffer_load_dword v75, off, s[24:27], 0 offset:8 ; 4-byte Folded Reload
	;; [unrolled: 1-line block ×3, first 2 shown]
	s_waitcnt vmcnt(0)
	ds_write2_b64 v0, v[73:74], v[75:76] offset0:70 offset1:71
	ds_write2_b64 v0, v[69:70], v[71:72] offset0:72 offset1:73
	;; [unrolled: 1-line block ×20, first 2 shown]
.LBB108_396:
	s_or_b64 exec, exec, s[0:1]
	v_cmp_lt_i32_e32 vcc, 18, v93
	s_waitcnt vmcnt(0) lgkmcnt(0)
	s_barrier
	s_and_saveexec_b64 s[0:1], vcc
	s_cbranch_execz .LBB108_398
; %bb.397:
	buffer_load_dword v95, off, s[24:27], 0 offset:192 ; 4-byte Folded Reload
	buffer_load_dword v96, off, s[24:27], 0 offset:196 ; 4-byte Folded Reload
	;; [unrolled: 1-line block ×4, first 2 shown]
	s_waitcnt vmcnt(0)
	v_mul_f64 v[89:90], v[119:120], v[97:98]
	v_fma_f64 v[125:126], v[117:118], v[95:96], -v[89:90]
	v_mul_f64 v[89:90], v[117:118], v[97:98]
	v_fma_f64 v[97:98], v[119:120], v[95:96], v[89:90]
	ds_read2_b64 v[89:92], v0 offset0:38 offset1:39
	buffer_load_dword v73, off, s[24:27], 0 offset:176 ; 4-byte Folded Reload
	buffer_load_dword v74, off, s[24:27], 0 offset:180 ; 4-byte Folded Reload
	buffer_load_dword v75, off, s[24:27], 0 offset:184 ; 4-byte Folded Reload
	buffer_load_dword v76, off, s[24:27], 0 offset:188 ; 4-byte Folded Reload
	s_waitcnt lgkmcnt(0)
	v_mul_f64 v[95:96], v[91:92], v[97:98]
	v_fma_f64 v[95:96], v[89:90], v[125:126], -v[95:96]
	v_mul_f64 v[89:90], v[89:90], v[97:98]
	v_fma_f64 v[89:90], v[91:92], v[125:126], v[89:90]
	s_waitcnt vmcnt(2)
	v_add_f64 v[73:74], v[73:74], -v[95:96]
	s_waitcnt vmcnt(0)
	v_add_f64 v[75:76], v[75:76], -v[89:90]
	buffer_store_dword v73, off, s[24:27], 0 offset:176 ; 4-byte Folded Spill
	s_nop 0
	buffer_store_dword v74, off, s[24:27], 0 offset:180 ; 4-byte Folded Spill
	buffer_store_dword v75, off, s[24:27], 0 offset:184 ; 4-byte Folded Spill
	buffer_store_dword v76, off, s[24:27], 0 offset:188 ; 4-byte Folded Spill
	ds_read2_b64 v[89:92], v0 offset0:40 offset1:41
	buffer_load_dword v73, off, s[24:27], 0 offset:160 ; 4-byte Folded Reload
	buffer_load_dword v74, off, s[24:27], 0 offset:164 ; 4-byte Folded Reload
	buffer_load_dword v75, off, s[24:27], 0 offset:168 ; 4-byte Folded Reload
	buffer_load_dword v76, off, s[24:27], 0 offset:172 ; 4-byte Folded Reload
	s_waitcnt lgkmcnt(0)
	v_mul_f64 v[95:96], v[91:92], v[97:98]
	v_fma_f64 v[95:96], v[89:90], v[125:126], -v[95:96]
	v_mul_f64 v[89:90], v[89:90], v[97:98]
	v_fma_f64 v[89:90], v[91:92], v[125:126], v[89:90]
	s_waitcnt vmcnt(2)
	v_add_f64 v[73:74], v[73:74], -v[95:96]
	s_waitcnt vmcnt(0)
	v_add_f64 v[75:76], v[75:76], -v[89:90]
	buffer_store_dword v73, off, s[24:27], 0 offset:160 ; 4-byte Folded Spill
	s_nop 0
	buffer_store_dword v74, off, s[24:27], 0 offset:164 ; 4-byte Folded Spill
	buffer_store_dword v75, off, s[24:27], 0 offset:168 ; 4-byte Folded Spill
	buffer_store_dword v76, off, s[24:27], 0 offset:172 ; 4-byte Folded Spill
	;; [unrolled: 19-line block ×11, first 2 shown]
	ds_read2_b64 v[89:92], v0 offset0:60 offset1:61
	s_waitcnt lgkmcnt(0)
	v_mul_f64 v[95:96], v[91:92], v[97:98]
	v_fma_f64 v[95:96], v[89:90], v[125:126], -v[95:96]
	v_mul_f64 v[89:90], v[89:90], v[97:98]
	v_add_f64 v[81:82], v[81:82], -v[95:96]
	v_fma_f64 v[89:90], v[91:92], v[125:126], v[89:90]
	v_add_f64 v[83:84], v[83:84], -v[89:90]
	ds_read2_b64 v[89:92], v0 offset0:62 offset1:63
	s_waitcnt lgkmcnt(0)
	v_mul_f64 v[95:96], v[91:92], v[97:98]
	v_fma_f64 v[95:96], v[89:90], v[125:126], -v[95:96]
	v_mul_f64 v[89:90], v[89:90], v[97:98]
	v_add_f64 v[85:86], v[85:86], -v[95:96]
	v_fma_f64 v[89:90], v[91:92], v[125:126], v[89:90]
	v_add_f64 v[87:88], v[87:88], -v[89:90]
	;; [unrolled: 8-line block ×5, first 2 shown]
	ds_read2_b64 v[89:92], v0 offset0:70 offset1:71
	buffer_load_dword v73, off, s[24:27], 0 ; 4-byte Folded Reload
	buffer_load_dword v74, off, s[24:27], 0 offset:4 ; 4-byte Folded Reload
	buffer_load_dword v75, off, s[24:27], 0 offset:8 ; 4-byte Folded Reload
	;; [unrolled: 1-line block ×3, first 2 shown]
	s_waitcnt lgkmcnt(0)
	v_mul_f64 v[95:96], v[91:92], v[97:98]
	v_fma_f64 v[95:96], v[89:90], v[125:126], -v[95:96]
	v_mul_f64 v[89:90], v[89:90], v[97:98]
	v_fma_f64 v[89:90], v[91:92], v[125:126], v[89:90]
	s_waitcnt vmcnt(2)
	v_add_f64 v[73:74], v[73:74], -v[95:96]
	s_waitcnt vmcnt(0)
	v_add_f64 v[75:76], v[75:76], -v[89:90]
	buffer_store_dword v73, off, s[24:27], 0 ; 4-byte Folded Spill
	s_nop 0
	buffer_store_dword v74, off, s[24:27], 0 offset:4 ; 4-byte Folded Spill
	buffer_store_dword v75, off, s[24:27], 0 offset:8 ; 4-byte Folded Spill
	;; [unrolled: 1-line block ×3, first 2 shown]
	ds_read2_b64 v[89:92], v0 offset0:72 offset1:73
	s_waitcnt lgkmcnt(0)
	v_mul_f64 v[95:96], v[91:92], v[97:98]
	v_fma_f64 v[95:96], v[89:90], v[125:126], -v[95:96]
	v_mul_f64 v[89:90], v[89:90], v[97:98]
	v_add_f64 v[69:70], v[69:70], -v[95:96]
	v_fma_f64 v[89:90], v[91:92], v[125:126], v[89:90]
	v_add_f64 v[71:72], v[71:72], -v[89:90]
	ds_read2_b64 v[89:92], v0 offset0:74 offset1:75
	s_waitcnt lgkmcnt(0)
	v_mul_f64 v[95:96], v[91:92], v[97:98]
	v_fma_f64 v[95:96], v[89:90], v[125:126], -v[95:96]
	v_mul_f64 v[89:90], v[89:90], v[97:98]
	v_add_f64 v[65:66], v[65:66], -v[95:96]
	v_fma_f64 v[89:90], v[91:92], v[125:126], v[89:90]
	v_add_f64 v[67:68], v[67:68], -v[89:90]
	;; [unrolled: 8-line block ×18, first 2 shown]
	ds_read2_b64 v[89:92], v0 offset0:108 offset1:109
	s_waitcnt lgkmcnt(0)
	v_mul_f64 v[95:96], v[91:92], v[97:98]
	v_fma_f64 v[95:96], v[89:90], v[125:126], -v[95:96]
	v_mul_f64 v[89:90], v[89:90], v[97:98]
	v_add_f64 v[121:122], v[121:122], -v[95:96]
	v_fma_f64 v[89:90], v[91:92], v[125:126], v[89:90]
	v_mov_b32_e32 v95, v125
	v_mov_b32_e32 v96, v126
	buffer_store_dword v95, off, s[24:27], 0 offset:192 ; 4-byte Folded Spill
	s_nop 0
	buffer_store_dword v96, off, s[24:27], 0 offset:196 ; 4-byte Folded Spill
	buffer_store_dword v97, off, s[24:27], 0 offset:200 ; 4-byte Folded Spill
	;; [unrolled: 1-line block ×3, first 2 shown]
	v_add_f64 v[123:124], v[123:124], -v[89:90]
.LBB108_398:
	s_or_b64 exec, exec, s[0:1]
	s_waitcnt vmcnt(0)
	s_barrier
	buffer_load_dword v73, off, s[24:27], 0 offset:176 ; 4-byte Folded Reload
	buffer_load_dword v74, off, s[24:27], 0 offset:180 ; 4-byte Folded Reload
	;; [unrolled: 1-line block ×4, first 2 shown]
	v_lshl_add_u32 v89, v93, 4, v0
	s_cmp_lt_i32 s3, 21
	s_waitcnt vmcnt(0)
	ds_write2_b64 v89, v[73:74], v[75:76] offset1:1
	s_waitcnt lgkmcnt(0)
	s_barrier
	ds_read2_b64 v[117:120], v0 offset0:38 offset1:39
	v_mov_b32_e32 v89, 19
	s_cbranch_scc1 .LBB108_401
; %bb.399:
	v_add_u32_e32 v90, 0x140, v0
	s_mov_b32 s0, 20
	v_mov_b32_e32 v89, 19
.LBB108_400:                            ; =>This Inner Loop Header: Depth=1
	s_waitcnt lgkmcnt(0)
	v_cmp_gt_f64_e32 vcc, 0, v[117:118]
	v_xor_b32_e32 v91, 0x80000000, v118
	ds_read2_b64 v[95:98], v90 offset1:1
	v_xor_b32_e32 v99, 0x80000000, v120
	v_add_u32_e32 v90, 16, v90
	s_waitcnt lgkmcnt(0)
	v_xor_b32_e32 v101, 0x80000000, v98
	v_cndmask_b32_e32 v92, v118, v91, vcc
	v_cmp_gt_f64_e32 vcc, 0, v[119:120]
	v_mov_b32_e32 v91, v117
	v_cndmask_b32_e32 v100, v120, v99, vcc
	v_cmp_gt_f64_e32 vcc, 0, v[95:96]
	v_mov_b32_e32 v99, v119
	v_add_f64 v[91:92], v[91:92], v[99:100]
	v_xor_b32_e32 v99, 0x80000000, v96
	v_cndmask_b32_e32 v100, v96, v99, vcc
	v_cmp_gt_f64_e32 vcc, 0, v[97:98]
	v_mov_b32_e32 v99, v95
	v_cndmask_b32_e32 v102, v98, v101, vcc
	v_mov_b32_e32 v101, v97
	v_add_f64 v[99:100], v[99:100], v[101:102]
	v_cmp_lt_f64_e32 vcc, v[91:92], v[99:100]
	v_mov_b32_e32 v91, s0
	s_add_i32 s0, s0, 1
	s_cmp_lg_u32 s3, s0
	v_cndmask_b32_e32 v118, v118, v96, vcc
	v_cndmask_b32_e32 v117, v117, v95, vcc
	;; [unrolled: 1-line block ×5, first 2 shown]
	s_cbranch_scc1 .LBB108_400
.LBB108_401:
	s_waitcnt lgkmcnt(0)
	v_cmp_eq_f64_e32 vcc, 0, v[117:118]
	v_cmp_eq_f64_e64 s[0:1], 0, v[119:120]
	s_and_b64 s[0:1], vcc, s[0:1]
	s_and_saveexec_b64 s[18:19], s[0:1]
	s_xor_b64 s[0:1], exec, s[18:19]
; %bb.402:
	v_cmp_ne_u32_e32 vcc, 0, v94
	v_cndmask_b32_e32 v94, 20, v94, vcc
; %bb.403:
	s_andn2_saveexec_b64 s[0:1], s[0:1]
	s_cbranch_execz .LBB108_409
; %bb.404:
	v_cmp_ngt_f64_e64 s[18:19], |v[117:118]|, |v[119:120]|
	s_and_saveexec_b64 s[20:21], s[18:19]
	s_xor_b64 s[18:19], exec, s[20:21]
	s_cbranch_execz .LBB108_406
; %bb.405:
	v_div_scale_f64 v[90:91], s[20:21], v[119:120], v[119:120], v[117:118]
	v_rcp_f64_e32 v[95:96], v[90:91]
	v_fma_f64 v[97:98], -v[90:91], v[95:96], 1.0
	v_fma_f64 v[95:96], v[95:96], v[97:98], v[95:96]
	v_div_scale_f64 v[97:98], vcc, v[117:118], v[119:120], v[117:118]
	v_fma_f64 v[99:100], -v[90:91], v[95:96], 1.0
	v_fma_f64 v[95:96], v[95:96], v[99:100], v[95:96]
	v_mul_f64 v[99:100], v[97:98], v[95:96]
	v_fma_f64 v[90:91], -v[90:91], v[99:100], v[97:98]
	v_div_fmas_f64 v[90:91], v[90:91], v[95:96], v[99:100]
	v_div_fixup_f64 v[90:91], v[90:91], v[119:120], v[117:118]
	v_fma_f64 v[95:96], v[117:118], v[90:91], v[119:120]
	v_div_scale_f64 v[97:98], s[20:21], v[95:96], v[95:96], 1.0
	v_div_scale_f64 v[103:104], vcc, 1.0, v[95:96], 1.0
	v_rcp_f64_e32 v[99:100], v[97:98]
	v_fma_f64 v[101:102], -v[97:98], v[99:100], 1.0
	v_fma_f64 v[99:100], v[99:100], v[101:102], v[99:100]
	v_fma_f64 v[101:102], -v[97:98], v[99:100], 1.0
	v_fma_f64 v[99:100], v[99:100], v[101:102], v[99:100]
	v_mul_f64 v[101:102], v[103:104], v[99:100]
	v_fma_f64 v[97:98], -v[97:98], v[101:102], v[103:104]
	v_div_fmas_f64 v[97:98], v[97:98], v[99:100], v[101:102]
	v_div_fixup_f64 v[119:120], v[97:98], v[95:96], 1.0
	v_mul_f64 v[117:118], v[90:91], v[119:120]
	v_xor_b32_e32 v120, 0x80000000, v120
.LBB108_406:
	s_andn2_saveexec_b64 s[18:19], s[18:19]
	s_cbranch_execz .LBB108_408
; %bb.407:
	v_div_scale_f64 v[90:91], s[20:21], v[117:118], v[117:118], v[119:120]
	v_rcp_f64_e32 v[95:96], v[90:91]
	v_fma_f64 v[97:98], -v[90:91], v[95:96], 1.0
	v_fma_f64 v[95:96], v[95:96], v[97:98], v[95:96]
	v_div_scale_f64 v[97:98], vcc, v[119:120], v[117:118], v[119:120]
	v_fma_f64 v[99:100], -v[90:91], v[95:96], 1.0
	v_fma_f64 v[95:96], v[95:96], v[99:100], v[95:96]
	v_mul_f64 v[99:100], v[97:98], v[95:96]
	v_fma_f64 v[90:91], -v[90:91], v[99:100], v[97:98]
	v_div_fmas_f64 v[90:91], v[90:91], v[95:96], v[99:100]
	v_div_fixup_f64 v[90:91], v[90:91], v[117:118], v[119:120]
	v_fma_f64 v[95:96], v[119:120], v[90:91], v[117:118]
	v_div_scale_f64 v[97:98], s[20:21], v[95:96], v[95:96], 1.0
	v_div_scale_f64 v[103:104], vcc, 1.0, v[95:96], 1.0
	v_rcp_f64_e32 v[99:100], v[97:98]
	v_fma_f64 v[101:102], -v[97:98], v[99:100], 1.0
	v_fma_f64 v[99:100], v[99:100], v[101:102], v[99:100]
	v_fma_f64 v[101:102], -v[97:98], v[99:100], 1.0
	v_fma_f64 v[99:100], v[99:100], v[101:102], v[99:100]
	v_mul_f64 v[101:102], v[103:104], v[99:100]
	v_fma_f64 v[97:98], -v[97:98], v[101:102], v[103:104]
	v_div_fmas_f64 v[97:98], v[97:98], v[99:100], v[101:102]
	v_div_fixup_f64 v[117:118], v[97:98], v[95:96], 1.0
	v_mul_f64 v[119:120], v[90:91], -v[117:118]
.LBB108_408:
	s_or_b64 exec, exec, s[18:19]
.LBB108_409:
	s_or_b64 exec, exec, s[0:1]
	v_cmp_ne_u32_e32 vcc, v93, v89
	s_and_saveexec_b64 s[0:1], vcc
	s_xor_b64 s[0:1], exec, s[0:1]
	s_cbranch_execz .LBB108_415
; %bb.410:
	v_cmp_eq_u32_e32 vcc, 19, v93
	s_and_saveexec_b64 s[18:19], vcc
	s_cbranch_execz .LBB108_414
; %bb.411:
	v_cmp_ne_u32_e32 vcc, 19, v89
	s_xor_b64 s[20:21], s[6:7], -1
	s_and_b64 s[22:23], s[20:21], vcc
	s_and_saveexec_b64 s[20:21], s[22:23]
	s_cbranch_execz .LBB108_413
; %bb.412:
	v_mov_b32_e32 v73, v81
	v_mov_b32_e32 v74, v82
	;; [unrolled: 1-line block ×4, first 2 shown]
	buffer_load_dword v81, off, s[24:27], 0 offset:452 ; 4-byte Folded Reload
	buffer_load_dword v82, off, s[24:27], 0 offset:456 ; 4-byte Folded Reload
	v_ashrrev_i32_e32 v90, 31, v89
	v_lshlrev_b64 v[90:91], 2, v[89:90]
	s_waitcnt vmcnt(1)
	v_add_co_u32_e32 v90, vcc, v81, v90
	s_waitcnt vmcnt(0)
	v_addc_co_u32_e32 v91, vcc, v82, v91, vcc
	global_load_dword v92, v[90:91], off
	global_load_dword v93, v[81:82], off offset:76
	s_waitcnt vmcnt(1)
	global_store_dword v[81:82], v92, off offset:76
	v_mov_b32_e32 v84, v76
	v_mov_b32_e32 v83, v75
	;; [unrolled: 1-line block ×4, first 2 shown]
	s_waitcnt vmcnt(1)
	global_store_dword v[90:91], v93, off
.LBB108_413:
	s_or_b64 exec, exec, s[20:21]
	v_mov_b32_e32 v93, v89
	v_mov_b32_e32 v73, v89
	buffer_store_dword v73, off, s[24:27], 0 offset:368 ; 4-byte Folded Spill
.LBB108_414:
	s_or_b64 exec, exec, s[18:19]
.LBB108_415:
	s_andn2_saveexec_b64 s[0:1], s[0:1]
	s_cbranch_execz .LBB108_417
; %bb.416:
	buffer_load_dword v73, off, s[24:27], 0 offset:160 ; 4-byte Folded Reload
	buffer_load_dword v74, off, s[24:27], 0 offset:164 ; 4-byte Folded Reload
	;; [unrolled: 1-line block ×4, first 2 shown]
	v_mov_b32_e32 v93, 19
	s_waitcnt vmcnt(0)
	ds_write2_b64 v0, v[73:74], v[75:76] offset0:40 offset1:41
	buffer_load_dword v73, off, s[24:27], 0 offset:144 ; 4-byte Folded Reload
	buffer_load_dword v74, off, s[24:27], 0 offset:148 ; 4-byte Folded Reload
	buffer_load_dword v75, off, s[24:27], 0 offset:152 ; 4-byte Folded Reload
	buffer_load_dword v76, off, s[24:27], 0 offset:156 ; 4-byte Folded Reload
	s_waitcnt vmcnt(0)
	ds_write2_b64 v0, v[73:74], v[75:76] offset0:42 offset1:43
	buffer_load_dword v73, off, s[24:27], 0 offset:128 ; 4-byte Folded Reload
	buffer_load_dword v74, off, s[24:27], 0 offset:132 ; 4-byte Folded Reload
	buffer_load_dword v75, off, s[24:27], 0 offset:136 ; 4-byte Folded Reload
	buffer_load_dword v76, off, s[24:27], 0 offset:140 ; 4-byte Folded Reload
	;; [unrolled: 6-line block ×9, first 2 shown]
	s_waitcnt vmcnt(0)
	ds_write2_b64 v0, v[73:74], v[75:76] offset0:58 offset1:59
	ds_write2_b64 v0, v[81:82], v[83:84] offset0:60 offset1:61
	;; [unrolled: 1-line block ×6, first 2 shown]
	buffer_load_dword v73, off, s[24:27], 0 ; 4-byte Folded Reload
	buffer_load_dword v74, off, s[24:27], 0 offset:4 ; 4-byte Folded Reload
	buffer_load_dword v75, off, s[24:27], 0 offset:8 ; 4-byte Folded Reload
	;; [unrolled: 1-line block ×3, first 2 shown]
	s_waitcnt vmcnt(0)
	ds_write2_b64 v0, v[73:74], v[75:76] offset0:70 offset1:71
	ds_write2_b64 v0, v[69:70], v[71:72] offset0:72 offset1:73
	;; [unrolled: 1-line block ×20, first 2 shown]
.LBB108_417:
	s_or_b64 exec, exec, s[0:1]
	v_cmp_lt_i32_e32 vcc, 19, v93
	s_waitcnt vmcnt(0) lgkmcnt(0)
	s_barrier
	s_and_saveexec_b64 s[0:1], vcc
	s_cbranch_execz .LBB108_419
; %bb.418:
	buffer_load_dword v95, off, s[24:27], 0 offset:176 ; 4-byte Folded Reload
	buffer_load_dword v96, off, s[24:27], 0 offset:180 ; 4-byte Folded Reload
	;; [unrolled: 1-line block ×4, first 2 shown]
	s_waitcnt vmcnt(0)
	v_mul_f64 v[89:90], v[119:120], v[97:98]
	v_fma_f64 v[125:126], v[117:118], v[95:96], -v[89:90]
	v_mul_f64 v[89:90], v[117:118], v[97:98]
	v_fma_f64 v[97:98], v[119:120], v[95:96], v[89:90]
	ds_read2_b64 v[89:92], v0 offset0:40 offset1:41
	buffer_load_dword v73, off, s[24:27], 0 offset:160 ; 4-byte Folded Reload
	buffer_load_dword v74, off, s[24:27], 0 offset:164 ; 4-byte Folded Reload
	buffer_load_dword v75, off, s[24:27], 0 offset:168 ; 4-byte Folded Reload
	buffer_load_dword v76, off, s[24:27], 0 offset:172 ; 4-byte Folded Reload
	s_waitcnt lgkmcnt(0)
	v_mul_f64 v[95:96], v[91:92], v[97:98]
	v_fma_f64 v[95:96], v[89:90], v[125:126], -v[95:96]
	v_mul_f64 v[89:90], v[89:90], v[97:98]
	v_fma_f64 v[89:90], v[91:92], v[125:126], v[89:90]
	s_waitcnt vmcnt(2)
	v_add_f64 v[73:74], v[73:74], -v[95:96]
	s_waitcnt vmcnt(0)
	v_add_f64 v[75:76], v[75:76], -v[89:90]
	buffer_store_dword v73, off, s[24:27], 0 offset:160 ; 4-byte Folded Spill
	s_nop 0
	buffer_store_dword v74, off, s[24:27], 0 offset:164 ; 4-byte Folded Spill
	buffer_store_dword v75, off, s[24:27], 0 offset:168 ; 4-byte Folded Spill
	buffer_store_dword v76, off, s[24:27], 0 offset:172 ; 4-byte Folded Spill
	ds_read2_b64 v[89:92], v0 offset0:42 offset1:43
	buffer_load_dword v73, off, s[24:27], 0 offset:144 ; 4-byte Folded Reload
	buffer_load_dword v74, off, s[24:27], 0 offset:148 ; 4-byte Folded Reload
	buffer_load_dword v75, off, s[24:27], 0 offset:152 ; 4-byte Folded Reload
	buffer_load_dword v76, off, s[24:27], 0 offset:156 ; 4-byte Folded Reload
	s_waitcnt lgkmcnt(0)
	v_mul_f64 v[95:96], v[91:92], v[97:98]
	v_fma_f64 v[95:96], v[89:90], v[125:126], -v[95:96]
	v_mul_f64 v[89:90], v[89:90], v[97:98]
	v_fma_f64 v[89:90], v[91:92], v[125:126], v[89:90]
	s_waitcnt vmcnt(2)
	v_add_f64 v[73:74], v[73:74], -v[95:96]
	s_waitcnt vmcnt(0)
	v_add_f64 v[75:76], v[75:76], -v[89:90]
	buffer_store_dword v73, off, s[24:27], 0 offset:144 ; 4-byte Folded Spill
	s_nop 0
	buffer_store_dword v74, off, s[24:27], 0 offset:148 ; 4-byte Folded Spill
	buffer_store_dword v75, off, s[24:27], 0 offset:152 ; 4-byte Folded Spill
	buffer_store_dword v76, off, s[24:27], 0 offset:156 ; 4-byte Folded Spill
	;; [unrolled: 19-line block ×10, first 2 shown]
	ds_read2_b64 v[89:92], v0 offset0:60 offset1:61
	s_waitcnt lgkmcnt(0)
	v_mul_f64 v[95:96], v[91:92], v[97:98]
	v_fma_f64 v[95:96], v[89:90], v[125:126], -v[95:96]
	v_mul_f64 v[89:90], v[89:90], v[97:98]
	v_add_f64 v[81:82], v[81:82], -v[95:96]
	v_fma_f64 v[89:90], v[91:92], v[125:126], v[89:90]
	v_add_f64 v[83:84], v[83:84], -v[89:90]
	ds_read2_b64 v[89:92], v0 offset0:62 offset1:63
	s_waitcnt lgkmcnt(0)
	v_mul_f64 v[95:96], v[91:92], v[97:98]
	v_fma_f64 v[95:96], v[89:90], v[125:126], -v[95:96]
	v_mul_f64 v[89:90], v[89:90], v[97:98]
	v_add_f64 v[85:86], v[85:86], -v[95:96]
	v_fma_f64 v[89:90], v[91:92], v[125:126], v[89:90]
	v_add_f64 v[87:88], v[87:88], -v[89:90]
	;; [unrolled: 8-line block ×5, first 2 shown]
	ds_read2_b64 v[89:92], v0 offset0:70 offset1:71
	buffer_load_dword v73, off, s[24:27], 0 ; 4-byte Folded Reload
	buffer_load_dword v74, off, s[24:27], 0 offset:4 ; 4-byte Folded Reload
	buffer_load_dword v75, off, s[24:27], 0 offset:8 ; 4-byte Folded Reload
	;; [unrolled: 1-line block ×3, first 2 shown]
	s_waitcnt lgkmcnt(0)
	v_mul_f64 v[95:96], v[91:92], v[97:98]
	v_fma_f64 v[95:96], v[89:90], v[125:126], -v[95:96]
	v_mul_f64 v[89:90], v[89:90], v[97:98]
	v_fma_f64 v[89:90], v[91:92], v[125:126], v[89:90]
	s_waitcnt vmcnt(2)
	v_add_f64 v[73:74], v[73:74], -v[95:96]
	s_waitcnt vmcnt(0)
	v_add_f64 v[75:76], v[75:76], -v[89:90]
	buffer_store_dword v73, off, s[24:27], 0 ; 4-byte Folded Spill
	s_nop 0
	buffer_store_dword v74, off, s[24:27], 0 offset:4 ; 4-byte Folded Spill
	buffer_store_dword v75, off, s[24:27], 0 offset:8 ; 4-byte Folded Spill
	;; [unrolled: 1-line block ×3, first 2 shown]
	ds_read2_b64 v[89:92], v0 offset0:72 offset1:73
	s_waitcnt lgkmcnt(0)
	v_mul_f64 v[95:96], v[91:92], v[97:98]
	v_fma_f64 v[95:96], v[89:90], v[125:126], -v[95:96]
	v_mul_f64 v[89:90], v[89:90], v[97:98]
	v_add_f64 v[69:70], v[69:70], -v[95:96]
	v_fma_f64 v[89:90], v[91:92], v[125:126], v[89:90]
	v_add_f64 v[71:72], v[71:72], -v[89:90]
	ds_read2_b64 v[89:92], v0 offset0:74 offset1:75
	s_waitcnt lgkmcnt(0)
	v_mul_f64 v[95:96], v[91:92], v[97:98]
	v_fma_f64 v[95:96], v[89:90], v[125:126], -v[95:96]
	v_mul_f64 v[89:90], v[89:90], v[97:98]
	v_add_f64 v[65:66], v[65:66], -v[95:96]
	v_fma_f64 v[89:90], v[91:92], v[125:126], v[89:90]
	v_add_f64 v[67:68], v[67:68], -v[89:90]
	;; [unrolled: 8-line block ×18, first 2 shown]
	ds_read2_b64 v[89:92], v0 offset0:108 offset1:109
	s_waitcnt lgkmcnt(0)
	v_mul_f64 v[95:96], v[91:92], v[97:98]
	v_fma_f64 v[95:96], v[89:90], v[125:126], -v[95:96]
	v_mul_f64 v[89:90], v[89:90], v[97:98]
	v_add_f64 v[121:122], v[121:122], -v[95:96]
	v_fma_f64 v[89:90], v[91:92], v[125:126], v[89:90]
	v_mov_b32_e32 v95, v125
	v_mov_b32_e32 v96, v126
	buffer_store_dword v95, off, s[24:27], 0 offset:176 ; 4-byte Folded Spill
	s_nop 0
	buffer_store_dword v96, off, s[24:27], 0 offset:180 ; 4-byte Folded Spill
	buffer_store_dword v97, off, s[24:27], 0 offset:184 ; 4-byte Folded Spill
	;; [unrolled: 1-line block ×3, first 2 shown]
	v_add_f64 v[123:124], v[123:124], -v[89:90]
.LBB108_419:
	s_or_b64 exec, exec, s[0:1]
	s_waitcnt vmcnt(0)
	s_barrier
	buffer_load_dword v73, off, s[24:27], 0 offset:160 ; 4-byte Folded Reload
	buffer_load_dword v74, off, s[24:27], 0 offset:164 ; 4-byte Folded Reload
	;; [unrolled: 1-line block ×4, first 2 shown]
	v_lshl_add_u32 v89, v93, 4, v0
	s_cmp_lt_i32 s3, 22
	s_waitcnt vmcnt(0)
	ds_write2_b64 v89, v[73:74], v[75:76] offset1:1
	s_waitcnt lgkmcnt(0)
	s_barrier
	ds_read2_b64 v[117:120], v0 offset0:40 offset1:41
	v_mov_b32_e32 v89, 20
	s_cbranch_scc1 .LBB108_422
; %bb.420:
	v_add_u32_e32 v90, 0x150, v0
	s_mov_b32 s0, 21
	v_mov_b32_e32 v89, 20
.LBB108_421:                            ; =>This Inner Loop Header: Depth=1
	s_waitcnt lgkmcnt(0)
	v_cmp_gt_f64_e32 vcc, 0, v[117:118]
	v_xor_b32_e32 v91, 0x80000000, v118
	ds_read2_b64 v[95:98], v90 offset1:1
	v_xor_b32_e32 v99, 0x80000000, v120
	v_add_u32_e32 v90, 16, v90
	s_waitcnt lgkmcnt(0)
	v_xor_b32_e32 v101, 0x80000000, v98
	v_cndmask_b32_e32 v92, v118, v91, vcc
	v_cmp_gt_f64_e32 vcc, 0, v[119:120]
	v_mov_b32_e32 v91, v117
	v_cndmask_b32_e32 v100, v120, v99, vcc
	v_cmp_gt_f64_e32 vcc, 0, v[95:96]
	v_mov_b32_e32 v99, v119
	v_add_f64 v[91:92], v[91:92], v[99:100]
	v_xor_b32_e32 v99, 0x80000000, v96
	v_cndmask_b32_e32 v100, v96, v99, vcc
	v_cmp_gt_f64_e32 vcc, 0, v[97:98]
	v_mov_b32_e32 v99, v95
	v_cndmask_b32_e32 v102, v98, v101, vcc
	v_mov_b32_e32 v101, v97
	v_add_f64 v[99:100], v[99:100], v[101:102]
	v_cmp_lt_f64_e32 vcc, v[91:92], v[99:100]
	v_mov_b32_e32 v91, s0
	s_add_i32 s0, s0, 1
	s_cmp_lg_u32 s3, s0
	v_cndmask_b32_e32 v118, v118, v96, vcc
	v_cndmask_b32_e32 v117, v117, v95, vcc
	;; [unrolled: 1-line block ×5, first 2 shown]
	s_cbranch_scc1 .LBB108_421
.LBB108_422:
	s_waitcnt lgkmcnt(0)
	v_cmp_eq_f64_e32 vcc, 0, v[117:118]
	v_cmp_eq_f64_e64 s[0:1], 0, v[119:120]
	s_and_b64 s[0:1], vcc, s[0:1]
	s_and_saveexec_b64 s[18:19], s[0:1]
	s_xor_b64 s[0:1], exec, s[18:19]
; %bb.423:
	v_cmp_ne_u32_e32 vcc, 0, v94
	v_cndmask_b32_e32 v94, 21, v94, vcc
; %bb.424:
	s_andn2_saveexec_b64 s[0:1], s[0:1]
	s_cbranch_execz .LBB108_430
; %bb.425:
	v_cmp_ngt_f64_e64 s[18:19], |v[117:118]|, |v[119:120]|
	s_and_saveexec_b64 s[20:21], s[18:19]
	s_xor_b64 s[18:19], exec, s[20:21]
	s_cbranch_execz .LBB108_427
; %bb.426:
	v_div_scale_f64 v[90:91], s[20:21], v[119:120], v[119:120], v[117:118]
	v_rcp_f64_e32 v[95:96], v[90:91]
	v_fma_f64 v[97:98], -v[90:91], v[95:96], 1.0
	v_fma_f64 v[95:96], v[95:96], v[97:98], v[95:96]
	v_div_scale_f64 v[97:98], vcc, v[117:118], v[119:120], v[117:118]
	v_fma_f64 v[99:100], -v[90:91], v[95:96], 1.0
	v_fma_f64 v[95:96], v[95:96], v[99:100], v[95:96]
	v_mul_f64 v[99:100], v[97:98], v[95:96]
	v_fma_f64 v[90:91], -v[90:91], v[99:100], v[97:98]
	v_div_fmas_f64 v[90:91], v[90:91], v[95:96], v[99:100]
	v_div_fixup_f64 v[90:91], v[90:91], v[119:120], v[117:118]
	v_fma_f64 v[95:96], v[117:118], v[90:91], v[119:120]
	v_div_scale_f64 v[97:98], s[20:21], v[95:96], v[95:96], 1.0
	v_div_scale_f64 v[103:104], vcc, 1.0, v[95:96], 1.0
	v_rcp_f64_e32 v[99:100], v[97:98]
	v_fma_f64 v[101:102], -v[97:98], v[99:100], 1.0
	v_fma_f64 v[99:100], v[99:100], v[101:102], v[99:100]
	v_fma_f64 v[101:102], -v[97:98], v[99:100], 1.0
	v_fma_f64 v[99:100], v[99:100], v[101:102], v[99:100]
	v_mul_f64 v[101:102], v[103:104], v[99:100]
	v_fma_f64 v[97:98], -v[97:98], v[101:102], v[103:104]
	v_div_fmas_f64 v[97:98], v[97:98], v[99:100], v[101:102]
	v_div_fixup_f64 v[119:120], v[97:98], v[95:96], 1.0
	v_mul_f64 v[117:118], v[90:91], v[119:120]
	v_xor_b32_e32 v120, 0x80000000, v120
.LBB108_427:
	s_andn2_saveexec_b64 s[18:19], s[18:19]
	s_cbranch_execz .LBB108_429
; %bb.428:
	v_div_scale_f64 v[90:91], s[20:21], v[117:118], v[117:118], v[119:120]
	v_rcp_f64_e32 v[95:96], v[90:91]
	v_fma_f64 v[97:98], -v[90:91], v[95:96], 1.0
	v_fma_f64 v[95:96], v[95:96], v[97:98], v[95:96]
	v_div_scale_f64 v[97:98], vcc, v[119:120], v[117:118], v[119:120]
	v_fma_f64 v[99:100], -v[90:91], v[95:96], 1.0
	v_fma_f64 v[95:96], v[95:96], v[99:100], v[95:96]
	v_mul_f64 v[99:100], v[97:98], v[95:96]
	v_fma_f64 v[90:91], -v[90:91], v[99:100], v[97:98]
	v_div_fmas_f64 v[90:91], v[90:91], v[95:96], v[99:100]
	v_div_fixup_f64 v[90:91], v[90:91], v[117:118], v[119:120]
	v_fma_f64 v[95:96], v[119:120], v[90:91], v[117:118]
	v_div_scale_f64 v[97:98], s[20:21], v[95:96], v[95:96], 1.0
	v_div_scale_f64 v[103:104], vcc, 1.0, v[95:96], 1.0
	v_rcp_f64_e32 v[99:100], v[97:98]
	v_fma_f64 v[101:102], -v[97:98], v[99:100], 1.0
	v_fma_f64 v[99:100], v[99:100], v[101:102], v[99:100]
	v_fma_f64 v[101:102], -v[97:98], v[99:100], 1.0
	v_fma_f64 v[99:100], v[99:100], v[101:102], v[99:100]
	v_mul_f64 v[101:102], v[103:104], v[99:100]
	v_fma_f64 v[97:98], -v[97:98], v[101:102], v[103:104]
	v_div_fmas_f64 v[97:98], v[97:98], v[99:100], v[101:102]
	v_div_fixup_f64 v[117:118], v[97:98], v[95:96], 1.0
	v_mul_f64 v[119:120], v[90:91], -v[117:118]
.LBB108_429:
	s_or_b64 exec, exec, s[18:19]
.LBB108_430:
	s_or_b64 exec, exec, s[0:1]
	v_cmp_ne_u32_e32 vcc, v93, v89
	s_and_saveexec_b64 s[0:1], vcc
	s_xor_b64 s[0:1], exec, s[0:1]
	s_cbranch_execz .LBB108_436
; %bb.431:
	v_cmp_eq_u32_e32 vcc, 20, v93
	s_and_saveexec_b64 s[18:19], vcc
	s_cbranch_execz .LBB108_435
; %bb.432:
	v_cmp_ne_u32_e32 vcc, 20, v89
	s_xor_b64 s[20:21], s[6:7], -1
	s_and_b64 s[22:23], s[20:21], vcc
	s_and_saveexec_b64 s[20:21], s[22:23]
	s_cbranch_execz .LBB108_434
; %bb.433:
	v_mov_b32_e32 v73, v81
	v_mov_b32_e32 v74, v82
	v_mov_b32_e32 v75, v83
	v_mov_b32_e32 v76, v84
	buffer_load_dword v81, off, s[24:27], 0 offset:452 ; 4-byte Folded Reload
	buffer_load_dword v82, off, s[24:27], 0 offset:456 ; 4-byte Folded Reload
	v_ashrrev_i32_e32 v90, 31, v89
	v_lshlrev_b64 v[90:91], 2, v[89:90]
	s_waitcnt vmcnt(1)
	v_add_co_u32_e32 v90, vcc, v81, v90
	s_waitcnt vmcnt(0)
	v_addc_co_u32_e32 v91, vcc, v82, v91, vcc
	global_load_dword v92, v[90:91], off
	global_load_dword v93, v[81:82], off offset:80
	s_waitcnt vmcnt(1)
	global_store_dword v[81:82], v92, off offset:80
	v_mov_b32_e32 v84, v76
	v_mov_b32_e32 v83, v75
	;; [unrolled: 1-line block ×4, first 2 shown]
	s_waitcnt vmcnt(1)
	global_store_dword v[90:91], v93, off
.LBB108_434:
	s_or_b64 exec, exec, s[20:21]
	v_mov_b32_e32 v93, v89
	v_mov_b32_e32 v73, v89
	buffer_store_dword v73, off, s[24:27], 0 offset:368 ; 4-byte Folded Spill
.LBB108_435:
	s_or_b64 exec, exec, s[18:19]
.LBB108_436:
	s_andn2_saveexec_b64 s[0:1], s[0:1]
	s_cbranch_execz .LBB108_438
; %bb.437:
	buffer_load_dword v73, off, s[24:27], 0 offset:144 ; 4-byte Folded Reload
	buffer_load_dword v74, off, s[24:27], 0 offset:148 ; 4-byte Folded Reload
	;; [unrolled: 1-line block ×4, first 2 shown]
	v_mov_b32_e32 v93, 20
	s_waitcnt vmcnt(0)
	ds_write2_b64 v0, v[73:74], v[75:76] offset0:42 offset1:43
	buffer_load_dword v73, off, s[24:27], 0 offset:128 ; 4-byte Folded Reload
	buffer_load_dword v74, off, s[24:27], 0 offset:132 ; 4-byte Folded Reload
	buffer_load_dword v75, off, s[24:27], 0 offset:136 ; 4-byte Folded Reload
	buffer_load_dword v76, off, s[24:27], 0 offset:140 ; 4-byte Folded Reload
	s_waitcnt vmcnt(0)
	ds_write2_b64 v0, v[73:74], v[75:76] offset0:44 offset1:45
	buffer_load_dword v73, off, s[24:27], 0 offset:112 ; 4-byte Folded Reload
	buffer_load_dword v74, off, s[24:27], 0 offset:116 ; 4-byte Folded Reload
	buffer_load_dword v75, off, s[24:27], 0 offset:120 ; 4-byte Folded Reload
	buffer_load_dword v76, off, s[24:27], 0 offset:124 ; 4-byte Folded Reload
	;; [unrolled: 6-line block ×8, first 2 shown]
	s_waitcnt vmcnt(0)
	ds_write2_b64 v0, v[73:74], v[75:76] offset0:58 offset1:59
	ds_write2_b64 v0, v[81:82], v[83:84] offset0:60 offset1:61
	;; [unrolled: 1-line block ×6, first 2 shown]
	buffer_load_dword v73, off, s[24:27], 0 ; 4-byte Folded Reload
	buffer_load_dword v74, off, s[24:27], 0 offset:4 ; 4-byte Folded Reload
	buffer_load_dword v75, off, s[24:27], 0 offset:8 ; 4-byte Folded Reload
	;; [unrolled: 1-line block ×3, first 2 shown]
	s_waitcnt vmcnt(0)
	ds_write2_b64 v0, v[73:74], v[75:76] offset0:70 offset1:71
	ds_write2_b64 v0, v[69:70], v[71:72] offset0:72 offset1:73
	;; [unrolled: 1-line block ×20, first 2 shown]
.LBB108_438:
	s_or_b64 exec, exec, s[0:1]
	v_cmp_lt_i32_e32 vcc, 20, v93
	s_waitcnt vmcnt(0) lgkmcnt(0)
	s_barrier
	s_and_saveexec_b64 s[0:1], vcc
	s_cbranch_execz .LBB108_440
; %bb.439:
	buffer_load_dword v95, off, s[24:27], 0 offset:160 ; 4-byte Folded Reload
	buffer_load_dword v96, off, s[24:27], 0 offset:164 ; 4-byte Folded Reload
	buffer_load_dword v97, off, s[24:27], 0 offset:168 ; 4-byte Folded Reload
	buffer_load_dword v98, off, s[24:27], 0 offset:172 ; 4-byte Folded Reload
	s_waitcnt vmcnt(0)
	v_mul_f64 v[89:90], v[119:120], v[97:98]
	v_fma_f64 v[125:126], v[117:118], v[95:96], -v[89:90]
	v_mul_f64 v[89:90], v[117:118], v[97:98]
	v_fma_f64 v[97:98], v[119:120], v[95:96], v[89:90]
	ds_read2_b64 v[89:92], v0 offset0:42 offset1:43
	buffer_load_dword v73, off, s[24:27], 0 offset:144 ; 4-byte Folded Reload
	buffer_load_dword v74, off, s[24:27], 0 offset:148 ; 4-byte Folded Reload
	buffer_load_dword v75, off, s[24:27], 0 offset:152 ; 4-byte Folded Reload
	buffer_load_dword v76, off, s[24:27], 0 offset:156 ; 4-byte Folded Reload
	s_waitcnt lgkmcnt(0)
	v_mul_f64 v[95:96], v[91:92], v[97:98]
	v_fma_f64 v[95:96], v[89:90], v[125:126], -v[95:96]
	v_mul_f64 v[89:90], v[89:90], v[97:98]
	v_fma_f64 v[89:90], v[91:92], v[125:126], v[89:90]
	s_waitcnt vmcnt(2)
	v_add_f64 v[73:74], v[73:74], -v[95:96]
	s_waitcnt vmcnt(0)
	v_add_f64 v[75:76], v[75:76], -v[89:90]
	buffer_store_dword v73, off, s[24:27], 0 offset:144 ; 4-byte Folded Spill
	s_nop 0
	buffer_store_dword v74, off, s[24:27], 0 offset:148 ; 4-byte Folded Spill
	buffer_store_dword v75, off, s[24:27], 0 offset:152 ; 4-byte Folded Spill
	buffer_store_dword v76, off, s[24:27], 0 offset:156 ; 4-byte Folded Spill
	ds_read2_b64 v[89:92], v0 offset0:44 offset1:45
	buffer_load_dword v73, off, s[24:27], 0 offset:128 ; 4-byte Folded Reload
	buffer_load_dword v74, off, s[24:27], 0 offset:132 ; 4-byte Folded Reload
	buffer_load_dword v75, off, s[24:27], 0 offset:136 ; 4-byte Folded Reload
	buffer_load_dword v76, off, s[24:27], 0 offset:140 ; 4-byte Folded Reload
	s_waitcnt lgkmcnt(0)
	v_mul_f64 v[95:96], v[91:92], v[97:98]
	v_fma_f64 v[95:96], v[89:90], v[125:126], -v[95:96]
	v_mul_f64 v[89:90], v[89:90], v[97:98]
	v_fma_f64 v[89:90], v[91:92], v[125:126], v[89:90]
	s_waitcnt vmcnt(2)
	v_add_f64 v[73:74], v[73:74], -v[95:96]
	s_waitcnt vmcnt(0)
	v_add_f64 v[75:76], v[75:76], -v[89:90]
	buffer_store_dword v73, off, s[24:27], 0 offset:128 ; 4-byte Folded Spill
	s_nop 0
	buffer_store_dword v74, off, s[24:27], 0 offset:132 ; 4-byte Folded Spill
	buffer_store_dword v75, off, s[24:27], 0 offset:136 ; 4-byte Folded Spill
	buffer_store_dword v76, off, s[24:27], 0 offset:140 ; 4-byte Folded Spill
	;; [unrolled: 19-line block ×9, first 2 shown]
	ds_read2_b64 v[89:92], v0 offset0:60 offset1:61
	s_waitcnt lgkmcnt(0)
	v_mul_f64 v[95:96], v[91:92], v[97:98]
	v_fma_f64 v[95:96], v[89:90], v[125:126], -v[95:96]
	v_mul_f64 v[89:90], v[89:90], v[97:98]
	v_add_f64 v[81:82], v[81:82], -v[95:96]
	v_fma_f64 v[89:90], v[91:92], v[125:126], v[89:90]
	v_add_f64 v[83:84], v[83:84], -v[89:90]
	ds_read2_b64 v[89:92], v0 offset0:62 offset1:63
	s_waitcnt lgkmcnt(0)
	v_mul_f64 v[95:96], v[91:92], v[97:98]
	v_fma_f64 v[95:96], v[89:90], v[125:126], -v[95:96]
	v_mul_f64 v[89:90], v[89:90], v[97:98]
	v_add_f64 v[85:86], v[85:86], -v[95:96]
	v_fma_f64 v[89:90], v[91:92], v[125:126], v[89:90]
	v_add_f64 v[87:88], v[87:88], -v[89:90]
	;; [unrolled: 8-line block ×5, first 2 shown]
	ds_read2_b64 v[89:92], v0 offset0:70 offset1:71
	buffer_load_dword v73, off, s[24:27], 0 ; 4-byte Folded Reload
	buffer_load_dword v74, off, s[24:27], 0 offset:4 ; 4-byte Folded Reload
	buffer_load_dword v75, off, s[24:27], 0 offset:8 ; 4-byte Folded Reload
	;; [unrolled: 1-line block ×3, first 2 shown]
	s_waitcnt lgkmcnt(0)
	v_mul_f64 v[95:96], v[91:92], v[97:98]
	v_fma_f64 v[95:96], v[89:90], v[125:126], -v[95:96]
	v_mul_f64 v[89:90], v[89:90], v[97:98]
	v_fma_f64 v[89:90], v[91:92], v[125:126], v[89:90]
	s_waitcnt vmcnt(2)
	v_add_f64 v[73:74], v[73:74], -v[95:96]
	s_waitcnt vmcnt(0)
	v_add_f64 v[75:76], v[75:76], -v[89:90]
	buffer_store_dword v73, off, s[24:27], 0 ; 4-byte Folded Spill
	s_nop 0
	buffer_store_dword v74, off, s[24:27], 0 offset:4 ; 4-byte Folded Spill
	buffer_store_dword v75, off, s[24:27], 0 offset:8 ; 4-byte Folded Spill
	;; [unrolled: 1-line block ×3, first 2 shown]
	ds_read2_b64 v[89:92], v0 offset0:72 offset1:73
	s_waitcnt lgkmcnt(0)
	v_mul_f64 v[95:96], v[91:92], v[97:98]
	v_fma_f64 v[95:96], v[89:90], v[125:126], -v[95:96]
	v_mul_f64 v[89:90], v[89:90], v[97:98]
	v_add_f64 v[69:70], v[69:70], -v[95:96]
	v_fma_f64 v[89:90], v[91:92], v[125:126], v[89:90]
	v_add_f64 v[71:72], v[71:72], -v[89:90]
	ds_read2_b64 v[89:92], v0 offset0:74 offset1:75
	s_waitcnt lgkmcnt(0)
	v_mul_f64 v[95:96], v[91:92], v[97:98]
	v_fma_f64 v[95:96], v[89:90], v[125:126], -v[95:96]
	v_mul_f64 v[89:90], v[89:90], v[97:98]
	v_add_f64 v[65:66], v[65:66], -v[95:96]
	v_fma_f64 v[89:90], v[91:92], v[125:126], v[89:90]
	v_add_f64 v[67:68], v[67:68], -v[89:90]
	;; [unrolled: 8-line block ×18, first 2 shown]
	ds_read2_b64 v[89:92], v0 offset0:108 offset1:109
	s_waitcnt lgkmcnt(0)
	v_mul_f64 v[95:96], v[91:92], v[97:98]
	v_fma_f64 v[95:96], v[89:90], v[125:126], -v[95:96]
	v_mul_f64 v[89:90], v[89:90], v[97:98]
	v_add_f64 v[121:122], v[121:122], -v[95:96]
	v_fma_f64 v[89:90], v[91:92], v[125:126], v[89:90]
	v_mov_b32_e32 v95, v125
	v_mov_b32_e32 v96, v126
	buffer_store_dword v95, off, s[24:27], 0 offset:160 ; 4-byte Folded Spill
	s_nop 0
	buffer_store_dword v96, off, s[24:27], 0 offset:164 ; 4-byte Folded Spill
	buffer_store_dword v97, off, s[24:27], 0 offset:168 ; 4-byte Folded Spill
	;; [unrolled: 1-line block ×3, first 2 shown]
	v_add_f64 v[123:124], v[123:124], -v[89:90]
.LBB108_440:
	s_or_b64 exec, exec, s[0:1]
	s_waitcnt vmcnt(0)
	s_barrier
	buffer_load_dword v73, off, s[24:27], 0 offset:144 ; 4-byte Folded Reload
	buffer_load_dword v74, off, s[24:27], 0 offset:148 ; 4-byte Folded Reload
	;; [unrolled: 1-line block ×4, first 2 shown]
	v_lshl_add_u32 v89, v93, 4, v0
	s_cmp_lt_i32 s3, 23
	s_waitcnt vmcnt(0)
	ds_write2_b64 v89, v[73:74], v[75:76] offset1:1
	s_waitcnt lgkmcnt(0)
	s_barrier
	ds_read2_b64 v[117:120], v0 offset0:42 offset1:43
	v_mov_b32_e32 v89, 21
	s_cbranch_scc1 .LBB108_443
; %bb.441:
	v_add_u32_e32 v90, 0x160, v0
	s_mov_b32 s0, 22
	v_mov_b32_e32 v89, 21
.LBB108_442:                            ; =>This Inner Loop Header: Depth=1
	s_waitcnt lgkmcnt(0)
	v_cmp_gt_f64_e32 vcc, 0, v[117:118]
	v_xor_b32_e32 v91, 0x80000000, v118
	ds_read2_b64 v[95:98], v90 offset1:1
	v_xor_b32_e32 v99, 0x80000000, v120
	v_add_u32_e32 v90, 16, v90
	s_waitcnt lgkmcnt(0)
	v_xor_b32_e32 v101, 0x80000000, v98
	v_cndmask_b32_e32 v92, v118, v91, vcc
	v_cmp_gt_f64_e32 vcc, 0, v[119:120]
	v_mov_b32_e32 v91, v117
	v_cndmask_b32_e32 v100, v120, v99, vcc
	v_cmp_gt_f64_e32 vcc, 0, v[95:96]
	v_mov_b32_e32 v99, v119
	v_add_f64 v[91:92], v[91:92], v[99:100]
	v_xor_b32_e32 v99, 0x80000000, v96
	v_cndmask_b32_e32 v100, v96, v99, vcc
	v_cmp_gt_f64_e32 vcc, 0, v[97:98]
	v_mov_b32_e32 v99, v95
	v_cndmask_b32_e32 v102, v98, v101, vcc
	v_mov_b32_e32 v101, v97
	v_add_f64 v[99:100], v[99:100], v[101:102]
	v_cmp_lt_f64_e32 vcc, v[91:92], v[99:100]
	v_mov_b32_e32 v91, s0
	s_add_i32 s0, s0, 1
	s_cmp_lg_u32 s3, s0
	v_cndmask_b32_e32 v118, v118, v96, vcc
	v_cndmask_b32_e32 v117, v117, v95, vcc
	;; [unrolled: 1-line block ×5, first 2 shown]
	s_cbranch_scc1 .LBB108_442
.LBB108_443:
	s_waitcnt lgkmcnt(0)
	v_cmp_eq_f64_e32 vcc, 0, v[117:118]
	v_cmp_eq_f64_e64 s[0:1], 0, v[119:120]
	s_and_b64 s[0:1], vcc, s[0:1]
	s_and_saveexec_b64 s[18:19], s[0:1]
	s_xor_b64 s[0:1], exec, s[18:19]
; %bb.444:
	v_cmp_ne_u32_e32 vcc, 0, v94
	v_cndmask_b32_e32 v94, 22, v94, vcc
; %bb.445:
	s_andn2_saveexec_b64 s[0:1], s[0:1]
	s_cbranch_execz .LBB108_451
; %bb.446:
	v_cmp_ngt_f64_e64 s[18:19], |v[117:118]|, |v[119:120]|
	s_and_saveexec_b64 s[20:21], s[18:19]
	s_xor_b64 s[18:19], exec, s[20:21]
	s_cbranch_execz .LBB108_448
; %bb.447:
	v_div_scale_f64 v[90:91], s[20:21], v[119:120], v[119:120], v[117:118]
	v_rcp_f64_e32 v[95:96], v[90:91]
	v_fma_f64 v[97:98], -v[90:91], v[95:96], 1.0
	v_fma_f64 v[95:96], v[95:96], v[97:98], v[95:96]
	v_div_scale_f64 v[97:98], vcc, v[117:118], v[119:120], v[117:118]
	v_fma_f64 v[99:100], -v[90:91], v[95:96], 1.0
	v_fma_f64 v[95:96], v[95:96], v[99:100], v[95:96]
	v_mul_f64 v[99:100], v[97:98], v[95:96]
	v_fma_f64 v[90:91], -v[90:91], v[99:100], v[97:98]
	v_div_fmas_f64 v[90:91], v[90:91], v[95:96], v[99:100]
	v_div_fixup_f64 v[90:91], v[90:91], v[119:120], v[117:118]
	v_fma_f64 v[95:96], v[117:118], v[90:91], v[119:120]
	v_div_scale_f64 v[97:98], s[20:21], v[95:96], v[95:96], 1.0
	v_div_scale_f64 v[103:104], vcc, 1.0, v[95:96], 1.0
	v_rcp_f64_e32 v[99:100], v[97:98]
	v_fma_f64 v[101:102], -v[97:98], v[99:100], 1.0
	v_fma_f64 v[99:100], v[99:100], v[101:102], v[99:100]
	v_fma_f64 v[101:102], -v[97:98], v[99:100], 1.0
	v_fma_f64 v[99:100], v[99:100], v[101:102], v[99:100]
	v_mul_f64 v[101:102], v[103:104], v[99:100]
	v_fma_f64 v[97:98], -v[97:98], v[101:102], v[103:104]
	v_div_fmas_f64 v[97:98], v[97:98], v[99:100], v[101:102]
	v_div_fixup_f64 v[119:120], v[97:98], v[95:96], 1.0
	v_mul_f64 v[117:118], v[90:91], v[119:120]
	v_xor_b32_e32 v120, 0x80000000, v120
.LBB108_448:
	s_andn2_saveexec_b64 s[18:19], s[18:19]
	s_cbranch_execz .LBB108_450
; %bb.449:
	v_div_scale_f64 v[90:91], s[20:21], v[117:118], v[117:118], v[119:120]
	v_rcp_f64_e32 v[95:96], v[90:91]
	v_fma_f64 v[97:98], -v[90:91], v[95:96], 1.0
	v_fma_f64 v[95:96], v[95:96], v[97:98], v[95:96]
	v_div_scale_f64 v[97:98], vcc, v[119:120], v[117:118], v[119:120]
	v_fma_f64 v[99:100], -v[90:91], v[95:96], 1.0
	v_fma_f64 v[95:96], v[95:96], v[99:100], v[95:96]
	v_mul_f64 v[99:100], v[97:98], v[95:96]
	v_fma_f64 v[90:91], -v[90:91], v[99:100], v[97:98]
	v_div_fmas_f64 v[90:91], v[90:91], v[95:96], v[99:100]
	v_div_fixup_f64 v[90:91], v[90:91], v[117:118], v[119:120]
	v_fma_f64 v[95:96], v[119:120], v[90:91], v[117:118]
	v_div_scale_f64 v[97:98], s[20:21], v[95:96], v[95:96], 1.0
	v_div_scale_f64 v[103:104], vcc, 1.0, v[95:96], 1.0
	v_rcp_f64_e32 v[99:100], v[97:98]
	v_fma_f64 v[101:102], -v[97:98], v[99:100], 1.0
	v_fma_f64 v[99:100], v[99:100], v[101:102], v[99:100]
	v_fma_f64 v[101:102], -v[97:98], v[99:100], 1.0
	v_fma_f64 v[99:100], v[99:100], v[101:102], v[99:100]
	v_mul_f64 v[101:102], v[103:104], v[99:100]
	v_fma_f64 v[97:98], -v[97:98], v[101:102], v[103:104]
	v_div_fmas_f64 v[97:98], v[97:98], v[99:100], v[101:102]
	v_div_fixup_f64 v[117:118], v[97:98], v[95:96], 1.0
	v_mul_f64 v[119:120], v[90:91], -v[117:118]
.LBB108_450:
	s_or_b64 exec, exec, s[18:19]
.LBB108_451:
	s_or_b64 exec, exec, s[0:1]
	v_cmp_ne_u32_e32 vcc, v93, v89
	s_and_saveexec_b64 s[0:1], vcc
	s_xor_b64 s[0:1], exec, s[0:1]
	s_cbranch_execz .LBB108_457
; %bb.452:
	v_cmp_eq_u32_e32 vcc, 21, v93
	s_and_saveexec_b64 s[18:19], vcc
	s_cbranch_execz .LBB108_456
; %bb.453:
	v_cmp_ne_u32_e32 vcc, 21, v89
	s_xor_b64 s[20:21], s[6:7], -1
	s_and_b64 s[22:23], s[20:21], vcc
	s_and_saveexec_b64 s[20:21], s[22:23]
	s_cbranch_execz .LBB108_455
; %bb.454:
	v_mov_b32_e32 v73, v81
	v_mov_b32_e32 v74, v82
	;; [unrolled: 1-line block ×4, first 2 shown]
	buffer_load_dword v81, off, s[24:27], 0 offset:452 ; 4-byte Folded Reload
	buffer_load_dword v82, off, s[24:27], 0 offset:456 ; 4-byte Folded Reload
	v_ashrrev_i32_e32 v90, 31, v89
	v_lshlrev_b64 v[90:91], 2, v[89:90]
	s_waitcnt vmcnt(1)
	v_add_co_u32_e32 v90, vcc, v81, v90
	s_waitcnt vmcnt(0)
	v_addc_co_u32_e32 v91, vcc, v82, v91, vcc
	global_load_dword v92, v[90:91], off
	global_load_dword v93, v[81:82], off offset:84
	s_waitcnt vmcnt(1)
	global_store_dword v[81:82], v92, off offset:84
	v_mov_b32_e32 v84, v76
	v_mov_b32_e32 v83, v75
	;; [unrolled: 1-line block ×4, first 2 shown]
	s_waitcnt vmcnt(1)
	global_store_dword v[90:91], v93, off
.LBB108_455:
	s_or_b64 exec, exec, s[20:21]
	v_mov_b32_e32 v93, v89
	v_mov_b32_e32 v73, v89
	buffer_store_dword v73, off, s[24:27], 0 offset:368 ; 4-byte Folded Spill
.LBB108_456:
	s_or_b64 exec, exec, s[18:19]
.LBB108_457:
	s_andn2_saveexec_b64 s[0:1], s[0:1]
	s_cbranch_execz .LBB108_459
; %bb.458:
	buffer_load_dword v73, off, s[24:27], 0 offset:128 ; 4-byte Folded Reload
	buffer_load_dword v74, off, s[24:27], 0 offset:132 ; 4-byte Folded Reload
	;; [unrolled: 1-line block ×4, first 2 shown]
	v_mov_b32_e32 v93, 21
	s_waitcnt vmcnt(0)
	ds_write2_b64 v0, v[73:74], v[75:76] offset0:44 offset1:45
	buffer_load_dword v73, off, s[24:27], 0 offset:112 ; 4-byte Folded Reload
	buffer_load_dword v74, off, s[24:27], 0 offset:116 ; 4-byte Folded Reload
	buffer_load_dword v75, off, s[24:27], 0 offset:120 ; 4-byte Folded Reload
	buffer_load_dword v76, off, s[24:27], 0 offset:124 ; 4-byte Folded Reload
	s_waitcnt vmcnt(0)
	ds_write2_b64 v0, v[73:74], v[75:76] offset0:46 offset1:47
	buffer_load_dword v73, off, s[24:27], 0 offset:96 ; 4-byte Folded Reload
	buffer_load_dword v74, off, s[24:27], 0 offset:100 ; 4-byte Folded Reload
	buffer_load_dword v75, off, s[24:27], 0 offset:104 ; 4-byte Folded Reload
	buffer_load_dword v76, off, s[24:27], 0 offset:108 ; 4-byte Folded Reload
	s_waitcnt vmcnt(0)
	ds_write2_b64 v0, v[73:74], v[75:76] offset0:48 offset1:49
	buffer_load_dword v73, off, s[24:27], 0 offset:80 ; 4-byte Folded Reload
	buffer_load_dword v74, off, s[24:27], 0 offset:84 ; 4-byte Folded Reload
	buffer_load_dword v75, off, s[24:27], 0 offset:88 ; 4-byte Folded Reload
	buffer_load_dword v76, off, s[24:27], 0 offset:92 ; 4-byte Folded Reload
	s_waitcnt vmcnt(0)
	ds_write2_b64 v0, v[73:74], v[75:76] offset0:50 offset1:51
	buffer_load_dword v73, off, s[24:27], 0 offset:64 ; 4-byte Folded Reload
	buffer_load_dword v74, off, s[24:27], 0 offset:68 ; 4-byte Folded Reload
	buffer_load_dword v75, off, s[24:27], 0 offset:72 ; 4-byte Folded Reload
	buffer_load_dword v76, off, s[24:27], 0 offset:76 ; 4-byte Folded Reload
	s_waitcnt vmcnt(0)
	ds_write2_b64 v0, v[73:74], v[75:76] offset0:52 offset1:53
	buffer_load_dword v73, off, s[24:27], 0 offset:48 ; 4-byte Folded Reload
	buffer_load_dword v74, off, s[24:27], 0 offset:52 ; 4-byte Folded Reload
	buffer_load_dword v75, off, s[24:27], 0 offset:56 ; 4-byte Folded Reload
	buffer_load_dword v76, off, s[24:27], 0 offset:60 ; 4-byte Folded Reload
	s_waitcnt vmcnt(0)
	ds_write2_b64 v0, v[73:74], v[75:76] offset0:54 offset1:55
	buffer_load_dword v73, off, s[24:27], 0 offset:32 ; 4-byte Folded Reload
	buffer_load_dword v74, off, s[24:27], 0 offset:36 ; 4-byte Folded Reload
	buffer_load_dword v75, off, s[24:27], 0 offset:40 ; 4-byte Folded Reload
	buffer_load_dword v76, off, s[24:27], 0 offset:44 ; 4-byte Folded Reload
	s_waitcnt vmcnt(0)
	ds_write2_b64 v0, v[73:74], v[75:76] offset0:56 offset1:57
	buffer_load_dword v73, off, s[24:27], 0 offset:16 ; 4-byte Folded Reload
	buffer_load_dword v74, off, s[24:27], 0 offset:20 ; 4-byte Folded Reload
	buffer_load_dword v75, off, s[24:27], 0 offset:24 ; 4-byte Folded Reload
	buffer_load_dword v76, off, s[24:27], 0 offset:28 ; 4-byte Folded Reload
	s_waitcnt vmcnt(0)
	ds_write2_b64 v0, v[73:74], v[75:76] offset0:58 offset1:59
	ds_write2_b64 v0, v[81:82], v[83:84] offset0:60 offset1:61
	;; [unrolled: 1-line block ×6, first 2 shown]
	buffer_load_dword v73, off, s[24:27], 0 ; 4-byte Folded Reload
	buffer_load_dword v74, off, s[24:27], 0 offset:4 ; 4-byte Folded Reload
	buffer_load_dword v75, off, s[24:27], 0 offset:8 ; 4-byte Folded Reload
	;; [unrolled: 1-line block ×3, first 2 shown]
	s_waitcnt vmcnt(0)
	ds_write2_b64 v0, v[73:74], v[75:76] offset0:70 offset1:71
	ds_write2_b64 v0, v[69:70], v[71:72] offset0:72 offset1:73
	;; [unrolled: 1-line block ×20, first 2 shown]
.LBB108_459:
	s_or_b64 exec, exec, s[0:1]
	v_cmp_lt_i32_e32 vcc, 21, v93
	s_waitcnt vmcnt(0) lgkmcnt(0)
	s_barrier
	s_and_saveexec_b64 s[0:1], vcc
	s_cbranch_execz .LBB108_461
; %bb.460:
	buffer_load_dword v95, off, s[24:27], 0 offset:144 ; 4-byte Folded Reload
	buffer_load_dword v96, off, s[24:27], 0 offset:148 ; 4-byte Folded Reload
	;; [unrolled: 1-line block ×4, first 2 shown]
	s_waitcnt vmcnt(0)
	v_mul_f64 v[89:90], v[119:120], v[97:98]
	v_fma_f64 v[125:126], v[117:118], v[95:96], -v[89:90]
	v_mul_f64 v[89:90], v[117:118], v[97:98]
	v_fma_f64 v[97:98], v[119:120], v[95:96], v[89:90]
	ds_read2_b64 v[89:92], v0 offset0:44 offset1:45
	buffer_load_dword v73, off, s[24:27], 0 offset:128 ; 4-byte Folded Reload
	buffer_load_dword v74, off, s[24:27], 0 offset:132 ; 4-byte Folded Reload
	buffer_load_dword v75, off, s[24:27], 0 offset:136 ; 4-byte Folded Reload
	buffer_load_dword v76, off, s[24:27], 0 offset:140 ; 4-byte Folded Reload
	s_waitcnt lgkmcnt(0)
	v_mul_f64 v[95:96], v[91:92], v[97:98]
	v_fma_f64 v[95:96], v[89:90], v[125:126], -v[95:96]
	v_mul_f64 v[89:90], v[89:90], v[97:98]
	v_fma_f64 v[89:90], v[91:92], v[125:126], v[89:90]
	s_waitcnt vmcnt(2)
	v_add_f64 v[73:74], v[73:74], -v[95:96]
	s_waitcnt vmcnt(0)
	v_add_f64 v[75:76], v[75:76], -v[89:90]
	buffer_store_dword v73, off, s[24:27], 0 offset:128 ; 4-byte Folded Spill
	s_nop 0
	buffer_store_dword v74, off, s[24:27], 0 offset:132 ; 4-byte Folded Spill
	buffer_store_dword v75, off, s[24:27], 0 offset:136 ; 4-byte Folded Spill
	buffer_store_dword v76, off, s[24:27], 0 offset:140 ; 4-byte Folded Spill
	ds_read2_b64 v[89:92], v0 offset0:46 offset1:47
	buffer_load_dword v73, off, s[24:27], 0 offset:112 ; 4-byte Folded Reload
	buffer_load_dword v74, off, s[24:27], 0 offset:116 ; 4-byte Folded Reload
	buffer_load_dword v75, off, s[24:27], 0 offset:120 ; 4-byte Folded Reload
	buffer_load_dword v76, off, s[24:27], 0 offset:124 ; 4-byte Folded Reload
	s_waitcnt lgkmcnt(0)
	v_mul_f64 v[95:96], v[91:92], v[97:98]
	v_fma_f64 v[95:96], v[89:90], v[125:126], -v[95:96]
	v_mul_f64 v[89:90], v[89:90], v[97:98]
	v_fma_f64 v[89:90], v[91:92], v[125:126], v[89:90]
	s_waitcnt vmcnt(2)
	v_add_f64 v[73:74], v[73:74], -v[95:96]
	s_waitcnt vmcnt(0)
	v_add_f64 v[75:76], v[75:76], -v[89:90]
	buffer_store_dword v73, off, s[24:27], 0 offset:112 ; 4-byte Folded Spill
	s_nop 0
	buffer_store_dword v74, off, s[24:27], 0 offset:116 ; 4-byte Folded Spill
	buffer_store_dword v75, off, s[24:27], 0 offset:120 ; 4-byte Folded Spill
	buffer_store_dword v76, off, s[24:27], 0 offset:124 ; 4-byte Folded Spill
	;; [unrolled: 19-line block ×8, first 2 shown]
	ds_read2_b64 v[89:92], v0 offset0:60 offset1:61
	s_waitcnt lgkmcnt(0)
	v_mul_f64 v[95:96], v[91:92], v[97:98]
	v_fma_f64 v[95:96], v[89:90], v[125:126], -v[95:96]
	v_mul_f64 v[89:90], v[89:90], v[97:98]
	v_add_f64 v[81:82], v[81:82], -v[95:96]
	v_fma_f64 v[89:90], v[91:92], v[125:126], v[89:90]
	v_add_f64 v[83:84], v[83:84], -v[89:90]
	ds_read2_b64 v[89:92], v0 offset0:62 offset1:63
	s_waitcnt lgkmcnt(0)
	v_mul_f64 v[95:96], v[91:92], v[97:98]
	v_fma_f64 v[95:96], v[89:90], v[125:126], -v[95:96]
	v_mul_f64 v[89:90], v[89:90], v[97:98]
	v_add_f64 v[85:86], v[85:86], -v[95:96]
	v_fma_f64 v[89:90], v[91:92], v[125:126], v[89:90]
	v_add_f64 v[87:88], v[87:88], -v[89:90]
	;; [unrolled: 8-line block ×5, first 2 shown]
	ds_read2_b64 v[89:92], v0 offset0:70 offset1:71
	buffer_load_dword v73, off, s[24:27], 0 ; 4-byte Folded Reload
	buffer_load_dword v74, off, s[24:27], 0 offset:4 ; 4-byte Folded Reload
	buffer_load_dword v75, off, s[24:27], 0 offset:8 ; 4-byte Folded Reload
	;; [unrolled: 1-line block ×3, first 2 shown]
	s_waitcnt lgkmcnt(0)
	v_mul_f64 v[95:96], v[91:92], v[97:98]
	v_fma_f64 v[95:96], v[89:90], v[125:126], -v[95:96]
	v_mul_f64 v[89:90], v[89:90], v[97:98]
	v_fma_f64 v[89:90], v[91:92], v[125:126], v[89:90]
	s_waitcnt vmcnt(2)
	v_add_f64 v[73:74], v[73:74], -v[95:96]
	s_waitcnt vmcnt(0)
	v_add_f64 v[75:76], v[75:76], -v[89:90]
	buffer_store_dword v73, off, s[24:27], 0 ; 4-byte Folded Spill
	s_nop 0
	buffer_store_dword v74, off, s[24:27], 0 offset:4 ; 4-byte Folded Spill
	buffer_store_dword v75, off, s[24:27], 0 offset:8 ; 4-byte Folded Spill
	;; [unrolled: 1-line block ×3, first 2 shown]
	ds_read2_b64 v[89:92], v0 offset0:72 offset1:73
	s_waitcnt lgkmcnt(0)
	v_mul_f64 v[95:96], v[91:92], v[97:98]
	v_fma_f64 v[95:96], v[89:90], v[125:126], -v[95:96]
	v_mul_f64 v[89:90], v[89:90], v[97:98]
	v_add_f64 v[69:70], v[69:70], -v[95:96]
	v_fma_f64 v[89:90], v[91:92], v[125:126], v[89:90]
	v_add_f64 v[71:72], v[71:72], -v[89:90]
	ds_read2_b64 v[89:92], v0 offset0:74 offset1:75
	s_waitcnt lgkmcnt(0)
	v_mul_f64 v[95:96], v[91:92], v[97:98]
	v_fma_f64 v[95:96], v[89:90], v[125:126], -v[95:96]
	v_mul_f64 v[89:90], v[89:90], v[97:98]
	v_add_f64 v[65:66], v[65:66], -v[95:96]
	v_fma_f64 v[89:90], v[91:92], v[125:126], v[89:90]
	v_add_f64 v[67:68], v[67:68], -v[89:90]
	;; [unrolled: 8-line block ×18, first 2 shown]
	ds_read2_b64 v[89:92], v0 offset0:108 offset1:109
	s_waitcnt lgkmcnt(0)
	v_mul_f64 v[95:96], v[91:92], v[97:98]
	v_fma_f64 v[95:96], v[89:90], v[125:126], -v[95:96]
	v_mul_f64 v[89:90], v[89:90], v[97:98]
	v_add_f64 v[121:122], v[121:122], -v[95:96]
	v_fma_f64 v[89:90], v[91:92], v[125:126], v[89:90]
	v_mov_b32_e32 v95, v125
	v_mov_b32_e32 v96, v126
	buffer_store_dword v95, off, s[24:27], 0 offset:144 ; 4-byte Folded Spill
	s_nop 0
	buffer_store_dword v96, off, s[24:27], 0 offset:148 ; 4-byte Folded Spill
	buffer_store_dword v97, off, s[24:27], 0 offset:152 ; 4-byte Folded Spill
	;; [unrolled: 1-line block ×3, first 2 shown]
	v_add_f64 v[123:124], v[123:124], -v[89:90]
.LBB108_461:
	s_or_b64 exec, exec, s[0:1]
	s_waitcnt vmcnt(0)
	s_barrier
	buffer_load_dword v73, off, s[24:27], 0 offset:128 ; 4-byte Folded Reload
	buffer_load_dword v74, off, s[24:27], 0 offset:132 ; 4-byte Folded Reload
	;; [unrolled: 1-line block ×4, first 2 shown]
	v_lshl_add_u32 v89, v93, 4, v0
	s_cmp_lt_i32 s3, 24
	s_waitcnt vmcnt(0)
	ds_write2_b64 v89, v[73:74], v[75:76] offset1:1
	s_waitcnt lgkmcnt(0)
	s_barrier
	ds_read2_b64 v[117:120], v0 offset0:44 offset1:45
	v_mov_b32_e32 v89, 22
	s_cbranch_scc1 .LBB108_464
; %bb.462:
	v_add_u32_e32 v90, 0x170, v0
	s_mov_b32 s0, 23
	v_mov_b32_e32 v89, 22
.LBB108_463:                            ; =>This Inner Loop Header: Depth=1
	s_waitcnt lgkmcnt(0)
	v_cmp_gt_f64_e32 vcc, 0, v[117:118]
	v_xor_b32_e32 v91, 0x80000000, v118
	ds_read2_b64 v[95:98], v90 offset1:1
	v_xor_b32_e32 v99, 0x80000000, v120
	v_add_u32_e32 v90, 16, v90
	s_waitcnt lgkmcnt(0)
	v_xor_b32_e32 v101, 0x80000000, v98
	v_cndmask_b32_e32 v92, v118, v91, vcc
	v_cmp_gt_f64_e32 vcc, 0, v[119:120]
	v_mov_b32_e32 v91, v117
	v_cndmask_b32_e32 v100, v120, v99, vcc
	v_cmp_gt_f64_e32 vcc, 0, v[95:96]
	v_mov_b32_e32 v99, v119
	v_add_f64 v[91:92], v[91:92], v[99:100]
	v_xor_b32_e32 v99, 0x80000000, v96
	v_cndmask_b32_e32 v100, v96, v99, vcc
	v_cmp_gt_f64_e32 vcc, 0, v[97:98]
	v_mov_b32_e32 v99, v95
	v_cndmask_b32_e32 v102, v98, v101, vcc
	v_mov_b32_e32 v101, v97
	v_add_f64 v[99:100], v[99:100], v[101:102]
	v_cmp_lt_f64_e32 vcc, v[91:92], v[99:100]
	v_mov_b32_e32 v91, s0
	s_add_i32 s0, s0, 1
	s_cmp_lg_u32 s3, s0
	v_cndmask_b32_e32 v118, v118, v96, vcc
	v_cndmask_b32_e32 v117, v117, v95, vcc
	;; [unrolled: 1-line block ×5, first 2 shown]
	s_cbranch_scc1 .LBB108_463
.LBB108_464:
	s_waitcnt lgkmcnt(0)
	v_cmp_eq_f64_e32 vcc, 0, v[117:118]
	v_cmp_eq_f64_e64 s[0:1], 0, v[119:120]
	s_and_b64 s[0:1], vcc, s[0:1]
	s_and_saveexec_b64 s[18:19], s[0:1]
	s_xor_b64 s[0:1], exec, s[18:19]
; %bb.465:
	v_cmp_ne_u32_e32 vcc, 0, v94
	v_cndmask_b32_e32 v94, 23, v94, vcc
; %bb.466:
	s_andn2_saveexec_b64 s[0:1], s[0:1]
	s_cbranch_execz .LBB108_472
; %bb.467:
	v_cmp_ngt_f64_e64 s[18:19], |v[117:118]|, |v[119:120]|
	s_and_saveexec_b64 s[20:21], s[18:19]
	s_xor_b64 s[18:19], exec, s[20:21]
	s_cbranch_execz .LBB108_469
; %bb.468:
	v_div_scale_f64 v[90:91], s[20:21], v[119:120], v[119:120], v[117:118]
	v_rcp_f64_e32 v[95:96], v[90:91]
	v_fma_f64 v[97:98], -v[90:91], v[95:96], 1.0
	v_fma_f64 v[95:96], v[95:96], v[97:98], v[95:96]
	v_div_scale_f64 v[97:98], vcc, v[117:118], v[119:120], v[117:118]
	v_fma_f64 v[99:100], -v[90:91], v[95:96], 1.0
	v_fma_f64 v[95:96], v[95:96], v[99:100], v[95:96]
	v_mul_f64 v[99:100], v[97:98], v[95:96]
	v_fma_f64 v[90:91], -v[90:91], v[99:100], v[97:98]
	v_div_fmas_f64 v[90:91], v[90:91], v[95:96], v[99:100]
	v_div_fixup_f64 v[90:91], v[90:91], v[119:120], v[117:118]
	v_fma_f64 v[95:96], v[117:118], v[90:91], v[119:120]
	v_div_scale_f64 v[97:98], s[20:21], v[95:96], v[95:96], 1.0
	v_div_scale_f64 v[103:104], vcc, 1.0, v[95:96], 1.0
	v_rcp_f64_e32 v[99:100], v[97:98]
	v_fma_f64 v[101:102], -v[97:98], v[99:100], 1.0
	v_fma_f64 v[99:100], v[99:100], v[101:102], v[99:100]
	v_fma_f64 v[101:102], -v[97:98], v[99:100], 1.0
	v_fma_f64 v[99:100], v[99:100], v[101:102], v[99:100]
	v_mul_f64 v[101:102], v[103:104], v[99:100]
	v_fma_f64 v[97:98], -v[97:98], v[101:102], v[103:104]
	v_div_fmas_f64 v[97:98], v[97:98], v[99:100], v[101:102]
	v_div_fixup_f64 v[119:120], v[97:98], v[95:96], 1.0
	v_mul_f64 v[117:118], v[90:91], v[119:120]
	v_xor_b32_e32 v120, 0x80000000, v120
.LBB108_469:
	s_andn2_saveexec_b64 s[18:19], s[18:19]
	s_cbranch_execz .LBB108_471
; %bb.470:
	v_div_scale_f64 v[90:91], s[20:21], v[117:118], v[117:118], v[119:120]
	v_rcp_f64_e32 v[95:96], v[90:91]
	v_fma_f64 v[97:98], -v[90:91], v[95:96], 1.0
	v_fma_f64 v[95:96], v[95:96], v[97:98], v[95:96]
	v_div_scale_f64 v[97:98], vcc, v[119:120], v[117:118], v[119:120]
	v_fma_f64 v[99:100], -v[90:91], v[95:96], 1.0
	v_fma_f64 v[95:96], v[95:96], v[99:100], v[95:96]
	v_mul_f64 v[99:100], v[97:98], v[95:96]
	v_fma_f64 v[90:91], -v[90:91], v[99:100], v[97:98]
	v_div_fmas_f64 v[90:91], v[90:91], v[95:96], v[99:100]
	v_div_fixup_f64 v[90:91], v[90:91], v[117:118], v[119:120]
	v_fma_f64 v[95:96], v[119:120], v[90:91], v[117:118]
	v_div_scale_f64 v[97:98], s[20:21], v[95:96], v[95:96], 1.0
	v_div_scale_f64 v[103:104], vcc, 1.0, v[95:96], 1.0
	v_rcp_f64_e32 v[99:100], v[97:98]
	v_fma_f64 v[101:102], -v[97:98], v[99:100], 1.0
	v_fma_f64 v[99:100], v[99:100], v[101:102], v[99:100]
	v_fma_f64 v[101:102], -v[97:98], v[99:100], 1.0
	v_fma_f64 v[99:100], v[99:100], v[101:102], v[99:100]
	v_mul_f64 v[101:102], v[103:104], v[99:100]
	v_fma_f64 v[97:98], -v[97:98], v[101:102], v[103:104]
	v_div_fmas_f64 v[97:98], v[97:98], v[99:100], v[101:102]
	v_div_fixup_f64 v[117:118], v[97:98], v[95:96], 1.0
	v_mul_f64 v[119:120], v[90:91], -v[117:118]
.LBB108_471:
	s_or_b64 exec, exec, s[18:19]
.LBB108_472:
	s_or_b64 exec, exec, s[0:1]
	v_cmp_ne_u32_e32 vcc, v93, v89
	s_and_saveexec_b64 s[0:1], vcc
	s_xor_b64 s[0:1], exec, s[0:1]
	s_cbranch_execz .LBB108_478
; %bb.473:
	v_cmp_eq_u32_e32 vcc, 22, v93
	s_and_saveexec_b64 s[18:19], vcc
	s_cbranch_execz .LBB108_477
; %bb.474:
	v_cmp_ne_u32_e32 vcc, 22, v89
	s_xor_b64 s[20:21], s[6:7], -1
	s_and_b64 s[22:23], s[20:21], vcc
	s_and_saveexec_b64 s[20:21], s[22:23]
	s_cbranch_execz .LBB108_476
; %bb.475:
	v_mov_b32_e32 v73, v81
	v_mov_b32_e32 v74, v82
	;; [unrolled: 1-line block ×4, first 2 shown]
	buffer_load_dword v81, off, s[24:27], 0 offset:452 ; 4-byte Folded Reload
	buffer_load_dword v82, off, s[24:27], 0 offset:456 ; 4-byte Folded Reload
	v_ashrrev_i32_e32 v90, 31, v89
	v_lshlrev_b64 v[90:91], 2, v[89:90]
	s_waitcnt vmcnt(1)
	v_add_co_u32_e32 v90, vcc, v81, v90
	s_waitcnt vmcnt(0)
	v_addc_co_u32_e32 v91, vcc, v82, v91, vcc
	global_load_dword v92, v[90:91], off
	global_load_dword v93, v[81:82], off offset:88
	s_waitcnt vmcnt(1)
	global_store_dword v[81:82], v92, off offset:88
	v_mov_b32_e32 v84, v76
	v_mov_b32_e32 v83, v75
	;; [unrolled: 1-line block ×4, first 2 shown]
	s_waitcnt vmcnt(1)
	global_store_dword v[90:91], v93, off
.LBB108_476:
	s_or_b64 exec, exec, s[20:21]
	v_mov_b32_e32 v93, v89
	v_mov_b32_e32 v73, v89
	buffer_store_dword v73, off, s[24:27], 0 offset:368 ; 4-byte Folded Spill
.LBB108_477:
	s_or_b64 exec, exec, s[18:19]
.LBB108_478:
	s_andn2_saveexec_b64 s[0:1], s[0:1]
	s_cbranch_execz .LBB108_480
; %bb.479:
	buffer_load_dword v73, off, s[24:27], 0 offset:112 ; 4-byte Folded Reload
	buffer_load_dword v74, off, s[24:27], 0 offset:116 ; 4-byte Folded Reload
	;; [unrolled: 1-line block ×4, first 2 shown]
	v_mov_b32_e32 v93, 22
	s_waitcnt vmcnt(0)
	ds_write2_b64 v0, v[73:74], v[75:76] offset0:46 offset1:47
	buffer_load_dword v73, off, s[24:27], 0 offset:96 ; 4-byte Folded Reload
	buffer_load_dword v74, off, s[24:27], 0 offset:100 ; 4-byte Folded Reload
	buffer_load_dword v75, off, s[24:27], 0 offset:104 ; 4-byte Folded Reload
	buffer_load_dword v76, off, s[24:27], 0 offset:108 ; 4-byte Folded Reload
	s_waitcnt vmcnt(0)
	ds_write2_b64 v0, v[73:74], v[75:76] offset0:48 offset1:49
	buffer_load_dword v73, off, s[24:27], 0 offset:80 ; 4-byte Folded Reload
	buffer_load_dword v74, off, s[24:27], 0 offset:84 ; 4-byte Folded Reload
	buffer_load_dword v75, off, s[24:27], 0 offset:88 ; 4-byte Folded Reload
	buffer_load_dword v76, off, s[24:27], 0 offset:92 ; 4-byte Folded Reload
	;; [unrolled: 6-line block ×6, first 2 shown]
	s_waitcnt vmcnt(0)
	ds_write2_b64 v0, v[73:74], v[75:76] offset0:58 offset1:59
	ds_write2_b64 v0, v[81:82], v[83:84] offset0:60 offset1:61
	;; [unrolled: 1-line block ×6, first 2 shown]
	buffer_load_dword v73, off, s[24:27], 0 ; 4-byte Folded Reload
	buffer_load_dword v74, off, s[24:27], 0 offset:4 ; 4-byte Folded Reload
	buffer_load_dword v75, off, s[24:27], 0 offset:8 ; 4-byte Folded Reload
	;; [unrolled: 1-line block ×3, first 2 shown]
	s_waitcnt vmcnt(0)
	ds_write2_b64 v0, v[73:74], v[75:76] offset0:70 offset1:71
	ds_write2_b64 v0, v[69:70], v[71:72] offset0:72 offset1:73
	;; [unrolled: 1-line block ×20, first 2 shown]
.LBB108_480:
	s_or_b64 exec, exec, s[0:1]
	v_cmp_lt_i32_e32 vcc, 22, v93
	s_waitcnt vmcnt(0) lgkmcnt(0)
	s_barrier
	s_and_saveexec_b64 s[0:1], vcc
	s_cbranch_execz .LBB108_482
; %bb.481:
	buffer_load_dword v95, off, s[24:27], 0 offset:128 ; 4-byte Folded Reload
	buffer_load_dword v96, off, s[24:27], 0 offset:132 ; 4-byte Folded Reload
	buffer_load_dword v97, off, s[24:27], 0 offset:136 ; 4-byte Folded Reload
	buffer_load_dword v98, off, s[24:27], 0 offset:140 ; 4-byte Folded Reload
	s_waitcnt vmcnt(0)
	v_mul_f64 v[89:90], v[119:120], v[97:98]
	v_fma_f64 v[125:126], v[117:118], v[95:96], -v[89:90]
	v_mul_f64 v[89:90], v[117:118], v[97:98]
	v_fma_f64 v[97:98], v[119:120], v[95:96], v[89:90]
	ds_read2_b64 v[89:92], v0 offset0:46 offset1:47
	buffer_load_dword v73, off, s[24:27], 0 offset:112 ; 4-byte Folded Reload
	buffer_load_dword v74, off, s[24:27], 0 offset:116 ; 4-byte Folded Reload
	buffer_load_dword v75, off, s[24:27], 0 offset:120 ; 4-byte Folded Reload
	buffer_load_dword v76, off, s[24:27], 0 offset:124 ; 4-byte Folded Reload
	s_waitcnt lgkmcnt(0)
	v_mul_f64 v[95:96], v[91:92], v[97:98]
	v_fma_f64 v[95:96], v[89:90], v[125:126], -v[95:96]
	v_mul_f64 v[89:90], v[89:90], v[97:98]
	v_fma_f64 v[89:90], v[91:92], v[125:126], v[89:90]
	s_waitcnt vmcnt(2)
	v_add_f64 v[73:74], v[73:74], -v[95:96]
	s_waitcnt vmcnt(0)
	v_add_f64 v[75:76], v[75:76], -v[89:90]
	buffer_store_dword v73, off, s[24:27], 0 offset:112 ; 4-byte Folded Spill
	s_nop 0
	buffer_store_dword v74, off, s[24:27], 0 offset:116 ; 4-byte Folded Spill
	buffer_store_dword v75, off, s[24:27], 0 offset:120 ; 4-byte Folded Spill
	buffer_store_dword v76, off, s[24:27], 0 offset:124 ; 4-byte Folded Spill
	ds_read2_b64 v[89:92], v0 offset0:48 offset1:49
	buffer_load_dword v73, off, s[24:27], 0 offset:96 ; 4-byte Folded Reload
	buffer_load_dword v74, off, s[24:27], 0 offset:100 ; 4-byte Folded Reload
	buffer_load_dword v75, off, s[24:27], 0 offset:104 ; 4-byte Folded Reload
	buffer_load_dword v76, off, s[24:27], 0 offset:108 ; 4-byte Folded Reload
	s_waitcnt lgkmcnt(0)
	v_mul_f64 v[95:96], v[91:92], v[97:98]
	v_fma_f64 v[95:96], v[89:90], v[125:126], -v[95:96]
	v_mul_f64 v[89:90], v[89:90], v[97:98]
	v_fma_f64 v[89:90], v[91:92], v[125:126], v[89:90]
	s_waitcnt vmcnt(2)
	v_add_f64 v[73:74], v[73:74], -v[95:96]
	s_waitcnt vmcnt(0)
	v_add_f64 v[75:76], v[75:76], -v[89:90]
	buffer_store_dword v73, off, s[24:27], 0 offset:96 ; 4-byte Folded Spill
	s_nop 0
	buffer_store_dword v74, off, s[24:27], 0 offset:100 ; 4-byte Folded Spill
	buffer_store_dword v75, off, s[24:27], 0 offset:104 ; 4-byte Folded Spill
	buffer_store_dword v76, off, s[24:27], 0 offset:108 ; 4-byte Folded Spill
	;; [unrolled: 19-line block ×7, first 2 shown]
	ds_read2_b64 v[89:92], v0 offset0:60 offset1:61
	s_waitcnt lgkmcnt(0)
	v_mul_f64 v[95:96], v[91:92], v[97:98]
	v_fma_f64 v[95:96], v[89:90], v[125:126], -v[95:96]
	v_mul_f64 v[89:90], v[89:90], v[97:98]
	v_add_f64 v[81:82], v[81:82], -v[95:96]
	v_fma_f64 v[89:90], v[91:92], v[125:126], v[89:90]
	v_add_f64 v[83:84], v[83:84], -v[89:90]
	ds_read2_b64 v[89:92], v0 offset0:62 offset1:63
	s_waitcnt lgkmcnt(0)
	v_mul_f64 v[95:96], v[91:92], v[97:98]
	v_fma_f64 v[95:96], v[89:90], v[125:126], -v[95:96]
	v_mul_f64 v[89:90], v[89:90], v[97:98]
	v_add_f64 v[85:86], v[85:86], -v[95:96]
	v_fma_f64 v[89:90], v[91:92], v[125:126], v[89:90]
	v_add_f64 v[87:88], v[87:88], -v[89:90]
	;; [unrolled: 8-line block ×5, first 2 shown]
	ds_read2_b64 v[89:92], v0 offset0:70 offset1:71
	buffer_load_dword v73, off, s[24:27], 0 ; 4-byte Folded Reload
	buffer_load_dword v74, off, s[24:27], 0 offset:4 ; 4-byte Folded Reload
	buffer_load_dword v75, off, s[24:27], 0 offset:8 ; 4-byte Folded Reload
	buffer_load_dword v76, off, s[24:27], 0 offset:12 ; 4-byte Folded Reload
	s_waitcnt lgkmcnt(0)
	v_mul_f64 v[95:96], v[91:92], v[97:98]
	v_fma_f64 v[95:96], v[89:90], v[125:126], -v[95:96]
	v_mul_f64 v[89:90], v[89:90], v[97:98]
	v_fma_f64 v[89:90], v[91:92], v[125:126], v[89:90]
	s_waitcnt vmcnt(2)
	v_add_f64 v[73:74], v[73:74], -v[95:96]
	s_waitcnt vmcnt(0)
	v_add_f64 v[75:76], v[75:76], -v[89:90]
	buffer_store_dword v73, off, s[24:27], 0 ; 4-byte Folded Spill
	s_nop 0
	buffer_store_dword v74, off, s[24:27], 0 offset:4 ; 4-byte Folded Spill
	buffer_store_dword v75, off, s[24:27], 0 offset:8 ; 4-byte Folded Spill
	;; [unrolled: 1-line block ×3, first 2 shown]
	ds_read2_b64 v[89:92], v0 offset0:72 offset1:73
	s_waitcnt lgkmcnt(0)
	v_mul_f64 v[95:96], v[91:92], v[97:98]
	v_fma_f64 v[95:96], v[89:90], v[125:126], -v[95:96]
	v_mul_f64 v[89:90], v[89:90], v[97:98]
	v_add_f64 v[69:70], v[69:70], -v[95:96]
	v_fma_f64 v[89:90], v[91:92], v[125:126], v[89:90]
	v_add_f64 v[71:72], v[71:72], -v[89:90]
	ds_read2_b64 v[89:92], v0 offset0:74 offset1:75
	s_waitcnt lgkmcnt(0)
	v_mul_f64 v[95:96], v[91:92], v[97:98]
	v_fma_f64 v[95:96], v[89:90], v[125:126], -v[95:96]
	v_mul_f64 v[89:90], v[89:90], v[97:98]
	v_add_f64 v[65:66], v[65:66], -v[95:96]
	v_fma_f64 v[89:90], v[91:92], v[125:126], v[89:90]
	v_add_f64 v[67:68], v[67:68], -v[89:90]
	;; [unrolled: 8-line block ×18, first 2 shown]
	ds_read2_b64 v[89:92], v0 offset0:108 offset1:109
	s_waitcnt lgkmcnt(0)
	v_mul_f64 v[95:96], v[91:92], v[97:98]
	v_fma_f64 v[95:96], v[89:90], v[125:126], -v[95:96]
	v_mul_f64 v[89:90], v[89:90], v[97:98]
	v_add_f64 v[121:122], v[121:122], -v[95:96]
	v_fma_f64 v[89:90], v[91:92], v[125:126], v[89:90]
	v_mov_b32_e32 v95, v125
	v_mov_b32_e32 v96, v126
	buffer_store_dword v95, off, s[24:27], 0 offset:128 ; 4-byte Folded Spill
	s_nop 0
	buffer_store_dword v96, off, s[24:27], 0 offset:132 ; 4-byte Folded Spill
	buffer_store_dword v97, off, s[24:27], 0 offset:136 ; 4-byte Folded Spill
	;; [unrolled: 1-line block ×3, first 2 shown]
	v_add_f64 v[123:124], v[123:124], -v[89:90]
.LBB108_482:
	s_or_b64 exec, exec, s[0:1]
	s_waitcnt vmcnt(0)
	s_barrier
	buffer_load_dword v73, off, s[24:27], 0 offset:112 ; 4-byte Folded Reload
	buffer_load_dword v74, off, s[24:27], 0 offset:116 ; 4-byte Folded Reload
	;; [unrolled: 1-line block ×4, first 2 shown]
	v_lshl_add_u32 v89, v93, 4, v0
	s_cmp_lt_i32 s3, 25
	s_waitcnt vmcnt(0)
	ds_write2_b64 v89, v[73:74], v[75:76] offset1:1
	s_waitcnt lgkmcnt(0)
	s_barrier
	ds_read2_b64 v[117:120], v0 offset0:46 offset1:47
	v_mov_b32_e32 v89, 23
	s_cbranch_scc1 .LBB108_485
; %bb.483:
	v_add_u32_e32 v90, 0x180, v0
	s_mov_b32 s0, 24
	v_mov_b32_e32 v89, 23
.LBB108_484:                            ; =>This Inner Loop Header: Depth=1
	s_waitcnt lgkmcnt(0)
	v_cmp_gt_f64_e32 vcc, 0, v[117:118]
	v_xor_b32_e32 v91, 0x80000000, v118
	ds_read2_b64 v[95:98], v90 offset1:1
	v_xor_b32_e32 v99, 0x80000000, v120
	v_add_u32_e32 v90, 16, v90
	s_waitcnt lgkmcnt(0)
	v_xor_b32_e32 v101, 0x80000000, v98
	v_cndmask_b32_e32 v92, v118, v91, vcc
	v_cmp_gt_f64_e32 vcc, 0, v[119:120]
	v_mov_b32_e32 v91, v117
	v_cndmask_b32_e32 v100, v120, v99, vcc
	v_cmp_gt_f64_e32 vcc, 0, v[95:96]
	v_mov_b32_e32 v99, v119
	v_add_f64 v[91:92], v[91:92], v[99:100]
	v_xor_b32_e32 v99, 0x80000000, v96
	v_cndmask_b32_e32 v100, v96, v99, vcc
	v_cmp_gt_f64_e32 vcc, 0, v[97:98]
	v_mov_b32_e32 v99, v95
	v_cndmask_b32_e32 v102, v98, v101, vcc
	v_mov_b32_e32 v101, v97
	v_add_f64 v[99:100], v[99:100], v[101:102]
	v_cmp_lt_f64_e32 vcc, v[91:92], v[99:100]
	v_mov_b32_e32 v91, s0
	s_add_i32 s0, s0, 1
	s_cmp_lg_u32 s3, s0
	v_cndmask_b32_e32 v118, v118, v96, vcc
	v_cndmask_b32_e32 v117, v117, v95, vcc
	;; [unrolled: 1-line block ×5, first 2 shown]
	s_cbranch_scc1 .LBB108_484
.LBB108_485:
	s_waitcnt lgkmcnt(0)
	v_cmp_eq_f64_e32 vcc, 0, v[117:118]
	v_cmp_eq_f64_e64 s[0:1], 0, v[119:120]
	s_and_b64 s[0:1], vcc, s[0:1]
	s_and_saveexec_b64 s[18:19], s[0:1]
	s_xor_b64 s[0:1], exec, s[18:19]
; %bb.486:
	v_cmp_ne_u32_e32 vcc, 0, v94
	v_cndmask_b32_e32 v94, 24, v94, vcc
; %bb.487:
	s_andn2_saveexec_b64 s[0:1], s[0:1]
	s_cbranch_execz .LBB108_493
; %bb.488:
	v_cmp_ngt_f64_e64 s[18:19], |v[117:118]|, |v[119:120]|
	s_and_saveexec_b64 s[20:21], s[18:19]
	s_xor_b64 s[18:19], exec, s[20:21]
	s_cbranch_execz .LBB108_490
; %bb.489:
	v_div_scale_f64 v[90:91], s[20:21], v[119:120], v[119:120], v[117:118]
	v_rcp_f64_e32 v[95:96], v[90:91]
	v_fma_f64 v[97:98], -v[90:91], v[95:96], 1.0
	v_fma_f64 v[95:96], v[95:96], v[97:98], v[95:96]
	v_div_scale_f64 v[97:98], vcc, v[117:118], v[119:120], v[117:118]
	v_fma_f64 v[99:100], -v[90:91], v[95:96], 1.0
	v_fma_f64 v[95:96], v[95:96], v[99:100], v[95:96]
	v_mul_f64 v[99:100], v[97:98], v[95:96]
	v_fma_f64 v[90:91], -v[90:91], v[99:100], v[97:98]
	v_div_fmas_f64 v[90:91], v[90:91], v[95:96], v[99:100]
	v_div_fixup_f64 v[90:91], v[90:91], v[119:120], v[117:118]
	v_fma_f64 v[95:96], v[117:118], v[90:91], v[119:120]
	v_div_scale_f64 v[97:98], s[20:21], v[95:96], v[95:96], 1.0
	v_div_scale_f64 v[103:104], vcc, 1.0, v[95:96], 1.0
	v_rcp_f64_e32 v[99:100], v[97:98]
	v_fma_f64 v[101:102], -v[97:98], v[99:100], 1.0
	v_fma_f64 v[99:100], v[99:100], v[101:102], v[99:100]
	v_fma_f64 v[101:102], -v[97:98], v[99:100], 1.0
	v_fma_f64 v[99:100], v[99:100], v[101:102], v[99:100]
	v_mul_f64 v[101:102], v[103:104], v[99:100]
	v_fma_f64 v[97:98], -v[97:98], v[101:102], v[103:104]
	v_div_fmas_f64 v[97:98], v[97:98], v[99:100], v[101:102]
	v_div_fixup_f64 v[119:120], v[97:98], v[95:96], 1.0
	v_mul_f64 v[117:118], v[90:91], v[119:120]
	v_xor_b32_e32 v120, 0x80000000, v120
.LBB108_490:
	s_andn2_saveexec_b64 s[18:19], s[18:19]
	s_cbranch_execz .LBB108_492
; %bb.491:
	v_div_scale_f64 v[90:91], s[20:21], v[117:118], v[117:118], v[119:120]
	v_rcp_f64_e32 v[95:96], v[90:91]
	v_fma_f64 v[97:98], -v[90:91], v[95:96], 1.0
	v_fma_f64 v[95:96], v[95:96], v[97:98], v[95:96]
	v_div_scale_f64 v[97:98], vcc, v[119:120], v[117:118], v[119:120]
	v_fma_f64 v[99:100], -v[90:91], v[95:96], 1.0
	v_fma_f64 v[95:96], v[95:96], v[99:100], v[95:96]
	v_mul_f64 v[99:100], v[97:98], v[95:96]
	v_fma_f64 v[90:91], -v[90:91], v[99:100], v[97:98]
	v_div_fmas_f64 v[90:91], v[90:91], v[95:96], v[99:100]
	v_div_fixup_f64 v[90:91], v[90:91], v[117:118], v[119:120]
	v_fma_f64 v[95:96], v[119:120], v[90:91], v[117:118]
	v_div_scale_f64 v[97:98], s[20:21], v[95:96], v[95:96], 1.0
	v_div_scale_f64 v[103:104], vcc, 1.0, v[95:96], 1.0
	v_rcp_f64_e32 v[99:100], v[97:98]
	v_fma_f64 v[101:102], -v[97:98], v[99:100], 1.0
	v_fma_f64 v[99:100], v[99:100], v[101:102], v[99:100]
	v_fma_f64 v[101:102], -v[97:98], v[99:100], 1.0
	v_fma_f64 v[99:100], v[99:100], v[101:102], v[99:100]
	v_mul_f64 v[101:102], v[103:104], v[99:100]
	v_fma_f64 v[97:98], -v[97:98], v[101:102], v[103:104]
	v_div_fmas_f64 v[97:98], v[97:98], v[99:100], v[101:102]
	v_div_fixup_f64 v[117:118], v[97:98], v[95:96], 1.0
	v_mul_f64 v[119:120], v[90:91], -v[117:118]
.LBB108_492:
	s_or_b64 exec, exec, s[18:19]
.LBB108_493:
	s_or_b64 exec, exec, s[0:1]
	v_cmp_ne_u32_e32 vcc, v93, v89
	s_and_saveexec_b64 s[0:1], vcc
	s_xor_b64 s[0:1], exec, s[0:1]
	s_cbranch_execz .LBB108_499
; %bb.494:
	v_cmp_eq_u32_e32 vcc, 23, v93
	s_and_saveexec_b64 s[18:19], vcc
	s_cbranch_execz .LBB108_498
; %bb.495:
	v_cmp_ne_u32_e32 vcc, 23, v89
	s_xor_b64 s[20:21], s[6:7], -1
	s_and_b64 s[22:23], s[20:21], vcc
	s_and_saveexec_b64 s[20:21], s[22:23]
	s_cbranch_execz .LBB108_497
; %bb.496:
	v_mov_b32_e32 v73, v81
	v_mov_b32_e32 v74, v82
	;; [unrolled: 1-line block ×4, first 2 shown]
	buffer_load_dword v81, off, s[24:27], 0 offset:452 ; 4-byte Folded Reload
	buffer_load_dword v82, off, s[24:27], 0 offset:456 ; 4-byte Folded Reload
	v_ashrrev_i32_e32 v90, 31, v89
	v_lshlrev_b64 v[90:91], 2, v[89:90]
	s_waitcnt vmcnt(1)
	v_add_co_u32_e32 v90, vcc, v81, v90
	s_waitcnt vmcnt(0)
	v_addc_co_u32_e32 v91, vcc, v82, v91, vcc
	global_load_dword v92, v[90:91], off
	global_load_dword v93, v[81:82], off offset:92
	s_waitcnt vmcnt(1)
	global_store_dword v[81:82], v92, off offset:92
	v_mov_b32_e32 v84, v76
	v_mov_b32_e32 v83, v75
	;; [unrolled: 1-line block ×4, first 2 shown]
	s_waitcnt vmcnt(1)
	global_store_dword v[90:91], v93, off
.LBB108_497:
	s_or_b64 exec, exec, s[20:21]
	v_mov_b32_e32 v93, v89
	v_mov_b32_e32 v73, v89
	buffer_store_dword v73, off, s[24:27], 0 offset:368 ; 4-byte Folded Spill
.LBB108_498:
	s_or_b64 exec, exec, s[18:19]
.LBB108_499:
	s_andn2_saveexec_b64 s[0:1], s[0:1]
	s_cbranch_execz .LBB108_501
; %bb.500:
	buffer_load_dword v73, off, s[24:27], 0 offset:96 ; 4-byte Folded Reload
	buffer_load_dword v74, off, s[24:27], 0 offset:100 ; 4-byte Folded Reload
	;; [unrolled: 1-line block ×4, first 2 shown]
	v_mov_b32_e32 v93, 23
	s_waitcnt vmcnt(0)
	ds_write2_b64 v0, v[73:74], v[75:76] offset0:48 offset1:49
	buffer_load_dword v73, off, s[24:27], 0 offset:80 ; 4-byte Folded Reload
	buffer_load_dword v74, off, s[24:27], 0 offset:84 ; 4-byte Folded Reload
	buffer_load_dword v75, off, s[24:27], 0 offset:88 ; 4-byte Folded Reload
	buffer_load_dword v76, off, s[24:27], 0 offset:92 ; 4-byte Folded Reload
	s_waitcnt vmcnt(0)
	ds_write2_b64 v0, v[73:74], v[75:76] offset0:50 offset1:51
	buffer_load_dword v73, off, s[24:27], 0 offset:64 ; 4-byte Folded Reload
	buffer_load_dword v74, off, s[24:27], 0 offset:68 ; 4-byte Folded Reload
	buffer_load_dword v75, off, s[24:27], 0 offset:72 ; 4-byte Folded Reload
	buffer_load_dword v76, off, s[24:27], 0 offset:76 ; 4-byte Folded Reload
	;; [unrolled: 6-line block ×5, first 2 shown]
	s_waitcnt vmcnt(0)
	ds_write2_b64 v0, v[73:74], v[75:76] offset0:58 offset1:59
	ds_write2_b64 v0, v[81:82], v[83:84] offset0:60 offset1:61
	;; [unrolled: 1-line block ×6, first 2 shown]
	buffer_load_dword v73, off, s[24:27], 0 ; 4-byte Folded Reload
	buffer_load_dword v74, off, s[24:27], 0 offset:4 ; 4-byte Folded Reload
	buffer_load_dword v75, off, s[24:27], 0 offset:8 ; 4-byte Folded Reload
	buffer_load_dword v76, off, s[24:27], 0 offset:12 ; 4-byte Folded Reload
	s_waitcnt vmcnt(0)
	ds_write2_b64 v0, v[73:74], v[75:76] offset0:70 offset1:71
	ds_write2_b64 v0, v[69:70], v[71:72] offset0:72 offset1:73
	;; [unrolled: 1-line block ×20, first 2 shown]
.LBB108_501:
	s_or_b64 exec, exec, s[0:1]
	v_cmp_lt_i32_e32 vcc, 23, v93
	s_waitcnt vmcnt(0) lgkmcnt(0)
	s_barrier
	s_and_saveexec_b64 s[0:1], vcc
	s_cbranch_execz .LBB108_503
; %bb.502:
	buffer_load_dword v95, off, s[24:27], 0 offset:112 ; 4-byte Folded Reload
	buffer_load_dword v96, off, s[24:27], 0 offset:116 ; 4-byte Folded Reload
	;; [unrolled: 1-line block ×4, first 2 shown]
	s_waitcnt vmcnt(0)
	v_mul_f64 v[89:90], v[119:120], v[97:98]
	v_fma_f64 v[125:126], v[117:118], v[95:96], -v[89:90]
	v_mul_f64 v[89:90], v[117:118], v[97:98]
	v_fma_f64 v[97:98], v[119:120], v[95:96], v[89:90]
	ds_read2_b64 v[89:92], v0 offset0:48 offset1:49
	buffer_load_dword v73, off, s[24:27], 0 offset:96 ; 4-byte Folded Reload
	buffer_load_dword v74, off, s[24:27], 0 offset:100 ; 4-byte Folded Reload
	buffer_load_dword v75, off, s[24:27], 0 offset:104 ; 4-byte Folded Reload
	buffer_load_dword v76, off, s[24:27], 0 offset:108 ; 4-byte Folded Reload
	s_waitcnt lgkmcnt(0)
	v_mul_f64 v[95:96], v[91:92], v[97:98]
	v_fma_f64 v[95:96], v[89:90], v[125:126], -v[95:96]
	v_mul_f64 v[89:90], v[89:90], v[97:98]
	v_fma_f64 v[89:90], v[91:92], v[125:126], v[89:90]
	s_waitcnt vmcnt(2)
	v_add_f64 v[73:74], v[73:74], -v[95:96]
	s_waitcnt vmcnt(0)
	v_add_f64 v[75:76], v[75:76], -v[89:90]
	buffer_store_dword v73, off, s[24:27], 0 offset:96 ; 4-byte Folded Spill
	s_nop 0
	buffer_store_dword v74, off, s[24:27], 0 offset:100 ; 4-byte Folded Spill
	buffer_store_dword v75, off, s[24:27], 0 offset:104 ; 4-byte Folded Spill
	buffer_store_dword v76, off, s[24:27], 0 offset:108 ; 4-byte Folded Spill
	ds_read2_b64 v[89:92], v0 offset0:50 offset1:51
	buffer_load_dword v73, off, s[24:27], 0 offset:80 ; 4-byte Folded Reload
	buffer_load_dword v74, off, s[24:27], 0 offset:84 ; 4-byte Folded Reload
	buffer_load_dword v75, off, s[24:27], 0 offset:88 ; 4-byte Folded Reload
	buffer_load_dword v76, off, s[24:27], 0 offset:92 ; 4-byte Folded Reload
	s_waitcnt lgkmcnt(0)
	v_mul_f64 v[95:96], v[91:92], v[97:98]
	v_fma_f64 v[95:96], v[89:90], v[125:126], -v[95:96]
	v_mul_f64 v[89:90], v[89:90], v[97:98]
	v_fma_f64 v[89:90], v[91:92], v[125:126], v[89:90]
	s_waitcnt vmcnt(2)
	v_add_f64 v[73:74], v[73:74], -v[95:96]
	s_waitcnt vmcnt(0)
	v_add_f64 v[75:76], v[75:76], -v[89:90]
	buffer_store_dword v73, off, s[24:27], 0 offset:80 ; 4-byte Folded Spill
	s_nop 0
	buffer_store_dword v74, off, s[24:27], 0 offset:84 ; 4-byte Folded Spill
	buffer_store_dword v75, off, s[24:27], 0 offset:88 ; 4-byte Folded Spill
	buffer_store_dword v76, off, s[24:27], 0 offset:92 ; 4-byte Folded Spill
	;; [unrolled: 19-line block ×6, first 2 shown]
	ds_read2_b64 v[89:92], v0 offset0:60 offset1:61
	s_waitcnt lgkmcnt(0)
	v_mul_f64 v[95:96], v[91:92], v[97:98]
	v_fma_f64 v[95:96], v[89:90], v[125:126], -v[95:96]
	v_mul_f64 v[89:90], v[89:90], v[97:98]
	v_add_f64 v[81:82], v[81:82], -v[95:96]
	v_fma_f64 v[89:90], v[91:92], v[125:126], v[89:90]
	v_add_f64 v[83:84], v[83:84], -v[89:90]
	ds_read2_b64 v[89:92], v0 offset0:62 offset1:63
	s_waitcnt lgkmcnt(0)
	v_mul_f64 v[95:96], v[91:92], v[97:98]
	v_fma_f64 v[95:96], v[89:90], v[125:126], -v[95:96]
	v_mul_f64 v[89:90], v[89:90], v[97:98]
	v_add_f64 v[85:86], v[85:86], -v[95:96]
	v_fma_f64 v[89:90], v[91:92], v[125:126], v[89:90]
	v_add_f64 v[87:88], v[87:88], -v[89:90]
	;; [unrolled: 8-line block ×5, first 2 shown]
	ds_read2_b64 v[89:92], v0 offset0:70 offset1:71
	buffer_load_dword v73, off, s[24:27], 0 ; 4-byte Folded Reload
	buffer_load_dword v74, off, s[24:27], 0 offset:4 ; 4-byte Folded Reload
	buffer_load_dword v75, off, s[24:27], 0 offset:8 ; 4-byte Folded Reload
	;; [unrolled: 1-line block ×3, first 2 shown]
	s_waitcnt lgkmcnt(0)
	v_mul_f64 v[95:96], v[91:92], v[97:98]
	v_fma_f64 v[95:96], v[89:90], v[125:126], -v[95:96]
	v_mul_f64 v[89:90], v[89:90], v[97:98]
	v_fma_f64 v[89:90], v[91:92], v[125:126], v[89:90]
	s_waitcnt vmcnt(2)
	v_add_f64 v[73:74], v[73:74], -v[95:96]
	s_waitcnt vmcnt(0)
	v_add_f64 v[75:76], v[75:76], -v[89:90]
	buffer_store_dword v73, off, s[24:27], 0 ; 4-byte Folded Spill
	s_nop 0
	buffer_store_dword v74, off, s[24:27], 0 offset:4 ; 4-byte Folded Spill
	buffer_store_dword v75, off, s[24:27], 0 offset:8 ; 4-byte Folded Spill
	;; [unrolled: 1-line block ×3, first 2 shown]
	ds_read2_b64 v[89:92], v0 offset0:72 offset1:73
	s_waitcnt lgkmcnt(0)
	v_mul_f64 v[95:96], v[91:92], v[97:98]
	v_fma_f64 v[95:96], v[89:90], v[125:126], -v[95:96]
	v_mul_f64 v[89:90], v[89:90], v[97:98]
	v_add_f64 v[69:70], v[69:70], -v[95:96]
	v_fma_f64 v[89:90], v[91:92], v[125:126], v[89:90]
	v_add_f64 v[71:72], v[71:72], -v[89:90]
	ds_read2_b64 v[89:92], v0 offset0:74 offset1:75
	s_waitcnt lgkmcnt(0)
	v_mul_f64 v[95:96], v[91:92], v[97:98]
	v_fma_f64 v[95:96], v[89:90], v[125:126], -v[95:96]
	v_mul_f64 v[89:90], v[89:90], v[97:98]
	v_add_f64 v[65:66], v[65:66], -v[95:96]
	v_fma_f64 v[89:90], v[91:92], v[125:126], v[89:90]
	v_add_f64 v[67:68], v[67:68], -v[89:90]
	;; [unrolled: 8-line block ×18, first 2 shown]
	ds_read2_b64 v[89:92], v0 offset0:108 offset1:109
	s_waitcnt lgkmcnt(0)
	v_mul_f64 v[95:96], v[91:92], v[97:98]
	v_fma_f64 v[95:96], v[89:90], v[125:126], -v[95:96]
	v_mul_f64 v[89:90], v[89:90], v[97:98]
	v_add_f64 v[121:122], v[121:122], -v[95:96]
	v_fma_f64 v[89:90], v[91:92], v[125:126], v[89:90]
	v_mov_b32_e32 v95, v125
	v_mov_b32_e32 v96, v126
	buffer_store_dword v95, off, s[24:27], 0 offset:112 ; 4-byte Folded Spill
	s_nop 0
	buffer_store_dword v96, off, s[24:27], 0 offset:116 ; 4-byte Folded Spill
	buffer_store_dword v97, off, s[24:27], 0 offset:120 ; 4-byte Folded Spill
	;; [unrolled: 1-line block ×3, first 2 shown]
	v_add_f64 v[123:124], v[123:124], -v[89:90]
.LBB108_503:
	s_or_b64 exec, exec, s[0:1]
	s_waitcnt vmcnt(0)
	s_barrier
	buffer_load_dword v73, off, s[24:27], 0 offset:96 ; 4-byte Folded Reload
	buffer_load_dword v74, off, s[24:27], 0 offset:100 ; 4-byte Folded Reload
	;; [unrolled: 1-line block ×4, first 2 shown]
	v_lshl_add_u32 v89, v93, 4, v0
	s_cmp_lt_i32 s3, 26
	s_waitcnt vmcnt(0)
	ds_write2_b64 v89, v[73:74], v[75:76] offset1:1
	s_waitcnt lgkmcnt(0)
	s_barrier
	ds_read2_b64 v[117:120], v0 offset0:48 offset1:49
	v_mov_b32_e32 v89, 24
	s_cbranch_scc1 .LBB108_506
; %bb.504:
	v_add_u32_e32 v90, 0x190, v0
	s_mov_b32 s0, 25
	v_mov_b32_e32 v89, 24
.LBB108_505:                            ; =>This Inner Loop Header: Depth=1
	s_waitcnt lgkmcnt(0)
	v_cmp_gt_f64_e32 vcc, 0, v[117:118]
	v_xor_b32_e32 v91, 0x80000000, v118
	ds_read2_b64 v[95:98], v90 offset1:1
	v_xor_b32_e32 v99, 0x80000000, v120
	v_add_u32_e32 v90, 16, v90
	s_waitcnt lgkmcnt(0)
	v_xor_b32_e32 v101, 0x80000000, v98
	v_cndmask_b32_e32 v92, v118, v91, vcc
	v_cmp_gt_f64_e32 vcc, 0, v[119:120]
	v_mov_b32_e32 v91, v117
	v_cndmask_b32_e32 v100, v120, v99, vcc
	v_cmp_gt_f64_e32 vcc, 0, v[95:96]
	v_mov_b32_e32 v99, v119
	v_add_f64 v[91:92], v[91:92], v[99:100]
	v_xor_b32_e32 v99, 0x80000000, v96
	v_cndmask_b32_e32 v100, v96, v99, vcc
	v_cmp_gt_f64_e32 vcc, 0, v[97:98]
	v_mov_b32_e32 v99, v95
	v_cndmask_b32_e32 v102, v98, v101, vcc
	v_mov_b32_e32 v101, v97
	v_add_f64 v[99:100], v[99:100], v[101:102]
	v_cmp_lt_f64_e32 vcc, v[91:92], v[99:100]
	v_mov_b32_e32 v91, s0
	s_add_i32 s0, s0, 1
	s_cmp_lg_u32 s3, s0
	v_cndmask_b32_e32 v118, v118, v96, vcc
	v_cndmask_b32_e32 v117, v117, v95, vcc
	;; [unrolled: 1-line block ×5, first 2 shown]
	s_cbranch_scc1 .LBB108_505
.LBB108_506:
	s_waitcnt lgkmcnt(0)
	v_cmp_eq_f64_e32 vcc, 0, v[117:118]
	v_cmp_eq_f64_e64 s[0:1], 0, v[119:120]
	s_and_b64 s[0:1], vcc, s[0:1]
	s_and_saveexec_b64 s[18:19], s[0:1]
	s_xor_b64 s[0:1], exec, s[18:19]
; %bb.507:
	v_cmp_ne_u32_e32 vcc, 0, v94
	v_cndmask_b32_e32 v94, 25, v94, vcc
; %bb.508:
	s_andn2_saveexec_b64 s[0:1], s[0:1]
	s_cbranch_execz .LBB108_514
; %bb.509:
	v_cmp_ngt_f64_e64 s[18:19], |v[117:118]|, |v[119:120]|
	s_and_saveexec_b64 s[20:21], s[18:19]
	s_xor_b64 s[18:19], exec, s[20:21]
	s_cbranch_execz .LBB108_511
; %bb.510:
	v_div_scale_f64 v[90:91], s[20:21], v[119:120], v[119:120], v[117:118]
	v_rcp_f64_e32 v[95:96], v[90:91]
	v_fma_f64 v[97:98], -v[90:91], v[95:96], 1.0
	v_fma_f64 v[95:96], v[95:96], v[97:98], v[95:96]
	v_div_scale_f64 v[97:98], vcc, v[117:118], v[119:120], v[117:118]
	v_fma_f64 v[99:100], -v[90:91], v[95:96], 1.0
	v_fma_f64 v[95:96], v[95:96], v[99:100], v[95:96]
	v_mul_f64 v[99:100], v[97:98], v[95:96]
	v_fma_f64 v[90:91], -v[90:91], v[99:100], v[97:98]
	v_div_fmas_f64 v[90:91], v[90:91], v[95:96], v[99:100]
	v_div_fixup_f64 v[90:91], v[90:91], v[119:120], v[117:118]
	v_fma_f64 v[95:96], v[117:118], v[90:91], v[119:120]
	v_div_scale_f64 v[97:98], s[20:21], v[95:96], v[95:96], 1.0
	v_div_scale_f64 v[103:104], vcc, 1.0, v[95:96], 1.0
	v_rcp_f64_e32 v[99:100], v[97:98]
	v_fma_f64 v[101:102], -v[97:98], v[99:100], 1.0
	v_fma_f64 v[99:100], v[99:100], v[101:102], v[99:100]
	v_fma_f64 v[101:102], -v[97:98], v[99:100], 1.0
	v_fma_f64 v[99:100], v[99:100], v[101:102], v[99:100]
	v_mul_f64 v[101:102], v[103:104], v[99:100]
	v_fma_f64 v[97:98], -v[97:98], v[101:102], v[103:104]
	v_div_fmas_f64 v[97:98], v[97:98], v[99:100], v[101:102]
	v_div_fixup_f64 v[119:120], v[97:98], v[95:96], 1.0
	v_mul_f64 v[117:118], v[90:91], v[119:120]
	v_xor_b32_e32 v120, 0x80000000, v120
.LBB108_511:
	s_andn2_saveexec_b64 s[18:19], s[18:19]
	s_cbranch_execz .LBB108_513
; %bb.512:
	v_div_scale_f64 v[90:91], s[20:21], v[117:118], v[117:118], v[119:120]
	v_rcp_f64_e32 v[95:96], v[90:91]
	v_fma_f64 v[97:98], -v[90:91], v[95:96], 1.0
	v_fma_f64 v[95:96], v[95:96], v[97:98], v[95:96]
	v_div_scale_f64 v[97:98], vcc, v[119:120], v[117:118], v[119:120]
	v_fma_f64 v[99:100], -v[90:91], v[95:96], 1.0
	v_fma_f64 v[95:96], v[95:96], v[99:100], v[95:96]
	v_mul_f64 v[99:100], v[97:98], v[95:96]
	v_fma_f64 v[90:91], -v[90:91], v[99:100], v[97:98]
	v_div_fmas_f64 v[90:91], v[90:91], v[95:96], v[99:100]
	v_div_fixup_f64 v[90:91], v[90:91], v[117:118], v[119:120]
	v_fma_f64 v[95:96], v[119:120], v[90:91], v[117:118]
	v_div_scale_f64 v[97:98], s[20:21], v[95:96], v[95:96], 1.0
	v_div_scale_f64 v[103:104], vcc, 1.0, v[95:96], 1.0
	v_rcp_f64_e32 v[99:100], v[97:98]
	v_fma_f64 v[101:102], -v[97:98], v[99:100], 1.0
	v_fma_f64 v[99:100], v[99:100], v[101:102], v[99:100]
	v_fma_f64 v[101:102], -v[97:98], v[99:100], 1.0
	v_fma_f64 v[99:100], v[99:100], v[101:102], v[99:100]
	v_mul_f64 v[101:102], v[103:104], v[99:100]
	v_fma_f64 v[97:98], -v[97:98], v[101:102], v[103:104]
	v_div_fmas_f64 v[97:98], v[97:98], v[99:100], v[101:102]
	v_div_fixup_f64 v[117:118], v[97:98], v[95:96], 1.0
	v_mul_f64 v[119:120], v[90:91], -v[117:118]
.LBB108_513:
	s_or_b64 exec, exec, s[18:19]
.LBB108_514:
	s_or_b64 exec, exec, s[0:1]
	v_cmp_ne_u32_e32 vcc, v93, v89
	s_and_saveexec_b64 s[0:1], vcc
	s_xor_b64 s[0:1], exec, s[0:1]
	s_cbranch_execz .LBB108_520
; %bb.515:
	v_cmp_eq_u32_e32 vcc, 24, v93
	s_and_saveexec_b64 s[18:19], vcc
	s_cbranch_execz .LBB108_519
; %bb.516:
	v_cmp_ne_u32_e32 vcc, 24, v89
	s_xor_b64 s[20:21], s[6:7], -1
	s_and_b64 s[22:23], s[20:21], vcc
	s_and_saveexec_b64 s[20:21], s[22:23]
	s_cbranch_execz .LBB108_518
; %bb.517:
	v_mov_b32_e32 v73, v81
	v_mov_b32_e32 v74, v82
	;; [unrolled: 1-line block ×4, first 2 shown]
	buffer_load_dword v81, off, s[24:27], 0 offset:452 ; 4-byte Folded Reload
	buffer_load_dword v82, off, s[24:27], 0 offset:456 ; 4-byte Folded Reload
	v_ashrrev_i32_e32 v90, 31, v89
	v_lshlrev_b64 v[90:91], 2, v[89:90]
	s_waitcnt vmcnt(1)
	v_add_co_u32_e32 v90, vcc, v81, v90
	s_waitcnt vmcnt(0)
	v_addc_co_u32_e32 v91, vcc, v82, v91, vcc
	global_load_dword v92, v[90:91], off
	global_load_dword v93, v[81:82], off offset:96
	s_waitcnt vmcnt(1)
	global_store_dword v[81:82], v92, off offset:96
	v_mov_b32_e32 v84, v76
	v_mov_b32_e32 v83, v75
	;; [unrolled: 1-line block ×4, first 2 shown]
	s_waitcnt vmcnt(1)
	global_store_dword v[90:91], v93, off
.LBB108_518:
	s_or_b64 exec, exec, s[20:21]
	v_mov_b32_e32 v93, v89
	v_mov_b32_e32 v73, v89
	buffer_store_dword v73, off, s[24:27], 0 offset:368 ; 4-byte Folded Spill
.LBB108_519:
	s_or_b64 exec, exec, s[18:19]
.LBB108_520:
	s_andn2_saveexec_b64 s[0:1], s[0:1]
	s_cbranch_execz .LBB108_522
; %bb.521:
	buffer_load_dword v73, off, s[24:27], 0 offset:80 ; 4-byte Folded Reload
	buffer_load_dword v74, off, s[24:27], 0 offset:84 ; 4-byte Folded Reload
	;; [unrolled: 1-line block ×4, first 2 shown]
	v_mov_b32_e32 v93, 24
	s_waitcnt vmcnt(0)
	ds_write2_b64 v0, v[73:74], v[75:76] offset0:50 offset1:51
	buffer_load_dword v73, off, s[24:27], 0 offset:64 ; 4-byte Folded Reload
	buffer_load_dword v74, off, s[24:27], 0 offset:68 ; 4-byte Folded Reload
	buffer_load_dword v75, off, s[24:27], 0 offset:72 ; 4-byte Folded Reload
	buffer_load_dword v76, off, s[24:27], 0 offset:76 ; 4-byte Folded Reload
	s_waitcnt vmcnt(0)
	ds_write2_b64 v0, v[73:74], v[75:76] offset0:52 offset1:53
	buffer_load_dword v73, off, s[24:27], 0 offset:48 ; 4-byte Folded Reload
	buffer_load_dword v74, off, s[24:27], 0 offset:52 ; 4-byte Folded Reload
	buffer_load_dword v75, off, s[24:27], 0 offset:56 ; 4-byte Folded Reload
	buffer_load_dword v76, off, s[24:27], 0 offset:60 ; 4-byte Folded Reload
	;; [unrolled: 6-line block ×4, first 2 shown]
	s_waitcnt vmcnt(0)
	ds_write2_b64 v0, v[73:74], v[75:76] offset0:58 offset1:59
	ds_write2_b64 v0, v[81:82], v[83:84] offset0:60 offset1:61
	ds_write2_b64 v0, v[85:86], v[87:88] offset0:62 offset1:63
	ds_write2_b64 v0, v[109:110], v[111:112] offset0:64 offset1:65
	ds_write2_b64 v0, v[113:114], v[115:116] offset0:66 offset1:67
	ds_write2_b64 v0, v[77:78], v[79:80] offset0:68 offset1:69
	buffer_load_dword v73, off, s[24:27], 0 ; 4-byte Folded Reload
	buffer_load_dword v74, off, s[24:27], 0 offset:4 ; 4-byte Folded Reload
	buffer_load_dword v75, off, s[24:27], 0 offset:8 ; 4-byte Folded Reload
	;; [unrolled: 1-line block ×3, first 2 shown]
	s_waitcnt vmcnt(0)
	ds_write2_b64 v0, v[73:74], v[75:76] offset0:70 offset1:71
	ds_write2_b64 v0, v[69:70], v[71:72] offset0:72 offset1:73
	;; [unrolled: 1-line block ×20, first 2 shown]
.LBB108_522:
	s_or_b64 exec, exec, s[0:1]
	v_cmp_lt_i32_e32 vcc, 24, v93
	s_waitcnt vmcnt(0) lgkmcnt(0)
	s_barrier
	s_and_saveexec_b64 s[0:1], vcc
	s_cbranch_execz .LBB108_524
; %bb.523:
	buffer_load_dword v101, off, s[24:27], 0 offset:96 ; 4-byte Folded Reload
	buffer_load_dword v102, off, s[24:27], 0 offset:100 ; 4-byte Folded Reload
	;; [unrolled: 1-line block ×4, first 2 shown]
	v_mov_b32_e32 v100, v84
	v_mov_b32_e32 v99, v83
	;; [unrolled: 1-line block ×8, first 2 shown]
	s_waitcnt vmcnt(0)
	v_mul_f64 v[89:90], v[119:120], v[103:104]
	v_fma_f64 v[113:114], v[117:118], v[101:102], -v[89:90]
	v_mul_f64 v[89:90], v[117:118], v[103:104]
	v_fma_f64 v[103:104], v[119:120], v[101:102], v[89:90]
	ds_read2_b64 v[89:92], v0 offset0:50 offset1:51
	buffer_load_dword v73, off, s[24:27], 0 offset:80 ; 4-byte Folded Reload
	buffer_load_dword v74, off, s[24:27], 0 offset:84 ; 4-byte Folded Reload
	;; [unrolled: 1-line block ×4, first 2 shown]
	v_mov_b32_e32 v101, v113
	v_mov_b32_e32 v102, v114
	s_waitcnt lgkmcnt(0)
	v_mul_f64 v[95:96], v[91:92], v[103:104]
	v_fma_f64 v[95:96], v[89:90], v[113:114], -v[95:96]
	v_mul_f64 v[89:90], v[89:90], v[103:104]
	v_fma_f64 v[89:90], v[91:92], v[113:114], v[89:90]
	s_waitcnt vmcnt(2)
	v_add_f64 v[73:74], v[73:74], -v[95:96]
	s_waitcnt vmcnt(0)
	v_add_f64 v[75:76], v[75:76], -v[89:90]
	buffer_store_dword v73, off, s[24:27], 0 offset:80 ; 4-byte Folded Spill
	s_nop 0
	buffer_store_dword v74, off, s[24:27], 0 offset:84 ; 4-byte Folded Spill
	buffer_store_dword v75, off, s[24:27], 0 offset:88 ; 4-byte Folded Spill
	buffer_store_dword v76, off, s[24:27], 0 offset:92 ; 4-byte Folded Spill
	ds_read2_b64 v[89:92], v0 offset0:52 offset1:53
	buffer_load_dword v73, off, s[24:27], 0 offset:64 ; 4-byte Folded Reload
	buffer_load_dword v74, off, s[24:27], 0 offset:68 ; 4-byte Folded Reload
	buffer_load_dword v75, off, s[24:27], 0 offset:72 ; 4-byte Folded Reload
	buffer_load_dword v76, off, s[24:27], 0 offset:76 ; 4-byte Folded Reload
	s_waitcnt lgkmcnt(0)
	v_mul_f64 v[95:96], v[91:92], v[103:104]
	v_fma_f64 v[95:96], v[89:90], v[113:114], -v[95:96]
	v_mul_f64 v[89:90], v[89:90], v[103:104]
	v_fma_f64 v[89:90], v[91:92], v[113:114], v[89:90]
	s_waitcnt vmcnt(2)
	v_add_f64 v[73:74], v[73:74], -v[95:96]
	s_waitcnt vmcnt(0)
	v_add_f64 v[75:76], v[75:76], -v[89:90]
	buffer_store_dword v73, off, s[24:27], 0 offset:64 ; 4-byte Folded Spill
	s_nop 0
	buffer_store_dword v74, off, s[24:27], 0 offset:68 ; 4-byte Folded Spill
	buffer_store_dword v75, off, s[24:27], 0 offset:72 ; 4-byte Folded Spill
	buffer_store_dword v76, off, s[24:27], 0 offset:76 ; 4-byte Folded Spill
	ds_read2_b64 v[89:92], v0 offset0:54 offset1:55
	buffer_load_dword v73, off, s[24:27], 0 offset:48 ; 4-byte Folded Reload
	buffer_load_dword v74, off, s[24:27], 0 offset:52 ; 4-byte Folded Reload
	buffer_load_dword v75, off, s[24:27], 0 offset:56 ; 4-byte Folded Reload
	buffer_load_dword v76, off, s[24:27], 0 offset:60 ; 4-byte Folded Reload
	s_waitcnt lgkmcnt(0)
	v_mul_f64 v[95:96], v[91:92], v[103:104]
	v_fma_f64 v[95:96], v[89:90], v[113:114], -v[95:96]
	v_mul_f64 v[89:90], v[89:90], v[103:104]
	v_fma_f64 v[89:90], v[91:92], v[113:114], v[89:90]
	s_waitcnt vmcnt(2)
	v_add_f64 v[73:74], v[73:74], -v[95:96]
	s_waitcnt vmcnt(0)
	v_add_f64 v[75:76], v[75:76], -v[89:90]
	buffer_store_dword v73, off, s[24:27], 0 offset:48 ; 4-byte Folded Spill
	s_nop 0
	buffer_store_dword v74, off, s[24:27], 0 offset:52 ; 4-byte Folded Spill
	buffer_store_dword v75, off, s[24:27], 0 offset:56 ; 4-byte Folded Spill
	buffer_store_dword v76, off, s[24:27], 0 offset:60 ; 4-byte Folded Spill
	ds_read2_b64 v[89:92], v0 offset0:56 offset1:57
	buffer_load_dword v73, off, s[24:27], 0 offset:32 ; 4-byte Folded Reload
	buffer_load_dword v74, off, s[24:27], 0 offset:36 ; 4-byte Folded Reload
	buffer_load_dword v75, off, s[24:27], 0 offset:40 ; 4-byte Folded Reload
	buffer_load_dword v76, off, s[24:27], 0 offset:44 ; 4-byte Folded Reload
	s_waitcnt lgkmcnt(0)
	v_mul_f64 v[95:96], v[91:92], v[103:104]
	v_fma_f64 v[95:96], v[89:90], v[113:114], -v[95:96]
	v_mul_f64 v[89:90], v[89:90], v[103:104]
	v_fma_f64 v[89:90], v[91:92], v[113:114], v[89:90]
	s_waitcnt vmcnt(2)
	v_add_f64 v[73:74], v[73:74], -v[95:96]
	s_waitcnt vmcnt(0)
	v_add_f64 v[75:76], v[75:76], -v[89:90]
	buffer_store_dword v73, off, s[24:27], 0 offset:32 ; 4-byte Folded Spill
	s_nop 0
	buffer_store_dword v74, off, s[24:27], 0 offset:36 ; 4-byte Folded Spill
	buffer_store_dword v75, off, s[24:27], 0 offset:40 ; 4-byte Folded Spill
	buffer_store_dword v76, off, s[24:27], 0 offset:44 ; 4-byte Folded Spill
	ds_read2_b64 v[89:92], v0 offset0:58 offset1:59
	buffer_load_dword v73, off, s[24:27], 0 offset:16 ; 4-byte Folded Reload
	buffer_load_dword v74, off, s[24:27], 0 offset:20 ; 4-byte Folded Reload
	buffer_load_dword v75, off, s[24:27], 0 offset:24 ; 4-byte Folded Reload
	buffer_load_dword v76, off, s[24:27], 0 offset:28 ; 4-byte Folded Reload
	s_waitcnt lgkmcnt(0)
	v_mul_f64 v[95:96], v[91:92], v[103:104]
	v_fma_f64 v[95:96], v[89:90], v[113:114], -v[95:96]
	v_mul_f64 v[89:90], v[89:90], v[103:104]
	v_fma_f64 v[89:90], v[91:92], v[113:114], v[89:90]
	s_waitcnt vmcnt(2)
	v_add_f64 v[73:74], v[73:74], -v[95:96]
	s_waitcnt vmcnt(0)
	v_add_f64 v[75:76], v[75:76], -v[89:90]
	buffer_store_dword v73, off, s[24:27], 0 offset:16 ; 4-byte Folded Spill
	s_nop 0
	buffer_store_dword v74, off, s[24:27], 0 offset:20 ; 4-byte Folded Spill
	buffer_store_dword v75, off, s[24:27], 0 offset:24 ; 4-byte Folded Spill
	;; [unrolled: 1-line block ×3, first 2 shown]
	ds_read2_b64 v[89:92], v0 offset0:60 offset1:61
	s_waitcnt lgkmcnt(0)
	v_mul_f64 v[95:96], v[91:92], v[103:104]
	v_fma_f64 v[95:96], v[89:90], v[113:114], -v[95:96]
	v_mul_f64 v[89:90], v[89:90], v[103:104]
	v_add_f64 v[97:98], v[97:98], -v[95:96]
	v_fma_f64 v[89:90], v[91:92], v[113:114], v[89:90]
	v_add_f64 v[99:100], v[99:100], -v[89:90]
	ds_read2_b64 v[89:92], v0 offset0:62 offset1:63
	s_waitcnt lgkmcnt(0)
	v_mul_f64 v[95:96], v[91:92], v[103:104]
	v_fma_f64 v[95:96], v[89:90], v[113:114], -v[95:96]
	v_mul_f64 v[89:90], v[89:90], v[103:104]
	v_add_f64 v[85:86], v[85:86], -v[95:96]
	v_fma_f64 v[89:90], v[91:92], v[113:114], v[89:90]
	v_add_f64 v[87:88], v[87:88], -v[89:90]
	;; [unrolled: 8-line block ×5, first 2 shown]
	ds_read2_b64 v[89:92], v0 offset0:70 offset1:71
	buffer_load_dword v73, off, s[24:27], 0 ; 4-byte Folded Reload
	buffer_load_dword v74, off, s[24:27], 0 offset:4 ; 4-byte Folded Reload
	buffer_load_dword v75, off, s[24:27], 0 offset:8 ; 4-byte Folded Reload
	;; [unrolled: 1-line block ×3, first 2 shown]
	s_waitcnt lgkmcnt(0)
	v_mul_f64 v[95:96], v[91:92], v[103:104]
	v_fma_f64 v[95:96], v[89:90], v[113:114], -v[95:96]
	v_mul_f64 v[89:90], v[89:90], v[103:104]
	v_fma_f64 v[89:90], v[91:92], v[113:114], v[89:90]
	s_waitcnt vmcnt(2)
	v_add_f64 v[73:74], v[73:74], -v[95:96]
	s_waitcnt vmcnt(0)
	v_add_f64 v[75:76], v[75:76], -v[89:90]
	buffer_store_dword v73, off, s[24:27], 0 ; 4-byte Folded Spill
	s_nop 0
	buffer_store_dword v74, off, s[24:27], 0 offset:4 ; 4-byte Folded Spill
	buffer_store_dword v75, off, s[24:27], 0 offset:8 ; 4-byte Folded Spill
	;; [unrolled: 1-line block ×3, first 2 shown]
	ds_read2_b64 v[89:92], v0 offset0:72 offset1:73
	s_waitcnt lgkmcnt(0)
	v_mul_f64 v[95:96], v[91:92], v[103:104]
	v_fma_f64 v[95:96], v[89:90], v[113:114], -v[95:96]
	v_mul_f64 v[89:90], v[89:90], v[103:104]
	v_add_f64 v[69:70], v[69:70], -v[95:96]
	v_fma_f64 v[89:90], v[91:92], v[113:114], v[89:90]
	v_add_f64 v[71:72], v[71:72], -v[89:90]
	ds_read2_b64 v[89:92], v0 offset0:74 offset1:75
	s_waitcnt lgkmcnt(0)
	v_mul_f64 v[95:96], v[91:92], v[103:104]
	v_fma_f64 v[95:96], v[89:90], v[113:114], -v[95:96]
	v_mul_f64 v[89:90], v[89:90], v[103:104]
	v_add_f64 v[65:66], v[65:66], -v[95:96]
	v_fma_f64 v[89:90], v[91:92], v[113:114], v[89:90]
	v_add_f64 v[67:68], v[67:68], -v[89:90]
	;; [unrolled: 8-line block ×18, first 2 shown]
	ds_read2_b64 v[89:92], v0 offset0:108 offset1:109
	s_waitcnt lgkmcnt(0)
	v_mul_f64 v[95:96], v[91:92], v[103:104]
	v_fma_f64 v[95:96], v[89:90], v[113:114], -v[95:96]
	v_mul_f64 v[89:90], v[89:90], v[103:104]
	buffer_store_dword v101, off, s[24:27], 0 offset:96 ; 4-byte Folded Spill
	s_nop 0
	buffer_store_dword v102, off, s[24:27], 0 offset:100 ; 4-byte Folded Spill
	buffer_store_dword v103, off, s[24:27], 0 offset:104 ; 4-byte Folded Spill
	;; [unrolled: 1-line block ×3, first 2 shown]
	v_add_f64 v[121:122], v[121:122], -v[95:96]
	v_fma_f64 v[89:90], v[91:92], v[113:114], v[89:90]
	v_mov_b32_e32 v116, v84
	v_mov_b32_e32 v115, v83
	v_mov_b32_e32 v114, v82
	v_mov_b32_e32 v113, v81
	v_mov_b32_e32 v81, v97
	v_mov_b32_e32 v82, v98
	v_mov_b32_e32 v83, v99
	v_add_f64 v[123:124], v[123:124], -v[89:90]
	v_mov_b32_e32 v84, v100
.LBB108_524:
	s_or_b64 exec, exec, s[0:1]
	s_waitcnt vmcnt(0)
	s_barrier
	buffer_load_dword v73, off, s[24:27], 0 offset:80 ; 4-byte Folded Reload
	buffer_load_dword v74, off, s[24:27], 0 offset:84 ; 4-byte Folded Reload
	;; [unrolled: 1-line block ×4, first 2 shown]
	v_lshl_add_u32 v89, v93, 4, v0
	s_cmp_lt_i32 s3, 27
	s_waitcnt vmcnt(0)
	ds_write2_b64 v89, v[73:74], v[75:76] offset1:1
	s_waitcnt lgkmcnt(0)
	s_barrier
	ds_read2_b64 v[117:120], v0 offset0:50 offset1:51
	v_mov_b32_e32 v89, 25
	s_cbranch_scc1 .LBB108_527
; %bb.525:
	v_add_u32_e32 v90, 0x1a0, v0
	s_mov_b32 s0, 26
	v_mov_b32_e32 v89, 25
.LBB108_526:                            ; =>This Inner Loop Header: Depth=1
	s_waitcnt lgkmcnt(0)
	v_cmp_gt_f64_e32 vcc, 0, v[117:118]
	v_xor_b32_e32 v91, 0x80000000, v118
	ds_read2_b64 v[95:98], v90 offset1:1
	v_xor_b32_e32 v99, 0x80000000, v120
	v_add_u32_e32 v90, 16, v90
	s_waitcnt lgkmcnt(0)
	v_xor_b32_e32 v101, 0x80000000, v98
	v_cndmask_b32_e32 v92, v118, v91, vcc
	v_cmp_gt_f64_e32 vcc, 0, v[119:120]
	v_mov_b32_e32 v91, v117
	v_cndmask_b32_e32 v100, v120, v99, vcc
	v_cmp_gt_f64_e32 vcc, 0, v[95:96]
	v_mov_b32_e32 v99, v119
	v_add_f64 v[91:92], v[91:92], v[99:100]
	v_xor_b32_e32 v99, 0x80000000, v96
	v_cndmask_b32_e32 v100, v96, v99, vcc
	v_cmp_gt_f64_e32 vcc, 0, v[97:98]
	v_mov_b32_e32 v99, v95
	v_cndmask_b32_e32 v102, v98, v101, vcc
	v_mov_b32_e32 v101, v97
	v_add_f64 v[99:100], v[99:100], v[101:102]
	v_cmp_lt_f64_e32 vcc, v[91:92], v[99:100]
	v_mov_b32_e32 v91, s0
	s_add_i32 s0, s0, 1
	s_cmp_lg_u32 s3, s0
	v_cndmask_b32_e32 v118, v118, v96, vcc
	v_cndmask_b32_e32 v117, v117, v95, vcc
	;; [unrolled: 1-line block ×5, first 2 shown]
	s_cbranch_scc1 .LBB108_526
.LBB108_527:
	s_waitcnt lgkmcnt(0)
	v_cmp_eq_f64_e32 vcc, 0, v[117:118]
	v_cmp_eq_f64_e64 s[0:1], 0, v[119:120]
	s_and_b64 s[0:1], vcc, s[0:1]
	s_and_saveexec_b64 s[18:19], s[0:1]
	s_xor_b64 s[0:1], exec, s[18:19]
; %bb.528:
	v_cmp_ne_u32_e32 vcc, 0, v94
	v_cndmask_b32_e32 v94, 26, v94, vcc
; %bb.529:
	s_andn2_saveexec_b64 s[0:1], s[0:1]
	s_cbranch_execz .LBB108_535
; %bb.530:
	v_cmp_ngt_f64_e64 s[18:19], |v[117:118]|, |v[119:120]|
	s_and_saveexec_b64 s[20:21], s[18:19]
	s_xor_b64 s[18:19], exec, s[20:21]
	s_cbranch_execz .LBB108_532
; %bb.531:
	v_div_scale_f64 v[90:91], s[20:21], v[119:120], v[119:120], v[117:118]
	v_rcp_f64_e32 v[95:96], v[90:91]
	v_fma_f64 v[97:98], -v[90:91], v[95:96], 1.0
	v_fma_f64 v[95:96], v[95:96], v[97:98], v[95:96]
	v_div_scale_f64 v[97:98], vcc, v[117:118], v[119:120], v[117:118]
	v_fma_f64 v[99:100], -v[90:91], v[95:96], 1.0
	v_fma_f64 v[95:96], v[95:96], v[99:100], v[95:96]
	v_mul_f64 v[99:100], v[97:98], v[95:96]
	v_fma_f64 v[90:91], -v[90:91], v[99:100], v[97:98]
	v_div_fmas_f64 v[90:91], v[90:91], v[95:96], v[99:100]
	v_div_fixup_f64 v[90:91], v[90:91], v[119:120], v[117:118]
	v_fma_f64 v[95:96], v[117:118], v[90:91], v[119:120]
	v_div_scale_f64 v[97:98], s[20:21], v[95:96], v[95:96], 1.0
	v_div_scale_f64 v[103:104], vcc, 1.0, v[95:96], 1.0
	v_rcp_f64_e32 v[99:100], v[97:98]
	v_fma_f64 v[101:102], -v[97:98], v[99:100], 1.0
	v_fma_f64 v[99:100], v[99:100], v[101:102], v[99:100]
	v_fma_f64 v[101:102], -v[97:98], v[99:100], 1.0
	v_fma_f64 v[99:100], v[99:100], v[101:102], v[99:100]
	v_mul_f64 v[101:102], v[103:104], v[99:100]
	v_fma_f64 v[97:98], -v[97:98], v[101:102], v[103:104]
	v_div_fmas_f64 v[97:98], v[97:98], v[99:100], v[101:102]
	v_div_fixup_f64 v[119:120], v[97:98], v[95:96], 1.0
	v_mul_f64 v[117:118], v[90:91], v[119:120]
	v_xor_b32_e32 v120, 0x80000000, v120
.LBB108_532:
	s_andn2_saveexec_b64 s[18:19], s[18:19]
	s_cbranch_execz .LBB108_534
; %bb.533:
	v_div_scale_f64 v[90:91], s[20:21], v[117:118], v[117:118], v[119:120]
	v_rcp_f64_e32 v[95:96], v[90:91]
	v_fma_f64 v[97:98], -v[90:91], v[95:96], 1.0
	v_fma_f64 v[95:96], v[95:96], v[97:98], v[95:96]
	v_div_scale_f64 v[97:98], vcc, v[119:120], v[117:118], v[119:120]
	v_fma_f64 v[99:100], -v[90:91], v[95:96], 1.0
	v_fma_f64 v[95:96], v[95:96], v[99:100], v[95:96]
	v_mul_f64 v[99:100], v[97:98], v[95:96]
	v_fma_f64 v[90:91], -v[90:91], v[99:100], v[97:98]
	v_div_fmas_f64 v[90:91], v[90:91], v[95:96], v[99:100]
	v_div_fixup_f64 v[90:91], v[90:91], v[117:118], v[119:120]
	v_fma_f64 v[95:96], v[119:120], v[90:91], v[117:118]
	v_div_scale_f64 v[97:98], s[20:21], v[95:96], v[95:96], 1.0
	v_div_scale_f64 v[103:104], vcc, 1.0, v[95:96], 1.0
	v_rcp_f64_e32 v[99:100], v[97:98]
	v_fma_f64 v[101:102], -v[97:98], v[99:100], 1.0
	v_fma_f64 v[99:100], v[99:100], v[101:102], v[99:100]
	v_fma_f64 v[101:102], -v[97:98], v[99:100], 1.0
	v_fma_f64 v[99:100], v[99:100], v[101:102], v[99:100]
	v_mul_f64 v[101:102], v[103:104], v[99:100]
	v_fma_f64 v[97:98], -v[97:98], v[101:102], v[103:104]
	v_div_fmas_f64 v[97:98], v[97:98], v[99:100], v[101:102]
	v_div_fixup_f64 v[117:118], v[97:98], v[95:96], 1.0
	v_mul_f64 v[119:120], v[90:91], -v[117:118]
.LBB108_534:
	s_or_b64 exec, exec, s[18:19]
.LBB108_535:
	s_or_b64 exec, exec, s[0:1]
	v_cmp_ne_u32_e32 vcc, v93, v89
	s_and_saveexec_b64 s[0:1], vcc
	s_xor_b64 s[0:1], exec, s[0:1]
	s_cbranch_execz .LBB108_541
; %bb.536:
	v_cmp_eq_u32_e32 vcc, 25, v93
	s_and_saveexec_b64 s[18:19], vcc
	s_cbranch_execz .LBB108_540
; %bb.537:
	v_cmp_ne_u32_e32 vcc, 25, v89
	s_xor_b64 s[20:21], s[6:7], -1
	s_and_b64 s[22:23], s[20:21], vcc
	s_and_saveexec_b64 s[20:21], s[22:23]
	s_cbranch_execz .LBB108_539
; %bb.538:
	v_mov_b32_e32 v73, v81
	v_mov_b32_e32 v74, v82
	;; [unrolled: 1-line block ×4, first 2 shown]
	buffer_load_dword v81, off, s[24:27], 0 offset:452 ; 4-byte Folded Reload
	buffer_load_dword v82, off, s[24:27], 0 offset:456 ; 4-byte Folded Reload
	v_ashrrev_i32_e32 v90, 31, v89
	v_lshlrev_b64 v[90:91], 2, v[89:90]
	s_waitcnt vmcnt(1)
	v_add_co_u32_e32 v90, vcc, v81, v90
	s_waitcnt vmcnt(0)
	v_addc_co_u32_e32 v91, vcc, v82, v91, vcc
	global_load_dword v92, v[90:91], off
	global_load_dword v93, v[81:82], off offset:100
	s_waitcnt vmcnt(1)
	global_store_dword v[81:82], v92, off offset:100
	v_mov_b32_e32 v84, v76
	v_mov_b32_e32 v83, v75
	;; [unrolled: 1-line block ×4, first 2 shown]
	s_waitcnt vmcnt(1)
	global_store_dword v[90:91], v93, off
.LBB108_539:
	s_or_b64 exec, exec, s[20:21]
	v_mov_b32_e32 v93, v89
	v_mov_b32_e32 v73, v89
	buffer_store_dword v73, off, s[24:27], 0 offset:368 ; 4-byte Folded Spill
.LBB108_540:
	s_or_b64 exec, exec, s[18:19]
.LBB108_541:
	s_andn2_saveexec_b64 s[0:1], s[0:1]
	s_cbranch_execz .LBB108_543
; %bb.542:
	buffer_load_dword v73, off, s[24:27], 0 offset:64 ; 4-byte Folded Reload
	buffer_load_dword v74, off, s[24:27], 0 offset:68 ; 4-byte Folded Reload
	;; [unrolled: 1-line block ×4, first 2 shown]
	v_mov_b32_e32 v93, 25
	s_waitcnt vmcnt(0)
	ds_write2_b64 v0, v[73:74], v[75:76] offset0:52 offset1:53
	buffer_load_dword v73, off, s[24:27], 0 offset:48 ; 4-byte Folded Reload
	buffer_load_dword v74, off, s[24:27], 0 offset:52 ; 4-byte Folded Reload
	buffer_load_dword v75, off, s[24:27], 0 offset:56 ; 4-byte Folded Reload
	buffer_load_dword v76, off, s[24:27], 0 offset:60 ; 4-byte Folded Reload
	s_waitcnt vmcnt(0)
	ds_write2_b64 v0, v[73:74], v[75:76] offset0:54 offset1:55
	buffer_load_dword v73, off, s[24:27], 0 offset:32 ; 4-byte Folded Reload
	buffer_load_dword v74, off, s[24:27], 0 offset:36 ; 4-byte Folded Reload
	buffer_load_dword v75, off, s[24:27], 0 offset:40 ; 4-byte Folded Reload
	buffer_load_dword v76, off, s[24:27], 0 offset:44 ; 4-byte Folded Reload
	;; [unrolled: 6-line block ×3, first 2 shown]
	s_waitcnt vmcnt(0)
	ds_write2_b64 v0, v[73:74], v[75:76] offset0:58 offset1:59
	ds_write2_b64 v0, v[81:82], v[83:84] offset0:60 offset1:61
	;; [unrolled: 1-line block ×6, first 2 shown]
	buffer_load_dword v73, off, s[24:27], 0 ; 4-byte Folded Reload
	buffer_load_dword v74, off, s[24:27], 0 offset:4 ; 4-byte Folded Reload
	buffer_load_dword v75, off, s[24:27], 0 offset:8 ; 4-byte Folded Reload
	;; [unrolled: 1-line block ×3, first 2 shown]
	s_waitcnt vmcnt(0)
	ds_write2_b64 v0, v[73:74], v[75:76] offset0:70 offset1:71
	ds_write2_b64 v0, v[69:70], v[71:72] offset0:72 offset1:73
	;; [unrolled: 1-line block ×20, first 2 shown]
.LBB108_543:
	s_or_b64 exec, exec, s[0:1]
	v_cmp_lt_i32_e32 vcc, 25, v93
	s_waitcnt vmcnt(0) lgkmcnt(0)
	s_barrier
	s_and_saveexec_b64 s[0:1], vcc
	s_cbranch_execz .LBB108_545
; %bb.544:
	buffer_load_dword v97, off, s[24:27], 0 offset:80 ; 4-byte Folded Reload
	buffer_load_dword v98, off, s[24:27], 0 offset:84 ; 4-byte Folded Reload
	;; [unrolled: 1-line block ×4, first 2 shown]
	s_waitcnt vmcnt(0)
	v_mul_f64 v[89:90], v[119:120], v[99:100]
	v_mul_f64 v[91:92], v[117:118], v[99:100]
	v_fma_f64 v[89:90], v[117:118], v[97:98], -v[89:90]
	v_fma_f64 v[99:100], v[119:120], v[97:98], v[91:92]
	ds_read2_b64 v[95:98], v0 offset0:52 offset1:53
	buffer_load_dword v73, off, s[24:27], 0 offset:64 ; 4-byte Folded Reload
	buffer_load_dword v74, off, s[24:27], 0 offset:68 ; 4-byte Folded Reload
	buffer_load_dword v75, off, s[24:27], 0 offset:72 ; 4-byte Folded Reload
	buffer_load_dword v76, off, s[24:27], 0 offset:76 ; 4-byte Folded Reload
	s_waitcnt lgkmcnt(0)
	v_mul_f64 v[91:92], v[97:98], v[99:100]
	v_fma_f64 v[91:92], v[95:96], v[89:90], -v[91:92]
	v_mul_f64 v[95:96], v[95:96], v[99:100]
	v_fma_f64 v[95:96], v[97:98], v[89:90], v[95:96]
	s_waitcnt vmcnt(2)
	v_add_f64 v[73:74], v[73:74], -v[91:92]
	s_waitcnt vmcnt(0)
	v_add_f64 v[75:76], v[75:76], -v[95:96]
	buffer_store_dword v73, off, s[24:27], 0 offset:64 ; 4-byte Folded Spill
	s_nop 0
	buffer_store_dword v74, off, s[24:27], 0 offset:68 ; 4-byte Folded Spill
	buffer_store_dword v75, off, s[24:27], 0 offset:72 ; 4-byte Folded Spill
	buffer_store_dword v76, off, s[24:27], 0 offset:76 ; 4-byte Folded Spill
	ds_read2_b64 v[95:98], v0 offset0:54 offset1:55
	buffer_load_dword v73, off, s[24:27], 0 offset:48 ; 4-byte Folded Reload
	buffer_load_dword v74, off, s[24:27], 0 offset:52 ; 4-byte Folded Reload
	buffer_load_dword v75, off, s[24:27], 0 offset:56 ; 4-byte Folded Reload
	buffer_load_dword v76, off, s[24:27], 0 offset:60 ; 4-byte Folded Reload
	s_waitcnt lgkmcnt(0)
	v_mul_f64 v[91:92], v[97:98], v[99:100]
	v_fma_f64 v[91:92], v[95:96], v[89:90], -v[91:92]
	v_mul_f64 v[95:96], v[95:96], v[99:100]
	v_fma_f64 v[95:96], v[97:98], v[89:90], v[95:96]
	s_waitcnt vmcnt(2)
	v_add_f64 v[73:74], v[73:74], -v[91:92]
	s_waitcnt vmcnt(0)
	v_add_f64 v[75:76], v[75:76], -v[95:96]
	buffer_store_dword v73, off, s[24:27], 0 offset:48 ; 4-byte Folded Spill
	s_nop 0
	buffer_store_dword v74, off, s[24:27], 0 offset:52 ; 4-byte Folded Spill
	buffer_store_dword v75, off, s[24:27], 0 offset:56 ; 4-byte Folded Spill
	buffer_store_dword v76, off, s[24:27], 0 offset:60 ; 4-byte Folded Spill
	;; [unrolled: 19-line block ×4, first 2 shown]
	ds_read2_b64 v[95:98], v0 offset0:60 offset1:61
	s_waitcnt lgkmcnt(0)
	v_mul_f64 v[91:92], v[97:98], v[99:100]
	v_fma_f64 v[91:92], v[95:96], v[89:90], -v[91:92]
	v_mul_f64 v[95:96], v[95:96], v[99:100]
	v_add_f64 v[81:82], v[81:82], -v[91:92]
	v_fma_f64 v[95:96], v[97:98], v[89:90], v[95:96]
	v_add_f64 v[83:84], v[83:84], -v[95:96]
	ds_read2_b64 v[95:98], v0 offset0:62 offset1:63
	s_waitcnt lgkmcnt(0)
	v_mul_f64 v[91:92], v[97:98], v[99:100]
	v_fma_f64 v[91:92], v[95:96], v[89:90], -v[91:92]
	v_mul_f64 v[95:96], v[95:96], v[99:100]
	v_add_f64 v[85:86], v[85:86], -v[91:92]
	v_fma_f64 v[95:96], v[97:98], v[89:90], v[95:96]
	v_add_f64 v[87:88], v[87:88], -v[95:96]
	;; [unrolled: 8-line block ×5, first 2 shown]
	ds_read2_b64 v[95:98], v0 offset0:70 offset1:71
	buffer_load_dword v73, off, s[24:27], 0 ; 4-byte Folded Reload
	buffer_load_dword v74, off, s[24:27], 0 offset:4 ; 4-byte Folded Reload
	buffer_load_dword v75, off, s[24:27], 0 offset:8 ; 4-byte Folded Reload
	buffer_load_dword v76, off, s[24:27], 0 offset:12 ; 4-byte Folded Reload
	s_waitcnt lgkmcnt(0)
	v_mul_f64 v[91:92], v[97:98], v[99:100]
	v_fma_f64 v[91:92], v[95:96], v[89:90], -v[91:92]
	v_mul_f64 v[95:96], v[95:96], v[99:100]
	v_fma_f64 v[95:96], v[97:98], v[89:90], v[95:96]
	s_waitcnt vmcnt(2)
	v_add_f64 v[73:74], v[73:74], -v[91:92]
	s_waitcnt vmcnt(0)
	v_add_f64 v[75:76], v[75:76], -v[95:96]
	buffer_store_dword v73, off, s[24:27], 0 ; 4-byte Folded Spill
	s_nop 0
	buffer_store_dword v74, off, s[24:27], 0 offset:4 ; 4-byte Folded Spill
	buffer_store_dword v75, off, s[24:27], 0 offset:8 ; 4-byte Folded Spill
	;; [unrolled: 1-line block ×3, first 2 shown]
	ds_read2_b64 v[95:98], v0 offset0:72 offset1:73
	s_waitcnt lgkmcnt(0)
	v_mul_f64 v[91:92], v[97:98], v[99:100]
	v_fma_f64 v[91:92], v[95:96], v[89:90], -v[91:92]
	v_mul_f64 v[95:96], v[95:96], v[99:100]
	v_add_f64 v[69:70], v[69:70], -v[91:92]
	v_fma_f64 v[95:96], v[97:98], v[89:90], v[95:96]
	v_add_f64 v[71:72], v[71:72], -v[95:96]
	ds_read2_b64 v[95:98], v0 offset0:74 offset1:75
	s_waitcnt lgkmcnt(0)
	v_mul_f64 v[91:92], v[97:98], v[99:100]
	v_fma_f64 v[91:92], v[95:96], v[89:90], -v[91:92]
	v_mul_f64 v[95:96], v[95:96], v[99:100]
	v_add_f64 v[65:66], v[65:66], -v[91:92]
	v_fma_f64 v[95:96], v[97:98], v[89:90], v[95:96]
	v_add_f64 v[67:68], v[67:68], -v[95:96]
	;; [unrolled: 8-line block ×18, first 2 shown]
	ds_read2_b64 v[95:98], v0 offset0:108 offset1:109
	s_waitcnt lgkmcnt(0)
	v_mul_f64 v[91:92], v[97:98], v[99:100]
	v_fma_f64 v[91:92], v[95:96], v[89:90], -v[91:92]
	v_mul_f64 v[95:96], v[95:96], v[99:100]
	v_add_f64 v[121:122], v[121:122], -v[91:92]
	v_fma_f64 v[95:96], v[97:98], v[89:90], v[95:96]
	v_mov_b32_e32 v98, v90
	v_mov_b32_e32 v97, v89
	buffer_store_dword v97, off, s[24:27], 0 offset:80 ; 4-byte Folded Spill
	s_nop 0
	buffer_store_dword v98, off, s[24:27], 0 offset:84 ; 4-byte Folded Spill
	buffer_store_dword v99, off, s[24:27], 0 offset:88 ; 4-byte Folded Spill
	;; [unrolled: 1-line block ×3, first 2 shown]
	v_add_f64 v[123:124], v[123:124], -v[95:96]
.LBB108_545:
	s_or_b64 exec, exec, s[0:1]
	s_waitcnt vmcnt(0)
	s_barrier
	buffer_load_dword v73, off, s[24:27], 0 offset:64 ; 4-byte Folded Reload
	buffer_load_dword v74, off, s[24:27], 0 offset:68 ; 4-byte Folded Reload
	;; [unrolled: 1-line block ×4, first 2 shown]
	v_lshl_add_u32 v89, v93, 4, v0
	s_cmp_lt_i32 s3, 28
	s_waitcnt vmcnt(0)
	ds_write2_b64 v89, v[73:74], v[75:76] offset1:1
	s_waitcnt lgkmcnt(0)
	s_barrier
	ds_read2_b64 v[117:120], v0 offset0:52 offset1:53
	v_mov_b32_e32 v89, 26
	s_cbranch_scc1 .LBB108_548
; %bb.546:
	v_add_u32_e32 v90, 0x1b0, v0
	s_mov_b32 s0, 27
	v_mov_b32_e32 v89, 26
.LBB108_547:                            ; =>This Inner Loop Header: Depth=1
	s_waitcnt lgkmcnt(0)
	v_cmp_gt_f64_e32 vcc, 0, v[117:118]
	v_xor_b32_e32 v91, 0x80000000, v118
	ds_read2_b64 v[95:98], v90 offset1:1
	v_xor_b32_e32 v99, 0x80000000, v120
	v_add_u32_e32 v90, 16, v90
	s_waitcnt lgkmcnt(0)
	v_xor_b32_e32 v101, 0x80000000, v98
	v_cndmask_b32_e32 v92, v118, v91, vcc
	v_cmp_gt_f64_e32 vcc, 0, v[119:120]
	v_mov_b32_e32 v91, v117
	v_cndmask_b32_e32 v100, v120, v99, vcc
	v_cmp_gt_f64_e32 vcc, 0, v[95:96]
	v_mov_b32_e32 v99, v119
	v_add_f64 v[91:92], v[91:92], v[99:100]
	v_xor_b32_e32 v99, 0x80000000, v96
	v_cndmask_b32_e32 v100, v96, v99, vcc
	v_cmp_gt_f64_e32 vcc, 0, v[97:98]
	v_mov_b32_e32 v99, v95
	v_cndmask_b32_e32 v102, v98, v101, vcc
	v_mov_b32_e32 v101, v97
	v_add_f64 v[99:100], v[99:100], v[101:102]
	v_cmp_lt_f64_e32 vcc, v[91:92], v[99:100]
	v_mov_b32_e32 v91, s0
	s_add_i32 s0, s0, 1
	s_cmp_lg_u32 s3, s0
	v_cndmask_b32_e32 v118, v118, v96, vcc
	v_cndmask_b32_e32 v117, v117, v95, vcc
	v_cndmask_b32_e32 v120, v120, v98, vcc
	v_cndmask_b32_e32 v119, v119, v97, vcc
	v_cndmask_b32_e32 v89, v89, v91, vcc
	s_cbranch_scc1 .LBB108_547
.LBB108_548:
	s_waitcnt lgkmcnt(0)
	v_cmp_eq_f64_e32 vcc, 0, v[117:118]
	v_cmp_eq_f64_e64 s[0:1], 0, v[119:120]
	s_and_b64 s[0:1], vcc, s[0:1]
	s_and_saveexec_b64 s[18:19], s[0:1]
	s_xor_b64 s[0:1], exec, s[18:19]
; %bb.549:
	v_cmp_ne_u32_e32 vcc, 0, v94
	v_cndmask_b32_e32 v94, 27, v94, vcc
; %bb.550:
	s_andn2_saveexec_b64 s[0:1], s[0:1]
	s_cbranch_execz .LBB108_556
; %bb.551:
	v_cmp_ngt_f64_e64 s[18:19], |v[117:118]|, |v[119:120]|
	s_and_saveexec_b64 s[20:21], s[18:19]
	s_xor_b64 s[18:19], exec, s[20:21]
	s_cbranch_execz .LBB108_553
; %bb.552:
	v_div_scale_f64 v[90:91], s[20:21], v[119:120], v[119:120], v[117:118]
	v_rcp_f64_e32 v[95:96], v[90:91]
	v_fma_f64 v[97:98], -v[90:91], v[95:96], 1.0
	v_fma_f64 v[95:96], v[95:96], v[97:98], v[95:96]
	v_div_scale_f64 v[97:98], vcc, v[117:118], v[119:120], v[117:118]
	v_fma_f64 v[99:100], -v[90:91], v[95:96], 1.0
	v_fma_f64 v[95:96], v[95:96], v[99:100], v[95:96]
	v_mul_f64 v[99:100], v[97:98], v[95:96]
	v_fma_f64 v[90:91], -v[90:91], v[99:100], v[97:98]
	v_div_fmas_f64 v[90:91], v[90:91], v[95:96], v[99:100]
	v_div_fixup_f64 v[90:91], v[90:91], v[119:120], v[117:118]
	v_fma_f64 v[95:96], v[117:118], v[90:91], v[119:120]
	v_div_scale_f64 v[97:98], s[20:21], v[95:96], v[95:96], 1.0
	v_div_scale_f64 v[103:104], vcc, 1.0, v[95:96], 1.0
	v_rcp_f64_e32 v[99:100], v[97:98]
	v_fma_f64 v[101:102], -v[97:98], v[99:100], 1.0
	v_fma_f64 v[99:100], v[99:100], v[101:102], v[99:100]
	v_fma_f64 v[101:102], -v[97:98], v[99:100], 1.0
	v_fma_f64 v[99:100], v[99:100], v[101:102], v[99:100]
	v_mul_f64 v[101:102], v[103:104], v[99:100]
	v_fma_f64 v[97:98], -v[97:98], v[101:102], v[103:104]
	v_div_fmas_f64 v[97:98], v[97:98], v[99:100], v[101:102]
	v_div_fixup_f64 v[119:120], v[97:98], v[95:96], 1.0
	v_mul_f64 v[117:118], v[90:91], v[119:120]
	v_xor_b32_e32 v120, 0x80000000, v120
.LBB108_553:
	s_andn2_saveexec_b64 s[18:19], s[18:19]
	s_cbranch_execz .LBB108_555
; %bb.554:
	v_div_scale_f64 v[90:91], s[20:21], v[117:118], v[117:118], v[119:120]
	v_rcp_f64_e32 v[95:96], v[90:91]
	v_fma_f64 v[97:98], -v[90:91], v[95:96], 1.0
	v_fma_f64 v[95:96], v[95:96], v[97:98], v[95:96]
	v_div_scale_f64 v[97:98], vcc, v[119:120], v[117:118], v[119:120]
	v_fma_f64 v[99:100], -v[90:91], v[95:96], 1.0
	v_fma_f64 v[95:96], v[95:96], v[99:100], v[95:96]
	v_mul_f64 v[99:100], v[97:98], v[95:96]
	v_fma_f64 v[90:91], -v[90:91], v[99:100], v[97:98]
	v_div_fmas_f64 v[90:91], v[90:91], v[95:96], v[99:100]
	v_div_fixup_f64 v[90:91], v[90:91], v[117:118], v[119:120]
	v_fma_f64 v[95:96], v[119:120], v[90:91], v[117:118]
	v_div_scale_f64 v[97:98], s[20:21], v[95:96], v[95:96], 1.0
	v_div_scale_f64 v[103:104], vcc, 1.0, v[95:96], 1.0
	v_rcp_f64_e32 v[99:100], v[97:98]
	v_fma_f64 v[101:102], -v[97:98], v[99:100], 1.0
	v_fma_f64 v[99:100], v[99:100], v[101:102], v[99:100]
	v_fma_f64 v[101:102], -v[97:98], v[99:100], 1.0
	v_fma_f64 v[99:100], v[99:100], v[101:102], v[99:100]
	v_mul_f64 v[101:102], v[103:104], v[99:100]
	v_fma_f64 v[97:98], -v[97:98], v[101:102], v[103:104]
	v_div_fmas_f64 v[97:98], v[97:98], v[99:100], v[101:102]
	v_div_fixup_f64 v[117:118], v[97:98], v[95:96], 1.0
	v_mul_f64 v[119:120], v[90:91], -v[117:118]
.LBB108_555:
	s_or_b64 exec, exec, s[18:19]
.LBB108_556:
	s_or_b64 exec, exec, s[0:1]
	v_cmp_ne_u32_e32 vcc, v93, v89
	s_and_saveexec_b64 s[0:1], vcc
	s_xor_b64 s[0:1], exec, s[0:1]
	s_cbranch_execz .LBB108_562
; %bb.557:
	v_cmp_eq_u32_e32 vcc, 26, v93
	s_and_saveexec_b64 s[18:19], vcc
	s_cbranch_execz .LBB108_561
; %bb.558:
	v_cmp_ne_u32_e32 vcc, 26, v89
	s_xor_b64 s[20:21], s[6:7], -1
	s_and_b64 s[22:23], s[20:21], vcc
	s_and_saveexec_b64 s[20:21], s[22:23]
	s_cbranch_execz .LBB108_560
; %bb.559:
	v_mov_b32_e32 v73, v81
	v_mov_b32_e32 v74, v82
	;; [unrolled: 1-line block ×4, first 2 shown]
	buffer_load_dword v81, off, s[24:27], 0 offset:452 ; 4-byte Folded Reload
	buffer_load_dword v82, off, s[24:27], 0 offset:456 ; 4-byte Folded Reload
	v_ashrrev_i32_e32 v90, 31, v89
	v_lshlrev_b64 v[90:91], 2, v[89:90]
	s_waitcnt vmcnt(1)
	v_add_co_u32_e32 v90, vcc, v81, v90
	s_waitcnt vmcnt(0)
	v_addc_co_u32_e32 v91, vcc, v82, v91, vcc
	global_load_dword v92, v[90:91], off
	global_load_dword v93, v[81:82], off offset:104
	s_waitcnt vmcnt(1)
	global_store_dword v[81:82], v92, off offset:104
	v_mov_b32_e32 v84, v76
	v_mov_b32_e32 v83, v75
	;; [unrolled: 1-line block ×4, first 2 shown]
	s_waitcnt vmcnt(1)
	global_store_dword v[90:91], v93, off
.LBB108_560:
	s_or_b64 exec, exec, s[20:21]
	v_mov_b32_e32 v93, v89
	v_mov_b32_e32 v73, v89
	buffer_store_dword v73, off, s[24:27], 0 offset:368 ; 4-byte Folded Spill
.LBB108_561:
	s_or_b64 exec, exec, s[18:19]
.LBB108_562:
	s_andn2_saveexec_b64 s[0:1], s[0:1]
	s_cbranch_execz .LBB108_564
; %bb.563:
	buffer_load_dword v73, off, s[24:27], 0 offset:48 ; 4-byte Folded Reload
	buffer_load_dword v74, off, s[24:27], 0 offset:52 ; 4-byte Folded Reload
	;; [unrolled: 1-line block ×4, first 2 shown]
	v_mov_b32_e32 v93, 26
	s_waitcnt vmcnt(0)
	ds_write2_b64 v0, v[73:74], v[75:76] offset0:54 offset1:55
	buffer_load_dword v73, off, s[24:27], 0 offset:32 ; 4-byte Folded Reload
	buffer_load_dword v74, off, s[24:27], 0 offset:36 ; 4-byte Folded Reload
	;; [unrolled: 1-line block ×4, first 2 shown]
	s_waitcnt vmcnt(0)
	ds_write2_b64 v0, v[73:74], v[75:76] offset0:56 offset1:57
	buffer_load_dword v73, off, s[24:27], 0 offset:16 ; 4-byte Folded Reload
	buffer_load_dword v74, off, s[24:27], 0 offset:20 ; 4-byte Folded Reload
	;; [unrolled: 1-line block ×4, first 2 shown]
	s_waitcnt vmcnt(0)
	ds_write2_b64 v0, v[73:74], v[75:76] offset0:58 offset1:59
	ds_write2_b64 v0, v[81:82], v[83:84] offset0:60 offset1:61
	;; [unrolled: 1-line block ×6, first 2 shown]
	buffer_load_dword v73, off, s[24:27], 0 ; 4-byte Folded Reload
	buffer_load_dword v74, off, s[24:27], 0 offset:4 ; 4-byte Folded Reload
	buffer_load_dword v75, off, s[24:27], 0 offset:8 ; 4-byte Folded Reload
	;; [unrolled: 1-line block ×3, first 2 shown]
	s_waitcnt vmcnt(0)
	ds_write2_b64 v0, v[73:74], v[75:76] offset0:70 offset1:71
	ds_write2_b64 v0, v[69:70], v[71:72] offset0:72 offset1:73
	ds_write2_b64 v0, v[65:66], v[67:68] offset0:74 offset1:75
	ds_write2_b64 v0, v[61:62], v[63:64] offset0:76 offset1:77
	ds_write2_b64 v0, v[57:58], v[59:60] offset0:78 offset1:79
	ds_write2_b64 v0, v[53:54], v[55:56] offset0:80 offset1:81
	ds_write2_b64 v0, v[49:50], v[51:52] offset0:82 offset1:83
	ds_write2_b64 v0, v[45:46], v[47:48] offset0:84 offset1:85
	ds_write2_b64 v0, v[41:42], v[43:44] offset0:86 offset1:87
	ds_write2_b64 v0, v[37:38], v[39:40] offset0:88 offset1:89
	ds_write2_b64 v0, v[33:34], v[35:36] offset0:90 offset1:91
	ds_write2_b64 v0, v[29:30], v[31:32] offset0:92 offset1:93
	ds_write2_b64 v0, v[25:26], v[27:28] offset0:94 offset1:95
	ds_write2_b64 v0, v[21:22], v[23:24] offset0:96 offset1:97
	ds_write2_b64 v0, v[17:18], v[19:20] offset0:98 offset1:99
	ds_write2_b64 v0, v[13:14], v[15:16] offset0:100 offset1:101
	ds_write2_b64 v0, v[9:10], v[11:12] offset0:102 offset1:103
	ds_write2_b64 v0, v[5:6], v[7:8] offset0:104 offset1:105
	ds_write2_b64 v0, v[1:2], v[3:4] offset0:106 offset1:107
	ds_write2_b64 v0, v[121:122], v[123:124] offset0:108 offset1:109
.LBB108_564:
	s_or_b64 exec, exec, s[0:1]
	v_cmp_lt_i32_e32 vcc, 26, v93
	s_waitcnt vmcnt(0) lgkmcnt(0)
	s_barrier
	s_and_saveexec_b64 s[0:1], vcc
	s_cbranch_execz .LBB108_566
; %bb.565:
	buffer_load_dword v97, off, s[24:27], 0 offset:64 ; 4-byte Folded Reload
	buffer_load_dword v98, off, s[24:27], 0 offset:68 ; 4-byte Folded Reload
	;; [unrolled: 1-line block ×4, first 2 shown]
	s_waitcnt vmcnt(0)
	v_mul_f64 v[89:90], v[119:120], v[99:100]
	v_mul_f64 v[91:92], v[117:118], v[99:100]
	v_fma_f64 v[89:90], v[117:118], v[97:98], -v[89:90]
	v_fma_f64 v[99:100], v[119:120], v[97:98], v[91:92]
	ds_read2_b64 v[95:98], v0 offset0:54 offset1:55
	buffer_load_dword v73, off, s[24:27], 0 offset:48 ; 4-byte Folded Reload
	buffer_load_dword v74, off, s[24:27], 0 offset:52 ; 4-byte Folded Reload
	buffer_load_dword v75, off, s[24:27], 0 offset:56 ; 4-byte Folded Reload
	buffer_load_dword v76, off, s[24:27], 0 offset:60 ; 4-byte Folded Reload
	s_waitcnt lgkmcnt(0)
	v_mul_f64 v[91:92], v[97:98], v[99:100]
	v_fma_f64 v[91:92], v[95:96], v[89:90], -v[91:92]
	v_mul_f64 v[95:96], v[95:96], v[99:100]
	v_fma_f64 v[95:96], v[97:98], v[89:90], v[95:96]
	s_waitcnt vmcnt(2)
	v_add_f64 v[73:74], v[73:74], -v[91:92]
	s_waitcnt vmcnt(0)
	v_add_f64 v[75:76], v[75:76], -v[95:96]
	buffer_store_dword v73, off, s[24:27], 0 offset:48 ; 4-byte Folded Spill
	s_nop 0
	buffer_store_dword v74, off, s[24:27], 0 offset:52 ; 4-byte Folded Spill
	buffer_store_dword v75, off, s[24:27], 0 offset:56 ; 4-byte Folded Spill
	buffer_store_dword v76, off, s[24:27], 0 offset:60 ; 4-byte Folded Spill
	ds_read2_b64 v[95:98], v0 offset0:56 offset1:57
	buffer_load_dword v73, off, s[24:27], 0 offset:32 ; 4-byte Folded Reload
	buffer_load_dword v74, off, s[24:27], 0 offset:36 ; 4-byte Folded Reload
	buffer_load_dword v75, off, s[24:27], 0 offset:40 ; 4-byte Folded Reload
	buffer_load_dword v76, off, s[24:27], 0 offset:44 ; 4-byte Folded Reload
	s_waitcnt lgkmcnt(0)
	v_mul_f64 v[91:92], v[97:98], v[99:100]
	v_fma_f64 v[91:92], v[95:96], v[89:90], -v[91:92]
	v_mul_f64 v[95:96], v[95:96], v[99:100]
	v_fma_f64 v[95:96], v[97:98], v[89:90], v[95:96]
	s_waitcnt vmcnt(2)
	v_add_f64 v[73:74], v[73:74], -v[91:92]
	s_waitcnt vmcnt(0)
	v_add_f64 v[75:76], v[75:76], -v[95:96]
	buffer_store_dword v73, off, s[24:27], 0 offset:32 ; 4-byte Folded Spill
	s_nop 0
	buffer_store_dword v74, off, s[24:27], 0 offset:36 ; 4-byte Folded Spill
	buffer_store_dword v75, off, s[24:27], 0 offset:40 ; 4-byte Folded Spill
	buffer_store_dword v76, off, s[24:27], 0 offset:44 ; 4-byte Folded Spill
	;; [unrolled: 19-line block ×3, first 2 shown]
	ds_read2_b64 v[95:98], v0 offset0:60 offset1:61
	s_waitcnt lgkmcnt(0)
	v_mul_f64 v[91:92], v[97:98], v[99:100]
	v_fma_f64 v[91:92], v[95:96], v[89:90], -v[91:92]
	v_mul_f64 v[95:96], v[95:96], v[99:100]
	v_add_f64 v[81:82], v[81:82], -v[91:92]
	v_fma_f64 v[95:96], v[97:98], v[89:90], v[95:96]
	v_add_f64 v[83:84], v[83:84], -v[95:96]
	ds_read2_b64 v[95:98], v0 offset0:62 offset1:63
	s_waitcnt lgkmcnt(0)
	v_mul_f64 v[91:92], v[97:98], v[99:100]
	v_fma_f64 v[91:92], v[95:96], v[89:90], -v[91:92]
	v_mul_f64 v[95:96], v[95:96], v[99:100]
	v_add_f64 v[85:86], v[85:86], -v[91:92]
	v_fma_f64 v[95:96], v[97:98], v[89:90], v[95:96]
	v_add_f64 v[87:88], v[87:88], -v[95:96]
	;; [unrolled: 8-line block ×5, first 2 shown]
	ds_read2_b64 v[95:98], v0 offset0:70 offset1:71
	buffer_load_dword v73, off, s[24:27], 0 ; 4-byte Folded Reload
	buffer_load_dword v74, off, s[24:27], 0 offset:4 ; 4-byte Folded Reload
	buffer_load_dword v75, off, s[24:27], 0 offset:8 ; 4-byte Folded Reload
	;; [unrolled: 1-line block ×3, first 2 shown]
	s_waitcnt lgkmcnt(0)
	v_mul_f64 v[91:92], v[97:98], v[99:100]
	v_fma_f64 v[91:92], v[95:96], v[89:90], -v[91:92]
	v_mul_f64 v[95:96], v[95:96], v[99:100]
	v_fma_f64 v[95:96], v[97:98], v[89:90], v[95:96]
	s_waitcnt vmcnt(2)
	v_add_f64 v[73:74], v[73:74], -v[91:92]
	s_waitcnt vmcnt(0)
	v_add_f64 v[75:76], v[75:76], -v[95:96]
	buffer_store_dword v73, off, s[24:27], 0 ; 4-byte Folded Spill
	s_nop 0
	buffer_store_dword v74, off, s[24:27], 0 offset:4 ; 4-byte Folded Spill
	buffer_store_dword v75, off, s[24:27], 0 offset:8 ; 4-byte Folded Spill
	;; [unrolled: 1-line block ×3, first 2 shown]
	ds_read2_b64 v[95:98], v0 offset0:72 offset1:73
	s_waitcnt lgkmcnt(0)
	v_mul_f64 v[91:92], v[97:98], v[99:100]
	v_fma_f64 v[91:92], v[95:96], v[89:90], -v[91:92]
	v_mul_f64 v[95:96], v[95:96], v[99:100]
	v_add_f64 v[69:70], v[69:70], -v[91:92]
	v_fma_f64 v[95:96], v[97:98], v[89:90], v[95:96]
	v_add_f64 v[71:72], v[71:72], -v[95:96]
	ds_read2_b64 v[95:98], v0 offset0:74 offset1:75
	s_waitcnt lgkmcnt(0)
	v_mul_f64 v[91:92], v[97:98], v[99:100]
	v_fma_f64 v[91:92], v[95:96], v[89:90], -v[91:92]
	v_mul_f64 v[95:96], v[95:96], v[99:100]
	v_add_f64 v[65:66], v[65:66], -v[91:92]
	v_fma_f64 v[95:96], v[97:98], v[89:90], v[95:96]
	v_add_f64 v[67:68], v[67:68], -v[95:96]
	;; [unrolled: 8-line block ×18, first 2 shown]
	ds_read2_b64 v[95:98], v0 offset0:108 offset1:109
	s_waitcnt lgkmcnt(0)
	v_mul_f64 v[91:92], v[97:98], v[99:100]
	v_fma_f64 v[91:92], v[95:96], v[89:90], -v[91:92]
	v_mul_f64 v[95:96], v[95:96], v[99:100]
	v_add_f64 v[121:122], v[121:122], -v[91:92]
	v_fma_f64 v[95:96], v[97:98], v[89:90], v[95:96]
	v_mov_b32_e32 v98, v90
	v_mov_b32_e32 v97, v89
	buffer_store_dword v97, off, s[24:27], 0 offset:64 ; 4-byte Folded Spill
	s_nop 0
	buffer_store_dword v98, off, s[24:27], 0 offset:68 ; 4-byte Folded Spill
	buffer_store_dword v99, off, s[24:27], 0 offset:72 ; 4-byte Folded Spill
	buffer_store_dword v100, off, s[24:27], 0 offset:76 ; 4-byte Folded Spill
	v_add_f64 v[123:124], v[123:124], -v[95:96]
.LBB108_566:
	s_or_b64 exec, exec, s[0:1]
	s_waitcnt vmcnt(0)
	s_barrier
	buffer_load_dword v73, off, s[24:27], 0 offset:48 ; 4-byte Folded Reload
	buffer_load_dword v74, off, s[24:27], 0 offset:52 ; 4-byte Folded Reload
	;; [unrolled: 1-line block ×4, first 2 shown]
	v_lshl_add_u32 v89, v93, 4, v0
	s_cmp_lt_i32 s3, 29
	s_waitcnt vmcnt(0)
	ds_write2_b64 v89, v[73:74], v[75:76] offset1:1
	s_waitcnt lgkmcnt(0)
	s_barrier
	ds_read2_b64 v[117:120], v0 offset0:54 offset1:55
	v_mov_b32_e32 v89, 27
	s_cbranch_scc1 .LBB108_569
; %bb.567:
	v_add_u32_e32 v90, 0x1c0, v0
	s_mov_b32 s0, 28
	v_mov_b32_e32 v89, 27
.LBB108_568:                            ; =>This Inner Loop Header: Depth=1
	s_waitcnt lgkmcnt(0)
	v_cmp_gt_f64_e32 vcc, 0, v[117:118]
	v_xor_b32_e32 v91, 0x80000000, v118
	ds_read2_b64 v[95:98], v90 offset1:1
	v_xor_b32_e32 v99, 0x80000000, v120
	v_add_u32_e32 v90, 16, v90
	s_waitcnt lgkmcnt(0)
	v_xor_b32_e32 v101, 0x80000000, v98
	v_cndmask_b32_e32 v92, v118, v91, vcc
	v_cmp_gt_f64_e32 vcc, 0, v[119:120]
	v_mov_b32_e32 v91, v117
	v_cndmask_b32_e32 v100, v120, v99, vcc
	v_cmp_gt_f64_e32 vcc, 0, v[95:96]
	v_mov_b32_e32 v99, v119
	v_add_f64 v[91:92], v[91:92], v[99:100]
	v_xor_b32_e32 v99, 0x80000000, v96
	v_cndmask_b32_e32 v100, v96, v99, vcc
	v_cmp_gt_f64_e32 vcc, 0, v[97:98]
	v_mov_b32_e32 v99, v95
	v_cndmask_b32_e32 v102, v98, v101, vcc
	v_mov_b32_e32 v101, v97
	v_add_f64 v[99:100], v[99:100], v[101:102]
	v_cmp_lt_f64_e32 vcc, v[91:92], v[99:100]
	v_mov_b32_e32 v91, s0
	s_add_i32 s0, s0, 1
	s_cmp_lg_u32 s3, s0
	v_cndmask_b32_e32 v118, v118, v96, vcc
	v_cndmask_b32_e32 v117, v117, v95, vcc
	;; [unrolled: 1-line block ×5, first 2 shown]
	s_cbranch_scc1 .LBB108_568
.LBB108_569:
	s_waitcnt lgkmcnt(0)
	v_cmp_eq_f64_e32 vcc, 0, v[117:118]
	v_cmp_eq_f64_e64 s[0:1], 0, v[119:120]
	s_and_b64 s[0:1], vcc, s[0:1]
	s_and_saveexec_b64 s[18:19], s[0:1]
	s_xor_b64 s[0:1], exec, s[18:19]
; %bb.570:
	v_cmp_ne_u32_e32 vcc, 0, v94
	v_cndmask_b32_e32 v94, 28, v94, vcc
; %bb.571:
	s_andn2_saveexec_b64 s[0:1], s[0:1]
	s_cbranch_execz .LBB108_577
; %bb.572:
	v_cmp_ngt_f64_e64 s[18:19], |v[117:118]|, |v[119:120]|
	s_and_saveexec_b64 s[20:21], s[18:19]
	s_xor_b64 s[18:19], exec, s[20:21]
	s_cbranch_execz .LBB108_574
; %bb.573:
	v_div_scale_f64 v[90:91], s[20:21], v[119:120], v[119:120], v[117:118]
	v_rcp_f64_e32 v[95:96], v[90:91]
	v_fma_f64 v[97:98], -v[90:91], v[95:96], 1.0
	v_fma_f64 v[95:96], v[95:96], v[97:98], v[95:96]
	v_div_scale_f64 v[97:98], vcc, v[117:118], v[119:120], v[117:118]
	v_fma_f64 v[99:100], -v[90:91], v[95:96], 1.0
	v_fma_f64 v[95:96], v[95:96], v[99:100], v[95:96]
	v_mul_f64 v[99:100], v[97:98], v[95:96]
	v_fma_f64 v[90:91], -v[90:91], v[99:100], v[97:98]
	v_div_fmas_f64 v[90:91], v[90:91], v[95:96], v[99:100]
	v_div_fixup_f64 v[90:91], v[90:91], v[119:120], v[117:118]
	v_fma_f64 v[95:96], v[117:118], v[90:91], v[119:120]
	v_div_scale_f64 v[97:98], s[20:21], v[95:96], v[95:96], 1.0
	v_div_scale_f64 v[103:104], vcc, 1.0, v[95:96], 1.0
	v_rcp_f64_e32 v[99:100], v[97:98]
	v_fma_f64 v[101:102], -v[97:98], v[99:100], 1.0
	v_fma_f64 v[99:100], v[99:100], v[101:102], v[99:100]
	v_fma_f64 v[101:102], -v[97:98], v[99:100], 1.0
	v_fma_f64 v[99:100], v[99:100], v[101:102], v[99:100]
	v_mul_f64 v[101:102], v[103:104], v[99:100]
	v_fma_f64 v[97:98], -v[97:98], v[101:102], v[103:104]
	v_div_fmas_f64 v[97:98], v[97:98], v[99:100], v[101:102]
	v_div_fixup_f64 v[119:120], v[97:98], v[95:96], 1.0
	v_mul_f64 v[117:118], v[90:91], v[119:120]
	v_xor_b32_e32 v120, 0x80000000, v120
.LBB108_574:
	s_andn2_saveexec_b64 s[18:19], s[18:19]
	s_cbranch_execz .LBB108_576
; %bb.575:
	v_div_scale_f64 v[90:91], s[20:21], v[117:118], v[117:118], v[119:120]
	v_rcp_f64_e32 v[95:96], v[90:91]
	v_fma_f64 v[97:98], -v[90:91], v[95:96], 1.0
	v_fma_f64 v[95:96], v[95:96], v[97:98], v[95:96]
	v_div_scale_f64 v[97:98], vcc, v[119:120], v[117:118], v[119:120]
	v_fma_f64 v[99:100], -v[90:91], v[95:96], 1.0
	v_fma_f64 v[95:96], v[95:96], v[99:100], v[95:96]
	v_mul_f64 v[99:100], v[97:98], v[95:96]
	v_fma_f64 v[90:91], -v[90:91], v[99:100], v[97:98]
	v_div_fmas_f64 v[90:91], v[90:91], v[95:96], v[99:100]
	v_div_fixup_f64 v[90:91], v[90:91], v[117:118], v[119:120]
	v_fma_f64 v[95:96], v[119:120], v[90:91], v[117:118]
	v_div_scale_f64 v[97:98], s[20:21], v[95:96], v[95:96], 1.0
	v_div_scale_f64 v[103:104], vcc, 1.0, v[95:96], 1.0
	v_rcp_f64_e32 v[99:100], v[97:98]
	v_fma_f64 v[101:102], -v[97:98], v[99:100], 1.0
	v_fma_f64 v[99:100], v[99:100], v[101:102], v[99:100]
	v_fma_f64 v[101:102], -v[97:98], v[99:100], 1.0
	v_fma_f64 v[99:100], v[99:100], v[101:102], v[99:100]
	v_mul_f64 v[101:102], v[103:104], v[99:100]
	v_fma_f64 v[97:98], -v[97:98], v[101:102], v[103:104]
	v_div_fmas_f64 v[97:98], v[97:98], v[99:100], v[101:102]
	v_div_fixup_f64 v[117:118], v[97:98], v[95:96], 1.0
	v_mul_f64 v[119:120], v[90:91], -v[117:118]
.LBB108_576:
	s_or_b64 exec, exec, s[18:19]
.LBB108_577:
	s_or_b64 exec, exec, s[0:1]
	v_cmp_ne_u32_e32 vcc, v93, v89
	s_and_saveexec_b64 s[0:1], vcc
	s_xor_b64 s[0:1], exec, s[0:1]
	s_cbranch_execz .LBB108_583
; %bb.578:
	v_cmp_eq_u32_e32 vcc, 27, v93
	s_and_saveexec_b64 s[18:19], vcc
	s_cbranch_execz .LBB108_582
; %bb.579:
	v_cmp_ne_u32_e32 vcc, 27, v89
	s_xor_b64 s[20:21], s[6:7], -1
	s_and_b64 s[22:23], s[20:21], vcc
	s_and_saveexec_b64 s[20:21], s[22:23]
	s_cbranch_execz .LBB108_581
; %bb.580:
	v_mov_b32_e32 v73, v81
	v_mov_b32_e32 v74, v82
	;; [unrolled: 1-line block ×4, first 2 shown]
	buffer_load_dword v81, off, s[24:27], 0 offset:452 ; 4-byte Folded Reload
	buffer_load_dword v82, off, s[24:27], 0 offset:456 ; 4-byte Folded Reload
	v_ashrrev_i32_e32 v90, 31, v89
	v_lshlrev_b64 v[90:91], 2, v[89:90]
	s_waitcnt vmcnt(1)
	v_add_co_u32_e32 v90, vcc, v81, v90
	s_waitcnt vmcnt(0)
	v_addc_co_u32_e32 v91, vcc, v82, v91, vcc
	global_load_dword v92, v[90:91], off
	global_load_dword v93, v[81:82], off offset:108
	s_waitcnt vmcnt(1)
	global_store_dword v[81:82], v92, off offset:108
	v_mov_b32_e32 v84, v76
	v_mov_b32_e32 v83, v75
	;; [unrolled: 1-line block ×4, first 2 shown]
	s_waitcnt vmcnt(1)
	global_store_dword v[90:91], v93, off
.LBB108_581:
	s_or_b64 exec, exec, s[20:21]
	v_mov_b32_e32 v93, v89
	v_mov_b32_e32 v73, v89
	buffer_store_dword v73, off, s[24:27], 0 offset:368 ; 4-byte Folded Spill
.LBB108_582:
	s_or_b64 exec, exec, s[18:19]
.LBB108_583:
	s_andn2_saveexec_b64 s[0:1], s[0:1]
	s_cbranch_execz .LBB108_585
; %bb.584:
	buffer_load_dword v73, off, s[24:27], 0 offset:32 ; 4-byte Folded Reload
	buffer_load_dword v74, off, s[24:27], 0 offset:36 ; 4-byte Folded Reload
	;; [unrolled: 1-line block ×4, first 2 shown]
	v_mov_b32_e32 v93, 27
	s_waitcnt vmcnt(0)
	ds_write2_b64 v0, v[73:74], v[75:76] offset0:56 offset1:57
	buffer_load_dword v73, off, s[24:27], 0 offset:16 ; 4-byte Folded Reload
	buffer_load_dword v74, off, s[24:27], 0 offset:20 ; 4-byte Folded Reload
	;; [unrolled: 1-line block ×4, first 2 shown]
	s_waitcnt vmcnt(0)
	ds_write2_b64 v0, v[73:74], v[75:76] offset0:58 offset1:59
	ds_write2_b64 v0, v[81:82], v[83:84] offset0:60 offset1:61
	;; [unrolled: 1-line block ×6, first 2 shown]
	buffer_load_dword v73, off, s[24:27], 0 ; 4-byte Folded Reload
	buffer_load_dword v74, off, s[24:27], 0 offset:4 ; 4-byte Folded Reload
	buffer_load_dword v75, off, s[24:27], 0 offset:8 ; 4-byte Folded Reload
	;; [unrolled: 1-line block ×3, first 2 shown]
	s_waitcnt vmcnt(0)
	ds_write2_b64 v0, v[73:74], v[75:76] offset0:70 offset1:71
	ds_write2_b64 v0, v[69:70], v[71:72] offset0:72 offset1:73
	;; [unrolled: 1-line block ×20, first 2 shown]
.LBB108_585:
	s_or_b64 exec, exec, s[0:1]
	v_cmp_lt_i32_e32 vcc, 27, v93
	s_waitcnt vmcnt(0) lgkmcnt(0)
	s_barrier
	s_and_saveexec_b64 s[0:1], vcc
	s_cbranch_execz .LBB108_587
; %bb.586:
	buffer_load_dword v97, off, s[24:27], 0 offset:48 ; 4-byte Folded Reload
	buffer_load_dword v98, off, s[24:27], 0 offset:52 ; 4-byte Folded Reload
	buffer_load_dword v99, off, s[24:27], 0 offset:56 ; 4-byte Folded Reload
	buffer_load_dword v100, off, s[24:27], 0 offset:60 ; 4-byte Folded Reload
	s_waitcnt vmcnt(0)
	v_mul_f64 v[89:90], v[119:120], v[99:100]
	v_mul_f64 v[91:92], v[117:118], v[99:100]
	v_fma_f64 v[89:90], v[117:118], v[97:98], -v[89:90]
	v_fma_f64 v[99:100], v[119:120], v[97:98], v[91:92]
	ds_read2_b64 v[95:98], v0 offset0:56 offset1:57
	buffer_load_dword v73, off, s[24:27], 0 offset:32 ; 4-byte Folded Reload
	buffer_load_dword v74, off, s[24:27], 0 offset:36 ; 4-byte Folded Reload
	;; [unrolled: 1-line block ×4, first 2 shown]
	s_waitcnt lgkmcnt(0)
	v_mul_f64 v[91:92], v[97:98], v[99:100]
	v_fma_f64 v[91:92], v[95:96], v[89:90], -v[91:92]
	v_mul_f64 v[95:96], v[95:96], v[99:100]
	v_fma_f64 v[95:96], v[97:98], v[89:90], v[95:96]
	s_waitcnt vmcnt(2)
	v_add_f64 v[73:74], v[73:74], -v[91:92]
	s_waitcnt vmcnt(0)
	v_add_f64 v[75:76], v[75:76], -v[95:96]
	buffer_store_dword v73, off, s[24:27], 0 offset:32 ; 4-byte Folded Spill
	s_nop 0
	buffer_store_dword v74, off, s[24:27], 0 offset:36 ; 4-byte Folded Spill
	buffer_store_dword v75, off, s[24:27], 0 offset:40 ; 4-byte Folded Spill
	;; [unrolled: 1-line block ×3, first 2 shown]
	ds_read2_b64 v[95:98], v0 offset0:58 offset1:59
	buffer_load_dword v73, off, s[24:27], 0 offset:16 ; 4-byte Folded Reload
	buffer_load_dword v74, off, s[24:27], 0 offset:20 ; 4-byte Folded Reload
	;; [unrolled: 1-line block ×4, first 2 shown]
	s_waitcnt lgkmcnt(0)
	v_mul_f64 v[91:92], v[97:98], v[99:100]
	v_fma_f64 v[91:92], v[95:96], v[89:90], -v[91:92]
	v_mul_f64 v[95:96], v[95:96], v[99:100]
	v_fma_f64 v[95:96], v[97:98], v[89:90], v[95:96]
	s_waitcnt vmcnt(2)
	v_add_f64 v[73:74], v[73:74], -v[91:92]
	s_waitcnt vmcnt(0)
	v_add_f64 v[75:76], v[75:76], -v[95:96]
	buffer_store_dword v73, off, s[24:27], 0 offset:16 ; 4-byte Folded Spill
	s_nop 0
	buffer_store_dword v74, off, s[24:27], 0 offset:20 ; 4-byte Folded Spill
	buffer_store_dword v75, off, s[24:27], 0 offset:24 ; 4-byte Folded Spill
	;; [unrolled: 1-line block ×3, first 2 shown]
	ds_read2_b64 v[95:98], v0 offset0:60 offset1:61
	s_waitcnt lgkmcnt(0)
	v_mul_f64 v[91:92], v[97:98], v[99:100]
	v_fma_f64 v[91:92], v[95:96], v[89:90], -v[91:92]
	v_mul_f64 v[95:96], v[95:96], v[99:100]
	v_add_f64 v[81:82], v[81:82], -v[91:92]
	v_fma_f64 v[95:96], v[97:98], v[89:90], v[95:96]
	v_add_f64 v[83:84], v[83:84], -v[95:96]
	ds_read2_b64 v[95:98], v0 offset0:62 offset1:63
	s_waitcnt lgkmcnt(0)
	v_mul_f64 v[91:92], v[97:98], v[99:100]
	v_fma_f64 v[91:92], v[95:96], v[89:90], -v[91:92]
	v_mul_f64 v[95:96], v[95:96], v[99:100]
	v_add_f64 v[85:86], v[85:86], -v[91:92]
	v_fma_f64 v[95:96], v[97:98], v[89:90], v[95:96]
	v_add_f64 v[87:88], v[87:88], -v[95:96]
	;; [unrolled: 8-line block ×5, first 2 shown]
	ds_read2_b64 v[95:98], v0 offset0:70 offset1:71
	buffer_load_dword v73, off, s[24:27], 0 ; 4-byte Folded Reload
	buffer_load_dword v74, off, s[24:27], 0 offset:4 ; 4-byte Folded Reload
	buffer_load_dword v75, off, s[24:27], 0 offset:8 ; 4-byte Folded Reload
	;; [unrolled: 1-line block ×3, first 2 shown]
	s_waitcnt lgkmcnt(0)
	v_mul_f64 v[91:92], v[97:98], v[99:100]
	v_fma_f64 v[91:92], v[95:96], v[89:90], -v[91:92]
	v_mul_f64 v[95:96], v[95:96], v[99:100]
	v_fma_f64 v[95:96], v[97:98], v[89:90], v[95:96]
	s_waitcnt vmcnt(2)
	v_add_f64 v[73:74], v[73:74], -v[91:92]
	s_waitcnt vmcnt(0)
	v_add_f64 v[75:76], v[75:76], -v[95:96]
	buffer_store_dword v73, off, s[24:27], 0 ; 4-byte Folded Spill
	s_nop 0
	buffer_store_dword v74, off, s[24:27], 0 offset:4 ; 4-byte Folded Spill
	buffer_store_dword v75, off, s[24:27], 0 offset:8 ; 4-byte Folded Spill
	;; [unrolled: 1-line block ×3, first 2 shown]
	ds_read2_b64 v[95:98], v0 offset0:72 offset1:73
	s_waitcnt lgkmcnt(0)
	v_mul_f64 v[91:92], v[97:98], v[99:100]
	v_fma_f64 v[91:92], v[95:96], v[89:90], -v[91:92]
	v_mul_f64 v[95:96], v[95:96], v[99:100]
	v_add_f64 v[69:70], v[69:70], -v[91:92]
	v_fma_f64 v[95:96], v[97:98], v[89:90], v[95:96]
	v_add_f64 v[71:72], v[71:72], -v[95:96]
	ds_read2_b64 v[95:98], v0 offset0:74 offset1:75
	s_waitcnt lgkmcnt(0)
	v_mul_f64 v[91:92], v[97:98], v[99:100]
	v_fma_f64 v[91:92], v[95:96], v[89:90], -v[91:92]
	v_mul_f64 v[95:96], v[95:96], v[99:100]
	v_add_f64 v[65:66], v[65:66], -v[91:92]
	v_fma_f64 v[95:96], v[97:98], v[89:90], v[95:96]
	v_add_f64 v[67:68], v[67:68], -v[95:96]
	;; [unrolled: 8-line block ×18, first 2 shown]
	ds_read2_b64 v[95:98], v0 offset0:108 offset1:109
	s_waitcnt lgkmcnt(0)
	v_mul_f64 v[91:92], v[97:98], v[99:100]
	v_fma_f64 v[91:92], v[95:96], v[89:90], -v[91:92]
	v_mul_f64 v[95:96], v[95:96], v[99:100]
	v_add_f64 v[121:122], v[121:122], -v[91:92]
	v_fma_f64 v[95:96], v[97:98], v[89:90], v[95:96]
	v_mov_b32_e32 v98, v90
	v_mov_b32_e32 v97, v89
	buffer_store_dword v97, off, s[24:27], 0 offset:48 ; 4-byte Folded Spill
	s_nop 0
	buffer_store_dword v98, off, s[24:27], 0 offset:52 ; 4-byte Folded Spill
	buffer_store_dword v99, off, s[24:27], 0 offset:56 ; 4-byte Folded Spill
	;; [unrolled: 1-line block ×3, first 2 shown]
	v_add_f64 v[123:124], v[123:124], -v[95:96]
.LBB108_587:
	s_or_b64 exec, exec, s[0:1]
	s_waitcnt vmcnt(0)
	s_barrier
	buffer_load_dword v73, off, s[24:27], 0 offset:32 ; 4-byte Folded Reload
	buffer_load_dword v74, off, s[24:27], 0 offset:36 ; 4-byte Folded Reload
	;; [unrolled: 1-line block ×4, first 2 shown]
	v_lshl_add_u32 v89, v93, 4, v0
	s_cmp_lt_i32 s3, 30
	s_waitcnt vmcnt(0)
	ds_write2_b64 v89, v[73:74], v[75:76] offset1:1
	s_waitcnt lgkmcnt(0)
	s_barrier
	ds_read2_b64 v[117:120], v0 offset0:56 offset1:57
	v_mov_b32_e32 v89, 28
	s_cbranch_scc1 .LBB108_590
; %bb.588:
	v_add_u32_e32 v90, 0x1d0, v0
	s_mov_b32 s0, 29
	v_mov_b32_e32 v89, 28
.LBB108_589:                            ; =>This Inner Loop Header: Depth=1
	s_waitcnt lgkmcnt(0)
	v_cmp_gt_f64_e32 vcc, 0, v[117:118]
	v_xor_b32_e32 v91, 0x80000000, v118
	ds_read2_b64 v[95:98], v90 offset1:1
	v_xor_b32_e32 v99, 0x80000000, v120
	v_add_u32_e32 v90, 16, v90
	s_waitcnt lgkmcnt(0)
	v_xor_b32_e32 v101, 0x80000000, v98
	v_cndmask_b32_e32 v92, v118, v91, vcc
	v_cmp_gt_f64_e32 vcc, 0, v[119:120]
	v_mov_b32_e32 v91, v117
	v_cndmask_b32_e32 v100, v120, v99, vcc
	v_cmp_gt_f64_e32 vcc, 0, v[95:96]
	v_mov_b32_e32 v99, v119
	v_add_f64 v[91:92], v[91:92], v[99:100]
	v_xor_b32_e32 v99, 0x80000000, v96
	v_cndmask_b32_e32 v100, v96, v99, vcc
	v_cmp_gt_f64_e32 vcc, 0, v[97:98]
	v_mov_b32_e32 v99, v95
	v_cndmask_b32_e32 v102, v98, v101, vcc
	v_mov_b32_e32 v101, v97
	v_add_f64 v[99:100], v[99:100], v[101:102]
	v_cmp_lt_f64_e32 vcc, v[91:92], v[99:100]
	v_mov_b32_e32 v91, s0
	s_add_i32 s0, s0, 1
	s_cmp_lg_u32 s3, s0
	v_cndmask_b32_e32 v118, v118, v96, vcc
	v_cndmask_b32_e32 v117, v117, v95, vcc
	;; [unrolled: 1-line block ×5, first 2 shown]
	s_cbranch_scc1 .LBB108_589
.LBB108_590:
	s_waitcnt lgkmcnt(0)
	v_cmp_eq_f64_e32 vcc, 0, v[117:118]
	v_cmp_eq_f64_e64 s[0:1], 0, v[119:120]
	s_and_b64 s[0:1], vcc, s[0:1]
	s_and_saveexec_b64 s[18:19], s[0:1]
	s_xor_b64 s[0:1], exec, s[18:19]
; %bb.591:
	v_cmp_ne_u32_e32 vcc, 0, v94
	v_cndmask_b32_e32 v94, 29, v94, vcc
; %bb.592:
	s_andn2_saveexec_b64 s[0:1], s[0:1]
	s_cbranch_execz .LBB108_598
; %bb.593:
	v_cmp_ngt_f64_e64 s[18:19], |v[117:118]|, |v[119:120]|
	s_and_saveexec_b64 s[20:21], s[18:19]
	s_xor_b64 s[18:19], exec, s[20:21]
	s_cbranch_execz .LBB108_595
; %bb.594:
	v_div_scale_f64 v[90:91], s[20:21], v[119:120], v[119:120], v[117:118]
	v_rcp_f64_e32 v[95:96], v[90:91]
	v_fma_f64 v[97:98], -v[90:91], v[95:96], 1.0
	v_fma_f64 v[95:96], v[95:96], v[97:98], v[95:96]
	v_div_scale_f64 v[97:98], vcc, v[117:118], v[119:120], v[117:118]
	v_fma_f64 v[99:100], -v[90:91], v[95:96], 1.0
	v_fma_f64 v[95:96], v[95:96], v[99:100], v[95:96]
	v_mul_f64 v[99:100], v[97:98], v[95:96]
	v_fma_f64 v[90:91], -v[90:91], v[99:100], v[97:98]
	v_div_fmas_f64 v[90:91], v[90:91], v[95:96], v[99:100]
	v_div_fixup_f64 v[90:91], v[90:91], v[119:120], v[117:118]
	v_fma_f64 v[95:96], v[117:118], v[90:91], v[119:120]
	v_div_scale_f64 v[97:98], s[20:21], v[95:96], v[95:96], 1.0
	v_div_scale_f64 v[103:104], vcc, 1.0, v[95:96], 1.0
	v_rcp_f64_e32 v[99:100], v[97:98]
	v_fma_f64 v[101:102], -v[97:98], v[99:100], 1.0
	v_fma_f64 v[99:100], v[99:100], v[101:102], v[99:100]
	v_fma_f64 v[101:102], -v[97:98], v[99:100], 1.0
	v_fma_f64 v[99:100], v[99:100], v[101:102], v[99:100]
	v_mul_f64 v[101:102], v[103:104], v[99:100]
	v_fma_f64 v[97:98], -v[97:98], v[101:102], v[103:104]
	v_div_fmas_f64 v[97:98], v[97:98], v[99:100], v[101:102]
	v_div_fixup_f64 v[119:120], v[97:98], v[95:96], 1.0
	v_mul_f64 v[117:118], v[90:91], v[119:120]
	v_xor_b32_e32 v120, 0x80000000, v120
.LBB108_595:
	s_andn2_saveexec_b64 s[18:19], s[18:19]
	s_cbranch_execz .LBB108_597
; %bb.596:
	v_div_scale_f64 v[90:91], s[20:21], v[117:118], v[117:118], v[119:120]
	v_rcp_f64_e32 v[95:96], v[90:91]
	v_fma_f64 v[97:98], -v[90:91], v[95:96], 1.0
	v_fma_f64 v[95:96], v[95:96], v[97:98], v[95:96]
	v_div_scale_f64 v[97:98], vcc, v[119:120], v[117:118], v[119:120]
	v_fma_f64 v[99:100], -v[90:91], v[95:96], 1.0
	v_fma_f64 v[95:96], v[95:96], v[99:100], v[95:96]
	v_mul_f64 v[99:100], v[97:98], v[95:96]
	v_fma_f64 v[90:91], -v[90:91], v[99:100], v[97:98]
	v_div_fmas_f64 v[90:91], v[90:91], v[95:96], v[99:100]
	v_div_fixup_f64 v[90:91], v[90:91], v[117:118], v[119:120]
	v_fma_f64 v[95:96], v[119:120], v[90:91], v[117:118]
	v_div_scale_f64 v[97:98], s[20:21], v[95:96], v[95:96], 1.0
	v_div_scale_f64 v[103:104], vcc, 1.0, v[95:96], 1.0
	v_rcp_f64_e32 v[99:100], v[97:98]
	v_fma_f64 v[101:102], -v[97:98], v[99:100], 1.0
	v_fma_f64 v[99:100], v[99:100], v[101:102], v[99:100]
	v_fma_f64 v[101:102], -v[97:98], v[99:100], 1.0
	v_fma_f64 v[99:100], v[99:100], v[101:102], v[99:100]
	v_mul_f64 v[101:102], v[103:104], v[99:100]
	v_fma_f64 v[97:98], -v[97:98], v[101:102], v[103:104]
	v_div_fmas_f64 v[97:98], v[97:98], v[99:100], v[101:102]
	v_div_fixup_f64 v[117:118], v[97:98], v[95:96], 1.0
	v_mul_f64 v[119:120], v[90:91], -v[117:118]
.LBB108_597:
	s_or_b64 exec, exec, s[18:19]
.LBB108_598:
	s_or_b64 exec, exec, s[0:1]
	v_cmp_ne_u32_e32 vcc, v93, v89
	s_and_saveexec_b64 s[0:1], vcc
	s_xor_b64 s[0:1], exec, s[0:1]
	s_cbranch_execz .LBB108_604
; %bb.599:
	v_cmp_eq_u32_e32 vcc, 28, v93
	s_and_saveexec_b64 s[18:19], vcc
	s_cbranch_execz .LBB108_603
; %bb.600:
	v_cmp_ne_u32_e32 vcc, 28, v89
	s_xor_b64 s[20:21], s[6:7], -1
	s_and_b64 s[22:23], s[20:21], vcc
	s_and_saveexec_b64 s[20:21], s[22:23]
	s_cbranch_execz .LBB108_602
; %bb.601:
	v_mov_b32_e32 v73, v81
	v_mov_b32_e32 v74, v82
	;; [unrolled: 1-line block ×4, first 2 shown]
	buffer_load_dword v81, off, s[24:27], 0 offset:452 ; 4-byte Folded Reload
	buffer_load_dword v82, off, s[24:27], 0 offset:456 ; 4-byte Folded Reload
	v_ashrrev_i32_e32 v90, 31, v89
	v_lshlrev_b64 v[90:91], 2, v[89:90]
	s_waitcnt vmcnt(1)
	v_add_co_u32_e32 v90, vcc, v81, v90
	s_waitcnt vmcnt(0)
	v_addc_co_u32_e32 v91, vcc, v82, v91, vcc
	global_load_dword v92, v[90:91], off
	global_load_dword v93, v[81:82], off offset:112
	s_waitcnt vmcnt(1)
	global_store_dword v[81:82], v92, off offset:112
	v_mov_b32_e32 v84, v76
	v_mov_b32_e32 v83, v75
	;; [unrolled: 1-line block ×4, first 2 shown]
	s_waitcnt vmcnt(1)
	global_store_dword v[90:91], v93, off
.LBB108_602:
	s_or_b64 exec, exec, s[20:21]
	v_mov_b32_e32 v93, v89
	v_mov_b32_e32 v73, v89
	buffer_store_dword v73, off, s[24:27], 0 offset:368 ; 4-byte Folded Spill
.LBB108_603:
	s_or_b64 exec, exec, s[18:19]
.LBB108_604:
	s_andn2_saveexec_b64 s[0:1], s[0:1]
	s_cbranch_execz .LBB108_606
; %bb.605:
	buffer_load_dword v73, off, s[24:27], 0 offset:16 ; 4-byte Folded Reload
	buffer_load_dword v74, off, s[24:27], 0 offset:20 ; 4-byte Folded Reload
	;; [unrolled: 1-line block ×4, first 2 shown]
	v_mov_b32_e32 v93, 28
	s_waitcnt vmcnt(0)
	ds_write2_b64 v0, v[73:74], v[75:76] offset0:58 offset1:59
	ds_write2_b64 v0, v[81:82], v[83:84] offset0:60 offset1:61
	;; [unrolled: 1-line block ×6, first 2 shown]
	buffer_load_dword v73, off, s[24:27], 0 ; 4-byte Folded Reload
	buffer_load_dword v74, off, s[24:27], 0 offset:4 ; 4-byte Folded Reload
	buffer_load_dword v75, off, s[24:27], 0 offset:8 ; 4-byte Folded Reload
	;; [unrolled: 1-line block ×3, first 2 shown]
	s_waitcnt vmcnt(0)
	ds_write2_b64 v0, v[73:74], v[75:76] offset0:70 offset1:71
	ds_write2_b64 v0, v[69:70], v[71:72] offset0:72 offset1:73
	;; [unrolled: 1-line block ×20, first 2 shown]
.LBB108_606:
	s_or_b64 exec, exec, s[0:1]
	v_cmp_lt_i32_e32 vcc, 28, v93
	s_waitcnt vmcnt(0) lgkmcnt(0)
	s_barrier
	s_and_saveexec_b64 s[0:1], vcc
	s_cbranch_execz .LBB108_608
; %bb.607:
	buffer_load_dword v97, off, s[24:27], 0 offset:32 ; 4-byte Folded Reload
	buffer_load_dword v98, off, s[24:27], 0 offset:36 ; 4-byte Folded Reload
	;; [unrolled: 1-line block ×4, first 2 shown]
	s_waitcnt vmcnt(0)
	v_mul_f64 v[89:90], v[119:120], v[99:100]
	v_mul_f64 v[91:92], v[117:118], v[99:100]
	v_fma_f64 v[89:90], v[117:118], v[97:98], -v[89:90]
	v_fma_f64 v[99:100], v[119:120], v[97:98], v[91:92]
	ds_read2_b64 v[95:98], v0 offset0:58 offset1:59
	buffer_load_dword v73, off, s[24:27], 0 offset:16 ; 4-byte Folded Reload
	buffer_load_dword v74, off, s[24:27], 0 offset:20 ; 4-byte Folded Reload
	;; [unrolled: 1-line block ×4, first 2 shown]
	s_waitcnt lgkmcnt(0)
	v_mul_f64 v[91:92], v[97:98], v[99:100]
	v_fma_f64 v[91:92], v[95:96], v[89:90], -v[91:92]
	v_mul_f64 v[95:96], v[95:96], v[99:100]
	v_fma_f64 v[95:96], v[97:98], v[89:90], v[95:96]
	s_waitcnt vmcnt(2)
	v_add_f64 v[73:74], v[73:74], -v[91:92]
	s_waitcnt vmcnt(0)
	v_add_f64 v[75:76], v[75:76], -v[95:96]
	buffer_store_dword v73, off, s[24:27], 0 offset:16 ; 4-byte Folded Spill
	s_nop 0
	buffer_store_dword v74, off, s[24:27], 0 offset:20 ; 4-byte Folded Spill
	buffer_store_dword v75, off, s[24:27], 0 offset:24 ; 4-byte Folded Spill
	;; [unrolled: 1-line block ×3, first 2 shown]
	ds_read2_b64 v[95:98], v0 offset0:60 offset1:61
	s_waitcnt lgkmcnt(0)
	v_mul_f64 v[91:92], v[97:98], v[99:100]
	v_fma_f64 v[91:92], v[95:96], v[89:90], -v[91:92]
	v_mul_f64 v[95:96], v[95:96], v[99:100]
	v_add_f64 v[81:82], v[81:82], -v[91:92]
	v_fma_f64 v[95:96], v[97:98], v[89:90], v[95:96]
	v_add_f64 v[83:84], v[83:84], -v[95:96]
	ds_read2_b64 v[95:98], v0 offset0:62 offset1:63
	s_waitcnt lgkmcnt(0)
	v_mul_f64 v[91:92], v[97:98], v[99:100]
	v_fma_f64 v[91:92], v[95:96], v[89:90], -v[91:92]
	v_mul_f64 v[95:96], v[95:96], v[99:100]
	v_add_f64 v[85:86], v[85:86], -v[91:92]
	v_fma_f64 v[95:96], v[97:98], v[89:90], v[95:96]
	v_add_f64 v[87:88], v[87:88], -v[95:96]
	;; [unrolled: 8-line block ×5, first 2 shown]
	ds_read2_b64 v[95:98], v0 offset0:70 offset1:71
	buffer_load_dword v73, off, s[24:27], 0 ; 4-byte Folded Reload
	buffer_load_dword v74, off, s[24:27], 0 offset:4 ; 4-byte Folded Reload
	buffer_load_dword v75, off, s[24:27], 0 offset:8 ; 4-byte Folded Reload
	;; [unrolled: 1-line block ×3, first 2 shown]
	s_waitcnt lgkmcnt(0)
	v_mul_f64 v[91:92], v[97:98], v[99:100]
	v_fma_f64 v[91:92], v[95:96], v[89:90], -v[91:92]
	v_mul_f64 v[95:96], v[95:96], v[99:100]
	v_fma_f64 v[95:96], v[97:98], v[89:90], v[95:96]
	s_waitcnt vmcnt(2)
	v_add_f64 v[73:74], v[73:74], -v[91:92]
	s_waitcnt vmcnt(0)
	v_add_f64 v[75:76], v[75:76], -v[95:96]
	buffer_store_dword v73, off, s[24:27], 0 ; 4-byte Folded Spill
	s_nop 0
	buffer_store_dword v74, off, s[24:27], 0 offset:4 ; 4-byte Folded Spill
	buffer_store_dword v75, off, s[24:27], 0 offset:8 ; 4-byte Folded Spill
	;; [unrolled: 1-line block ×3, first 2 shown]
	ds_read2_b64 v[95:98], v0 offset0:72 offset1:73
	s_waitcnt lgkmcnt(0)
	v_mul_f64 v[91:92], v[97:98], v[99:100]
	v_fma_f64 v[91:92], v[95:96], v[89:90], -v[91:92]
	v_mul_f64 v[95:96], v[95:96], v[99:100]
	v_add_f64 v[69:70], v[69:70], -v[91:92]
	v_fma_f64 v[95:96], v[97:98], v[89:90], v[95:96]
	v_add_f64 v[71:72], v[71:72], -v[95:96]
	ds_read2_b64 v[95:98], v0 offset0:74 offset1:75
	s_waitcnt lgkmcnt(0)
	v_mul_f64 v[91:92], v[97:98], v[99:100]
	v_fma_f64 v[91:92], v[95:96], v[89:90], -v[91:92]
	v_mul_f64 v[95:96], v[95:96], v[99:100]
	v_add_f64 v[65:66], v[65:66], -v[91:92]
	v_fma_f64 v[95:96], v[97:98], v[89:90], v[95:96]
	v_add_f64 v[67:68], v[67:68], -v[95:96]
	;; [unrolled: 8-line block ×18, first 2 shown]
	ds_read2_b64 v[95:98], v0 offset0:108 offset1:109
	s_waitcnt lgkmcnt(0)
	v_mul_f64 v[91:92], v[97:98], v[99:100]
	v_fma_f64 v[91:92], v[95:96], v[89:90], -v[91:92]
	v_mul_f64 v[95:96], v[95:96], v[99:100]
	v_add_f64 v[121:122], v[121:122], -v[91:92]
	v_fma_f64 v[95:96], v[97:98], v[89:90], v[95:96]
	v_mov_b32_e32 v98, v90
	v_mov_b32_e32 v97, v89
	buffer_store_dword v97, off, s[24:27], 0 offset:32 ; 4-byte Folded Spill
	s_nop 0
	buffer_store_dword v98, off, s[24:27], 0 offset:36 ; 4-byte Folded Spill
	buffer_store_dword v99, off, s[24:27], 0 offset:40 ; 4-byte Folded Spill
	;; [unrolled: 1-line block ×3, first 2 shown]
	v_add_f64 v[123:124], v[123:124], -v[95:96]
.LBB108_608:
	s_or_b64 exec, exec, s[0:1]
	s_waitcnt vmcnt(0)
	s_barrier
	buffer_load_dword v73, off, s[24:27], 0 offset:16 ; 4-byte Folded Reload
	buffer_load_dword v74, off, s[24:27], 0 offset:20 ; 4-byte Folded Reload
	;; [unrolled: 1-line block ×4, first 2 shown]
	v_lshl_add_u32 v89, v93, 4, v0
	s_cmp_lt_i32 s3, 31
	s_waitcnt vmcnt(0)
	ds_write2_b64 v89, v[73:74], v[75:76] offset1:1
	s_waitcnt lgkmcnt(0)
	s_barrier
	ds_read2_b64 v[117:120], v0 offset0:58 offset1:59
	v_mov_b32_e32 v89, 29
	s_cbranch_scc1 .LBB108_611
; %bb.609:
	v_add_u32_e32 v90, 0x1e0, v0
	s_mov_b32 s0, 30
	v_mov_b32_e32 v89, 29
.LBB108_610:                            ; =>This Inner Loop Header: Depth=1
	s_waitcnt lgkmcnt(0)
	v_cmp_gt_f64_e32 vcc, 0, v[117:118]
	v_xor_b32_e32 v91, 0x80000000, v118
	ds_read2_b64 v[95:98], v90 offset1:1
	v_xor_b32_e32 v99, 0x80000000, v120
	v_add_u32_e32 v90, 16, v90
	s_waitcnt lgkmcnt(0)
	v_xor_b32_e32 v101, 0x80000000, v98
	v_cndmask_b32_e32 v92, v118, v91, vcc
	v_cmp_gt_f64_e32 vcc, 0, v[119:120]
	v_mov_b32_e32 v91, v117
	v_cndmask_b32_e32 v100, v120, v99, vcc
	v_cmp_gt_f64_e32 vcc, 0, v[95:96]
	v_mov_b32_e32 v99, v119
	v_add_f64 v[91:92], v[91:92], v[99:100]
	v_xor_b32_e32 v99, 0x80000000, v96
	v_cndmask_b32_e32 v100, v96, v99, vcc
	v_cmp_gt_f64_e32 vcc, 0, v[97:98]
	v_mov_b32_e32 v99, v95
	v_cndmask_b32_e32 v102, v98, v101, vcc
	v_mov_b32_e32 v101, v97
	v_add_f64 v[99:100], v[99:100], v[101:102]
	v_cmp_lt_f64_e32 vcc, v[91:92], v[99:100]
	v_mov_b32_e32 v91, s0
	s_add_i32 s0, s0, 1
	s_cmp_lg_u32 s3, s0
	v_cndmask_b32_e32 v118, v118, v96, vcc
	v_cndmask_b32_e32 v117, v117, v95, vcc
	;; [unrolled: 1-line block ×5, first 2 shown]
	s_cbranch_scc1 .LBB108_610
.LBB108_611:
	s_waitcnt lgkmcnt(0)
	v_cmp_eq_f64_e32 vcc, 0, v[117:118]
	v_cmp_eq_f64_e64 s[0:1], 0, v[119:120]
	s_and_b64 s[0:1], vcc, s[0:1]
	s_and_saveexec_b64 s[18:19], s[0:1]
	s_xor_b64 s[0:1], exec, s[18:19]
; %bb.612:
	v_cmp_ne_u32_e32 vcc, 0, v94
	v_cndmask_b32_e32 v94, 30, v94, vcc
; %bb.613:
	s_andn2_saveexec_b64 s[0:1], s[0:1]
	s_cbranch_execz .LBB108_619
; %bb.614:
	v_cmp_ngt_f64_e64 s[18:19], |v[117:118]|, |v[119:120]|
	s_and_saveexec_b64 s[20:21], s[18:19]
	s_xor_b64 s[18:19], exec, s[20:21]
	s_cbranch_execz .LBB108_616
; %bb.615:
	v_div_scale_f64 v[90:91], s[20:21], v[119:120], v[119:120], v[117:118]
	v_rcp_f64_e32 v[95:96], v[90:91]
	v_fma_f64 v[97:98], -v[90:91], v[95:96], 1.0
	v_fma_f64 v[95:96], v[95:96], v[97:98], v[95:96]
	v_div_scale_f64 v[97:98], vcc, v[117:118], v[119:120], v[117:118]
	v_fma_f64 v[99:100], -v[90:91], v[95:96], 1.0
	v_fma_f64 v[95:96], v[95:96], v[99:100], v[95:96]
	v_mul_f64 v[99:100], v[97:98], v[95:96]
	v_fma_f64 v[90:91], -v[90:91], v[99:100], v[97:98]
	v_div_fmas_f64 v[90:91], v[90:91], v[95:96], v[99:100]
	v_div_fixup_f64 v[90:91], v[90:91], v[119:120], v[117:118]
	v_fma_f64 v[95:96], v[117:118], v[90:91], v[119:120]
	v_div_scale_f64 v[97:98], s[20:21], v[95:96], v[95:96], 1.0
	v_div_scale_f64 v[103:104], vcc, 1.0, v[95:96], 1.0
	v_rcp_f64_e32 v[99:100], v[97:98]
	v_fma_f64 v[101:102], -v[97:98], v[99:100], 1.0
	v_fma_f64 v[99:100], v[99:100], v[101:102], v[99:100]
	v_fma_f64 v[101:102], -v[97:98], v[99:100], 1.0
	v_fma_f64 v[99:100], v[99:100], v[101:102], v[99:100]
	v_mul_f64 v[101:102], v[103:104], v[99:100]
	v_fma_f64 v[97:98], -v[97:98], v[101:102], v[103:104]
	v_div_fmas_f64 v[97:98], v[97:98], v[99:100], v[101:102]
	v_div_fixup_f64 v[119:120], v[97:98], v[95:96], 1.0
	v_mul_f64 v[117:118], v[90:91], v[119:120]
	v_xor_b32_e32 v120, 0x80000000, v120
.LBB108_616:
	s_andn2_saveexec_b64 s[18:19], s[18:19]
	s_cbranch_execz .LBB108_618
; %bb.617:
	v_div_scale_f64 v[90:91], s[20:21], v[117:118], v[117:118], v[119:120]
	v_rcp_f64_e32 v[95:96], v[90:91]
	v_fma_f64 v[97:98], -v[90:91], v[95:96], 1.0
	v_fma_f64 v[95:96], v[95:96], v[97:98], v[95:96]
	v_div_scale_f64 v[97:98], vcc, v[119:120], v[117:118], v[119:120]
	v_fma_f64 v[99:100], -v[90:91], v[95:96], 1.0
	v_fma_f64 v[95:96], v[95:96], v[99:100], v[95:96]
	v_mul_f64 v[99:100], v[97:98], v[95:96]
	v_fma_f64 v[90:91], -v[90:91], v[99:100], v[97:98]
	v_div_fmas_f64 v[90:91], v[90:91], v[95:96], v[99:100]
	v_div_fixup_f64 v[90:91], v[90:91], v[117:118], v[119:120]
	v_fma_f64 v[95:96], v[119:120], v[90:91], v[117:118]
	v_div_scale_f64 v[97:98], s[20:21], v[95:96], v[95:96], 1.0
	v_div_scale_f64 v[103:104], vcc, 1.0, v[95:96], 1.0
	v_rcp_f64_e32 v[99:100], v[97:98]
	v_fma_f64 v[101:102], -v[97:98], v[99:100], 1.0
	v_fma_f64 v[99:100], v[99:100], v[101:102], v[99:100]
	v_fma_f64 v[101:102], -v[97:98], v[99:100], 1.0
	v_fma_f64 v[99:100], v[99:100], v[101:102], v[99:100]
	v_mul_f64 v[101:102], v[103:104], v[99:100]
	v_fma_f64 v[97:98], -v[97:98], v[101:102], v[103:104]
	v_div_fmas_f64 v[97:98], v[97:98], v[99:100], v[101:102]
	v_div_fixup_f64 v[117:118], v[97:98], v[95:96], 1.0
	v_mul_f64 v[119:120], v[90:91], -v[117:118]
.LBB108_618:
	s_or_b64 exec, exec, s[18:19]
.LBB108_619:
	s_or_b64 exec, exec, s[0:1]
	v_cmp_ne_u32_e32 vcc, v93, v89
	s_and_saveexec_b64 s[0:1], vcc
	s_xor_b64 s[0:1], exec, s[0:1]
	s_cbranch_execz .LBB108_625
; %bb.620:
	v_cmp_eq_u32_e32 vcc, 29, v93
	s_and_saveexec_b64 s[18:19], vcc
	s_cbranch_execz .LBB108_624
; %bb.621:
	v_cmp_ne_u32_e32 vcc, 29, v89
	s_xor_b64 s[20:21], s[6:7], -1
	s_and_b64 s[22:23], s[20:21], vcc
	s_and_saveexec_b64 s[20:21], s[22:23]
	s_cbranch_execz .LBB108_623
; %bb.622:
	v_mov_b32_e32 v73, v81
	v_mov_b32_e32 v74, v82
	;; [unrolled: 1-line block ×4, first 2 shown]
	buffer_load_dword v81, off, s[24:27], 0 offset:452 ; 4-byte Folded Reload
	buffer_load_dword v82, off, s[24:27], 0 offset:456 ; 4-byte Folded Reload
	v_ashrrev_i32_e32 v90, 31, v89
	v_lshlrev_b64 v[90:91], 2, v[89:90]
	s_waitcnt vmcnt(1)
	v_add_co_u32_e32 v90, vcc, v81, v90
	s_waitcnt vmcnt(0)
	v_addc_co_u32_e32 v91, vcc, v82, v91, vcc
	global_load_dword v92, v[90:91], off
	global_load_dword v93, v[81:82], off offset:116
	s_waitcnt vmcnt(1)
	global_store_dword v[81:82], v92, off offset:116
	v_mov_b32_e32 v84, v76
	v_mov_b32_e32 v83, v75
	v_mov_b32_e32 v82, v74
	v_mov_b32_e32 v81, v73
	s_waitcnt vmcnt(1)
	global_store_dword v[90:91], v93, off
.LBB108_623:
	s_or_b64 exec, exec, s[20:21]
	v_mov_b32_e32 v93, v89
	v_mov_b32_e32 v73, v89
	buffer_store_dword v73, off, s[24:27], 0 offset:368 ; 4-byte Folded Spill
.LBB108_624:
	s_or_b64 exec, exec, s[18:19]
.LBB108_625:
	s_andn2_saveexec_b64 s[0:1], s[0:1]
	s_cbranch_execz .LBB108_627
; %bb.626:
	ds_write2_b64 v0, v[81:82], v[83:84] offset0:60 offset1:61
	ds_write2_b64 v0, v[85:86], v[87:88] offset0:62 offset1:63
	;; [unrolled: 1-line block ×5, first 2 shown]
	buffer_load_dword v73, off, s[24:27], 0 ; 4-byte Folded Reload
	buffer_load_dword v74, off, s[24:27], 0 offset:4 ; 4-byte Folded Reload
	buffer_load_dword v75, off, s[24:27], 0 offset:8 ; 4-byte Folded Reload
	buffer_load_dword v76, off, s[24:27], 0 offset:12 ; 4-byte Folded Reload
	v_mov_b32_e32 v93, 29
	s_waitcnt vmcnt(0)
	ds_write2_b64 v0, v[73:74], v[75:76] offset0:70 offset1:71
	ds_write2_b64 v0, v[69:70], v[71:72] offset0:72 offset1:73
	;; [unrolled: 1-line block ×20, first 2 shown]
.LBB108_627:
	s_or_b64 exec, exec, s[0:1]
	v_cmp_lt_i32_e32 vcc, 29, v93
	s_waitcnt vmcnt(0) lgkmcnt(0)
	s_barrier
	s_and_saveexec_b64 s[0:1], vcc
	s_cbranch_execz .LBB108_629
; %bb.628:
	buffer_load_dword v97, off, s[24:27], 0 offset:16 ; 4-byte Folded Reload
	buffer_load_dword v98, off, s[24:27], 0 offset:20 ; 4-byte Folded Reload
	;; [unrolled: 1-line block ×4, first 2 shown]
	s_waitcnt vmcnt(0)
	v_mul_f64 v[91:92], v[117:118], v[99:100]
	v_mul_f64 v[89:90], v[119:120], v[99:100]
	v_fma_f64 v[99:100], v[119:120], v[97:98], v[91:92]
	v_fma_f64 v[89:90], v[117:118], v[97:98], -v[89:90]
	ds_read2_b64 v[95:98], v0 offset0:60 offset1:61
	s_waitcnt lgkmcnt(0)
	v_mul_f64 v[91:92], v[97:98], v[99:100]
	v_fma_f64 v[91:92], v[95:96], v[89:90], -v[91:92]
	v_mul_f64 v[95:96], v[95:96], v[99:100]
	v_add_f64 v[81:82], v[81:82], -v[91:92]
	v_fma_f64 v[95:96], v[97:98], v[89:90], v[95:96]
	v_add_f64 v[83:84], v[83:84], -v[95:96]
	ds_read2_b64 v[95:98], v0 offset0:62 offset1:63
	s_waitcnt lgkmcnt(0)
	v_mul_f64 v[91:92], v[97:98], v[99:100]
	v_fma_f64 v[91:92], v[95:96], v[89:90], -v[91:92]
	v_mul_f64 v[95:96], v[95:96], v[99:100]
	v_add_f64 v[85:86], v[85:86], -v[91:92]
	v_fma_f64 v[95:96], v[97:98], v[89:90], v[95:96]
	v_add_f64 v[87:88], v[87:88], -v[95:96]
	ds_read2_b64 v[95:98], v0 offset0:64 offset1:65
	s_waitcnt lgkmcnt(0)
	v_mul_f64 v[91:92], v[97:98], v[99:100]
	v_fma_f64 v[91:92], v[95:96], v[89:90], -v[91:92]
	v_mul_f64 v[95:96], v[95:96], v[99:100]
	v_add_f64 v[109:110], v[109:110], -v[91:92]
	v_fma_f64 v[95:96], v[97:98], v[89:90], v[95:96]
	v_add_f64 v[111:112], v[111:112], -v[95:96]
	ds_read2_b64 v[95:98], v0 offset0:66 offset1:67
	s_waitcnt lgkmcnt(0)
	v_mul_f64 v[91:92], v[97:98], v[99:100]
	v_fma_f64 v[91:92], v[95:96], v[89:90], -v[91:92]
	v_mul_f64 v[95:96], v[95:96], v[99:100]
	v_add_f64 v[113:114], v[113:114], -v[91:92]
	v_fma_f64 v[95:96], v[97:98], v[89:90], v[95:96]
	v_add_f64 v[115:116], v[115:116], -v[95:96]
	ds_read2_b64 v[95:98], v0 offset0:68 offset1:69
	s_waitcnt lgkmcnt(0)
	v_mul_f64 v[91:92], v[97:98], v[99:100]
	v_fma_f64 v[91:92], v[95:96], v[89:90], -v[91:92]
	v_mul_f64 v[95:96], v[95:96], v[99:100]
	v_add_f64 v[77:78], v[77:78], -v[91:92]
	v_fma_f64 v[95:96], v[97:98], v[89:90], v[95:96]
	v_add_f64 v[79:80], v[79:80], -v[95:96]
	ds_read2_b64 v[95:98], v0 offset0:70 offset1:71
	buffer_load_dword v73, off, s[24:27], 0 ; 4-byte Folded Reload
	buffer_load_dword v74, off, s[24:27], 0 offset:4 ; 4-byte Folded Reload
	buffer_load_dword v75, off, s[24:27], 0 offset:8 ; 4-byte Folded Reload
	;; [unrolled: 1-line block ×3, first 2 shown]
	s_waitcnt lgkmcnt(0)
	v_mul_f64 v[91:92], v[97:98], v[99:100]
	v_fma_f64 v[91:92], v[95:96], v[89:90], -v[91:92]
	v_mul_f64 v[95:96], v[95:96], v[99:100]
	v_fma_f64 v[95:96], v[97:98], v[89:90], v[95:96]
	s_waitcnt vmcnt(2)
	v_add_f64 v[73:74], v[73:74], -v[91:92]
	s_waitcnt vmcnt(0)
	v_add_f64 v[75:76], v[75:76], -v[95:96]
	buffer_store_dword v73, off, s[24:27], 0 ; 4-byte Folded Spill
	s_nop 0
	buffer_store_dword v74, off, s[24:27], 0 offset:4 ; 4-byte Folded Spill
	buffer_store_dword v75, off, s[24:27], 0 offset:8 ; 4-byte Folded Spill
	;; [unrolled: 1-line block ×3, first 2 shown]
	ds_read2_b64 v[95:98], v0 offset0:72 offset1:73
	s_waitcnt lgkmcnt(0)
	v_mul_f64 v[91:92], v[97:98], v[99:100]
	v_fma_f64 v[91:92], v[95:96], v[89:90], -v[91:92]
	v_mul_f64 v[95:96], v[95:96], v[99:100]
	v_add_f64 v[69:70], v[69:70], -v[91:92]
	v_fma_f64 v[95:96], v[97:98], v[89:90], v[95:96]
	v_add_f64 v[71:72], v[71:72], -v[95:96]
	ds_read2_b64 v[95:98], v0 offset0:74 offset1:75
	s_waitcnt lgkmcnt(0)
	v_mul_f64 v[91:92], v[97:98], v[99:100]
	v_fma_f64 v[91:92], v[95:96], v[89:90], -v[91:92]
	v_mul_f64 v[95:96], v[95:96], v[99:100]
	v_add_f64 v[65:66], v[65:66], -v[91:92]
	v_fma_f64 v[95:96], v[97:98], v[89:90], v[95:96]
	v_add_f64 v[67:68], v[67:68], -v[95:96]
	;; [unrolled: 8-line block ×18, first 2 shown]
	ds_read2_b64 v[95:98], v0 offset0:108 offset1:109
	s_waitcnt lgkmcnt(0)
	v_mul_f64 v[91:92], v[97:98], v[99:100]
	v_fma_f64 v[91:92], v[95:96], v[89:90], -v[91:92]
	v_mul_f64 v[95:96], v[95:96], v[99:100]
	v_add_f64 v[121:122], v[121:122], -v[91:92]
	v_fma_f64 v[95:96], v[97:98], v[89:90], v[95:96]
	v_mov_b32_e32 v98, v90
	v_mov_b32_e32 v97, v89
	buffer_store_dword v97, off, s[24:27], 0 offset:16 ; 4-byte Folded Spill
	s_nop 0
	buffer_store_dword v98, off, s[24:27], 0 offset:20 ; 4-byte Folded Spill
	buffer_store_dword v99, off, s[24:27], 0 offset:24 ; 4-byte Folded Spill
	;; [unrolled: 1-line block ×3, first 2 shown]
	v_add_f64 v[123:124], v[123:124], -v[95:96]
.LBB108_629:
	s_or_b64 exec, exec, s[0:1]
	v_lshl_add_u32 v89, v93, 4, v0
	s_waitcnt vmcnt(0)
	s_barrier
	ds_write2_b64 v89, v[81:82], v[83:84] offset1:1
	s_waitcnt lgkmcnt(0)
	s_barrier
	ds_read2_b64 v[117:120], v0 offset0:60 offset1:61
	s_cmp_lt_i32 s3, 32
	v_mov_b32_e32 v89, 30
	s_cbranch_scc1 .LBB108_632
; %bb.630:
	v_add_u32_e32 v90, 0x1f0, v0
	s_mov_b32 s0, 31
	v_mov_b32_e32 v89, 30
.LBB108_631:                            ; =>This Inner Loop Header: Depth=1
	s_waitcnt lgkmcnt(0)
	v_cmp_gt_f64_e32 vcc, 0, v[117:118]
	v_xor_b32_e32 v91, 0x80000000, v118
	ds_read2_b64 v[95:98], v90 offset1:1
	v_xor_b32_e32 v99, 0x80000000, v120
	v_add_u32_e32 v90, 16, v90
	s_waitcnt lgkmcnt(0)
	v_xor_b32_e32 v101, 0x80000000, v98
	v_cndmask_b32_e32 v92, v118, v91, vcc
	v_cmp_gt_f64_e32 vcc, 0, v[119:120]
	v_mov_b32_e32 v91, v117
	v_cndmask_b32_e32 v100, v120, v99, vcc
	v_cmp_gt_f64_e32 vcc, 0, v[95:96]
	v_mov_b32_e32 v99, v119
	v_add_f64 v[91:92], v[91:92], v[99:100]
	v_xor_b32_e32 v99, 0x80000000, v96
	v_cndmask_b32_e32 v100, v96, v99, vcc
	v_cmp_gt_f64_e32 vcc, 0, v[97:98]
	v_mov_b32_e32 v99, v95
	v_cndmask_b32_e32 v102, v98, v101, vcc
	v_mov_b32_e32 v101, v97
	v_add_f64 v[99:100], v[99:100], v[101:102]
	v_cmp_lt_f64_e32 vcc, v[91:92], v[99:100]
	v_mov_b32_e32 v91, s0
	s_add_i32 s0, s0, 1
	s_cmp_lg_u32 s3, s0
	v_cndmask_b32_e32 v118, v118, v96, vcc
	v_cndmask_b32_e32 v117, v117, v95, vcc
	;; [unrolled: 1-line block ×5, first 2 shown]
	s_cbranch_scc1 .LBB108_631
.LBB108_632:
	s_waitcnt lgkmcnt(0)
	v_cmp_eq_f64_e32 vcc, 0, v[117:118]
	v_cmp_eq_f64_e64 s[0:1], 0, v[119:120]
	s_and_b64 s[0:1], vcc, s[0:1]
	s_and_saveexec_b64 s[18:19], s[0:1]
	s_xor_b64 s[0:1], exec, s[18:19]
; %bb.633:
	v_cmp_ne_u32_e32 vcc, 0, v94
	v_cndmask_b32_e32 v94, 31, v94, vcc
; %bb.634:
	s_andn2_saveexec_b64 s[0:1], s[0:1]
	s_cbranch_execz .LBB108_640
; %bb.635:
	v_cmp_ngt_f64_e64 s[18:19], |v[117:118]|, |v[119:120]|
	s_and_saveexec_b64 s[20:21], s[18:19]
	s_xor_b64 s[18:19], exec, s[20:21]
	s_cbranch_execz .LBB108_637
; %bb.636:
	v_div_scale_f64 v[90:91], s[20:21], v[119:120], v[119:120], v[117:118]
	v_rcp_f64_e32 v[95:96], v[90:91]
	v_fma_f64 v[97:98], -v[90:91], v[95:96], 1.0
	v_fma_f64 v[95:96], v[95:96], v[97:98], v[95:96]
	v_div_scale_f64 v[97:98], vcc, v[117:118], v[119:120], v[117:118]
	v_fma_f64 v[99:100], -v[90:91], v[95:96], 1.0
	v_fma_f64 v[95:96], v[95:96], v[99:100], v[95:96]
	v_mul_f64 v[99:100], v[97:98], v[95:96]
	v_fma_f64 v[90:91], -v[90:91], v[99:100], v[97:98]
	v_div_fmas_f64 v[90:91], v[90:91], v[95:96], v[99:100]
	v_div_fixup_f64 v[90:91], v[90:91], v[119:120], v[117:118]
	v_fma_f64 v[95:96], v[117:118], v[90:91], v[119:120]
	v_div_scale_f64 v[97:98], s[20:21], v[95:96], v[95:96], 1.0
	v_div_scale_f64 v[103:104], vcc, 1.0, v[95:96], 1.0
	v_rcp_f64_e32 v[99:100], v[97:98]
	v_fma_f64 v[101:102], -v[97:98], v[99:100], 1.0
	v_fma_f64 v[99:100], v[99:100], v[101:102], v[99:100]
	v_fma_f64 v[101:102], -v[97:98], v[99:100], 1.0
	v_fma_f64 v[99:100], v[99:100], v[101:102], v[99:100]
	v_mul_f64 v[101:102], v[103:104], v[99:100]
	v_fma_f64 v[97:98], -v[97:98], v[101:102], v[103:104]
	v_div_fmas_f64 v[97:98], v[97:98], v[99:100], v[101:102]
	v_div_fixup_f64 v[119:120], v[97:98], v[95:96], 1.0
	v_mul_f64 v[117:118], v[90:91], v[119:120]
	v_xor_b32_e32 v120, 0x80000000, v120
.LBB108_637:
	s_andn2_saveexec_b64 s[18:19], s[18:19]
	s_cbranch_execz .LBB108_639
; %bb.638:
	v_div_scale_f64 v[90:91], s[20:21], v[117:118], v[117:118], v[119:120]
	v_rcp_f64_e32 v[95:96], v[90:91]
	v_fma_f64 v[97:98], -v[90:91], v[95:96], 1.0
	v_fma_f64 v[95:96], v[95:96], v[97:98], v[95:96]
	v_div_scale_f64 v[97:98], vcc, v[119:120], v[117:118], v[119:120]
	v_fma_f64 v[99:100], -v[90:91], v[95:96], 1.0
	v_fma_f64 v[95:96], v[95:96], v[99:100], v[95:96]
	v_mul_f64 v[99:100], v[97:98], v[95:96]
	v_fma_f64 v[90:91], -v[90:91], v[99:100], v[97:98]
	v_div_fmas_f64 v[90:91], v[90:91], v[95:96], v[99:100]
	v_div_fixup_f64 v[90:91], v[90:91], v[117:118], v[119:120]
	v_fma_f64 v[95:96], v[119:120], v[90:91], v[117:118]
	v_div_scale_f64 v[97:98], s[20:21], v[95:96], v[95:96], 1.0
	v_div_scale_f64 v[103:104], vcc, 1.0, v[95:96], 1.0
	v_rcp_f64_e32 v[99:100], v[97:98]
	v_fma_f64 v[101:102], -v[97:98], v[99:100], 1.0
	v_fma_f64 v[99:100], v[99:100], v[101:102], v[99:100]
	v_fma_f64 v[101:102], -v[97:98], v[99:100], 1.0
	v_fma_f64 v[99:100], v[99:100], v[101:102], v[99:100]
	v_mul_f64 v[101:102], v[103:104], v[99:100]
	v_fma_f64 v[97:98], -v[97:98], v[101:102], v[103:104]
	v_div_fmas_f64 v[97:98], v[97:98], v[99:100], v[101:102]
	v_div_fixup_f64 v[117:118], v[97:98], v[95:96], 1.0
	v_mul_f64 v[119:120], v[90:91], -v[117:118]
.LBB108_639:
	s_or_b64 exec, exec, s[18:19]
.LBB108_640:
	s_or_b64 exec, exec, s[0:1]
	v_cmp_ne_u32_e32 vcc, v93, v89
	s_and_saveexec_b64 s[0:1], vcc
	s_xor_b64 s[0:1], exec, s[0:1]
	s_cbranch_execz .LBB108_646
; %bb.641:
	v_cmp_eq_u32_e32 vcc, 30, v93
	s_and_saveexec_b64 s[18:19], vcc
	s_cbranch_execz .LBB108_645
; %bb.642:
	v_cmp_ne_u32_e32 vcc, 30, v89
	s_xor_b64 s[20:21], s[6:7], -1
	s_and_b64 s[22:23], s[20:21], vcc
	s_and_saveexec_b64 s[20:21], s[22:23]
	s_cbranch_execz .LBB108_644
; %bb.643:
	v_mov_b32_e32 v73, v81
	v_mov_b32_e32 v74, v82
	;; [unrolled: 1-line block ×4, first 2 shown]
	buffer_load_dword v81, off, s[24:27], 0 offset:452 ; 4-byte Folded Reload
	buffer_load_dword v82, off, s[24:27], 0 offset:456 ; 4-byte Folded Reload
	v_ashrrev_i32_e32 v90, 31, v89
	v_lshlrev_b64 v[90:91], 2, v[89:90]
	s_waitcnt vmcnt(1)
	v_add_co_u32_e32 v90, vcc, v81, v90
	s_waitcnt vmcnt(0)
	v_addc_co_u32_e32 v91, vcc, v82, v91, vcc
	global_load_dword v92, v[90:91], off
	global_load_dword v93, v[81:82], off offset:120
	s_waitcnt vmcnt(1)
	global_store_dword v[81:82], v92, off offset:120
	v_mov_b32_e32 v84, v76
	v_mov_b32_e32 v83, v75
	v_mov_b32_e32 v82, v74
	v_mov_b32_e32 v81, v73
	s_waitcnt vmcnt(1)
	global_store_dword v[90:91], v93, off
.LBB108_644:
	s_or_b64 exec, exec, s[20:21]
	v_mov_b32_e32 v93, v89
	v_mov_b32_e32 v73, v89
	buffer_store_dword v73, off, s[24:27], 0 offset:368 ; 4-byte Folded Spill
.LBB108_645:
	s_or_b64 exec, exec, s[18:19]
.LBB108_646:
	s_andn2_saveexec_b64 s[0:1], s[0:1]
	s_cbranch_execz .LBB108_648
; %bb.647:
	ds_write2_b64 v0, v[85:86], v[87:88] offset0:62 offset1:63
	ds_write2_b64 v0, v[109:110], v[111:112] offset0:64 offset1:65
	ds_write2_b64 v0, v[113:114], v[115:116] offset0:66 offset1:67
	ds_write2_b64 v0, v[77:78], v[79:80] offset0:68 offset1:69
	buffer_load_dword v73, off, s[24:27], 0 ; 4-byte Folded Reload
	buffer_load_dword v74, off, s[24:27], 0 offset:4 ; 4-byte Folded Reload
	buffer_load_dword v75, off, s[24:27], 0 offset:8 ; 4-byte Folded Reload
	;; [unrolled: 1-line block ×3, first 2 shown]
	v_mov_b32_e32 v93, 30
	s_waitcnt vmcnt(0)
	ds_write2_b64 v0, v[73:74], v[75:76] offset0:70 offset1:71
	ds_write2_b64 v0, v[69:70], v[71:72] offset0:72 offset1:73
	ds_write2_b64 v0, v[65:66], v[67:68] offset0:74 offset1:75
	ds_write2_b64 v0, v[61:62], v[63:64] offset0:76 offset1:77
	ds_write2_b64 v0, v[57:58], v[59:60] offset0:78 offset1:79
	ds_write2_b64 v0, v[53:54], v[55:56] offset0:80 offset1:81
	ds_write2_b64 v0, v[49:50], v[51:52] offset0:82 offset1:83
	ds_write2_b64 v0, v[45:46], v[47:48] offset0:84 offset1:85
	ds_write2_b64 v0, v[41:42], v[43:44] offset0:86 offset1:87
	ds_write2_b64 v0, v[37:38], v[39:40] offset0:88 offset1:89
	ds_write2_b64 v0, v[33:34], v[35:36] offset0:90 offset1:91
	ds_write2_b64 v0, v[29:30], v[31:32] offset0:92 offset1:93
	ds_write2_b64 v0, v[25:26], v[27:28] offset0:94 offset1:95
	ds_write2_b64 v0, v[21:22], v[23:24] offset0:96 offset1:97
	ds_write2_b64 v0, v[17:18], v[19:20] offset0:98 offset1:99
	ds_write2_b64 v0, v[13:14], v[15:16] offset0:100 offset1:101
	ds_write2_b64 v0, v[9:10], v[11:12] offset0:102 offset1:103
	ds_write2_b64 v0, v[5:6], v[7:8] offset0:104 offset1:105
	ds_write2_b64 v0, v[1:2], v[3:4] offset0:106 offset1:107
	ds_write2_b64 v0, v[121:122], v[123:124] offset0:108 offset1:109
.LBB108_648:
	s_or_b64 exec, exec, s[0:1]
	v_cmp_lt_i32_e32 vcc, 30, v93
	s_waitcnt vmcnt(0) lgkmcnt(0)
	s_barrier
	s_and_saveexec_b64 s[0:1], vcc
	s_cbranch_execz .LBB108_650
; %bb.649:
	v_mul_f64 v[91:92], v[117:118], v[83:84]
	v_mul_f64 v[89:90], v[119:120], v[83:84]
	ds_read2_b64 v[95:98], v0 offset0:62 offset1:63
	v_fma_f64 v[83:84], v[119:120], v[81:82], v[91:92]
	v_fma_f64 v[89:90], v[117:118], v[81:82], -v[89:90]
	s_waitcnt lgkmcnt(0)
	v_mul_f64 v[91:92], v[97:98], v[83:84]
	v_mov_b32_e32 v81, v89
	v_mov_b32_e32 v82, v90
	v_fma_f64 v[91:92], v[95:96], v[89:90], -v[91:92]
	v_mul_f64 v[95:96], v[95:96], v[83:84]
	v_add_f64 v[85:86], v[85:86], -v[91:92]
	v_fma_f64 v[95:96], v[97:98], v[89:90], v[95:96]
	v_add_f64 v[87:88], v[87:88], -v[95:96]
	ds_read2_b64 v[95:98], v0 offset0:64 offset1:65
	s_waitcnt lgkmcnt(0)
	v_mul_f64 v[91:92], v[97:98], v[83:84]
	v_fma_f64 v[91:92], v[95:96], v[89:90], -v[91:92]
	v_mul_f64 v[95:96], v[95:96], v[83:84]
	v_add_f64 v[109:110], v[109:110], -v[91:92]
	v_fma_f64 v[95:96], v[97:98], v[89:90], v[95:96]
	v_add_f64 v[111:112], v[111:112], -v[95:96]
	ds_read2_b64 v[95:98], v0 offset0:66 offset1:67
	s_waitcnt lgkmcnt(0)
	v_mul_f64 v[91:92], v[97:98], v[83:84]
	;; [unrolled: 8-line block ×3, first 2 shown]
	v_fma_f64 v[91:92], v[95:96], v[89:90], -v[91:92]
	v_mul_f64 v[95:96], v[95:96], v[83:84]
	v_add_f64 v[77:78], v[77:78], -v[91:92]
	v_fma_f64 v[95:96], v[97:98], v[89:90], v[95:96]
	v_add_f64 v[79:80], v[79:80], -v[95:96]
	ds_read2_b64 v[95:98], v0 offset0:70 offset1:71
	buffer_load_dword v73, off, s[24:27], 0 ; 4-byte Folded Reload
	buffer_load_dword v74, off, s[24:27], 0 offset:4 ; 4-byte Folded Reload
	buffer_load_dword v75, off, s[24:27], 0 offset:8 ; 4-byte Folded Reload
	;; [unrolled: 1-line block ×3, first 2 shown]
	s_waitcnt lgkmcnt(0)
	v_mul_f64 v[91:92], v[97:98], v[83:84]
	v_fma_f64 v[91:92], v[95:96], v[89:90], -v[91:92]
	v_mul_f64 v[95:96], v[95:96], v[83:84]
	v_fma_f64 v[95:96], v[97:98], v[89:90], v[95:96]
	s_waitcnt vmcnt(2)
	v_add_f64 v[73:74], v[73:74], -v[91:92]
	s_waitcnt vmcnt(0)
	v_add_f64 v[75:76], v[75:76], -v[95:96]
	buffer_store_dword v73, off, s[24:27], 0 ; 4-byte Folded Spill
	s_nop 0
	buffer_store_dword v74, off, s[24:27], 0 offset:4 ; 4-byte Folded Spill
	buffer_store_dword v75, off, s[24:27], 0 offset:8 ; 4-byte Folded Spill
	;; [unrolled: 1-line block ×3, first 2 shown]
	ds_read2_b64 v[95:98], v0 offset0:72 offset1:73
	s_waitcnt lgkmcnt(0)
	v_mul_f64 v[91:92], v[97:98], v[83:84]
	v_fma_f64 v[91:92], v[95:96], v[89:90], -v[91:92]
	v_mul_f64 v[95:96], v[95:96], v[83:84]
	v_add_f64 v[69:70], v[69:70], -v[91:92]
	v_fma_f64 v[95:96], v[97:98], v[89:90], v[95:96]
	v_add_f64 v[71:72], v[71:72], -v[95:96]
	ds_read2_b64 v[95:98], v0 offset0:74 offset1:75
	s_waitcnt lgkmcnt(0)
	v_mul_f64 v[91:92], v[97:98], v[83:84]
	v_fma_f64 v[91:92], v[95:96], v[89:90], -v[91:92]
	v_mul_f64 v[95:96], v[95:96], v[83:84]
	v_add_f64 v[65:66], v[65:66], -v[91:92]
	v_fma_f64 v[95:96], v[97:98], v[89:90], v[95:96]
	v_add_f64 v[67:68], v[67:68], -v[95:96]
	;; [unrolled: 8-line block ×19, first 2 shown]
.LBB108_650:
	s_or_b64 exec, exec, s[0:1]
	v_lshl_add_u32 v89, v93, 4, v0
	s_waitcnt vmcnt(0)
	s_barrier
	ds_write2_b64 v89, v[85:86], v[87:88] offset1:1
	s_waitcnt lgkmcnt(0)
	s_barrier
	ds_read2_b64 v[117:120], v0 offset0:62 offset1:63
	s_cmp_lt_i32 s3, 33
	v_mov_b32_e32 v89, 31
	s_cbranch_scc1 .LBB108_653
; %bb.651:
	v_add_u32_e32 v90, 0x200, v0
	s_mov_b32 s0, 32
	v_mov_b32_e32 v89, 31
.LBB108_652:                            ; =>This Inner Loop Header: Depth=1
	s_waitcnt lgkmcnt(0)
	v_cmp_gt_f64_e32 vcc, 0, v[117:118]
	v_xor_b32_e32 v91, 0x80000000, v118
	ds_read2_b64 v[95:98], v90 offset1:1
	v_xor_b32_e32 v99, 0x80000000, v120
	v_add_u32_e32 v90, 16, v90
	s_waitcnt lgkmcnt(0)
	v_xor_b32_e32 v101, 0x80000000, v98
	v_cndmask_b32_e32 v92, v118, v91, vcc
	v_cmp_gt_f64_e32 vcc, 0, v[119:120]
	v_mov_b32_e32 v91, v117
	v_cndmask_b32_e32 v100, v120, v99, vcc
	v_cmp_gt_f64_e32 vcc, 0, v[95:96]
	v_mov_b32_e32 v99, v119
	v_add_f64 v[91:92], v[91:92], v[99:100]
	v_xor_b32_e32 v99, 0x80000000, v96
	v_cndmask_b32_e32 v100, v96, v99, vcc
	v_cmp_gt_f64_e32 vcc, 0, v[97:98]
	v_mov_b32_e32 v99, v95
	v_cndmask_b32_e32 v102, v98, v101, vcc
	v_mov_b32_e32 v101, v97
	v_add_f64 v[99:100], v[99:100], v[101:102]
	v_cmp_lt_f64_e32 vcc, v[91:92], v[99:100]
	v_mov_b32_e32 v91, s0
	s_add_i32 s0, s0, 1
	s_cmp_lg_u32 s3, s0
	v_cndmask_b32_e32 v118, v118, v96, vcc
	v_cndmask_b32_e32 v117, v117, v95, vcc
	;; [unrolled: 1-line block ×5, first 2 shown]
	s_cbranch_scc1 .LBB108_652
.LBB108_653:
	s_waitcnt lgkmcnt(0)
	v_cmp_eq_f64_e32 vcc, 0, v[117:118]
	v_cmp_eq_f64_e64 s[0:1], 0, v[119:120]
	s_and_b64 s[0:1], vcc, s[0:1]
	s_and_saveexec_b64 s[18:19], s[0:1]
	s_xor_b64 s[0:1], exec, s[18:19]
; %bb.654:
	v_cmp_ne_u32_e32 vcc, 0, v94
	v_cndmask_b32_e32 v94, 32, v94, vcc
; %bb.655:
	s_andn2_saveexec_b64 s[0:1], s[0:1]
	s_cbranch_execz .LBB108_661
; %bb.656:
	v_cmp_ngt_f64_e64 s[18:19], |v[117:118]|, |v[119:120]|
	s_and_saveexec_b64 s[20:21], s[18:19]
	s_xor_b64 s[18:19], exec, s[20:21]
	s_cbranch_execz .LBB108_658
; %bb.657:
	v_div_scale_f64 v[90:91], s[20:21], v[119:120], v[119:120], v[117:118]
	v_rcp_f64_e32 v[95:96], v[90:91]
	v_fma_f64 v[97:98], -v[90:91], v[95:96], 1.0
	v_fma_f64 v[95:96], v[95:96], v[97:98], v[95:96]
	v_div_scale_f64 v[97:98], vcc, v[117:118], v[119:120], v[117:118]
	v_fma_f64 v[99:100], -v[90:91], v[95:96], 1.0
	v_fma_f64 v[95:96], v[95:96], v[99:100], v[95:96]
	v_mul_f64 v[99:100], v[97:98], v[95:96]
	v_fma_f64 v[90:91], -v[90:91], v[99:100], v[97:98]
	v_div_fmas_f64 v[90:91], v[90:91], v[95:96], v[99:100]
	v_div_fixup_f64 v[90:91], v[90:91], v[119:120], v[117:118]
	v_fma_f64 v[95:96], v[117:118], v[90:91], v[119:120]
	v_div_scale_f64 v[97:98], s[20:21], v[95:96], v[95:96], 1.0
	v_div_scale_f64 v[103:104], vcc, 1.0, v[95:96], 1.0
	v_rcp_f64_e32 v[99:100], v[97:98]
	v_fma_f64 v[101:102], -v[97:98], v[99:100], 1.0
	v_fma_f64 v[99:100], v[99:100], v[101:102], v[99:100]
	v_fma_f64 v[101:102], -v[97:98], v[99:100], 1.0
	v_fma_f64 v[99:100], v[99:100], v[101:102], v[99:100]
	v_mul_f64 v[101:102], v[103:104], v[99:100]
	v_fma_f64 v[97:98], -v[97:98], v[101:102], v[103:104]
	v_div_fmas_f64 v[97:98], v[97:98], v[99:100], v[101:102]
	v_div_fixup_f64 v[119:120], v[97:98], v[95:96], 1.0
	v_mul_f64 v[117:118], v[90:91], v[119:120]
	v_xor_b32_e32 v120, 0x80000000, v120
.LBB108_658:
	s_andn2_saveexec_b64 s[18:19], s[18:19]
	s_cbranch_execz .LBB108_660
; %bb.659:
	v_div_scale_f64 v[90:91], s[20:21], v[117:118], v[117:118], v[119:120]
	v_rcp_f64_e32 v[95:96], v[90:91]
	v_fma_f64 v[97:98], -v[90:91], v[95:96], 1.0
	v_fma_f64 v[95:96], v[95:96], v[97:98], v[95:96]
	v_div_scale_f64 v[97:98], vcc, v[119:120], v[117:118], v[119:120]
	v_fma_f64 v[99:100], -v[90:91], v[95:96], 1.0
	v_fma_f64 v[95:96], v[95:96], v[99:100], v[95:96]
	v_mul_f64 v[99:100], v[97:98], v[95:96]
	v_fma_f64 v[90:91], -v[90:91], v[99:100], v[97:98]
	v_div_fmas_f64 v[90:91], v[90:91], v[95:96], v[99:100]
	v_div_fixup_f64 v[90:91], v[90:91], v[117:118], v[119:120]
	v_fma_f64 v[95:96], v[119:120], v[90:91], v[117:118]
	v_div_scale_f64 v[97:98], s[20:21], v[95:96], v[95:96], 1.0
	v_div_scale_f64 v[103:104], vcc, 1.0, v[95:96], 1.0
	v_rcp_f64_e32 v[99:100], v[97:98]
	v_fma_f64 v[101:102], -v[97:98], v[99:100], 1.0
	v_fma_f64 v[99:100], v[99:100], v[101:102], v[99:100]
	v_fma_f64 v[101:102], -v[97:98], v[99:100], 1.0
	v_fma_f64 v[99:100], v[99:100], v[101:102], v[99:100]
	v_mul_f64 v[101:102], v[103:104], v[99:100]
	v_fma_f64 v[97:98], -v[97:98], v[101:102], v[103:104]
	v_div_fmas_f64 v[97:98], v[97:98], v[99:100], v[101:102]
	v_div_fixup_f64 v[117:118], v[97:98], v[95:96], 1.0
	v_mul_f64 v[119:120], v[90:91], -v[117:118]
.LBB108_660:
	s_or_b64 exec, exec, s[18:19]
.LBB108_661:
	s_or_b64 exec, exec, s[0:1]
	v_cmp_ne_u32_e32 vcc, v93, v89
	s_mov_b64 s[0:1], exec
	s_and_b64 s[18:19], s[0:1], vcc
	v_mov_b32_e32 v108, v84
	s_xor_b64 s[0:1], s[18:19], s[0:1]
	v_mov_b32_e32 v107, v83
	v_mov_b32_e32 v106, v82
	v_mov_b32_e32 v105, v81
	s_mov_b64 exec, s[18:19]
	s_cbranch_execz .LBB108_667
; %bb.662:
	v_cmp_eq_u32_e32 vcc, 31, v93
	s_and_saveexec_b64 s[18:19], vcc
	s_cbranch_execz .LBB108_666
; %bb.663:
	v_cmp_ne_u32_e32 vcc, 31, v89
	s_xor_b64 s[20:21], s[6:7], -1
	s_and_b64 s[22:23], s[20:21], vcc
	s_and_saveexec_b64 s[20:21], s[22:23]
	s_cbranch_execz .LBB108_665
; %bb.664:
	buffer_load_dword v81, off, s[24:27], 0 offset:452 ; 4-byte Folded Reload
	buffer_load_dword v82, off, s[24:27], 0 offset:456 ; 4-byte Folded Reload
	v_ashrrev_i32_e32 v90, 31, v89
	v_lshlrev_b64 v[90:91], 2, v[89:90]
	s_waitcnt vmcnt(1)
	v_add_co_u32_e32 v90, vcc, v81, v90
	s_waitcnt vmcnt(0)
	v_addc_co_u32_e32 v91, vcc, v82, v91, vcc
	global_load_dword v92, v[90:91], off
	global_load_dword v93, v[81:82], off offset:124
	s_waitcnt vmcnt(1)
	global_store_dword v[81:82], v92, off offset:124
	v_mov_b32_e32 v81, v105
	v_mov_b32_e32 v82, v106
	;; [unrolled: 1-line block ×4, first 2 shown]
	s_waitcnt vmcnt(1)
	global_store_dword v[90:91], v93, off
.LBB108_665:
	s_or_b64 exec, exec, s[20:21]
	v_mov_b32_e32 v93, v89
	v_mov_b32_e32 v73, v89
	buffer_store_dword v73, off, s[24:27], 0 offset:368 ; 4-byte Folded Spill
.LBB108_666:
	s_or_b64 exec, exec, s[18:19]
.LBB108_667:
	s_andn2_saveexec_b64 s[0:1], s[0:1]
	s_cbranch_execz .LBB108_669
; %bb.668:
	ds_write2_b64 v0, v[109:110], v[111:112] offset0:64 offset1:65
	ds_write2_b64 v0, v[113:114], v[115:116] offset0:66 offset1:67
	;; [unrolled: 1-line block ×3, first 2 shown]
	buffer_load_dword v73, off, s[24:27], 0 ; 4-byte Folded Reload
	buffer_load_dword v74, off, s[24:27], 0 offset:4 ; 4-byte Folded Reload
	buffer_load_dword v75, off, s[24:27], 0 offset:8 ; 4-byte Folded Reload
	;; [unrolled: 1-line block ×3, first 2 shown]
	v_mov_b32_e32 v93, 31
	s_waitcnt vmcnt(0)
	ds_write2_b64 v0, v[73:74], v[75:76] offset0:70 offset1:71
	ds_write2_b64 v0, v[69:70], v[71:72] offset0:72 offset1:73
	;; [unrolled: 1-line block ×20, first 2 shown]
.LBB108_669:
	s_or_b64 exec, exec, s[0:1]
	v_cmp_lt_i32_e32 vcc, 31, v93
	s_waitcnt vmcnt(0) lgkmcnt(0)
	s_barrier
	s_and_saveexec_b64 s[0:1], vcc
	s_cbranch_execz .LBB108_671
; %bb.670:
	v_mul_f64 v[91:92], v[117:118], v[87:88]
	v_mul_f64 v[89:90], v[119:120], v[87:88]
	ds_read2_b64 v[95:98], v0 offset0:64 offset1:65
	v_fma_f64 v[87:88], v[119:120], v[85:86], v[91:92]
	v_fma_f64 v[89:90], v[117:118], v[85:86], -v[89:90]
	s_waitcnt lgkmcnt(0)
	v_mul_f64 v[91:92], v[97:98], v[87:88]
	v_mov_b32_e32 v85, v89
	v_mov_b32_e32 v86, v90
	v_fma_f64 v[91:92], v[95:96], v[89:90], -v[91:92]
	v_mul_f64 v[95:96], v[95:96], v[87:88]
	v_add_f64 v[109:110], v[109:110], -v[91:92]
	v_fma_f64 v[95:96], v[97:98], v[89:90], v[95:96]
	v_add_f64 v[111:112], v[111:112], -v[95:96]
	ds_read2_b64 v[95:98], v0 offset0:66 offset1:67
	s_waitcnt lgkmcnt(0)
	v_mul_f64 v[91:92], v[97:98], v[87:88]
	v_fma_f64 v[91:92], v[95:96], v[89:90], -v[91:92]
	v_mul_f64 v[95:96], v[95:96], v[87:88]
	v_add_f64 v[113:114], v[113:114], -v[91:92]
	v_fma_f64 v[95:96], v[97:98], v[89:90], v[95:96]
	v_add_f64 v[115:116], v[115:116], -v[95:96]
	ds_read2_b64 v[95:98], v0 offset0:68 offset1:69
	s_waitcnt lgkmcnt(0)
	v_mul_f64 v[91:92], v[97:98], v[87:88]
	v_fma_f64 v[91:92], v[95:96], v[89:90], -v[91:92]
	v_mul_f64 v[95:96], v[95:96], v[87:88]
	v_add_f64 v[77:78], v[77:78], -v[91:92]
	v_fma_f64 v[95:96], v[97:98], v[89:90], v[95:96]
	v_add_f64 v[79:80], v[79:80], -v[95:96]
	ds_read2_b64 v[95:98], v0 offset0:70 offset1:71
	buffer_load_dword v73, off, s[24:27], 0 ; 4-byte Folded Reload
	buffer_load_dword v74, off, s[24:27], 0 offset:4 ; 4-byte Folded Reload
	buffer_load_dword v75, off, s[24:27], 0 offset:8 ; 4-byte Folded Reload
	;; [unrolled: 1-line block ×3, first 2 shown]
	s_waitcnt lgkmcnt(0)
	v_mul_f64 v[91:92], v[97:98], v[87:88]
	v_fma_f64 v[91:92], v[95:96], v[89:90], -v[91:92]
	v_mul_f64 v[95:96], v[95:96], v[87:88]
	v_fma_f64 v[95:96], v[97:98], v[89:90], v[95:96]
	s_waitcnt vmcnt(2)
	v_add_f64 v[73:74], v[73:74], -v[91:92]
	s_waitcnt vmcnt(0)
	v_add_f64 v[75:76], v[75:76], -v[95:96]
	buffer_store_dword v73, off, s[24:27], 0 ; 4-byte Folded Spill
	s_nop 0
	buffer_store_dword v74, off, s[24:27], 0 offset:4 ; 4-byte Folded Spill
	buffer_store_dword v75, off, s[24:27], 0 offset:8 ; 4-byte Folded Spill
	;; [unrolled: 1-line block ×3, first 2 shown]
	ds_read2_b64 v[95:98], v0 offset0:72 offset1:73
	s_waitcnt lgkmcnt(0)
	v_mul_f64 v[91:92], v[97:98], v[87:88]
	v_fma_f64 v[91:92], v[95:96], v[89:90], -v[91:92]
	v_mul_f64 v[95:96], v[95:96], v[87:88]
	v_add_f64 v[69:70], v[69:70], -v[91:92]
	v_fma_f64 v[95:96], v[97:98], v[89:90], v[95:96]
	v_add_f64 v[71:72], v[71:72], -v[95:96]
	ds_read2_b64 v[95:98], v0 offset0:74 offset1:75
	s_waitcnt lgkmcnt(0)
	v_mul_f64 v[91:92], v[97:98], v[87:88]
	v_fma_f64 v[91:92], v[95:96], v[89:90], -v[91:92]
	v_mul_f64 v[95:96], v[95:96], v[87:88]
	v_add_f64 v[65:66], v[65:66], -v[91:92]
	v_fma_f64 v[95:96], v[97:98], v[89:90], v[95:96]
	v_add_f64 v[67:68], v[67:68], -v[95:96]
	;; [unrolled: 8-line block ×19, first 2 shown]
.LBB108_671:
	s_or_b64 exec, exec, s[0:1]
	v_lshl_add_u32 v89, v93, 4, v0
	s_waitcnt vmcnt(0)
	s_barrier
	ds_write2_b64 v89, v[109:110], v[111:112] offset1:1
	s_waitcnt lgkmcnt(0)
	s_barrier
	ds_read2_b64 v[117:120], v0 offset0:64 offset1:65
	s_cmp_lt_i32 s3, 34
	v_mov_b32_e32 v89, 32
	s_cbranch_scc1 .LBB108_674
; %bb.672:
	v_add_u32_e32 v90, 0x210, v0
	s_mov_b32 s0, 33
	v_mov_b32_e32 v89, 32
.LBB108_673:                            ; =>This Inner Loop Header: Depth=1
	s_waitcnt lgkmcnt(0)
	v_cmp_gt_f64_e32 vcc, 0, v[117:118]
	v_xor_b32_e32 v91, 0x80000000, v118
	ds_read2_b64 v[95:98], v90 offset1:1
	v_xor_b32_e32 v99, 0x80000000, v120
	v_add_u32_e32 v90, 16, v90
	s_waitcnt lgkmcnt(0)
	v_xor_b32_e32 v101, 0x80000000, v98
	v_cndmask_b32_e32 v92, v118, v91, vcc
	v_cmp_gt_f64_e32 vcc, 0, v[119:120]
	v_mov_b32_e32 v91, v117
	v_cndmask_b32_e32 v100, v120, v99, vcc
	v_cmp_gt_f64_e32 vcc, 0, v[95:96]
	v_mov_b32_e32 v99, v119
	v_add_f64 v[91:92], v[91:92], v[99:100]
	v_xor_b32_e32 v99, 0x80000000, v96
	v_cndmask_b32_e32 v100, v96, v99, vcc
	v_cmp_gt_f64_e32 vcc, 0, v[97:98]
	v_mov_b32_e32 v99, v95
	v_cndmask_b32_e32 v102, v98, v101, vcc
	v_mov_b32_e32 v101, v97
	v_add_f64 v[99:100], v[99:100], v[101:102]
	v_cmp_lt_f64_e32 vcc, v[91:92], v[99:100]
	v_mov_b32_e32 v91, s0
	s_add_i32 s0, s0, 1
	s_cmp_lg_u32 s3, s0
	v_cndmask_b32_e32 v118, v118, v96, vcc
	v_cndmask_b32_e32 v117, v117, v95, vcc
	;; [unrolled: 1-line block ×5, first 2 shown]
	s_cbranch_scc1 .LBB108_673
.LBB108_674:
	s_waitcnt lgkmcnt(0)
	v_cmp_eq_f64_e32 vcc, 0, v[117:118]
	v_cmp_eq_f64_e64 s[0:1], 0, v[119:120]
	s_and_b64 s[0:1], vcc, s[0:1]
	s_and_saveexec_b64 s[18:19], s[0:1]
	s_xor_b64 s[0:1], exec, s[18:19]
; %bb.675:
	v_cmp_ne_u32_e32 vcc, 0, v94
	v_cndmask_b32_e32 v94, 33, v94, vcc
; %bb.676:
	s_andn2_saveexec_b64 s[0:1], s[0:1]
	s_cbranch_execz .LBB108_682
; %bb.677:
	v_cmp_ngt_f64_e64 s[18:19], |v[117:118]|, |v[119:120]|
	s_and_saveexec_b64 s[20:21], s[18:19]
	s_xor_b64 s[18:19], exec, s[20:21]
	s_cbranch_execz .LBB108_679
; %bb.678:
	v_div_scale_f64 v[90:91], s[20:21], v[119:120], v[119:120], v[117:118]
	v_rcp_f64_e32 v[95:96], v[90:91]
	v_fma_f64 v[97:98], -v[90:91], v[95:96], 1.0
	v_fma_f64 v[95:96], v[95:96], v[97:98], v[95:96]
	v_div_scale_f64 v[97:98], vcc, v[117:118], v[119:120], v[117:118]
	v_fma_f64 v[99:100], -v[90:91], v[95:96], 1.0
	v_fma_f64 v[95:96], v[95:96], v[99:100], v[95:96]
	v_mul_f64 v[99:100], v[97:98], v[95:96]
	v_fma_f64 v[90:91], -v[90:91], v[99:100], v[97:98]
	v_div_fmas_f64 v[90:91], v[90:91], v[95:96], v[99:100]
	v_div_fixup_f64 v[90:91], v[90:91], v[119:120], v[117:118]
	v_fma_f64 v[95:96], v[117:118], v[90:91], v[119:120]
	v_div_scale_f64 v[97:98], s[20:21], v[95:96], v[95:96], 1.0
	v_div_scale_f64 v[103:104], vcc, 1.0, v[95:96], 1.0
	v_rcp_f64_e32 v[99:100], v[97:98]
	v_fma_f64 v[101:102], -v[97:98], v[99:100], 1.0
	v_fma_f64 v[99:100], v[99:100], v[101:102], v[99:100]
	v_fma_f64 v[101:102], -v[97:98], v[99:100], 1.0
	v_fma_f64 v[99:100], v[99:100], v[101:102], v[99:100]
	v_mul_f64 v[101:102], v[103:104], v[99:100]
	v_fma_f64 v[97:98], -v[97:98], v[101:102], v[103:104]
	v_div_fmas_f64 v[97:98], v[97:98], v[99:100], v[101:102]
	v_div_fixup_f64 v[119:120], v[97:98], v[95:96], 1.0
	v_mul_f64 v[117:118], v[90:91], v[119:120]
	v_xor_b32_e32 v120, 0x80000000, v120
.LBB108_679:
	s_andn2_saveexec_b64 s[18:19], s[18:19]
	s_cbranch_execz .LBB108_681
; %bb.680:
	v_div_scale_f64 v[90:91], s[20:21], v[117:118], v[117:118], v[119:120]
	v_rcp_f64_e32 v[95:96], v[90:91]
	v_fma_f64 v[97:98], -v[90:91], v[95:96], 1.0
	v_fma_f64 v[95:96], v[95:96], v[97:98], v[95:96]
	v_div_scale_f64 v[97:98], vcc, v[119:120], v[117:118], v[119:120]
	v_fma_f64 v[99:100], -v[90:91], v[95:96], 1.0
	v_fma_f64 v[95:96], v[95:96], v[99:100], v[95:96]
	v_mul_f64 v[99:100], v[97:98], v[95:96]
	v_fma_f64 v[90:91], -v[90:91], v[99:100], v[97:98]
	v_div_fmas_f64 v[90:91], v[90:91], v[95:96], v[99:100]
	v_div_fixup_f64 v[90:91], v[90:91], v[117:118], v[119:120]
	v_fma_f64 v[95:96], v[119:120], v[90:91], v[117:118]
	v_div_scale_f64 v[97:98], s[20:21], v[95:96], v[95:96], 1.0
	v_div_scale_f64 v[103:104], vcc, 1.0, v[95:96], 1.0
	v_rcp_f64_e32 v[99:100], v[97:98]
	v_fma_f64 v[101:102], -v[97:98], v[99:100], 1.0
	v_fma_f64 v[99:100], v[99:100], v[101:102], v[99:100]
	v_fma_f64 v[101:102], -v[97:98], v[99:100], 1.0
	v_fma_f64 v[99:100], v[99:100], v[101:102], v[99:100]
	v_mul_f64 v[101:102], v[103:104], v[99:100]
	v_fma_f64 v[97:98], -v[97:98], v[101:102], v[103:104]
	v_div_fmas_f64 v[97:98], v[97:98], v[99:100], v[101:102]
	v_div_fixup_f64 v[117:118], v[97:98], v[95:96], 1.0
	v_mul_f64 v[119:120], v[90:91], -v[117:118]
.LBB108_681:
	s_or_b64 exec, exec, s[18:19]
.LBB108_682:
	s_or_b64 exec, exec, s[0:1]
	v_cmp_ne_u32_e32 vcc, v93, v89
	s_and_saveexec_b64 s[0:1], vcc
	s_xor_b64 s[0:1], exec, s[0:1]
	s_cbranch_execz .LBB108_688
; %bb.683:
	v_cmp_eq_u32_e32 vcc, 32, v93
	s_and_saveexec_b64 s[18:19], vcc
	s_cbranch_execz .LBB108_687
; %bb.684:
	v_cmp_ne_u32_e32 vcc, 32, v89
	s_xor_b64 s[20:21], s[6:7], -1
	s_and_b64 s[22:23], s[20:21], vcc
	s_and_saveexec_b64 s[20:21], s[22:23]
	s_cbranch_execz .LBB108_686
; %bb.685:
	buffer_load_dword v81, off, s[24:27], 0 offset:452 ; 4-byte Folded Reload
	buffer_load_dword v82, off, s[24:27], 0 offset:456 ; 4-byte Folded Reload
	v_ashrrev_i32_e32 v90, 31, v89
	v_lshlrev_b64 v[90:91], 2, v[89:90]
	s_waitcnt vmcnt(1)
	v_add_co_u32_e32 v90, vcc, v81, v90
	s_waitcnt vmcnt(0)
	v_addc_co_u32_e32 v91, vcc, v82, v91, vcc
	global_load_dword v92, v[90:91], off
	global_load_dword v93, v[81:82], off offset:128
	s_waitcnt vmcnt(1)
	global_store_dword v[81:82], v92, off offset:128
	v_mov_b32_e32 v81, v105
	v_mov_b32_e32 v82, v106
	;; [unrolled: 1-line block ×4, first 2 shown]
	s_waitcnt vmcnt(1)
	global_store_dword v[90:91], v93, off
.LBB108_686:
	s_or_b64 exec, exec, s[20:21]
	v_mov_b32_e32 v93, v89
	v_mov_b32_e32 v73, v89
	buffer_store_dword v73, off, s[24:27], 0 offset:368 ; 4-byte Folded Spill
.LBB108_687:
	s_or_b64 exec, exec, s[18:19]
.LBB108_688:
	s_andn2_saveexec_b64 s[0:1], s[0:1]
	s_cbranch_execz .LBB108_690
; %bb.689:
	ds_write2_b64 v0, v[113:114], v[115:116] offset0:66 offset1:67
	ds_write2_b64 v0, v[77:78], v[79:80] offset0:68 offset1:69
	buffer_load_dword v73, off, s[24:27], 0 ; 4-byte Folded Reload
	buffer_load_dword v74, off, s[24:27], 0 offset:4 ; 4-byte Folded Reload
	buffer_load_dword v75, off, s[24:27], 0 offset:8 ; 4-byte Folded Reload
	;; [unrolled: 1-line block ×3, first 2 shown]
	v_mov_b32_e32 v93, 32
	s_waitcnt vmcnt(0)
	ds_write2_b64 v0, v[73:74], v[75:76] offset0:70 offset1:71
	ds_write2_b64 v0, v[69:70], v[71:72] offset0:72 offset1:73
	;; [unrolled: 1-line block ×20, first 2 shown]
.LBB108_690:
	s_or_b64 exec, exec, s[0:1]
	v_cmp_lt_i32_e32 vcc, 32, v93
	s_waitcnt vmcnt(0) lgkmcnt(0)
	s_barrier
	s_and_saveexec_b64 s[0:1], vcc
	s_cbranch_execz .LBB108_692
; %bb.691:
	v_mov_b32_e32 v95, v109
	v_mov_b32_e32 v97, v111
	;; [unrolled: 1-line block ×7, first 2 shown]
	v_mul_f64 v[87:88], v[117:118], v[97:98]
	v_mul_f64 v[89:90], v[119:120], v[111:112]
	v_mov_b32_e32 v96, v110
	v_fma_f64 v[97:98], v[119:120], v[95:96], v[87:88]
	v_fma_f64 v[109:110], v[117:118], v[95:96], -v[89:90]
	ds_read2_b64 v[89:92], v0 offset0:66 offset1:67
	s_waitcnt lgkmcnt(0)
	v_mul_f64 v[85:86], v[91:92], v[97:98]
	v_mov_b32_e32 v95, v109
	v_mov_b32_e32 v96, v110
	v_fma_f64 v[85:86], v[89:90], v[109:110], -v[85:86]
	v_mul_f64 v[89:90], v[89:90], v[97:98]
	v_add_f64 v[113:114], v[113:114], -v[85:86]
	v_fma_f64 v[89:90], v[91:92], v[109:110], v[89:90]
	v_add_f64 v[115:116], v[115:116], -v[89:90]
	ds_read2_b64 v[89:92], v0 offset0:68 offset1:69
	s_waitcnt lgkmcnt(0)
	v_mul_f64 v[85:86], v[91:92], v[97:98]
	v_fma_f64 v[85:86], v[89:90], v[109:110], -v[85:86]
	v_mul_f64 v[89:90], v[89:90], v[97:98]
	v_add_f64 v[77:78], v[77:78], -v[85:86]
	v_fma_f64 v[89:90], v[91:92], v[109:110], v[89:90]
	v_add_f64 v[79:80], v[79:80], -v[89:90]
	ds_read2_b64 v[89:92], v0 offset0:70 offset1:71
	buffer_load_dword v73, off, s[24:27], 0 ; 4-byte Folded Reload
	buffer_load_dword v74, off, s[24:27], 0 offset:4 ; 4-byte Folded Reload
	buffer_load_dword v75, off, s[24:27], 0 offset:8 ; 4-byte Folded Reload
	;; [unrolled: 1-line block ×3, first 2 shown]
	s_waitcnt lgkmcnt(0)
	v_mul_f64 v[85:86], v[91:92], v[97:98]
	v_fma_f64 v[85:86], v[89:90], v[109:110], -v[85:86]
	v_mul_f64 v[89:90], v[89:90], v[97:98]
	v_fma_f64 v[89:90], v[91:92], v[109:110], v[89:90]
	s_waitcnt vmcnt(2)
	v_add_f64 v[73:74], v[73:74], -v[85:86]
	s_waitcnt vmcnt(0)
	v_add_f64 v[75:76], v[75:76], -v[89:90]
	buffer_store_dword v73, off, s[24:27], 0 ; 4-byte Folded Spill
	s_nop 0
	buffer_store_dword v74, off, s[24:27], 0 offset:4 ; 4-byte Folded Spill
	buffer_store_dword v75, off, s[24:27], 0 offset:8 ; 4-byte Folded Spill
	;; [unrolled: 1-line block ×3, first 2 shown]
	ds_read2_b64 v[89:92], v0 offset0:72 offset1:73
	s_waitcnt lgkmcnt(0)
	v_mul_f64 v[85:86], v[91:92], v[97:98]
	v_fma_f64 v[85:86], v[89:90], v[109:110], -v[85:86]
	v_mul_f64 v[89:90], v[89:90], v[97:98]
	v_add_f64 v[69:70], v[69:70], -v[85:86]
	v_fma_f64 v[89:90], v[91:92], v[109:110], v[89:90]
	v_add_f64 v[71:72], v[71:72], -v[89:90]
	ds_read2_b64 v[89:92], v0 offset0:74 offset1:75
	s_waitcnt lgkmcnt(0)
	v_mul_f64 v[85:86], v[91:92], v[97:98]
	v_fma_f64 v[85:86], v[89:90], v[109:110], -v[85:86]
	v_mul_f64 v[89:90], v[89:90], v[97:98]
	v_add_f64 v[65:66], v[65:66], -v[85:86]
	v_fma_f64 v[89:90], v[91:92], v[109:110], v[89:90]
	v_add_f64 v[67:68], v[67:68], -v[89:90]
	;; [unrolled: 8-line block ×18, first 2 shown]
	ds_read2_b64 v[89:92], v0 offset0:108 offset1:109
	s_waitcnt lgkmcnt(0)
	v_mul_f64 v[85:86], v[91:92], v[97:98]
	v_fma_f64 v[85:86], v[89:90], v[109:110], -v[85:86]
	v_mul_f64 v[89:90], v[89:90], v[97:98]
	v_add_f64 v[121:122], v[121:122], -v[85:86]
	v_fma_f64 v[89:90], v[91:92], v[109:110], v[89:90]
	v_mov_b32_e32 v88, v84
	v_mov_b32_e32 v87, v83
	;; [unrolled: 1-line block ×7, first 2 shown]
	v_add_f64 v[123:124], v[123:124], -v[89:90]
	v_mov_b32_e32 v83, v107
	v_mov_b32_e32 v84, v108
	;; [unrolled: 1-line block ×5, first 2 shown]
.LBB108_692:
	s_or_b64 exec, exec, s[0:1]
	v_lshl_add_u32 v89, v93, 4, v0
	s_waitcnt vmcnt(0)
	s_barrier
	ds_write2_b64 v89, v[113:114], v[115:116] offset1:1
	s_waitcnt lgkmcnt(0)
	s_barrier
	ds_read2_b64 v[117:120], v0 offset0:66 offset1:67
	s_cmp_lt_i32 s3, 35
	v_mov_b32_e32 v89, 33
	s_cbranch_scc1 .LBB108_695
; %bb.693:
	v_add_u32_e32 v90, 0x220, v0
	s_mov_b32 s0, 34
	v_mov_b32_e32 v89, 33
.LBB108_694:                            ; =>This Inner Loop Header: Depth=1
	s_waitcnt lgkmcnt(0)
	v_cmp_gt_f64_e32 vcc, 0, v[117:118]
	v_xor_b32_e32 v91, 0x80000000, v118
	ds_read2_b64 v[95:98], v90 offset1:1
	v_xor_b32_e32 v99, 0x80000000, v120
	v_add_u32_e32 v90, 16, v90
	s_waitcnt lgkmcnt(0)
	v_xor_b32_e32 v101, 0x80000000, v98
	v_cndmask_b32_e32 v92, v118, v91, vcc
	v_cmp_gt_f64_e32 vcc, 0, v[119:120]
	v_mov_b32_e32 v91, v117
	v_cndmask_b32_e32 v100, v120, v99, vcc
	v_cmp_gt_f64_e32 vcc, 0, v[95:96]
	v_mov_b32_e32 v99, v119
	v_add_f64 v[91:92], v[91:92], v[99:100]
	v_xor_b32_e32 v99, 0x80000000, v96
	v_cndmask_b32_e32 v100, v96, v99, vcc
	v_cmp_gt_f64_e32 vcc, 0, v[97:98]
	v_mov_b32_e32 v99, v95
	v_cndmask_b32_e32 v102, v98, v101, vcc
	v_mov_b32_e32 v101, v97
	v_add_f64 v[99:100], v[99:100], v[101:102]
	v_cmp_lt_f64_e32 vcc, v[91:92], v[99:100]
	v_mov_b32_e32 v91, s0
	s_add_i32 s0, s0, 1
	s_cmp_lg_u32 s3, s0
	v_cndmask_b32_e32 v118, v118, v96, vcc
	v_cndmask_b32_e32 v117, v117, v95, vcc
	;; [unrolled: 1-line block ×5, first 2 shown]
	s_cbranch_scc1 .LBB108_694
.LBB108_695:
	s_waitcnt lgkmcnt(0)
	v_cmp_eq_f64_e32 vcc, 0, v[117:118]
	v_cmp_eq_f64_e64 s[0:1], 0, v[119:120]
	s_and_b64 s[0:1], vcc, s[0:1]
	s_and_saveexec_b64 s[18:19], s[0:1]
	s_xor_b64 s[0:1], exec, s[18:19]
; %bb.696:
	v_cmp_ne_u32_e32 vcc, 0, v94
	v_cndmask_b32_e32 v94, 34, v94, vcc
; %bb.697:
	s_andn2_saveexec_b64 s[0:1], s[0:1]
	s_cbranch_execz .LBB108_703
; %bb.698:
	v_cmp_ngt_f64_e64 s[18:19], |v[117:118]|, |v[119:120]|
	s_and_saveexec_b64 s[20:21], s[18:19]
	s_xor_b64 s[18:19], exec, s[20:21]
	s_cbranch_execz .LBB108_700
; %bb.699:
	v_div_scale_f64 v[90:91], s[20:21], v[119:120], v[119:120], v[117:118]
	v_rcp_f64_e32 v[95:96], v[90:91]
	v_fma_f64 v[97:98], -v[90:91], v[95:96], 1.0
	v_fma_f64 v[95:96], v[95:96], v[97:98], v[95:96]
	v_div_scale_f64 v[97:98], vcc, v[117:118], v[119:120], v[117:118]
	v_fma_f64 v[99:100], -v[90:91], v[95:96], 1.0
	v_fma_f64 v[95:96], v[95:96], v[99:100], v[95:96]
	v_mul_f64 v[99:100], v[97:98], v[95:96]
	v_fma_f64 v[90:91], -v[90:91], v[99:100], v[97:98]
	v_div_fmas_f64 v[90:91], v[90:91], v[95:96], v[99:100]
	v_div_fixup_f64 v[90:91], v[90:91], v[119:120], v[117:118]
	v_fma_f64 v[95:96], v[117:118], v[90:91], v[119:120]
	v_div_scale_f64 v[97:98], s[20:21], v[95:96], v[95:96], 1.0
	v_div_scale_f64 v[103:104], vcc, 1.0, v[95:96], 1.0
	v_rcp_f64_e32 v[99:100], v[97:98]
	v_fma_f64 v[101:102], -v[97:98], v[99:100], 1.0
	v_fma_f64 v[99:100], v[99:100], v[101:102], v[99:100]
	v_fma_f64 v[101:102], -v[97:98], v[99:100], 1.0
	v_fma_f64 v[99:100], v[99:100], v[101:102], v[99:100]
	v_mul_f64 v[101:102], v[103:104], v[99:100]
	v_fma_f64 v[97:98], -v[97:98], v[101:102], v[103:104]
	v_div_fmas_f64 v[97:98], v[97:98], v[99:100], v[101:102]
	v_div_fixup_f64 v[119:120], v[97:98], v[95:96], 1.0
	v_mul_f64 v[117:118], v[90:91], v[119:120]
	v_xor_b32_e32 v120, 0x80000000, v120
.LBB108_700:
	s_andn2_saveexec_b64 s[18:19], s[18:19]
	s_cbranch_execz .LBB108_702
; %bb.701:
	v_div_scale_f64 v[90:91], s[20:21], v[117:118], v[117:118], v[119:120]
	v_rcp_f64_e32 v[95:96], v[90:91]
	v_fma_f64 v[97:98], -v[90:91], v[95:96], 1.0
	v_fma_f64 v[95:96], v[95:96], v[97:98], v[95:96]
	v_div_scale_f64 v[97:98], vcc, v[119:120], v[117:118], v[119:120]
	v_fma_f64 v[99:100], -v[90:91], v[95:96], 1.0
	v_fma_f64 v[95:96], v[95:96], v[99:100], v[95:96]
	v_mul_f64 v[99:100], v[97:98], v[95:96]
	v_fma_f64 v[90:91], -v[90:91], v[99:100], v[97:98]
	v_div_fmas_f64 v[90:91], v[90:91], v[95:96], v[99:100]
	v_div_fixup_f64 v[90:91], v[90:91], v[117:118], v[119:120]
	v_fma_f64 v[95:96], v[119:120], v[90:91], v[117:118]
	v_div_scale_f64 v[97:98], s[20:21], v[95:96], v[95:96], 1.0
	v_div_scale_f64 v[103:104], vcc, 1.0, v[95:96], 1.0
	v_rcp_f64_e32 v[99:100], v[97:98]
	v_fma_f64 v[101:102], -v[97:98], v[99:100], 1.0
	v_fma_f64 v[99:100], v[99:100], v[101:102], v[99:100]
	v_fma_f64 v[101:102], -v[97:98], v[99:100], 1.0
	v_fma_f64 v[99:100], v[99:100], v[101:102], v[99:100]
	v_mul_f64 v[101:102], v[103:104], v[99:100]
	v_fma_f64 v[97:98], -v[97:98], v[101:102], v[103:104]
	v_div_fmas_f64 v[97:98], v[97:98], v[99:100], v[101:102]
	v_div_fixup_f64 v[117:118], v[97:98], v[95:96], 1.0
	v_mul_f64 v[119:120], v[90:91], -v[117:118]
.LBB108_702:
	s_or_b64 exec, exec, s[18:19]
.LBB108_703:
	s_or_b64 exec, exec, s[0:1]
	v_cmp_ne_u32_e32 vcc, v93, v89
	s_and_saveexec_b64 s[0:1], vcc
	s_xor_b64 s[0:1], exec, s[0:1]
	s_cbranch_execz .LBB108_709
; %bb.704:
	v_cmp_eq_u32_e32 vcc, 33, v93
	s_and_saveexec_b64 s[18:19], vcc
	s_cbranch_execz .LBB108_708
; %bb.705:
	v_cmp_ne_u32_e32 vcc, 33, v89
	s_xor_b64 s[20:21], s[6:7], -1
	s_and_b64 s[22:23], s[20:21], vcc
	s_and_saveexec_b64 s[20:21], s[22:23]
	s_cbranch_execz .LBB108_707
; %bb.706:
	buffer_load_dword v81, off, s[24:27], 0 offset:452 ; 4-byte Folded Reload
	buffer_load_dword v82, off, s[24:27], 0 offset:456 ; 4-byte Folded Reload
	v_ashrrev_i32_e32 v90, 31, v89
	v_lshlrev_b64 v[90:91], 2, v[89:90]
	s_waitcnt vmcnt(1)
	v_add_co_u32_e32 v90, vcc, v81, v90
	s_waitcnt vmcnt(0)
	v_addc_co_u32_e32 v91, vcc, v82, v91, vcc
	global_load_dword v92, v[90:91], off
	global_load_dword v93, v[81:82], off offset:132
	s_waitcnt vmcnt(1)
	global_store_dword v[81:82], v92, off offset:132
	v_mov_b32_e32 v81, v105
	v_mov_b32_e32 v82, v106
	;; [unrolled: 1-line block ×4, first 2 shown]
	s_waitcnt vmcnt(1)
	global_store_dword v[90:91], v93, off
.LBB108_707:
	s_or_b64 exec, exec, s[20:21]
	v_mov_b32_e32 v93, v89
	v_mov_b32_e32 v73, v89
	buffer_store_dword v73, off, s[24:27], 0 offset:368 ; 4-byte Folded Spill
.LBB108_708:
	s_or_b64 exec, exec, s[18:19]
.LBB108_709:
	s_andn2_saveexec_b64 s[0:1], s[0:1]
	s_cbranch_execz .LBB108_711
; %bb.710:
	ds_write2_b64 v0, v[77:78], v[79:80] offset0:68 offset1:69
	buffer_load_dword v73, off, s[24:27], 0 ; 4-byte Folded Reload
	buffer_load_dword v74, off, s[24:27], 0 offset:4 ; 4-byte Folded Reload
	buffer_load_dword v75, off, s[24:27], 0 offset:8 ; 4-byte Folded Reload
	buffer_load_dword v76, off, s[24:27], 0 offset:12 ; 4-byte Folded Reload
	v_mov_b32_e32 v93, 33
	s_waitcnt vmcnt(0)
	ds_write2_b64 v0, v[73:74], v[75:76] offset0:70 offset1:71
	ds_write2_b64 v0, v[69:70], v[71:72] offset0:72 offset1:73
	;; [unrolled: 1-line block ×20, first 2 shown]
.LBB108_711:
	s_or_b64 exec, exec, s[0:1]
	v_cmp_lt_i32_e32 vcc, 33, v93
	s_waitcnt vmcnt(0) lgkmcnt(0)
	s_barrier
	s_and_saveexec_b64 s[0:1], vcc
	s_cbranch_execz .LBB108_713
; %bb.712:
	v_mul_f64 v[83:84], v[117:118], v[115:116]
	v_mul_f64 v[89:90], v[119:120], v[115:116]
	v_fma_f64 v[115:116], v[119:120], v[113:114], v[83:84]
	v_fma_f64 v[101:102], v[117:118], v[113:114], -v[89:90]
	ds_read2_b64 v[89:92], v0 offset0:68 offset1:69
	s_waitcnt lgkmcnt(0)
	v_mul_f64 v[81:82], v[91:92], v[115:116]
	v_mov_b32_e32 v114, v102
	v_mov_b32_e32 v113, v101
	v_fma_f64 v[81:82], v[89:90], v[101:102], -v[81:82]
	v_mul_f64 v[89:90], v[89:90], v[115:116]
	v_add_f64 v[77:78], v[77:78], -v[81:82]
	v_fma_f64 v[89:90], v[91:92], v[101:102], v[89:90]
	v_add_f64 v[79:80], v[79:80], -v[89:90]
	ds_read2_b64 v[89:92], v0 offset0:70 offset1:71
	buffer_load_dword v73, off, s[24:27], 0 ; 4-byte Folded Reload
	buffer_load_dword v74, off, s[24:27], 0 offset:4 ; 4-byte Folded Reload
	buffer_load_dword v75, off, s[24:27], 0 offset:8 ; 4-byte Folded Reload
	;; [unrolled: 1-line block ×3, first 2 shown]
	s_waitcnt lgkmcnt(0)
	v_mul_f64 v[81:82], v[91:92], v[115:116]
	v_fma_f64 v[81:82], v[89:90], v[101:102], -v[81:82]
	v_mul_f64 v[89:90], v[89:90], v[115:116]
	v_fma_f64 v[89:90], v[91:92], v[101:102], v[89:90]
	s_waitcnt vmcnt(2)
	v_add_f64 v[73:74], v[73:74], -v[81:82]
	s_waitcnt vmcnt(0)
	v_add_f64 v[75:76], v[75:76], -v[89:90]
	buffer_store_dword v73, off, s[24:27], 0 ; 4-byte Folded Spill
	s_nop 0
	buffer_store_dword v74, off, s[24:27], 0 offset:4 ; 4-byte Folded Spill
	buffer_store_dword v75, off, s[24:27], 0 offset:8 ; 4-byte Folded Spill
	;; [unrolled: 1-line block ×3, first 2 shown]
	ds_read2_b64 v[89:92], v0 offset0:72 offset1:73
	s_waitcnt lgkmcnt(0)
	v_mul_f64 v[81:82], v[91:92], v[115:116]
	v_fma_f64 v[81:82], v[89:90], v[101:102], -v[81:82]
	v_mul_f64 v[89:90], v[89:90], v[115:116]
	v_add_f64 v[69:70], v[69:70], -v[81:82]
	v_fma_f64 v[89:90], v[91:92], v[101:102], v[89:90]
	v_add_f64 v[71:72], v[71:72], -v[89:90]
	ds_read2_b64 v[89:92], v0 offset0:74 offset1:75
	s_waitcnt lgkmcnt(0)
	v_mul_f64 v[81:82], v[91:92], v[115:116]
	v_fma_f64 v[81:82], v[89:90], v[101:102], -v[81:82]
	v_mul_f64 v[89:90], v[89:90], v[115:116]
	v_add_f64 v[65:66], v[65:66], -v[81:82]
	v_fma_f64 v[89:90], v[91:92], v[101:102], v[89:90]
	v_add_f64 v[67:68], v[67:68], -v[89:90]
	;; [unrolled: 8-line block ×18, first 2 shown]
	ds_read2_b64 v[89:92], v0 offset0:108 offset1:109
	s_waitcnt lgkmcnt(0)
	v_mul_f64 v[81:82], v[91:92], v[115:116]
	v_fma_f64 v[81:82], v[89:90], v[101:102], -v[81:82]
	v_mul_f64 v[89:90], v[89:90], v[115:116]
	v_add_f64 v[121:122], v[121:122], -v[81:82]
	v_fma_f64 v[89:90], v[91:92], v[101:102], v[89:90]
	v_mov_b32_e32 v81, v105
	v_mov_b32_e32 v82, v106
	;; [unrolled: 1-line block ×4, first 2 shown]
	v_add_f64 v[123:124], v[123:124], -v[89:90]
.LBB108_713:
	s_or_b64 exec, exec, s[0:1]
	v_lshl_add_u32 v89, v93, 4, v0
	s_waitcnt vmcnt(0)
	s_barrier
	ds_write2_b64 v89, v[77:78], v[79:80] offset1:1
	s_waitcnt lgkmcnt(0)
	s_barrier
	ds_read2_b64 v[117:120], v0 offset0:68 offset1:69
	s_cmp_lt_i32 s3, 36
	v_mov_b32_e32 v89, 34
	s_cbranch_scc1 .LBB108_716
; %bb.714:
	v_add_u32_e32 v90, 0x230, v0
	s_mov_b32 s0, 35
	v_mov_b32_e32 v89, 34
.LBB108_715:                            ; =>This Inner Loop Header: Depth=1
	s_waitcnt lgkmcnt(0)
	v_cmp_gt_f64_e32 vcc, 0, v[117:118]
	v_xor_b32_e32 v91, 0x80000000, v118
	ds_read2_b64 v[95:98], v90 offset1:1
	v_xor_b32_e32 v99, 0x80000000, v120
	v_add_u32_e32 v90, 16, v90
	s_waitcnt lgkmcnt(0)
	v_xor_b32_e32 v101, 0x80000000, v98
	v_cndmask_b32_e32 v92, v118, v91, vcc
	v_cmp_gt_f64_e32 vcc, 0, v[119:120]
	v_mov_b32_e32 v91, v117
	v_cndmask_b32_e32 v100, v120, v99, vcc
	v_cmp_gt_f64_e32 vcc, 0, v[95:96]
	v_mov_b32_e32 v99, v119
	v_add_f64 v[91:92], v[91:92], v[99:100]
	v_xor_b32_e32 v99, 0x80000000, v96
	v_cndmask_b32_e32 v100, v96, v99, vcc
	v_cmp_gt_f64_e32 vcc, 0, v[97:98]
	v_mov_b32_e32 v99, v95
	v_cndmask_b32_e32 v102, v98, v101, vcc
	v_mov_b32_e32 v101, v97
	v_add_f64 v[99:100], v[99:100], v[101:102]
	v_cmp_lt_f64_e32 vcc, v[91:92], v[99:100]
	v_mov_b32_e32 v91, s0
	s_add_i32 s0, s0, 1
	s_cmp_lg_u32 s3, s0
	v_cndmask_b32_e32 v118, v118, v96, vcc
	v_cndmask_b32_e32 v117, v117, v95, vcc
	v_cndmask_b32_e32 v120, v120, v98, vcc
	v_cndmask_b32_e32 v119, v119, v97, vcc
	v_cndmask_b32_e32 v89, v89, v91, vcc
	s_cbranch_scc1 .LBB108_715
.LBB108_716:
	s_waitcnt lgkmcnt(0)
	v_cmp_eq_f64_e32 vcc, 0, v[117:118]
	v_cmp_eq_f64_e64 s[0:1], 0, v[119:120]
	s_and_b64 s[0:1], vcc, s[0:1]
	s_and_saveexec_b64 s[18:19], s[0:1]
	s_xor_b64 s[0:1], exec, s[18:19]
; %bb.717:
	v_cmp_ne_u32_e32 vcc, 0, v94
	v_cndmask_b32_e32 v94, 35, v94, vcc
; %bb.718:
	s_andn2_saveexec_b64 s[0:1], s[0:1]
	s_cbranch_execz .LBB108_724
; %bb.719:
	v_cmp_ngt_f64_e64 s[18:19], |v[117:118]|, |v[119:120]|
	s_and_saveexec_b64 s[20:21], s[18:19]
	s_xor_b64 s[18:19], exec, s[20:21]
	s_cbranch_execz .LBB108_721
; %bb.720:
	v_div_scale_f64 v[90:91], s[20:21], v[119:120], v[119:120], v[117:118]
	v_rcp_f64_e32 v[95:96], v[90:91]
	v_fma_f64 v[97:98], -v[90:91], v[95:96], 1.0
	v_fma_f64 v[95:96], v[95:96], v[97:98], v[95:96]
	v_div_scale_f64 v[97:98], vcc, v[117:118], v[119:120], v[117:118]
	v_fma_f64 v[99:100], -v[90:91], v[95:96], 1.0
	v_fma_f64 v[95:96], v[95:96], v[99:100], v[95:96]
	v_mul_f64 v[99:100], v[97:98], v[95:96]
	v_fma_f64 v[90:91], -v[90:91], v[99:100], v[97:98]
	v_div_fmas_f64 v[90:91], v[90:91], v[95:96], v[99:100]
	v_div_fixup_f64 v[90:91], v[90:91], v[119:120], v[117:118]
	v_fma_f64 v[95:96], v[117:118], v[90:91], v[119:120]
	v_div_scale_f64 v[97:98], s[20:21], v[95:96], v[95:96], 1.0
	v_div_scale_f64 v[103:104], vcc, 1.0, v[95:96], 1.0
	v_rcp_f64_e32 v[99:100], v[97:98]
	v_fma_f64 v[101:102], -v[97:98], v[99:100], 1.0
	v_fma_f64 v[99:100], v[99:100], v[101:102], v[99:100]
	v_fma_f64 v[101:102], -v[97:98], v[99:100], 1.0
	v_fma_f64 v[99:100], v[99:100], v[101:102], v[99:100]
	v_mul_f64 v[101:102], v[103:104], v[99:100]
	v_fma_f64 v[97:98], -v[97:98], v[101:102], v[103:104]
	v_div_fmas_f64 v[97:98], v[97:98], v[99:100], v[101:102]
	v_div_fixup_f64 v[119:120], v[97:98], v[95:96], 1.0
	v_mul_f64 v[117:118], v[90:91], v[119:120]
	v_xor_b32_e32 v120, 0x80000000, v120
.LBB108_721:
	s_andn2_saveexec_b64 s[18:19], s[18:19]
	s_cbranch_execz .LBB108_723
; %bb.722:
	v_div_scale_f64 v[90:91], s[20:21], v[117:118], v[117:118], v[119:120]
	v_rcp_f64_e32 v[95:96], v[90:91]
	v_fma_f64 v[97:98], -v[90:91], v[95:96], 1.0
	v_fma_f64 v[95:96], v[95:96], v[97:98], v[95:96]
	v_div_scale_f64 v[97:98], vcc, v[119:120], v[117:118], v[119:120]
	v_fma_f64 v[99:100], -v[90:91], v[95:96], 1.0
	v_fma_f64 v[95:96], v[95:96], v[99:100], v[95:96]
	v_mul_f64 v[99:100], v[97:98], v[95:96]
	v_fma_f64 v[90:91], -v[90:91], v[99:100], v[97:98]
	v_div_fmas_f64 v[90:91], v[90:91], v[95:96], v[99:100]
	v_div_fixup_f64 v[90:91], v[90:91], v[117:118], v[119:120]
	v_fma_f64 v[95:96], v[119:120], v[90:91], v[117:118]
	v_div_scale_f64 v[97:98], s[20:21], v[95:96], v[95:96], 1.0
	v_div_scale_f64 v[103:104], vcc, 1.0, v[95:96], 1.0
	v_rcp_f64_e32 v[99:100], v[97:98]
	v_fma_f64 v[101:102], -v[97:98], v[99:100], 1.0
	v_fma_f64 v[99:100], v[99:100], v[101:102], v[99:100]
	v_fma_f64 v[101:102], -v[97:98], v[99:100], 1.0
	v_fma_f64 v[99:100], v[99:100], v[101:102], v[99:100]
	v_mul_f64 v[101:102], v[103:104], v[99:100]
	v_fma_f64 v[97:98], -v[97:98], v[101:102], v[103:104]
	v_div_fmas_f64 v[97:98], v[97:98], v[99:100], v[101:102]
	v_div_fixup_f64 v[117:118], v[97:98], v[95:96], 1.0
	v_mul_f64 v[119:120], v[90:91], -v[117:118]
.LBB108_723:
	s_or_b64 exec, exec, s[18:19]
.LBB108_724:
	s_or_b64 exec, exec, s[0:1]
	v_cmp_ne_u32_e32 vcc, v93, v89
	s_and_saveexec_b64 s[0:1], vcc
	s_xor_b64 s[0:1], exec, s[0:1]
	s_cbranch_execz .LBB108_730
; %bb.725:
	v_cmp_eq_u32_e32 vcc, 34, v93
	s_and_saveexec_b64 s[18:19], vcc
	s_cbranch_execz .LBB108_729
; %bb.726:
	v_cmp_ne_u32_e32 vcc, 34, v89
	s_xor_b64 s[20:21], s[6:7], -1
	s_and_b64 s[22:23], s[20:21], vcc
	s_and_saveexec_b64 s[20:21], s[22:23]
	s_cbranch_execz .LBB108_728
; %bb.727:
	buffer_load_dword v81, off, s[24:27], 0 offset:452 ; 4-byte Folded Reload
	buffer_load_dword v82, off, s[24:27], 0 offset:456 ; 4-byte Folded Reload
	v_ashrrev_i32_e32 v90, 31, v89
	v_lshlrev_b64 v[90:91], 2, v[89:90]
	s_waitcnt vmcnt(1)
	v_add_co_u32_e32 v90, vcc, v81, v90
	s_waitcnt vmcnt(0)
	v_addc_co_u32_e32 v91, vcc, v82, v91, vcc
	global_load_dword v92, v[90:91], off
	global_load_dword v93, v[81:82], off offset:136
	s_waitcnt vmcnt(1)
	global_store_dword v[81:82], v92, off offset:136
	v_mov_b32_e32 v81, v105
	v_mov_b32_e32 v82, v106
	;; [unrolled: 1-line block ×4, first 2 shown]
	s_waitcnt vmcnt(1)
	global_store_dword v[90:91], v93, off
.LBB108_728:
	s_or_b64 exec, exec, s[20:21]
	v_mov_b32_e32 v93, v89
	v_mov_b32_e32 v73, v89
	buffer_store_dword v73, off, s[24:27], 0 offset:368 ; 4-byte Folded Spill
.LBB108_729:
	s_or_b64 exec, exec, s[18:19]
.LBB108_730:
	s_andn2_saveexec_b64 s[0:1], s[0:1]
	s_cbranch_execz .LBB108_732
; %bb.731:
	buffer_load_dword v73, off, s[24:27], 0 ; 4-byte Folded Reload
	buffer_load_dword v74, off, s[24:27], 0 offset:4 ; 4-byte Folded Reload
	buffer_load_dword v75, off, s[24:27], 0 offset:8 ; 4-byte Folded Reload
	;; [unrolled: 1-line block ×3, first 2 shown]
	v_mov_b32_e32 v93, 34
	s_waitcnt vmcnt(0)
	ds_write2_b64 v0, v[73:74], v[75:76] offset0:70 offset1:71
	ds_write2_b64 v0, v[69:70], v[71:72] offset0:72 offset1:73
	;; [unrolled: 1-line block ×20, first 2 shown]
.LBB108_732:
	s_or_b64 exec, exec, s[0:1]
	v_cmp_lt_i32_e32 vcc, 34, v93
	s_waitcnt vmcnt(0) lgkmcnt(0)
	s_barrier
	s_and_saveexec_b64 s[0:1], vcc
	s_cbranch_execz .LBB108_734
; %bb.733:
	ds_read2_b64 v[95:98], v0 offset0:70 offset1:71
	buffer_load_dword v73, off, s[24:27], 0 ; 4-byte Folded Reload
	buffer_load_dword v74, off, s[24:27], 0 offset:4 ; 4-byte Folded Reload
	buffer_load_dword v75, off, s[24:27], 0 offset:8 ; 4-byte Folded Reload
	;; [unrolled: 1-line block ×3, first 2 shown]
	v_mul_f64 v[89:90], v[119:120], v[79:80]
	v_mul_f64 v[79:80], v[117:118], v[79:80]
	v_fma_f64 v[89:90], v[117:118], v[77:78], -v[89:90]
	v_fma_f64 v[79:80], v[119:120], v[77:78], v[79:80]
	s_waitcnt lgkmcnt(0)
	v_mul_f64 v[77:78], v[97:98], v[79:80]
	v_mul_f64 v[91:92], v[95:96], v[79:80]
	v_fma_f64 v[77:78], v[95:96], v[89:90], -v[77:78]
	v_fma_f64 v[91:92], v[97:98], v[89:90], v[91:92]
	s_waitcnt vmcnt(2)
	v_add_f64 v[73:74], v[73:74], -v[77:78]
	s_waitcnt vmcnt(0)
	v_add_f64 v[75:76], v[75:76], -v[91:92]
	buffer_store_dword v73, off, s[24:27], 0 ; 4-byte Folded Spill
	s_nop 0
	buffer_store_dword v74, off, s[24:27], 0 offset:4 ; 4-byte Folded Spill
	buffer_store_dword v75, off, s[24:27], 0 offset:8 ; 4-byte Folded Spill
	;; [unrolled: 1-line block ×3, first 2 shown]
	ds_read2_b64 v[95:98], v0 offset0:72 offset1:73
	s_waitcnt lgkmcnt(0)
	v_mul_f64 v[77:78], v[97:98], v[79:80]
	v_mul_f64 v[91:92], v[95:96], v[79:80]
	v_fma_f64 v[77:78], v[95:96], v[89:90], -v[77:78]
	v_fma_f64 v[91:92], v[97:98], v[89:90], v[91:92]
	ds_read2_b64 v[95:98], v0 offset0:74 offset1:75
	v_add_f64 v[69:70], v[69:70], -v[77:78]
	v_add_f64 v[71:72], v[71:72], -v[91:92]
	s_waitcnt lgkmcnt(0)
	v_mul_f64 v[77:78], v[97:98], v[79:80]
	v_mul_f64 v[91:92], v[95:96], v[79:80]
	v_fma_f64 v[77:78], v[95:96], v[89:90], -v[77:78]
	v_fma_f64 v[91:92], v[97:98], v[89:90], v[91:92]
	ds_read2_b64 v[95:98], v0 offset0:76 offset1:77
	v_add_f64 v[65:66], v[65:66], -v[77:78]
	v_add_f64 v[67:68], v[67:68], -v[91:92]
	;; [unrolled: 8-line block ×18, first 2 shown]
	s_waitcnt lgkmcnt(0)
	v_mul_f64 v[77:78], v[97:98], v[79:80]
	v_mul_f64 v[91:92], v[95:96], v[79:80]
	v_fma_f64 v[77:78], v[95:96], v[89:90], -v[77:78]
	v_fma_f64 v[91:92], v[97:98], v[89:90], v[91:92]
	v_add_f64 v[121:122], v[121:122], -v[77:78]
	v_add_f64 v[123:124], v[123:124], -v[91:92]
	v_mov_b32_e32 v77, v89
	v_mov_b32_e32 v78, v90
.LBB108_734:
	s_or_b64 exec, exec, s[0:1]
	s_waitcnt vmcnt(0)
	s_barrier
	buffer_load_dword v73, off, s[24:27], 0 ; 4-byte Folded Reload
	buffer_load_dword v74, off, s[24:27], 0 offset:4 ; 4-byte Folded Reload
	buffer_load_dword v75, off, s[24:27], 0 offset:8 ; 4-byte Folded Reload
	;; [unrolled: 1-line block ×3, first 2 shown]
	v_lshl_add_u32 v89, v93, 4, v0
	s_cmp_lt_i32 s3, 37
	s_waitcnt vmcnt(0)
	ds_write2_b64 v89, v[73:74], v[75:76] offset1:1
	s_waitcnt lgkmcnt(0)
	s_barrier
	ds_read2_b64 v[117:120], v0 offset0:70 offset1:71
	v_mov_b32_e32 v89, 35
	s_cbranch_scc1 .LBB108_737
; %bb.735:
	v_add_u32_e32 v90, 0x240, v0
	s_mov_b32 s0, 36
	v_mov_b32_e32 v89, 35
.LBB108_736:                            ; =>This Inner Loop Header: Depth=1
	s_waitcnt lgkmcnt(0)
	v_cmp_gt_f64_e32 vcc, 0, v[117:118]
	v_xor_b32_e32 v91, 0x80000000, v118
	ds_read2_b64 v[95:98], v90 offset1:1
	v_xor_b32_e32 v99, 0x80000000, v120
	v_add_u32_e32 v90, 16, v90
	s_waitcnt lgkmcnt(0)
	v_xor_b32_e32 v101, 0x80000000, v98
	v_cndmask_b32_e32 v92, v118, v91, vcc
	v_cmp_gt_f64_e32 vcc, 0, v[119:120]
	v_mov_b32_e32 v91, v117
	v_cndmask_b32_e32 v100, v120, v99, vcc
	v_cmp_gt_f64_e32 vcc, 0, v[95:96]
	v_mov_b32_e32 v99, v119
	v_add_f64 v[91:92], v[91:92], v[99:100]
	v_xor_b32_e32 v99, 0x80000000, v96
	v_cndmask_b32_e32 v100, v96, v99, vcc
	v_cmp_gt_f64_e32 vcc, 0, v[97:98]
	v_mov_b32_e32 v99, v95
	v_cndmask_b32_e32 v102, v98, v101, vcc
	v_mov_b32_e32 v101, v97
	v_add_f64 v[99:100], v[99:100], v[101:102]
	v_cmp_lt_f64_e32 vcc, v[91:92], v[99:100]
	v_mov_b32_e32 v91, s0
	s_add_i32 s0, s0, 1
	s_cmp_lg_u32 s3, s0
	v_cndmask_b32_e32 v118, v118, v96, vcc
	v_cndmask_b32_e32 v117, v117, v95, vcc
	;; [unrolled: 1-line block ×5, first 2 shown]
	s_cbranch_scc1 .LBB108_736
.LBB108_737:
	s_waitcnt lgkmcnt(0)
	v_cmp_eq_f64_e32 vcc, 0, v[117:118]
	v_cmp_eq_f64_e64 s[0:1], 0, v[119:120]
	s_and_b64 s[0:1], vcc, s[0:1]
	s_and_saveexec_b64 s[18:19], s[0:1]
	s_xor_b64 s[0:1], exec, s[18:19]
; %bb.738:
	v_cmp_ne_u32_e32 vcc, 0, v94
	v_cndmask_b32_e32 v94, 36, v94, vcc
; %bb.739:
	s_andn2_saveexec_b64 s[0:1], s[0:1]
	s_cbranch_execz .LBB108_745
; %bb.740:
	v_cmp_ngt_f64_e64 s[18:19], |v[117:118]|, |v[119:120]|
	s_and_saveexec_b64 s[20:21], s[18:19]
	s_xor_b64 s[18:19], exec, s[20:21]
	s_cbranch_execz .LBB108_742
; %bb.741:
	v_div_scale_f64 v[90:91], s[20:21], v[119:120], v[119:120], v[117:118]
	v_rcp_f64_e32 v[95:96], v[90:91]
	v_fma_f64 v[97:98], -v[90:91], v[95:96], 1.0
	v_fma_f64 v[95:96], v[95:96], v[97:98], v[95:96]
	v_div_scale_f64 v[97:98], vcc, v[117:118], v[119:120], v[117:118]
	v_fma_f64 v[99:100], -v[90:91], v[95:96], 1.0
	v_fma_f64 v[95:96], v[95:96], v[99:100], v[95:96]
	v_mul_f64 v[99:100], v[97:98], v[95:96]
	v_fma_f64 v[90:91], -v[90:91], v[99:100], v[97:98]
	v_div_fmas_f64 v[90:91], v[90:91], v[95:96], v[99:100]
	v_div_fixup_f64 v[90:91], v[90:91], v[119:120], v[117:118]
	v_fma_f64 v[95:96], v[117:118], v[90:91], v[119:120]
	v_div_scale_f64 v[97:98], s[20:21], v[95:96], v[95:96], 1.0
	v_div_scale_f64 v[103:104], vcc, 1.0, v[95:96], 1.0
	v_rcp_f64_e32 v[99:100], v[97:98]
	v_fma_f64 v[101:102], -v[97:98], v[99:100], 1.0
	v_fma_f64 v[99:100], v[99:100], v[101:102], v[99:100]
	v_fma_f64 v[101:102], -v[97:98], v[99:100], 1.0
	v_fma_f64 v[99:100], v[99:100], v[101:102], v[99:100]
	v_mul_f64 v[101:102], v[103:104], v[99:100]
	v_fma_f64 v[97:98], -v[97:98], v[101:102], v[103:104]
	v_div_fmas_f64 v[97:98], v[97:98], v[99:100], v[101:102]
	v_div_fixup_f64 v[119:120], v[97:98], v[95:96], 1.0
	v_mul_f64 v[117:118], v[90:91], v[119:120]
	v_xor_b32_e32 v120, 0x80000000, v120
.LBB108_742:
	s_andn2_saveexec_b64 s[18:19], s[18:19]
	s_cbranch_execz .LBB108_744
; %bb.743:
	v_div_scale_f64 v[90:91], s[20:21], v[117:118], v[117:118], v[119:120]
	v_rcp_f64_e32 v[95:96], v[90:91]
	v_fma_f64 v[97:98], -v[90:91], v[95:96], 1.0
	v_fma_f64 v[95:96], v[95:96], v[97:98], v[95:96]
	v_div_scale_f64 v[97:98], vcc, v[119:120], v[117:118], v[119:120]
	v_fma_f64 v[99:100], -v[90:91], v[95:96], 1.0
	v_fma_f64 v[95:96], v[95:96], v[99:100], v[95:96]
	v_mul_f64 v[99:100], v[97:98], v[95:96]
	v_fma_f64 v[90:91], -v[90:91], v[99:100], v[97:98]
	v_div_fmas_f64 v[90:91], v[90:91], v[95:96], v[99:100]
	v_div_fixup_f64 v[90:91], v[90:91], v[117:118], v[119:120]
	v_fma_f64 v[95:96], v[119:120], v[90:91], v[117:118]
	v_div_scale_f64 v[97:98], s[20:21], v[95:96], v[95:96], 1.0
	v_div_scale_f64 v[103:104], vcc, 1.0, v[95:96], 1.0
	v_rcp_f64_e32 v[99:100], v[97:98]
	v_fma_f64 v[101:102], -v[97:98], v[99:100], 1.0
	v_fma_f64 v[99:100], v[99:100], v[101:102], v[99:100]
	v_fma_f64 v[101:102], -v[97:98], v[99:100], 1.0
	v_fma_f64 v[99:100], v[99:100], v[101:102], v[99:100]
	v_mul_f64 v[101:102], v[103:104], v[99:100]
	v_fma_f64 v[97:98], -v[97:98], v[101:102], v[103:104]
	v_div_fmas_f64 v[97:98], v[97:98], v[99:100], v[101:102]
	v_div_fixup_f64 v[117:118], v[97:98], v[95:96], 1.0
	v_mul_f64 v[119:120], v[90:91], -v[117:118]
.LBB108_744:
	s_or_b64 exec, exec, s[18:19]
.LBB108_745:
	s_or_b64 exec, exec, s[0:1]
	v_cmp_ne_u32_e32 vcc, v93, v89
	s_and_saveexec_b64 s[0:1], vcc
	s_xor_b64 s[0:1], exec, s[0:1]
	s_cbranch_execz .LBB108_751
; %bb.746:
	v_cmp_eq_u32_e32 vcc, 35, v93
	s_and_saveexec_b64 s[18:19], vcc
	s_cbranch_execz .LBB108_750
; %bb.747:
	v_cmp_ne_u32_e32 vcc, 35, v89
	s_xor_b64 s[20:21], s[6:7], -1
	s_and_b64 s[22:23], s[20:21], vcc
	s_and_saveexec_b64 s[20:21], s[22:23]
	s_cbranch_execz .LBB108_749
; %bb.748:
	buffer_load_dword v81, off, s[24:27], 0 offset:452 ; 4-byte Folded Reload
	buffer_load_dword v82, off, s[24:27], 0 offset:456 ; 4-byte Folded Reload
	v_ashrrev_i32_e32 v90, 31, v89
	v_lshlrev_b64 v[90:91], 2, v[89:90]
	s_waitcnt vmcnt(1)
	v_add_co_u32_e32 v90, vcc, v81, v90
	s_waitcnt vmcnt(0)
	v_addc_co_u32_e32 v91, vcc, v82, v91, vcc
	global_load_dword v92, v[90:91], off
	global_load_dword v93, v[81:82], off offset:140
	s_waitcnt vmcnt(1)
	global_store_dword v[81:82], v92, off offset:140
	v_mov_b32_e32 v81, v105
	v_mov_b32_e32 v82, v106
	;; [unrolled: 1-line block ×4, first 2 shown]
	s_waitcnt vmcnt(1)
	global_store_dword v[90:91], v93, off
.LBB108_749:
	s_or_b64 exec, exec, s[20:21]
	v_mov_b32_e32 v93, v89
	v_mov_b32_e32 v73, v89
	buffer_store_dword v73, off, s[24:27], 0 offset:368 ; 4-byte Folded Spill
.LBB108_750:
	s_or_b64 exec, exec, s[18:19]
.LBB108_751:
	s_andn2_saveexec_b64 s[0:1], s[0:1]
	s_cbranch_execz .LBB108_753
; %bb.752:
	v_mov_b32_e32 v93, 35
	ds_write2_b64 v0, v[69:70], v[71:72] offset0:72 offset1:73
	ds_write2_b64 v0, v[65:66], v[67:68] offset0:74 offset1:75
	;; [unrolled: 1-line block ×19, first 2 shown]
.LBB108_753:
	s_or_b64 exec, exec, s[0:1]
	v_cmp_lt_i32_e32 vcc, 35, v93
	s_waitcnt vmcnt(0) lgkmcnt(0)
	s_barrier
	s_and_saveexec_b64 s[0:1], vcc
	s_cbranch_execz .LBB108_755
; %bb.754:
	buffer_load_dword v73, off, s[24:27], 0 ; 4-byte Folded Reload
	buffer_load_dword v74, off, s[24:27], 0 offset:4 ; 4-byte Folded Reload
	buffer_load_dword v75, off, s[24:27], 0 offset:8 ; 4-byte Folded Reload
	;; [unrolled: 1-line block ×3, first 2 shown]
	ds_read2_b64 v[95:98], v0 offset0:72 offset1:73
	s_waitcnt vmcnt(0)
	v_mul_f64 v[89:90], v[119:120], v[75:76]
	v_mul_f64 v[75:76], v[117:118], v[75:76]
	v_fma_f64 v[89:90], v[117:118], v[73:74], -v[89:90]
	v_fma_f64 v[75:76], v[119:120], v[73:74], v[75:76]
	s_waitcnt lgkmcnt(0)
	v_mul_f64 v[73:74], v[97:98], v[75:76]
	v_mul_f64 v[91:92], v[95:96], v[75:76]
	v_fma_f64 v[73:74], v[95:96], v[89:90], -v[73:74]
	v_fma_f64 v[91:92], v[97:98], v[89:90], v[91:92]
	ds_read2_b64 v[95:98], v0 offset0:74 offset1:75
	v_add_f64 v[69:70], v[69:70], -v[73:74]
	v_add_f64 v[71:72], v[71:72], -v[91:92]
	s_waitcnt lgkmcnt(0)
	v_mul_f64 v[73:74], v[97:98], v[75:76]
	v_mul_f64 v[91:92], v[95:96], v[75:76]
	v_fma_f64 v[73:74], v[95:96], v[89:90], -v[73:74]
	v_fma_f64 v[91:92], v[97:98], v[89:90], v[91:92]
	ds_read2_b64 v[95:98], v0 offset0:76 offset1:77
	v_add_f64 v[65:66], v[65:66], -v[73:74]
	v_add_f64 v[67:68], v[67:68], -v[91:92]
	;; [unrolled: 8-line block ×18, first 2 shown]
	s_waitcnt lgkmcnt(0)
	v_mul_f64 v[73:74], v[97:98], v[75:76]
	v_mul_f64 v[91:92], v[95:96], v[75:76]
	v_fma_f64 v[73:74], v[95:96], v[89:90], -v[73:74]
	v_fma_f64 v[91:92], v[97:98], v[89:90], v[91:92]
	v_add_f64 v[121:122], v[121:122], -v[73:74]
	v_add_f64 v[123:124], v[123:124], -v[91:92]
	v_mov_b32_e32 v73, v89
	v_mov_b32_e32 v74, v90
	buffer_store_dword v73, off, s[24:27], 0 ; 4-byte Folded Spill
	s_nop 0
	buffer_store_dword v74, off, s[24:27], 0 offset:4 ; 4-byte Folded Spill
	buffer_store_dword v75, off, s[24:27], 0 offset:8 ; 4-byte Folded Spill
	;; [unrolled: 1-line block ×3, first 2 shown]
.LBB108_755:
	s_or_b64 exec, exec, s[0:1]
	v_lshl_add_u32 v89, v93, 4, v0
	s_waitcnt vmcnt(0)
	s_barrier
	ds_write2_b64 v89, v[69:70], v[71:72] offset1:1
	s_waitcnt lgkmcnt(0)
	s_barrier
	ds_read2_b64 v[117:120], v0 offset0:72 offset1:73
	s_cmp_lt_i32 s3, 38
	v_mov_b32_e32 v89, 36
	s_cbranch_scc1 .LBB108_758
; %bb.756:
	v_add_u32_e32 v90, 0x250, v0
	s_mov_b32 s0, 37
	v_mov_b32_e32 v89, 36
.LBB108_757:                            ; =>This Inner Loop Header: Depth=1
	s_waitcnt lgkmcnt(0)
	v_cmp_gt_f64_e32 vcc, 0, v[117:118]
	v_xor_b32_e32 v91, 0x80000000, v118
	ds_read2_b64 v[95:98], v90 offset1:1
	v_xor_b32_e32 v99, 0x80000000, v120
	v_add_u32_e32 v90, 16, v90
	s_waitcnt lgkmcnt(0)
	v_xor_b32_e32 v101, 0x80000000, v98
	v_cndmask_b32_e32 v92, v118, v91, vcc
	v_cmp_gt_f64_e32 vcc, 0, v[119:120]
	v_mov_b32_e32 v91, v117
	v_cndmask_b32_e32 v100, v120, v99, vcc
	v_cmp_gt_f64_e32 vcc, 0, v[95:96]
	v_mov_b32_e32 v99, v119
	v_add_f64 v[91:92], v[91:92], v[99:100]
	v_xor_b32_e32 v99, 0x80000000, v96
	v_cndmask_b32_e32 v100, v96, v99, vcc
	v_cmp_gt_f64_e32 vcc, 0, v[97:98]
	v_mov_b32_e32 v99, v95
	v_cndmask_b32_e32 v102, v98, v101, vcc
	v_mov_b32_e32 v101, v97
	v_add_f64 v[99:100], v[99:100], v[101:102]
	v_cmp_lt_f64_e32 vcc, v[91:92], v[99:100]
	v_mov_b32_e32 v91, s0
	s_add_i32 s0, s0, 1
	s_cmp_lg_u32 s3, s0
	v_cndmask_b32_e32 v118, v118, v96, vcc
	v_cndmask_b32_e32 v117, v117, v95, vcc
	;; [unrolled: 1-line block ×5, first 2 shown]
	s_cbranch_scc1 .LBB108_757
.LBB108_758:
	s_waitcnt lgkmcnt(0)
	v_cmp_eq_f64_e32 vcc, 0, v[117:118]
	v_cmp_eq_f64_e64 s[0:1], 0, v[119:120]
	s_and_b64 s[0:1], vcc, s[0:1]
	s_and_saveexec_b64 s[18:19], s[0:1]
	s_xor_b64 s[0:1], exec, s[18:19]
; %bb.759:
	v_cmp_ne_u32_e32 vcc, 0, v94
	v_cndmask_b32_e32 v94, 37, v94, vcc
; %bb.760:
	s_andn2_saveexec_b64 s[0:1], s[0:1]
	s_cbranch_execz .LBB108_766
; %bb.761:
	v_cmp_ngt_f64_e64 s[18:19], |v[117:118]|, |v[119:120]|
	s_and_saveexec_b64 s[20:21], s[18:19]
	s_xor_b64 s[18:19], exec, s[20:21]
	s_cbranch_execz .LBB108_763
; %bb.762:
	v_div_scale_f64 v[90:91], s[20:21], v[119:120], v[119:120], v[117:118]
	v_rcp_f64_e32 v[95:96], v[90:91]
	v_fma_f64 v[97:98], -v[90:91], v[95:96], 1.0
	v_fma_f64 v[95:96], v[95:96], v[97:98], v[95:96]
	v_div_scale_f64 v[97:98], vcc, v[117:118], v[119:120], v[117:118]
	v_fma_f64 v[99:100], -v[90:91], v[95:96], 1.0
	v_fma_f64 v[95:96], v[95:96], v[99:100], v[95:96]
	v_mul_f64 v[99:100], v[97:98], v[95:96]
	v_fma_f64 v[90:91], -v[90:91], v[99:100], v[97:98]
	v_div_fmas_f64 v[90:91], v[90:91], v[95:96], v[99:100]
	v_div_fixup_f64 v[90:91], v[90:91], v[119:120], v[117:118]
	v_fma_f64 v[95:96], v[117:118], v[90:91], v[119:120]
	v_div_scale_f64 v[97:98], s[20:21], v[95:96], v[95:96], 1.0
	v_div_scale_f64 v[103:104], vcc, 1.0, v[95:96], 1.0
	v_rcp_f64_e32 v[99:100], v[97:98]
	v_fma_f64 v[101:102], -v[97:98], v[99:100], 1.0
	v_fma_f64 v[99:100], v[99:100], v[101:102], v[99:100]
	v_fma_f64 v[101:102], -v[97:98], v[99:100], 1.0
	v_fma_f64 v[99:100], v[99:100], v[101:102], v[99:100]
	v_mul_f64 v[101:102], v[103:104], v[99:100]
	v_fma_f64 v[97:98], -v[97:98], v[101:102], v[103:104]
	v_div_fmas_f64 v[97:98], v[97:98], v[99:100], v[101:102]
	v_div_fixup_f64 v[119:120], v[97:98], v[95:96], 1.0
	v_mul_f64 v[117:118], v[90:91], v[119:120]
	v_xor_b32_e32 v120, 0x80000000, v120
.LBB108_763:
	s_andn2_saveexec_b64 s[18:19], s[18:19]
	s_cbranch_execz .LBB108_765
; %bb.764:
	v_div_scale_f64 v[90:91], s[20:21], v[117:118], v[117:118], v[119:120]
	v_rcp_f64_e32 v[95:96], v[90:91]
	v_fma_f64 v[97:98], -v[90:91], v[95:96], 1.0
	v_fma_f64 v[95:96], v[95:96], v[97:98], v[95:96]
	v_div_scale_f64 v[97:98], vcc, v[119:120], v[117:118], v[119:120]
	v_fma_f64 v[99:100], -v[90:91], v[95:96], 1.0
	v_fma_f64 v[95:96], v[95:96], v[99:100], v[95:96]
	v_mul_f64 v[99:100], v[97:98], v[95:96]
	v_fma_f64 v[90:91], -v[90:91], v[99:100], v[97:98]
	v_div_fmas_f64 v[90:91], v[90:91], v[95:96], v[99:100]
	v_div_fixup_f64 v[90:91], v[90:91], v[117:118], v[119:120]
	v_fma_f64 v[95:96], v[119:120], v[90:91], v[117:118]
	v_div_scale_f64 v[97:98], s[20:21], v[95:96], v[95:96], 1.0
	v_div_scale_f64 v[103:104], vcc, 1.0, v[95:96], 1.0
	v_rcp_f64_e32 v[99:100], v[97:98]
	v_fma_f64 v[101:102], -v[97:98], v[99:100], 1.0
	v_fma_f64 v[99:100], v[99:100], v[101:102], v[99:100]
	v_fma_f64 v[101:102], -v[97:98], v[99:100], 1.0
	v_fma_f64 v[99:100], v[99:100], v[101:102], v[99:100]
	v_mul_f64 v[101:102], v[103:104], v[99:100]
	v_fma_f64 v[97:98], -v[97:98], v[101:102], v[103:104]
	v_div_fmas_f64 v[97:98], v[97:98], v[99:100], v[101:102]
	v_div_fixup_f64 v[117:118], v[97:98], v[95:96], 1.0
	v_mul_f64 v[119:120], v[90:91], -v[117:118]
.LBB108_765:
	s_or_b64 exec, exec, s[18:19]
.LBB108_766:
	s_or_b64 exec, exec, s[0:1]
	v_cmp_ne_u32_e32 vcc, v93, v89
	s_and_saveexec_b64 s[0:1], vcc
	s_xor_b64 s[0:1], exec, s[0:1]
	s_cbranch_execz .LBB108_772
; %bb.767:
	v_cmp_eq_u32_e32 vcc, 36, v93
	s_and_saveexec_b64 s[18:19], vcc
	s_cbranch_execz .LBB108_771
; %bb.768:
	v_cmp_ne_u32_e32 vcc, 36, v89
	s_xor_b64 s[20:21], s[6:7], -1
	s_and_b64 s[22:23], s[20:21], vcc
	s_and_saveexec_b64 s[20:21], s[22:23]
	s_cbranch_execz .LBB108_770
; %bb.769:
	buffer_load_dword v81, off, s[24:27], 0 offset:452 ; 4-byte Folded Reload
	buffer_load_dword v82, off, s[24:27], 0 offset:456 ; 4-byte Folded Reload
	v_ashrrev_i32_e32 v90, 31, v89
	v_lshlrev_b64 v[90:91], 2, v[89:90]
	s_waitcnt vmcnt(1)
	v_add_co_u32_e32 v90, vcc, v81, v90
	s_waitcnt vmcnt(0)
	v_addc_co_u32_e32 v91, vcc, v82, v91, vcc
	global_load_dword v92, v[90:91], off
	global_load_dword v93, v[81:82], off offset:144
	s_waitcnt vmcnt(1)
	global_store_dword v[81:82], v92, off offset:144
	v_mov_b32_e32 v81, v105
	v_mov_b32_e32 v82, v106
	;; [unrolled: 1-line block ×4, first 2 shown]
	s_waitcnt vmcnt(1)
	global_store_dword v[90:91], v93, off
.LBB108_770:
	s_or_b64 exec, exec, s[20:21]
	v_mov_b32_e32 v93, v89
	v_mov_b32_e32 v73, v89
	buffer_store_dword v73, off, s[24:27], 0 offset:368 ; 4-byte Folded Spill
.LBB108_771:
	s_or_b64 exec, exec, s[18:19]
.LBB108_772:
	s_andn2_saveexec_b64 s[0:1], s[0:1]
	s_cbranch_execz .LBB108_774
; %bb.773:
	v_mov_b32_e32 v93, 36
	ds_write2_b64 v0, v[65:66], v[67:68] offset0:74 offset1:75
	ds_write2_b64 v0, v[61:62], v[63:64] offset0:76 offset1:77
	;; [unrolled: 1-line block ×18, first 2 shown]
.LBB108_774:
	s_or_b64 exec, exec, s[0:1]
	v_cmp_lt_i32_e32 vcc, 36, v93
	s_waitcnt vmcnt(0) lgkmcnt(0)
	s_barrier
	s_and_saveexec_b64 s[0:1], vcc
	s_cbranch_execz .LBB108_776
; %bb.775:
	v_mul_f64 v[89:90], v[119:120], v[71:72]
	v_mul_f64 v[71:72], v[117:118], v[71:72]
	ds_read2_b64 v[95:98], v0 offset0:74 offset1:75
	v_fma_f64 v[89:90], v[117:118], v[69:70], -v[89:90]
	v_fma_f64 v[71:72], v[119:120], v[69:70], v[71:72]
	s_waitcnt lgkmcnt(0)
	v_mul_f64 v[69:70], v[97:98], v[71:72]
	v_mul_f64 v[91:92], v[95:96], v[71:72]
	v_fma_f64 v[69:70], v[95:96], v[89:90], -v[69:70]
	v_fma_f64 v[91:92], v[97:98], v[89:90], v[91:92]
	ds_read2_b64 v[95:98], v0 offset0:76 offset1:77
	v_add_f64 v[65:66], v[65:66], -v[69:70]
	v_add_f64 v[67:68], v[67:68], -v[91:92]
	s_waitcnt lgkmcnt(0)
	v_mul_f64 v[69:70], v[97:98], v[71:72]
	v_mul_f64 v[91:92], v[95:96], v[71:72]
	v_fma_f64 v[69:70], v[95:96], v[89:90], -v[69:70]
	v_fma_f64 v[91:92], v[97:98], v[89:90], v[91:92]
	ds_read2_b64 v[95:98], v0 offset0:78 offset1:79
	v_add_f64 v[61:62], v[61:62], -v[69:70]
	v_add_f64 v[63:64], v[63:64], -v[91:92]
	;; [unrolled: 8-line block ×17, first 2 shown]
	s_waitcnt lgkmcnt(0)
	v_mul_f64 v[69:70], v[97:98], v[71:72]
	v_mul_f64 v[91:92], v[95:96], v[71:72]
	v_fma_f64 v[69:70], v[95:96], v[89:90], -v[69:70]
	v_fma_f64 v[91:92], v[97:98], v[89:90], v[91:92]
	v_add_f64 v[121:122], v[121:122], -v[69:70]
	v_add_f64 v[123:124], v[123:124], -v[91:92]
	v_mov_b32_e32 v69, v89
	v_mov_b32_e32 v70, v90
.LBB108_776:
	s_or_b64 exec, exec, s[0:1]
	v_lshl_add_u32 v89, v93, 4, v0
	s_barrier
	ds_write2_b64 v89, v[65:66], v[67:68] offset1:1
	s_waitcnt lgkmcnt(0)
	s_barrier
	ds_read2_b64 v[117:120], v0 offset0:74 offset1:75
	s_cmp_lt_i32 s3, 39
	v_mov_b32_e32 v89, 37
	s_cbranch_scc1 .LBB108_779
; %bb.777:
	v_add_u32_e32 v90, 0x260, v0
	s_mov_b32 s0, 38
	v_mov_b32_e32 v89, 37
.LBB108_778:                            ; =>This Inner Loop Header: Depth=1
	s_waitcnt lgkmcnt(0)
	v_cmp_gt_f64_e32 vcc, 0, v[117:118]
	v_xor_b32_e32 v91, 0x80000000, v118
	ds_read2_b64 v[95:98], v90 offset1:1
	v_xor_b32_e32 v99, 0x80000000, v120
	v_add_u32_e32 v90, 16, v90
	s_waitcnt lgkmcnt(0)
	v_xor_b32_e32 v101, 0x80000000, v98
	v_cndmask_b32_e32 v92, v118, v91, vcc
	v_cmp_gt_f64_e32 vcc, 0, v[119:120]
	v_mov_b32_e32 v91, v117
	v_cndmask_b32_e32 v100, v120, v99, vcc
	v_cmp_gt_f64_e32 vcc, 0, v[95:96]
	v_mov_b32_e32 v99, v119
	v_add_f64 v[91:92], v[91:92], v[99:100]
	v_xor_b32_e32 v99, 0x80000000, v96
	v_cndmask_b32_e32 v100, v96, v99, vcc
	v_cmp_gt_f64_e32 vcc, 0, v[97:98]
	v_mov_b32_e32 v99, v95
	v_cndmask_b32_e32 v102, v98, v101, vcc
	v_mov_b32_e32 v101, v97
	v_add_f64 v[99:100], v[99:100], v[101:102]
	v_cmp_lt_f64_e32 vcc, v[91:92], v[99:100]
	v_mov_b32_e32 v91, s0
	s_add_i32 s0, s0, 1
	s_cmp_lg_u32 s3, s0
	v_cndmask_b32_e32 v118, v118, v96, vcc
	v_cndmask_b32_e32 v117, v117, v95, vcc
	;; [unrolled: 1-line block ×5, first 2 shown]
	s_cbranch_scc1 .LBB108_778
.LBB108_779:
	s_waitcnt lgkmcnt(0)
	v_cmp_eq_f64_e32 vcc, 0, v[117:118]
	v_cmp_eq_f64_e64 s[0:1], 0, v[119:120]
	s_and_b64 s[0:1], vcc, s[0:1]
	s_and_saveexec_b64 s[18:19], s[0:1]
	s_xor_b64 s[0:1], exec, s[18:19]
; %bb.780:
	v_cmp_ne_u32_e32 vcc, 0, v94
	v_cndmask_b32_e32 v94, 38, v94, vcc
; %bb.781:
	s_andn2_saveexec_b64 s[0:1], s[0:1]
	s_cbranch_execz .LBB108_787
; %bb.782:
	v_cmp_ngt_f64_e64 s[18:19], |v[117:118]|, |v[119:120]|
	s_and_saveexec_b64 s[20:21], s[18:19]
	s_xor_b64 s[18:19], exec, s[20:21]
	s_cbranch_execz .LBB108_784
; %bb.783:
	v_div_scale_f64 v[90:91], s[20:21], v[119:120], v[119:120], v[117:118]
	v_rcp_f64_e32 v[95:96], v[90:91]
	v_fma_f64 v[97:98], -v[90:91], v[95:96], 1.0
	v_fma_f64 v[95:96], v[95:96], v[97:98], v[95:96]
	v_div_scale_f64 v[97:98], vcc, v[117:118], v[119:120], v[117:118]
	v_fma_f64 v[99:100], -v[90:91], v[95:96], 1.0
	v_fma_f64 v[95:96], v[95:96], v[99:100], v[95:96]
	v_mul_f64 v[99:100], v[97:98], v[95:96]
	v_fma_f64 v[90:91], -v[90:91], v[99:100], v[97:98]
	v_div_fmas_f64 v[90:91], v[90:91], v[95:96], v[99:100]
	v_div_fixup_f64 v[90:91], v[90:91], v[119:120], v[117:118]
	v_fma_f64 v[95:96], v[117:118], v[90:91], v[119:120]
	v_div_scale_f64 v[97:98], s[20:21], v[95:96], v[95:96], 1.0
	v_div_scale_f64 v[103:104], vcc, 1.0, v[95:96], 1.0
	v_rcp_f64_e32 v[99:100], v[97:98]
	v_fma_f64 v[101:102], -v[97:98], v[99:100], 1.0
	v_fma_f64 v[99:100], v[99:100], v[101:102], v[99:100]
	v_fma_f64 v[101:102], -v[97:98], v[99:100], 1.0
	v_fma_f64 v[99:100], v[99:100], v[101:102], v[99:100]
	v_mul_f64 v[101:102], v[103:104], v[99:100]
	v_fma_f64 v[97:98], -v[97:98], v[101:102], v[103:104]
	v_div_fmas_f64 v[97:98], v[97:98], v[99:100], v[101:102]
	v_div_fixup_f64 v[119:120], v[97:98], v[95:96], 1.0
	v_mul_f64 v[117:118], v[90:91], v[119:120]
	v_xor_b32_e32 v120, 0x80000000, v120
.LBB108_784:
	s_andn2_saveexec_b64 s[18:19], s[18:19]
	s_cbranch_execz .LBB108_786
; %bb.785:
	v_div_scale_f64 v[90:91], s[20:21], v[117:118], v[117:118], v[119:120]
	v_rcp_f64_e32 v[95:96], v[90:91]
	v_fma_f64 v[97:98], -v[90:91], v[95:96], 1.0
	v_fma_f64 v[95:96], v[95:96], v[97:98], v[95:96]
	v_div_scale_f64 v[97:98], vcc, v[119:120], v[117:118], v[119:120]
	v_fma_f64 v[99:100], -v[90:91], v[95:96], 1.0
	v_fma_f64 v[95:96], v[95:96], v[99:100], v[95:96]
	v_mul_f64 v[99:100], v[97:98], v[95:96]
	v_fma_f64 v[90:91], -v[90:91], v[99:100], v[97:98]
	v_div_fmas_f64 v[90:91], v[90:91], v[95:96], v[99:100]
	v_div_fixup_f64 v[90:91], v[90:91], v[117:118], v[119:120]
	v_fma_f64 v[95:96], v[119:120], v[90:91], v[117:118]
	v_div_scale_f64 v[97:98], s[20:21], v[95:96], v[95:96], 1.0
	v_div_scale_f64 v[103:104], vcc, 1.0, v[95:96], 1.0
	v_rcp_f64_e32 v[99:100], v[97:98]
	v_fma_f64 v[101:102], -v[97:98], v[99:100], 1.0
	v_fma_f64 v[99:100], v[99:100], v[101:102], v[99:100]
	v_fma_f64 v[101:102], -v[97:98], v[99:100], 1.0
	v_fma_f64 v[99:100], v[99:100], v[101:102], v[99:100]
	v_mul_f64 v[101:102], v[103:104], v[99:100]
	v_fma_f64 v[97:98], -v[97:98], v[101:102], v[103:104]
	v_div_fmas_f64 v[97:98], v[97:98], v[99:100], v[101:102]
	v_div_fixup_f64 v[117:118], v[97:98], v[95:96], 1.0
	v_mul_f64 v[119:120], v[90:91], -v[117:118]
.LBB108_786:
	s_or_b64 exec, exec, s[18:19]
.LBB108_787:
	s_or_b64 exec, exec, s[0:1]
	v_cmp_ne_u32_e32 vcc, v93, v89
	s_and_saveexec_b64 s[0:1], vcc
	s_xor_b64 s[0:1], exec, s[0:1]
	s_cbranch_execz .LBB108_793
; %bb.788:
	v_cmp_eq_u32_e32 vcc, 37, v93
	s_and_saveexec_b64 s[18:19], vcc
	s_cbranch_execz .LBB108_792
; %bb.789:
	v_cmp_ne_u32_e32 vcc, 37, v89
	s_xor_b64 s[20:21], s[6:7], -1
	s_and_b64 s[22:23], s[20:21], vcc
	s_and_saveexec_b64 s[20:21], s[22:23]
	s_cbranch_execz .LBB108_791
; %bb.790:
	buffer_load_dword v81, off, s[24:27], 0 offset:452 ; 4-byte Folded Reload
	buffer_load_dword v82, off, s[24:27], 0 offset:456 ; 4-byte Folded Reload
	v_ashrrev_i32_e32 v90, 31, v89
	v_lshlrev_b64 v[90:91], 2, v[89:90]
	s_waitcnt vmcnt(1)
	v_add_co_u32_e32 v90, vcc, v81, v90
	s_waitcnt vmcnt(0)
	v_addc_co_u32_e32 v91, vcc, v82, v91, vcc
	global_load_dword v92, v[90:91], off
	global_load_dword v93, v[81:82], off offset:148
	s_waitcnt vmcnt(1)
	global_store_dword v[81:82], v92, off offset:148
	v_mov_b32_e32 v81, v105
	v_mov_b32_e32 v82, v106
	;; [unrolled: 1-line block ×4, first 2 shown]
	s_waitcnt vmcnt(1)
	global_store_dword v[90:91], v93, off
.LBB108_791:
	s_or_b64 exec, exec, s[20:21]
	v_mov_b32_e32 v93, v89
	v_mov_b32_e32 v73, v89
	buffer_store_dword v73, off, s[24:27], 0 offset:368 ; 4-byte Folded Spill
.LBB108_792:
	s_or_b64 exec, exec, s[18:19]
.LBB108_793:
	s_andn2_saveexec_b64 s[0:1], s[0:1]
	s_cbranch_execz .LBB108_795
; %bb.794:
	v_mov_b32_e32 v93, 37
	ds_write2_b64 v0, v[61:62], v[63:64] offset0:76 offset1:77
	ds_write2_b64 v0, v[57:58], v[59:60] offset0:78 offset1:79
	ds_write2_b64 v0, v[53:54], v[55:56] offset0:80 offset1:81
	ds_write2_b64 v0, v[49:50], v[51:52] offset0:82 offset1:83
	ds_write2_b64 v0, v[45:46], v[47:48] offset0:84 offset1:85
	ds_write2_b64 v0, v[41:42], v[43:44] offset0:86 offset1:87
	ds_write2_b64 v0, v[37:38], v[39:40] offset0:88 offset1:89
	ds_write2_b64 v0, v[33:34], v[35:36] offset0:90 offset1:91
	ds_write2_b64 v0, v[29:30], v[31:32] offset0:92 offset1:93
	ds_write2_b64 v0, v[25:26], v[27:28] offset0:94 offset1:95
	ds_write2_b64 v0, v[21:22], v[23:24] offset0:96 offset1:97
	ds_write2_b64 v0, v[17:18], v[19:20] offset0:98 offset1:99
	ds_write2_b64 v0, v[13:14], v[15:16] offset0:100 offset1:101
	ds_write2_b64 v0, v[9:10], v[11:12] offset0:102 offset1:103
	ds_write2_b64 v0, v[5:6], v[7:8] offset0:104 offset1:105
	ds_write2_b64 v0, v[1:2], v[3:4] offset0:106 offset1:107
	ds_write2_b64 v0, v[121:122], v[123:124] offset0:108 offset1:109
.LBB108_795:
	s_or_b64 exec, exec, s[0:1]
	v_cmp_lt_i32_e32 vcc, 37, v93
	s_waitcnt vmcnt(0) lgkmcnt(0)
	s_barrier
	s_and_saveexec_b64 s[0:1], vcc
	s_cbranch_execz .LBB108_797
; %bb.796:
	v_mul_f64 v[89:90], v[119:120], v[67:68]
	v_mul_f64 v[67:68], v[117:118], v[67:68]
	ds_read2_b64 v[95:98], v0 offset0:76 offset1:77
	v_fma_f64 v[89:90], v[117:118], v[65:66], -v[89:90]
	v_fma_f64 v[67:68], v[119:120], v[65:66], v[67:68]
	s_waitcnt lgkmcnt(0)
	v_mul_f64 v[65:66], v[97:98], v[67:68]
	v_mul_f64 v[91:92], v[95:96], v[67:68]
	v_fma_f64 v[65:66], v[95:96], v[89:90], -v[65:66]
	v_fma_f64 v[91:92], v[97:98], v[89:90], v[91:92]
	ds_read2_b64 v[95:98], v0 offset0:78 offset1:79
	v_add_f64 v[61:62], v[61:62], -v[65:66]
	v_add_f64 v[63:64], v[63:64], -v[91:92]
	s_waitcnt lgkmcnt(0)
	v_mul_f64 v[65:66], v[97:98], v[67:68]
	v_mul_f64 v[91:92], v[95:96], v[67:68]
	v_fma_f64 v[65:66], v[95:96], v[89:90], -v[65:66]
	v_fma_f64 v[91:92], v[97:98], v[89:90], v[91:92]
	ds_read2_b64 v[95:98], v0 offset0:80 offset1:81
	v_add_f64 v[57:58], v[57:58], -v[65:66]
	v_add_f64 v[59:60], v[59:60], -v[91:92]
	;; [unrolled: 8-line block ×16, first 2 shown]
	s_waitcnt lgkmcnt(0)
	v_mul_f64 v[65:66], v[97:98], v[67:68]
	v_mul_f64 v[91:92], v[95:96], v[67:68]
	v_fma_f64 v[65:66], v[95:96], v[89:90], -v[65:66]
	v_fma_f64 v[91:92], v[97:98], v[89:90], v[91:92]
	v_add_f64 v[121:122], v[121:122], -v[65:66]
	v_add_f64 v[123:124], v[123:124], -v[91:92]
	v_mov_b32_e32 v65, v89
	v_mov_b32_e32 v66, v90
.LBB108_797:
	s_or_b64 exec, exec, s[0:1]
	v_lshl_add_u32 v89, v93, 4, v0
	s_barrier
	ds_write2_b64 v89, v[61:62], v[63:64] offset1:1
	s_waitcnt lgkmcnt(0)
	s_barrier
	ds_read2_b64 v[117:120], v0 offset0:76 offset1:77
	s_cmp_lt_i32 s3, 40
	v_mov_b32_e32 v89, 38
	s_cbranch_scc1 .LBB108_800
; %bb.798:
	v_add_u32_e32 v90, 0x270, v0
	s_mov_b32 s0, 39
	v_mov_b32_e32 v89, 38
.LBB108_799:                            ; =>This Inner Loop Header: Depth=1
	s_waitcnt lgkmcnt(0)
	v_cmp_gt_f64_e32 vcc, 0, v[117:118]
	v_xor_b32_e32 v91, 0x80000000, v118
	ds_read2_b64 v[95:98], v90 offset1:1
	v_xor_b32_e32 v99, 0x80000000, v120
	v_add_u32_e32 v90, 16, v90
	s_waitcnt lgkmcnt(0)
	v_xor_b32_e32 v101, 0x80000000, v98
	v_cndmask_b32_e32 v92, v118, v91, vcc
	v_cmp_gt_f64_e32 vcc, 0, v[119:120]
	v_mov_b32_e32 v91, v117
	v_cndmask_b32_e32 v100, v120, v99, vcc
	v_cmp_gt_f64_e32 vcc, 0, v[95:96]
	v_mov_b32_e32 v99, v119
	v_add_f64 v[91:92], v[91:92], v[99:100]
	v_xor_b32_e32 v99, 0x80000000, v96
	v_cndmask_b32_e32 v100, v96, v99, vcc
	v_cmp_gt_f64_e32 vcc, 0, v[97:98]
	v_mov_b32_e32 v99, v95
	v_cndmask_b32_e32 v102, v98, v101, vcc
	v_mov_b32_e32 v101, v97
	v_add_f64 v[99:100], v[99:100], v[101:102]
	v_cmp_lt_f64_e32 vcc, v[91:92], v[99:100]
	v_mov_b32_e32 v91, s0
	s_add_i32 s0, s0, 1
	s_cmp_lg_u32 s3, s0
	v_cndmask_b32_e32 v118, v118, v96, vcc
	v_cndmask_b32_e32 v117, v117, v95, vcc
	;; [unrolled: 1-line block ×5, first 2 shown]
	s_cbranch_scc1 .LBB108_799
.LBB108_800:
	s_waitcnt lgkmcnt(0)
	v_cmp_eq_f64_e32 vcc, 0, v[117:118]
	v_cmp_eq_f64_e64 s[0:1], 0, v[119:120]
	s_and_b64 s[0:1], vcc, s[0:1]
	s_and_saveexec_b64 s[18:19], s[0:1]
	s_xor_b64 s[0:1], exec, s[18:19]
; %bb.801:
	v_cmp_ne_u32_e32 vcc, 0, v94
	v_cndmask_b32_e32 v94, 39, v94, vcc
; %bb.802:
	s_andn2_saveexec_b64 s[0:1], s[0:1]
	s_cbranch_execz .LBB108_808
; %bb.803:
	v_cmp_ngt_f64_e64 s[18:19], |v[117:118]|, |v[119:120]|
	s_and_saveexec_b64 s[20:21], s[18:19]
	s_xor_b64 s[18:19], exec, s[20:21]
	s_cbranch_execz .LBB108_805
; %bb.804:
	v_div_scale_f64 v[90:91], s[20:21], v[119:120], v[119:120], v[117:118]
	v_rcp_f64_e32 v[95:96], v[90:91]
	v_fma_f64 v[97:98], -v[90:91], v[95:96], 1.0
	v_fma_f64 v[95:96], v[95:96], v[97:98], v[95:96]
	v_div_scale_f64 v[97:98], vcc, v[117:118], v[119:120], v[117:118]
	v_fma_f64 v[99:100], -v[90:91], v[95:96], 1.0
	v_fma_f64 v[95:96], v[95:96], v[99:100], v[95:96]
	v_mul_f64 v[99:100], v[97:98], v[95:96]
	v_fma_f64 v[90:91], -v[90:91], v[99:100], v[97:98]
	v_div_fmas_f64 v[90:91], v[90:91], v[95:96], v[99:100]
	v_div_fixup_f64 v[90:91], v[90:91], v[119:120], v[117:118]
	v_fma_f64 v[95:96], v[117:118], v[90:91], v[119:120]
	v_div_scale_f64 v[97:98], s[20:21], v[95:96], v[95:96], 1.0
	v_div_scale_f64 v[103:104], vcc, 1.0, v[95:96], 1.0
	v_rcp_f64_e32 v[99:100], v[97:98]
	v_fma_f64 v[101:102], -v[97:98], v[99:100], 1.0
	v_fma_f64 v[99:100], v[99:100], v[101:102], v[99:100]
	v_fma_f64 v[101:102], -v[97:98], v[99:100], 1.0
	v_fma_f64 v[99:100], v[99:100], v[101:102], v[99:100]
	v_mul_f64 v[101:102], v[103:104], v[99:100]
	v_fma_f64 v[97:98], -v[97:98], v[101:102], v[103:104]
	v_div_fmas_f64 v[97:98], v[97:98], v[99:100], v[101:102]
	v_div_fixup_f64 v[119:120], v[97:98], v[95:96], 1.0
	v_mul_f64 v[117:118], v[90:91], v[119:120]
	v_xor_b32_e32 v120, 0x80000000, v120
.LBB108_805:
	s_andn2_saveexec_b64 s[18:19], s[18:19]
	s_cbranch_execz .LBB108_807
; %bb.806:
	v_div_scale_f64 v[90:91], s[20:21], v[117:118], v[117:118], v[119:120]
	v_rcp_f64_e32 v[95:96], v[90:91]
	v_fma_f64 v[97:98], -v[90:91], v[95:96], 1.0
	v_fma_f64 v[95:96], v[95:96], v[97:98], v[95:96]
	v_div_scale_f64 v[97:98], vcc, v[119:120], v[117:118], v[119:120]
	v_fma_f64 v[99:100], -v[90:91], v[95:96], 1.0
	v_fma_f64 v[95:96], v[95:96], v[99:100], v[95:96]
	v_mul_f64 v[99:100], v[97:98], v[95:96]
	v_fma_f64 v[90:91], -v[90:91], v[99:100], v[97:98]
	v_div_fmas_f64 v[90:91], v[90:91], v[95:96], v[99:100]
	v_div_fixup_f64 v[90:91], v[90:91], v[117:118], v[119:120]
	v_fma_f64 v[95:96], v[119:120], v[90:91], v[117:118]
	v_div_scale_f64 v[97:98], s[20:21], v[95:96], v[95:96], 1.0
	v_div_scale_f64 v[103:104], vcc, 1.0, v[95:96], 1.0
	v_rcp_f64_e32 v[99:100], v[97:98]
	v_fma_f64 v[101:102], -v[97:98], v[99:100], 1.0
	v_fma_f64 v[99:100], v[99:100], v[101:102], v[99:100]
	v_fma_f64 v[101:102], -v[97:98], v[99:100], 1.0
	v_fma_f64 v[99:100], v[99:100], v[101:102], v[99:100]
	v_mul_f64 v[101:102], v[103:104], v[99:100]
	v_fma_f64 v[97:98], -v[97:98], v[101:102], v[103:104]
	v_div_fmas_f64 v[97:98], v[97:98], v[99:100], v[101:102]
	v_div_fixup_f64 v[117:118], v[97:98], v[95:96], 1.0
	v_mul_f64 v[119:120], v[90:91], -v[117:118]
.LBB108_807:
	s_or_b64 exec, exec, s[18:19]
.LBB108_808:
	s_or_b64 exec, exec, s[0:1]
	v_cmp_ne_u32_e32 vcc, v93, v89
	s_and_saveexec_b64 s[0:1], vcc
	s_xor_b64 s[0:1], exec, s[0:1]
	s_cbranch_execz .LBB108_814
; %bb.809:
	v_cmp_eq_u32_e32 vcc, 38, v93
	s_and_saveexec_b64 s[18:19], vcc
	s_cbranch_execz .LBB108_813
; %bb.810:
	v_cmp_ne_u32_e32 vcc, 38, v89
	s_xor_b64 s[20:21], s[6:7], -1
	s_and_b64 s[22:23], s[20:21], vcc
	s_and_saveexec_b64 s[20:21], s[22:23]
	s_cbranch_execz .LBB108_812
; %bb.811:
	buffer_load_dword v81, off, s[24:27], 0 offset:452 ; 4-byte Folded Reload
	buffer_load_dword v82, off, s[24:27], 0 offset:456 ; 4-byte Folded Reload
	v_ashrrev_i32_e32 v90, 31, v89
	v_lshlrev_b64 v[90:91], 2, v[89:90]
	s_waitcnt vmcnt(1)
	v_add_co_u32_e32 v90, vcc, v81, v90
	s_waitcnt vmcnt(0)
	v_addc_co_u32_e32 v91, vcc, v82, v91, vcc
	global_load_dword v92, v[90:91], off
	global_load_dword v93, v[81:82], off offset:152
	s_waitcnt vmcnt(1)
	global_store_dword v[81:82], v92, off offset:152
	v_mov_b32_e32 v81, v105
	v_mov_b32_e32 v82, v106
	;; [unrolled: 1-line block ×4, first 2 shown]
	s_waitcnt vmcnt(1)
	global_store_dword v[90:91], v93, off
.LBB108_812:
	s_or_b64 exec, exec, s[20:21]
	v_mov_b32_e32 v93, v89
	v_mov_b32_e32 v73, v89
	buffer_store_dword v73, off, s[24:27], 0 offset:368 ; 4-byte Folded Spill
.LBB108_813:
	s_or_b64 exec, exec, s[18:19]
.LBB108_814:
	s_andn2_saveexec_b64 s[0:1], s[0:1]
	s_cbranch_execz .LBB108_816
; %bb.815:
	v_mov_b32_e32 v93, 38
	ds_write2_b64 v0, v[57:58], v[59:60] offset0:78 offset1:79
	ds_write2_b64 v0, v[53:54], v[55:56] offset0:80 offset1:81
	;; [unrolled: 1-line block ×16, first 2 shown]
.LBB108_816:
	s_or_b64 exec, exec, s[0:1]
	v_cmp_lt_i32_e32 vcc, 38, v93
	s_waitcnt vmcnt(0) lgkmcnt(0)
	s_barrier
	s_and_saveexec_b64 s[0:1], vcc
	s_cbranch_execz .LBB108_818
; %bb.817:
	v_mul_f64 v[89:90], v[117:118], v[63:64]
	v_mul_f64 v[63:64], v[119:120], v[63:64]
	ds_read2_b64 v[95:98], v0 offset0:78 offset1:79
	v_fma_f64 v[89:90], v[119:120], v[61:62], v[89:90]
	v_fma_f64 v[61:62], v[117:118], v[61:62], -v[63:64]
	s_waitcnt lgkmcnt(0)
	v_mul_f64 v[63:64], v[97:98], v[89:90]
	v_mul_f64 v[91:92], v[95:96], v[89:90]
	v_fma_f64 v[63:64], v[95:96], v[61:62], -v[63:64]
	v_fma_f64 v[91:92], v[97:98], v[61:62], v[91:92]
	ds_read2_b64 v[95:98], v0 offset0:80 offset1:81
	v_add_f64 v[57:58], v[57:58], -v[63:64]
	v_add_f64 v[59:60], v[59:60], -v[91:92]
	s_waitcnt lgkmcnt(0)
	v_mul_f64 v[63:64], v[97:98], v[89:90]
	v_mul_f64 v[91:92], v[95:96], v[89:90]
	v_fma_f64 v[63:64], v[95:96], v[61:62], -v[63:64]
	v_fma_f64 v[91:92], v[97:98], v[61:62], v[91:92]
	ds_read2_b64 v[95:98], v0 offset0:82 offset1:83
	v_add_f64 v[53:54], v[53:54], -v[63:64]
	v_add_f64 v[55:56], v[55:56], -v[91:92]
	;; [unrolled: 8-line block ×15, first 2 shown]
	s_waitcnt lgkmcnt(0)
	v_mul_f64 v[63:64], v[97:98], v[89:90]
	v_mul_f64 v[91:92], v[95:96], v[89:90]
	v_fma_f64 v[63:64], v[95:96], v[61:62], -v[63:64]
	v_fma_f64 v[91:92], v[97:98], v[61:62], v[91:92]
	v_add_f64 v[121:122], v[121:122], -v[63:64]
	v_add_f64 v[123:124], v[123:124], -v[91:92]
	v_mov_b32_e32 v63, v89
	v_mov_b32_e32 v64, v90
.LBB108_818:
	s_or_b64 exec, exec, s[0:1]
	v_lshl_add_u32 v89, v93, 4, v0
	s_barrier
	ds_write2_b64 v89, v[57:58], v[59:60] offset1:1
	s_waitcnt lgkmcnt(0)
	s_barrier
	ds_read2_b64 v[117:120], v0 offset0:78 offset1:79
	s_cmp_lt_i32 s3, 41
	v_mov_b32_e32 v89, 39
	s_cbranch_scc1 .LBB108_821
; %bb.819:
	v_add_u32_e32 v90, 0x280, v0
	s_mov_b32 s0, 40
	v_mov_b32_e32 v89, 39
.LBB108_820:                            ; =>This Inner Loop Header: Depth=1
	s_waitcnt lgkmcnt(0)
	v_cmp_gt_f64_e32 vcc, 0, v[117:118]
	v_xor_b32_e32 v91, 0x80000000, v118
	ds_read2_b64 v[95:98], v90 offset1:1
	v_xor_b32_e32 v99, 0x80000000, v120
	v_add_u32_e32 v90, 16, v90
	s_waitcnt lgkmcnt(0)
	v_xor_b32_e32 v101, 0x80000000, v98
	v_cndmask_b32_e32 v92, v118, v91, vcc
	v_cmp_gt_f64_e32 vcc, 0, v[119:120]
	v_mov_b32_e32 v91, v117
	v_cndmask_b32_e32 v100, v120, v99, vcc
	v_cmp_gt_f64_e32 vcc, 0, v[95:96]
	v_mov_b32_e32 v99, v119
	v_add_f64 v[91:92], v[91:92], v[99:100]
	v_xor_b32_e32 v99, 0x80000000, v96
	v_cndmask_b32_e32 v100, v96, v99, vcc
	v_cmp_gt_f64_e32 vcc, 0, v[97:98]
	v_mov_b32_e32 v99, v95
	v_cndmask_b32_e32 v102, v98, v101, vcc
	v_mov_b32_e32 v101, v97
	v_add_f64 v[99:100], v[99:100], v[101:102]
	v_cmp_lt_f64_e32 vcc, v[91:92], v[99:100]
	v_mov_b32_e32 v91, s0
	s_add_i32 s0, s0, 1
	s_cmp_lg_u32 s3, s0
	v_cndmask_b32_e32 v118, v118, v96, vcc
	v_cndmask_b32_e32 v117, v117, v95, vcc
	;; [unrolled: 1-line block ×5, first 2 shown]
	s_cbranch_scc1 .LBB108_820
.LBB108_821:
	s_waitcnt lgkmcnt(0)
	v_cmp_eq_f64_e32 vcc, 0, v[117:118]
	v_cmp_eq_f64_e64 s[0:1], 0, v[119:120]
	s_and_b64 s[0:1], vcc, s[0:1]
	s_and_saveexec_b64 s[18:19], s[0:1]
	s_xor_b64 s[0:1], exec, s[18:19]
; %bb.822:
	v_cmp_ne_u32_e32 vcc, 0, v94
	v_cndmask_b32_e32 v94, 40, v94, vcc
; %bb.823:
	s_andn2_saveexec_b64 s[0:1], s[0:1]
	s_cbranch_execz .LBB108_829
; %bb.824:
	v_cmp_ngt_f64_e64 s[18:19], |v[117:118]|, |v[119:120]|
	s_and_saveexec_b64 s[20:21], s[18:19]
	s_xor_b64 s[18:19], exec, s[20:21]
	s_cbranch_execz .LBB108_826
; %bb.825:
	v_div_scale_f64 v[90:91], s[20:21], v[119:120], v[119:120], v[117:118]
	v_rcp_f64_e32 v[95:96], v[90:91]
	v_fma_f64 v[97:98], -v[90:91], v[95:96], 1.0
	v_fma_f64 v[95:96], v[95:96], v[97:98], v[95:96]
	v_div_scale_f64 v[97:98], vcc, v[117:118], v[119:120], v[117:118]
	v_fma_f64 v[99:100], -v[90:91], v[95:96], 1.0
	v_fma_f64 v[95:96], v[95:96], v[99:100], v[95:96]
	v_mul_f64 v[99:100], v[97:98], v[95:96]
	v_fma_f64 v[90:91], -v[90:91], v[99:100], v[97:98]
	v_div_fmas_f64 v[90:91], v[90:91], v[95:96], v[99:100]
	v_div_fixup_f64 v[90:91], v[90:91], v[119:120], v[117:118]
	v_fma_f64 v[95:96], v[117:118], v[90:91], v[119:120]
	v_div_scale_f64 v[97:98], s[20:21], v[95:96], v[95:96], 1.0
	v_div_scale_f64 v[103:104], vcc, 1.0, v[95:96], 1.0
	v_rcp_f64_e32 v[99:100], v[97:98]
	v_fma_f64 v[101:102], -v[97:98], v[99:100], 1.0
	v_fma_f64 v[99:100], v[99:100], v[101:102], v[99:100]
	v_fma_f64 v[101:102], -v[97:98], v[99:100], 1.0
	v_fma_f64 v[99:100], v[99:100], v[101:102], v[99:100]
	v_mul_f64 v[101:102], v[103:104], v[99:100]
	v_fma_f64 v[97:98], -v[97:98], v[101:102], v[103:104]
	v_div_fmas_f64 v[97:98], v[97:98], v[99:100], v[101:102]
	v_div_fixup_f64 v[119:120], v[97:98], v[95:96], 1.0
	v_mul_f64 v[117:118], v[90:91], v[119:120]
	v_xor_b32_e32 v120, 0x80000000, v120
.LBB108_826:
	s_andn2_saveexec_b64 s[18:19], s[18:19]
	s_cbranch_execz .LBB108_828
; %bb.827:
	v_div_scale_f64 v[90:91], s[20:21], v[117:118], v[117:118], v[119:120]
	v_rcp_f64_e32 v[95:96], v[90:91]
	v_fma_f64 v[97:98], -v[90:91], v[95:96], 1.0
	v_fma_f64 v[95:96], v[95:96], v[97:98], v[95:96]
	v_div_scale_f64 v[97:98], vcc, v[119:120], v[117:118], v[119:120]
	v_fma_f64 v[99:100], -v[90:91], v[95:96], 1.0
	v_fma_f64 v[95:96], v[95:96], v[99:100], v[95:96]
	v_mul_f64 v[99:100], v[97:98], v[95:96]
	v_fma_f64 v[90:91], -v[90:91], v[99:100], v[97:98]
	v_div_fmas_f64 v[90:91], v[90:91], v[95:96], v[99:100]
	v_div_fixup_f64 v[90:91], v[90:91], v[117:118], v[119:120]
	v_fma_f64 v[95:96], v[119:120], v[90:91], v[117:118]
	v_div_scale_f64 v[97:98], s[20:21], v[95:96], v[95:96], 1.0
	v_div_scale_f64 v[103:104], vcc, 1.0, v[95:96], 1.0
	v_rcp_f64_e32 v[99:100], v[97:98]
	v_fma_f64 v[101:102], -v[97:98], v[99:100], 1.0
	v_fma_f64 v[99:100], v[99:100], v[101:102], v[99:100]
	v_fma_f64 v[101:102], -v[97:98], v[99:100], 1.0
	v_fma_f64 v[99:100], v[99:100], v[101:102], v[99:100]
	v_mul_f64 v[101:102], v[103:104], v[99:100]
	v_fma_f64 v[97:98], -v[97:98], v[101:102], v[103:104]
	v_div_fmas_f64 v[97:98], v[97:98], v[99:100], v[101:102]
	v_div_fixup_f64 v[117:118], v[97:98], v[95:96], 1.0
	v_mul_f64 v[119:120], v[90:91], -v[117:118]
.LBB108_828:
	s_or_b64 exec, exec, s[18:19]
.LBB108_829:
	s_or_b64 exec, exec, s[0:1]
	v_cmp_ne_u32_e32 vcc, v93, v89
	s_and_saveexec_b64 s[0:1], vcc
	s_xor_b64 s[0:1], exec, s[0:1]
	s_cbranch_execz .LBB108_835
; %bb.830:
	v_cmp_eq_u32_e32 vcc, 39, v93
	s_and_saveexec_b64 s[18:19], vcc
	s_cbranch_execz .LBB108_834
; %bb.831:
	v_cmp_ne_u32_e32 vcc, 39, v89
	s_xor_b64 s[20:21], s[6:7], -1
	s_and_b64 s[22:23], s[20:21], vcc
	s_and_saveexec_b64 s[20:21], s[22:23]
	s_cbranch_execz .LBB108_833
; %bb.832:
	buffer_load_dword v81, off, s[24:27], 0 offset:452 ; 4-byte Folded Reload
	buffer_load_dword v82, off, s[24:27], 0 offset:456 ; 4-byte Folded Reload
	v_ashrrev_i32_e32 v90, 31, v89
	v_lshlrev_b64 v[90:91], 2, v[89:90]
	s_waitcnt vmcnt(1)
	v_add_co_u32_e32 v90, vcc, v81, v90
	s_waitcnt vmcnt(0)
	v_addc_co_u32_e32 v91, vcc, v82, v91, vcc
	global_load_dword v92, v[90:91], off
	global_load_dword v93, v[81:82], off offset:156
	s_waitcnt vmcnt(1)
	global_store_dword v[81:82], v92, off offset:156
	v_mov_b32_e32 v81, v105
	v_mov_b32_e32 v82, v106
	;; [unrolled: 1-line block ×4, first 2 shown]
	s_waitcnt vmcnt(1)
	global_store_dword v[90:91], v93, off
.LBB108_833:
	s_or_b64 exec, exec, s[20:21]
	v_mov_b32_e32 v93, v89
	v_mov_b32_e32 v73, v89
	buffer_store_dword v73, off, s[24:27], 0 offset:368 ; 4-byte Folded Spill
.LBB108_834:
	s_or_b64 exec, exec, s[18:19]
.LBB108_835:
	s_andn2_saveexec_b64 s[0:1], s[0:1]
	s_cbranch_execz .LBB108_837
; %bb.836:
	v_mov_b32_e32 v93, 39
	ds_write2_b64 v0, v[53:54], v[55:56] offset0:80 offset1:81
	ds_write2_b64 v0, v[49:50], v[51:52] offset0:82 offset1:83
	;; [unrolled: 1-line block ×15, first 2 shown]
.LBB108_837:
	s_or_b64 exec, exec, s[0:1]
	v_cmp_lt_i32_e32 vcc, 39, v93
	s_waitcnt vmcnt(0) lgkmcnt(0)
	s_barrier
	s_and_saveexec_b64 s[0:1], vcc
	s_cbranch_execz .LBB108_839
; %bb.838:
	v_mul_f64 v[89:90], v[117:118], v[59:60]
	v_mul_f64 v[59:60], v[119:120], v[59:60]
	ds_read2_b64 v[95:98], v0 offset0:80 offset1:81
	v_fma_f64 v[89:90], v[119:120], v[57:58], v[89:90]
	v_fma_f64 v[57:58], v[117:118], v[57:58], -v[59:60]
	s_waitcnt lgkmcnt(0)
	v_mul_f64 v[59:60], v[97:98], v[89:90]
	v_mul_f64 v[91:92], v[95:96], v[89:90]
	v_fma_f64 v[59:60], v[95:96], v[57:58], -v[59:60]
	v_fma_f64 v[91:92], v[97:98], v[57:58], v[91:92]
	ds_read2_b64 v[95:98], v0 offset0:82 offset1:83
	v_add_f64 v[53:54], v[53:54], -v[59:60]
	v_add_f64 v[55:56], v[55:56], -v[91:92]
	s_waitcnt lgkmcnt(0)
	v_mul_f64 v[59:60], v[97:98], v[89:90]
	v_mul_f64 v[91:92], v[95:96], v[89:90]
	v_fma_f64 v[59:60], v[95:96], v[57:58], -v[59:60]
	v_fma_f64 v[91:92], v[97:98], v[57:58], v[91:92]
	ds_read2_b64 v[95:98], v0 offset0:84 offset1:85
	v_add_f64 v[49:50], v[49:50], -v[59:60]
	v_add_f64 v[51:52], v[51:52], -v[91:92]
	;; [unrolled: 8-line block ×14, first 2 shown]
	s_waitcnt lgkmcnt(0)
	v_mul_f64 v[59:60], v[97:98], v[89:90]
	v_mul_f64 v[91:92], v[95:96], v[89:90]
	v_fma_f64 v[59:60], v[95:96], v[57:58], -v[59:60]
	v_fma_f64 v[91:92], v[97:98], v[57:58], v[91:92]
	v_add_f64 v[121:122], v[121:122], -v[59:60]
	v_add_f64 v[123:124], v[123:124], -v[91:92]
	v_mov_b32_e32 v59, v89
	v_mov_b32_e32 v60, v90
.LBB108_839:
	s_or_b64 exec, exec, s[0:1]
	v_lshl_add_u32 v89, v93, 4, v0
	s_barrier
	ds_write2_b64 v89, v[53:54], v[55:56] offset1:1
	s_waitcnt lgkmcnt(0)
	s_barrier
	ds_read2_b64 v[117:120], v0 offset0:80 offset1:81
	s_cmp_lt_i32 s3, 42
	v_mov_b32_e32 v89, 40
	s_cbranch_scc1 .LBB108_842
; %bb.840:
	v_add_u32_e32 v90, 0x290, v0
	s_mov_b32 s0, 41
	v_mov_b32_e32 v89, 40
.LBB108_841:                            ; =>This Inner Loop Header: Depth=1
	s_waitcnt lgkmcnt(0)
	v_cmp_gt_f64_e32 vcc, 0, v[117:118]
	v_xor_b32_e32 v91, 0x80000000, v118
	ds_read2_b64 v[95:98], v90 offset1:1
	v_xor_b32_e32 v99, 0x80000000, v120
	v_add_u32_e32 v90, 16, v90
	s_waitcnt lgkmcnt(0)
	v_xor_b32_e32 v101, 0x80000000, v98
	v_cndmask_b32_e32 v92, v118, v91, vcc
	v_cmp_gt_f64_e32 vcc, 0, v[119:120]
	v_mov_b32_e32 v91, v117
	v_cndmask_b32_e32 v100, v120, v99, vcc
	v_cmp_gt_f64_e32 vcc, 0, v[95:96]
	v_mov_b32_e32 v99, v119
	v_add_f64 v[91:92], v[91:92], v[99:100]
	v_xor_b32_e32 v99, 0x80000000, v96
	v_cndmask_b32_e32 v100, v96, v99, vcc
	v_cmp_gt_f64_e32 vcc, 0, v[97:98]
	v_mov_b32_e32 v99, v95
	v_cndmask_b32_e32 v102, v98, v101, vcc
	v_mov_b32_e32 v101, v97
	v_add_f64 v[99:100], v[99:100], v[101:102]
	v_cmp_lt_f64_e32 vcc, v[91:92], v[99:100]
	v_mov_b32_e32 v91, s0
	s_add_i32 s0, s0, 1
	s_cmp_lg_u32 s3, s0
	v_cndmask_b32_e32 v118, v118, v96, vcc
	v_cndmask_b32_e32 v117, v117, v95, vcc
	;; [unrolled: 1-line block ×5, first 2 shown]
	s_cbranch_scc1 .LBB108_841
.LBB108_842:
	s_waitcnt lgkmcnt(0)
	v_cmp_eq_f64_e32 vcc, 0, v[117:118]
	v_cmp_eq_f64_e64 s[0:1], 0, v[119:120]
	s_and_b64 s[0:1], vcc, s[0:1]
	s_and_saveexec_b64 s[18:19], s[0:1]
	s_xor_b64 s[0:1], exec, s[18:19]
; %bb.843:
	v_cmp_ne_u32_e32 vcc, 0, v94
	v_cndmask_b32_e32 v94, 41, v94, vcc
; %bb.844:
	s_andn2_saveexec_b64 s[0:1], s[0:1]
	s_cbranch_execz .LBB108_850
; %bb.845:
	v_cmp_ngt_f64_e64 s[18:19], |v[117:118]|, |v[119:120]|
	s_and_saveexec_b64 s[20:21], s[18:19]
	s_xor_b64 s[18:19], exec, s[20:21]
	s_cbranch_execz .LBB108_847
; %bb.846:
	v_div_scale_f64 v[90:91], s[20:21], v[119:120], v[119:120], v[117:118]
	v_rcp_f64_e32 v[95:96], v[90:91]
	v_fma_f64 v[97:98], -v[90:91], v[95:96], 1.0
	v_fma_f64 v[95:96], v[95:96], v[97:98], v[95:96]
	v_div_scale_f64 v[97:98], vcc, v[117:118], v[119:120], v[117:118]
	v_fma_f64 v[99:100], -v[90:91], v[95:96], 1.0
	v_fma_f64 v[95:96], v[95:96], v[99:100], v[95:96]
	v_mul_f64 v[99:100], v[97:98], v[95:96]
	v_fma_f64 v[90:91], -v[90:91], v[99:100], v[97:98]
	v_div_fmas_f64 v[90:91], v[90:91], v[95:96], v[99:100]
	v_div_fixup_f64 v[90:91], v[90:91], v[119:120], v[117:118]
	v_fma_f64 v[95:96], v[117:118], v[90:91], v[119:120]
	v_div_scale_f64 v[97:98], s[20:21], v[95:96], v[95:96], 1.0
	v_div_scale_f64 v[103:104], vcc, 1.0, v[95:96], 1.0
	v_rcp_f64_e32 v[99:100], v[97:98]
	v_fma_f64 v[101:102], -v[97:98], v[99:100], 1.0
	v_fma_f64 v[99:100], v[99:100], v[101:102], v[99:100]
	v_fma_f64 v[101:102], -v[97:98], v[99:100], 1.0
	v_fma_f64 v[99:100], v[99:100], v[101:102], v[99:100]
	v_mul_f64 v[101:102], v[103:104], v[99:100]
	v_fma_f64 v[97:98], -v[97:98], v[101:102], v[103:104]
	v_div_fmas_f64 v[97:98], v[97:98], v[99:100], v[101:102]
	v_div_fixup_f64 v[119:120], v[97:98], v[95:96], 1.0
	v_mul_f64 v[117:118], v[90:91], v[119:120]
	v_xor_b32_e32 v120, 0x80000000, v120
.LBB108_847:
	s_andn2_saveexec_b64 s[18:19], s[18:19]
	s_cbranch_execz .LBB108_849
; %bb.848:
	v_div_scale_f64 v[90:91], s[20:21], v[117:118], v[117:118], v[119:120]
	v_rcp_f64_e32 v[95:96], v[90:91]
	v_fma_f64 v[97:98], -v[90:91], v[95:96], 1.0
	v_fma_f64 v[95:96], v[95:96], v[97:98], v[95:96]
	v_div_scale_f64 v[97:98], vcc, v[119:120], v[117:118], v[119:120]
	v_fma_f64 v[99:100], -v[90:91], v[95:96], 1.0
	v_fma_f64 v[95:96], v[95:96], v[99:100], v[95:96]
	v_mul_f64 v[99:100], v[97:98], v[95:96]
	v_fma_f64 v[90:91], -v[90:91], v[99:100], v[97:98]
	v_div_fmas_f64 v[90:91], v[90:91], v[95:96], v[99:100]
	v_div_fixup_f64 v[90:91], v[90:91], v[117:118], v[119:120]
	v_fma_f64 v[95:96], v[119:120], v[90:91], v[117:118]
	v_div_scale_f64 v[97:98], s[20:21], v[95:96], v[95:96], 1.0
	v_div_scale_f64 v[103:104], vcc, 1.0, v[95:96], 1.0
	v_rcp_f64_e32 v[99:100], v[97:98]
	v_fma_f64 v[101:102], -v[97:98], v[99:100], 1.0
	v_fma_f64 v[99:100], v[99:100], v[101:102], v[99:100]
	v_fma_f64 v[101:102], -v[97:98], v[99:100], 1.0
	v_fma_f64 v[99:100], v[99:100], v[101:102], v[99:100]
	v_mul_f64 v[101:102], v[103:104], v[99:100]
	v_fma_f64 v[97:98], -v[97:98], v[101:102], v[103:104]
	v_div_fmas_f64 v[97:98], v[97:98], v[99:100], v[101:102]
	v_div_fixup_f64 v[117:118], v[97:98], v[95:96], 1.0
	v_mul_f64 v[119:120], v[90:91], -v[117:118]
.LBB108_849:
	s_or_b64 exec, exec, s[18:19]
.LBB108_850:
	s_or_b64 exec, exec, s[0:1]
	v_cmp_ne_u32_e32 vcc, v93, v89
	s_and_saveexec_b64 s[0:1], vcc
	s_xor_b64 s[0:1], exec, s[0:1]
	s_cbranch_execz .LBB108_856
; %bb.851:
	v_cmp_eq_u32_e32 vcc, 40, v93
	s_and_saveexec_b64 s[18:19], vcc
	s_cbranch_execz .LBB108_855
; %bb.852:
	v_cmp_ne_u32_e32 vcc, 40, v89
	s_xor_b64 s[20:21], s[6:7], -1
	s_and_b64 s[22:23], s[20:21], vcc
	s_and_saveexec_b64 s[20:21], s[22:23]
	s_cbranch_execz .LBB108_854
; %bb.853:
	buffer_load_dword v81, off, s[24:27], 0 offset:452 ; 4-byte Folded Reload
	buffer_load_dword v82, off, s[24:27], 0 offset:456 ; 4-byte Folded Reload
	v_ashrrev_i32_e32 v90, 31, v89
	v_lshlrev_b64 v[90:91], 2, v[89:90]
	s_waitcnt vmcnt(1)
	v_add_co_u32_e32 v90, vcc, v81, v90
	s_waitcnt vmcnt(0)
	v_addc_co_u32_e32 v91, vcc, v82, v91, vcc
	global_load_dword v92, v[90:91], off
	global_load_dword v93, v[81:82], off offset:160
	s_waitcnt vmcnt(1)
	global_store_dword v[81:82], v92, off offset:160
	v_mov_b32_e32 v81, v105
	v_mov_b32_e32 v82, v106
	;; [unrolled: 1-line block ×4, first 2 shown]
	s_waitcnt vmcnt(1)
	global_store_dword v[90:91], v93, off
.LBB108_854:
	s_or_b64 exec, exec, s[20:21]
	v_mov_b32_e32 v93, v89
	v_mov_b32_e32 v73, v89
	buffer_store_dword v73, off, s[24:27], 0 offset:368 ; 4-byte Folded Spill
.LBB108_855:
	s_or_b64 exec, exec, s[18:19]
.LBB108_856:
	s_andn2_saveexec_b64 s[0:1], s[0:1]
	s_cbranch_execz .LBB108_858
; %bb.857:
	v_mov_b32_e32 v93, 40
	ds_write2_b64 v0, v[49:50], v[51:52] offset0:82 offset1:83
	ds_write2_b64 v0, v[45:46], v[47:48] offset0:84 offset1:85
	;; [unrolled: 1-line block ×14, first 2 shown]
.LBB108_858:
	s_or_b64 exec, exec, s[0:1]
	v_cmp_lt_i32_e32 vcc, 40, v93
	s_waitcnt vmcnt(0) lgkmcnt(0)
	s_barrier
	s_and_saveexec_b64 s[0:1], vcc
	s_cbranch_execz .LBB108_860
; %bb.859:
	v_mul_f64 v[89:90], v[117:118], v[55:56]
	v_mul_f64 v[55:56], v[119:120], v[55:56]
	ds_read2_b64 v[95:98], v0 offset0:82 offset1:83
	v_fma_f64 v[89:90], v[119:120], v[53:54], v[89:90]
	v_fma_f64 v[53:54], v[117:118], v[53:54], -v[55:56]
	s_waitcnt lgkmcnt(0)
	v_mul_f64 v[55:56], v[97:98], v[89:90]
	v_mul_f64 v[91:92], v[95:96], v[89:90]
	v_fma_f64 v[55:56], v[95:96], v[53:54], -v[55:56]
	v_fma_f64 v[91:92], v[97:98], v[53:54], v[91:92]
	ds_read2_b64 v[95:98], v0 offset0:84 offset1:85
	v_add_f64 v[49:50], v[49:50], -v[55:56]
	v_add_f64 v[51:52], v[51:52], -v[91:92]
	s_waitcnt lgkmcnt(0)
	v_mul_f64 v[55:56], v[97:98], v[89:90]
	v_mul_f64 v[91:92], v[95:96], v[89:90]
	v_fma_f64 v[55:56], v[95:96], v[53:54], -v[55:56]
	v_fma_f64 v[91:92], v[97:98], v[53:54], v[91:92]
	ds_read2_b64 v[95:98], v0 offset0:86 offset1:87
	v_add_f64 v[45:46], v[45:46], -v[55:56]
	v_add_f64 v[47:48], v[47:48], -v[91:92]
	;; [unrolled: 8-line block ×13, first 2 shown]
	s_waitcnt lgkmcnt(0)
	v_mul_f64 v[55:56], v[97:98], v[89:90]
	v_mul_f64 v[91:92], v[95:96], v[89:90]
	v_fma_f64 v[55:56], v[95:96], v[53:54], -v[55:56]
	v_fma_f64 v[91:92], v[97:98], v[53:54], v[91:92]
	v_add_f64 v[121:122], v[121:122], -v[55:56]
	v_add_f64 v[123:124], v[123:124], -v[91:92]
	v_mov_b32_e32 v55, v89
	v_mov_b32_e32 v56, v90
.LBB108_860:
	s_or_b64 exec, exec, s[0:1]
	v_lshl_add_u32 v89, v93, 4, v0
	s_barrier
	ds_write2_b64 v89, v[49:50], v[51:52] offset1:1
	s_waitcnt lgkmcnt(0)
	s_barrier
	ds_read2_b64 v[117:120], v0 offset0:82 offset1:83
	s_cmp_lt_i32 s3, 43
	v_mov_b32_e32 v89, 41
	s_cbranch_scc1 .LBB108_863
; %bb.861:
	v_add_u32_e32 v90, 0x2a0, v0
	s_mov_b32 s0, 42
	v_mov_b32_e32 v89, 41
.LBB108_862:                            ; =>This Inner Loop Header: Depth=1
	s_waitcnt lgkmcnt(0)
	v_cmp_gt_f64_e32 vcc, 0, v[117:118]
	v_xor_b32_e32 v91, 0x80000000, v118
	ds_read2_b64 v[95:98], v90 offset1:1
	v_xor_b32_e32 v99, 0x80000000, v120
	v_add_u32_e32 v90, 16, v90
	s_waitcnt lgkmcnt(0)
	v_xor_b32_e32 v101, 0x80000000, v98
	v_cndmask_b32_e32 v92, v118, v91, vcc
	v_cmp_gt_f64_e32 vcc, 0, v[119:120]
	v_mov_b32_e32 v91, v117
	v_cndmask_b32_e32 v100, v120, v99, vcc
	v_cmp_gt_f64_e32 vcc, 0, v[95:96]
	v_mov_b32_e32 v99, v119
	v_add_f64 v[91:92], v[91:92], v[99:100]
	v_xor_b32_e32 v99, 0x80000000, v96
	v_cndmask_b32_e32 v100, v96, v99, vcc
	v_cmp_gt_f64_e32 vcc, 0, v[97:98]
	v_mov_b32_e32 v99, v95
	v_cndmask_b32_e32 v102, v98, v101, vcc
	v_mov_b32_e32 v101, v97
	v_add_f64 v[99:100], v[99:100], v[101:102]
	v_cmp_lt_f64_e32 vcc, v[91:92], v[99:100]
	v_mov_b32_e32 v91, s0
	s_add_i32 s0, s0, 1
	s_cmp_lg_u32 s3, s0
	v_cndmask_b32_e32 v118, v118, v96, vcc
	v_cndmask_b32_e32 v117, v117, v95, vcc
	;; [unrolled: 1-line block ×5, first 2 shown]
	s_cbranch_scc1 .LBB108_862
.LBB108_863:
	s_waitcnt lgkmcnt(0)
	v_cmp_eq_f64_e32 vcc, 0, v[117:118]
	v_cmp_eq_f64_e64 s[0:1], 0, v[119:120]
	s_and_b64 s[0:1], vcc, s[0:1]
	s_and_saveexec_b64 s[18:19], s[0:1]
	s_xor_b64 s[0:1], exec, s[18:19]
; %bb.864:
	v_cmp_ne_u32_e32 vcc, 0, v94
	v_cndmask_b32_e32 v94, 42, v94, vcc
; %bb.865:
	s_andn2_saveexec_b64 s[0:1], s[0:1]
	s_cbranch_execz .LBB108_871
; %bb.866:
	v_cmp_ngt_f64_e64 s[18:19], |v[117:118]|, |v[119:120]|
	s_and_saveexec_b64 s[20:21], s[18:19]
	s_xor_b64 s[18:19], exec, s[20:21]
	s_cbranch_execz .LBB108_868
; %bb.867:
	v_div_scale_f64 v[90:91], s[20:21], v[119:120], v[119:120], v[117:118]
	v_rcp_f64_e32 v[95:96], v[90:91]
	v_fma_f64 v[97:98], -v[90:91], v[95:96], 1.0
	v_fma_f64 v[95:96], v[95:96], v[97:98], v[95:96]
	v_div_scale_f64 v[97:98], vcc, v[117:118], v[119:120], v[117:118]
	v_fma_f64 v[99:100], -v[90:91], v[95:96], 1.0
	v_fma_f64 v[95:96], v[95:96], v[99:100], v[95:96]
	v_mul_f64 v[99:100], v[97:98], v[95:96]
	v_fma_f64 v[90:91], -v[90:91], v[99:100], v[97:98]
	v_div_fmas_f64 v[90:91], v[90:91], v[95:96], v[99:100]
	v_div_fixup_f64 v[90:91], v[90:91], v[119:120], v[117:118]
	v_fma_f64 v[95:96], v[117:118], v[90:91], v[119:120]
	v_div_scale_f64 v[97:98], s[20:21], v[95:96], v[95:96], 1.0
	v_div_scale_f64 v[103:104], vcc, 1.0, v[95:96], 1.0
	v_rcp_f64_e32 v[99:100], v[97:98]
	v_fma_f64 v[101:102], -v[97:98], v[99:100], 1.0
	v_fma_f64 v[99:100], v[99:100], v[101:102], v[99:100]
	v_fma_f64 v[101:102], -v[97:98], v[99:100], 1.0
	v_fma_f64 v[99:100], v[99:100], v[101:102], v[99:100]
	v_mul_f64 v[101:102], v[103:104], v[99:100]
	v_fma_f64 v[97:98], -v[97:98], v[101:102], v[103:104]
	v_div_fmas_f64 v[97:98], v[97:98], v[99:100], v[101:102]
	v_div_fixup_f64 v[119:120], v[97:98], v[95:96], 1.0
	v_mul_f64 v[117:118], v[90:91], v[119:120]
	v_xor_b32_e32 v120, 0x80000000, v120
.LBB108_868:
	s_andn2_saveexec_b64 s[18:19], s[18:19]
	s_cbranch_execz .LBB108_870
; %bb.869:
	v_div_scale_f64 v[90:91], s[20:21], v[117:118], v[117:118], v[119:120]
	v_rcp_f64_e32 v[95:96], v[90:91]
	v_fma_f64 v[97:98], -v[90:91], v[95:96], 1.0
	v_fma_f64 v[95:96], v[95:96], v[97:98], v[95:96]
	v_div_scale_f64 v[97:98], vcc, v[119:120], v[117:118], v[119:120]
	v_fma_f64 v[99:100], -v[90:91], v[95:96], 1.0
	v_fma_f64 v[95:96], v[95:96], v[99:100], v[95:96]
	v_mul_f64 v[99:100], v[97:98], v[95:96]
	v_fma_f64 v[90:91], -v[90:91], v[99:100], v[97:98]
	v_div_fmas_f64 v[90:91], v[90:91], v[95:96], v[99:100]
	v_div_fixup_f64 v[90:91], v[90:91], v[117:118], v[119:120]
	v_fma_f64 v[95:96], v[119:120], v[90:91], v[117:118]
	v_div_scale_f64 v[97:98], s[20:21], v[95:96], v[95:96], 1.0
	v_div_scale_f64 v[103:104], vcc, 1.0, v[95:96], 1.0
	v_rcp_f64_e32 v[99:100], v[97:98]
	v_fma_f64 v[101:102], -v[97:98], v[99:100], 1.0
	v_fma_f64 v[99:100], v[99:100], v[101:102], v[99:100]
	v_fma_f64 v[101:102], -v[97:98], v[99:100], 1.0
	v_fma_f64 v[99:100], v[99:100], v[101:102], v[99:100]
	v_mul_f64 v[101:102], v[103:104], v[99:100]
	v_fma_f64 v[97:98], -v[97:98], v[101:102], v[103:104]
	v_div_fmas_f64 v[97:98], v[97:98], v[99:100], v[101:102]
	v_div_fixup_f64 v[117:118], v[97:98], v[95:96], 1.0
	v_mul_f64 v[119:120], v[90:91], -v[117:118]
.LBB108_870:
	s_or_b64 exec, exec, s[18:19]
.LBB108_871:
	s_or_b64 exec, exec, s[0:1]
	v_cmp_ne_u32_e32 vcc, v93, v89
	s_and_saveexec_b64 s[0:1], vcc
	s_xor_b64 s[0:1], exec, s[0:1]
	s_cbranch_execz .LBB108_877
; %bb.872:
	v_cmp_eq_u32_e32 vcc, 41, v93
	s_and_saveexec_b64 s[18:19], vcc
	s_cbranch_execz .LBB108_876
; %bb.873:
	v_cmp_ne_u32_e32 vcc, 41, v89
	s_xor_b64 s[20:21], s[6:7], -1
	s_and_b64 s[22:23], s[20:21], vcc
	s_and_saveexec_b64 s[20:21], s[22:23]
	s_cbranch_execz .LBB108_875
; %bb.874:
	buffer_load_dword v81, off, s[24:27], 0 offset:452 ; 4-byte Folded Reload
	buffer_load_dword v82, off, s[24:27], 0 offset:456 ; 4-byte Folded Reload
	v_ashrrev_i32_e32 v90, 31, v89
	v_lshlrev_b64 v[90:91], 2, v[89:90]
	s_waitcnt vmcnt(1)
	v_add_co_u32_e32 v90, vcc, v81, v90
	s_waitcnt vmcnt(0)
	v_addc_co_u32_e32 v91, vcc, v82, v91, vcc
	global_load_dword v92, v[90:91], off
	global_load_dword v93, v[81:82], off offset:164
	s_waitcnt vmcnt(1)
	global_store_dword v[81:82], v92, off offset:164
	v_mov_b32_e32 v81, v105
	v_mov_b32_e32 v82, v106
	;; [unrolled: 1-line block ×4, first 2 shown]
	s_waitcnt vmcnt(1)
	global_store_dword v[90:91], v93, off
.LBB108_875:
	s_or_b64 exec, exec, s[20:21]
	v_mov_b32_e32 v93, v89
	v_mov_b32_e32 v73, v89
	buffer_store_dword v73, off, s[24:27], 0 offset:368 ; 4-byte Folded Spill
.LBB108_876:
	s_or_b64 exec, exec, s[18:19]
.LBB108_877:
	s_andn2_saveexec_b64 s[0:1], s[0:1]
	s_cbranch_execz .LBB108_879
; %bb.878:
	v_mov_b32_e32 v93, 41
	ds_write2_b64 v0, v[45:46], v[47:48] offset0:84 offset1:85
	ds_write2_b64 v0, v[41:42], v[43:44] offset0:86 offset1:87
	;; [unrolled: 1-line block ×13, first 2 shown]
.LBB108_879:
	s_or_b64 exec, exec, s[0:1]
	v_cmp_lt_i32_e32 vcc, 41, v93
	s_waitcnt vmcnt(0) lgkmcnt(0)
	s_barrier
	s_and_saveexec_b64 s[0:1], vcc
	s_cbranch_execz .LBB108_881
; %bb.880:
	v_mul_f64 v[89:90], v[117:118], v[51:52]
	v_mul_f64 v[51:52], v[119:120], v[51:52]
	ds_read2_b64 v[95:98], v0 offset0:84 offset1:85
	v_fma_f64 v[89:90], v[119:120], v[49:50], v[89:90]
	v_fma_f64 v[49:50], v[117:118], v[49:50], -v[51:52]
	s_waitcnt lgkmcnt(0)
	v_mul_f64 v[51:52], v[97:98], v[89:90]
	v_mul_f64 v[91:92], v[95:96], v[89:90]
	v_fma_f64 v[51:52], v[95:96], v[49:50], -v[51:52]
	v_fma_f64 v[91:92], v[97:98], v[49:50], v[91:92]
	ds_read2_b64 v[95:98], v0 offset0:86 offset1:87
	v_add_f64 v[45:46], v[45:46], -v[51:52]
	v_add_f64 v[47:48], v[47:48], -v[91:92]
	s_waitcnt lgkmcnt(0)
	v_mul_f64 v[51:52], v[97:98], v[89:90]
	v_mul_f64 v[91:92], v[95:96], v[89:90]
	v_fma_f64 v[51:52], v[95:96], v[49:50], -v[51:52]
	v_fma_f64 v[91:92], v[97:98], v[49:50], v[91:92]
	ds_read2_b64 v[95:98], v0 offset0:88 offset1:89
	v_add_f64 v[41:42], v[41:42], -v[51:52]
	v_add_f64 v[43:44], v[43:44], -v[91:92]
	;; [unrolled: 8-line block ×12, first 2 shown]
	s_waitcnt lgkmcnt(0)
	v_mul_f64 v[51:52], v[97:98], v[89:90]
	v_mul_f64 v[91:92], v[95:96], v[89:90]
	v_fma_f64 v[51:52], v[95:96], v[49:50], -v[51:52]
	v_fma_f64 v[91:92], v[97:98], v[49:50], v[91:92]
	v_add_f64 v[121:122], v[121:122], -v[51:52]
	v_add_f64 v[123:124], v[123:124], -v[91:92]
	v_mov_b32_e32 v51, v89
	v_mov_b32_e32 v52, v90
.LBB108_881:
	s_or_b64 exec, exec, s[0:1]
	v_lshl_add_u32 v89, v93, 4, v0
	s_barrier
	ds_write2_b64 v89, v[45:46], v[47:48] offset1:1
	s_waitcnt lgkmcnt(0)
	s_barrier
	ds_read2_b64 v[117:120], v0 offset0:84 offset1:85
	s_cmp_lt_i32 s3, 44
	v_mov_b32_e32 v89, 42
	s_cbranch_scc1 .LBB108_884
; %bb.882:
	v_add_u32_e32 v90, 0x2b0, v0
	s_mov_b32 s0, 43
	v_mov_b32_e32 v89, 42
.LBB108_883:                            ; =>This Inner Loop Header: Depth=1
	s_waitcnt lgkmcnt(0)
	v_cmp_gt_f64_e32 vcc, 0, v[117:118]
	v_xor_b32_e32 v91, 0x80000000, v118
	ds_read2_b64 v[95:98], v90 offset1:1
	v_xor_b32_e32 v99, 0x80000000, v120
	v_add_u32_e32 v90, 16, v90
	s_waitcnt lgkmcnt(0)
	v_xor_b32_e32 v101, 0x80000000, v98
	v_cndmask_b32_e32 v92, v118, v91, vcc
	v_cmp_gt_f64_e32 vcc, 0, v[119:120]
	v_mov_b32_e32 v91, v117
	v_cndmask_b32_e32 v100, v120, v99, vcc
	v_cmp_gt_f64_e32 vcc, 0, v[95:96]
	v_mov_b32_e32 v99, v119
	v_add_f64 v[91:92], v[91:92], v[99:100]
	v_xor_b32_e32 v99, 0x80000000, v96
	v_cndmask_b32_e32 v100, v96, v99, vcc
	v_cmp_gt_f64_e32 vcc, 0, v[97:98]
	v_mov_b32_e32 v99, v95
	v_cndmask_b32_e32 v102, v98, v101, vcc
	v_mov_b32_e32 v101, v97
	v_add_f64 v[99:100], v[99:100], v[101:102]
	v_cmp_lt_f64_e32 vcc, v[91:92], v[99:100]
	v_mov_b32_e32 v91, s0
	s_add_i32 s0, s0, 1
	s_cmp_lg_u32 s3, s0
	v_cndmask_b32_e32 v118, v118, v96, vcc
	v_cndmask_b32_e32 v117, v117, v95, vcc
	;; [unrolled: 1-line block ×5, first 2 shown]
	s_cbranch_scc1 .LBB108_883
.LBB108_884:
	s_waitcnt lgkmcnt(0)
	v_cmp_eq_f64_e32 vcc, 0, v[117:118]
	v_cmp_eq_f64_e64 s[0:1], 0, v[119:120]
	s_and_b64 s[0:1], vcc, s[0:1]
	s_and_saveexec_b64 s[18:19], s[0:1]
	s_xor_b64 s[0:1], exec, s[18:19]
; %bb.885:
	v_cmp_ne_u32_e32 vcc, 0, v94
	v_cndmask_b32_e32 v94, 43, v94, vcc
; %bb.886:
	s_andn2_saveexec_b64 s[0:1], s[0:1]
	s_cbranch_execz .LBB108_892
; %bb.887:
	v_cmp_ngt_f64_e64 s[18:19], |v[117:118]|, |v[119:120]|
	s_and_saveexec_b64 s[20:21], s[18:19]
	s_xor_b64 s[18:19], exec, s[20:21]
	s_cbranch_execz .LBB108_889
; %bb.888:
	v_div_scale_f64 v[90:91], s[20:21], v[119:120], v[119:120], v[117:118]
	v_rcp_f64_e32 v[95:96], v[90:91]
	v_fma_f64 v[97:98], -v[90:91], v[95:96], 1.0
	v_fma_f64 v[95:96], v[95:96], v[97:98], v[95:96]
	v_div_scale_f64 v[97:98], vcc, v[117:118], v[119:120], v[117:118]
	v_fma_f64 v[99:100], -v[90:91], v[95:96], 1.0
	v_fma_f64 v[95:96], v[95:96], v[99:100], v[95:96]
	v_mul_f64 v[99:100], v[97:98], v[95:96]
	v_fma_f64 v[90:91], -v[90:91], v[99:100], v[97:98]
	v_div_fmas_f64 v[90:91], v[90:91], v[95:96], v[99:100]
	v_div_fixup_f64 v[90:91], v[90:91], v[119:120], v[117:118]
	v_fma_f64 v[95:96], v[117:118], v[90:91], v[119:120]
	v_div_scale_f64 v[97:98], s[20:21], v[95:96], v[95:96], 1.0
	v_div_scale_f64 v[103:104], vcc, 1.0, v[95:96], 1.0
	v_rcp_f64_e32 v[99:100], v[97:98]
	v_fma_f64 v[101:102], -v[97:98], v[99:100], 1.0
	v_fma_f64 v[99:100], v[99:100], v[101:102], v[99:100]
	v_fma_f64 v[101:102], -v[97:98], v[99:100], 1.0
	v_fma_f64 v[99:100], v[99:100], v[101:102], v[99:100]
	v_mul_f64 v[101:102], v[103:104], v[99:100]
	v_fma_f64 v[97:98], -v[97:98], v[101:102], v[103:104]
	v_div_fmas_f64 v[97:98], v[97:98], v[99:100], v[101:102]
	v_div_fixup_f64 v[119:120], v[97:98], v[95:96], 1.0
	v_mul_f64 v[117:118], v[90:91], v[119:120]
	v_xor_b32_e32 v120, 0x80000000, v120
.LBB108_889:
	s_andn2_saveexec_b64 s[18:19], s[18:19]
	s_cbranch_execz .LBB108_891
; %bb.890:
	v_div_scale_f64 v[90:91], s[20:21], v[117:118], v[117:118], v[119:120]
	v_rcp_f64_e32 v[95:96], v[90:91]
	v_fma_f64 v[97:98], -v[90:91], v[95:96], 1.0
	v_fma_f64 v[95:96], v[95:96], v[97:98], v[95:96]
	v_div_scale_f64 v[97:98], vcc, v[119:120], v[117:118], v[119:120]
	v_fma_f64 v[99:100], -v[90:91], v[95:96], 1.0
	v_fma_f64 v[95:96], v[95:96], v[99:100], v[95:96]
	v_mul_f64 v[99:100], v[97:98], v[95:96]
	v_fma_f64 v[90:91], -v[90:91], v[99:100], v[97:98]
	v_div_fmas_f64 v[90:91], v[90:91], v[95:96], v[99:100]
	v_div_fixup_f64 v[90:91], v[90:91], v[117:118], v[119:120]
	v_fma_f64 v[95:96], v[119:120], v[90:91], v[117:118]
	v_div_scale_f64 v[97:98], s[20:21], v[95:96], v[95:96], 1.0
	v_div_scale_f64 v[103:104], vcc, 1.0, v[95:96], 1.0
	v_rcp_f64_e32 v[99:100], v[97:98]
	v_fma_f64 v[101:102], -v[97:98], v[99:100], 1.0
	v_fma_f64 v[99:100], v[99:100], v[101:102], v[99:100]
	v_fma_f64 v[101:102], -v[97:98], v[99:100], 1.0
	v_fma_f64 v[99:100], v[99:100], v[101:102], v[99:100]
	v_mul_f64 v[101:102], v[103:104], v[99:100]
	v_fma_f64 v[97:98], -v[97:98], v[101:102], v[103:104]
	v_div_fmas_f64 v[97:98], v[97:98], v[99:100], v[101:102]
	v_div_fixup_f64 v[117:118], v[97:98], v[95:96], 1.0
	v_mul_f64 v[119:120], v[90:91], -v[117:118]
.LBB108_891:
	s_or_b64 exec, exec, s[18:19]
.LBB108_892:
	s_or_b64 exec, exec, s[0:1]
	v_cmp_ne_u32_e32 vcc, v93, v89
	s_and_saveexec_b64 s[0:1], vcc
	s_xor_b64 s[0:1], exec, s[0:1]
	s_cbranch_execz .LBB108_898
; %bb.893:
	v_cmp_eq_u32_e32 vcc, 42, v93
	s_and_saveexec_b64 s[18:19], vcc
	s_cbranch_execz .LBB108_897
; %bb.894:
	v_cmp_ne_u32_e32 vcc, 42, v89
	s_xor_b64 s[20:21], s[6:7], -1
	s_and_b64 s[22:23], s[20:21], vcc
	s_and_saveexec_b64 s[20:21], s[22:23]
	s_cbranch_execz .LBB108_896
; %bb.895:
	buffer_load_dword v81, off, s[24:27], 0 offset:452 ; 4-byte Folded Reload
	buffer_load_dword v82, off, s[24:27], 0 offset:456 ; 4-byte Folded Reload
	v_ashrrev_i32_e32 v90, 31, v89
	v_lshlrev_b64 v[90:91], 2, v[89:90]
	s_waitcnt vmcnt(1)
	v_add_co_u32_e32 v90, vcc, v81, v90
	s_waitcnt vmcnt(0)
	v_addc_co_u32_e32 v91, vcc, v82, v91, vcc
	global_load_dword v92, v[90:91], off
	global_load_dword v93, v[81:82], off offset:168
	s_waitcnt vmcnt(1)
	global_store_dword v[81:82], v92, off offset:168
	v_mov_b32_e32 v81, v105
	v_mov_b32_e32 v82, v106
	;; [unrolled: 1-line block ×4, first 2 shown]
	s_waitcnt vmcnt(1)
	global_store_dword v[90:91], v93, off
.LBB108_896:
	s_or_b64 exec, exec, s[20:21]
	v_mov_b32_e32 v93, v89
	v_mov_b32_e32 v73, v89
	buffer_store_dword v73, off, s[24:27], 0 offset:368 ; 4-byte Folded Spill
.LBB108_897:
	s_or_b64 exec, exec, s[18:19]
.LBB108_898:
	s_andn2_saveexec_b64 s[0:1], s[0:1]
	s_cbranch_execz .LBB108_900
; %bb.899:
	v_mov_b32_e32 v93, 42
	ds_write2_b64 v0, v[41:42], v[43:44] offset0:86 offset1:87
	ds_write2_b64 v0, v[37:38], v[39:40] offset0:88 offset1:89
	;; [unrolled: 1-line block ×12, first 2 shown]
.LBB108_900:
	s_or_b64 exec, exec, s[0:1]
	v_cmp_lt_i32_e32 vcc, 42, v93
	s_waitcnt vmcnt(0) lgkmcnt(0)
	s_barrier
	s_and_saveexec_b64 s[0:1], vcc
	s_cbranch_execz .LBB108_902
; %bb.901:
	v_mul_f64 v[89:90], v[117:118], v[47:48]
	v_mul_f64 v[47:48], v[119:120], v[47:48]
	ds_read2_b64 v[95:98], v0 offset0:86 offset1:87
	v_fma_f64 v[89:90], v[119:120], v[45:46], v[89:90]
	v_fma_f64 v[45:46], v[117:118], v[45:46], -v[47:48]
	s_waitcnt lgkmcnt(0)
	v_mul_f64 v[47:48], v[97:98], v[89:90]
	v_mul_f64 v[91:92], v[95:96], v[89:90]
	v_fma_f64 v[47:48], v[95:96], v[45:46], -v[47:48]
	v_fma_f64 v[91:92], v[97:98], v[45:46], v[91:92]
	ds_read2_b64 v[95:98], v0 offset0:88 offset1:89
	v_add_f64 v[41:42], v[41:42], -v[47:48]
	v_add_f64 v[43:44], v[43:44], -v[91:92]
	s_waitcnt lgkmcnt(0)
	v_mul_f64 v[47:48], v[97:98], v[89:90]
	v_mul_f64 v[91:92], v[95:96], v[89:90]
	v_fma_f64 v[47:48], v[95:96], v[45:46], -v[47:48]
	v_fma_f64 v[91:92], v[97:98], v[45:46], v[91:92]
	ds_read2_b64 v[95:98], v0 offset0:90 offset1:91
	v_add_f64 v[37:38], v[37:38], -v[47:48]
	v_add_f64 v[39:40], v[39:40], -v[91:92]
	;; [unrolled: 8-line block ×11, first 2 shown]
	s_waitcnt lgkmcnt(0)
	v_mul_f64 v[47:48], v[97:98], v[89:90]
	v_mul_f64 v[91:92], v[95:96], v[89:90]
	v_fma_f64 v[47:48], v[95:96], v[45:46], -v[47:48]
	v_fma_f64 v[91:92], v[97:98], v[45:46], v[91:92]
	v_add_f64 v[121:122], v[121:122], -v[47:48]
	v_add_f64 v[123:124], v[123:124], -v[91:92]
	v_mov_b32_e32 v47, v89
	v_mov_b32_e32 v48, v90
.LBB108_902:
	s_or_b64 exec, exec, s[0:1]
	v_lshl_add_u32 v89, v93, 4, v0
	s_barrier
	ds_write2_b64 v89, v[41:42], v[43:44] offset1:1
	s_waitcnt lgkmcnt(0)
	s_barrier
	ds_read2_b64 v[117:120], v0 offset0:86 offset1:87
	s_cmp_lt_i32 s3, 45
	v_mov_b32_e32 v89, 43
	s_cbranch_scc1 .LBB108_905
; %bb.903:
	v_add_u32_e32 v90, 0x2c0, v0
	s_mov_b32 s0, 44
	v_mov_b32_e32 v89, 43
.LBB108_904:                            ; =>This Inner Loop Header: Depth=1
	s_waitcnt lgkmcnt(0)
	v_cmp_gt_f64_e32 vcc, 0, v[117:118]
	v_xor_b32_e32 v91, 0x80000000, v118
	ds_read2_b64 v[95:98], v90 offset1:1
	v_xor_b32_e32 v99, 0x80000000, v120
	v_add_u32_e32 v90, 16, v90
	s_waitcnt lgkmcnt(0)
	v_xor_b32_e32 v101, 0x80000000, v98
	v_cndmask_b32_e32 v92, v118, v91, vcc
	v_cmp_gt_f64_e32 vcc, 0, v[119:120]
	v_mov_b32_e32 v91, v117
	v_cndmask_b32_e32 v100, v120, v99, vcc
	v_cmp_gt_f64_e32 vcc, 0, v[95:96]
	v_mov_b32_e32 v99, v119
	v_add_f64 v[91:92], v[91:92], v[99:100]
	v_xor_b32_e32 v99, 0x80000000, v96
	v_cndmask_b32_e32 v100, v96, v99, vcc
	v_cmp_gt_f64_e32 vcc, 0, v[97:98]
	v_mov_b32_e32 v99, v95
	v_cndmask_b32_e32 v102, v98, v101, vcc
	v_mov_b32_e32 v101, v97
	v_add_f64 v[99:100], v[99:100], v[101:102]
	v_cmp_lt_f64_e32 vcc, v[91:92], v[99:100]
	v_mov_b32_e32 v91, s0
	s_add_i32 s0, s0, 1
	s_cmp_lg_u32 s3, s0
	v_cndmask_b32_e32 v118, v118, v96, vcc
	v_cndmask_b32_e32 v117, v117, v95, vcc
	;; [unrolled: 1-line block ×5, first 2 shown]
	s_cbranch_scc1 .LBB108_904
.LBB108_905:
	s_waitcnt lgkmcnt(0)
	v_cmp_eq_f64_e32 vcc, 0, v[117:118]
	v_cmp_eq_f64_e64 s[0:1], 0, v[119:120]
	s_and_b64 s[0:1], vcc, s[0:1]
	s_and_saveexec_b64 s[18:19], s[0:1]
	s_xor_b64 s[0:1], exec, s[18:19]
; %bb.906:
	v_cmp_ne_u32_e32 vcc, 0, v94
	v_cndmask_b32_e32 v94, 44, v94, vcc
; %bb.907:
	s_andn2_saveexec_b64 s[0:1], s[0:1]
	s_cbranch_execz .LBB108_913
; %bb.908:
	v_cmp_ngt_f64_e64 s[18:19], |v[117:118]|, |v[119:120]|
	s_and_saveexec_b64 s[20:21], s[18:19]
	s_xor_b64 s[18:19], exec, s[20:21]
	s_cbranch_execz .LBB108_910
; %bb.909:
	v_div_scale_f64 v[90:91], s[20:21], v[119:120], v[119:120], v[117:118]
	v_rcp_f64_e32 v[95:96], v[90:91]
	v_fma_f64 v[97:98], -v[90:91], v[95:96], 1.0
	v_fma_f64 v[95:96], v[95:96], v[97:98], v[95:96]
	v_div_scale_f64 v[97:98], vcc, v[117:118], v[119:120], v[117:118]
	v_fma_f64 v[99:100], -v[90:91], v[95:96], 1.0
	v_fma_f64 v[95:96], v[95:96], v[99:100], v[95:96]
	v_mul_f64 v[99:100], v[97:98], v[95:96]
	v_fma_f64 v[90:91], -v[90:91], v[99:100], v[97:98]
	v_div_fmas_f64 v[90:91], v[90:91], v[95:96], v[99:100]
	v_div_fixup_f64 v[90:91], v[90:91], v[119:120], v[117:118]
	v_fma_f64 v[95:96], v[117:118], v[90:91], v[119:120]
	v_div_scale_f64 v[97:98], s[20:21], v[95:96], v[95:96], 1.0
	v_div_scale_f64 v[103:104], vcc, 1.0, v[95:96], 1.0
	v_rcp_f64_e32 v[99:100], v[97:98]
	v_fma_f64 v[101:102], -v[97:98], v[99:100], 1.0
	v_fma_f64 v[99:100], v[99:100], v[101:102], v[99:100]
	v_fma_f64 v[101:102], -v[97:98], v[99:100], 1.0
	v_fma_f64 v[99:100], v[99:100], v[101:102], v[99:100]
	v_mul_f64 v[101:102], v[103:104], v[99:100]
	v_fma_f64 v[97:98], -v[97:98], v[101:102], v[103:104]
	v_div_fmas_f64 v[97:98], v[97:98], v[99:100], v[101:102]
	v_div_fixup_f64 v[119:120], v[97:98], v[95:96], 1.0
	v_mul_f64 v[117:118], v[90:91], v[119:120]
	v_xor_b32_e32 v120, 0x80000000, v120
.LBB108_910:
	s_andn2_saveexec_b64 s[18:19], s[18:19]
	s_cbranch_execz .LBB108_912
; %bb.911:
	v_div_scale_f64 v[90:91], s[20:21], v[117:118], v[117:118], v[119:120]
	v_rcp_f64_e32 v[95:96], v[90:91]
	v_fma_f64 v[97:98], -v[90:91], v[95:96], 1.0
	v_fma_f64 v[95:96], v[95:96], v[97:98], v[95:96]
	v_div_scale_f64 v[97:98], vcc, v[119:120], v[117:118], v[119:120]
	v_fma_f64 v[99:100], -v[90:91], v[95:96], 1.0
	v_fma_f64 v[95:96], v[95:96], v[99:100], v[95:96]
	v_mul_f64 v[99:100], v[97:98], v[95:96]
	v_fma_f64 v[90:91], -v[90:91], v[99:100], v[97:98]
	v_div_fmas_f64 v[90:91], v[90:91], v[95:96], v[99:100]
	v_div_fixup_f64 v[90:91], v[90:91], v[117:118], v[119:120]
	v_fma_f64 v[95:96], v[119:120], v[90:91], v[117:118]
	v_div_scale_f64 v[97:98], s[20:21], v[95:96], v[95:96], 1.0
	v_div_scale_f64 v[103:104], vcc, 1.0, v[95:96], 1.0
	v_rcp_f64_e32 v[99:100], v[97:98]
	v_fma_f64 v[101:102], -v[97:98], v[99:100], 1.0
	v_fma_f64 v[99:100], v[99:100], v[101:102], v[99:100]
	v_fma_f64 v[101:102], -v[97:98], v[99:100], 1.0
	v_fma_f64 v[99:100], v[99:100], v[101:102], v[99:100]
	v_mul_f64 v[101:102], v[103:104], v[99:100]
	v_fma_f64 v[97:98], -v[97:98], v[101:102], v[103:104]
	v_div_fmas_f64 v[97:98], v[97:98], v[99:100], v[101:102]
	v_div_fixup_f64 v[117:118], v[97:98], v[95:96], 1.0
	v_mul_f64 v[119:120], v[90:91], -v[117:118]
.LBB108_912:
	s_or_b64 exec, exec, s[18:19]
.LBB108_913:
	s_or_b64 exec, exec, s[0:1]
	v_cmp_ne_u32_e32 vcc, v93, v89
	s_and_saveexec_b64 s[0:1], vcc
	s_xor_b64 s[0:1], exec, s[0:1]
	s_cbranch_execz .LBB108_919
; %bb.914:
	v_cmp_eq_u32_e32 vcc, 43, v93
	s_and_saveexec_b64 s[18:19], vcc
	s_cbranch_execz .LBB108_918
; %bb.915:
	v_cmp_ne_u32_e32 vcc, 43, v89
	s_xor_b64 s[20:21], s[6:7], -1
	s_and_b64 s[22:23], s[20:21], vcc
	s_and_saveexec_b64 s[20:21], s[22:23]
	s_cbranch_execz .LBB108_917
; %bb.916:
	buffer_load_dword v81, off, s[24:27], 0 offset:452 ; 4-byte Folded Reload
	buffer_load_dword v82, off, s[24:27], 0 offset:456 ; 4-byte Folded Reload
	v_ashrrev_i32_e32 v90, 31, v89
	v_lshlrev_b64 v[90:91], 2, v[89:90]
	s_waitcnt vmcnt(1)
	v_add_co_u32_e32 v90, vcc, v81, v90
	s_waitcnt vmcnt(0)
	v_addc_co_u32_e32 v91, vcc, v82, v91, vcc
	global_load_dword v92, v[90:91], off
	global_load_dword v93, v[81:82], off offset:172
	s_waitcnt vmcnt(1)
	global_store_dword v[81:82], v92, off offset:172
	v_mov_b32_e32 v81, v105
	v_mov_b32_e32 v82, v106
	;; [unrolled: 1-line block ×4, first 2 shown]
	s_waitcnt vmcnt(1)
	global_store_dword v[90:91], v93, off
.LBB108_917:
	s_or_b64 exec, exec, s[20:21]
	v_mov_b32_e32 v93, v89
	v_mov_b32_e32 v73, v89
	buffer_store_dword v73, off, s[24:27], 0 offset:368 ; 4-byte Folded Spill
.LBB108_918:
	s_or_b64 exec, exec, s[18:19]
.LBB108_919:
	s_andn2_saveexec_b64 s[0:1], s[0:1]
	s_cbranch_execz .LBB108_921
; %bb.920:
	v_mov_b32_e32 v93, 43
	ds_write2_b64 v0, v[37:38], v[39:40] offset0:88 offset1:89
	ds_write2_b64 v0, v[33:34], v[35:36] offset0:90 offset1:91
	;; [unrolled: 1-line block ×11, first 2 shown]
.LBB108_921:
	s_or_b64 exec, exec, s[0:1]
	v_cmp_lt_i32_e32 vcc, 43, v93
	s_waitcnt vmcnt(0) lgkmcnt(0)
	s_barrier
	s_and_saveexec_b64 s[0:1], vcc
	s_cbranch_execz .LBB108_923
; %bb.922:
	v_mul_f64 v[89:90], v[117:118], v[43:44]
	v_mul_f64 v[43:44], v[119:120], v[43:44]
	ds_read2_b64 v[95:98], v0 offset0:88 offset1:89
	v_fma_f64 v[89:90], v[119:120], v[41:42], v[89:90]
	v_fma_f64 v[41:42], v[117:118], v[41:42], -v[43:44]
	s_waitcnt lgkmcnt(0)
	v_mul_f64 v[43:44], v[97:98], v[89:90]
	v_mul_f64 v[91:92], v[95:96], v[89:90]
	v_fma_f64 v[43:44], v[95:96], v[41:42], -v[43:44]
	v_fma_f64 v[91:92], v[97:98], v[41:42], v[91:92]
	ds_read2_b64 v[95:98], v0 offset0:90 offset1:91
	v_add_f64 v[37:38], v[37:38], -v[43:44]
	v_add_f64 v[39:40], v[39:40], -v[91:92]
	s_waitcnt lgkmcnt(0)
	v_mul_f64 v[43:44], v[97:98], v[89:90]
	v_mul_f64 v[91:92], v[95:96], v[89:90]
	v_fma_f64 v[43:44], v[95:96], v[41:42], -v[43:44]
	v_fma_f64 v[91:92], v[97:98], v[41:42], v[91:92]
	ds_read2_b64 v[95:98], v0 offset0:92 offset1:93
	v_add_f64 v[33:34], v[33:34], -v[43:44]
	v_add_f64 v[35:36], v[35:36], -v[91:92]
	;; [unrolled: 8-line block ×10, first 2 shown]
	s_waitcnt lgkmcnt(0)
	v_mul_f64 v[43:44], v[97:98], v[89:90]
	v_mul_f64 v[91:92], v[95:96], v[89:90]
	v_fma_f64 v[43:44], v[95:96], v[41:42], -v[43:44]
	v_fma_f64 v[91:92], v[97:98], v[41:42], v[91:92]
	v_add_f64 v[121:122], v[121:122], -v[43:44]
	v_add_f64 v[123:124], v[123:124], -v[91:92]
	v_mov_b32_e32 v43, v89
	v_mov_b32_e32 v44, v90
.LBB108_923:
	s_or_b64 exec, exec, s[0:1]
	v_lshl_add_u32 v89, v93, 4, v0
	s_barrier
	ds_write2_b64 v89, v[37:38], v[39:40] offset1:1
	s_waitcnt lgkmcnt(0)
	s_barrier
	ds_read2_b64 v[117:120], v0 offset0:88 offset1:89
	s_cmp_lt_i32 s3, 46
	v_mov_b32_e32 v89, 44
	s_cbranch_scc1 .LBB108_926
; %bb.924:
	v_add_u32_e32 v90, 0x2d0, v0
	s_mov_b32 s0, 45
	v_mov_b32_e32 v89, 44
.LBB108_925:                            ; =>This Inner Loop Header: Depth=1
	s_waitcnt lgkmcnt(0)
	v_cmp_gt_f64_e32 vcc, 0, v[117:118]
	v_xor_b32_e32 v91, 0x80000000, v118
	ds_read2_b64 v[95:98], v90 offset1:1
	v_xor_b32_e32 v99, 0x80000000, v120
	v_add_u32_e32 v90, 16, v90
	s_waitcnt lgkmcnt(0)
	v_xor_b32_e32 v101, 0x80000000, v98
	v_cndmask_b32_e32 v92, v118, v91, vcc
	v_cmp_gt_f64_e32 vcc, 0, v[119:120]
	v_mov_b32_e32 v91, v117
	v_cndmask_b32_e32 v100, v120, v99, vcc
	v_cmp_gt_f64_e32 vcc, 0, v[95:96]
	v_mov_b32_e32 v99, v119
	v_add_f64 v[91:92], v[91:92], v[99:100]
	v_xor_b32_e32 v99, 0x80000000, v96
	v_cndmask_b32_e32 v100, v96, v99, vcc
	v_cmp_gt_f64_e32 vcc, 0, v[97:98]
	v_mov_b32_e32 v99, v95
	v_cndmask_b32_e32 v102, v98, v101, vcc
	v_mov_b32_e32 v101, v97
	v_add_f64 v[99:100], v[99:100], v[101:102]
	v_cmp_lt_f64_e32 vcc, v[91:92], v[99:100]
	v_mov_b32_e32 v91, s0
	s_add_i32 s0, s0, 1
	s_cmp_lg_u32 s3, s0
	v_cndmask_b32_e32 v118, v118, v96, vcc
	v_cndmask_b32_e32 v117, v117, v95, vcc
	;; [unrolled: 1-line block ×5, first 2 shown]
	s_cbranch_scc1 .LBB108_925
.LBB108_926:
	s_waitcnt lgkmcnt(0)
	v_cmp_eq_f64_e32 vcc, 0, v[117:118]
	v_cmp_eq_f64_e64 s[0:1], 0, v[119:120]
	s_and_b64 s[0:1], vcc, s[0:1]
	s_and_saveexec_b64 s[18:19], s[0:1]
	s_xor_b64 s[0:1], exec, s[18:19]
; %bb.927:
	v_cmp_ne_u32_e32 vcc, 0, v94
	v_cndmask_b32_e32 v94, 45, v94, vcc
; %bb.928:
	s_andn2_saveexec_b64 s[0:1], s[0:1]
	s_cbranch_execz .LBB108_934
; %bb.929:
	v_cmp_ngt_f64_e64 s[18:19], |v[117:118]|, |v[119:120]|
	s_and_saveexec_b64 s[20:21], s[18:19]
	s_xor_b64 s[18:19], exec, s[20:21]
	s_cbranch_execz .LBB108_931
; %bb.930:
	v_div_scale_f64 v[90:91], s[20:21], v[119:120], v[119:120], v[117:118]
	v_rcp_f64_e32 v[95:96], v[90:91]
	v_fma_f64 v[97:98], -v[90:91], v[95:96], 1.0
	v_fma_f64 v[95:96], v[95:96], v[97:98], v[95:96]
	v_div_scale_f64 v[97:98], vcc, v[117:118], v[119:120], v[117:118]
	v_fma_f64 v[99:100], -v[90:91], v[95:96], 1.0
	v_fma_f64 v[95:96], v[95:96], v[99:100], v[95:96]
	v_mul_f64 v[99:100], v[97:98], v[95:96]
	v_fma_f64 v[90:91], -v[90:91], v[99:100], v[97:98]
	v_div_fmas_f64 v[90:91], v[90:91], v[95:96], v[99:100]
	v_div_fixup_f64 v[90:91], v[90:91], v[119:120], v[117:118]
	v_fma_f64 v[95:96], v[117:118], v[90:91], v[119:120]
	v_div_scale_f64 v[97:98], s[20:21], v[95:96], v[95:96], 1.0
	v_div_scale_f64 v[103:104], vcc, 1.0, v[95:96], 1.0
	v_rcp_f64_e32 v[99:100], v[97:98]
	v_fma_f64 v[101:102], -v[97:98], v[99:100], 1.0
	v_fma_f64 v[99:100], v[99:100], v[101:102], v[99:100]
	v_fma_f64 v[101:102], -v[97:98], v[99:100], 1.0
	v_fma_f64 v[99:100], v[99:100], v[101:102], v[99:100]
	v_mul_f64 v[101:102], v[103:104], v[99:100]
	v_fma_f64 v[97:98], -v[97:98], v[101:102], v[103:104]
	v_div_fmas_f64 v[97:98], v[97:98], v[99:100], v[101:102]
	v_div_fixup_f64 v[119:120], v[97:98], v[95:96], 1.0
	v_mul_f64 v[117:118], v[90:91], v[119:120]
	v_xor_b32_e32 v120, 0x80000000, v120
.LBB108_931:
	s_andn2_saveexec_b64 s[18:19], s[18:19]
	s_cbranch_execz .LBB108_933
; %bb.932:
	v_div_scale_f64 v[90:91], s[20:21], v[117:118], v[117:118], v[119:120]
	v_rcp_f64_e32 v[95:96], v[90:91]
	v_fma_f64 v[97:98], -v[90:91], v[95:96], 1.0
	v_fma_f64 v[95:96], v[95:96], v[97:98], v[95:96]
	v_div_scale_f64 v[97:98], vcc, v[119:120], v[117:118], v[119:120]
	v_fma_f64 v[99:100], -v[90:91], v[95:96], 1.0
	v_fma_f64 v[95:96], v[95:96], v[99:100], v[95:96]
	v_mul_f64 v[99:100], v[97:98], v[95:96]
	v_fma_f64 v[90:91], -v[90:91], v[99:100], v[97:98]
	v_div_fmas_f64 v[90:91], v[90:91], v[95:96], v[99:100]
	v_div_fixup_f64 v[90:91], v[90:91], v[117:118], v[119:120]
	v_fma_f64 v[95:96], v[119:120], v[90:91], v[117:118]
	v_div_scale_f64 v[97:98], s[20:21], v[95:96], v[95:96], 1.0
	v_div_scale_f64 v[103:104], vcc, 1.0, v[95:96], 1.0
	v_rcp_f64_e32 v[99:100], v[97:98]
	v_fma_f64 v[101:102], -v[97:98], v[99:100], 1.0
	v_fma_f64 v[99:100], v[99:100], v[101:102], v[99:100]
	v_fma_f64 v[101:102], -v[97:98], v[99:100], 1.0
	v_fma_f64 v[99:100], v[99:100], v[101:102], v[99:100]
	v_mul_f64 v[101:102], v[103:104], v[99:100]
	v_fma_f64 v[97:98], -v[97:98], v[101:102], v[103:104]
	v_div_fmas_f64 v[97:98], v[97:98], v[99:100], v[101:102]
	v_div_fixup_f64 v[117:118], v[97:98], v[95:96], 1.0
	v_mul_f64 v[119:120], v[90:91], -v[117:118]
.LBB108_933:
	s_or_b64 exec, exec, s[18:19]
.LBB108_934:
	s_or_b64 exec, exec, s[0:1]
	v_cmp_ne_u32_e32 vcc, v93, v89
	s_and_saveexec_b64 s[0:1], vcc
	s_xor_b64 s[0:1], exec, s[0:1]
	s_cbranch_execz .LBB108_940
; %bb.935:
	v_cmp_eq_u32_e32 vcc, 44, v93
	s_and_saveexec_b64 s[18:19], vcc
	s_cbranch_execz .LBB108_939
; %bb.936:
	v_cmp_ne_u32_e32 vcc, 44, v89
	s_xor_b64 s[20:21], s[6:7], -1
	s_and_b64 s[22:23], s[20:21], vcc
	s_and_saveexec_b64 s[20:21], s[22:23]
	s_cbranch_execz .LBB108_938
; %bb.937:
	buffer_load_dword v81, off, s[24:27], 0 offset:452 ; 4-byte Folded Reload
	buffer_load_dword v82, off, s[24:27], 0 offset:456 ; 4-byte Folded Reload
	v_ashrrev_i32_e32 v90, 31, v89
	v_lshlrev_b64 v[90:91], 2, v[89:90]
	s_waitcnt vmcnt(1)
	v_add_co_u32_e32 v90, vcc, v81, v90
	s_waitcnt vmcnt(0)
	v_addc_co_u32_e32 v91, vcc, v82, v91, vcc
	global_load_dword v92, v[90:91], off
	global_load_dword v93, v[81:82], off offset:176
	s_waitcnt vmcnt(1)
	global_store_dword v[81:82], v92, off offset:176
	v_mov_b32_e32 v81, v105
	v_mov_b32_e32 v82, v106
	;; [unrolled: 1-line block ×4, first 2 shown]
	s_waitcnt vmcnt(1)
	global_store_dword v[90:91], v93, off
.LBB108_938:
	s_or_b64 exec, exec, s[20:21]
	v_mov_b32_e32 v93, v89
	v_mov_b32_e32 v73, v89
	buffer_store_dword v73, off, s[24:27], 0 offset:368 ; 4-byte Folded Spill
.LBB108_939:
	s_or_b64 exec, exec, s[18:19]
.LBB108_940:
	s_andn2_saveexec_b64 s[0:1], s[0:1]
	s_cbranch_execz .LBB108_942
; %bb.941:
	v_mov_b32_e32 v93, 44
	ds_write2_b64 v0, v[33:34], v[35:36] offset0:90 offset1:91
	ds_write2_b64 v0, v[29:30], v[31:32] offset0:92 offset1:93
	;; [unrolled: 1-line block ×10, first 2 shown]
.LBB108_942:
	s_or_b64 exec, exec, s[0:1]
	v_cmp_lt_i32_e32 vcc, 44, v93
	s_waitcnt vmcnt(0) lgkmcnt(0)
	s_barrier
	s_and_saveexec_b64 s[0:1], vcc
	s_cbranch_execz .LBB108_944
; %bb.943:
	v_mul_f64 v[89:90], v[117:118], v[39:40]
	v_mul_f64 v[39:40], v[119:120], v[39:40]
	ds_read2_b64 v[95:98], v0 offset0:90 offset1:91
	v_fma_f64 v[89:90], v[119:120], v[37:38], v[89:90]
	v_fma_f64 v[37:38], v[117:118], v[37:38], -v[39:40]
	s_waitcnt lgkmcnt(0)
	v_mul_f64 v[39:40], v[97:98], v[89:90]
	v_mul_f64 v[91:92], v[95:96], v[89:90]
	v_fma_f64 v[39:40], v[95:96], v[37:38], -v[39:40]
	v_fma_f64 v[91:92], v[97:98], v[37:38], v[91:92]
	ds_read2_b64 v[95:98], v0 offset0:92 offset1:93
	v_add_f64 v[33:34], v[33:34], -v[39:40]
	v_add_f64 v[35:36], v[35:36], -v[91:92]
	s_waitcnt lgkmcnt(0)
	v_mul_f64 v[39:40], v[97:98], v[89:90]
	v_mul_f64 v[91:92], v[95:96], v[89:90]
	v_fma_f64 v[39:40], v[95:96], v[37:38], -v[39:40]
	v_fma_f64 v[91:92], v[97:98], v[37:38], v[91:92]
	ds_read2_b64 v[95:98], v0 offset0:94 offset1:95
	v_add_f64 v[29:30], v[29:30], -v[39:40]
	v_add_f64 v[31:32], v[31:32], -v[91:92]
	s_waitcnt lgkmcnt(0)
	v_mul_f64 v[39:40], v[97:98], v[89:90]
	v_mul_f64 v[91:92], v[95:96], v[89:90]
	v_fma_f64 v[39:40], v[95:96], v[37:38], -v[39:40]
	v_fma_f64 v[91:92], v[97:98], v[37:38], v[91:92]
	ds_read2_b64 v[95:98], v0 offset0:96 offset1:97
	v_add_f64 v[25:26], v[25:26], -v[39:40]
	v_add_f64 v[27:28], v[27:28], -v[91:92]
	s_waitcnt lgkmcnt(0)
	v_mul_f64 v[39:40], v[97:98], v[89:90]
	v_mul_f64 v[91:92], v[95:96], v[89:90]
	v_fma_f64 v[39:40], v[95:96], v[37:38], -v[39:40]
	v_fma_f64 v[91:92], v[97:98], v[37:38], v[91:92]
	ds_read2_b64 v[95:98], v0 offset0:98 offset1:99
	v_add_f64 v[21:22], v[21:22], -v[39:40]
	v_add_f64 v[23:24], v[23:24], -v[91:92]
	s_waitcnt lgkmcnt(0)
	v_mul_f64 v[39:40], v[97:98], v[89:90]
	v_mul_f64 v[91:92], v[95:96], v[89:90]
	v_fma_f64 v[39:40], v[95:96], v[37:38], -v[39:40]
	v_fma_f64 v[91:92], v[97:98], v[37:38], v[91:92]
	ds_read2_b64 v[95:98], v0 offset0:100 offset1:101
	v_add_f64 v[17:18], v[17:18], -v[39:40]
	v_add_f64 v[19:20], v[19:20], -v[91:92]
	s_waitcnt lgkmcnt(0)
	v_mul_f64 v[39:40], v[97:98], v[89:90]
	v_mul_f64 v[91:92], v[95:96], v[89:90]
	v_fma_f64 v[39:40], v[95:96], v[37:38], -v[39:40]
	v_fma_f64 v[91:92], v[97:98], v[37:38], v[91:92]
	ds_read2_b64 v[95:98], v0 offset0:102 offset1:103
	v_add_f64 v[13:14], v[13:14], -v[39:40]
	v_add_f64 v[15:16], v[15:16], -v[91:92]
	s_waitcnt lgkmcnt(0)
	v_mul_f64 v[39:40], v[97:98], v[89:90]
	v_mul_f64 v[91:92], v[95:96], v[89:90]
	v_fma_f64 v[39:40], v[95:96], v[37:38], -v[39:40]
	v_fma_f64 v[91:92], v[97:98], v[37:38], v[91:92]
	ds_read2_b64 v[95:98], v0 offset0:104 offset1:105
	v_add_f64 v[9:10], v[9:10], -v[39:40]
	v_add_f64 v[11:12], v[11:12], -v[91:92]
	s_waitcnt lgkmcnt(0)
	v_mul_f64 v[39:40], v[97:98], v[89:90]
	v_mul_f64 v[91:92], v[95:96], v[89:90]
	v_fma_f64 v[39:40], v[95:96], v[37:38], -v[39:40]
	v_fma_f64 v[91:92], v[97:98], v[37:38], v[91:92]
	ds_read2_b64 v[95:98], v0 offset0:106 offset1:107
	v_add_f64 v[5:6], v[5:6], -v[39:40]
	v_add_f64 v[7:8], v[7:8], -v[91:92]
	s_waitcnt lgkmcnt(0)
	v_mul_f64 v[39:40], v[97:98], v[89:90]
	v_mul_f64 v[91:92], v[95:96], v[89:90]
	v_fma_f64 v[39:40], v[95:96], v[37:38], -v[39:40]
	v_fma_f64 v[91:92], v[97:98], v[37:38], v[91:92]
	ds_read2_b64 v[95:98], v0 offset0:108 offset1:109
	v_add_f64 v[1:2], v[1:2], -v[39:40]
	v_add_f64 v[3:4], v[3:4], -v[91:92]
	s_waitcnt lgkmcnt(0)
	v_mul_f64 v[39:40], v[97:98], v[89:90]
	v_mul_f64 v[91:92], v[95:96], v[89:90]
	v_fma_f64 v[39:40], v[95:96], v[37:38], -v[39:40]
	v_fma_f64 v[91:92], v[97:98], v[37:38], v[91:92]
	v_add_f64 v[121:122], v[121:122], -v[39:40]
	v_add_f64 v[123:124], v[123:124], -v[91:92]
	v_mov_b32_e32 v39, v89
	v_mov_b32_e32 v40, v90
.LBB108_944:
	s_or_b64 exec, exec, s[0:1]
	v_lshl_add_u32 v89, v93, 4, v0
	s_barrier
	ds_write2_b64 v89, v[33:34], v[35:36] offset1:1
	s_waitcnt lgkmcnt(0)
	s_barrier
	ds_read2_b64 v[117:120], v0 offset0:90 offset1:91
	s_cmp_lt_i32 s3, 47
	v_mov_b32_e32 v89, 45
	s_cbranch_scc1 .LBB108_947
; %bb.945:
	v_add_u32_e32 v90, 0x2e0, v0
	s_mov_b32 s0, 46
	v_mov_b32_e32 v89, 45
.LBB108_946:                            ; =>This Inner Loop Header: Depth=1
	s_waitcnt lgkmcnt(0)
	v_cmp_gt_f64_e32 vcc, 0, v[117:118]
	v_xor_b32_e32 v91, 0x80000000, v118
	ds_read2_b64 v[95:98], v90 offset1:1
	v_xor_b32_e32 v99, 0x80000000, v120
	v_add_u32_e32 v90, 16, v90
	s_waitcnt lgkmcnt(0)
	v_xor_b32_e32 v101, 0x80000000, v98
	v_cndmask_b32_e32 v92, v118, v91, vcc
	v_cmp_gt_f64_e32 vcc, 0, v[119:120]
	v_mov_b32_e32 v91, v117
	v_cndmask_b32_e32 v100, v120, v99, vcc
	v_cmp_gt_f64_e32 vcc, 0, v[95:96]
	v_mov_b32_e32 v99, v119
	v_add_f64 v[91:92], v[91:92], v[99:100]
	v_xor_b32_e32 v99, 0x80000000, v96
	v_cndmask_b32_e32 v100, v96, v99, vcc
	v_cmp_gt_f64_e32 vcc, 0, v[97:98]
	v_mov_b32_e32 v99, v95
	v_cndmask_b32_e32 v102, v98, v101, vcc
	v_mov_b32_e32 v101, v97
	v_add_f64 v[99:100], v[99:100], v[101:102]
	v_cmp_lt_f64_e32 vcc, v[91:92], v[99:100]
	v_mov_b32_e32 v91, s0
	s_add_i32 s0, s0, 1
	s_cmp_lg_u32 s3, s0
	v_cndmask_b32_e32 v118, v118, v96, vcc
	v_cndmask_b32_e32 v117, v117, v95, vcc
	;; [unrolled: 1-line block ×5, first 2 shown]
	s_cbranch_scc1 .LBB108_946
.LBB108_947:
	s_waitcnt lgkmcnt(0)
	v_cmp_eq_f64_e32 vcc, 0, v[117:118]
	v_cmp_eq_f64_e64 s[0:1], 0, v[119:120]
	s_and_b64 s[0:1], vcc, s[0:1]
	s_and_saveexec_b64 s[18:19], s[0:1]
	s_xor_b64 s[0:1], exec, s[18:19]
; %bb.948:
	v_cmp_ne_u32_e32 vcc, 0, v94
	v_cndmask_b32_e32 v94, 46, v94, vcc
; %bb.949:
	s_andn2_saveexec_b64 s[0:1], s[0:1]
	s_cbranch_execz .LBB108_955
; %bb.950:
	v_cmp_ngt_f64_e64 s[18:19], |v[117:118]|, |v[119:120]|
	s_and_saveexec_b64 s[20:21], s[18:19]
	s_xor_b64 s[18:19], exec, s[20:21]
	s_cbranch_execz .LBB108_952
; %bb.951:
	v_div_scale_f64 v[90:91], s[20:21], v[119:120], v[119:120], v[117:118]
	v_rcp_f64_e32 v[95:96], v[90:91]
	v_fma_f64 v[97:98], -v[90:91], v[95:96], 1.0
	v_fma_f64 v[95:96], v[95:96], v[97:98], v[95:96]
	v_div_scale_f64 v[97:98], vcc, v[117:118], v[119:120], v[117:118]
	v_fma_f64 v[99:100], -v[90:91], v[95:96], 1.0
	v_fma_f64 v[95:96], v[95:96], v[99:100], v[95:96]
	v_mul_f64 v[99:100], v[97:98], v[95:96]
	v_fma_f64 v[90:91], -v[90:91], v[99:100], v[97:98]
	v_div_fmas_f64 v[90:91], v[90:91], v[95:96], v[99:100]
	v_div_fixup_f64 v[90:91], v[90:91], v[119:120], v[117:118]
	v_fma_f64 v[95:96], v[117:118], v[90:91], v[119:120]
	v_div_scale_f64 v[97:98], s[20:21], v[95:96], v[95:96], 1.0
	v_div_scale_f64 v[103:104], vcc, 1.0, v[95:96], 1.0
	v_rcp_f64_e32 v[99:100], v[97:98]
	v_fma_f64 v[101:102], -v[97:98], v[99:100], 1.0
	v_fma_f64 v[99:100], v[99:100], v[101:102], v[99:100]
	v_fma_f64 v[101:102], -v[97:98], v[99:100], 1.0
	v_fma_f64 v[99:100], v[99:100], v[101:102], v[99:100]
	v_mul_f64 v[101:102], v[103:104], v[99:100]
	v_fma_f64 v[97:98], -v[97:98], v[101:102], v[103:104]
	v_div_fmas_f64 v[97:98], v[97:98], v[99:100], v[101:102]
	v_div_fixup_f64 v[119:120], v[97:98], v[95:96], 1.0
	v_mul_f64 v[117:118], v[90:91], v[119:120]
	v_xor_b32_e32 v120, 0x80000000, v120
.LBB108_952:
	s_andn2_saveexec_b64 s[18:19], s[18:19]
	s_cbranch_execz .LBB108_954
; %bb.953:
	v_div_scale_f64 v[90:91], s[20:21], v[117:118], v[117:118], v[119:120]
	v_rcp_f64_e32 v[95:96], v[90:91]
	v_fma_f64 v[97:98], -v[90:91], v[95:96], 1.0
	v_fma_f64 v[95:96], v[95:96], v[97:98], v[95:96]
	v_div_scale_f64 v[97:98], vcc, v[119:120], v[117:118], v[119:120]
	v_fma_f64 v[99:100], -v[90:91], v[95:96], 1.0
	v_fma_f64 v[95:96], v[95:96], v[99:100], v[95:96]
	v_mul_f64 v[99:100], v[97:98], v[95:96]
	v_fma_f64 v[90:91], -v[90:91], v[99:100], v[97:98]
	v_div_fmas_f64 v[90:91], v[90:91], v[95:96], v[99:100]
	v_div_fixup_f64 v[90:91], v[90:91], v[117:118], v[119:120]
	v_fma_f64 v[95:96], v[119:120], v[90:91], v[117:118]
	v_div_scale_f64 v[97:98], s[20:21], v[95:96], v[95:96], 1.0
	v_div_scale_f64 v[103:104], vcc, 1.0, v[95:96], 1.0
	v_rcp_f64_e32 v[99:100], v[97:98]
	v_fma_f64 v[101:102], -v[97:98], v[99:100], 1.0
	v_fma_f64 v[99:100], v[99:100], v[101:102], v[99:100]
	v_fma_f64 v[101:102], -v[97:98], v[99:100], 1.0
	v_fma_f64 v[99:100], v[99:100], v[101:102], v[99:100]
	v_mul_f64 v[101:102], v[103:104], v[99:100]
	v_fma_f64 v[97:98], -v[97:98], v[101:102], v[103:104]
	v_div_fmas_f64 v[97:98], v[97:98], v[99:100], v[101:102]
	v_div_fixup_f64 v[117:118], v[97:98], v[95:96], 1.0
	v_mul_f64 v[119:120], v[90:91], -v[117:118]
.LBB108_954:
	s_or_b64 exec, exec, s[18:19]
.LBB108_955:
	s_or_b64 exec, exec, s[0:1]
	v_cmp_ne_u32_e32 vcc, v93, v89
	s_and_saveexec_b64 s[0:1], vcc
	s_xor_b64 s[0:1], exec, s[0:1]
	s_cbranch_execz .LBB108_961
; %bb.956:
	v_cmp_eq_u32_e32 vcc, 45, v93
	s_and_saveexec_b64 s[18:19], vcc
	s_cbranch_execz .LBB108_960
; %bb.957:
	v_cmp_ne_u32_e32 vcc, 45, v89
	s_xor_b64 s[20:21], s[6:7], -1
	s_and_b64 s[22:23], s[20:21], vcc
	s_and_saveexec_b64 s[20:21], s[22:23]
	s_cbranch_execz .LBB108_959
; %bb.958:
	buffer_load_dword v81, off, s[24:27], 0 offset:452 ; 4-byte Folded Reload
	buffer_load_dword v82, off, s[24:27], 0 offset:456 ; 4-byte Folded Reload
	v_ashrrev_i32_e32 v90, 31, v89
	v_lshlrev_b64 v[90:91], 2, v[89:90]
	s_waitcnt vmcnt(1)
	v_add_co_u32_e32 v90, vcc, v81, v90
	s_waitcnt vmcnt(0)
	v_addc_co_u32_e32 v91, vcc, v82, v91, vcc
	global_load_dword v92, v[90:91], off
	global_load_dword v93, v[81:82], off offset:180
	s_waitcnt vmcnt(1)
	global_store_dword v[81:82], v92, off offset:180
	v_mov_b32_e32 v81, v105
	v_mov_b32_e32 v82, v106
	;; [unrolled: 1-line block ×4, first 2 shown]
	s_waitcnt vmcnt(1)
	global_store_dword v[90:91], v93, off
.LBB108_959:
	s_or_b64 exec, exec, s[20:21]
	v_mov_b32_e32 v93, v89
	v_mov_b32_e32 v73, v89
	buffer_store_dword v73, off, s[24:27], 0 offset:368 ; 4-byte Folded Spill
.LBB108_960:
	s_or_b64 exec, exec, s[18:19]
.LBB108_961:
	s_andn2_saveexec_b64 s[0:1], s[0:1]
	s_cbranch_execz .LBB108_963
; %bb.962:
	v_mov_b32_e32 v93, 45
	ds_write2_b64 v0, v[29:30], v[31:32] offset0:92 offset1:93
	ds_write2_b64 v0, v[25:26], v[27:28] offset0:94 offset1:95
	;; [unrolled: 1-line block ×9, first 2 shown]
.LBB108_963:
	s_or_b64 exec, exec, s[0:1]
	v_cmp_lt_i32_e32 vcc, 45, v93
	s_waitcnt vmcnt(0) lgkmcnt(0)
	s_barrier
	s_and_saveexec_b64 s[0:1], vcc
	s_cbranch_execz .LBB108_965
; %bb.964:
	v_mul_f64 v[89:90], v[117:118], v[35:36]
	v_mul_f64 v[35:36], v[119:120], v[35:36]
	ds_read2_b64 v[95:98], v0 offset0:92 offset1:93
	v_fma_f64 v[89:90], v[119:120], v[33:34], v[89:90]
	v_fma_f64 v[33:34], v[117:118], v[33:34], -v[35:36]
	s_waitcnt lgkmcnt(0)
	v_mul_f64 v[35:36], v[97:98], v[89:90]
	v_mul_f64 v[91:92], v[95:96], v[89:90]
	v_fma_f64 v[35:36], v[95:96], v[33:34], -v[35:36]
	v_fma_f64 v[91:92], v[97:98], v[33:34], v[91:92]
	ds_read2_b64 v[95:98], v0 offset0:94 offset1:95
	v_add_f64 v[29:30], v[29:30], -v[35:36]
	v_add_f64 v[31:32], v[31:32], -v[91:92]
	s_waitcnt lgkmcnt(0)
	v_mul_f64 v[35:36], v[97:98], v[89:90]
	v_mul_f64 v[91:92], v[95:96], v[89:90]
	v_fma_f64 v[35:36], v[95:96], v[33:34], -v[35:36]
	v_fma_f64 v[91:92], v[97:98], v[33:34], v[91:92]
	ds_read2_b64 v[95:98], v0 offset0:96 offset1:97
	v_add_f64 v[25:26], v[25:26], -v[35:36]
	v_add_f64 v[27:28], v[27:28], -v[91:92]
	;; [unrolled: 8-line block ×8, first 2 shown]
	s_waitcnt lgkmcnt(0)
	v_mul_f64 v[35:36], v[97:98], v[89:90]
	v_mul_f64 v[91:92], v[95:96], v[89:90]
	v_fma_f64 v[35:36], v[95:96], v[33:34], -v[35:36]
	v_fma_f64 v[91:92], v[97:98], v[33:34], v[91:92]
	v_add_f64 v[121:122], v[121:122], -v[35:36]
	v_add_f64 v[123:124], v[123:124], -v[91:92]
	v_mov_b32_e32 v35, v89
	v_mov_b32_e32 v36, v90
.LBB108_965:
	s_or_b64 exec, exec, s[0:1]
	v_lshl_add_u32 v89, v93, 4, v0
	s_barrier
	ds_write2_b64 v89, v[29:30], v[31:32] offset1:1
	s_waitcnt lgkmcnt(0)
	s_barrier
	ds_read2_b64 v[117:120], v0 offset0:92 offset1:93
	s_cmp_lt_i32 s3, 48
	v_mov_b32_e32 v89, 46
	s_cbranch_scc1 .LBB108_968
; %bb.966:
	v_add_u32_e32 v90, 0x2f0, v0
	s_mov_b32 s0, 47
	v_mov_b32_e32 v89, 46
.LBB108_967:                            ; =>This Inner Loop Header: Depth=1
	s_waitcnt lgkmcnt(0)
	v_cmp_gt_f64_e32 vcc, 0, v[117:118]
	v_xor_b32_e32 v91, 0x80000000, v118
	ds_read2_b64 v[95:98], v90 offset1:1
	v_xor_b32_e32 v99, 0x80000000, v120
	v_add_u32_e32 v90, 16, v90
	s_waitcnt lgkmcnt(0)
	v_xor_b32_e32 v101, 0x80000000, v98
	v_cndmask_b32_e32 v92, v118, v91, vcc
	v_cmp_gt_f64_e32 vcc, 0, v[119:120]
	v_mov_b32_e32 v91, v117
	v_cndmask_b32_e32 v100, v120, v99, vcc
	v_cmp_gt_f64_e32 vcc, 0, v[95:96]
	v_mov_b32_e32 v99, v119
	v_add_f64 v[91:92], v[91:92], v[99:100]
	v_xor_b32_e32 v99, 0x80000000, v96
	v_cndmask_b32_e32 v100, v96, v99, vcc
	v_cmp_gt_f64_e32 vcc, 0, v[97:98]
	v_mov_b32_e32 v99, v95
	v_cndmask_b32_e32 v102, v98, v101, vcc
	v_mov_b32_e32 v101, v97
	v_add_f64 v[99:100], v[99:100], v[101:102]
	v_cmp_lt_f64_e32 vcc, v[91:92], v[99:100]
	v_mov_b32_e32 v91, s0
	s_add_i32 s0, s0, 1
	s_cmp_lg_u32 s3, s0
	v_cndmask_b32_e32 v118, v118, v96, vcc
	v_cndmask_b32_e32 v117, v117, v95, vcc
	;; [unrolled: 1-line block ×5, first 2 shown]
	s_cbranch_scc1 .LBB108_967
.LBB108_968:
	s_waitcnt lgkmcnt(0)
	v_cmp_eq_f64_e32 vcc, 0, v[117:118]
	v_cmp_eq_f64_e64 s[0:1], 0, v[119:120]
	s_and_b64 s[0:1], vcc, s[0:1]
	s_and_saveexec_b64 s[18:19], s[0:1]
	s_xor_b64 s[0:1], exec, s[18:19]
; %bb.969:
	v_cmp_ne_u32_e32 vcc, 0, v94
	v_cndmask_b32_e32 v94, 47, v94, vcc
; %bb.970:
	s_andn2_saveexec_b64 s[0:1], s[0:1]
	s_cbranch_execz .LBB108_976
; %bb.971:
	v_cmp_ngt_f64_e64 s[18:19], |v[117:118]|, |v[119:120]|
	s_and_saveexec_b64 s[20:21], s[18:19]
	s_xor_b64 s[18:19], exec, s[20:21]
	s_cbranch_execz .LBB108_973
; %bb.972:
	v_div_scale_f64 v[90:91], s[20:21], v[119:120], v[119:120], v[117:118]
	v_rcp_f64_e32 v[95:96], v[90:91]
	v_fma_f64 v[97:98], -v[90:91], v[95:96], 1.0
	v_fma_f64 v[95:96], v[95:96], v[97:98], v[95:96]
	v_div_scale_f64 v[97:98], vcc, v[117:118], v[119:120], v[117:118]
	v_fma_f64 v[99:100], -v[90:91], v[95:96], 1.0
	v_fma_f64 v[95:96], v[95:96], v[99:100], v[95:96]
	v_mul_f64 v[99:100], v[97:98], v[95:96]
	v_fma_f64 v[90:91], -v[90:91], v[99:100], v[97:98]
	v_div_fmas_f64 v[90:91], v[90:91], v[95:96], v[99:100]
	v_div_fixup_f64 v[90:91], v[90:91], v[119:120], v[117:118]
	v_fma_f64 v[95:96], v[117:118], v[90:91], v[119:120]
	v_div_scale_f64 v[97:98], s[20:21], v[95:96], v[95:96], 1.0
	v_div_scale_f64 v[103:104], vcc, 1.0, v[95:96], 1.0
	v_rcp_f64_e32 v[99:100], v[97:98]
	v_fma_f64 v[101:102], -v[97:98], v[99:100], 1.0
	v_fma_f64 v[99:100], v[99:100], v[101:102], v[99:100]
	v_fma_f64 v[101:102], -v[97:98], v[99:100], 1.0
	v_fma_f64 v[99:100], v[99:100], v[101:102], v[99:100]
	v_mul_f64 v[101:102], v[103:104], v[99:100]
	v_fma_f64 v[97:98], -v[97:98], v[101:102], v[103:104]
	v_div_fmas_f64 v[97:98], v[97:98], v[99:100], v[101:102]
	v_div_fixup_f64 v[119:120], v[97:98], v[95:96], 1.0
	v_mul_f64 v[117:118], v[90:91], v[119:120]
	v_xor_b32_e32 v120, 0x80000000, v120
.LBB108_973:
	s_andn2_saveexec_b64 s[18:19], s[18:19]
	s_cbranch_execz .LBB108_975
; %bb.974:
	v_div_scale_f64 v[90:91], s[20:21], v[117:118], v[117:118], v[119:120]
	v_rcp_f64_e32 v[95:96], v[90:91]
	v_fma_f64 v[97:98], -v[90:91], v[95:96], 1.0
	v_fma_f64 v[95:96], v[95:96], v[97:98], v[95:96]
	v_div_scale_f64 v[97:98], vcc, v[119:120], v[117:118], v[119:120]
	v_fma_f64 v[99:100], -v[90:91], v[95:96], 1.0
	v_fma_f64 v[95:96], v[95:96], v[99:100], v[95:96]
	v_mul_f64 v[99:100], v[97:98], v[95:96]
	v_fma_f64 v[90:91], -v[90:91], v[99:100], v[97:98]
	v_div_fmas_f64 v[90:91], v[90:91], v[95:96], v[99:100]
	v_div_fixup_f64 v[90:91], v[90:91], v[117:118], v[119:120]
	v_fma_f64 v[95:96], v[119:120], v[90:91], v[117:118]
	v_div_scale_f64 v[97:98], s[20:21], v[95:96], v[95:96], 1.0
	v_div_scale_f64 v[103:104], vcc, 1.0, v[95:96], 1.0
	v_rcp_f64_e32 v[99:100], v[97:98]
	v_fma_f64 v[101:102], -v[97:98], v[99:100], 1.0
	v_fma_f64 v[99:100], v[99:100], v[101:102], v[99:100]
	v_fma_f64 v[101:102], -v[97:98], v[99:100], 1.0
	v_fma_f64 v[99:100], v[99:100], v[101:102], v[99:100]
	v_mul_f64 v[101:102], v[103:104], v[99:100]
	v_fma_f64 v[97:98], -v[97:98], v[101:102], v[103:104]
	v_div_fmas_f64 v[97:98], v[97:98], v[99:100], v[101:102]
	v_div_fixup_f64 v[117:118], v[97:98], v[95:96], 1.0
	v_mul_f64 v[119:120], v[90:91], -v[117:118]
.LBB108_975:
	s_or_b64 exec, exec, s[18:19]
.LBB108_976:
	s_or_b64 exec, exec, s[0:1]
	v_cmp_ne_u32_e32 vcc, v93, v89
	s_and_saveexec_b64 s[0:1], vcc
	s_xor_b64 s[0:1], exec, s[0:1]
	s_cbranch_execz .LBB108_982
; %bb.977:
	v_cmp_eq_u32_e32 vcc, 46, v93
	s_and_saveexec_b64 s[18:19], vcc
	s_cbranch_execz .LBB108_981
; %bb.978:
	v_cmp_ne_u32_e32 vcc, 46, v89
	s_xor_b64 s[20:21], s[6:7], -1
	s_and_b64 s[22:23], s[20:21], vcc
	s_and_saveexec_b64 s[20:21], s[22:23]
	s_cbranch_execz .LBB108_980
; %bb.979:
	buffer_load_dword v81, off, s[24:27], 0 offset:452 ; 4-byte Folded Reload
	buffer_load_dword v82, off, s[24:27], 0 offset:456 ; 4-byte Folded Reload
	v_ashrrev_i32_e32 v90, 31, v89
	v_lshlrev_b64 v[90:91], 2, v[89:90]
	s_waitcnt vmcnt(1)
	v_add_co_u32_e32 v90, vcc, v81, v90
	s_waitcnt vmcnt(0)
	v_addc_co_u32_e32 v91, vcc, v82, v91, vcc
	global_load_dword v92, v[90:91], off
	global_load_dword v93, v[81:82], off offset:184
	s_waitcnt vmcnt(1)
	global_store_dword v[81:82], v92, off offset:184
	v_mov_b32_e32 v81, v105
	v_mov_b32_e32 v82, v106
	;; [unrolled: 1-line block ×4, first 2 shown]
	s_waitcnt vmcnt(1)
	global_store_dword v[90:91], v93, off
.LBB108_980:
	s_or_b64 exec, exec, s[20:21]
	v_mov_b32_e32 v93, v89
	v_mov_b32_e32 v73, v89
	buffer_store_dword v73, off, s[24:27], 0 offset:368 ; 4-byte Folded Spill
.LBB108_981:
	s_or_b64 exec, exec, s[18:19]
.LBB108_982:
	s_andn2_saveexec_b64 s[0:1], s[0:1]
	s_cbranch_execz .LBB108_984
; %bb.983:
	v_mov_b32_e32 v93, 46
	ds_write2_b64 v0, v[25:26], v[27:28] offset0:94 offset1:95
	ds_write2_b64 v0, v[21:22], v[23:24] offset0:96 offset1:97
	;; [unrolled: 1-line block ×8, first 2 shown]
.LBB108_984:
	s_or_b64 exec, exec, s[0:1]
	v_cmp_lt_i32_e32 vcc, 46, v93
	s_waitcnt vmcnt(0) lgkmcnt(0)
	s_barrier
	s_and_saveexec_b64 s[0:1], vcc
	s_cbranch_execz .LBB108_986
; %bb.985:
	v_mul_f64 v[89:90], v[117:118], v[31:32]
	v_mul_f64 v[31:32], v[119:120], v[31:32]
	ds_read2_b64 v[95:98], v0 offset0:94 offset1:95
	v_fma_f64 v[89:90], v[119:120], v[29:30], v[89:90]
	v_fma_f64 v[29:30], v[117:118], v[29:30], -v[31:32]
	s_waitcnt lgkmcnt(0)
	v_mul_f64 v[31:32], v[97:98], v[89:90]
	v_mul_f64 v[91:92], v[95:96], v[89:90]
	v_fma_f64 v[31:32], v[95:96], v[29:30], -v[31:32]
	v_fma_f64 v[91:92], v[97:98], v[29:30], v[91:92]
	ds_read2_b64 v[95:98], v0 offset0:96 offset1:97
	v_add_f64 v[25:26], v[25:26], -v[31:32]
	v_add_f64 v[27:28], v[27:28], -v[91:92]
	s_waitcnt lgkmcnt(0)
	v_mul_f64 v[31:32], v[97:98], v[89:90]
	v_mul_f64 v[91:92], v[95:96], v[89:90]
	v_fma_f64 v[31:32], v[95:96], v[29:30], -v[31:32]
	v_fma_f64 v[91:92], v[97:98], v[29:30], v[91:92]
	ds_read2_b64 v[95:98], v0 offset0:98 offset1:99
	v_add_f64 v[21:22], v[21:22], -v[31:32]
	v_add_f64 v[23:24], v[23:24], -v[91:92]
	;; [unrolled: 8-line block ×7, first 2 shown]
	s_waitcnt lgkmcnt(0)
	v_mul_f64 v[31:32], v[97:98], v[89:90]
	v_mul_f64 v[91:92], v[95:96], v[89:90]
	v_fma_f64 v[31:32], v[95:96], v[29:30], -v[31:32]
	v_fma_f64 v[91:92], v[97:98], v[29:30], v[91:92]
	v_add_f64 v[121:122], v[121:122], -v[31:32]
	v_add_f64 v[123:124], v[123:124], -v[91:92]
	v_mov_b32_e32 v31, v89
	v_mov_b32_e32 v32, v90
.LBB108_986:
	s_or_b64 exec, exec, s[0:1]
	v_lshl_add_u32 v89, v93, 4, v0
	s_barrier
	ds_write2_b64 v89, v[25:26], v[27:28] offset1:1
	s_waitcnt lgkmcnt(0)
	s_barrier
	ds_read2_b64 v[117:120], v0 offset0:94 offset1:95
	s_cmp_lt_i32 s3, 49
	v_mov_b32_e32 v89, 47
	s_cbranch_scc1 .LBB108_989
; %bb.987:
	v_add_u32_e32 v90, 0x300, v0
	s_mov_b32 s0, 48
	v_mov_b32_e32 v89, 47
.LBB108_988:                            ; =>This Inner Loop Header: Depth=1
	s_waitcnt lgkmcnt(0)
	v_cmp_gt_f64_e32 vcc, 0, v[117:118]
	v_xor_b32_e32 v91, 0x80000000, v118
	ds_read2_b64 v[95:98], v90 offset1:1
	v_xor_b32_e32 v99, 0x80000000, v120
	v_add_u32_e32 v90, 16, v90
	s_waitcnt lgkmcnt(0)
	v_xor_b32_e32 v101, 0x80000000, v98
	v_cndmask_b32_e32 v92, v118, v91, vcc
	v_cmp_gt_f64_e32 vcc, 0, v[119:120]
	v_mov_b32_e32 v91, v117
	v_cndmask_b32_e32 v100, v120, v99, vcc
	v_cmp_gt_f64_e32 vcc, 0, v[95:96]
	v_mov_b32_e32 v99, v119
	v_add_f64 v[91:92], v[91:92], v[99:100]
	v_xor_b32_e32 v99, 0x80000000, v96
	v_cndmask_b32_e32 v100, v96, v99, vcc
	v_cmp_gt_f64_e32 vcc, 0, v[97:98]
	v_mov_b32_e32 v99, v95
	v_cndmask_b32_e32 v102, v98, v101, vcc
	v_mov_b32_e32 v101, v97
	v_add_f64 v[99:100], v[99:100], v[101:102]
	v_cmp_lt_f64_e32 vcc, v[91:92], v[99:100]
	v_mov_b32_e32 v91, s0
	s_add_i32 s0, s0, 1
	s_cmp_lg_u32 s3, s0
	v_cndmask_b32_e32 v118, v118, v96, vcc
	v_cndmask_b32_e32 v117, v117, v95, vcc
	;; [unrolled: 1-line block ×5, first 2 shown]
	s_cbranch_scc1 .LBB108_988
.LBB108_989:
	s_waitcnt lgkmcnt(0)
	v_cmp_eq_f64_e32 vcc, 0, v[117:118]
	v_cmp_eq_f64_e64 s[0:1], 0, v[119:120]
	s_and_b64 s[0:1], vcc, s[0:1]
	s_and_saveexec_b64 s[18:19], s[0:1]
	s_xor_b64 s[0:1], exec, s[18:19]
; %bb.990:
	v_cmp_ne_u32_e32 vcc, 0, v94
	v_cndmask_b32_e32 v94, 48, v94, vcc
; %bb.991:
	s_andn2_saveexec_b64 s[0:1], s[0:1]
	s_cbranch_execz .LBB108_997
; %bb.992:
	v_cmp_ngt_f64_e64 s[18:19], |v[117:118]|, |v[119:120]|
	s_and_saveexec_b64 s[20:21], s[18:19]
	s_xor_b64 s[18:19], exec, s[20:21]
	s_cbranch_execz .LBB108_994
; %bb.993:
	v_div_scale_f64 v[90:91], s[20:21], v[119:120], v[119:120], v[117:118]
	v_rcp_f64_e32 v[95:96], v[90:91]
	v_fma_f64 v[97:98], -v[90:91], v[95:96], 1.0
	v_fma_f64 v[95:96], v[95:96], v[97:98], v[95:96]
	v_div_scale_f64 v[97:98], vcc, v[117:118], v[119:120], v[117:118]
	v_fma_f64 v[99:100], -v[90:91], v[95:96], 1.0
	v_fma_f64 v[95:96], v[95:96], v[99:100], v[95:96]
	v_mul_f64 v[99:100], v[97:98], v[95:96]
	v_fma_f64 v[90:91], -v[90:91], v[99:100], v[97:98]
	v_div_fmas_f64 v[90:91], v[90:91], v[95:96], v[99:100]
	v_div_fixup_f64 v[90:91], v[90:91], v[119:120], v[117:118]
	v_fma_f64 v[95:96], v[117:118], v[90:91], v[119:120]
	v_div_scale_f64 v[97:98], s[20:21], v[95:96], v[95:96], 1.0
	v_div_scale_f64 v[103:104], vcc, 1.0, v[95:96], 1.0
	v_rcp_f64_e32 v[99:100], v[97:98]
	v_fma_f64 v[101:102], -v[97:98], v[99:100], 1.0
	v_fma_f64 v[99:100], v[99:100], v[101:102], v[99:100]
	v_fma_f64 v[101:102], -v[97:98], v[99:100], 1.0
	v_fma_f64 v[99:100], v[99:100], v[101:102], v[99:100]
	v_mul_f64 v[101:102], v[103:104], v[99:100]
	v_fma_f64 v[97:98], -v[97:98], v[101:102], v[103:104]
	v_div_fmas_f64 v[97:98], v[97:98], v[99:100], v[101:102]
	v_div_fixup_f64 v[119:120], v[97:98], v[95:96], 1.0
	v_mul_f64 v[117:118], v[90:91], v[119:120]
	v_xor_b32_e32 v120, 0x80000000, v120
.LBB108_994:
	s_andn2_saveexec_b64 s[18:19], s[18:19]
	s_cbranch_execz .LBB108_996
; %bb.995:
	v_div_scale_f64 v[90:91], s[20:21], v[117:118], v[117:118], v[119:120]
	v_rcp_f64_e32 v[95:96], v[90:91]
	v_fma_f64 v[97:98], -v[90:91], v[95:96], 1.0
	v_fma_f64 v[95:96], v[95:96], v[97:98], v[95:96]
	v_div_scale_f64 v[97:98], vcc, v[119:120], v[117:118], v[119:120]
	v_fma_f64 v[99:100], -v[90:91], v[95:96], 1.0
	v_fma_f64 v[95:96], v[95:96], v[99:100], v[95:96]
	v_mul_f64 v[99:100], v[97:98], v[95:96]
	v_fma_f64 v[90:91], -v[90:91], v[99:100], v[97:98]
	v_div_fmas_f64 v[90:91], v[90:91], v[95:96], v[99:100]
	v_div_fixup_f64 v[90:91], v[90:91], v[117:118], v[119:120]
	v_fma_f64 v[95:96], v[119:120], v[90:91], v[117:118]
	v_div_scale_f64 v[97:98], s[20:21], v[95:96], v[95:96], 1.0
	v_div_scale_f64 v[103:104], vcc, 1.0, v[95:96], 1.0
	v_rcp_f64_e32 v[99:100], v[97:98]
	v_fma_f64 v[101:102], -v[97:98], v[99:100], 1.0
	v_fma_f64 v[99:100], v[99:100], v[101:102], v[99:100]
	v_fma_f64 v[101:102], -v[97:98], v[99:100], 1.0
	v_fma_f64 v[99:100], v[99:100], v[101:102], v[99:100]
	v_mul_f64 v[101:102], v[103:104], v[99:100]
	v_fma_f64 v[97:98], -v[97:98], v[101:102], v[103:104]
	v_div_fmas_f64 v[97:98], v[97:98], v[99:100], v[101:102]
	v_div_fixup_f64 v[117:118], v[97:98], v[95:96], 1.0
	v_mul_f64 v[119:120], v[90:91], -v[117:118]
.LBB108_996:
	s_or_b64 exec, exec, s[18:19]
.LBB108_997:
	s_or_b64 exec, exec, s[0:1]
	v_cmp_ne_u32_e32 vcc, v93, v89
	s_and_saveexec_b64 s[0:1], vcc
	s_xor_b64 s[0:1], exec, s[0:1]
	s_cbranch_execz .LBB108_1003
; %bb.998:
	v_cmp_eq_u32_e32 vcc, 47, v93
	s_and_saveexec_b64 s[18:19], vcc
	s_cbranch_execz .LBB108_1002
; %bb.999:
	v_cmp_ne_u32_e32 vcc, 47, v89
	s_xor_b64 s[20:21], s[6:7], -1
	s_and_b64 s[22:23], s[20:21], vcc
	s_and_saveexec_b64 s[20:21], s[22:23]
	s_cbranch_execz .LBB108_1001
; %bb.1000:
	buffer_load_dword v81, off, s[24:27], 0 offset:452 ; 4-byte Folded Reload
	buffer_load_dword v82, off, s[24:27], 0 offset:456 ; 4-byte Folded Reload
	v_ashrrev_i32_e32 v90, 31, v89
	v_lshlrev_b64 v[90:91], 2, v[89:90]
	s_waitcnt vmcnt(1)
	v_add_co_u32_e32 v90, vcc, v81, v90
	s_waitcnt vmcnt(0)
	v_addc_co_u32_e32 v91, vcc, v82, v91, vcc
	global_load_dword v92, v[90:91], off
	global_load_dword v93, v[81:82], off offset:188
	s_waitcnt vmcnt(1)
	global_store_dword v[81:82], v92, off offset:188
	v_mov_b32_e32 v81, v105
	v_mov_b32_e32 v82, v106
	;; [unrolled: 1-line block ×4, first 2 shown]
	s_waitcnt vmcnt(1)
	global_store_dword v[90:91], v93, off
.LBB108_1001:
	s_or_b64 exec, exec, s[20:21]
	v_mov_b32_e32 v93, v89
	v_mov_b32_e32 v73, v89
	buffer_store_dword v73, off, s[24:27], 0 offset:368 ; 4-byte Folded Spill
.LBB108_1002:
	s_or_b64 exec, exec, s[18:19]
.LBB108_1003:
	s_andn2_saveexec_b64 s[0:1], s[0:1]
	s_cbranch_execz .LBB108_1005
; %bb.1004:
	v_mov_b32_e32 v93, 47
	ds_write2_b64 v0, v[21:22], v[23:24] offset0:96 offset1:97
	ds_write2_b64 v0, v[17:18], v[19:20] offset0:98 offset1:99
	;; [unrolled: 1-line block ×7, first 2 shown]
.LBB108_1005:
	s_or_b64 exec, exec, s[0:1]
	v_cmp_lt_i32_e32 vcc, 47, v93
	s_waitcnt vmcnt(0) lgkmcnt(0)
	s_barrier
	s_and_saveexec_b64 s[0:1], vcc
	s_cbranch_execz .LBB108_1007
; %bb.1006:
	v_mul_f64 v[89:90], v[117:118], v[27:28]
	v_mul_f64 v[27:28], v[119:120], v[27:28]
	ds_read2_b64 v[95:98], v0 offset0:96 offset1:97
	v_fma_f64 v[89:90], v[119:120], v[25:26], v[89:90]
	v_fma_f64 v[25:26], v[117:118], v[25:26], -v[27:28]
	s_waitcnt lgkmcnt(0)
	v_mul_f64 v[27:28], v[97:98], v[89:90]
	v_mul_f64 v[91:92], v[95:96], v[89:90]
	v_fma_f64 v[27:28], v[95:96], v[25:26], -v[27:28]
	v_fma_f64 v[91:92], v[97:98], v[25:26], v[91:92]
	ds_read2_b64 v[95:98], v0 offset0:98 offset1:99
	v_add_f64 v[21:22], v[21:22], -v[27:28]
	v_add_f64 v[23:24], v[23:24], -v[91:92]
	s_waitcnt lgkmcnt(0)
	v_mul_f64 v[27:28], v[97:98], v[89:90]
	v_mul_f64 v[91:92], v[95:96], v[89:90]
	v_fma_f64 v[27:28], v[95:96], v[25:26], -v[27:28]
	v_fma_f64 v[91:92], v[97:98], v[25:26], v[91:92]
	ds_read2_b64 v[95:98], v0 offset0:100 offset1:101
	v_add_f64 v[17:18], v[17:18], -v[27:28]
	v_add_f64 v[19:20], v[19:20], -v[91:92]
	;; [unrolled: 8-line block ×6, first 2 shown]
	s_waitcnt lgkmcnt(0)
	v_mul_f64 v[27:28], v[97:98], v[89:90]
	v_mul_f64 v[91:92], v[95:96], v[89:90]
	v_fma_f64 v[27:28], v[95:96], v[25:26], -v[27:28]
	v_fma_f64 v[91:92], v[97:98], v[25:26], v[91:92]
	v_add_f64 v[121:122], v[121:122], -v[27:28]
	v_add_f64 v[123:124], v[123:124], -v[91:92]
	v_mov_b32_e32 v27, v89
	v_mov_b32_e32 v28, v90
.LBB108_1007:
	s_or_b64 exec, exec, s[0:1]
	v_lshl_add_u32 v89, v93, 4, v0
	s_barrier
	ds_write2_b64 v89, v[21:22], v[23:24] offset1:1
	s_waitcnt lgkmcnt(0)
	s_barrier
	ds_read2_b64 v[117:120], v0 offset0:96 offset1:97
	s_cmp_lt_i32 s3, 50
	v_mov_b32_e32 v89, 48
	s_cbranch_scc1 .LBB108_1010
; %bb.1008:
	v_add_u32_e32 v90, 0x310, v0
	s_mov_b32 s0, 49
	v_mov_b32_e32 v89, 48
.LBB108_1009:                           ; =>This Inner Loop Header: Depth=1
	s_waitcnt lgkmcnt(0)
	v_cmp_gt_f64_e32 vcc, 0, v[117:118]
	v_xor_b32_e32 v91, 0x80000000, v118
	ds_read2_b64 v[95:98], v90 offset1:1
	v_xor_b32_e32 v99, 0x80000000, v120
	v_add_u32_e32 v90, 16, v90
	s_waitcnt lgkmcnt(0)
	v_xor_b32_e32 v101, 0x80000000, v98
	v_cndmask_b32_e32 v92, v118, v91, vcc
	v_cmp_gt_f64_e32 vcc, 0, v[119:120]
	v_mov_b32_e32 v91, v117
	v_cndmask_b32_e32 v100, v120, v99, vcc
	v_cmp_gt_f64_e32 vcc, 0, v[95:96]
	v_mov_b32_e32 v99, v119
	v_add_f64 v[91:92], v[91:92], v[99:100]
	v_xor_b32_e32 v99, 0x80000000, v96
	v_cndmask_b32_e32 v100, v96, v99, vcc
	v_cmp_gt_f64_e32 vcc, 0, v[97:98]
	v_mov_b32_e32 v99, v95
	v_cndmask_b32_e32 v102, v98, v101, vcc
	v_mov_b32_e32 v101, v97
	v_add_f64 v[99:100], v[99:100], v[101:102]
	v_cmp_lt_f64_e32 vcc, v[91:92], v[99:100]
	v_mov_b32_e32 v91, s0
	s_add_i32 s0, s0, 1
	s_cmp_lg_u32 s3, s0
	v_cndmask_b32_e32 v118, v118, v96, vcc
	v_cndmask_b32_e32 v117, v117, v95, vcc
	;; [unrolled: 1-line block ×5, first 2 shown]
	s_cbranch_scc1 .LBB108_1009
.LBB108_1010:
	s_waitcnt lgkmcnt(0)
	v_cmp_eq_f64_e32 vcc, 0, v[117:118]
	v_cmp_eq_f64_e64 s[0:1], 0, v[119:120]
	s_and_b64 s[0:1], vcc, s[0:1]
	s_and_saveexec_b64 s[18:19], s[0:1]
	s_xor_b64 s[0:1], exec, s[18:19]
; %bb.1011:
	v_cmp_ne_u32_e32 vcc, 0, v94
	v_cndmask_b32_e32 v94, 49, v94, vcc
; %bb.1012:
	s_andn2_saveexec_b64 s[0:1], s[0:1]
	s_cbranch_execz .LBB108_1018
; %bb.1013:
	v_cmp_ngt_f64_e64 s[18:19], |v[117:118]|, |v[119:120]|
	s_and_saveexec_b64 s[20:21], s[18:19]
	s_xor_b64 s[18:19], exec, s[20:21]
	s_cbranch_execz .LBB108_1015
; %bb.1014:
	v_div_scale_f64 v[90:91], s[20:21], v[119:120], v[119:120], v[117:118]
	v_rcp_f64_e32 v[95:96], v[90:91]
	v_fma_f64 v[97:98], -v[90:91], v[95:96], 1.0
	v_fma_f64 v[95:96], v[95:96], v[97:98], v[95:96]
	v_div_scale_f64 v[97:98], vcc, v[117:118], v[119:120], v[117:118]
	v_fma_f64 v[99:100], -v[90:91], v[95:96], 1.0
	v_fma_f64 v[95:96], v[95:96], v[99:100], v[95:96]
	v_mul_f64 v[99:100], v[97:98], v[95:96]
	v_fma_f64 v[90:91], -v[90:91], v[99:100], v[97:98]
	v_div_fmas_f64 v[90:91], v[90:91], v[95:96], v[99:100]
	v_div_fixup_f64 v[90:91], v[90:91], v[119:120], v[117:118]
	v_fma_f64 v[95:96], v[117:118], v[90:91], v[119:120]
	v_div_scale_f64 v[97:98], s[20:21], v[95:96], v[95:96], 1.0
	v_div_scale_f64 v[103:104], vcc, 1.0, v[95:96], 1.0
	v_rcp_f64_e32 v[99:100], v[97:98]
	v_fma_f64 v[101:102], -v[97:98], v[99:100], 1.0
	v_fma_f64 v[99:100], v[99:100], v[101:102], v[99:100]
	v_fma_f64 v[101:102], -v[97:98], v[99:100], 1.0
	v_fma_f64 v[99:100], v[99:100], v[101:102], v[99:100]
	v_mul_f64 v[101:102], v[103:104], v[99:100]
	v_fma_f64 v[97:98], -v[97:98], v[101:102], v[103:104]
	v_div_fmas_f64 v[97:98], v[97:98], v[99:100], v[101:102]
	v_div_fixup_f64 v[119:120], v[97:98], v[95:96], 1.0
	v_mul_f64 v[117:118], v[90:91], v[119:120]
	v_xor_b32_e32 v120, 0x80000000, v120
.LBB108_1015:
	s_andn2_saveexec_b64 s[18:19], s[18:19]
	s_cbranch_execz .LBB108_1017
; %bb.1016:
	v_div_scale_f64 v[90:91], s[20:21], v[117:118], v[117:118], v[119:120]
	v_rcp_f64_e32 v[95:96], v[90:91]
	v_fma_f64 v[97:98], -v[90:91], v[95:96], 1.0
	v_fma_f64 v[95:96], v[95:96], v[97:98], v[95:96]
	v_div_scale_f64 v[97:98], vcc, v[119:120], v[117:118], v[119:120]
	v_fma_f64 v[99:100], -v[90:91], v[95:96], 1.0
	v_fma_f64 v[95:96], v[95:96], v[99:100], v[95:96]
	v_mul_f64 v[99:100], v[97:98], v[95:96]
	v_fma_f64 v[90:91], -v[90:91], v[99:100], v[97:98]
	v_div_fmas_f64 v[90:91], v[90:91], v[95:96], v[99:100]
	v_div_fixup_f64 v[90:91], v[90:91], v[117:118], v[119:120]
	v_fma_f64 v[95:96], v[119:120], v[90:91], v[117:118]
	v_div_scale_f64 v[97:98], s[20:21], v[95:96], v[95:96], 1.0
	v_div_scale_f64 v[103:104], vcc, 1.0, v[95:96], 1.0
	v_rcp_f64_e32 v[99:100], v[97:98]
	v_fma_f64 v[101:102], -v[97:98], v[99:100], 1.0
	v_fma_f64 v[99:100], v[99:100], v[101:102], v[99:100]
	v_fma_f64 v[101:102], -v[97:98], v[99:100], 1.0
	v_fma_f64 v[99:100], v[99:100], v[101:102], v[99:100]
	v_mul_f64 v[101:102], v[103:104], v[99:100]
	v_fma_f64 v[97:98], -v[97:98], v[101:102], v[103:104]
	v_div_fmas_f64 v[97:98], v[97:98], v[99:100], v[101:102]
	v_div_fixup_f64 v[117:118], v[97:98], v[95:96], 1.0
	v_mul_f64 v[119:120], v[90:91], -v[117:118]
.LBB108_1017:
	s_or_b64 exec, exec, s[18:19]
.LBB108_1018:
	s_or_b64 exec, exec, s[0:1]
	v_cmp_ne_u32_e32 vcc, v93, v89
	s_and_saveexec_b64 s[0:1], vcc
	s_xor_b64 s[0:1], exec, s[0:1]
	s_cbranch_execz .LBB108_1024
; %bb.1019:
	v_cmp_eq_u32_e32 vcc, 48, v93
	s_and_saveexec_b64 s[18:19], vcc
	s_cbranch_execz .LBB108_1023
; %bb.1020:
	v_cmp_ne_u32_e32 vcc, 48, v89
	s_xor_b64 s[20:21], s[6:7], -1
	s_and_b64 s[22:23], s[20:21], vcc
	s_and_saveexec_b64 s[20:21], s[22:23]
	s_cbranch_execz .LBB108_1022
; %bb.1021:
	buffer_load_dword v81, off, s[24:27], 0 offset:452 ; 4-byte Folded Reload
	buffer_load_dword v82, off, s[24:27], 0 offset:456 ; 4-byte Folded Reload
	v_ashrrev_i32_e32 v90, 31, v89
	v_lshlrev_b64 v[90:91], 2, v[89:90]
	s_waitcnt vmcnt(1)
	v_add_co_u32_e32 v90, vcc, v81, v90
	s_waitcnt vmcnt(0)
	v_addc_co_u32_e32 v91, vcc, v82, v91, vcc
	global_load_dword v92, v[90:91], off
	global_load_dword v93, v[81:82], off offset:192
	s_waitcnt vmcnt(1)
	global_store_dword v[81:82], v92, off offset:192
	v_mov_b32_e32 v81, v105
	v_mov_b32_e32 v82, v106
	;; [unrolled: 1-line block ×4, first 2 shown]
	s_waitcnt vmcnt(1)
	global_store_dword v[90:91], v93, off
.LBB108_1022:
	s_or_b64 exec, exec, s[20:21]
	v_mov_b32_e32 v93, v89
	v_mov_b32_e32 v73, v89
	buffer_store_dword v73, off, s[24:27], 0 offset:368 ; 4-byte Folded Spill
.LBB108_1023:
	s_or_b64 exec, exec, s[18:19]
.LBB108_1024:
	s_andn2_saveexec_b64 s[0:1], s[0:1]
	s_cbranch_execz .LBB108_1026
; %bb.1025:
	v_mov_b32_e32 v93, 48
	ds_write2_b64 v0, v[17:18], v[19:20] offset0:98 offset1:99
	ds_write2_b64 v0, v[13:14], v[15:16] offset0:100 offset1:101
	;; [unrolled: 1-line block ×6, first 2 shown]
.LBB108_1026:
	s_or_b64 exec, exec, s[0:1]
	v_cmp_lt_i32_e32 vcc, 48, v93
	s_waitcnt vmcnt(0) lgkmcnt(0)
	s_barrier
	s_and_saveexec_b64 s[0:1], vcc
	s_cbranch_execz .LBB108_1028
; %bb.1027:
	v_mul_f64 v[89:90], v[117:118], v[23:24]
	v_mul_f64 v[23:24], v[119:120], v[23:24]
	ds_read2_b64 v[95:98], v0 offset0:98 offset1:99
	v_fma_f64 v[89:90], v[119:120], v[21:22], v[89:90]
	v_fma_f64 v[21:22], v[117:118], v[21:22], -v[23:24]
	s_waitcnt lgkmcnt(0)
	v_mul_f64 v[23:24], v[97:98], v[89:90]
	v_mul_f64 v[91:92], v[95:96], v[89:90]
	v_fma_f64 v[23:24], v[95:96], v[21:22], -v[23:24]
	v_fma_f64 v[91:92], v[97:98], v[21:22], v[91:92]
	ds_read2_b64 v[95:98], v0 offset0:100 offset1:101
	v_add_f64 v[17:18], v[17:18], -v[23:24]
	v_add_f64 v[19:20], v[19:20], -v[91:92]
	s_waitcnt lgkmcnt(0)
	v_mul_f64 v[23:24], v[97:98], v[89:90]
	v_mul_f64 v[91:92], v[95:96], v[89:90]
	v_fma_f64 v[23:24], v[95:96], v[21:22], -v[23:24]
	v_fma_f64 v[91:92], v[97:98], v[21:22], v[91:92]
	ds_read2_b64 v[95:98], v0 offset0:102 offset1:103
	v_add_f64 v[13:14], v[13:14], -v[23:24]
	v_add_f64 v[15:16], v[15:16], -v[91:92]
	;; [unrolled: 8-line block ×5, first 2 shown]
	s_waitcnt lgkmcnt(0)
	v_mul_f64 v[23:24], v[97:98], v[89:90]
	v_mul_f64 v[91:92], v[95:96], v[89:90]
	v_fma_f64 v[23:24], v[95:96], v[21:22], -v[23:24]
	v_fma_f64 v[91:92], v[97:98], v[21:22], v[91:92]
	v_add_f64 v[121:122], v[121:122], -v[23:24]
	v_add_f64 v[123:124], v[123:124], -v[91:92]
	v_mov_b32_e32 v23, v89
	v_mov_b32_e32 v24, v90
.LBB108_1028:
	s_or_b64 exec, exec, s[0:1]
	v_lshl_add_u32 v89, v93, 4, v0
	s_barrier
	ds_write2_b64 v89, v[17:18], v[19:20] offset1:1
	s_waitcnt lgkmcnt(0)
	s_barrier
	ds_read2_b64 v[117:120], v0 offset0:98 offset1:99
	s_cmp_lt_i32 s3, 51
	v_mov_b32_e32 v89, 49
	s_cbranch_scc1 .LBB108_1031
; %bb.1029:
	v_add_u32_e32 v90, 0x320, v0
	s_mov_b32 s0, 50
	v_mov_b32_e32 v89, 49
.LBB108_1030:                           ; =>This Inner Loop Header: Depth=1
	s_waitcnt lgkmcnt(0)
	v_cmp_gt_f64_e32 vcc, 0, v[117:118]
	v_xor_b32_e32 v91, 0x80000000, v118
	ds_read2_b64 v[95:98], v90 offset1:1
	v_xor_b32_e32 v99, 0x80000000, v120
	v_add_u32_e32 v90, 16, v90
	s_waitcnt lgkmcnt(0)
	v_xor_b32_e32 v101, 0x80000000, v98
	v_cndmask_b32_e32 v92, v118, v91, vcc
	v_cmp_gt_f64_e32 vcc, 0, v[119:120]
	v_mov_b32_e32 v91, v117
	v_cndmask_b32_e32 v100, v120, v99, vcc
	v_cmp_gt_f64_e32 vcc, 0, v[95:96]
	v_mov_b32_e32 v99, v119
	v_add_f64 v[91:92], v[91:92], v[99:100]
	v_xor_b32_e32 v99, 0x80000000, v96
	v_cndmask_b32_e32 v100, v96, v99, vcc
	v_cmp_gt_f64_e32 vcc, 0, v[97:98]
	v_mov_b32_e32 v99, v95
	v_cndmask_b32_e32 v102, v98, v101, vcc
	v_mov_b32_e32 v101, v97
	v_add_f64 v[99:100], v[99:100], v[101:102]
	v_cmp_lt_f64_e32 vcc, v[91:92], v[99:100]
	v_mov_b32_e32 v91, s0
	s_add_i32 s0, s0, 1
	s_cmp_lg_u32 s3, s0
	v_cndmask_b32_e32 v118, v118, v96, vcc
	v_cndmask_b32_e32 v117, v117, v95, vcc
	;; [unrolled: 1-line block ×5, first 2 shown]
	s_cbranch_scc1 .LBB108_1030
.LBB108_1031:
	s_waitcnt lgkmcnt(0)
	v_cmp_eq_f64_e32 vcc, 0, v[117:118]
	v_cmp_eq_f64_e64 s[0:1], 0, v[119:120]
	s_and_b64 s[0:1], vcc, s[0:1]
	s_and_saveexec_b64 s[18:19], s[0:1]
	s_xor_b64 s[0:1], exec, s[18:19]
; %bb.1032:
	v_cmp_ne_u32_e32 vcc, 0, v94
	v_cndmask_b32_e32 v94, 50, v94, vcc
; %bb.1033:
	s_andn2_saveexec_b64 s[0:1], s[0:1]
	s_cbranch_execz .LBB108_1039
; %bb.1034:
	v_cmp_ngt_f64_e64 s[18:19], |v[117:118]|, |v[119:120]|
	s_and_saveexec_b64 s[20:21], s[18:19]
	s_xor_b64 s[18:19], exec, s[20:21]
	s_cbranch_execz .LBB108_1036
; %bb.1035:
	v_div_scale_f64 v[90:91], s[20:21], v[119:120], v[119:120], v[117:118]
	v_rcp_f64_e32 v[95:96], v[90:91]
	v_fma_f64 v[97:98], -v[90:91], v[95:96], 1.0
	v_fma_f64 v[95:96], v[95:96], v[97:98], v[95:96]
	v_div_scale_f64 v[97:98], vcc, v[117:118], v[119:120], v[117:118]
	v_fma_f64 v[99:100], -v[90:91], v[95:96], 1.0
	v_fma_f64 v[95:96], v[95:96], v[99:100], v[95:96]
	v_mul_f64 v[99:100], v[97:98], v[95:96]
	v_fma_f64 v[90:91], -v[90:91], v[99:100], v[97:98]
	v_div_fmas_f64 v[90:91], v[90:91], v[95:96], v[99:100]
	v_div_fixup_f64 v[90:91], v[90:91], v[119:120], v[117:118]
	v_fma_f64 v[95:96], v[117:118], v[90:91], v[119:120]
	v_div_scale_f64 v[97:98], s[20:21], v[95:96], v[95:96], 1.0
	v_div_scale_f64 v[103:104], vcc, 1.0, v[95:96], 1.0
	v_rcp_f64_e32 v[99:100], v[97:98]
	v_fma_f64 v[101:102], -v[97:98], v[99:100], 1.0
	v_fma_f64 v[99:100], v[99:100], v[101:102], v[99:100]
	v_fma_f64 v[101:102], -v[97:98], v[99:100], 1.0
	v_fma_f64 v[99:100], v[99:100], v[101:102], v[99:100]
	v_mul_f64 v[101:102], v[103:104], v[99:100]
	v_fma_f64 v[97:98], -v[97:98], v[101:102], v[103:104]
	v_div_fmas_f64 v[97:98], v[97:98], v[99:100], v[101:102]
	v_div_fixup_f64 v[119:120], v[97:98], v[95:96], 1.0
	v_mul_f64 v[117:118], v[90:91], v[119:120]
	v_xor_b32_e32 v120, 0x80000000, v120
.LBB108_1036:
	s_andn2_saveexec_b64 s[18:19], s[18:19]
	s_cbranch_execz .LBB108_1038
; %bb.1037:
	v_div_scale_f64 v[90:91], s[20:21], v[117:118], v[117:118], v[119:120]
	v_rcp_f64_e32 v[95:96], v[90:91]
	v_fma_f64 v[97:98], -v[90:91], v[95:96], 1.0
	v_fma_f64 v[95:96], v[95:96], v[97:98], v[95:96]
	v_div_scale_f64 v[97:98], vcc, v[119:120], v[117:118], v[119:120]
	v_fma_f64 v[99:100], -v[90:91], v[95:96], 1.0
	v_fma_f64 v[95:96], v[95:96], v[99:100], v[95:96]
	v_mul_f64 v[99:100], v[97:98], v[95:96]
	v_fma_f64 v[90:91], -v[90:91], v[99:100], v[97:98]
	v_div_fmas_f64 v[90:91], v[90:91], v[95:96], v[99:100]
	v_div_fixup_f64 v[90:91], v[90:91], v[117:118], v[119:120]
	v_fma_f64 v[95:96], v[119:120], v[90:91], v[117:118]
	v_div_scale_f64 v[97:98], s[20:21], v[95:96], v[95:96], 1.0
	v_div_scale_f64 v[103:104], vcc, 1.0, v[95:96], 1.0
	v_rcp_f64_e32 v[99:100], v[97:98]
	v_fma_f64 v[101:102], -v[97:98], v[99:100], 1.0
	v_fma_f64 v[99:100], v[99:100], v[101:102], v[99:100]
	v_fma_f64 v[101:102], -v[97:98], v[99:100], 1.0
	v_fma_f64 v[99:100], v[99:100], v[101:102], v[99:100]
	v_mul_f64 v[101:102], v[103:104], v[99:100]
	v_fma_f64 v[97:98], -v[97:98], v[101:102], v[103:104]
	v_div_fmas_f64 v[97:98], v[97:98], v[99:100], v[101:102]
	v_div_fixup_f64 v[117:118], v[97:98], v[95:96], 1.0
	v_mul_f64 v[119:120], v[90:91], -v[117:118]
.LBB108_1038:
	s_or_b64 exec, exec, s[18:19]
.LBB108_1039:
	s_or_b64 exec, exec, s[0:1]
	v_cmp_ne_u32_e32 vcc, v93, v89
	s_and_saveexec_b64 s[0:1], vcc
	s_xor_b64 s[0:1], exec, s[0:1]
	s_cbranch_execz .LBB108_1045
; %bb.1040:
	v_cmp_eq_u32_e32 vcc, 49, v93
	s_and_saveexec_b64 s[18:19], vcc
	s_cbranch_execz .LBB108_1044
; %bb.1041:
	v_cmp_ne_u32_e32 vcc, 49, v89
	s_xor_b64 s[20:21], s[6:7], -1
	s_and_b64 s[22:23], s[20:21], vcc
	s_and_saveexec_b64 s[20:21], s[22:23]
	s_cbranch_execz .LBB108_1043
; %bb.1042:
	buffer_load_dword v81, off, s[24:27], 0 offset:452 ; 4-byte Folded Reload
	buffer_load_dword v82, off, s[24:27], 0 offset:456 ; 4-byte Folded Reload
	v_ashrrev_i32_e32 v90, 31, v89
	v_lshlrev_b64 v[90:91], 2, v[89:90]
	s_waitcnt vmcnt(1)
	v_add_co_u32_e32 v90, vcc, v81, v90
	s_waitcnt vmcnt(0)
	v_addc_co_u32_e32 v91, vcc, v82, v91, vcc
	global_load_dword v92, v[90:91], off
	global_load_dword v93, v[81:82], off offset:196
	s_waitcnt vmcnt(1)
	global_store_dword v[81:82], v92, off offset:196
	v_mov_b32_e32 v81, v105
	v_mov_b32_e32 v82, v106
	v_mov_b32_e32 v83, v107
	v_mov_b32_e32 v84, v108
	s_waitcnt vmcnt(1)
	global_store_dword v[90:91], v93, off
.LBB108_1043:
	s_or_b64 exec, exec, s[20:21]
	v_mov_b32_e32 v93, v89
	v_mov_b32_e32 v73, v89
	buffer_store_dword v73, off, s[24:27], 0 offset:368 ; 4-byte Folded Spill
.LBB108_1044:
	s_or_b64 exec, exec, s[18:19]
.LBB108_1045:
	s_andn2_saveexec_b64 s[0:1], s[0:1]
	s_cbranch_execz .LBB108_1047
; %bb.1046:
	v_mov_b32_e32 v93, 49
	ds_write2_b64 v0, v[13:14], v[15:16] offset0:100 offset1:101
	ds_write2_b64 v0, v[9:10], v[11:12] offset0:102 offset1:103
	;; [unrolled: 1-line block ×5, first 2 shown]
.LBB108_1047:
	s_or_b64 exec, exec, s[0:1]
	v_cmp_lt_i32_e32 vcc, 49, v93
	s_waitcnt vmcnt(0) lgkmcnt(0)
	s_barrier
	s_and_saveexec_b64 s[0:1], vcc
	s_cbranch_execz .LBB108_1049
; %bb.1048:
	v_mul_f64 v[89:90], v[117:118], v[19:20]
	v_mul_f64 v[19:20], v[119:120], v[19:20]
	v_fma_f64 v[95:96], v[119:120], v[17:18], v[89:90]
	ds_read2_b64 v[89:92], v0 offset0:100 offset1:101
	v_fma_f64 v[17:18], v[117:118], v[17:18], -v[19:20]
	s_waitcnt lgkmcnt(0)
	v_mul_f64 v[19:20], v[91:92], v[95:96]
	v_fma_f64 v[19:20], v[89:90], v[17:18], -v[19:20]
	v_mul_f64 v[89:90], v[89:90], v[95:96]
	v_add_f64 v[13:14], v[13:14], -v[19:20]
	v_fma_f64 v[89:90], v[91:92], v[17:18], v[89:90]
	v_add_f64 v[15:16], v[15:16], -v[89:90]
	ds_read2_b64 v[89:92], v0 offset0:102 offset1:103
	s_waitcnt lgkmcnt(0)
	v_mul_f64 v[19:20], v[91:92], v[95:96]
	v_fma_f64 v[19:20], v[89:90], v[17:18], -v[19:20]
	v_mul_f64 v[89:90], v[89:90], v[95:96]
	v_add_f64 v[9:10], v[9:10], -v[19:20]
	v_fma_f64 v[89:90], v[91:92], v[17:18], v[89:90]
	v_add_f64 v[11:12], v[11:12], -v[89:90]
	ds_read2_b64 v[89:92], v0 offset0:104 offset1:105
	;; [unrolled: 8-line block ×4, first 2 shown]
	s_waitcnt lgkmcnt(0)
	v_mul_f64 v[19:20], v[91:92], v[95:96]
	v_fma_f64 v[19:20], v[89:90], v[17:18], -v[19:20]
	v_mul_f64 v[89:90], v[89:90], v[95:96]
	v_add_f64 v[121:122], v[121:122], -v[19:20]
	v_fma_f64 v[89:90], v[91:92], v[17:18], v[89:90]
	v_mov_b32_e32 v19, v95
	v_mov_b32_e32 v20, v96
	v_add_f64 v[123:124], v[123:124], -v[89:90]
.LBB108_1049:
	s_or_b64 exec, exec, s[0:1]
	v_lshl_add_u32 v89, v93, 4, v0
	s_barrier
	ds_write2_b64 v89, v[13:14], v[15:16] offset1:1
	s_waitcnt lgkmcnt(0)
	s_barrier
	ds_read2_b64 v[117:120], v0 offset0:100 offset1:101
	s_cmp_lt_i32 s3, 52
	v_mov_b32_e32 v89, 50
	s_cbranch_scc1 .LBB108_1052
; %bb.1050:
	v_add_u32_e32 v90, 0x330, v0
	s_mov_b32 s0, 51
	v_mov_b32_e32 v89, 50
.LBB108_1051:                           ; =>This Inner Loop Header: Depth=1
	s_waitcnt lgkmcnt(0)
	v_cmp_gt_f64_e32 vcc, 0, v[117:118]
	v_xor_b32_e32 v91, 0x80000000, v118
	ds_read2_b64 v[95:98], v90 offset1:1
	v_xor_b32_e32 v99, 0x80000000, v120
	v_add_u32_e32 v90, 16, v90
	s_waitcnt lgkmcnt(0)
	v_xor_b32_e32 v101, 0x80000000, v98
	v_cndmask_b32_e32 v92, v118, v91, vcc
	v_cmp_gt_f64_e32 vcc, 0, v[119:120]
	v_mov_b32_e32 v91, v117
	v_cndmask_b32_e32 v100, v120, v99, vcc
	v_cmp_gt_f64_e32 vcc, 0, v[95:96]
	v_mov_b32_e32 v99, v119
	v_add_f64 v[91:92], v[91:92], v[99:100]
	v_xor_b32_e32 v99, 0x80000000, v96
	v_cndmask_b32_e32 v100, v96, v99, vcc
	v_cmp_gt_f64_e32 vcc, 0, v[97:98]
	v_mov_b32_e32 v99, v95
	v_cndmask_b32_e32 v102, v98, v101, vcc
	v_mov_b32_e32 v101, v97
	v_add_f64 v[99:100], v[99:100], v[101:102]
	v_cmp_lt_f64_e32 vcc, v[91:92], v[99:100]
	v_mov_b32_e32 v91, s0
	s_add_i32 s0, s0, 1
	s_cmp_lg_u32 s3, s0
	v_cndmask_b32_e32 v118, v118, v96, vcc
	v_cndmask_b32_e32 v117, v117, v95, vcc
	;; [unrolled: 1-line block ×5, first 2 shown]
	s_cbranch_scc1 .LBB108_1051
.LBB108_1052:
	s_waitcnt lgkmcnt(0)
	v_cmp_eq_f64_e32 vcc, 0, v[117:118]
	v_cmp_eq_f64_e64 s[0:1], 0, v[119:120]
	s_and_b64 s[0:1], vcc, s[0:1]
	s_and_saveexec_b64 s[18:19], s[0:1]
	s_xor_b64 s[0:1], exec, s[18:19]
; %bb.1053:
	v_cmp_ne_u32_e32 vcc, 0, v94
	v_cndmask_b32_e32 v94, 51, v94, vcc
; %bb.1054:
	s_andn2_saveexec_b64 s[0:1], s[0:1]
	s_cbranch_execz .LBB108_1060
; %bb.1055:
	v_cmp_ngt_f64_e64 s[18:19], |v[117:118]|, |v[119:120]|
	s_and_saveexec_b64 s[20:21], s[18:19]
	s_xor_b64 s[18:19], exec, s[20:21]
	s_cbranch_execz .LBB108_1057
; %bb.1056:
	v_div_scale_f64 v[90:91], s[20:21], v[119:120], v[119:120], v[117:118]
	v_rcp_f64_e32 v[95:96], v[90:91]
	v_fma_f64 v[97:98], -v[90:91], v[95:96], 1.0
	v_fma_f64 v[95:96], v[95:96], v[97:98], v[95:96]
	v_div_scale_f64 v[97:98], vcc, v[117:118], v[119:120], v[117:118]
	v_fma_f64 v[99:100], -v[90:91], v[95:96], 1.0
	v_fma_f64 v[95:96], v[95:96], v[99:100], v[95:96]
	v_mul_f64 v[99:100], v[97:98], v[95:96]
	v_fma_f64 v[90:91], -v[90:91], v[99:100], v[97:98]
	v_div_fmas_f64 v[90:91], v[90:91], v[95:96], v[99:100]
	v_div_fixup_f64 v[90:91], v[90:91], v[119:120], v[117:118]
	v_fma_f64 v[95:96], v[117:118], v[90:91], v[119:120]
	v_div_scale_f64 v[97:98], s[20:21], v[95:96], v[95:96], 1.0
	v_div_scale_f64 v[103:104], vcc, 1.0, v[95:96], 1.0
	v_rcp_f64_e32 v[99:100], v[97:98]
	v_fma_f64 v[101:102], -v[97:98], v[99:100], 1.0
	v_fma_f64 v[99:100], v[99:100], v[101:102], v[99:100]
	v_fma_f64 v[101:102], -v[97:98], v[99:100], 1.0
	v_fma_f64 v[99:100], v[99:100], v[101:102], v[99:100]
	v_mul_f64 v[101:102], v[103:104], v[99:100]
	v_fma_f64 v[97:98], -v[97:98], v[101:102], v[103:104]
	v_div_fmas_f64 v[97:98], v[97:98], v[99:100], v[101:102]
	v_div_fixup_f64 v[119:120], v[97:98], v[95:96], 1.0
	v_mul_f64 v[117:118], v[90:91], v[119:120]
	v_xor_b32_e32 v120, 0x80000000, v120
.LBB108_1057:
	s_andn2_saveexec_b64 s[18:19], s[18:19]
	s_cbranch_execz .LBB108_1059
; %bb.1058:
	v_div_scale_f64 v[90:91], s[20:21], v[117:118], v[117:118], v[119:120]
	v_rcp_f64_e32 v[95:96], v[90:91]
	v_fma_f64 v[97:98], -v[90:91], v[95:96], 1.0
	v_fma_f64 v[95:96], v[95:96], v[97:98], v[95:96]
	v_div_scale_f64 v[97:98], vcc, v[119:120], v[117:118], v[119:120]
	v_fma_f64 v[99:100], -v[90:91], v[95:96], 1.0
	v_fma_f64 v[95:96], v[95:96], v[99:100], v[95:96]
	v_mul_f64 v[99:100], v[97:98], v[95:96]
	v_fma_f64 v[90:91], -v[90:91], v[99:100], v[97:98]
	v_div_fmas_f64 v[90:91], v[90:91], v[95:96], v[99:100]
	v_div_fixup_f64 v[90:91], v[90:91], v[117:118], v[119:120]
	v_fma_f64 v[95:96], v[119:120], v[90:91], v[117:118]
	v_div_scale_f64 v[97:98], s[20:21], v[95:96], v[95:96], 1.0
	v_div_scale_f64 v[103:104], vcc, 1.0, v[95:96], 1.0
	v_rcp_f64_e32 v[99:100], v[97:98]
	v_fma_f64 v[101:102], -v[97:98], v[99:100], 1.0
	v_fma_f64 v[99:100], v[99:100], v[101:102], v[99:100]
	v_fma_f64 v[101:102], -v[97:98], v[99:100], 1.0
	v_fma_f64 v[99:100], v[99:100], v[101:102], v[99:100]
	v_mul_f64 v[101:102], v[103:104], v[99:100]
	v_fma_f64 v[97:98], -v[97:98], v[101:102], v[103:104]
	v_div_fmas_f64 v[97:98], v[97:98], v[99:100], v[101:102]
	v_div_fixup_f64 v[117:118], v[97:98], v[95:96], 1.0
	v_mul_f64 v[119:120], v[90:91], -v[117:118]
.LBB108_1059:
	s_or_b64 exec, exec, s[18:19]
.LBB108_1060:
	s_or_b64 exec, exec, s[0:1]
	v_cmp_ne_u32_e32 vcc, v93, v89
	s_and_saveexec_b64 s[0:1], vcc
	s_xor_b64 s[0:1], exec, s[0:1]
	s_cbranch_execz .LBB108_1066
; %bb.1061:
	v_cmp_eq_u32_e32 vcc, 50, v93
	s_and_saveexec_b64 s[18:19], vcc
	s_cbranch_execz .LBB108_1065
; %bb.1062:
	v_cmp_ne_u32_e32 vcc, 50, v89
	s_xor_b64 s[20:21], s[6:7], -1
	s_and_b64 s[22:23], s[20:21], vcc
	s_and_saveexec_b64 s[20:21], s[22:23]
	s_cbranch_execz .LBB108_1064
; %bb.1063:
	buffer_load_dword v81, off, s[24:27], 0 offset:452 ; 4-byte Folded Reload
	buffer_load_dword v82, off, s[24:27], 0 offset:456 ; 4-byte Folded Reload
	v_ashrrev_i32_e32 v90, 31, v89
	v_lshlrev_b64 v[90:91], 2, v[89:90]
	s_waitcnt vmcnt(1)
	v_add_co_u32_e32 v90, vcc, v81, v90
	s_waitcnt vmcnt(0)
	v_addc_co_u32_e32 v91, vcc, v82, v91, vcc
	global_load_dword v92, v[90:91], off
	global_load_dword v93, v[81:82], off offset:200
	s_waitcnt vmcnt(1)
	global_store_dword v[81:82], v92, off offset:200
	v_mov_b32_e32 v81, v105
	v_mov_b32_e32 v82, v106
	;; [unrolled: 1-line block ×4, first 2 shown]
	s_waitcnt vmcnt(1)
	global_store_dword v[90:91], v93, off
.LBB108_1064:
	s_or_b64 exec, exec, s[20:21]
	v_mov_b32_e32 v93, v89
	v_mov_b32_e32 v73, v89
	buffer_store_dword v73, off, s[24:27], 0 offset:368 ; 4-byte Folded Spill
.LBB108_1065:
	s_or_b64 exec, exec, s[18:19]
.LBB108_1066:
	s_andn2_saveexec_b64 s[0:1], s[0:1]
	s_cbranch_execz .LBB108_1068
; %bb.1067:
	v_mov_b32_e32 v93, 50
	ds_write2_b64 v0, v[9:10], v[11:12] offset0:102 offset1:103
	ds_write2_b64 v0, v[5:6], v[7:8] offset0:104 offset1:105
	;; [unrolled: 1-line block ×4, first 2 shown]
.LBB108_1068:
	s_or_b64 exec, exec, s[0:1]
	v_cmp_lt_i32_e32 vcc, 50, v93
	s_waitcnt vmcnt(0) lgkmcnt(0)
	s_barrier
	s_and_saveexec_b64 s[0:1], vcc
	s_cbranch_execz .LBB108_1070
; %bb.1069:
	v_mul_f64 v[89:90], v[117:118], v[15:16]
	v_mul_f64 v[15:16], v[119:120], v[15:16]
	v_fma_f64 v[95:96], v[119:120], v[13:14], v[89:90]
	ds_read2_b64 v[89:92], v0 offset0:102 offset1:103
	v_fma_f64 v[13:14], v[117:118], v[13:14], -v[15:16]
	s_waitcnt lgkmcnt(0)
	v_mul_f64 v[15:16], v[91:92], v[95:96]
	v_fma_f64 v[15:16], v[89:90], v[13:14], -v[15:16]
	v_mul_f64 v[89:90], v[89:90], v[95:96]
	v_add_f64 v[9:10], v[9:10], -v[15:16]
	v_fma_f64 v[89:90], v[91:92], v[13:14], v[89:90]
	v_add_f64 v[11:12], v[11:12], -v[89:90]
	ds_read2_b64 v[89:92], v0 offset0:104 offset1:105
	s_waitcnt lgkmcnt(0)
	v_mul_f64 v[15:16], v[91:92], v[95:96]
	v_fma_f64 v[15:16], v[89:90], v[13:14], -v[15:16]
	v_mul_f64 v[89:90], v[89:90], v[95:96]
	v_add_f64 v[5:6], v[5:6], -v[15:16]
	v_fma_f64 v[89:90], v[91:92], v[13:14], v[89:90]
	v_add_f64 v[7:8], v[7:8], -v[89:90]
	ds_read2_b64 v[89:92], v0 offset0:106 offset1:107
	;; [unrolled: 8-line block ×3, first 2 shown]
	s_waitcnt lgkmcnt(0)
	v_mul_f64 v[15:16], v[91:92], v[95:96]
	v_fma_f64 v[15:16], v[89:90], v[13:14], -v[15:16]
	v_mul_f64 v[89:90], v[89:90], v[95:96]
	v_add_f64 v[121:122], v[121:122], -v[15:16]
	v_fma_f64 v[89:90], v[91:92], v[13:14], v[89:90]
	v_mov_b32_e32 v15, v95
	v_mov_b32_e32 v16, v96
	v_add_f64 v[123:124], v[123:124], -v[89:90]
.LBB108_1070:
	s_or_b64 exec, exec, s[0:1]
	v_lshl_add_u32 v89, v93, 4, v0
	s_barrier
	ds_write2_b64 v89, v[9:10], v[11:12] offset1:1
	s_waitcnt lgkmcnt(0)
	s_barrier
	ds_read2_b64 v[117:120], v0 offset0:102 offset1:103
	s_cmp_lt_i32 s3, 53
	v_mov_b32_e32 v89, 51
	s_cbranch_scc1 .LBB108_1073
; %bb.1071:
	v_add_u32_e32 v90, 0x340, v0
	s_mov_b32 s0, 52
	v_mov_b32_e32 v89, 51
.LBB108_1072:                           ; =>This Inner Loop Header: Depth=1
	s_waitcnt lgkmcnt(0)
	v_cmp_gt_f64_e32 vcc, 0, v[117:118]
	v_xor_b32_e32 v91, 0x80000000, v118
	ds_read2_b64 v[95:98], v90 offset1:1
	v_xor_b32_e32 v99, 0x80000000, v120
	v_add_u32_e32 v90, 16, v90
	s_waitcnt lgkmcnt(0)
	v_xor_b32_e32 v101, 0x80000000, v98
	v_cndmask_b32_e32 v92, v118, v91, vcc
	v_cmp_gt_f64_e32 vcc, 0, v[119:120]
	v_mov_b32_e32 v91, v117
	v_cndmask_b32_e32 v100, v120, v99, vcc
	v_cmp_gt_f64_e32 vcc, 0, v[95:96]
	v_mov_b32_e32 v99, v119
	v_add_f64 v[91:92], v[91:92], v[99:100]
	v_xor_b32_e32 v99, 0x80000000, v96
	v_cndmask_b32_e32 v100, v96, v99, vcc
	v_cmp_gt_f64_e32 vcc, 0, v[97:98]
	v_mov_b32_e32 v99, v95
	v_cndmask_b32_e32 v102, v98, v101, vcc
	v_mov_b32_e32 v101, v97
	v_add_f64 v[99:100], v[99:100], v[101:102]
	v_cmp_lt_f64_e32 vcc, v[91:92], v[99:100]
	v_mov_b32_e32 v91, s0
	s_add_i32 s0, s0, 1
	s_cmp_lg_u32 s3, s0
	v_cndmask_b32_e32 v118, v118, v96, vcc
	v_cndmask_b32_e32 v117, v117, v95, vcc
	;; [unrolled: 1-line block ×5, first 2 shown]
	s_cbranch_scc1 .LBB108_1072
.LBB108_1073:
	s_waitcnt lgkmcnt(0)
	v_cmp_eq_f64_e32 vcc, 0, v[117:118]
	v_cmp_eq_f64_e64 s[0:1], 0, v[119:120]
	s_and_b64 s[0:1], vcc, s[0:1]
	s_and_saveexec_b64 s[18:19], s[0:1]
	s_xor_b64 s[0:1], exec, s[18:19]
; %bb.1074:
	v_cmp_ne_u32_e32 vcc, 0, v94
	v_cndmask_b32_e32 v94, 52, v94, vcc
; %bb.1075:
	s_andn2_saveexec_b64 s[0:1], s[0:1]
	s_cbranch_execz .LBB108_1081
; %bb.1076:
	v_cmp_ngt_f64_e64 s[18:19], |v[117:118]|, |v[119:120]|
	s_and_saveexec_b64 s[20:21], s[18:19]
	s_xor_b64 s[18:19], exec, s[20:21]
	s_cbranch_execz .LBB108_1078
; %bb.1077:
	v_div_scale_f64 v[90:91], s[20:21], v[119:120], v[119:120], v[117:118]
	v_rcp_f64_e32 v[95:96], v[90:91]
	v_fma_f64 v[97:98], -v[90:91], v[95:96], 1.0
	v_fma_f64 v[95:96], v[95:96], v[97:98], v[95:96]
	v_div_scale_f64 v[97:98], vcc, v[117:118], v[119:120], v[117:118]
	v_fma_f64 v[99:100], -v[90:91], v[95:96], 1.0
	v_fma_f64 v[95:96], v[95:96], v[99:100], v[95:96]
	v_mul_f64 v[99:100], v[97:98], v[95:96]
	v_fma_f64 v[90:91], -v[90:91], v[99:100], v[97:98]
	v_div_fmas_f64 v[90:91], v[90:91], v[95:96], v[99:100]
	v_div_fixup_f64 v[90:91], v[90:91], v[119:120], v[117:118]
	v_fma_f64 v[95:96], v[117:118], v[90:91], v[119:120]
	v_div_scale_f64 v[97:98], s[20:21], v[95:96], v[95:96], 1.0
	v_div_scale_f64 v[103:104], vcc, 1.0, v[95:96], 1.0
	v_rcp_f64_e32 v[99:100], v[97:98]
	v_fma_f64 v[101:102], -v[97:98], v[99:100], 1.0
	v_fma_f64 v[99:100], v[99:100], v[101:102], v[99:100]
	v_fma_f64 v[101:102], -v[97:98], v[99:100], 1.0
	v_fma_f64 v[99:100], v[99:100], v[101:102], v[99:100]
	v_mul_f64 v[101:102], v[103:104], v[99:100]
	v_fma_f64 v[97:98], -v[97:98], v[101:102], v[103:104]
	v_div_fmas_f64 v[97:98], v[97:98], v[99:100], v[101:102]
	v_div_fixup_f64 v[119:120], v[97:98], v[95:96], 1.0
	v_mul_f64 v[117:118], v[90:91], v[119:120]
	v_xor_b32_e32 v120, 0x80000000, v120
.LBB108_1078:
	s_andn2_saveexec_b64 s[18:19], s[18:19]
	s_cbranch_execz .LBB108_1080
; %bb.1079:
	v_div_scale_f64 v[90:91], s[20:21], v[117:118], v[117:118], v[119:120]
	v_rcp_f64_e32 v[95:96], v[90:91]
	v_fma_f64 v[97:98], -v[90:91], v[95:96], 1.0
	v_fma_f64 v[95:96], v[95:96], v[97:98], v[95:96]
	v_div_scale_f64 v[97:98], vcc, v[119:120], v[117:118], v[119:120]
	v_fma_f64 v[99:100], -v[90:91], v[95:96], 1.0
	v_fma_f64 v[95:96], v[95:96], v[99:100], v[95:96]
	v_mul_f64 v[99:100], v[97:98], v[95:96]
	v_fma_f64 v[90:91], -v[90:91], v[99:100], v[97:98]
	v_div_fmas_f64 v[90:91], v[90:91], v[95:96], v[99:100]
	v_div_fixup_f64 v[90:91], v[90:91], v[117:118], v[119:120]
	v_fma_f64 v[95:96], v[119:120], v[90:91], v[117:118]
	v_div_scale_f64 v[97:98], s[20:21], v[95:96], v[95:96], 1.0
	v_div_scale_f64 v[103:104], vcc, 1.0, v[95:96], 1.0
	v_rcp_f64_e32 v[99:100], v[97:98]
	v_fma_f64 v[101:102], -v[97:98], v[99:100], 1.0
	v_fma_f64 v[99:100], v[99:100], v[101:102], v[99:100]
	v_fma_f64 v[101:102], -v[97:98], v[99:100], 1.0
	v_fma_f64 v[99:100], v[99:100], v[101:102], v[99:100]
	v_mul_f64 v[101:102], v[103:104], v[99:100]
	v_fma_f64 v[97:98], -v[97:98], v[101:102], v[103:104]
	v_div_fmas_f64 v[97:98], v[97:98], v[99:100], v[101:102]
	v_div_fixup_f64 v[117:118], v[97:98], v[95:96], 1.0
	v_mul_f64 v[119:120], v[90:91], -v[117:118]
.LBB108_1080:
	s_or_b64 exec, exec, s[18:19]
.LBB108_1081:
	s_or_b64 exec, exec, s[0:1]
	v_cmp_ne_u32_e32 vcc, v93, v89
	s_and_saveexec_b64 s[0:1], vcc
	s_xor_b64 s[0:1], exec, s[0:1]
	s_cbranch_execz .LBB108_1087
; %bb.1082:
	v_cmp_eq_u32_e32 vcc, 51, v93
	s_and_saveexec_b64 s[18:19], vcc
	s_cbranch_execz .LBB108_1086
; %bb.1083:
	v_cmp_ne_u32_e32 vcc, 51, v89
	s_xor_b64 s[20:21], s[6:7], -1
	s_and_b64 s[22:23], s[20:21], vcc
	s_and_saveexec_b64 s[20:21], s[22:23]
	s_cbranch_execz .LBB108_1085
; %bb.1084:
	buffer_load_dword v81, off, s[24:27], 0 offset:452 ; 4-byte Folded Reload
	buffer_load_dword v82, off, s[24:27], 0 offset:456 ; 4-byte Folded Reload
	v_ashrrev_i32_e32 v90, 31, v89
	v_lshlrev_b64 v[90:91], 2, v[89:90]
	s_waitcnt vmcnt(1)
	v_add_co_u32_e32 v90, vcc, v81, v90
	s_waitcnt vmcnt(0)
	v_addc_co_u32_e32 v91, vcc, v82, v91, vcc
	global_load_dword v92, v[90:91], off
	global_load_dword v93, v[81:82], off offset:204
	s_waitcnt vmcnt(1)
	global_store_dword v[81:82], v92, off offset:204
	v_mov_b32_e32 v81, v105
	v_mov_b32_e32 v82, v106
	;; [unrolled: 1-line block ×4, first 2 shown]
	s_waitcnt vmcnt(1)
	global_store_dword v[90:91], v93, off
.LBB108_1085:
	s_or_b64 exec, exec, s[20:21]
	v_mov_b32_e32 v93, v89
	v_mov_b32_e32 v73, v89
	buffer_store_dword v73, off, s[24:27], 0 offset:368 ; 4-byte Folded Spill
.LBB108_1086:
	s_or_b64 exec, exec, s[18:19]
.LBB108_1087:
	s_andn2_saveexec_b64 s[0:1], s[0:1]
	s_cbranch_execz .LBB108_1089
; %bb.1088:
	v_mov_b32_e32 v93, 51
	ds_write2_b64 v0, v[5:6], v[7:8] offset0:104 offset1:105
	ds_write2_b64 v0, v[1:2], v[3:4] offset0:106 offset1:107
	;; [unrolled: 1-line block ×3, first 2 shown]
.LBB108_1089:
	s_or_b64 exec, exec, s[0:1]
	v_cmp_lt_i32_e32 vcc, 51, v93
	s_waitcnt vmcnt(0) lgkmcnt(0)
	s_barrier
	s_and_saveexec_b64 s[0:1], vcc
	s_cbranch_execz .LBB108_1091
; %bb.1090:
	v_mul_f64 v[89:90], v[117:118], v[11:12]
	v_mul_f64 v[11:12], v[119:120], v[11:12]
	v_fma_f64 v[95:96], v[119:120], v[9:10], v[89:90]
	ds_read2_b64 v[89:92], v0 offset0:104 offset1:105
	v_fma_f64 v[9:10], v[117:118], v[9:10], -v[11:12]
	s_waitcnt lgkmcnt(0)
	v_mul_f64 v[11:12], v[91:92], v[95:96]
	v_fma_f64 v[11:12], v[89:90], v[9:10], -v[11:12]
	v_mul_f64 v[89:90], v[89:90], v[95:96]
	v_add_f64 v[5:6], v[5:6], -v[11:12]
	v_fma_f64 v[89:90], v[91:92], v[9:10], v[89:90]
	v_add_f64 v[7:8], v[7:8], -v[89:90]
	ds_read2_b64 v[89:92], v0 offset0:106 offset1:107
	s_waitcnt lgkmcnt(0)
	v_mul_f64 v[11:12], v[91:92], v[95:96]
	v_fma_f64 v[11:12], v[89:90], v[9:10], -v[11:12]
	v_mul_f64 v[89:90], v[89:90], v[95:96]
	v_add_f64 v[1:2], v[1:2], -v[11:12]
	v_fma_f64 v[89:90], v[91:92], v[9:10], v[89:90]
	v_add_f64 v[3:4], v[3:4], -v[89:90]
	ds_read2_b64 v[89:92], v0 offset0:108 offset1:109
	s_waitcnt lgkmcnt(0)
	v_mul_f64 v[11:12], v[91:92], v[95:96]
	v_fma_f64 v[11:12], v[89:90], v[9:10], -v[11:12]
	v_mul_f64 v[89:90], v[89:90], v[95:96]
	v_add_f64 v[121:122], v[121:122], -v[11:12]
	v_fma_f64 v[89:90], v[91:92], v[9:10], v[89:90]
	v_mov_b32_e32 v11, v95
	v_mov_b32_e32 v12, v96
	v_add_f64 v[123:124], v[123:124], -v[89:90]
.LBB108_1091:
	s_or_b64 exec, exec, s[0:1]
	v_lshl_add_u32 v89, v93, 4, v0
	s_barrier
	ds_write2_b64 v89, v[5:6], v[7:8] offset1:1
	s_waitcnt lgkmcnt(0)
	s_barrier
	ds_read2_b64 v[117:120], v0 offset0:104 offset1:105
	s_cmp_lt_i32 s3, 54
	v_mov_b32_e32 v89, 52
	s_cbranch_scc1 .LBB108_1094
; %bb.1092:
	v_add_u32_e32 v90, 0x350, v0
	s_mov_b32 s0, 53
	v_mov_b32_e32 v89, 52
.LBB108_1093:                           ; =>This Inner Loop Header: Depth=1
	s_waitcnt lgkmcnt(0)
	v_cmp_gt_f64_e32 vcc, 0, v[117:118]
	v_xor_b32_e32 v91, 0x80000000, v118
	ds_read2_b64 v[95:98], v90 offset1:1
	v_xor_b32_e32 v99, 0x80000000, v120
	v_add_u32_e32 v90, 16, v90
	s_waitcnt lgkmcnt(0)
	v_xor_b32_e32 v101, 0x80000000, v98
	v_cndmask_b32_e32 v92, v118, v91, vcc
	v_cmp_gt_f64_e32 vcc, 0, v[119:120]
	v_mov_b32_e32 v91, v117
	v_cndmask_b32_e32 v100, v120, v99, vcc
	v_cmp_gt_f64_e32 vcc, 0, v[95:96]
	v_mov_b32_e32 v99, v119
	v_add_f64 v[91:92], v[91:92], v[99:100]
	v_xor_b32_e32 v99, 0x80000000, v96
	v_cndmask_b32_e32 v100, v96, v99, vcc
	v_cmp_gt_f64_e32 vcc, 0, v[97:98]
	v_mov_b32_e32 v99, v95
	v_cndmask_b32_e32 v102, v98, v101, vcc
	v_mov_b32_e32 v101, v97
	v_add_f64 v[99:100], v[99:100], v[101:102]
	v_cmp_lt_f64_e32 vcc, v[91:92], v[99:100]
	v_mov_b32_e32 v91, s0
	s_add_i32 s0, s0, 1
	s_cmp_lg_u32 s3, s0
	v_cndmask_b32_e32 v118, v118, v96, vcc
	v_cndmask_b32_e32 v117, v117, v95, vcc
	;; [unrolled: 1-line block ×5, first 2 shown]
	s_cbranch_scc1 .LBB108_1093
.LBB108_1094:
	s_waitcnt lgkmcnt(0)
	v_cmp_eq_f64_e32 vcc, 0, v[117:118]
	v_cmp_eq_f64_e64 s[0:1], 0, v[119:120]
	s_and_b64 s[0:1], vcc, s[0:1]
	s_and_saveexec_b64 s[18:19], s[0:1]
	s_xor_b64 s[0:1], exec, s[18:19]
; %bb.1095:
	v_cmp_ne_u32_e32 vcc, 0, v94
	v_cndmask_b32_e32 v94, 53, v94, vcc
; %bb.1096:
	s_andn2_saveexec_b64 s[0:1], s[0:1]
	s_cbranch_execz .LBB108_1102
; %bb.1097:
	v_cmp_ngt_f64_e64 s[18:19], |v[117:118]|, |v[119:120]|
	s_and_saveexec_b64 s[20:21], s[18:19]
	s_xor_b64 s[18:19], exec, s[20:21]
	s_cbranch_execz .LBB108_1099
; %bb.1098:
	v_div_scale_f64 v[90:91], s[20:21], v[119:120], v[119:120], v[117:118]
	v_rcp_f64_e32 v[95:96], v[90:91]
	v_fma_f64 v[97:98], -v[90:91], v[95:96], 1.0
	v_fma_f64 v[95:96], v[95:96], v[97:98], v[95:96]
	v_div_scale_f64 v[97:98], vcc, v[117:118], v[119:120], v[117:118]
	v_fma_f64 v[99:100], -v[90:91], v[95:96], 1.0
	v_fma_f64 v[95:96], v[95:96], v[99:100], v[95:96]
	v_mul_f64 v[99:100], v[97:98], v[95:96]
	v_fma_f64 v[90:91], -v[90:91], v[99:100], v[97:98]
	v_div_fmas_f64 v[90:91], v[90:91], v[95:96], v[99:100]
	v_div_fixup_f64 v[90:91], v[90:91], v[119:120], v[117:118]
	v_fma_f64 v[95:96], v[117:118], v[90:91], v[119:120]
	v_div_scale_f64 v[97:98], s[20:21], v[95:96], v[95:96], 1.0
	v_div_scale_f64 v[103:104], vcc, 1.0, v[95:96], 1.0
	v_rcp_f64_e32 v[99:100], v[97:98]
	v_fma_f64 v[101:102], -v[97:98], v[99:100], 1.0
	v_fma_f64 v[99:100], v[99:100], v[101:102], v[99:100]
	v_fma_f64 v[101:102], -v[97:98], v[99:100], 1.0
	v_fma_f64 v[99:100], v[99:100], v[101:102], v[99:100]
	v_mul_f64 v[101:102], v[103:104], v[99:100]
	v_fma_f64 v[97:98], -v[97:98], v[101:102], v[103:104]
	v_div_fmas_f64 v[97:98], v[97:98], v[99:100], v[101:102]
	v_div_fixup_f64 v[119:120], v[97:98], v[95:96], 1.0
	v_mul_f64 v[117:118], v[90:91], v[119:120]
	v_xor_b32_e32 v120, 0x80000000, v120
.LBB108_1099:
	s_andn2_saveexec_b64 s[18:19], s[18:19]
	s_cbranch_execz .LBB108_1101
; %bb.1100:
	v_div_scale_f64 v[90:91], s[20:21], v[117:118], v[117:118], v[119:120]
	v_rcp_f64_e32 v[95:96], v[90:91]
	v_fma_f64 v[97:98], -v[90:91], v[95:96], 1.0
	v_fma_f64 v[95:96], v[95:96], v[97:98], v[95:96]
	v_div_scale_f64 v[97:98], vcc, v[119:120], v[117:118], v[119:120]
	v_fma_f64 v[99:100], -v[90:91], v[95:96], 1.0
	v_fma_f64 v[95:96], v[95:96], v[99:100], v[95:96]
	v_mul_f64 v[99:100], v[97:98], v[95:96]
	v_fma_f64 v[90:91], -v[90:91], v[99:100], v[97:98]
	v_div_fmas_f64 v[90:91], v[90:91], v[95:96], v[99:100]
	v_div_fixup_f64 v[90:91], v[90:91], v[117:118], v[119:120]
	v_fma_f64 v[95:96], v[119:120], v[90:91], v[117:118]
	v_div_scale_f64 v[97:98], s[20:21], v[95:96], v[95:96], 1.0
	v_div_scale_f64 v[103:104], vcc, 1.0, v[95:96], 1.0
	v_rcp_f64_e32 v[99:100], v[97:98]
	v_fma_f64 v[101:102], -v[97:98], v[99:100], 1.0
	v_fma_f64 v[99:100], v[99:100], v[101:102], v[99:100]
	v_fma_f64 v[101:102], -v[97:98], v[99:100], 1.0
	v_fma_f64 v[99:100], v[99:100], v[101:102], v[99:100]
	v_mul_f64 v[101:102], v[103:104], v[99:100]
	v_fma_f64 v[97:98], -v[97:98], v[101:102], v[103:104]
	v_div_fmas_f64 v[97:98], v[97:98], v[99:100], v[101:102]
	v_div_fixup_f64 v[117:118], v[97:98], v[95:96], 1.0
	v_mul_f64 v[119:120], v[90:91], -v[117:118]
.LBB108_1101:
	s_or_b64 exec, exec, s[18:19]
.LBB108_1102:
	s_or_b64 exec, exec, s[0:1]
	v_cmp_ne_u32_e32 vcc, v93, v89
	s_and_saveexec_b64 s[0:1], vcc
	s_xor_b64 s[0:1], exec, s[0:1]
	s_cbranch_execz .LBB108_1108
; %bb.1103:
	v_cmp_eq_u32_e32 vcc, 52, v93
	s_and_saveexec_b64 s[18:19], vcc
	s_cbranch_execz .LBB108_1107
; %bb.1104:
	v_cmp_ne_u32_e32 vcc, 52, v89
	s_xor_b64 s[20:21], s[6:7], -1
	s_and_b64 s[22:23], s[20:21], vcc
	s_and_saveexec_b64 s[20:21], s[22:23]
	s_cbranch_execz .LBB108_1106
; %bb.1105:
	buffer_load_dword v81, off, s[24:27], 0 offset:452 ; 4-byte Folded Reload
	buffer_load_dword v82, off, s[24:27], 0 offset:456 ; 4-byte Folded Reload
	v_ashrrev_i32_e32 v90, 31, v89
	v_lshlrev_b64 v[90:91], 2, v[89:90]
	s_waitcnt vmcnt(1)
	v_add_co_u32_e32 v90, vcc, v81, v90
	s_waitcnt vmcnt(0)
	v_addc_co_u32_e32 v91, vcc, v82, v91, vcc
	global_load_dword v92, v[90:91], off
	global_load_dword v93, v[81:82], off offset:208
	s_waitcnt vmcnt(1)
	global_store_dword v[81:82], v92, off offset:208
	v_mov_b32_e32 v81, v105
	v_mov_b32_e32 v82, v106
	v_mov_b32_e32 v83, v107
	v_mov_b32_e32 v84, v108
	s_waitcnt vmcnt(1)
	global_store_dword v[90:91], v93, off
.LBB108_1106:
	s_or_b64 exec, exec, s[20:21]
	v_mov_b32_e32 v93, v89
	v_mov_b32_e32 v73, v89
	buffer_store_dword v73, off, s[24:27], 0 offset:368 ; 4-byte Folded Spill
.LBB108_1107:
	s_or_b64 exec, exec, s[18:19]
.LBB108_1108:
	s_andn2_saveexec_b64 s[0:1], s[0:1]
	s_cbranch_execz .LBB108_1110
; %bb.1109:
	v_mov_b32_e32 v93, 52
	ds_write2_b64 v0, v[1:2], v[3:4] offset0:106 offset1:107
	ds_write2_b64 v0, v[121:122], v[123:124] offset0:108 offset1:109
.LBB108_1110:
	s_or_b64 exec, exec, s[0:1]
	v_cmp_lt_i32_e32 vcc, 52, v93
	s_waitcnt vmcnt(0) lgkmcnt(0)
	s_barrier
	s_and_saveexec_b64 s[0:1], vcc
	s_cbranch_execz .LBB108_1112
; %bb.1111:
	v_mul_f64 v[89:90], v[117:118], v[7:8]
	v_mul_f64 v[7:8], v[119:120], v[7:8]
	v_fma_f64 v[95:96], v[119:120], v[5:6], v[89:90]
	ds_read2_b64 v[89:92], v0 offset0:106 offset1:107
	v_fma_f64 v[5:6], v[117:118], v[5:6], -v[7:8]
	s_waitcnt lgkmcnt(0)
	v_mul_f64 v[7:8], v[91:92], v[95:96]
	v_fma_f64 v[7:8], v[89:90], v[5:6], -v[7:8]
	v_mul_f64 v[89:90], v[89:90], v[95:96]
	v_add_f64 v[1:2], v[1:2], -v[7:8]
	v_fma_f64 v[89:90], v[91:92], v[5:6], v[89:90]
	v_add_f64 v[3:4], v[3:4], -v[89:90]
	ds_read2_b64 v[89:92], v0 offset0:108 offset1:109
	s_waitcnt lgkmcnt(0)
	v_mul_f64 v[7:8], v[91:92], v[95:96]
	v_fma_f64 v[7:8], v[89:90], v[5:6], -v[7:8]
	v_mul_f64 v[89:90], v[89:90], v[95:96]
	v_add_f64 v[121:122], v[121:122], -v[7:8]
	v_fma_f64 v[89:90], v[91:92], v[5:6], v[89:90]
	v_mov_b32_e32 v7, v95
	v_mov_b32_e32 v8, v96
	v_add_f64 v[123:124], v[123:124], -v[89:90]
.LBB108_1112:
	s_or_b64 exec, exec, s[0:1]
	v_lshl_add_u32 v89, v93, 4, v0
	s_barrier
	ds_write2_b64 v89, v[1:2], v[3:4] offset1:1
	s_waitcnt lgkmcnt(0)
	s_barrier
	ds_read2_b64 v[117:120], v0 offset0:106 offset1:107
	s_cmp_lt_i32 s3, 55
	v_mov_b32_e32 v89, 53
	s_cbranch_scc1 .LBB108_1115
; %bb.1113:
	v_add_u32_e32 v90, 0x360, v0
	s_mov_b32 s0, 54
	v_mov_b32_e32 v89, 53
.LBB108_1114:                           ; =>This Inner Loop Header: Depth=1
	s_waitcnt lgkmcnt(0)
	v_cmp_gt_f64_e32 vcc, 0, v[117:118]
	v_xor_b32_e32 v91, 0x80000000, v118
	ds_read2_b64 v[95:98], v90 offset1:1
	v_xor_b32_e32 v99, 0x80000000, v120
	v_add_u32_e32 v90, 16, v90
	s_waitcnt lgkmcnt(0)
	v_xor_b32_e32 v101, 0x80000000, v98
	v_cndmask_b32_e32 v92, v118, v91, vcc
	v_cmp_gt_f64_e32 vcc, 0, v[119:120]
	v_mov_b32_e32 v91, v117
	v_cndmask_b32_e32 v100, v120, v99, vcc
	v_cmp_gt_f64_e32 vcc, 0, v[95:96]
	v_mov_b32_e32 v99, v119
	v_add_f64 v[91:92], v[91:92], v[99:100]
	v_xor_b32_e32 v99, 0x80000000, v96
	v_cndmask_b32_e32 v100, v96, v99, vcc
	v_cmp_gt_f64_e32 vcc, 0, v[97:98]
	v_mov_b32_e32 v99, v95
	v_cndmask_b32_e32 v102, v98, v101, vcc
	v_mov_b32_e32 v101, v97
	v_add_f64 v[99:100], v[99:100], v[101:102]
	v_cmp_lt_f64_e32 vcc, v[91:92], v[99:100]
	v_mov_b32_e32 v91, s0
	s_add_i32 s0, s0, 1
	s_cmp_lg_u32 s3, s0
	v_cndmask_b32_e32 v118, v118, v96, vcc
	v_cndmask_b32_e32 v117, v117, v95, vcc
	;; [unrolled: 1-line block ×5, first 2 shown]
	s_cbranch_scc1 .LBB108_1114
.LBB108_1115:
	s_waitcnt lgkmcnt(0)
	v_cmp_eq_f64_e32 vcc, 0, v[117:118]
	v_cmp_eq_f64_e64 s[0:1], 0, v[119:120]
	s_and_b64 s[0:1], vcc, s[0:1]
	s_and_saveexec_b64 s[18:19], s[0:1]
	s_xor_b64 s[0:1], exec, s[18:19]
; %bb.1116:
	v_cmp_ne_u32_e32 vcc, 0, v94
	v_cndmask_b32_e32 v94, 54, v94, vcc
; %bb.1117:
	s_andn2_saveexec_b64 s[0:1], s[0:1]
	s_cbranch_execz .LBB108_1123
; %bb.1118:
	v_cmp_ngt_f64_e64 s[18:19], |v[117:118]|, |v[119:120]|
	s_and_saveexec_b64 s[20:21], s[18:19]
	s_xor_b64 s[18:19], exec, s[20:21]
	s_cbranch_execz .LBB108_1120
; %bb.1119:
	v_div_scale_f64 v[90:91], s[20:21], v[119:120], v[119:120], v[117:118]
	v_rcp_f64_e32 v[95:96], v[90:91]
	v_fma_f64 v[97:98], -v[90:91], v[95:96], 1.0
	v_fma_f64 v[95:96], v[95:96], v[97:98], v[95:96]
	v_div_scale_f64 v[97:98], vcc, v[117:118], v[119:120], v[117:118]
	v_fma_f64 v[99:100], -v[90:91], v[95:96], 1.0
	v_fma_f64 v[95:96], v[95:96], v[99:100], v[95:96]
	v_mul_f64 v[99:100], v[97:98], v[95:96]
	v_fma_f64 v[90:91], -v[90:91], v[99:100], v[97:98]
	v_div_fmas_f64 v[90:91], v[90:91], v[95:96], v[99:100]
	v_div_fixup_f64 v[90:91], v[90:91], v[119:120], v[117:118]
	v_fma_f64 v[95:96], v[117:118], v[90:91], v[119:120]
	v_div_scale_f64 v[97:98], s[20:21], v[95:96], v[95:96], 1.0
	v_div_scale_f64 v[103:104], vcc, 1.0, v[95:96], 1.0
	v_rcp_f64_e32 v[99:100], v[97:98]
	v_fma_f64 v[101:102], -v[97:98], v[99:100], 1.0
	v_fma_f64 v[99:100], v[99:100], v[101:102], v[99:100]
	v_fma_f64 v[101:102], -v[97:98], v[99:100], 1.0
	v_fma_f64 v[99:100], v[99:100], v[101:102], v[99:100]
	v_mul_f64 v[101:102], v[103:104], v[99:100]
	v_fma_f64 v[97:98], -v[97:98], v[101:102], v[103:104]
	v_div_fmas_f64 v[97:98], v[97:98], v[99:100], v[101:102]
	v_div_fixup_f64 v[119:120], v[97:98], v[95:96], 1.0
	v_mul_f64 v[117:118], v[90:91], v[119:120]
	v_xor_b32_e32 v120, 0x80000000, v120
.LBB108_1120:
	s_andn2_saveexec_b64 s[18:19], s[18:19]
	s_cbranch_execz .LBB108_1122
; %bb.1121:
	v_div_scale_f64 v[90:91], s[20:21], v[117:118], v[117:118], v[119:120]
	v_rcp_f64_e32 v[95:96], v[90:91]
	v_fma_f64 v[97:98], -v[90:91], v[95:96], 1.0
	v_fma_f64 v[95:96], v[95:96], v[97:98], v[95:96]
	v_div_scale_f64 v[97:98], vcc, v[119:120], v[117:118], v[119:120]
	v_fma_f64 v[99:100], -v[90:91], v[95:96], 1.0
	v_fma_f64 v[95:96], v[95:96], v[99:100], v[95:96]
	v_mul_f64 v[99:100], v[97:98], v[95:96]
	v_fma_f64 v[90:91], -v[90:91], v[99:100], v[97:98]
	v_div_fmas_f64 v[90:91], v[90:91], v[95:96], v[99:100]
	v_div_fixup_f64 v[90:91], v[90:91], v[117:118], v[119:120]
	v_fma_f64 v[95:96], v[119:120], v[90:91], v[117:118]
	v_div_scale_f64 v[97:98], s[20:21], v[95:96], v[95:96], 1.0
	v_div_scale_f64 v[103:104], vcc, 1.0, v[95:96], 1.0
	v_rcp_f64_e32 v[99:100], v[97:98]
	v_fma_f64 v[101:102], -v[97:98], v[99:100], 1.0
	v_fma_f64 v[99:100], v[99:100], v[101:102], v[99:100]
	v_fma_f64 v[101:102], -v[97:98], v[99:100], 1.0
	v_fma_f64 v[99:100], v[99:100], v[101:102], v[99:100]
	v_mul_f64 v[101:102], v[103:104], v[99:100]
	v_fma_f64 v[97:98], -v[97:98], v[101:102], v[103:104]
	v_div_fmas_f64 v[97:98], v[97:98], v[99:100], v[101:102]
	v_div_fixup_f64 v[117:118], v[97:98], v[95:96], 1.0
	v_mul_f64 v[119:120], v[90:91], -v[117:118]
.LBB108_1122:
	s_or_b64 exec, exec, s[18:19]
.LBB108_1123:
	s_or_b64 exec, exec, s[0:1]
	v_cmp_ne_u32_e32 vcc, v93, v89
	s_and_saveexec_b64 s[0:1], vcc
	s_xor_b64 s[0:1], exec, s[0:1]
	s_cbranch_execz .LBB108_1129
; %bb.1124:
	v_cmp_eq_u32_e32 vcc, 53, v93
	s_and_saveexec_b64 s[18:19], vcc
	s_cbranch_execz .LBB108_1128
; %bb.1125:
	v_cmp_ne_u32_e32 vcc, 53, v89
	s_xor_b64 s[20:21], s[6:7], -1
	s_and_b64 s[22:23], s[20:21], vcc
	s_and_saveexec_b64 s[20:21], s[22:23]
	s_cbranch_execz .LBB108_1127
; %bb.1126:
	buffer_load_dword v81, off, s[24:27], 0 offset:452 ; 4-byte Folded Reload
	buffer_load_dword v82, off, s[24:27], 0 offset:456 ; 4-byte Folded Reload
	v_ashrrev_i32_e32 v90, 31, v89
	v_lshlrev_b64 v[90:91], 2, v[89:90]
	s_waitcnt vmcnt(1)
	v_add_co_u32_e32 v90, vcc, v81, v90
	s_waitcnt vmcnt(0)
	v_addc_co_u32_e32 v91, vcc, v82, v91, vcc
	global_load_dword v92, v[90:91], off
	global_load_dword v93, v[81:82], off offset:212
	s_waitcnt vmcnt(1)
	global_store_dword v[81:82], v92, off offset:212
	v_mov_b32_e32 v81, v105
	v_mov_b32_e32 v82, v106
	;; [unrolled: 1-line block ×4, first 2 shown]
	s_waitcnt vmcnt(1)
	global_store_dword v[90:91], v93, off
.LBB108_1127:
	s_or_b64 exec, exec, s[20:21]
	v_mov_b32_e32 v93, v89
	v_mov_b32_e32 v73, v89
	buffer_store_dword v73, off, s[24:27], 0 offset:368 ; 4-byte Folded Spill
.LBB108_1128:
	s_or_b64 exec, exec, s[18:19]
.LBB108_1129:
	s_andn2_saveexec_b64 s[0:1], s[0:1]
; %bb.1130:
	v_mov_b32_e32 v93, 53
	ds_write2_b64 v0, v[121:122], v[123:124] offset0:108 offset1:109
; %bb.1131:
	s_or_b64 exec, exec, s[0:1]
	v_cmp_lt_i32_e32 vcc, 53, v93
	s_waitcnt vmcnt(0) lgkmcnt(0)
	s_barrier
	s_and_saveexec_b64 s[0:1], vcc
	s_cbranch_execz .LBB108_1133
; %bb.1132:
	v_mul_f64 v[89:90], v[117:118], v[3:4]
	v_mul_f64 v[3:4], v[119:120], v[3:4]
	v_fma_f64 v[95:96], v[119:120], v[1:2], v[89:90]
	ds_read2_b64 v[89:92], v0 offset0:108 offset1:109
	v_fma_f64 v[1:2], v[117:118], v[1:2], -v[3:4]
	s_waitcnt lgkmcnt(0)
	v_mul_f64 v[3:4], v[91:92], v[95:96]
	v_fma_f64 v[3:4], v[89:90], v[1:2], -v[3:4]
	v_mul_f64 v[89:90], v[89:90], v[95:96]
	v_add_f64 v[121:122], v[121:122], -v[3:4]
	v_fma_f64 v[89:90], v[91:92], v[1:2], v[89:90]
	v_mov_b32_e32 v3, v95
	v_mov_b32_e32 v4, v96
	v_add_f64 v[123:124], v[123:124], -v[89:90]
.LBB108_1133:
	s_or_b64 exec, exec, s[0:1]
	v_lshl_add_u32 v89, v93, 4, v0
	s_barrier
	ds_write2_b64 v89, v[121:122], v[123:124] offset1:1
	s_waitcnt lgkmcnt(0)
	s_barrier
	ds_read2_b64 v[117:120], v0 offset0:108 offset1:109
	s_cmp_lt_i32 s3, 56
	v_mov_b32_e32 v89, 54
	s_cbranch_scc1 .LBB108_1136
; %bb.1134:
	v_add_u32_e32 v0, 0x370, v0
	s_mov_b32 s0, 55
	v_mov_b32_e32 v89, 54
.LBB108_1135:                           ; =>This Inner Loop Header: Depth=1
	s_waitcnt lgkmcnt(0)
	v_cmp_gt_f64_e32 vcc, 0, v[117:118]
	v_xor_b32_e32 v90, 0x80000000, v118
	ds_read2_b64 v[95:98], v0 offset1:1
	v_xor_b32_e32 v92, 0x80000000, v120
	v_mov_b32_e32 v99, v119
	v_add_u32_e32 v0, 16, v0
	s_waitcnt lgkmcnt(0)
	v_mov_b32_e32 v101, v97
	v_cndmask_b32_e32 v91, v118, v90, vcc
	v_cmp_gt_f64_e32 vcc, 0, v[119:120]
	v_mov_b32_e32 v90, v117
	v_cndmask_b32_e32 v100, v120, v92, vcc
	v_cmp_gt_f64_e32 vcc, 0, v[95:96]
	v_xor_b32_e32 v92, 0x80000000, v96
	v_add_f64 v[90:91], v[90:91], v[99:100]
	v_mov_b32_e32 v99, v95
	v_cndmask_b32_e32 v100, v96, v92, vcc
	v_cmp_gt_f64_e32 vcc, 0, v[97:98]
	v_xor_b32_e32 v92, 0x80000000, v98
	v_cndmask_b32_e32 v102, v98, v92, vcc
	v_add_f64 v[99:100], v[99:100], v[101:102]
	v_cmp_lt_f64_e32 vcc, v[90:91], v[99:100]
	v_mov_b32_e32 v90, s0
	s_add_i32 s0, s0, 1
	s_cmp_lg_u32 s3, s0
	v_cndmask_b32_e32 v118, v118, v96, vcc
	v_cndmask_b32_e32 v117, v117, v95, vcc
	;; [unrolled: 1-line block ×5, first 2 shown]
	s_cbranch_scc1 .LBB108_1135
.LBB108_1136:
	s_waitcnt lgkmcnt(0)
	v_cmp_eq_f64_e32 vcc, 0, v[117:118]
	v_cmp_eq_f64_e64 s[0:1], 0, v[119:120]
	s_and_b64 s[0:1], vcc, s[0:1]
	s_and_saveexec_b64 s[18:19], s[0:1]
	s_xor_b64 s[0:1], exec, s[18:19]
; %bb.1137:
	v_cmp_ne_u32_e32 vcc, 0, v94
	v_cndmask_b32_e32 v94, 55, v94, vcc
; %bb.1138:
	s_andn2_saveexec_b64 s[0:1], s[0:1]
	s_cbranch_execz .LBB108_1144
; %bb.1139:
	v_cmp_ngt_f64_e64 s[18:19], |v[117:118]|, |v[119:120]|
	s_and_saveexec_b64 s[20:21], s[18:19]
	s_xor_b64 s[18:19], exec, s[20:21]
	s_cbranch_execz .LBB108_1141
; %bb.1140:
	v_div_scale_f64 v[90:91], s[20:21], v[119:120], v[119:120], v[117:118]
	v_rcp_f64_e32 v[95:96], v[90:91]
	v_fma_f64 v[97:98], -v[90:91], v[95:96], 1.0
	v_fma_f64 v[95:96], v[95:96], v[97:98], v[95:96]
	v_div_scale_f64 v[97:98], vcc, v[117:118], v[119:120], v[117:118]
	v_fma_f64 v[99:100], -v[90:91], v[95:96], 1.0
	v_fma_f64 v[95:96], v[95:96], v[99:100], v[95:96]
	v_mul_f64 v[99:100], v[97:98], v[95:96]
	v_fma_f64 v[90:91], -v[90:91], v[99:100], v[97:98]
	v_div_fmas_f64 v[90:91], v[90:91], v[95:96], v[99:100]
	v_div_fixup_f64 v[90:91], v[90:91], v[119:120], v[117:118]
	v_fma_f64 v[95:96], v[117:118], v[90:91], v[119:120]
	v_div_scale_f64 v[97:98], s[20:21], v[95:96], v[95:96], 1.0
	v_div_scale_f64 v[103:104], vcc, 1.0, v[95:96], 1.0
	v_rcp_f64_e32 v[99:100], v[97:98]
	v_fma_f64 v[101:102], -v[97:98], v[99:100], 1.0
	v_fma_f64 v[99:100], v[99:100], v[101:102], v[99:100]
	v_fma_f64 v[101:102], -v[97:98], v[99:100], 1.0
	v_fma_f64 v[99:100], v[99:100], v[101:102], v[99:100]
	v_mul_f64 v[101:102], v[103:104], v[99:100]
	v_fma_f64 v[97:98], -v[97:98], v[101:102], v[103:104]
	v_div_fmas_f64 v[97:98], v[97:98], v[99:100], v[101:102]
	v_div_fixup_f64 v[119:120], v[97:98], v[95:96], 1.0
	v_mul_f64 v[117:118], v[90:91], v[119:120]
	v_xor_b32_e32 v120, 0x80000000, v120
.LBB108_1141:
	s_andn2_saveexec_b64 s[18:19], s[18:19]
	s_cbranch_execz .LBB108_1143
; %bb.1142:
	v_div_scale_f64 v[90:91], s[20:21], v[117:118], v[117:118], v[119:120]
	v_rcp_f64_e32 v[95:96], v[90:91]
	v_fma_f64 v[97:98], -v[90:91], v[95:96], 1.0
	v_fma_f64 v[95:96], v[95:96], v[97:98], v[95:96]
	v_div_scale_f64 v[97:98], vcc, v[119:120], v[117:118], v[119:120]
	v_fma_f64 v[99:100], -v[90:91], v[95:96], 1.0
	v_fma_f64 v[95:96], v[95:96], v[99:100], v[95:96]
	v_mul_f64 v[99:100], v[97:98], v[95:96]
	v_fma_f64 v[90:91], -v[90:91], v[99:100], v[97:98]
	v_div_fmas_f64 v[90:91], v[90:91], v[95:96], v[99:100]
	v_div_fixup_f64 v[90:91], v[90:91], v[117:118], v[119:120]
	v_fma_f64 v[95:96], v[119:120], v[90:91], v[117:118]
	v_div_scale_f64 v[97:98], s[20:21], v[95:96], v[95:96], 1.0
	v_div_scale_f64 v[103:104], vcc, 1.0, v[95:96], 1.0
	v_rcp_f64_e32 v[99:100], v[97:98]
	v_fma_f64 v[101:102], -v[97:98], v[99:100], 1.0
	v_fma_f64 v[99:100], v[99:100], v[101:102], v[99:100]
	v_fma_f64 v[101:102], -v[97:98], v[99:100], 1.0
	v_fma_f64 v[99:100], v[99:100], v[101:102], v[99:100]
	v_mul_f64 v[101:102], v[103:104], v[99:100]
	v_fma_f64 v[97:98], -v[97:98], v[101:102], v[103:104]
	v_div_fmas_f64 v[97:98], v[97:98], v[99:100], v[101:102]
	v_div_fixup_f64 v[117:118], v[97:98], v[95:96], 1.0
	v_mul_f64 v[119:120], v[90:91], -v[117:118]
.LBB108_1143:
	s_or_b64 exec, exec, s[18:19]
.LBB108_1144:
	s_or_b64 exec, exec, s[0:1]
	v_cmp_ne_u32_e32 vcc, v93, v89
	v_mov_b32_e32 v90, 54
	s_and_saveexec_b64 s[0:1], vcc
	s_cbranch_execz .LBB108_1150
; %bb.1145:
	v_cmp_eq_u32_e32 vcc, 54, v93
	s_and_saveexec_b64 s[18:19], vcc
	s_cbranch_execz .LBB108_1149
; %bb.1146:
	v_cmp_ne_u32_e32 vcc, 54, v89
	s_xor_b64 s[6:7], s[6:7], -1
	s_and_b64 s[20:21], s[6:7], vcc
	s_and_saveexec_b64 s[6:7], s[20:21]
	s_cbranch_execz .LBB108_1148
; %bb.1147:
	buffer_load_dword v81, off, s[24:27], 0 offset:452 ; 4-byte Folded Reload
	buffer_load_dword v82, off, s[24:27], 0 offset:456 ; 4-byte Folded Reload
	v_ashrrev_i32_e32 v90, 31, v89
	v_lshlrev_b64 v[90:91], 2, v[89:90]
	s_waitcnt vmcnt(1)
	v_add_co_u32_e32 v90, vcc, v81, v90
	s_waitcnt vmcnt(0)
	v_addc_co_u32_e32 v91, vcc, v82, v91, vcc
	global_load_dword v0, v[90:91], off
	global_load_dword v92, v[81:82], off offset:216
	s_waitcnt vmcnt(1)
	global_store_dword v[81:82], v0, off offset:216
	v_mov_b32_e32 v81, v105
	v_mov_b32_e32 v82, v106
	;; [unrolled: 1-line block ×4, first 2 shown]
	s_waitcnt vmcnt(1)
	global_store_dword v[90:91], v92, off
.LBB108_1148:
	s_or_b64 exec, exec, s[6:7]
	v_mov_b32_e32 v93, v89
	v_mov_b32_e32 v0, v89
	buffer_store_dword v0, off, s[24:27], 0 offset:368 ; 4-byte Folded Spill
.LBB108_1149:
	s_or_b64 exec, exec, s[18:19]
	v_mov_b32_e32 v90, v93
.LBB108_1150:
	s_or_b64 exec, exec, s[0:1]
	v_cmp_gt_i32_e32 vcc, 55, v90
	v_ashrrev_i32_e32 v91, 31, v90
	s_waitcnt vmcnt(0)
	s_barrier
	s_barrier
	s_and_saveexec_b64 s[0:1], vcc
	s_cbranch_execz .LBB108_1152
; %bb.1151:
	buffer_load_dword v73, off, s[24:27], 0 offset:512 ; 4-byte Folded Reload
	buffer_load_dword v74, off, s[24:27], 0 offset:516 ; 4-byte Folded Reload
	s_waitcnt vmcnt(1)
	v_mul_lo_u32 v0, s15, v73
	s_waitcnt vmcnt(0)
	v_mul_lo_u32 v89, s14, v74
	v_mad_u64_u32 v[92:93], s[6:7], s14, v73, 0
	s_lshl_b64 s[6:7], s[12:13], 2
	v_add3_u32 v93, v93, v89, v0
	v_lshlrev_b64 v[92:93], 2, v[92:93]
	v_mov_b32_e32 v0, s11
	v_add_co_u32_e32 v89, vcc, s10, v92
	v_addc_co_u32_e32 v0, vcc, v0, v93, vcc
	v_mov_b32_e32 v92, s7
	v_add_co_u32_e32 v89, vcc, s6, v89
	v_addc_co_u32_e32 v0, vcc, v0, v92, vcc
	v_lshlrev_b64 v[92:93], 2, v[90:91]
	v_add_co_u32_e32 v92, vcc, v89, v92
	v_addc_co_u32_e32 v93, vcc, v0, v93, vcc
	buffer_load_dword v0, off, s[24:27], 0 offset:368 ; 4-byte Folded Reload
	s_waitcnt vmcnt(0)
	v_add3_u32 v0, v0, s17, 1
	global_store_dword v[92:93], v0, off
.LBB108_1152:
	s_or_b64 exec, exec, s[0:1]
	v_cmp_eq_u32_e32 vcc, 0, v90
	s_and_saveexec_b64 s[6:7], vcc
	s_cbranch_execz .LBB108_1155
; %bb.1153:
	buffer_load_dword v73, off, s[24:27], 0 offset:512 ; 4-byte Folded Reload
	buffer_load_dword v74, off, s[24:27], 0 offset:516 ; 4-byte Folded Reload
	v_mov_b32_e32 v0, s5
	v_cmp_ne_u32_e64 s[0:1], 0, v94
	s_waitcnt vmcnt(0)
	v_lshlrev_b64 v[92:93], 2, v[73:74]
	v_add_co_u32_e32 v92, vcc, s4, v92
	v_addc_co_u32_e32 v93, vcc, v0, v93, vcc
	global_load_dword v0, v[92:93], off
	s_waitcnt vmcnt(0)
	v_cmp_eq_u32_e32 vcc, 0, v0
	s_and_b64 s[0:1], vcc, s[0:1]
	s_and_b64 exec, exec, s[0:1]
	s_cbranch_execz .LBB108_1155
; %bb.1154:
	v_add_u32_e32 v0, s17, v94
	global_store_dword v[92:93], v0, off
.LBB108_1155:
	s_or_b64 exec, exec, s[6:7]
	v_mul_f64 v[94:95], v[119:120], v[123:124]
	v_mul_f64 v[92:93], v[117:118], v[123:124]
	v_cmp_lt_i32_e32 vcc, 54, v90
	v_mov_b32_e32 v0, s9
	v_add_u32_e32 v89, s16, v90
	v_fma_f64 v[94:95], v[117:118], v[121:122], -v[94:95]
	v_fma_f64 v[92:93], v[119:120], v[121:122], v[92:93]
	v_cndmask_b32_e32 v117, v121, v94, vcc
	buffer_load_dword v94, off, s[24:27], 0 offset:520 ; 4-byte Folded Reload
	v_cndmask_b32_e32 v120, v124, v93, vcc
	buffer_load_dword v93, off, s[24:27], 0 offset:508 ; 4-byte Folded Reload
	buffer_load_dword v73, off, s[24:27], 0 offset:492 ; 4-byte Folded Reload
	buffer_load_dword v74, off, s[24:27], 0 offset:496 ; 4-byte Folded Reload
	buffer_load_dword v75, off, s[24:27], 0 offset:500 ; 4-byte Folded Reload
	buffer_load_dword v76, off, s[24:27], 0 offset:504 ; 4-byte Folded Reload
	v_cndmask_b32_e32 v119, v123, v92, vcc
	v_lshlrev_b64 v[91:92], 4, v[90:91]
	v_cndmask_b32_e32 v118, v122, v95, vcc
	v_ashrrev_i32_e32 v90, 31, v89
	s_waitcnt vmcnt(5)
	v_add_co_u32_e32 v91, vcc, v94, v91
	s_waitcnt vmcnt(4)
	v_addc_co_u32_e32 v92, vcc, v93, v92, vcc
	s_waitcnt vmcnt(0)
	global_store_dwordx4 v[91:92], v[73:76], off
	buffer_load_dword v73, off, s[24:27], 0 offset:476 ; 4-byte Folded Reload
	s_nop 0
	buffer_load_dword v74, off, s[24:27], 0 offset:480 ; 4-byte Folded Reload
	buffer_load_dword v75, off, s[24:27], 0 offset:484 ; 4-byte Folded Reload
	;; [unrolled: 1-line block ×3, first 2 shown]
	v_add_co_u32_e32 v91, vcc, s8, v91
	v_addc_co_u32_e32 v92, vcc, v92, v0, vcc
	s_waitcnt vmcnt(0)
	global_store_dwordx4 v[91:92], v[73:76], off
	buffer_load_dword v73, off, s[24:27], 0 offset:460 ; 4-byte Folded Reload
	s_nop 0
	buffer_load_dword v74, off, s[24:27], 0 offset:464 ; 4-byte Folded Reload
	buffer_load_dword v75, off, s[24:27], 0 offset:468 ; 4-byte Folded Reload
	;; [unrolled: 1-line block ×3, first 2 shown]
	v_lshlrev_b64 v[90:91], 4, v[89:90]
	v_add_u32_e32 v89, s2, v89
	v_add_co_u32_e32 v90, vcc, v94, v90
	v_addc_co_u32_e32 v91, vcc, v93, v91, vcc
	s_waitcnt vmcnt(0)
	global_store_dwordx4 v[90:91], v[73:76], off
	buffer_load_dword v73, off, s[24:27], 0 offset:436 ; 4-byte Folded Reload
	s_nop 0
	buffer_load_dword v74, off, s[24:27], 0 offset:440 ; 4-byte Folded Reload
	buffer_load_dword v75, off, s[24:27], 0 offset:444 ; 4-byte Folded Reload
	buffer_load_dword v76, off, s[24:27], 0 offset:448 ; 4-byte Folded Reload
	v_ashrrev_i32_e32 v90, 31, v89
	v_lshlrev_b64 v[90:91], 4, v[89:90]
	v_add_u32_e32 v89, s2, v89
	v_add_co_u32_e32 v90, vcc, v94, v90
	v_addc_co_u32_e32 v91, vcc, v93, v91, vcc
	s_waitcnt vmcnt(0)
	global_store_dwordx4 v[90:91], v[73:76], off
	buffer_load_dword v73, off, s[24:27], 0 offset:420 ; 4-byte Folded Reload
	s_nop 0
	buffer_load_dword v74, off, s[24:27], 0 offset:424 ; 4-byte Folded Reload
	buffer_load_dword v75, off, s[24:27], 0 offset:428 ; 4-byte Folded Reload
	buffer_load_dword v76, off, s[24:27], 0 offset:432 ; 4-byte Folded Reload
	v_ashrrev_i32_e32 v90, 31, v89
	;; [unrolled: 12-line block ×27, first 2 shown]
	v_lshlrev_b64 v[90:91], 4, v[89:90]
	v_add_u32_e32 v89, s2, v89
	v_add_co_u32_e32 v90, vcc, v94, v90
	v_addc_co_u32_e32 v91, vcc, v93, v91, vcc
	s_waitcnt vmcnt(0)
	global_store_dwordx4 v[90:91], v[73:76], off
	v_ashrrev_i32_e32 v90, 31, v89
	v_lshlrev_b64 v[90:91], 4, v[89:90]
	v_add_u32_e32 v89, s2, v89
	v_add_co_u32_e32 v90, vcc, v94, v90
	v_addc_co_u32_e32 v91, vcc, v93, v91, vcc
	global_store_dwordx4 v[90:91], v[81:84], off
	v_ashrrev_i32_e32 v90, 31, v89
	v_lshlrev_b64 v[90:91], 4, v[89:90]
	v_add_u32_e32 v89, s2, v89
	v_add_co_u32_e32 v90, vcc, v94, v90
	v_addc_co_u32_e32 v91, vcc, v93, v91, vcc
	global_store_dwordx4 v[90:91], v[85:88], off
	v_ashrrev_i32_e32 v90, 31, v89
	v_lshlrev_b64 v[90:91], 4, v[89:90]
	v_add_u32_e32 v85, s2, v89
	v_ashrrev_i32_e32 v86, 31, v85
	v_add_co_u32_e32 v90, vcc, v94, v90
	v_lshlrev_b64 v[86:87], 4, v[85:86]
	v_add_u32_e32 v81, s2, v85
	v_addc_co_u32_e32 v91, vcc, v93, v91, vcc
	v_ashrrev_i32_e32 v82, 31, v81
	v_add_co_u32_e32 v86, vcc, v94, v86
	v_lshlrev_b64 v[82:83], 4, v[81:82]
	v_addc_co_u32_e32 v87, vcc, v93, v87, vcc
	v_add_co_u32_e32 v82, vcc, v94, v82
	v_addc_co_u32_e32 v83, vcc, v93, v83, vcc
	global_store_dwordx4 v[90:91], v[109:112], off
	global_store_dwordx4 v[86:87], v[113:116], off
	;; [unrolled: 1-line block ×3, first 2 shown]
	buffer_load_dword v73, off, s[24:27], 0 ; 4-byte Folded Reload
	buffer_load_dword v74, off, s[24:27], 0 offset:4 ; 4-byte Folded Reload
	buffer_load_dword v75, off, s[24:27], 0 offset:8 ; 4-byte Folded Reload
	;; [unrolled: 1-line block ×3, first 2 shown]
	v_add_u32_e32 v77, s2, v81
	v_ashrrev_i32_e32 v78, 31, v77
	v_lshlrev_b64 v[78:79], 4, v[77:78]
	v_add_co_u32_e32 v78, vcc, v94, v78
	v_addc_co_u32_e32 v79, vcc, v93, v79, vcc
	s_waitcnt vmcnt(0)
	global_store_dwordx4 v[78:79], v[73:76], off
	s_nop 0
	v_add_u32_e32 v73, s2, v77
	v_ashrrev_i32_e32 v74, 31, v73
	v_lshlrev_b64 v[74:75], 4, v[73:74]
	v_add_co_u32_e32 v74, vcc, v94, v74
	v_addc_co_u32_e32 v75, vcc, v93, v75, vcc
	global_store_dwordx4 v[74:75], v[69:72], off
	s_nop 0
	v_add_u32_e32 v69, s2, v73
	v_ashrrev_i32_e32 v70, 31, v69
	v_lshlrev_b64 v[70:71], 4, v[69:70]
	v_add_co_u32_e32 v70, vcc, v94, v70
	v_addc_co_u32_e32 v71, vcc, v93, v71, vcc
	;; [unrolled: 7-line block ×17, first 2 shown]
	global_store_dwordx4 v[10:11], v[5:8], off
	s_nop 0
	v_add_u32_e32 v5, s2, v9
	v_ashrrev_i32_e32 v6, 31, v5
	v_lshlrev_b64 v[6:7], 4, v[5:6]
	v_add_u32_e32 v0, s2, v5
	v_add_co_u32_e32 v6, vcc, v94, v6
	v_addc_co_u32_e32 v7, vcc, v93, v7, vcc
	global_store_dwordx4 v[6:7], v[1:4], off
	s_nop 0
	v_ashrrev_i32_e32 v1, 31, v0
	v_lshlrev_b64 v[0:1], 4, v[0:1]
	v_add_co_u32_e32 v0, vcc, v94, v0
	v_addc_co_u32_e32 v1, vcc, v93, v1, vcc
	global_store_dwordx4 v[0:1], v[117:120], off
.LBB108_1156:
	s_endpgm
	.section	.rodata,"a",@progbits
	.p2align	6, 0x0
	.amdhsa_kernel _ZN9rocsolver6v33100L18getf2_small_kernelILi55E19rocblas_complex_numIdEiiPS3_EEvT1_T3_lS5_lPS5_llPT2_S5_S5_S7_l
		.amdhsa_group_segment_fixed_size 0
		.amdhsa_private_segment_fixed_size 528
		.amdhsa_kernarg_size 352
		.amdhsa_user_sgpr_count 6
		.amdhsa_user_sgpr_private_segment_buffer 1
		.amdhsa_user_sgpr_dispatch_ptr 0
		.amdhsa_user_sgpr_queue_ptr 0
		.amdhsa_user_sgpr_kernarg_segment_ptr 1
		.amdhsa_user_sgpr_dispatch_id 0
		.amdhsa_user_sgpr_flat_scratch_init 0
		.amdhsa_user_sgpr_private_segment_size 0
		.amdhsa_uses_dynamic_stack 0
		.amdhsa_system_sgpr_private_segment_wavefront_offset 1
		.amdhsa_system_sgpr_workgroup_id_x 1
		.amdhsa_system_sgpr_workgroup_id_y 1
		.amdhsa_system_sgpr_workgroup_id_z 0
		.amdhsa_system_sgpr_workgroup_info 0
		.amdhsa_system_vgpr_workitem_id 1
		.amdhsa_next_free_vgpr 128
		.amdhsa_next_free_sgpr 30
		.amdhsa_reserve_vcc 1
		.amdhsa_reserve_flat_scratch 0
		.amdhsa_float_round_mode_32 0
		.amdhsa_float_round_mode_16_64 0
		.amdhsa_float_denorm_mode_32 3
		.amdhsa_float_denorm_mode_16_64 3
		.amdhsa_dx10_clamp 1
		.amdhsa_ieee_mode 1
		.amdhsa_fp16_overflow 0
		.amdhsa_exception_fp_ieee_invalid_op 0
		.amdhsa_exception_fp_denorm_src 0
		.amdhsa_exception_fp_ieee_div_zero 0
		.amdhsa_exception_fp_ieee_overflow 0
		.amdhsa_exception_fp_ieee_underflow 0
		.amdhsa_exception_fp_ieee_inexact 0
		.amdhsa_exception_int_div_zero 0
	.end_amdhsa_kernel
	.section	.text._ZN9rocsolver6v33100L18getf2_small_kernelILi55E19rocblas_complex_numIdEiiPS3_EEvT1_T3_lS5_lPS5_llPT2_S5_S5_S7_l,"axG",@progbits,_ZN9rocsolver6v33100L18getf2_small_kernelILi55E19rocblas_complex_numIdEiiPS3_EEvT1_T3_lS5_lPS5_llPT2_S5_S5_S7_l,comdat
.Lfunc_end108:
	.size	_ZN9rocsolver6v33100L18getf2_small_kernelILi55E19rocblas_complex_numIdEiiPS3_EEvT1_T3_lS5_lPS5_llPT2_S5_S5_S7_l, .Lfunc_end108-_ZN9rocsolver6v33100L18getf2_small_kernelILi55E19rocblas_complex_numIdEiiPS3_EEvT1_T3_lS5_lPS5_llPT2_S5_S5_S7_l
                                        ; -- End function
	.set _ZN9rocsolver6v33100L18getf2_small_kernelILi55E19rocblas_complex_numIdEiiPS3_EEvT1_T3_lS5_lPS5_llPT2_S5_S5_S7_l.num_vgpr, 128
	.set _ZN9rocsolver6v33100L18getf2_small_kernelILi55E19rocblas_complex_numIdEiiPS3_EEvT1_T3_lS5_lPS5_llPT2_S5_S5_S7_l.num_agpr, 0
	.set _ZN9rocsolver6v33100L18getf2_small_kernelILi55E19rocblas_complex_numIdEiiPS3_EEvT1_T3_lS5_lPS5_llPT2_S5_S5_S7_l.numbered_sgpr, 30
	.set _ZN9rocsolver6v33100L18getf2_small_kernelILi55E19rocblas_complex_numIdEiiPS3_EEvT1_T3_lS5_lPS5_llPT2_S5_S5_S7_l.num_named_barrier, 0
	.set _ZN9rocsolver6v33100L18getf2_small_kernelILi55E19rocblas_complex_numIdEiiPS3_EEvT1_T3_lS5_lPS5_llPT2_S5_S5_S7_l.private_seg_size, 528
	.set _ZN9rocsolver6v33100L18getf2_small_kernelILi55E19rocblas_complex_numIdEiiPS3_EEvT1_T3_lS5_lPS5_llPT2_S5_S5_S7_l.uses_vcc, 1
	.set _ZN9rocsolver6v33100L18getf2_small_kernelILi55E19rocblas_complex_numIdEiiPS3_EEvT1_T3_lS5_lPS5_llPT2_S5_S5_S7_l.uses_flat_scratch, 0
	.set _ZN9rocsolver6v33100L18getf2_small_kernelILi55E19rocblas_complex_numIdEiiPS3_EEvT1_T3_lS5_lPS5_llPT2_S5_S5_S7_l.has_dyn_sized_stack, 0
	.set _ZN9rocsolver6v33100L18getf2_small_kernelILi55E19rocblas_complex_numIdEiiPS3_EEvT1_T3_lS5_lPS5_llPT2_S5_S5_S7_l.has_recursion, 0
	.set _ZN9rocsolver6v33100L18getf2_small_kernelILi55E19rocblas_complex_numIdEiiPS3_EEvT1_T3_lS5_lPS5_llPT2_S5_S5_S7_l.has_indirect_call, 0
	.section	.AMDGPU.csdata,"",@progbits
; Kernel info:
; codeLenInByte = 215500
; TotalNumSgprs: 34
; NumVgprs: 128
; ScratchSize: 528
; MemoryBound: 0
; FloatMode: 240
; IeeeMode: 1
; LDSByteSize: 0 bytes/workgroup (compile time only)
; SGPRBlocks: 4
; VGPRBlocks: 31
; NumSGPRsForWavesPerEU: 34
; NumVGPRsForWavesPerEU: 128
; Occupancy: 2
; WaveLimiterHint : 0
; COMPUTE_PGM_RSRC2:SCRATCH_EN: 1
; COMPUTE_PGM_RSRC2:USER_SGPR: 6
; COMPUTE_PGM_RSRC2:TRAP_HANDLER: 0
; COMPUTE_PGM_RSRC2:TGID_X_EN: 1
; COMPUTE_PGM_RSRC2:TGID_Y_EN: 1
; COMPUTE_PGM_RSRC2:TGID_Z_EN: 0
; COMPUTE_PGM_RSRC2:TIDIG_COMP_CNT: 1
	.section	.text._ZN9rocsolver6v33100L23getf2_npvt_small_kernelILi55E19rocblas_complex_numIdEiiPS3_EEvT1_T3_lS5_lPT2_S5_S5_,"axG",@progbits,_ZN9rocsolver6v33100L23getf2_npvt_small_kernelILi55E19rocblas_complex_numIdEiiPS3_EEvT1_T3_lS5_lPT2_S5_S5_,comdat
	.globl	_ZN9rocsolver6v33100L23getf2_npvt_small_kernelILi55E19rocblas_complex_numIdEiiPS3_EEvT1_T3_lS5_lPT2_S5_S5_ ; -- Begin function _ZN9rocsolver6v33100L23getf2_npvt_small_kernelILi55E19rocblas_complex_numIdEiiPS3_EEvT1_T3_lS5_lPT2_S5_S5_
	.p2align	8
	.type	_ZN9rocsolver6v33100L23getf2_npvt_small_kernelILi55E19rocblas_complex_numIdEiiPS3_EEvT1_T3_lS5_lPT2_S5_S5_,@function
_ZN9rocsolver6v33100L23getf2_npvt_small_kernelILi55E19rocblas_complex_numIdEiiPS3_EEvT1_T3_lS5_lPT2_S5_S5_: ; @_ZN9rocsolver6v33100L23getf2_npvt_small_kernelILi55E19rocblas_complex_numIdEiiPS3_EEvT1_T3_lS5_lPT2_S5_S5_
; %bb.0:
	s_mov_b64 s[22:23], s[2:3]
	s_mov_b64 s[20:21], s[0:1]
	s_load_dword s0, s[4:5], 0x44
	s_load_dwordx2 s[12:13], s[4:5], 0x30
	s_add_u32 s20, s20, s8
	s_addc_u32 s21, s21, 0
	s_waitcnt lgkmcnt(0)
	s_lshr_b32 s2, s0, 16
	s_mul_i32 s7, s7, s2
	v_add_u32_e32 v2, s7, v1
	v_cmp_gt_i32_e32 vcc, s12, v2
	s_and_saveexec_b64 s[0:1], vcc
	s_cbranch_execnz .LBB109_1
; %bb.499:
	s_getpc_b64 s[14:15]
.Lpost_getpc23:
	s_add_u32 s14, s14, (.LBB109_498-.Lpost_getpc23)&4294967295
	s_addc_u32 s15, s15, (.LBB109_498-.Lpost_getpc23)>>32
	s_setpc_b64 s[14:15]
.LBB109_1:
	s_load_dwordx4 s[8:11], s[4:5], 0x20
	s_load_dwordx4 s[16:19], s[4:5], 0x8
	v_ashrrev_i32_e32 v3, 31, v2
	s_mulk_i32 s2, 0x370
	s_waitcnt lgkmcnt(0)
	v_mul_lo_u32 v4, s9, v2
	v_mul_lo_u32 v5, s8, v3
	buffer_store_dword v2, off, s[20:23], 0 offset:1728 ; 4-byte Folded Spill
	s_nop 0
	buffer_store_dword v3, off, s[20:23], 0 offset:1732 ; 4-byte Folded Spill
	v_mov_b32_e32 v6, s17
	v_mad_u64_u32 v[2:3], s[0:1], s8, v2, 0
	s_load_dword s0, s[4:5], 0x18
	s_lshl_b64 s[4:5], s[18:19], 4
	v_add3_u32 v3, v3, v5, v4
	v_lshlrev_b64 v[2:3], 4, v[2:3]
	v_mov_b32_e32 v4, s5
	v_add_co_u32_e32 v2, vcc, s16, v2
	v_addc_co_u32_e32 v3, vcc, v6, v3, vcc
	v_add_co_u32_e32 v2, vcc, s4, v2
	s_waitcnt lgkmcnt(0)
	s_add_i32 s1, s0, s0
	v_addc_co_u32_e32 v3, vcc, v3, v4, vcc
	v_add_u32_e32 v4, s1, v0
	v_ashrrev_i32_e32 v5, 31, v4
	v_lshlrev_b64 v[5:6], 4, v[4:5]
	v_add_u32_e32 v4, s0, v4
	v_add_co_u32_e32 v69, vcc, v2, v5
	v_ashrrev_i32_e32 v5, 31, v4
	v_addc_co_u32_e32 v70, vcc, v3, v6, vcc
	v_lshlrev_b64 v[5:6], 4, v[4:5]
	v_add_u32_e32 v4, s0, v4
	v_add_co_u32_e32 v71, vcc, v2, v5
	v_ashrrev_i32_e32 v5, 31, v4
	v_addc_co_u32_e32 v72, vcc, v3, v6, vcc
	;; [unrolled: 5-line block ×51, first 2 shown]
	v_lshlrev_b64 v[5:6], 4, v[4:5]
	v_add_u32_e32 v4, s0, v4
	v_add_co_u32_e32 v117, vcc, v2, v5
	v_ashrrev_i32_e32 v5, 31, v4
	v_lshlrev_b64 v[4:5], 4, v[4:5]
	v_addc_co_u32_e32 v118, vcc, v3, v6, vcc
	v_add_co_u32_e32 v119, vcc, v2, v4
	v_addc_co_u32_e32 v120, vcc, v3, v5, vcc
	v_lshlrev_b32_e32 v4, 4, v0
	v_add_co_u32_e32 v4, vcc, v2, v4
	s_ashr_i32 s1, s0, 31
	v_addc_co_u32_e32 v5, vcc, 0, v3, vcc
	s_lshl_b64 s[0:1], s[0:1], 4
	v_mov_b32_e32 v2, s1
	v_add_co_u32_e32 v73, vcc, s0, v4
	v_addc_co_u32_e32 v74, vcc, v5, v2, vcc
	buffer_store_dword v4, off, s[20:23], 0 offset:920 ; 4-byte Folded Spill
	s_nop 0
	buffer_store_dword v5, off, s[20:23], 0 offset:924 ; 4-byte Folded Spill
	s_movk_i32 s0, 0x370
	s_add_i32 s1, s2, 0
	v_mad_u32_u24 v125, v1, s0, 0
	v_lshl_add_u32 v127, v1, 4, s1
	v_cmp_ne_u32_e64 s[2:3], 0, v0
	v_cmp_eq_u32_e64 s[0:1], 0, v0
	global_load_dwordx4 v[1:4], v[4:5], off
	s_waitcnt vmcnt(0)
	buffer_store_dword v1, off, s[20:23], 0 offset:496 ; 4-byte Folded Spill
	s_nop 0
	buffer_store_dword v2, off, s[20:23], 0 offset:500 ; 4-byte Folded Spill
	buffer_store_dword v3, off, s[20:23], 0 offset:504 ; 4-byte Folded Spill
	buffer_store_dword v4, off, s[20:23], 0 offset:508 ; 4-byte Folded Spill
	buffer_store_dword v73, off, s[20:23], 0 offset:928 ; 4-byte Folded Spill
	s_nop 0
	buffer_store_dword v74, off, s[20:23], 0 offset:932 ; 4-byte Folded Spill
	global_load_dwordx4 v[1:4], v[73:74], off
	s_waitcnt vmcnt(0)
	buffer_store_dword v1, off, s[20:23], 0 offset:480 ; 4-byte Folded Spill
	s_nop 0
	buffer_store_dword v2, off, s[20:23], 0 offset:484 ; 4-byte Folded Spill
	buffer_store_dword v3, off, s[20:23], 0 offset:488 ; 4-byte Folded Spill
	buffer_store_dword v4, off, s[20:23], 0 offset:492 ; 4-byte Folded Spill
	buffer_store_dword v69, off, s[20:23], 0 offset:888 ; 4-byte Folded Spill
	s_nop 0
	buffer_store_dword v70, off, s[20:23], 0 offset:892 ; 4-byte Folded Spill
	;; [unrolled: 10-line block ×6, first 2 shown]
	global_load_dwordx4 v[1:4], v[7:8], off
	s_waitcnt vmcnt(0)
	buffer_store_dword v1, off, s[20:23], 0 offset:400 ; 4-byte Folded Spill
	s_nop 0
	buffer_store_dword v2, off, s[20:23], 0 offset:404 ; 4-byte Folded Spill
	buffer_store_dword v3, off, s[20:23], 0 offset:408 ; 4-byte Folded Spill
	buffer_store_dword v4, off, s[20:23], 0 offset:412 ; 4-byte Folded Spill
	global_load_dwordx4 v[1:4], v[85:86], off
	s_waitcnt vmcnt(0)
	buffer_store_dword v1, off, s[20:23], 0 offset:384 ; 4-byte Folded Spill
	s_nop 0
	buffer_store_dword v2, off, s[20:23], 0 offset:388 ; 4-byte Folded Spill
	buffer_store_dword v3, off, s[20:23], 0 offset:392 ; 4-byte Folded Spill
	buffer_store_dword v4, off, s[20:23], 0 offset:396 ; 4-byte Folded Spill
	buffer_store_dword v9, off, s[20:23], 0 offset:520 ; 4-byte Folded Spill
	s_nop 0
	buffer_store_dword v10, off, s[20:23], 0 offset:524 ; 4-byte Folded Spill
	global_load_dwordx4 v[1:4], v[9:10], off
	s_waitcnt vmcnt(0)
	buffer_store_dword v1, off, s[20:23], 0 offset:368 ; 4-byte Folded Spill
	s_nop 0
	buffer_store_dword v2, off, s[20:23], 0 offset:372 ; 4-byte Folded Spill
	buffer_store_dword v3, off, s[20:23], 0 offset:376 ; 4-byte Folded Spill
	buffer_store_dword v4, off, s[20:23], 0 offset:380 ; 4-byte Folded Spill
	buffer_store_dword v11, off, s[20:23], 0 offset:528 ; 4-byte Folded Spill
	s_nop 0
	buffer_store_dword v12, off, s[20:23], 0 offset:532 ; 4-byte Folded Spill
	;; [unrolled: 10-line block ×24, first 2 shown]
	global_load_dwordx4 v[1:4], v[55:56], off
	s_waitcnt vmcnt(0)
	buffer_store_dword v1, off, s[20:23], 0 ; 4-byte Folded Spill
	s_nop 0
	buffer_store_dword v2, off, s[20:23], 0 offset:4 ; 4-byte Folded Spill
	buffer_store_dword v3, off, s[20:23], 0 offset:8 ; 4-byte Folded Spill
	;; [unrolled: 1-line block ×4, first 2 shown]
	s_nop 0
	buffer_store_dword v58, off, s[20:23], 0 offset:716 ; 4-byte Folded Spill
	global_load_dwordx4 v[1:4], v[57:58], off
	s_nop 0
	buffer_store_dword v59, off, s[20:23], 0 offset:720 ; 4-byte Folded Spill
	s_nop 0
	buffer_store_dword v60, off, s[20:23], 0 offset:724 ; 4-byte Folded Spill
	global_load_dwordx4 v[81:84], v[59:60], off
	s_nop 0
	buffer_store_dword v61, off, s[20:23], 0 offset:728 ; 4-byte Folded Spill
	;; [unrolled: 5-line block ×9, first 2 shown]
	s_nop 0
	buffer_store_dword v98, off, s[20:23], 0 offset:788 ; 4-byte Folded Spill
	s_waitcnt vmcnt(26)
	v_mov_b32_e32 v96, v4
	v_mov_b32_e32 v95, v3
	;; [unrolled: 1-line block ×4, first 2 shown]
	global_load_dwordx4 v[49:52], v[97:98], off
	s_nop 0
	buffer_store_dword v99, off, s[20:23], 0 offset:792 ; 4-byte Folded Spill
	s_nop 0
	buffer_store_dword v100, off, s[20:23], 0 offset:796 ; 4-byte Folded Spill
	global_load_dwordx4 v[45:48], v[99:100], off
	s_nop 0
	buffer_store_dword v101, off, s[20:23], 0 offset:800 ; 4-byte Folded Spill
	s_nop 0
	buffer_store_dword v102, off, s[20:23], 0 offset:804 ; 4-byte Folded Spill
	;; [unrolled: 5-line block ×13, first 2 shown]
	global_load_dwordx4 v[121:124], v[119:120], off
	s_and_saveexec_b64 s[6:7], s[0:1]
	s_cbranch_execz .LBB109_8
; %bb.2:
	buffer_load_dword v97, off, s[20:23], 0 offset:496 ; 4-byte Folded Reload
	buffer_load_dword v98, off, s[20:23], 0 offset:500 ; 4-byte Folded Reload
	;; [unrolled: 1-line block ×4, first 2 shown]
	s_waitcnt vmcnt(0)
	ds_write2_b64 v127, v[97:98], v[99:100] offset1:1
	buffer_load_dword v97, off, s[20:23], 0 offset:480 ; 4-byte Folded Reload
	buffer_load_dword v98, off, s[20:23], 0 offset:484 ; 4-byte Folded Reload
	buffer_load_dword v99, off, s[20:23], 0 offset:488 ; 4-byte Folded Reload
	buffer_load_dword v100, off, s[20:23], 0 offset:492 ; 4-byte Folded Reload
	s_waitcnt vmcnt(0)
	ds_write2_b64 v125, v[97:98], v[99:100] offset0:2 offset1:3
	buffer_load_dword v97, off, s[20:23], 0 offset:464 ; 4-byte Folded Reload
	buffer_load_dword v98, off, s[20:23], 0 offset:468 ; 4-byte Folded Reload
	buffer_load_dword v99, off, s[20:23], 0 offset:472 ; 4-byte Folded Reload
	buffer_load_dword v100, off, s[20:23], 0 offset:476 ; 4-byte Folded Reload
	s_waitcnt vmcnt(0)
	ds_write2_b64 v125, v[97:98], v[99:100] offset0:4 offset1:5
	;; [unrolled: 6-line block ×30, first 2 shown]
	buffer_load_dword v97, off, s[20:23], 0 ; 4-byte Folded Reload
	buffer_load_dword v98, off, s[20:23], 0 offset:4 ; 4-byte Folded Reload
	buffer_load_dword v99, off, s[20:23], 0 offset:8 ; 4-byte Folded Reload
	;; [unrolled: 1-line block ×3, first 2 shown]
	s_waitcnt vmcnt(0)
	ds_write2_b64 v125, v[97:98], v[99:100] offset0:62 offset1:63
	ds_write2_b64 v125, v[93:94], v[95:96] offset0:64 offset1:65
	;; [unrolled: 1-line block ×24, first 2 shown]
	ds_read2_b64 v[97:100], v127 offset1:1
	s_waitcnt lgkmcnt(0)
	v_cmp_neq_f64_e32 vcc, 0, v[97:98]
	v_cmp_neq_f64_e64 s[4:5], 0, v[99:100]
	s_or_b64 s[4:5], vcc, s[4:5]
	s_and_b64 exec, exec, s[4:5]
	s_cbranch_execz .LBB109_8
; %bb.3:
	v_cmp_ngt_f64_e64 s[4:5], |v[97:98]|, |v[99:100]|
                                        ; implicit-def: $vgpr101_vgpr102
	s_and_saveexec_b64 s[8:9], s[4:5]
	s_xor_b64 s[4:5], exec, s[8:9]
                                        ; implicit-def: $vgpr103_vgpr104
	s_cbranch_execz .LBB109_5
; %bb.4:
	v_div_scale_f64 v[101:102], s[8:9], v[99:100], v[99:100], v[97:98]
	v_rcp_f64_e32 v[103:104], v[101:102]
	v_fma_f64 v[105:106], -v[101:102], v[103:104], 1.0
	v_fma_f64 v[103:104], v[103:104], v[105:106], v[103:104]
	v_div_scale_f64 v[105:106], vcc, v[97:98], v[99:100], v[97:98]
	v_fma_f64 v[107:108], -v[101:102], v[103:104], 1.0
	v_fma_f64 v[103:104], v[103:104], v[107:108], v[103:104]
	v_mul_f64 v[107:108], v[105:106], v[103:104]
	v_fma_f64 v[101:102], -v[101:102], v[107:108], v[105:106]
	v_div_fmas_f64 v[101:102], v[101:102], v[103:104], v[107:108]
	v_div_fixup_f64 v[101:102], v[101:102], v[99:100], v[97:98]
	v_fma_f64 v[97:98], v[97:98], v[101:102], v[99:100]
	v_div_scale_f64 v[99:100], s[8:9], v[97:98], v[97:98], 1.0
	v_div_scale_f64 v[107:108], vcc, 1.0, v[97:98], 1.0
	v_rcp_f64_e32 v[103:104], v[99:100]
	v_fma_f64 v[105:106], -v[99:100], v[103:104], 1.0
	v_fma_f64 v[103:104], v[103:104], v[105:106], v[103:104]
	v_fma_f64 v[105:106], -v[99:100], v[103:104], 1.0
	v_fma_f64 v[103:104], v[103:104], v[105:106], v[103:104]
	v_mul_f64 v[105:106], v[107:108], v[103:104]
	v_fma_f64 v[99:100], -v[99:100], v[105:106], v[107:108]
	v_div_fmas_f64 v[99:100], v[99:100], v[103:104], v[105:106]
	v_div_fixup_f64 v[103:104], v[99:100], v[97:98], 1.0
                                        ; implicit-def: $vgpr97_vgpr98
	v_mul_f64 v[101:102], v[101:102], v[103:104]
	v_xor_b32_e32 v104, 0x80000000, v104
.LBB109_5:
	s_andn2_saveexec_b64 s[4:5], s[4:5]
	s_cbranch_execz .LBB109_7
; %bb.6:
	v_div_scale_f64 v[101:102], s[8:9], v[97:98], v[97:98], v[99:100]
	v_rcp_f64_e32 v[103:104], v[101:102]
	v_fma_f64 v[105:106], -v[101:102], v[103:104], 1.0
	v_fma_f64 v[103:104], v[103:104], v[105:106], v[103:104]
	v_div_scale_f64 v[105:106], vcc, v[99:100], v[97:98], v[99:100]
	v_fma_f64 v[107:108], -v[101:102], v[103:104], 1.0
	v_fma_f64 v[103:104], v[103:104], v[107:108], v[103:104]
	v_mul_f64 v[107:108], v[105:106], v[103:104]
	v_fma_f64 v[101:102], -v[101:102], v[107:108], v[105:106]
	v_div_fmas_f64 v[101:102], v[101:102], v[103:104], v[107:108]
	v_div_fixup_f64 v[103:104], v[101:102], v[97:98], v[99:100]
	v_fma_f64 v[97:98], v[99:100], v[103:104], v[97:98]
	v_div_scale_f64 v[99:100], s[8:9], v[97:98], v[97:98], 1.0
	v_div_scale_f64 v[107:108], vcc, 1.0, v[97:98], 1.0
	v_rcp_f64_e32 v[101:102], v[99:100]
	v_fma_f64 v[105:106], -v[99:100], v[101:102], 1.0
	v_fma_f64 v[101:102], v[101:102], v[105:106], v[101:102]
	v_fma_f64 v[105:106], -v[99:100], v[101:102], 1.0
	v_fma_f64 v[101:102], v[101:102], v[105:106], v[101:102]
	v_mul_f64 v[105:106], v[107:108], v[101:102]
	v_fma_f64 v[99:100], -v[99:100], v[105:106], v[107:108]
	v_div_fmas_f64 v[99:100], v[99:100], v[101:102], v[105:106]
	v_div_fixup_f64 v[101:102], v[99:100], v[97:98], 1.0
	v_mul_f64 v[103:104], v[103:104], -v[101:102]
.LBB109_7:
	s_or_b64 exec, exec, s[4:5]
	ds_write2_b64 v127, v[101:102], v[103:104] offset1:1
.LBB109_8:
	s_or_b64 exec, exec, s[6:7]
	s_waitcnt vmcnt(0) lgkmcnt(0)
	s_barrier
	ds_read2_b64 v[97:100], v127 offset1:1
	s_waitcnt lgkmcnt(0)
	buffer_store_dword v97, off, s[20:23], 0 offset:936 ; 4-byte Folded Spill
	s_nop 0
	buffer_store_dword v98, off, s[20:23], 0 offset:940 ; 4-byte Folded Spill
	buffer_store_dword v99, off, s[20:23], 0 offset:944 ; 4-byte Folded Spill
	;; [unrolled: 1-line block ×3, first 2 shown]
	s_and_saveexec_b64 s[4:5], s[2:3]
	s_cbranch_execz .LBB109_10
; %bb.9:
	buffer_load_dword v107, off, s[20:23], 0 offset:496 ; 4-byte Folded Reload
	buffer_load_dword v108, off, s[20:23], 0 offset:500 ; 4-byte Folded Reload
	;; [unrolled: 1-line block ×8, first 2 shown]
	s_waitcnt vmcnt(0)
	v_mul_f64 v[97:98], v[101:102], v[109:110]
	v_fma_f64 v[97:98], v[99:100], v[107:108], -v[97:98]
	v_mul_f64 v[99:100], v[99:100], v[109:110]
	v_fma_f64 v[109:110], v[101:102], v[107:108], v[99:100]
	ds_read2_b64 v[99:102], v125 offset0:2 offset1:3
	buffer_load_dword v105, off, s[20:23], 0 offset:480 ; 4-byte Folded Reload
	buffer_load_dword v106, off, s[20:23], 0 offset:484 ; 4-byte Folded Reload
	buffer_load_dword v107, off, s[20:23], 0 offset:488 ; 4-byte Folded Reload
	buffer_load_dword v108, off, s[20:23], 0 offset:492 ; 4-byte Folded Reload
	s_waitcnt lgkmcnt(0)
	v_mul_f64 v[103:104], v[101:102], v[109:110]
	v_fma_f64 v[103:104], v[99:100], v[97:98], -v[103:104]
	v_mul_f64 v[99:100], v[99:100], v[109:110]
	v_fma_f64 v[99:100], v[101:102], v[97:98], v[99:100]
	s_waitcnt vmcnt(2)
	v_add_f64 v[105:106], v[105:106], -v[103:104]
	s_waitcnt vmcnt(0)
	v_add_f64 v[107:108], v[107:108], -v[99:100]
	buffer_store_dword v105, off, s[20:23], 0 offset:480 ; 4-byte Folded Spill
	s_nop 0
	buffer_store_dword v106, off, s[20:23], 0 offset:484 ; 4-byte Folded Spill
	buffer_store_dword v107, off, s[20:23], 0 offset:488 ; 4-byte Folded Spill
	buffer_store_dword v108, off, s[20:23], 0 offset:492 ; 4-byte Folded Spill
	ds_read2_b64 v[99:102], v125 offset0:4 offset1:5
	buffer_load_dword v105, off, s[20:23], 0 offset:464 ; 4-byte Folded Reload
	buffer_load_dword v106, off, s[20:23], 0 offset:468 ; 4-byte Folded Reload
	buffer_load_dword v107, off, s[20:23], 0 offset:472 ; 4-byte Folded Reload
	buffer_load_dword v108, off, s[20:23], 0 offset:476 ; 4-byte Folded Reload
	s_waitcnt lgkmcnt(0)
	v_mul_f64 v[103:104], v[101:102], v[109:110]
	v_fma_f64 v[103:104], v[99:100], v[97:98], -v[103:104]
	v_mul_f64 v[99:100], v[99:100], v[109:110]
	v_fma_f64 v[99:100], v[101:102], v[97:98], v[99:100]
	s_waitcnt vmcnt(2)
	v_add_f64 v[105:106], v[105:106], -v[103:104]
	s_waitcnt vmcnt(0)
	v_add_f64 v[107:108], v[107:108], -v[99:100]
	buffer_store_dword v105, off, s[20:23], 0 offset:464 ; 4-byte Folded Spill
	s_nop 0
	buffer_store_dword v106, off, s[20:23], 0 offset:468 ; 4-byte Folded Spill
	buffer_store_dword v107, off, s[20:23], 0 offset:472 ; 4-byte Folded Spill
	buffer_store_dword v108, off, s[20:23], 0 offset:476 ; 4-byte Folded Spill
	;; [unrolled: 19-line block ×30, first 2 shown]
	ds_read2_b64 v[99:102], v125 offset0:62 offset1:63
	buffer_load_dword v105, off, s[20:23], 0 ; 4-byte Folded Reload
	buffer_load_dword v106, off, s[20:23], 0 offset:4 ; 4-byte Folded Reload
	buffer_load_dword v107, off, s[20:23], 0 offset:8 ; 4-byte Folded Reload
	;; [unrolled: 1-line block ×3, first 2 shown]
	s_waitcnt lgkmcnt(0)
	v_mul_f64 v[103:104], v[101:102], v[109:110]
	v_fma_f64 v[103:104], v[99:100], v[97:98], -v[103:104]
	v_mul_f64 v[99:100], v[99:100], v[109:110]
	v_fma_f64 v[99:100], v[101:102], v[97:98], v[99:100]
	s_waitcnt vmcnt(2)
	v_add_f64 v[105:106], v[105:106], -v[103:104]
	s_waitcnt vmcnt(0)
	v_add_f64 v[107:108], v[107:108], -v[99:100]
	buffer_store_dword v105, off, s[20:23], 0 ; 4-byte Folded Spill
	s_nop 0
	buffer_store_dword v106, off, s[20:23], 0 offset:4 ; 4-byte Folded Spill
	buffer_store_dword v107, off, s[20:23], 0 offset:8 ; 4-byte Folded Spill
	buffer_store_dword v108, off, s[20:23], 0 offset:12 ; 4-byte Folded Spill
	ds_read2_b64 v[99:102], v125 offset0:64 offset1:65
	v_mov_b32_e32 v108, v98
	v_mov_b32_e32 v107, v97
	s_waitcnt lgkmcnt(0)
	v_mul_f64 v[103:104], v[101:102], v[109:110]
	v_fma_f64 v[103:104], v[99:100], v[97:98], -v[103:104]
	v_mul_f64 v[99:100], v[99:100], v[109:110]
	v_add_f64 v[93:94], v[93:94], -v[103:104]
	v_fma_f64 v[99:100], v[101:102], v[97:98], v[99:100]
	v_add_f64 v[95:96], v[95:96], -v[99:100]
	ds_read2_b64 v[99:102], v125 offset0:66 offset1:67
	s_waitcnt lgkmcnt(0)
	v_mul_f64 v[103:104], v[101:102], v[109:110]
	v_fma_f64 v[103:104], v[99:100], v[97:98], -v[103:104]
	v_mul_f64 v[99:100], v[99:100], v[109:110]
	v_add_f64 v[81:82], v[81:82], -v[103:104]
	v_fma_f64 v[99:100], v[101:102], v[97:98], v[99:100]
	v_add_f64 v[83:84], v[83:84], -v[99:100]
	ds_read2_b64 v[99:102], v125 offset0:68 offset1:69
	;; [unrolled: 8-line block ×21, first 2 shown]
	s_waitcnt lgkmcnt(0)
	v_mul_f64 v[103:104], v[101:102], v[109:110]
	v_fma_f64 v[103:104], v[99:100], v[97:98], -v[103:104]
	v_mul_f64 v[99:100], v[99:100], v[109:110]
	v_add_f64 v[1:2], v[1:2], -v[103:104]
	v_fma_f64 v[99:100], v[101:102], v[97:98], v[99:100]
	ds_read2_b64 v[101:104], v125 offset0:108 offset1:109
	v_add_f64 v[3:4], v[3:4], -v[99:100]
	s_waitcnt lgkmcnt(0)
	v_mul_f64 v[99:100], v[103:104], v[109:110]
	v_fma_f64 v[99:100], v[101:102], v[97:98], -v[99:100]
	v_mul_f64 v[101:102], v[101:102], v[109:110]
	buffer_store_dword v107, off, s[20:23], 0 offset:496 ; 4-byte Folded Spill
	s_nop 0
	buffer_store_dword v108, off, s[20:23], 0 offset:500 ; 4-byte Folded Spill
	buffer_store_dword v109, off, s[20:23], 0 offset:504 ; 4-byte Folded Spill
	;; [unrolled: 1-line block ×3, first 2 shown]
	v_add_f64 v[121:122], v[121:122], -v[99:100]
	v_fma_f64 v[101:102], v[103:104], v[97:98], v[101:102]
	v_add_f64 v[123:124], v[123:124], -v[101:102]
.LBB109_10:
	s_or_b64 exec, exec, s[4:5]
	v_cmp_eq_u32_e32 vcc, 1, v0
	s_waitcnt vmcnt(0)
	s_barrier
	s_and_saveexec_b64 s[4:5], vcc
	s_cbranch_execz .LBB109_17
; %bb.11:
	buffer_load_dword v97, off, s[20:23], 0 offset:480 ; 4-byte Folded Reload
	buffer_load_dword v98, off, s[20:23], 0 offset:484 ; 4-byte Folded Reload
	;; [unrolled: 1-line block ×4, first 2 shown]
	s_waitcnt vmcnt(0)
	ds_write2_b64 v127, v[97:98], v[99:100] offset1:1
	buffer_load_dword v97, off, s[20:23], 0 offset:464 ; 4-byte Folded Reload
	buffer_load_dword v98, off, s[20:23], 0 offset:468 ; 4-byte Folded Reload
	buffer_load_dword v99, off, s[20:23], 0 offset:472 ; 4-byte Folded Reload
	buffer_load_dword v100, off, s[20:23], 0 offset:476 ; 4-byte Folded Reload
	s_waitcnt vmcnt(0)
	ds_write2_b64 v125, v[97:98], v[99:100] offset0:4 offset1:5
	buffer_load_dword v97, off, s[20:23], 0 offset:448 ; 4-byte Folded Reload
	buffer_load_dword v98, off, s[20:23], 0 offset:452 ; 4-byte Folded Reload
	buffer_load_dword v99, off, s[20:23], 0 offset:456 ; 4-byte Folded Reload
	buffer_load_dword v100, off, s[20:23], 0 offset:460 ; 4-byte Folded Reload
	s_waitcnt vmcnt(0)
	ds_write2_b64 v125, v[97:98], v[99:100] offset0:6 offset1:7
	;; [unrolled: 6-line block ×29, first 2 shown]
	buffer_load_dword v97, off, s[20:23], 0 ; 4-byte Folded Reload
	buffer_load_dword v98, off, s[20:23], 0 offset:4 ; 4-byte Folded Reload
	buffer_load_dword v99, off, s[20:23], 0 offset:8 ; 4-byte Folded Reload
	;; [unrolled: 1-line block ×3, first 2 shown]
	s_waitcnt vmcnt(0)
	ds_write2_b64 v125, v[97:98], v[99:100] offset0:62 offset1:63
	ds_write2_b64 v125, v[93:94], v[95:96] offset0:64 offset1:65
	;; [unrolled: 1-line block ×24, first 2 shown]
	ds_read2_b64 v[97:100], v127 offset1:1
	s_waitcnt lgkmcnt(0)
	v_cmp_neq_f64_e32 vcc, 0, v[97:98]
	v_cmp_neq_f64_e64 s[2:3], 0, v[99:100]
	s_or_b64 s[2:3], vcc, s[2:3]
	s_and_b64 exec, exec, s[2:3]
	s_cbranch_execz .LBB109_17
; %bb.12:
	v_cmp_ngt_f64_e64 s[2:3], |v[97:98]|, |v[99:100]|
                                        ; implicit-def: $vgpr101_vgpr102
	s_and_saveexec_b64 s[6:7], s[2:3]
	s_xor_b64 s[2:3], exec, s[6:7]
                                        ; implicit-def: $vgpr103_vgpr104
	s_cbranch_execz .LBB109_14
; %bb.13:
	v_div_scale_f64 v[101:102], s[6:7], v[99:100], v[99:100], v[97:98]
	v_rcp_f64_e32 v[103:104], v[101:102]
	v_fma_f64 v[105:106], -v[101:102], v[103:104], 1.0
	v_fma_f64 v[103:104], v[103:104], v[105:106], v[103:104]
	v_div_scale_f64 v[105:106], vcc, v[97:98], v[99:100], v[97:98]
	v_fma_f64 v[107:108], -v[101:102], v[103:104], 1.0
	v_fma_f64 v[103:104], v[103:104], v[107:108], v[103:104]
	v_mul_f64 v[107:108], v[105:106], v[103:104]
	v_fma_f64 v[101:102], -v[101:102], v[107:108], v[105:106]
	v_div_fmas_f64 v[101:102], v[101:102], v[103:104], v[107:108]
	v_div_fixup_f64 v[101:102], v[101:102], v[99:100], v[97:98]
	v_fma_f64 v[97:98], v[97:98], v[101:102], v[99:100]
	v_div_scale_f64 v[99:100], s[6:7], v[97:98], v[97:98], 1.0
	v_div_scale_f64 v[107:108], vcc, 1.0, v[97:98], 1.0
	v_rcp_f64_e32 v[103:104], v[99:100]
	v_fma_f64 v[105:106], -v[99:100], v[103:104], 1.0
	v_fma_f64 v[103:104], v[103:104], v[105:106], v[103:104]
	v_fma_f64 v[105:106], -v[99:100], v[103:104], 1.0
	v_fma_f64 v[103:104], v[103:104], v[105:106], v[103:104]
	v_mul_f64 v[105:106], v[107:108], v[103:104]
	v_fma_f64 v[99:100], -v[99:100], v[105:106], v[107:108]
	v_div_fmas_f64 v[99:100], v[99:100], v[103:104], v[105:106]
	v_div_fixup_f64 v[103:104], v[99:100], v[97:98], 1.0
                                        ; implicit-def: $vgpr97_vgpr98
	v_mul_f64 v[101:102], v[101:102], v[103:104]
	v_xor_b32_e32 v104, 0x80000000, v104
.LBB109_14:
	s_andn2_saveexec_b64 s[2:3], s[2:3]
	s_cbranch_execz .LBB109_16
; %bb.15:
	v_div_scale_f64 v[101:102], s[6:7], v[97:98], v[97:98], v[99:100]
	v_rcp_f64_e32 v[103:104], v[101:102]
	v_fma_f64 v[105:106], -v[101:102], v[103:104], 1.0
	v_fma_f64 v[103:104], v[103:104], v[105:106], v[103:104]
	v_div_scale_f64 v[105:106], vcc, v[99:100], v[97:98], v[99:100]
	v_fma_f64 v[107:108], -v[101:102], v[103:104], 1.0
	v_fma_f64 v[103:104], v[103:104], v[107:108], v[103:104]
	v_mul_f64 v[107:108], v[105:106], v[103:104]
	v_fma_f64 v[101:102], -v[101:102], v[107:108], v[105:106]
	v_div_fmas_f64 v[101:102], v[101:102], v[103:104], v[107:108]
	v_div_fixup_f64 v[103:104], v[101:102], v[97:98], v[99:100]
	v_fma_f64 v[97:98], v[99:100], v[103:104], v[97:98]
	v_div_scale_f64 v[99:100], s[6:7], v[97:98], v[97:98], 1.0
	v_div_scale_f64 v[107:108], vcc, 1.0, v[97:98], 1.0
	v_rcp_f64_e32 v[101:102], v[99:100]
	v_fma_f64 v[105:106], -v[99:100], v[101:102], 1.0
	v_fma_f64 v[101:102], v[101:102], v[105:106], v[101:102]
	v_fma_f64 v[105:106], -v[99:100], v[101:102], 1.0
	v_fma_f64 v[101:102], v[101:102], v[105:106], v[101:102]
	v_mul_f64 v[105:106], v[107:108], v[101:102]
	v_fma_f64 v[99:100], -v[99:100], v[105:106], v[107:108]
	v_div_fmas_f64 v[99:100], v[99:100], v[101:102], v[105:106]
	v_div_fixup_f64 v[101:102], v[99:100], v[97:98], 1.0
	v_mul_f64 v[103:104], v[103:104], -v[101:102]
.LBB109_16:
	s_or_b64 exec, exec, s[2:3]
	ds_write2_b64 v127, v[101:102], v[103:104] offset1:1
.LBB109_17:
	s_or_b64 exec, exec, s[4:5]
	s_waitcnt lgkmcnt(0)
	s_barrier
	ds_read2_b64 v[97:100], v127 offset1:1
	v_cmp_lt_u32_e32 vcc, 1, v0
	s_waitcnt lgkmcnt(0)
	buffer_store_dword v97, off, s[20:23], 0 offset:952 ; 4-byte Folded Spill
	s_nop 0
	buffer_store_dword v98, off, s[20:23], 0 offset:956 ; 4-byte Folded Spill
	buffer_store_dword v99, off, s[20:23], 0 offset:960 ; 4-byte Folded Spill
	;; [unrolled: 1-line block ×3, first 2 shown]
	s_and_saveexec_b64 s[2:3], vcc
	s_cbranch_execz .LBB109_19
; %bb.18:
	buffer_load_dword v107, off, s[20:23], 0 offset:480 ; 4-byte Folded Reload
	buffer_load_dword v108, off, s[20:23], 0 offset:484 ; 4-byte Folded Reload
	;; [unrolled: 1-line block ×8, first 2 shown]
	s_waitcnt vmcnt(0)
	v_mul_f64 v[97:98], v[101:102], v[109:110]
	v_fma_f64 v[97:98], v[99:100], v[107:108], -v[97:98]
	v_mul_f64 v[99:100], v[99:100], v[109:110]
	v_fma_f64 v[109:110], v[101:102], v[107:108], v[99:100]
	ds_read2_b64 v[99:102], v125 offset0:4 offset1:5
	buffer_load_dword v105, off, s[20:23], 0 offset:464 ; 4-byte Folded Reload
	buffer_load_dword v106, off, s[20:23], 0 offset:468 ; 4-byte Folded Reload
	buffer_load_dword v107, off, s[20:23], 0 offset:472 ; 4-byte Folded Reload
	buffer_load_dword v108, off, s[20:23], 0 offset:476 ; 4-byte Folded Reload
	s_waitcnt lgkmcnt(0)
	v_mul_f64 v[103:104], v[101:102], v[109:110]
	v_fma_f64 v[103:104], v[99:100], v[97:98], -v[103:104]
	v_mul_f64 v[99:100], v[99:100], v[109:110]
	v_fma_f64 v[99:100], v[101:102], v[97:98], v[99:100]
	s_waitcnt vmcnt(2)
	v_add_f64 v[105:106], v[105:106], -v[103:104]
	s_waitcnt vmcnt(0)
	v_add_f64 v[107:108], v[107:108], -v[99:100]
	buffer_store_dword v105, off, s[20:23], 0 offset:464 ; 4-byte Folded Spill
	s_nop 0
	buffer_store_dword v106, off, s[20:23], 0 offset:468 ; 4-byte Folded Spill
	buffer_store_dword v107, off, s[20:23], 0 offset:472 ; 4-byte Folded Spill
	buffer_store_dword v108, off, s[20:23], 0 offset:476 ; 4-byte Folded Spill
	ds_read2_b64 v[99:102], v125 offset0:6 offset1:7
	buffer_load_dword v105, off, s[20:23], 0 offset:448 ; 4-byte Folded Reload
	buffer_load_dword v106, off, s[20:23], 0 offset:452 ; 4-byte Folded Reload
	buffer_load_dword v107, off, s[20:23], 0 offset:456 ; 4-byte Folded Reload
	buffer_load_dword v108, off, s[20:23], 0 offset:460 ; 4-byte Folded Reload
	s_waitcnt lgkmcnt(0)
	v_mul_f64 v[103:104], v[101:102], v[109:110]
	v_fma_f64 v[103:104], v[99:100], v[97:98], -v[103:104]
	v_mul_f64 v[99:100], v[99:100], v[109:110]
	v_fma_f64 v[99:100], v[101:102], v[97:98], v[99:100]
	s_waitcnt vmcnt(2)
	v_add_f64 v[105:106], v[105:106], -v[103:104]
	s_waitcnt vmcnt(0)
	v_add_f64 v[107:108], v[107:108], -v[99:100]
	buffer_store_dword v105, off, s[20:23], 0 offset:448 ; 4-byte Folded Spill
	s_nop 0
	buffer_store_dword v106, off, s[20:23], 0 offset:452 ; 4-byte Folded Spill
	buffer_store_dword v107, off, s[20:23], 0 offset:456 ; 4-byte Folded Spill
	buffer_store_dword v108, off, s[20:23], 0 offset:460 ; 4-byte Folded Spill
	;; [unrolled: 19-line block ×29, first 2 shown]
	ds_read2_b64 v[99:102], v125 offset0:62 offset1:63
	buffer_load_dword v105, off, s[20:23], 0 ; 4-byte Folded Reload
	buffer_load_dword v106, off, s[20:23], 0 offset:4 ; 4-byte Folded Reload
	buffer_load_dword v107, off, s[20:23], 0 offset:8 ; 4-byte Folded Reload
	;; [unrolled: 1-line block ×3, first 2 shown]
	s_waitcnt lgkmcnt(0)
	v_mul_f64 v[103:104], v[101:102], v[109:110]
	v_fma_f64 v[103:104], v[99:100], v[97:98], -v[103:104]
	v_mul_f64 v[99:100], v[99:100], v[109:110]
	v_fma_f64 v[99:100], v[101:102], v[97:98], v[99:100]
	s_waitcnt vmcnt(2)
	v_add_f64 v[105:106], v[105:106], -v[103:104]
	s_waitcnt vmcnt(0)
	v_add_f64 v[107:108], v[107:108], -v[99:100]
	buffer_store_dword v105, off, s[20:23], 0 ; 4-byte Folded Spill
	s_nop 0
	buffer_store_dword v106, off, s[20:23], 0 offset:4 ; 4-byte Folded Spill
	buffer_store_dword v107, off, s[20:23], 0 offset:8 ; 4-byte Folded Spill
	buffer_store_dword v108, off, s[20:23], 0 offset:12 ; 4-byte Folded Spill
	ds_read2_b64 v[99:102], v125 offset0:64 offset1:65
	v_mov_b32_e32 v108, v98
	v_mov_b32_e32 v107, v97
	s_waitcnt lgkmcnt(0)
	v_mul_f64 v[103:104], v[101:102], v[109:110]
	v_fma_f64 v[103:104], v[99:100], v[97:98], -v[103:104]
	v_mul_f64 v[99:100], v[99:100], v[109:110]
	v_add_f64 v[93:94], v[93:94], -v[103:104]
	v_fma_f64 v[99:100], v[101:102], v[97:98], v[99:100]
	v_add_f64 v[95:96], v[95:96], -v[99:100]
	ds_read2_b64 v[99:102], v125 offset0:66 offset1:67
	s_waitcnt lgkmcnt(0)
	v_mul_f64 v[103:104], v[101:102], v[109:110]
	v_fma_f64 v[103:104], v[99:100], v[97:98], -v[103:104]
	v_mul_f64 v[99:100], v[99:100], v[109:110]
	v_add_f64 v[81:82], v[81:82], -v[103:104]
	v_fma_f64 v[99:100], v[101:102], v[97:98], v[99:100]
	v_add_f64 v[83:84], v[83:84], -v[99:100]
	ds_read2_b64 v[99:102], v125 offset0:68 offset1:69
	;; [unrolled: 8-line block ×21, first 2 shown]
	s_waitcnt lgkmcnt(0)
	v_mul_f64 v[103:104], v[101:102], v[109:110]
	v_fma_f64 v[103:104], v[99:100], v[97:98], -v[103:104]
	v_mul_f64 v[99:100], v[99:100], v[109:110]
	v_add_f64 v[1:2], v[1:2], -v[103:104]
	v_fma_f64 v[99:100], v[101:102], v[97:98], v[99:100]
	ds_read2_b64 v[101:104], v125 offset0:108 offset1:109
	v_add_f64 v[3:4], v[3:4], -v[99:100]
	s_waitcnt lgkmcnt(0)
	v_mul_f64 v[99:100], v[103:104], v[109:110]
	v_fma_f64 v[99:100], v[101:102], v[97:98], -v[99:100]
	v_mul_f64 v[101:102], v[101:102], v[109:110]
	buffer_store_dword v107, off, s[20:23], 0 offset:480 ; 4-byte Folded Spill
	s_nop 0
	buffer_store_dword v108, off, s[20:23], 0 offset:484 ; 4-byte Folded Spill
	buffer_store_dword v109, off, s[20:23], 0 offset:488 ; 4-byte Folded Spill
	;; [unrolled: 1-line block ×3, first 2 shown]
	v_add_f64 v[121:122], v[121:122], -v[99:100]
	v_fma_f64 v[101:102], v[103:104], v[97:98], v[101:102]
	v_add_f64 v[123:124], v[123:124], -v[101:102]
.LBB109_19:
	s_or_b64 exec, exec, s[2:3]
	v_cmp_eq_u32_e32 vcc, 2, v0
	s_waitcnt vmcnt(0)
	s_barrier
	s_and_saveexec_b64 s[4:5], vcc
	s_cbranch_execz .LBB109_26
; %bb.20:
	buffer_load_dword v97, off, s[20:23], 0 offset:464 ; 4-byte Folded Reload
	buffer_load_dword v98, off, s[20:23], 0 offset:468 ; 4-byte Folded Reload
	;; [unrolled: 1-line block ×4, first 2 shown]
	s_waitcnt vmcnt(0)
	ds_write2_b64 v127, v[97:98], v[99:100] offset1:1
	buffer_load_dword v97, off, s[20:23], 0 offset:448 ; 4-byte Folded Reload
	buffer_load_dword v98, off, s[20:23], 0 offset:452 ; 4-byte Folded Reload
	buffer_load_dword v99, off, s[20:23], 0 offset:456 ; 4-byte Folded Reload
	buffer_load_dword v100, off, s[20:23], 0 offset:460 ; 4-byte Folded Reload
	s_waitcnt vmcnt(0)
	ds_write2_b64 v125, v[97:98], v[99:100] offset0:6 offset1:7
	buffer_load_dword v97, off, s[20:23], 0 offset:432 ; 4-byte Folded Reload
	buffer_load_dword v98, off, s[20:23], 0 offset:436 ; 4-byte Folded Reload
	buffer_load_dword v99, off, s[20:23], 0 offset:440 ; 4-byte Folded Reload
	buffer_load_dword v100, off, s[20:23], 0 offset:444 ; 4-byte Folded Reload
	s_waitcnt vmcnt(0)
	ds_write2_b64 v125, v[97:98], v[99:100] offset0:8 offset1:9
	;; [unrolled: 6-line block ×28, first 2 shown]
	buffer_load_dword v97, off, s[20:23], 0 ; 4-byte Folded Reload
	buffer_load_dword v98, off, s[20:23], 0 offset:4 ; 4-byte Folded Reload
	buffer_load_dword v99, off, s[20:23], 0 offset:8 ; 4-byte Folded Reload
	;; [unrolled: 1-line block ×3, first 2 shown]
	s_waitcnt vmcnt(0)
	ds_write2_b64 v125, v[97:98], v[99:100] offset0:62 offset1:63
	ds_write2_b64 v125, v[93:94], v[95:96] offset0:64 offset1:65
	;; [unrolled: 1-line block ×24, first 2 shown]
	ds_read2_b64 v[97:100], v127 offset1:1
	s_waitcnt lgkmcnt(0)
	v_cmp_neq_f64_e32 vcc, 0, v[97:98]
	v_cmp_neq_f64_e64 s[2:3], 0, v[99:100]
	s_or_b64 s[2:3], vcc, s[2:3]
	s_and_b64 exec, exec, s[2:3]
	s_cbranch_execz .LBB109_26
; %bb.21:
	v_cmp_ngt_f64_e64 s[2:3], |v[97:98]|, |v[99:100]|
                                        ; implicit-def: $vgpr101_vgpr102
	s_and_saveexec_b64 s[6:7], s[2:3]
	s_xor_b64 s[2:3], exec, s[6:7]
                                        ; implicit-def: $vgpr103_vgpr104
	s_cbranch_execz .LBB109_23
; %bb.22:
	v_div_scale_f64 v[101:102], s[6:7], v[99:100], v[99:100], v[97:98]
	v_rcp_f64_e32 v[103:104], v[101:102]
	v_fma_f64 v[105:106], -v[101:102], v[103:104], 1.0
	v_fma_f64 v[103:104], v[103:104], v[105:106], v[103:104]
	v_div_scale_f64 v[105:106], vcc, v[97:98], v[99:100], v[97:98]
	v_fma_f64 v[107:108], -v[101:102], v[103:104], 1.0
	v_fma_f64 v[103:104], v[103:104], v[107:108], v[103:104]
	v_mul_f64 v[107:108], v[105:106], v[103:104]
	v_fma_f64 v[101:102], -v[101:102], v[107:108], v[105:106]
	v_div_fmas_f64 v[101:102], v[101:102], v[103:104], v[107:108]
	v_div_fixup_f64 v[101:102], v[101:102], v[99:100], v[97:98]
	v_fma_f64 v[97:98], v[97:98], v[101:102], v[99:100]
	v_div_scale_f64 v[99:100], s[6:7], v[97:98], v[97:98], 1.0
	v_div_scale_f64 v[107:108], vcc, 1.0, v[97:98], 1.0
	v_rcp_f64_e32 v[103:104], v[99:100]
	v_fma_f64 v[105:106], -v[99:100], v[103:104], 1.0
	v_fma_f64 v[103:104], v[103:104], v[105:106], v[103:104]
	v_fma_f64 v[105:106], -v[99:100], v[103:104], 1.0
	v_fma_f64 v[103:104], v[103:104], v[105:106], v[103:104]
	v_mul_f64 v[105:106], v[107:108], v[103:104]
	v_fma_f64 v[99:100], -v[99:100], v[105:106], v[107:108]
	v_div_fmas_f64 v[99:100], v[99:100], v[103:104], v[105:106]
	v_div_fixup_f64 v[103:104], v[99:100], v[97:98], 1.0
                                        ; implicit-def: $vgpr97_vgpr98
	v_mul_f64 v[101:102], v[101:102], v[103:104]
	v_xor_b32_e32 v104, 0x80000000, v104
.LBB109_23:
	s_andn2_saveexec_b64 s[2:3], s[2:3]
	s_cbranch_execz .LBB109_25
; %bb.24:
	v_div_scale_f64 v[101:102], s[6:7], v[97:98], v[97:98], v[99:100]
	v_rcp_f64_e32 v[103:104], v[101:102]
	v_fma_f64 v[105:106], -v[101:102], v[103:104], 1.0
	v_fma_f64 v[103:104], v[103:104], v[105:106], v[103:104]
	v_div_scale_f64 v[105:106], vcc, v[99:100], v[97:98], v[99:100]
	v_fma_f64 v[107:108], -v[101:102], v[103:104], 1.0
	v_fma_f64 v[103:104], v[103:104], v[107:108], v[103:104]
	v_mul_f64 v[107:108], v[105:106], v[103:104]
	v_fma_f64 v[101:102], -v[101:102], v[107:108], v[105:106]
	v_div_fmas_f64 v[101:102], v[101:102], v[103:104], v[107:108]
	v_div_fixup_f64 v[103:104], v[101:102], v[97:98], v[99:100]
	v_fma_f64 v[97:98], v[99:100], v[103:104], v[97:98]
	v_div_scale_f64 v[99:100], s[6:7], v[97:98], v[97:98], 1.0
	v_div_scale_f64 v[107:108], vcc, 1.0, v[97:98], 1.0
	v_rcp_f64_e32 v[101:102], v[99:100]
	v_fma_f64 v[105:106], -v[99:100], v[101:102], 1.0
	v_fma_f64 v[101:102], v[101:102], v[105:106], v[101:102]
	v_fma_f64 v[105:106], -v[99:100], v[101:102], 1.0
	v_fma_f64 v[101:102], v[101:102], v[105:106], v[101:102]
	v_mul_f64 v[105:106], v[107:108], v[101:102]
	v_fma_f64 v[99:100], -v[99:100], v[105:106], v[107:108]
	v_div_fmas_f64 v[99:100], v[99:100], v[101:102], v[105:106]
	v_div_fixup_f64 v[101:102], v[99:100], v[97:98], 1.0
	v_mul_f64 v[103:104], v[103:104], -v[101:102]
.LBB109_25:
	s_or_b64 exec, exec, s[2:3]
	ds_write2_b64 v127, v[101:102], v[103:104] offset1:1
.LBB109_26:
	s_or_b64 exec, exec, s[4:5]
	s_waitcnt lgkmcnt(0)
	s_barrier
	ds_read2_b64 v[117:120], v127 offset1:1
	v_cmp_lt_u32_e32 vcc, 2, v0
	s_and_saveexec_b64 s[2:3], vcc
	s_cbranch_execz .LBB109_28
; %bb.27:
	buffer_load_dword v107, off, s[20:23], 0 offset:464 ; 4-byte Folded Reload
	buffer_load_dword v108, off, s[20:23], 0 offset:468 ; 4-byte Folded Reload
	buffer_load_dword v109, off, s[20:23], 0 offset:472 ; 4-byte Folded Reload
	buffer_load_dword v110, off, s[20:23], 0 offset:476 ; 4-byte Folded Reload
	s_waitcnt vmcnt(0) lgkmcnt(0)
	v_mul_f64 v[97:98], v[119:120], v[109:110]
	v_mul_f64 v[99:100], v[117:118], v[109:110]
	v_fma_f64 v[97:98], v[117:118], v[107:108], -v[97:98]
	v_fma_f64 v[109:110], v[119:120], v[107:108], v[99:100]
	ds_read2_b64 v[99:102], v125 offset0:6 offset1:7
	buffer_load_dword v105, off, s[20:23], 0 offset:448 ; 4-byte Folded Reload
	buffer_load_dword v106, off, s[20:23], 0 offset:452 ; 4-byte Folded Reload
	buffer_load_dword v107, off, s[20:23], 0 offset:456 ; 4-byte Folded Reload
	buffer_load_dword v108, off, s[20:23], 0 offset:460 ; 4-byte Folded Reload
	s_waitcnt lgkmcnt(0)
	v_mul_f64 v[103:104], v[101:102], v[109:110]
	v_fma_f64 v[103:104], v[99:100], v[97:98], -v[103:104]
	v_mul_f64 v[99:100], v[99:100], v[109:110]
	v_fma_f64 v[99:100], v[101:102], v[97:98], v[99:100]
	s_waitcnt vmcnt(2)
	v_add_f64 v[105:106], v[105:106], -v[103:104]
	s_waitcnt vmcnt(0)
	v_add_f64 v[107:108], v[107:108], -v[99:100]
	buffer_store_dword v105, off, s[20:23], 0 offset:448 ; 4-byte Folded Spill
	s_nop 0
	buffer_store_dword v106, off, s[20:23], 0 offset:452 ; 4-byte Folded Spill
	buffer_store_dword v107, off, s[20:23], 0 offset:456 ; 4-byte Folded Spill
	buffer_store_dword v108, off, s[20:23], 0 offset:460 ; 4-byte Folded Spill
	ds_read2_b64 v[99:102], v125 offset0:8 offset1:9
	buffer_load_dword v105, off, s[20:23], 0 offset:432 ; 4-byte Folded Reload
	buffer_load_dword v106, off, s[20:23], 0 offset:436 ; 4-byte Folded Reload
	buffer_load_dword v107, off, s[20:23], 0 offset:440 ; 4-byte Folded Reload
	buffer_load_dword v108, off, s[20:23], 0 offset:444 ; 4-byte Folded Reload
	s_waitcnt lgkmcnt(0)
	v_mul_f64 v[103:104], v[101:102], v[109:110]
	v_fma_f64 v[103:104], v[99:100], v[97:98], -v[103:104]
	v_mul_f64 v[99:100], v[99:100], v[109:110]
	v_fma_f64 v[99:100], v[101:102], v[97:98], v[99:100]
	s_waitcnt vmcnt(2)
	v_add_f64 v[105:106], v[105:106], -v[103:104]
	s_waitcnt vmcnt(0)
	v_add_f64 v[107:108], v[107:108], -v[99:100]
	buffer_store_dword v105, off, s[20:23], 0 offset:432 ; 4-byte Folded Spill
	s_nop 0
	buffer_store_dword v106, off, s[20:23], 0 offset:436 ; 4-byte Folded Spill
	buffer_store_dword v107, off, s[20:23], 0 offset:440 ; 4-byte Folded Spill
	buffer_store_dword v108, off, s[20:23], 0 offset:444 ; 4-byte Folded Spill
	;; [unrolled: 19-line block ×28, first 2 shown]
	ds_read2_b64 v[99:102], v125 offset0:62 offset1:63
	buffer_load_dword v105, off, s[20:23], 0 ; 4-byte Folded Reload
	buffer_load_dword v106, off, s[20:23], 0 offset:4 ; 4-byte Folded Reload
	buffer_load_dword v107, off, s[20:23], 0 offset:8 ; 4-byte Folded Reload
	;; [unrolled: 1-line block ×3, first 2 shown]
	s_waitcnt lgkmcnt(0)
	v_mul_f64 v[103:104], v[101:102], v[109:110]
	v_fma_f64 v[103:104], v[99:100], v[97:98], -v[103:104]
	v_mul_f64 v[99:100], v[99:100], v[109:110]
	v_fma_f64 v[99:100], v[101:102], v[97:98], v[99:100]
	s_waitcnt vmcnt(2)
	v_add_f64 v[105:106], v[105:106], -v[103:104]
	s_waitcnt vmcnt(0)
	v_add_f64 v[107:108], v[107:108], -v[99:100]
	buffer_store_dword v105, off, s[20:23], 0 ; 4-byte Folded Spill
	s_nop 0
	buffer_store_dword v106, off, s[20:23], 0 offset:4 ; 4-byte Folded Spill
	buffer_store_dword v107, off, s[20:23], 0 offset:8 ; 4-byte Folded Spill
	;; [unrolled: 1-line block ×3, first 2 shown]
	ds_read2_b64 v[99:102], v125 offset0:64 offset1:65
	v_mov_b32_e32 v108, v98
	v_mov_b32_e32 v107, v97
	s_waitcnt lgkmcnt(0)
	v_mul_f64 v[103:104], v[101:102], v[109:110]
	v_fma_f64 v[103:104], v[99:100], v[97:98], -v[103:104]
	v_mul_f64 v[99:100], v[99:100], v[109:110]
	v_add_f64 v[93:94], v[93:94], -v[103:104]
	v_fma_f64 v[99:100], v[101:102], v[97:98], v[99:100]
	v_add_f64 v[95:96], v[95:96], -v[99:100]
	ds_read2_b64 v[99:102], v125 offset0:66 offset1:67
	s_waitcnt lgkmcnt(0)
	v_mul_f64 v[103:104], v[101:102], v[109:110]
	v_fma_f64 v[103:104], v[99:100], v[97:98], -v[103:104]
	v_mul_f64 v[99:100], v[99:100], v[109:110]
	v_add_f64 v[81:82], v[81:82], -v[103:104]
	v_fma_f64 v[99:100], v[101:102], v[97:98], v[99:100]
	v_add_f64 v[83:84], v[83:84], -v[99:100]
	ds_read2_b64 v[99:102], v125 offset0:68 offset1:69
	s_waitcnt lgkmcnt(0)
	v_mul_f64 v[103:104], v[101:102], v[109:110]
	v_fma_f64 v[103:104], v[99:100], v[97:98], -v[103:104]
	v_mul_f64 v[99:100], v[99:100], v[109:110]
	v_add_f64 v[77:78], v[77:78], -v[103:104]
	v_fma_f64 v[99:100], v[101:102], v[97:98], v[99:100]
	v_add_f64 v[79:80], v[79:80], -v[99:100]
	ds_read2_b64 v[99:102], v125 offset0:70 offset1:71
	s_waitcnt lgkmcnt(0)
	v_mul_f64 v[103:104], v[101:102], v[109:110]
	v_fma_f64 v[103:104], v[99:100], v[97:98], -v[103:104]
	v_mul_f64 v[99:100], v[99:100], v[109:110]
	v_add_f64 v[73:74], v[73:74], -v[103:104]
	v_fma_f64 v[99:100], v[101:102], v[97:98], v[99:100]
	v_add_f64 v[75:76], v[75:76], -v[99:100]
	ds_read2_b64 v[99:102], v125 offset0:72 offset1:73
	s_waitcnt lgkmcnt(0)
	v_mul_f64 v[103:104], v[101:102], v[109:110]
	v_fma_f64 v[103:104], v[99:100], v[97:98], -v[103:104]
	v_mul_f64 v[99:100], v[99:100], v[109:110]
	v_add_f64 v[69:70], v[69:70], -v[103:104]
	v_fma_f64 v[99:100], v[101:102], v[97:98], v[99:100]
	v_add_f64 v[71:72], v[71:72], -v[99:100]
	ds_read2_b64 v[99:102], v125 offset0:74 offset1:75
	s_waitcnt lgkmcnt(0)
	v_mul_f64 v[103:104], v[101:102], v[109:110]
	v_fma_f64 v[103:104], v[99:100], v[97:98], -v[103:104]
	v_mul_f64 v[99:100], v[99:100], v[109:110]
	v_add_f64 v[65:66], v[65:66], -v[103:104]
	v_fma_f64 v[99:100], v[101:102], v[97:98], v[99:100]
	v_add_f64 v[67:68], v[67:68], -v[99:100]
	ds_read2_b64 v[99:102], v125 offset0:76 offset1:77
	s_waitcnt lgkmcnt(0)
	v_mul_f64 v[103:104], v[101:102], v[109:110]
	v_fma_f64 v[103:104], v[99:100], v[97:98], -v[103:104]
	v_mul_f64 v[99:100], v[99:100], v[109:110]
	v_add_f64 v[61:62], v[61:62], -v[103:104]
	v_fma_f64 v[99:100], v[101:102], v[97:98], v[99:100]
	v_add_f64 v[63:64], v[63:64], -v[99:100]
	ds_read2_b64 v[99:102], v125 offset0:78 offset1:79
	s_waitcnt lgkmcnt(0)
	v_mul_f64 v[103:104], v[101:102], v[109:110]
	v_fma_f64 v[103:104], v[99:100], v[97:98], -v[103:104]
	v_mul_f64 v[99:100], v[99:100], v[109:110]
	v_add_f64 v[57:58], v[57:58], -v[103:104]
	v_fma_f64 v[99:100], v[101:102], v[97:98], v[99:100]
	v_add_f64 v[59:60], v[59:60], -v[99:100]
	ds_read2_b64 v[99:102], v125 offset0:80 offset1:81
	s_waitcnt lgkmcnt(0)
	v_mul_f64 v[103:104], v[101:102], v[109:110]
	v_fma_f64 v[103:104], v[99:100], v[97:98], -v[103:104]
	v_mul_f64 v[99:100], v[99:100], v[109:110]
	v_add_f64 v[53:54], v[53:54], -v[103:104]
	v_fma_f64 v[99:100], v[101:102], v[97:98], v[99:100]
	v_add_f64 v[55:56], v[55:56], -v[99:100]
	ds_read2_b64 v[99:102], v125 offset0:82 offset1:83
	s_waitcnt lgkmcnt(0)
	v_mul_f64 v[103:104], v[101:102], v[109:110]
	v_fma_f64 v[103:104], v[99:100], v[97:98], -v[103:104]
	v_mul_f64 v[99:100], v[99:100], v[109:110]
	v_add_f64 v[49:50], v[49:50], -v[103:104]
	v_fma_f64 v[99:100], v[101:102], v[97:98], v[99:100]
	v_add_f64 v[51:52], v[51:52], -v[99:100]
	ds_read2_b64 v[99:102], v125 offset0:84 offset1:85
	s_waitcnt lgkmcnt(0)
	v_mul_f64 v[103:104], v[101:102], v[109:110]
	v_fma_f64 v[103:104], v[99:100], v[97:98], -v[103:104]
	v_mul_f64 v[99:100], v[99:100], v[109:110]
	v_add_f64 v[45:46], v[45:46], -v[103:104]
	v_fma_f64 v[99:100], v[101:102], v[97:98], v[99:100]
	v_add_f64 v[47:48], v[47:48], -v[99:100]
	ds_read2_b64 v[99:102], v125 offset0:86 offset1:87
	s_waitcnt lgkmcnt(0)
	v_mul_f64 v[103:104], v[101:102], v[109:110]
	v_fma_f64 v[103:104], v[99:100], v[97:98], -v[103:104]
	v_mul_f64 v[99:100], v[99:100], v[109:110]
	v_add_f64 v[41:42], v[41:42], -v[103:104]
	v_fma_f64 v[99:100], v[101:102], v[97:98], v[99:100]
	v_add_f64 v[43:44], v[43:44], -v[99:100]
	ds_read2_b64 v[99:102], v125 offset0:88 offset1:89
	s_waitcnt lgkmcnt(0)
	v_mul_f64 v[103:104], v[101:102], v[109:110]
	v_fma_f64 v[103:104], v[99:100], v[97:98], -v[103:104]
	v_mul_f64 v[99:100], v[99:100], v[109:110]
	v_add_f64 v[37:38], v[37:38], -v[103:104]
	v_fma_f64 v[99:100], v[101:102], v[97:98], v[99:100]
	v_add_f64 v[39:40], v[39:40], -v[99:100]
	ds_read2_b64 v[99:102], v125 offset0:90 offset1:91
	s_waitcnt lgkmcnt(0)
	v_mul_f64 v[103:104], v[101:102], v[109:110]
	v_fma_f64 v[103:104], v[99:100], v[97:98], -v[103:104]
	v_mul_f64 v[99:100], v[99:100], v[109:110]
	v_add_f64 v[33:34], v[33:34], -v[103:104]
	v_fma_f64 v[99:100], v[101:102], v[97:98], v[99:100]
	v_add_f64 v[35:36], v[35:36], -v[99:100]
	ds_read2_b64 v[99:102], v125 offset0:92 offset1:93
	s_waitcnt lgkmcnt(0)
	v_mul_f64 v[103:104], v[101:102], v[109:110]
	v_fma_f64 v[103:104], v[99:100], v[97:98], -v[103:104]
	v_mul_f64 v[99:100], v[99:100], v[109:110]
	v_add_f64 v[29:30], v[29:30], -v[103:104]
	v_fma_f64 v[99:100], v[101:102], v[97:98], v[99:100]
	v_add_f64 v[31:32], v[31:32], -v[99:100]
	ds_read2_b64 v[99:102], v125 offset0:94 offset1:95
	s_waitcnt lgkmcnt(0)
	v_mul_f64 v[103:104], v[101:102], v[109:110]
	v_fma_f64 v[103:104], v[99:100], v[97:98], -v[103:104]
	v_mul_f64 v[99:100], v[99:100], v[109:110]
	v_add_f64 v[25:26], v[25:26], -v[103:104]
	v_fma_f64 v[99:100], v[101:102], v[97:98], v[99:100]
	v_add_f64 v[27:28], v[27:28], -v[99:100]
	ds_read2_b64 v[99:102], v125 offset0:96 offset1:97
	s_waitcnt lgkmcnt(0)
	v_mul_f64 v[103:104], v[101:102], v[109:110]
	v_fma_f64 v[103:104], v[99:100], v[97:98], -v[103:104]
	v_mul_f64 v[99:100], v[99:100], v[109:110]
	v_add_f64 v[21:22], v[21:22], -v[103:104]
	v_fma_f64 v[99:100], v[101:102], v[97:98], v[99:100]
	v_add_f64 v[23:24], v[23:24], -v[99:100]
	ds_read2_b64 v[99:102], v125 offset0:98 offset1:99
	s_waitcnt lgkmcnt(0)
	v_mul_f64 v[103:104], v[101:102], v[109:110]
	v_fma_f64 v[103:104], v[99:100], v[97:98], -v[103:104]
	v_mul_f64 v[99:100], v[99:100], v[109:110]
	v_add_f64 v[17:18], v[17:18], -v[103:104]
	v_fma_f64 v[99:100], v[101:102], v[97:98], v[99:100]
	v_add_f64 v[19:20], v[19:20], -v[99:100]
	ds_read2_b64 v[99:102], v125 offset0:100 offset1:101
	s_waitcnt lgkmcnt(0)
	v_mul_f64 v[103:104], v[101:102], v[109:110]
	v_fma_f64 v[103:104], v[99:100], v[97:98], -v[103:104]
	v_mul_f64 v[99:100], v[99:100], v[109:110]
	v_add_f64 v[13:14], v[13:14], -v[103:104]
	v_fma_f64 v[99:100], v[101:102], v[97:98], v[99:100]
	v_add_f64 v[15:16], v[15:16], -v[99:100]
	ds_read2_b64 v[99:102], v125 offset0:102 offset1:103
	s_waitcnt lgkmcnt(0)
	v_mul_f64 v[103:104], v[101:102], v[109:110]
	v_fma_f64 v[103:104], v[99:100], v[97:98], -v[103:104]
	v_mul_f64 v[99:100], v[99:100], v[109:110]
	v_add_f64 v[9:10], v[9:10], -v[103:104]
	v_fma_f64 v[99:100], v[101:102], v[97:98], v[99:100]
	v_add_f64 v[11:12], v[11:12], -v[99:100]
	ds_read2_b64 v[99:102], v125 offset0:104 offset1:105
	s_waitcnt lgkmcnt(0)
	v_mul_f64 v[103:104], v[101:102], v[109:110]
	v_fma_f64 v[103:104], v[99:100], v[97:98], -v[103:104]
	v_mul_f64 v[99:100], v[99:100], v[109:110]
	v_add_f64 v[5:6], v[5:6], -v[103:104]
	v_fma_f64 v[99:100], v[101:102], v[97:98], v[99:100]
	v_add_f64 v[7:8], v[7:8], -v[99:100]
	ds_read2_b64 v[99:102], v125 offset0:106 offset1:107
	s_waitcnt lgkmcnt(0)
	v_mul_f64 v[103:104], v[101:102], v[109:110]
	v_fma_f64 v[103:104], v[99:100], v[97:98], -v[103:104]
	v_mul_f64 v[99:100], v[99:100], v[109:110]
	v_add_f64 v[1:2], v[1:2], -v[103:104]
	v_fma_f64 v[99:100], v[101:102], v[97:98], v[99:100]
	ds_read2_b64 v[101:104], v125 offset0:108 offset1:109
	v_add_f64 v[3:4], v[3:4], -v[99:100]
	s_waitcnt lgkmcnt(0)
	v_mul_f64 v[99:100], v[103:104], v[109:110]
	v_fma_f64 v[99:100], v[101:102], v[97:98], -v[99:100]
	v_mul_f64 v[101:102], v[101:102], v[109:110]
	buffer_store_dword v107, off, s[20:23], 0 offset:464 ; 4-byte Folded Spill
	s_nop 0
	buffer_store_dword v108, off, s[20:23], 0 offset:468 ; 4-byte Folded Spill
	buffer_store_dword v109, off, s[20:23], 0 offset:472 ; 4-byte Folded Spill
	;; [unrolled: 1-line block ×3, first 2 shown]
	v_add_f64 v[121:122], v[121:122], -v[99:100]
	v_fma_f64 v[101:102], v[103:104], v[97:98], v[101:102]
	v_add_f64 v[123:124], v[123:124], -v[101:102]
.LBB109_28:
	s_or_b64 exec, exec, s[2:3]
	v_cmp_eq_u32_e32 vcc, 3, v0
	s_waitcnt vmcnt(0) lgkmcnt(0)
	s_barrier
	s_and_saveexec_b64 s[4:5], vcc
	s_cbranch_execz .LBB109_35
; %bb.29:
	buffer_load_dword v97, off, s[20:23], 0 offset:448 ; 4-byte Folded Reload
	buffer_load_dword v98, off, s[20:23], 0 offset:452 ; 4-byte Folded Reload
	;; [unrolled: 1-line block ×4, first 2 shown]
	s_waitcnt vmcnt(0)
	ds_write2_b64 v127, v[97:98], v[99:100] offset1:1
	buffer_load_dword v97, off, s[20:23], 0 offset:432 ; 4-byte Folded Reload
	buffer_load_dword v98, off, s[20:23], 0 offset:436 ; 4-byte Folded Reload
	buffer_load_dword v99, off, s[20:23], 0 offset:440 ; 4-byte Folded Reload
	buffer_load_dword v100, off, s[20:23], 0 offset:444 ; 4-byte Folded Reload
	s_waitcnt vmcnt(0)
	ds_write2_b64 v125, v[97:98], v[99:100] offset0:8 offset1:9
	buffer_load_dword v97, off, s[20:23], 0 offset:416 ; 4-byte Folded Reload
	buffer_load_dword v98, off, s[20:23], 0 offset:420 ; 4-byte Folded Reload
	buffer_load_dword v99, off, s[20:23], 0 offset:424 ; 4-byte Folded Reload
	buffer_load_dword v100, off, s[20:23], 0 offset:428 ; 4-byte Folded Reload
	s_waitcnt vmcnt(0)
	ds_write2_b64 v125, v[97:98], v[99:100] offset0:10 offset1:11
	;; [unrolled: 6-line block ×27, first 2 shown]
	buffer_load_dword v97, off, s[20:23], 0 ; 4-byte Folded Reload
	buffer_load_dword v98, off, s[20:23], 0 offset:4 ; 4-byte Folded Reload
	buffer_load_dword v99, off, s[20:23], 0 offset:8 ; 4-byte Folded Reload
	;; [unrolled: 1-line block ×3, first 2 shown]
	s_waitcnt vmcnt(0)
	ds_write2_b64 v125, v[97:98], v[99:100] offset0:62 offset1:63
	ds_write2_b64 v125, v[93:94], v[95:96] offset0:64 offset1:65
	;; [unrolled: 1-line block ×24, first 2 shown]
	ds_read2_b64 v[97:100], v127 offset1:1
	s_waitcnt lgkmcnt(0)
	v_cmp_neq_f64_e32 vcc, 0, v[97:98]
	v_cmp_neq_f64_e64 s[2:3], 0, v[99:100]
	s_or_b64 s[2:3], vcc, s[2:3]
	s_and_b64 exec, exec, s[2:3]
	s_cbranch_execz .LBB109_35
; %bb.30:
	v_cmp_ngt_f64_e64 s[2:3], |v[97:98]|, |v[99:100]|
                                        ; implicit-def: $vgpr101_vgpr102
	s_and_saveexec_b64 s[6:7], s[2:3]
	s_xor_b64 s[2:3], exec, s[6:7]
                                        ; implicit-def: $vgpr103_vgpr104
	s_cbranch_execz .LBB109_32
; %bb.31:
	v_div_scale_f64 v[101:102], s[6:7], v[99:100], v[99:100], v[97:98]
	v_rcp_f64_e32 v[103:104], v[101:102]
	v_fma_f64 v[105:106], -v[101:102], v[103:104], 1.0
	v_fma_f64 v[103:104], v[103:104], v[105:106], v[103:104]
	v_div_scale_f64 v[105:106], vcc, v[97:98], v[99:100], v[97:98]
	v_fma_f64 v[107:108], -v[101:102], v[103:104], 1.0
	v_fma_f64 v[103:104], v[103:104], v[107:108], v[103:104]
	v_mul_f64 v[107:108], v[105:106], v[103:104]
	v_fma_f64 v[101:102], -v[101:102], v[107:108], v[105:106]
	v_div_fmas_f64 v[101:102], v[101:102], v[103:104], v[107:108]
	v_div_fixup_f64 v[101:102], v[101:102], v[99:100], v[97:98]
	v_fma_f64 v[97:98], v[97:98], v[101:102], v[99:100]
	v_div_scale_f64 v[99:100], s[6:7], v[97:98], v[97:98], 1.0
	v_div_scale_f64 v[107:108], vcc, 1.0, v[97:98], 1.0
	v_rcp_f64_e32 v[103:104], v[99:100]
	v_fma_f64 v[105:106], -v[99:100], v[103:104], 1.0
	v_fma_f64 v[103:104], v[103:104], v[105:106], v[103:104]
	v_fma_f64 v[105:106], -v[99:100], v[103:104], 1.0
	v_fma_f64 v[103:104], v[103:104], v[105:106], v[103:104]
	v_mul_f64 v[105:106], v[107:108], v[103:104]
	v_fma_f64 v[99:100], -v[99:100], v[105:106], v[107:108]
	v_div_fmas_f64 v[99:100], v[99:100], v[103:104], v[105:106]
	v_div_fixup_f64 v[103:104], v[99:100], v[97:98], 1.0
                                        ; implicit-def: $vgpr97_vgpr98
	v_mul_f64 v[101:102], v[101:102], v[103:104]
	v_xor_b32_e32 v104, 0x80000000, v104
.LBB109_32:
	s_andn2_saveexec_b64 s[2:3], s[2:3]
	s_cbranch_execz .LBB109_34
; %bb.33:
	v_div_scale_f64 v[101:102], s[6:7], v[97:98], v[97:98], v[99:100]
	v_rcp_f64_e32 v[103:104], v[101:102]
	v_fma_f64 v[105:106], -v[101:102], v[103:104], 1.0
	v_fma_f64 v[103:104], v[103:104], v[105:106], v[103:104]
	v_div_scale_f64 v[105:106], vcc, v[99:100], v[97:98], v[99:100]
	v_fma_f64 v[107:108], -v[101:102], v[103:104], 1.0
	v_fma_f64 v[103:104], v[103:104], v[107:108], v[103:104]
	v_mul_f64 v[107:108], v[105:106], v[103:104]
	v_fma_f64 v[101:102], -v[101:102], v[107:108], v[105:106]
	v_div_fmas_f64 v[101:102], v[101:102], v[103:104], v[107:108]
	v_div_fixup_f64 v[103:104], v[101:102], v[97:98], v[99:100]
	v_fma_f64 v[97:98], v[99:100], v[103:104], v[97:98]
	v_div_scale_f64 v[99:100], s[6:7], v[97:98], v[97:98], 1.0
	v_div_scale_f64 v[107:108], vcc, 1.0, v[97:98], 1.0
	v_rcp_f64_e32 v[101:102], v[99:100]
	v_fma_f64 v[105:106], -v[99:100], v[101:102], 1.0
	v_fma_f64 v[101:102], v[101:102], v[105:106], v[101:102]
	v_fma_f64 v[105:106], -v[99:100], v[101:102], 1.0
	v_fma_f64 v[101:102], v[101:102], v[105:106], v[101:102]
	v_mul_f64 v[105:106], v[107:108], v[101:102]
	v_fma_f64 v[99:100], -v[99:100], v[105:106], v[107:108]
	v_div_fmas_f64 v[99:100], v[99:100], v[101:102], v[105:106]
	v_div_fixup_f64 v[101:102], v[99:100], v[97:98], 1.0
	v_mul_f64 v[103:104], v[103:104], -v[101:102]
.LBB109_34:
	s_or_b64 exec, exec, s[2:3]
	ds_write2_b64 v127, v[101:102], v[103:104] offset1:1
.LBB109_35:
	s_or_b64 exec, exec, s[4:5]
	s_waitcnt lgkmcnt(0)
	s_barrier
	ds_read2_b64 v[87:90], v127 offset1:1
	v_cmp_lt_u32_e32 vcc, 3, v0
	s_waitcnt lgkmcnt(0)
	buffer_store_dword v87, off, s[20:23], 0 offset:992 ; 4-byte Folded Spill
	s_nop 0
	buffer_store_dword v88, off, s[20:23], 0 offset:996 ; 4-byte Folded Spill
	buffer_store_dword v89, off, s[20:23], 0 offset:1000 ; 4-byte Folded Spill
	;; [unrolled: 1-line block ×3, first 2 shown]
	s_and_saveexec_b64 s[2:3], vcc
	s_cbranch_execz .LBB109_37
; %bb.36:
	buffer_load_dword v107, off, s[20:23], 0 offset:448 ; 4-byte Folded Reload
	buffer_load_dword v108, off, s[20:23], 0 offset:452 ; 4-byte Folded Reload
	buffer_load_dword v109, off, s[20:23], 0 offset:456 ; 4-byte Folded Reload
	buffer_load_dword v110, off, s[20:23], 0 offset:460 ; 4-byte Folded Reload
	buffer_load_dword v87, off, s[20:23], 0 offset:992 ; 4-byte Folded Reload
	buffer_load_dword v88, off, s[20:23], 0 offset:996 ; 4-byte Folded Reload
	buffer_load_dword v89, off, s[20:23], 0 offset:1000 ; 4-byte Folded Reload
	buffer_load_dword v90, off, s[20:23], 0 offset:1004 ; 4-byte Folded Reload
	s_waitcnt vmcnt(2)
	v_mul_f64 v[99:100], v[87:88], v[109:110]
	s_waitcnt vmcnt(0)
	v_mul_f64 v[97:98], v[89:90], v[109:110]
	v_fma_f64 v[109:110], v[89:90], v[107:108], v[99:100]
	ds_read2_b64 v[99:102], v125 offset0:8 offset1:9
	v_fma_f64 v[97:98], v[87:88], v[107:108], -v[97:98]
	buffer_load_dword v105, off, s[20:23], 0 offset:432 ; 4-byte Folded Reload
	buffer_load_dword v106, off, s[20:23], 0 offset:436 ; 4-byte Folded Reload
	buffer_load_dword v107, off, s[20:23], 0 offset:440 ; 4-byte Folded Reload
	buffer_load_dword v108, off, s[20:23], 0 offset:444 ; 4-byte Folded Reload
	s_waitcnt lgkmcnt(0)
	v_mul_f64 v[103:104], v[101:102], v[109:110]
	v_fma_f64 v[103:104], v[99:100], v[97:98], -v[103:104]
	v_mul_f64 v[99:100], v[99:100], v[109:110]
	v_fma_f64 v[99:100], v[101:102], v[97:98], v[99:100]
	s_waitcnt vmcnt(2)
	v_add_f64 v[105:106], v[105:106], -v[103:104]
	s_waitcnt vmcnt(0)
	v_add_f64 v[107:108], v[107:108], -v[99:100]
	buffer_store_dword v105, off, s[20:23], 0 offset:432 ; 4-byte Folded Spill
	s_nop 0
	buffer_store_dword v106, off, s[20:23], 0 offset:436 ; 4-byte Folded Spill
	buffer_store_dword v107, off, s[20:23], 0 offset:440 ; 4-byte Folded Spill
	buffer_store_dword v108, off, s[20:23], 0 offset:444 ; 4-byte Folded Spill
	ds_read2_b64 v[99:102], v125 offset0:10 offset1:11
	buffer_load_dword v105, off, s[20:23], 0 offset:416 ; 4-byte Folded Reload
	buffer_load_dword v106, off, s[20:23], 0 offset:420 ; 4-byte Folded Reload
	buffer_load_dword v107, off, s[20:23], 0 offset:424 ; 4-byte Folded Reload
	buffer_load_dword v108, off, s[20:23], 0 offset:428 ; 4-byte Folded Reload
	s_waitcnt lgkmcnt(0)
	v_mul_f64 v[103:104], v[101:102], v[109:110]
	v_fma_f64 v[103:104], v[99:100], v[97:98], -v[103:104]
	v_mul_f64 v[99:100], v[99:100], v[109:110]
	v_fma_f64 v[99:100], v[101:102], v[97:98], v[99:100]
	s_waitcnt vmcnt(2)
	v_add_f64 v[105:106], v[105:106], -v[103:104]
	s_waitcnt vmcnt(0)
	v_add_f64 v[107:108], v[107:108], -v[99:100]
	buffer_store_dword v105, off, s[20:23], 0 offset:416 ; 4-byte Folded Spill
	s_nop 0
	buffer_store_dword v106, off, s[20:23], 0 offset:420 ; 4-byte Folded Spill
	buffer_store_dword v107, off, s[20:23], 0 offset:424 ; 4-byte Folded Spill
	buffer_store_dword v108, off, s[20:23], 0 offset:428 ; 4-byte Folded Spill
	ds_read2_b64 v[99:102], v125 offset0:12 offset1:13
	;; [unrolled: 19-line block ×27, first 2 shown]
	buffer_load_dword v105, off, s[20:23], 0 ; 4-byte Folded Reload
	buffer_load_dword v106, off, s[20:23], 0 offset:4 ; 4-byte Folded Reload
	buffer_load_dword v107, off, s[20:23], 0 offset:8 ; 4-byte Folded Reload
	;; [unrolled: 1-line block ×3, first 2 shown]
	s_waitcnt lgkmcnt(0)
	v_mul_f64 v[103:104], v[101:102], v[109:110]
	v_fma_f64 v[103:104], v[99:100], v[97:98], -v[103:104]
	v_mul_f64 v[99:100], v[99:100], v[109:110]
	v_fma_f64 v[99:100], v[101:102], v[97:98], v[99:100]
	s_waitcnt vmcnt(2)
	v_add_f64 v[105:106], v[105:106], -v[103:104]
	s_waitcnt vmcnt(0)
	v_add_f64 v[107:108], v[107:108], -v[99:100]
	buffer_store_dword v105, off, s[20:23], 0 ; 4-byte Folded Spill
	s_nop 0
	buffer_store_dword v106, off, s[20:23], 0 offset:4 ; 4-byte Folded Spill
	buffer_store_dword v107, off, s[20:23], 0 offset:8 ; 4-byte Folded Spill
	;; [unrolled: 1-line block ×3, first 2 shown]
	ds_read2_b64 v[99:102], v125 offset0:64 offset1:65
	v_mov_b32_e32 v108, v98
	v_mov_b32_e32 v107, v97
	s_waitcnt lgkmcnt(0)
	v_mul_f64 v[103:104], v[101:102], v[109:110]
	v_fma_f64 v[103:104], v[99:100], v[97:98], -v[103:104]
	v_mul_f64 v[99:100], v[99:100], v[109:110]
	v_add_f64 v[93:94], v[93:94], -v[103:104]
	v_fma_f64 v[99:100], v[101:102], v[97:98], v[99:100]
	v_add_f64 v[95:96], v[95:96], -v[99:100]
	ds_read2_b64 v[99:102], v125 offset0:66 offset1:67
	s_waitcnt lgkmcnt(0)
	v_mul_f64 v[103:104], v[101:102], v[109:110]
	v_fma_f64 v[103:104], v[99:100], v[97:98], -v[103:104]
	v_mul_f64 v[99:100], v[99:100], v[109:110]
	v_add_f64 v[81:82], v[81:82], -v[103:104]
	v_fma_f64 v[99:100], v[101:102], v[97:98], v[99:100]
	v_add_f64 v[83:84], v[83:84], -v[99:100]
	ds_read2_b64 v[99:102], v125 offset0:68 offset1:69
	;; [unrolled: 8-line block ×21, first 2 shown]
	s_waitcnt lgkmcnt(0)
	v_mul_f64 v[103:104], v[101:102], v[109:110]
	v_fma_f64 v[103:104], v[99:100], v[97:98], -v[103:104]
	v_mul_f64 v[99:100], v[99:100], v[109:110]
	v_add_f64 v[1:2], v[1:2], -v[103:104]
	v_fma_f64 v[99:100], v[101:102], v[97:98], v[99:100]
	ds_read2_b64 v[101:104], v125 offset0:108 offset1:109
	v_add_f64 v[3:4], v[3:4], -v[99:100]
	s_waitcnt lgkmcnt(0)
	v_mul_f64 v[99:100], v[103:104], v[109:110]
	v_fma_f64 v[99:100], v[101:102], v[97:98], -v[99:100]
	v_mul_f64 v[101:102], v[101:102], v[109:110]
	buffer_store_dword v107, off, s[20:23], 0 offset:448 ; 4-byte Folded Spill
	s_nop 0
	buffer_store_dword v108, off, s[20:23], 0 offset:452 ; 4-byte Folded Spill
	buffer_store_dword v109, off, s[20:23], 0 offset:456 ; 4-byte Folded Spill
	;; [unrolled: 1-line block ×3, first 2 shown]
	v_add_f64 v[121:122], v[121:122], -v[99:100]
	v_fma_f64 v[101:102], v[103:104], v[97:98], v[101:102]
	v_add_f64 v[123:124], v[123:124], -v[101:102]
.LBB109_37:
	s_or_b64 exec, exec, s[2:3]
	v_cmp_eq_u32_e32 vcc, 4, v0
	s_waitcnt vmcnt(0)
	s_barrier
	s_and_saveexec_b64 s[4:5], vcc
	s_cbranch_execz .LBB109_44
; %bb.38:
	buffer_load_dword v97, off, s[20:23], 0 offset:432 ; 4-byte Folded Reload
	buffer_load_dword v98, off, s[20:23], 0 offset:436 ; 4-byte Folded Reload
	;; [unrolled: 1-line block ×4, first 2 shown]
	s_waitcnt vmcnt(0)
	ds_write2_b64 v127, v[97:98], v[99:100] offset1:1
	buffer_load_dword v97, off, s[20:23], 0 offset:416 ; 4-byte Folded Reload
	buffer_load_dword v98, off, s[20:23], 0 offset:420 ; 4-byte Folded Reload
	buffer_load_dword v99, off, s[20:23], 0 offset:424 ; 4-byte Folded Reload
	buffer_load_dword v100, off, s[20:23], 0 offset:428 ; 4-byte Folded Reload
	s_waitcnt vmcnt(0)
	ds_write2_b64 v125, v[97:98], v[99:100] offset0:10 offset1:11
	buffer_load_dword v97, off, s[20:23], 0 offset:400 ; 4-byte Folded Reload
	buffer_load_dword v98, off, s[20:23], 0 offset:404 ; 4-byte Folded Reload
	buffer_load_dword v99, off, s[20:23], 0 offset:408 ; 4-byte Folded Reload
	buffer_load_dword v100, off, s[20:23], 0 offset:412 ; 4-byte Folded Reload
	s_waitcnt vmcnt(0)
	ds_write2_b64 v125, v[97:98], v[99:100] offset0:12 offset1:13
	;; [unrolled: 6-line block ×26, first 2 shown]
	buffer_load_dword v97, off, s[20:23], 0 ; 4-byte Folded Reload
	buffer_load_dword v98, off, s[20:23], 0 offset:4 ; 4-byte Folded Reload
	buffer_load_dword v99, off, s[20:23], 0 offset:8 ; 4-byte Folded Reload
	;; [unrolled: 1-line block ×3, first 2 shown]
	s_waitcnt vmcnt(0)
	ds_write2_b64 v125, v[97:98], v[99:100] offset0:62 offset1:63
	ds_write2_b64 v125, v[93:94], v[95:96] offset0:64 offset1:65
	;; [unrolled: 1-line block ×24, first 2 shown]
	ds_read2_b64 v[97:100], v127 offset1:1
	s_waitcnt lgkmcnt(0)
	v_cmp_neq_f64_e32 vcc, 0, v[97:98]
	v_cmp_neq_f64_e64 s[2:3], 0, v[99:100]
	s_or_b64 s[2:3], vcc, s[2:3]
	s_and_b64 exec, exec, s[2:3]
	s_cbranch_execz .LBB109_44
; %bb.39:
	v_cmp_ngt_f64_e64 s[2:3], |v[97:98]|, |v[99:100]|
                                        ; implicit-def: $vgpr101_vgpr102
	s_and_saveexec_b64 s[6:7], s[2:3]
	s_xor_b64 s[2:3], exec, s[6:7]
                                        ; implicit-def: $vgpr103_vgpr104
	s_cbranch_execz .LBB109_41
; %bb.40:
	v_div_scale_f64 v[101:102], s[6:7], v[99:100], v[99:100], v[97:98]
	v_rcp_f64_e32 v[103:104], v[101:102]
	v_fma_f64 v[105:106], -v[101:102], v[103:104], 1.0
	v_fma_f64 v[103:104], v[103:104], v[105:106], v[103:104]
	v_div_scale_f64 v[105:106], vcc, v[97:98], v[99:100], v[97:98]
	v_fma_f64 v[107:108], -v[101:102], v[103:104], 1.0
	v_fma_f64 v[103:104], v[103:104], v[107:108], v[103:104]
	v_mul_f64 v[107:108], v[105:106], v[103:104]
	v_fma_f64 v[101:102], -v[101:102], v[107:108], v[105:106]
	v_div_fmas_f64 v[101:102], v[101:102], v[103:104], v[107:108]
	v_div_fixup_f64 v[101:102], v[101:102], v[99:100], v[97:98]
	v_fma_f64 v[97:98], v[97:98], v[101:102], v[99:100]
	v_div_scale_f64 v[99:100], s[6:7], v[97:98], v[97:98], 1.0
	v_div_scale_f64 v[107:108], vcc, 1.0, v[97:98], 1.0
	v_rcp_f64_e32 v[103:104], v[99:100]
	v_fma_f64 v[105:106], -v[99:100], v[103:104], 1.0
	v_fma_f64 v[103:104], v[103:104], v[105:106], v[103:104]
	v_fma_f64 v[105:106], -v[99:100], v[103:104], 1.0
	v_fma_f64 v[103:104], v[103:104], v[105:106], v[103:104]
	v_mul_f64 v[105:106], v[107:108], v[103:104]
	v_fma_f64 v[99:100], -v[99:100], v[105:106], v[107:108]
	v_div_fmas_f64 v[99:100], v[99:100], v[103:104], v[105:106]
	v_div_fixup_f64 v[103:104], v[99:100], v[97:98], 1.0
                                        ; implicit-def: $vgpr97_vgpr98
	v_mul_f64 v[101:102], v[101:102], v[103:104]
	v_xor_b32_e32 v104, 0x80000000, v104
.LBB109_41:
	s_andn2_saveexec_b64 s[2:3], s[2:3]
	s_cbranch_execz .LBB109_43
; %bb.42:
	v_div_scale_f64 v[101:102], s[6:7], v[97:98], v[97:98], v[99:100]
	v_rcp_f64_e32 v[103:104], v[101:102]
	v_fma_f64 v[105:106], -v[101:102], v[103:104], 1.0
	v_fma_f64 v[103:104], v[103:104], v[105:106], v[103:104]
	v_div_scale_f64 v[105:106], vcc, v[99:100], v[97:98], v[99:100]
	v_fma_f64 v[107:108], -v[101:102], v[103:104], 1.0
	v_fma_f64 v[103:104], v[103:104], v[107:108], v[103:104]
	v_mul_f64 v[107:108], v[105:106], v[103:104]
	v_fma_f64 v[101:102], -v[101:102], v[107:108], v[105:106]
	v_div_fmas_f64 v[101:102], v[101:102], v[103:104], v[107:108]
	v_div_fixup_f64 v[103:104], v[101:102], v[97:98], v[99:100]
	v_fma_f64 v[97:98], v[99:100], v[103:104], v[97:98]
	v_div_scale_f64 v[99:100], s[6:7], v[97:98], v[97:98], 1.0
	v_div_scale_f64 v[107:108], vcc, 1.0, v[97:98], 1.0
	v_rcp_f64_e32 v[101:102], v[99:100]
	v_fma_f64 v[105:106], -v[99:100], v[101:102], 1.0
	v_fma_f64 v[101:102], v[101:102], v[105:106], v[101:102]
	v_fma_f64 v[105:106], -v[99:100], v[101:102], 1.0
	v_fma_f64 v[101:102], v[101:102], v[105:106], v[101:102]
	v_mul_f64 v[105:106], v[107:108], v[101:102]
	v_fma_f64 v[99:100], -v[99:100], v[105:106], v[107:108]
	v_div_fmas_f64 v[99:100], v[99:100], v[101:102], v[105:106]
	v_div_fixup_f64 v[101:102], v[99:100], v[97:98], 1.0
	v_mul_f64 v[103:104], v[103:104], -v[101:102]
.LBB109_43:
	s_or_b64 exec, exec, s[2:3]
	ds_write2_b64 v127, v[101:102], v[103:104] offset1:1
.LBB109_44:
	s_or_b64 exec, exec, s[4:5]
	s_waitcnt lgkmcnt(0)
	s_barrier
	ds_read2_b64 v[87:90], v127 offset1:1
	v_cmp_lt_u32_e32 vcc, 4, v0
	s_waitcnt lgkmcnt(0)
	buffer_store_dword v87, off, s[20:23], 0 offset:1008 ; 4-byte Folded Spill
	s_nop 0
	buffer_store_dword v88, off, s[20:23], 0 offset:1012 ; 4-byte Folded Spill
	buffer_store_dword v89, off, s[20:23], 0 offset:1016 ; 4-byte Folded Spill
	buffer_store_dword v90, off, s[20:23], 0 offset:1020 ; 4-byte Folded Spill
	s_and_saveexec_b64 s[2:3], vcc
	s_cbranch_execz .LBB109_46
; %bb.45:
	buffer_load_dword v107, off, s[20:23], 0 offset:432 ; 4-byte Folded Reload
	buffer_load_dword v108, off, s[20:23], 0 offset:436 ; 4-byte Folded Reload
	;; [unrolled: 1-line block ×8, first 2 shown]
	s_waitcnt vmcnt(2)
	v_mul_f64 v[99:100], v[87:88], v[109:110]
	s_waitcnt vmcnt(0)
	v_mul_f64 v[97:98], v[89:90], v[109:110]
	v_fma_f64 v[109:110], v[89:90], v[107:108], v[99:100]
	ds_read2_b64 v[99:102], v125 offset0:10 offset1:11
	v_fma_f64 v[97:98], v[87:88], v[107:108], -v[97:98]
	buffer_load_dword v105, off, s[20:23], 0 offset:416 ; 4-byte Folded Reload
	buffer_load_dword v106, off, s[20:23], 0 offset:420 ; 4-byte Folded Reload
	buffer_load_dword v107, off, s[20:23], 0 offset:424 ; 4-byte Folded Reload
	buffer_load_dword v108, off, s[20:23], 0 offset:428 ; 4-byte Folded Reload
	s_waitcnt lgkmcnt(0)
	v_mul_f64 v[103:104], v[101:102], v[109:110]
	v_fma_f64 v[103:104], v[99:100], v[97:98], -v[103:104]
	v_mul_f64 v[99:100], v[99:100], v[109:110]
	v_fma_f64 v[99:100], v[101:102], v[97:98], v[99:100]
	s_waitcnt vmcnt(2)
	v_add_f64 v[105:106], v[105:106], -v[103:104]
	s_waitcnt vmcnt(0)
	v_add_f64 v[107:108], v[107:108], -v[99:100]
	buffer_store_dword v105, off, s[20:23], 0 offset:416 ; 4-byte Folded Spill
	s_nop 0
	buffer_store_dword v106, off, s[20:23], 0 offset:420 ; 4-byte Folded Spill
	buffer_store_dword v107, off, s[20:23], 0 offset:424 ; 4-byte Folded Spill
	buffer_store_dword v108, off, s[20:23], 0 offset:428 ; 4-byte Folded Spill
	ds_read2_b64 v[99:102], v125 offset0:12 offset1:13
	buffer_load_dword v105, off, s[20:23], 0 offset:400 ; 4-byte Folded Reload
	buffer_load_dword v106, off, s[20:23], 0 offset:404 ; 4-byte Folded Reload
	buffer_load_dword v107, off, s[20:23], 0 offset:408 ; 4-byte Folded Reload
	buffer_load_dword v108, off, s[20:23], 0 offset:412 ; 4-byte Folded Reload
	s_waitcnt lgkmcnt(0)
	v_mul_f64 v[103:104], v[101:102], v[109:110]
	v_fma_f64 v[103:104], v[99:100], v[97:98], -v[103:104]
	v_mul_f64 v[99:100], v[99:100], v[109:110]
	v_fma_f64 v[99:100], v[101:102], v[97:98], v[99:100]
	s_waitcnt vmcnt(2)
	v_add_f64 v[105:106], v[105:106], -v[103:104]
	s_waitcnt vmcnt(0)
	v_add_f64 v[107:108], v[107:108], -v[99:100]
	buffer_store_dword v105, off, s[20:23], 0 offset:400 ; 4-byte Folded Spill
	s_nop 0
	buffer_store_dword v106, off, s[20:23], 0 offset:404 ; 4-byte Folded Spill
	buffer_store_dword v107, off, s[20:23], 0 offset:408 ; 4-byte Folded Spill
	buffer_store_dword v108, off, s[20:23], 0 offset:412 ; 4-byte Folded Spill
	ds_read2_b64 v[99:102], v125 offset0:14 offset1:15
	;; [unrolled: 19-line block ×26, first 2 shown]
	buffer_load_dword v105, off, s[20:23], 0 ; 4-byte Folded Reload
	buffer_load_dword v106, off, s[20:23], 0 offset:4 ; 4-byte Folded Reload
	buffer_load_dword v107, off, s[20:23], 0 offset:8 ; 4-byte Folded Reload
	;; [unrolled: 1-line block ×3, first 2 shown]
	s_waitcnt lgkmcnt(0)
	v_mul_f64 v[103:104], v[101:102], v[109:110]
	v_fma_f64 v[103:104], v[99:100], v[97:98], -v[103:104]
	v_mul_f64 v[99:100], v[99:100], v[109:110]
	v_fma_f64 v[99:100], v[101:102], v[97:98], v[99:100]
	s_waitcnt vmcnt(2)
	v_add_f64 v[105:106], v[105:106], -v[103:104]
	s_waitcnt vmcnt(0)
	v_add_f64 v[107:108], v[107:108], -v[99:100]
	buffer_store_dword v105, off, s[20:23], 0 ; 4-byte Folded Spill
	s_nop 0
	buffer_store_dword v106, off, s[20:23], 0 offset:4 ; 4-byte Folded Spill
	buffer_store_dword v107, off, s[20:23], 0 offset:8 ; 4-byte Folded Spill
	;; [unrolled: 1-line block ×3, first 2 shown]
	ds_read2_b64 v[99:102], v125 offset0:64 offset1:65
	v_mov_b32_e32 v108, v98
	v_mov_b32_e32 v107, v97
	s_waitcnt lgkmcnt(0)
	v_mul_f64 v[103:104], v[101:102], v[109:110]
	v_fma_f64 v[103:104], v[99:100], v[97:98], -v[103:104]
	v_mul_f64 v[99:100], v[99:100], v[109:110]
	v_add_f64 v[93:94], v[93:94], -v[103:104]
	v_fma_f64 v[99:100], v[101:102], v[97:98], v[99:100]
	v_add_f64 v[95:96], v[95:96], -v[99:100]
	ds_read2_b64 v[99:102], v125 offset0:66 offset1:67
	s_waitcnt lgkmcnt(0)
	v_mul_f64 v[103:104], v[101:102], v[109:110]
	v_fma_f64 v[103:104], v[99:100], v[97:98], -v[103:104]
	v_mul_f64 v[99:100], v[99:100], v[109:110]
	v_add_f64 v[81:82], v[81:82], -v[103:104]
	v_fma_f64 v[99:100], v[101:102], v[97:98], v[99:100]
	v_add_f64 v[83:84], v[83:84], -v[99:100]
	ds_read2_b64 v[99:102], v125 offset0:68 offset1:69
	;; [unrolled: 8-line block ×21, first 2 shown]
	s_waitcnt lgkmcnt(0)
	v_mul_f64 v[103:104], v[101:102], v[109:110]
	v_fma_f64 v[103:104], v[99:100], v[97:98], -v[103:104]
	v_mul_f64 v[99:100], v[99:100], v[109:110]
	v_add_f64 v[1:2], v[1:2], -v[103:104]
	v_fma_f64 v[99:100], v[101:102], v[97:98], v[99:100]
	ds_read2_b64 v[101:104], v125 offset0:108 offset1:109
	v_add_f64 v[3:4], v[3:4], -v[99:100]
	s_waitcnt lgkmcnt(0)
	v_mul_f64 v[99:100], v[103:104], v[109:110]
	v_fma_f64 v[99:100], v[101:102], v[97:98], -v[99:100]
	v_mul_f64 v[101:102], v[101:102], v[109:110]
	buffer_store_dword v107, off, s[20:23], 0 offset:432 ; 4-byte Folded Spill
	s_nop 0
	buffer_store_dword v108, off, s[20:23], 0 offset:436 ; 4-byte Folded Spill
	buffer_store_dword v109, off, s[20:23], 0 offset:440 ; 4-byte Folded Spill
	;; [unrolled: 1-line block ×3, first 2 shown]
	v_add_f64 v[121:122], v[121:122], -v[99:100]
	v_fma_f64 v[101:102], v[103:104], v[97:98], v[101:102]
	v_add_f64 v[123:124], v[123:124], -v[101:102]
.LBB109_46:
	s_or_b64 exec, exec, s[2:3]
	v_cmp_eq_u32_e32 vcc, 5, v0
	s_waitcnt vmcnt(0)
	s_barrier
	s_and_saveexec_b64 s[4:5], vcc
	s_cbranch_execz .LBB109_53
; %bb.47:
	buffer_load_dword v97, off, s[20:23], 0 offset:416 ; 4-byte Folded Reload
	buffer_load_dword v98, off, s[20:23], 0 offset:420 ; 4-byte Folded Reload
	;; [unrolled: 1-line block ×4, first 2 shown]
	s_waitcnt vmcnt(0)
	ds_write2_b64 v127, v[97:98], v[99:100] offset1:1
	buffer_load_dword v97, off, s[20:23], 0 offset:400 ; 4-byte Folded Reload
	buffer_load_dword v98, off, s[20:23], 0 offset:404 ; 4-byte Folded Reload
	buffer_load_dword v99, off, s[20:23], 0 offset:408 ; 4-byte Folded Reload
	buffer_load_dword v100, off, s[20:23], 0 offset:412 ; 4-byte Folded Reload
	s_waitcnt vmcnt(0)
	ds_write2_b64 v125, v[97:98], v[99:100] offset0:12 offset1:13
	buffer_load_dword v97, off, s[20:23], 0 offset:384 ; 4-byte Folded Reload
	buffer_load_dword v98, off, s[20:23], 0 offset:388 ; 4-byte Folded Reload
	buffer_load_dword v99, off, s[20:23], 0 offset:392 ; 4-byte Folded Reload
	buffer_load_dword v100, off, s[20:23], 0 offset:396 ; 4-byte Folded Reload
	s_waitcnt vmcnt(0)
	ds_write2_b64 v125, v[97:98], v[99:100] offset0:14 offset1:15
	;; [unrolled: 6-line block ×25, first 2 shown]
	buffer_load_dword v97, off, s[20:23], 0 ; 4-byte Folded Reload
	buffer_load_dword v98, off, s[20:23], 0 offset:4 ; 4-byte Folded Reload
	buffer_load_dword v99, off, s[20:23], 0 offset:8 ; 4-byte Folded Reload
	;; [unrolled: 1-line block ×3, first 2 shown]
	s_waitcnt vmcnt(0)
	ds_write2_b64 v125, v[97:98], v[99:100] offset0:62 offset1:63
	ds_write2_b64 v125, v[93:94], v[95:96] offset0:64 offset1:65
	;; [unrolled: 1-line block ×24, first 2 shown]
	ds_read2_b64 v[97:100], v127 offset1:1
	s_waitcnt lgkmcnt(0)
	v_cmp_neq_f64_e32 vcc, 0, v[97:98]
	v_cmp_neq_f64_e64 s[2:3], 0, v[99:100]
	s_or_b64 s[2:3], vcc, s[2:3]
	s_and_b64 exec, exec, s[2:3]
	s_cbranch_execz .LBB109_53
; %bb.48:
	v_cmp_ngt_f64_e64 s[2:3], |v[97:98]|, |v[99:100]|
                                        ; implicit-def: $vgpr101_vgpr102
	s_and_saveexec_b64 s[6:7], s[2:3]
	s_xor_b64 s[2:3], exec, s[6:7]
                                        ; implicit-def: $vgpr103_vgpr104
	s_cbranch_execz .LBB109_50
; %bb.49:
	v_div_scale_f64 v[101:102], s[6:7], v[99:100], v[99:100], v[97:98]
	v_rcp_f64_e32 v[103:104], v[101:102]
	v_fma_f64 v[105:106], -v[101:102], v[103:104], 1.0
	v_fma_f64 v[103:104], v[103:104], v[105:106], v[103:104]
	v_div_scale_f64 v[105:106], vcc, v[97:98], v[99:100], v[97:98]
	v_fma_f64 v[107:108], -v[101:102], v[103:104], 1.0
	v_fma_f64 v[103:104], v[103:104], v[107:108], v[103:104]
	v_mul_f64 v[107:108], v[105:106], v[103:104]
	v_fma_f64 v[101:102], -v[101:102], v[107:108], v[105:106]
	v_div_fmas_f64 v[101:102], v[101:102], v[103:104], v[107:108]
	v_div_fixup_f64 v[101:102], v[101:102], v[99:100], v[97:98]
	v_fma_f64 v[97:98], v[97:98], v[101:102], v[99:100]
	v_div_scale_f64 v[99:100], s[6:7], v[97:98], v[97:98], 1.0
	v_div_scale_f64 v[107:108], vcc, 1.0, v[97:98], 1.0
	v_rcp_f64_e32 v[103:104], v[99:100]
	v_fma_f64 v[105:106], -v[99:100], v[103:104], 1.0
	v_fma_f64 v[103:104], v[103:104], v[105:106], v[103:104]
	v_fma_f64 v[105:106], -v[99:100], v[103:104], 1.0
	v_fma_f64 v[103:104], v[103:104], v[105:106], v[103:104]
	v_mul_f64 v[105:106], v[107:108], v[103:104]
	v_fma_f64 v[99:100], -v[99:100], v[105:106], v[107:108]
	v_div_fmas_f64 v[99:100], v[99:100], v[103:104], v[105:106]
	v_div_fixup_f64 v[103:104], v[99:100], v[97:98], 1.0
                                        ; implicit-def: $vgpr97_vgpr98
	v_mul_f64 v[101:102], v[101:102], v[103:104]
	v_xor_b32_e32 v104, 0x80000000, v104
.LBB109_50:
	s_andn2_saveexec_b64 s[2:3], s[2:3]
	s_cbranch_execz .LBB109_52
; %bb.51:
	v_div_scale_f64 v[101:102], s[6:7], v[97:98], v[97:98], v[99:100]
	v_rcp_f64_e32 v[103:104], v[101:102]
	v_fma_f64 v[105:106], -v[101:102], v[103:104], 1.0
	v_fma_f64 v[103:104], v[103:104], v[105:106], v[103:104]
	v_div_scale_f64 v[105:106], vcc, v[99:100], v[97:98], v[99:100]
	v_fma_f64 v[107:108], -v[101:102], v[103:104], 1.0
	v_fma_f64 v[103:104], v[103:104], v[107:108], v[103:104]
	v_mul_f64 v[107:108], v[105:106], v[103:104]
	v_fma_f64 v[101:102], -v[101:102], v[107:108], v[105:106]
	v_div_fmas_f64 v[101:102], v[101:102], v[103:104], v[107:108]
	v_div_fixup_f64 v[103:104], v[101:102], v[97:98], v[99:100]
	v_fma_f64 v[97:98], v[99:100], v[103:104], v[97:98]
	v_div_scale_f64 v[99:100], s[6:7], v[97:98], v[97:98], 1.0
	v_div_scale_f64 v[107:108], vcc, 1.0, v[97:98], 1.0
	v_rcp_f64_e32 v[101:102], v[99:100]
	v_fma_f64 v[105:106], -v[99:100], v[101:102], 1.0
	v_fma_f64 v[101:102], v[101:102], v[105:106], v[101:102]
	v_fma_f64 v[105:106], -v[99:100], v[101:102], 1.0
	v_fma_f64 v[101:102], v[101:102], v[105:106], v[101:102]
	v_mul_f64 v[105:106], v[107:108], v[101:102]
	v_fma_f64 v[99:100], -v[99:100], v[105:106], v[107:108]
	v_div_fmas_f64 v[99:100], v[99:100], v[101:102], v[105:106]
	v_div_fixup_f64 v[101:102], v[99:100], v[97:98], 1.0
	v_mul_f64 v[103:104], v[103:104], -v[101:102]
.LBB109_52:
	s_or_b64 exec, exec, s[2:3]
	ds_write2_b64 v127, v[101:102], v[103:104] offset1:1
.LBB109_53:
	s_or_b64 exec, exec, s[4:5]
	s_waitcnt lgkmcnt(0)
	s_barrier
	ds_read2_b64 v[87:90], v127 offset1:1
	v_cmp_lt_u32_e32 vcc, 5, v0
	s_waitcnt lgkmcnt(0)
	buffer_store_dword v87, off, s[20:23], 0 offset:1024 ; 4-byte Folded Spill
	s_nop 0
	buffer_store_dword v88, off, s[20:23], 0 offset:1028 ; 4-byte Folded Spill
	buffer_store_dword v89, off, s[20:23], 0 offset:1032 ; 4-byte Folded Spill
	;; [unrolled: 1-line block ×3, first 2 shown]
	s_and_saveexec_b64 s[2:3], vcc
	s_cbranch_execz .LBB109_55
; %bb.54:
	buffer_load_dword v107, off, s[20:23], 0 offset:416 ; 4-byte Folded Reload
	buffer_load_dword v108, off, s[20:23], 0 offset:420 ; 4-byte Folded Reload
	;; [unrolled: 1-line block ×8, first 2 shown]
	s_waitcnt vmcnt(2)
	v_mul_f64 v[99:100], v[87:88], v[109:110]
	s_waitcnt vmcnt(0)
	v_mul_f64 v[97:98], v[89:90], v[109:110]
	v_fma_f64 v[109:110], v[89:90], v[107:108], v[99:100]
	ds_read2_b64 v[99:102], v125 offset0:12 offset1:13
	v_fma_f64 v[97:98], v[87:88], v[107:108], -v[97:98]
	buffer_load_dword v105, off, s[20:23], 0 offset:400 ; 4-byte Folded Reload
	buffer_load_dword v106, off, s[20:23], 0 offset:404 ; 4-byte Folded Reload
	buffer_load_dword v107, off, s[20:23], 0 offset:408 ; 4-byte Folded Reload
	buffer_load_dword v108, off, s[20:23], 0 offset:412 ; 4-byte Folded Reload
	s_waitcnt lgkmcnt(0)
	v_mul_f64 v[103:104], v[101:102], v[109:110]
	v_fma_f64 v[103:104], v[99:100], v[97:98], -v[103:104]
	v_mul_f64 v[99:100], v[99:100], v[109:110]
	v_fma_f64 v[99:100], v[101:102], v[97:98], v[99:100]
	s_waitcnt vmcnt(2)
	v_add_f64 v[105:106], v[105:106], -v[103:104]
	s_waitcnt vmcnt(0)
	v_add_f64 v[107:108], v[107:108], -v[99:100]
	buffer_store_dword v105, off, s[20:23], 0 offset:400 ; 4-byte Folded Spill
	s_nop 0
	buffer_store_dword v106, off, s[20:23], 0 offset:404 ; 4-byte Folded Spill
	buffer_store_dword v107, off, s[20:23], 0 offset:408 ; 4-byte Folded Spill
	buffer_store_dword v108, off, s[20:23], 0 offset:412 ; 4-byte Folded Spill
	ds_read2_b64 v[99:102], v125 offset0:14 offset1:15
	buffer_load_dword v105, off, s[20:23], 0 offset:384 ; 4-byte Folded Reload
	buffer_load_dword v106, off, s[20:23], 0 offset:388 ; 4-byte Folded Reload
	buffer_load_dword v107, off, s[20:23], 0 offset:392 ; 4-byte Folded Reload
	buffer_load_dword v108, off, s[20:23], 0 offset:396 ; 4-byte Folded Reload
	s_waitcnt lgkmcnt(0)
	v_mul_f64 v[103:104], v[101:102], v[109:110]
	v_fma_f64 v[103:104], v[99:100], v[97:98], -v[103:104]
	v_mul_f64 v[99:100], v[99:100], v[109:110]
	v_fma_f64 v[99:100], v[101:102], v[97:98], v[99:100]
	s_waitcnt vmcnt(2)
	v_add_f64 v[105:106], v[105:106], -v[103:104]
	s_waitcnt vmcnt(0)
	v_add_f64 v[107:108], v[107:108], -v[99:100]
	buffer_store_dword v105, off, s[20:23], 0 offset:384 ; 4-byte Folded Spill
	s_nop 0
	buffer_store_dword v106, off, s[20:23], 0 offset:388 ; 4-byte Folded Spill
	buffer_store_dword v107, off, s[20:23], 0 offset:392 ; 4-byte Folded Spill
	buffer_store_dword v108, off, s[20:23], 0 offset:396 ; 4-byte Folded Spill
	ds_read2_b64 v[99:102], v125 offset0:16 offset1:17
	;; [unrolled: 19-line block ×25, first 2 shown]
	buffer_load_dword v105, off, s[20:23], 0 ; 4-byte Folded Reload
	buffer_load_dword v106, off, s[20:23], 0 offset:4 ; 4-byte Folded Reload
	buffer_load_dword v107, off, s[20:23], 0 offset:8 ; 4-byte Folded Reload
	;; [unrolled: 1-line block ×3, first 2 shown]
	s_waitcnt lgkmcnt(0)
	v_mul_f64 v[103:104], v[101:102], v[109:110]
	v_fma_f64 v[103:104], v[99:100], v[97:98], -v[103:104]
	v_mul_f64 v[99:100], v[99:100], v[109:110]
	v_fma_f64 v[99:100], v[101:102], v[97:98], v[99:100]
	s_waitcnt vmcnt(2)
	v_add_f64 v[105:106], v[105:106], -v[103:104]
	s_waitcnt vmcnt(0)
	v_add_f64 v[107:108], v[107:108], -v[99:100]
	buffer_store_dword v105, off, s[20:23], 0 ; 4-byte Folded Spill
	s_nop 0
	buffer_store_dword v106, off, s[20:23], 0 offset:4 ; 4-byte Folded Spill
	buffer_store_dword v107, off, s[20:23], 0 offset:8 ; 4-byte Folded Spill
	;; [unrolled: 1-line block ×3, first 2 shown]
	ds_read2_b64 v[99:102], v125 offset0:64 offset1:65
	v_mov_b32_e32 v108, v98
	v_mov_b32_e32 v107, v97
	s_waitcnt lgkmcnt(0)
	v_mul_f64 v[103:104], v[101:102], v[109:110]
	v_fma_f64 v[103:104], v[99:100], v[97:98], -v[103:104]
	v_mul_f64 v[99:100], v[99:100], v[109:110]
	v_add_f64 v[93:94], v[93:94], -v[103:104]
	v_fma_f64 v[99:100], v[101:102], v[97:98], v[99:100]
	v_add_f64 v[95:96], v[95:96], -v[99:100]
	ds_read2_b64 v[99:102], v125 offset0:66 offset1:67
	s_waitcnt lgkmcnt(0)
	v_mul_f64 v[103:104], v[101:102], v[109:110]
	v_fma_f64 v[103:104], v[99:100], v[97:98], -v[103:104]
	v_mul_f64 v[99:100], v[99:100], v[109:110]
	v_add_f64 v[81:82], v[81:82], -v[103:104]
	v_fma_f64 v[99:100], v[101:102], v[97:98], v[99:100]
	v_add_f64 v[83:84], v[83:84], -v[99:100]
	ds_read2_b64 v[99:102], v125 offset0:68 offset1:69
	s_waitcnt lgkmcnt(0)
	v_mul_f64 v[103:104], v[101:102], v[109:110]
	v_fma_f64 v[103:104], v[99:100], v[97:98], -v[103:104]
	v_mul_f64 v[99:100], v[99:100], v[109:110]
	v_add_f64 v[77:78], v[77:78], -v[103:104]
	v_fma_f64 v[99:100], v[101:102], v[97:98], v[99:100]
	v_add_f64 v[79:80], v[79:80], -v[99:100]
	ds_read2_b64 v[99:102], v125 offset0:70 offset1:71
	s_waitcnt lgkmcnt(0)
	v_mul_f64 v[103:104], v[101:102], v[109:110]
	v_fma_f64 v[103:104], v[99:100], v[97:98], -v[103:104]
	v_mul_f64 v[99:100], v[99:100], v[109:110]
	v_add_f64 v[73:74], v[73:74], -v[103:104]
	v_fma_f64 v[99:100], v[101:102], v[97:98], v[99:100]
	v_add_f64 v[75:76], v[75:76], -v[99:100]
	ds_read2_b64 v[99:102], v125 offset0:72 offset1:73
	s_waitcnt lgkmcnt(0)
	v_mul_f64 v[103:104], v[101:102], v[109:110]
	v_fma_f64 v[103:104], v[99:100], v[97:98], -v[103:104]
	v_mul_f64 v[99:100], v[99:100], v[109:110]
	v_add_f64 v[69:70], v[69:70], -v[103:104]
	v_fma_f64 v[99:100], v[101:102], v[97:98], v[99:100]
	v_add_f64 v[71:72], v[71:72], -v[99:100]
	ds_read2_b64 v[99:102], v125 offset0:74 offset1:75
	s_waitcnt lgkmcnt(0)
	v_mul_f64 v[103:104], v[101:102], v[109:110]
	v_fma_f64 v[103:104], v[99:100], v[97:98], -v[103:104]
	v_mul_f64 v[99:100], v[99:100], v[109:110]
	v_add_f64 v[65:66], v[65:66], -v[103:104]
	v_fma_f64 v[99:100], v[101:102], v[97:98], v[99:100]
	v_add_f64 v[67:68], v[67:68], -v[99:100]
	ds_read2_b64 v[99:102], v125 offset0:76 offset1:77
	s_waitcnt lgkmcnt(0)
	v_mul_f64 v[103:104], v[101:102], v[109:110]
	v_fma_f64 v[103:104], v[99:100], v[97:98], -v[103:104]
	v_mul_f64 v[99:100], v[99:100], v[109:110]
	v_add_f64 v[61:62], v[61:62], -v[103:104]
	v_fma_f64 v[99:100], v[101:102], v[97:98], v[99:100]
	v_add_f64 v[63:64], v[63:64], -v[99:100]
	ds_read2_b64 v[99:102], v125 offset0:78 offset1:79
	s_waitcnt lgkmcnt(0)
	v_mul_f64 v[103:104], v[101:102], v[109:110]
	v_fma_f64 v[103:104], v[99:100], v[97:98], -v[103:104]
	v_mul_f64 v[99:100], v[99:100], v[109:110]
	v_add_f64 v[57:58], v[57:58], -v[103:104]
	v_fma_f64 v[99:100], v[101:102], v[97:98], v[99:100]
	v_add_f64 v[59:60], v[59:60], -v[99:100]
	ds_read2_b64 v[99:102], v125 offset0:80 offset1:81
	s_waitcnt lgkmcnt(0)
	v_mul_f64 v[103:104], v[101:102], v[109:110]
	v_fma_f64 v[103:104], v[99:100], v[97:98], -v[103:104]
	v_mul_f64 v[99:100], v[99:100], v[109:110]
	v_add_f64 v[53:54], v[53:54], -v[103:104]
	v_fma_f64 v[99:100], v[101:102], v[97:98], v[99:100]
	v_add_f64 v[55:56], v[55:56], -v[99:100]
	ds_read2_b64 v[99:102], v125 offset0:82 offset1:83
	s_waitcnt lgkmcnt(0)
	v_mul_f64 v[103:104], v[101:102], v[109:110]
	v_fma_f64 v[103:104], v[99:100], v[97:98], -v[103:104]
	v_mul_f64 v[99:100], v[99:100], v[109:110]
	v_add_f64 v[49:50], v[49:50], -v[103:104]
	v_fma_f64 v[99:100], v[101:102], v[97:98], v[99:100]
	v_add_f64 v[51:52], v[51:52], -v[99:100]
	ds_read2_b64 v[99:102], v125 offset0:84 offset1:85
	s_waitcnt lgkmcnt(0)
	v_mul_f64 v[103:104], v[101:102], v[109:110]
	v_fma_f64 v[103:104], v[99:100], v[97:98], -v[103:104]
	v_mul_f64 v[99:100], v[99:100], v[109:110]
	v_add_f64 v[45:46], v[45:46], -v[103:104]
	v_fma_f64 v[99:100], v[101:102], v[97:98], v[99:100]
	v_add_f64 v[47:48], v[47:48], -v[99:100]
	ds_read2_b64 v[99:102], v125 offset0:86 offset1:87
	s_waitcnt lgkmcnt(0)
	v_mul_f64 v[103:104], v[101:102], v[109:110]
	v_fma_f64 v[103:104], v[99:100], v[97:98], -v[103:104]
	v_mul_f64 v[99:100], v[99:100], v[109:110]
	v_add_f64 v[41:42], v[41:42], -v[103:104]
	v_fma_f64 v[99:100], v[101:102], v[97:98], v[99:100]
	v_add_f64 v[43:44], v[43:44], -v[99:100]
	ds_read2_b64 v[99:102], v125 offset0:88 offset1:89
	s_waitcnt lgkmcnt(0)
	v_mul_f64 v[103:104], v[101:102], v[109:110]
	v_fma_f64 v[103:104], v[99:100], v[97:98], -v[103:104]
	v_mul_f64 v[99:100], v[99:100], v[109:110]
	v_add_f64 v[37:38], v[37:38], -v[103:104]
	v_fma_f64 v[99:100], v[101:102], v[97:98], v[99:100]
	v_add_f64 v[39:40], v[39:40], -v[99:100]
	ds_read2_b64 v[99:102], v125 offset0:90 offset1:91
	s_waitcnt lgkmcnt(0)
	v_mul_f64 v[103:104], v[101:102], v[109:110]
	v_fma_f64 v[103:104], v[99:100], v[97:98], -v[103:104]
	v_mul_f64 v[99:100], v[99:100], v[109:110]
	v_add_f64 v[33:34], v[33:34], -v[103:104]
	v_fma_f64 v[99:100], v[101:102], v[97:98], v[99:100]
	v_add_f64 v[35:36], v[35:36], -v[99:100]
	ds_read2_b64 v[99:102], v125 offset0:92 offset1:93
	s_waitcnt lgkmcnt(0)
	v_mul_f64 v[103:104], v[101:102], v[109:110]
	v_fma_f64 v[103:104], v[99:100], v[97:98], -v[103:104]
	v_mul_f64 v[99:100], v[99:100], v[109:110]
	v_add_f64 v[29:30], v[29:30], -v[103:104]
	v_fma_f64 v[99:100], v[101:102], v[97:98], v[99:100]
	v_add_f64 v[31:32], v[31:32], -v[99:100]
	ds_read2_b64 v[99:102], v125 offset0:94 offset1:95
	s_waitcnt lgkmcnt(0)
	v_mul_f64 v[103:104], v[101:102], v[109:110]
	v_fma_f64 v[103:104], v[99:100], v[97:98], -v[103:104]
	v_mul_f64 v[99:100], v[99:100], v[109:110]
	v_add_f64 v[25:26], v[25:26], -v[103:104]
	v_fma_f64 v[99:100], v[101:102], v[97:98], v[99:100]
	v_add_f64 v[27:28], v[27:28], -v[99:100]
	ds_read2_b64 v[99:102], v125 offset0:96 offset1:97
	s_waitcnt lgkmcnt(0)
	v_mul_f64 v[103:104], v[101:102], v[109:110]
	v_fma_f64 v[103:104], v[99:100], v[97:98], -v[103:104]
	v_mul_f64 v[99:100], v[99:100], v[109:110]
	v_add_f64 v[21:22], v[21:22], -v[103:104]
	v_fma_f64 v[99:100], v[101:102], v[97:98], v[99:100]
	v_add_f64 v[23:24], v[23:24], -v[99:100]
	ds_read2_b64 v[99:102], v125 offset0:98 offset1:99
	s_waitcnt lgkmcnt(0)
	v_mul_f64 v[103:104], v[101:102], v[109:110]
	v_fma_f64 v[103:104], v[99:100], v[97:98], -v[103:104]
	v_mul_f64 v[99:100], v[99:100], v[109:110]
	v_add_f64 v[17:18], v[17:18], -v[103:104]
	v_fma_f64 v[99:100], v[101:102], v[97:98], v[99:100]
	v_add_f64 v[19:20], v[19:20], -v[99:100]
	ds_read2_b64 v[99:102], v125 offset0:100 offset1:101
	s_waitcnt lgkmcnt(0)
	v_mul_f64 v[103:104], v[101:102], v[109:110]
	v_fma_f64 v[103:104], v[99:100], v[97:98], -v[103:104]
	v_mul_f64 v[99:100], v[99:100], v[109:110]
	v_add_f64 v[13:14], v[13:14], -v[103:104]
	v_fma_f64 v[99:100], v[101:102], v[97:98], v[99:100]
	v_add_f64 v[15:16], v[15:16], -v[99:100]
	ds_read2_b64 v[99:102], v125 offset0:102 offset1:103
	s_waitcnt lgkmcnt(0)
	v_mul_f64 v[103:104], v[101:102], v[109:110]
	v_fma_f64 v[103:104], v[99:100], v[97:98], -v[103:104]
	v_mul_f64 v[99:100], v[99:100], v[109:110]
	v_add_f64 v[9:10], v[9:10], -v[103:104]
	v_fma_f64 v[99:100], v[101:102], v[97:98], v[99:100]
	v_add_f64 v[11:12], v[11:12], -v[99:100]
	ds_read2_b64 v[99:102], v125 offset0:104 offset1:105
	s_waitcnt lgkmcnt(0)
	v_mul_f64 v[103:104], v[101:102], v[109:110]
	v_fma_f64 v[103:104], v[99:100], v[97:98], -v[103:104]
	v_mul_f64 v[99:100], v[99:100], v[109:110]
	v_add_f64 v[5:6], v[5:6], -v[103:104]
	v_fma_f64 v[99:100], v[101:102], v[97:98], v[99:100]
	v_add_f64 v[7:8], v[7:8], -v[99:100]
	ds_read2_b64 v[99:102], v125 offset0:106 offset1:107
	s_waitcnt lgkmcnt(0)
	v_mul_f64 v[103:104], v[101:102], v[109:110]
	v_fma_f64 v[103:104], v[99:100], v[97:98], -v[103:104]
	v_mul_f64 v[99:100], v[99:100], v[109:110]
	v_add_f64 v[1:2], v[1:2], -v[103:104]
	v_fma_f64 v[99:100], v[101:102], v[97:98], v[99:100]
	ds_read2_b64 v[101:104], v125 offset0:108 offset1:109
	v_add_f64 v[3:4], v[3:4], -v[99:100]
	s_waitcnt lgkmcnt(0)
	v_mul_f64 v[99:100], v[103:104], v[109:110]
	v_fma_f64 v[99:100], v[101:102], v[97:98], -v[99:100]
	v_mul_f64 v[101:102], v[101:102], v[109:110]
	buffer_store_dword v107, off, s[20:23], 0 offset:416 ; 4-byte Folded Spill
	s_nop 0
	buffer_store_dword v108, off, s[20:23], 0 offset:420 ; 4-byte Folded Spill
	buffer_store_dword v109, off, s[20:23], 0 offset:424 ; 4-byte Folded Spill
	;; [unrolled: 1-line block ×3, first 2 shown]
	v_add_f64 v[121:122], v[121:122], -v[99:100]
	v_fma_f64 v[101:102], v[103:104], v[97:98], v[101:102]
	v_add_f64 v[123:124], v[123:124], -v[101:102]
.LBB109_55:
	s_or_b64 exec, exec, s[2:3]
	v_cmp_eq_u32_e32 vcc, 6, v0
	s_waitcnt vmcnt(0)
	s_barrier
	s_and_saveexec_b64 s[4:5], vcc
	s_cbranch_execz .LBB109_62
; %bb.56:
	buffer_load_dword v97, off, s[20:23], 0 offset:400 ; 4-byte Folded Reload
	buffer_load_dword v98, off, s[20:23], 0 offset:404 ; 4-byte Folded Reload
	;; [unrolled: 1-line block ×4, first 2 shown]
	s_waitcnt vmcnt(0)
	ds_write2_b64 v127, v[97:98], v[99:100] offset1:1
	buffer_load_dword v97, off, s[20:23], 0 offset:384 ; 4-byte Folded Reload
	buffer_load_dword v98, off, s[20:23], 0 offset:388 ; 4-byte Folded Reload
	buffer_load_dword v99, off, s[20:23], 0 offset:392 ; 4-byte Folded Reload
	buffer_load_dword v100, off, s[20:23], 0 offset:396 ; 4-byte Folded Reload
	s_waitcnt vmcnt(0)
	ds_write2_b64 v125, v[97:98], v[99:100] offset0:14 offset1:15
	buffer_load_dword v97, off, s[20:23], 0 offset:368 ; 4-byte Folded Reload
	buffer_load_dword v98, off, s[20:23], 0 offset:372 ; 4-byte Folded Reload
	buffer_load_dword v99, off, s[20:23], 0 offset:376 ; 4-byte Folded Reload
	buffer_load_dword v100, off, s[20:23], 0 offset:380 ; 4-byte Folded Reload
	s_waitcnt vmcnt(0)
	ds_write2_b64 v125, v[97:98], v[99:100] offset0:16 offset1:17
	;; [unrolled: 6-line block ×24, first 2 shown]
	buffer_load_dword v97, off, s[20:23], 0 ; 4-byte Folded Reload
	buffer_load_dword v98, off, s[20:23], 0 offset:4 ; 4-byte Folded Reload
	buffer_load_dword v99, off, s[20:23], 0 offset:8 ; 4-byte Folded Reload
	;; [unrolled: 1-line block ×3, first 2 shown]
	s_waitcnt vmcnt(0)
	ds_write2_b64 v125, v[97:98], v[99:100] offset0:62 offset1:63
	ds_write2_b64 v125, v[93:94], v[95:96] offset0:64 offset1:65
	ds_write2_b64 v125, v[81:82], v[83:84] offset0:66 offset1:67
	ds_write2_b64 v125, v[77:78], v[79:80] offset0:68 offset1:69
	ds_write2_b64 v125, v[73:74], v[75:76] offset0:70 offset1:71
	ds_write2_b64 v125, v[69:70], v[71:72] offset0:72 offset1:73
	ds_write2_b64 v125, v[65:66], v[67:68] offset0:74 offset1:75
	ds_write2_b64 v125, v[61:62], v[63:64] offset0:76 offset1:77
	ds_write2_b64 v125, v[57:58], v[59:60] offset0:78 offset1:79
	ds_write2_b64 v125, v[53:54], v[55:56] offset0:80 offset1:81
	ds_write2_b64 v125, v[49:50], v[51:52] offset0:82 offset1:83
	ds_write2_b64 v125, v[45:46], v[47:48] offset0:84 offset1:85
	ds_write2_b64 v125, v[41:42], v[43:44] offset0:86 offset1:87
	ds_write2_b64 v125, v[37:38], v[39:40] offset0:88 offset1:89
	ds_write2_b64 v125, v[33:34], v[35:36] offset0:90 offset1:91
	ds_write2_b64 v125, v[29:30], v[31:32] offset0:92 offset1:93
	ds_write2_b64 v125, v[25:26], v[27:28] offset0:94 offset1:95
	ds_write2_b64 v125, v[21:22], v[23:24] offset0:96 offset1:97
	ds_write2_b64 v125, v[17:18], v[19:20] offset0:98 offset1:99
	ds_write2_b64 v125, v[13:14], v[15:16] offset0:100 offset1:101
	ds_write2_b64 v125, v[9:10], v[11:12] offset0:102 offset1:103
	ds_write2_b64 v125, v[5:6], v[7:8] offset0:104 offset1:105
	ds_write2_b64 v125, v[1:2], v[3:4] offset0:106 offset1:107
	ds_write2_b64 v125, v[121:122], v[123:124] offset0:108 offset1:109
	ds_read2_b64 v[97:100], v127 offset1:1
	s_waitcnt lgkmcnt(0)
	v_cmp_neq_f64_e32 vcc, 0, v[97:98]
	v_cmp_neq_f64_e64 s[2:3], 0, v[99:100]
	s_or_b64 s[2:3], vcc, s[2:3]
	s_and_b64 exec, exec, s[2:3]
	s_cbranch_execz .LBB109_62
; %bb.57:
	v_cmp_ngt_f64_e64 s[2:3], |v[97:98]|, |v[99:100]|
                                        ; implicit-def: $vgpr101_vgpr102
	s_and_saveexec_b64 s[6:7], s[2:3]
	s_xor_b64 s[2:3], exec, s[6:7]
                                        ; implicit-def: $vgpr103_vgpr104
	s_cbranch_execz .LBB109_59
; %bb.58:
	v_div_scale_f64 v[101:102], s[6:7], v[99:100], v[99:100], v[97:98]
	v_rcp_f64_e32 v[103:104], v[101:102]
	v_fma_f64 v[105:106], -v[101:102], v[103:104], 1.0
	v_fma_f64 v[103:104], v[103:104], v[105:106], v[103:104]
	v_div_scale_f64 v[105:106], vcc, v[97:98], v[99:100], v[97:98]
	v_fma_f64 v[107:108], -v[101:102], v[103:104], 1.0
	v_fma_f64 v[103:104], v[103:104], v[107:108], v[103:104]
	v_mul_f64 v[107:108], v[105:106], v[103:104]
	v_fma_f64 v[101:102], -v[101:102], v[107:108], v[105:106]
	v_div_fmas_f64 v[101:102], v[101:102], v[103:104], v[107:108]
	v_div_fixup_f64 v[101:102], v[101:102], v[99:100], v[97:98]
	v_fma_f64 v[97:98], v[97:98], v[101:102], v[99:100]
	v_div_scale_f64 v[99:100], s[6:7], v[97:98], v[97:98], 1.0
	v_div_scale_f64 v[107:108], vcc, 1.0, v[97:98], 1.0
	v_rcp_f64_e32 v[103:104], v[99:100]
	v_fma_f64 v[105:106], -v[99:100], v[103:104], 1.0
	v_fma_f64 v[103:104], v[103:104], v[105:106], v[103:104]
	v_fma_f64 v[105:106], -v[99:100], v[103:104], 1.0
	v_fma_f64 v[103:104], v[103:104], v[105:106], v[103:104]
	v_mul_f64 v[105:106], v[107:108], v[103:104]
	v_fma_f64 v[99:100], -v[99:100], v[105:106], v[107:108]
	v_div_fmas_f64 v[99:100], v[99:100], v[103:104], v[105:106]
	v_div_fixup_f64 v[103:104], v[99:100], v[97:98], 1.0
                                        ; implicit-def: $vgpr97_vgpr98
	v_mul_f64 v[101:102], v[101:102], v[103:104]
	v_xor_b32_e32 v104, 0x80000000, v104
.LBB109_59:
	s_andn2_saveexec_b64 s[2:3], s[2:3]
	s_cbranch_execz .LBB109_61
; %bb.60:
	v_div_scale_f64 v[101:102], s[6:7], v[97:98], v[97:98], v[99:100]
	v_rcp_f64_e32 v[103:104], v[101:102]
	v_fma_f64 v[105:106], -v[101:102], v[103:104], 1.0
	v_fma_f64 v[103:104], v[103:104], v[105:106], v[103:104]
	v_div_scale_f64 v[105:106], vcc, v[99:100], v[97:98], v[99:100]
	v_fma_f64 v[107:108], -v[101:102], v[103:104], 1.0
	v_fma_f64 v[103:104], v[103:104], v[107:108], v[103:104]
	v_mul_f64 v[107:108], v[105:106], v[103:104]
	v_fma_f64 v[101:102], -v[101:102], v[107:108], v[105:106]
	v_div_fmas_f64 v[101:102], v[101:102], v[103:104], v[107:108]
	v_div_fixup_f64 v[103:104], v[101:102], v[97:98], v[99:100]
	v_fma_f64 v[97:98], v[99:100], v[103:104], v[97:98]
	v_div_scale_f64 v[99:100], s[6:7], v[97:98], v[97:98], 1.0
	v_div_scale_f64 v[107:108], vcc, 1.0, v[97:98], 1.0
	v_rcp_f64_e32 v[101:102], v[99:100]
	v_fma_f64 v[105:106], -v[99:100], v[101:102], 1.0
	v_fma_f64 v[101:102], v[101:102], v[105:106], v[101:102]
	v_fma_f64 v[105:106], -v[99:100], v[101:102], 1.0
	v_fma_f64 v[101:102], v[101:102], v[105:106], v[101:102]
	v_mul_f64 v[105:106], v[107:108], v[101:102]
	v_fma_f64 v[99:100], -v[99:100], v[105:106], v[107:108]
	v_div_fmas_f64 v[99:100], v[99:100], v[101:102], v[105:106]
	v_div_fixup_f64 v[101:102], v[99:100], v[97:98], 1.0
	v_mul_f64 v[103:104], v[103:104], -v[101:102]
.LBB109_61:
	s_or_b64 exec, exec, s[2:3]
	ds_write2_b64 v127, v[101:102], v[103:104] offset1:1
.LBB109_62:
	s_or_b64 exec, exec, s[4:5]
	s_waitcnt lgkmcnt(0)
	s_barrier
	ds_read2_b64 v[87:90], v127 offset1:1
	v_cmp_lt_u32_e32 vcc, 6, v0
	s_waitcnt lgkmcnt(0)
	buffer_store_dword v87, off, s[20:23], 0 offset:1040 ; 4-byte Folded Spill
	s_nop 0
	buffer_store_dword v88, off, s[20:23], 0 offset:1044 ; 4-byte Folded Spill
	buffer_store_dword v89, off, s[20:23], 0 offset:1048 ; 4-byte Folded Spill
	;; [unrolled: 1-line block ×3, first 2 shown]
	s_and_saveexec_b64 s[2:3], vcc
	s_cbranch_execz .LBB109_64
; %bb.63:
	buffer_load_dword v107, off, s[20:23], 0 offset:400 ; 4-byte Folded Reload
	buffer_load_dword v108, off, s[20:23], 0 offset:404 ; 4-byte Folded Reload
	;; [unrolled: 1-line block ×8, first 2 shown]
	s_waitcnt vmcnt(2)
	v_mul_f64 v[99:100], v[87:88], v[109:110]
	s_waitcnt vmcnt(0)
	v_mul_f64 v[97:98], v[89:90], v[109:110]
	v_fma_f64 v[109:110], v[89:90], v[107:108], v[99:100]
	ds_read2_b64 v[99:102], v125 offset0:14 offset1:15
	v_fma_f64 v[97:98], v[87:88], v[107:108], -v[97:98]
	buffer_load_dword v105, off, s[20:23], 0 offset:384 ; 4-byte Folded Reload
	buffer_load_dword v106, off, s[20:23], 0 offset:388 ; 4-byte Folded Reload
	buffer_load_dword v107, off, s[20:23], 0 offset:392 ; 4-byte Folded Reload
	buffer_load_dword v108, off, s[20:23], 0 offset:396 ; 4-byte Folded Reload
	s_waitcnt lgkmcnt(0)
	v_mul_f64 v[103:104], v[101:102], v[109:110]
	v_fma_f64 v[103:104], v[99:100], v[97:98], -v[103:104]
	v_mul_f64 v[99:100], v[99:100], v[109:110]
	v_fma_f64 v[99:100], v[101:102], v[97:98], v[99:100]
	s_waitcnt vmcnt(2)
	v_add_f64 v[105:106], v[105:106], -v[103:104]
	s_waitcnt vmcnt(0)
	v_add_f64 v[107:108], v[107:108], -v[99:100]
	buffer_store_dword v105, off, s[20:23], 0 offset:384 ; 4-byte Folded Spill
	s_nop 0
	buffer_store_dword v106, off, s[20:23], 0 offset:388 ; 4-byte Folded Spill
	buffer_store_dword v107, off, s[20:23], 0 offset:392 ; 4-byte Folded Spill
	buffer_store_dword v108, off, s[20:23], 0 offset:396 ; 4-byte Folded Spill
	ds_read2_b64 v[99:102], v125 offset0:16 offset1:17
	buffer_load_dword v105, off, s[20:23], 0 offset:368 ; 4-byte Folded Reload
	buffer_load_dword v106, off, s[20:23], 0 offset:372 ; 4-byte Folded Reload
	buffer_load_dword v107, off, s[20:23], 0 offset:376 ; 4-byte Folded Reload
	buffer_load_dword v108, off, s[20:23], 0 offset:380 ; 4-byte Folded Reload
	s_waitcnt lgkmcnt(0)
	v_mul_f64 v[103:104], v[101:102], v[109:110]
	v_fma_f64 v[103:104], v[99:100], v[97:98], -v[103:104]
	v_mul_f64 v[99:100], v[99:100], v[109:110]
	v_fma_f64 v[99:100], v[101:102], v[97:98], v[99:100]
	s_waitcnt vmcnt(2)
	v_add_f64 v[105:106], v[105:106], -v[103:104]
	s_waitcnt vmcnt(0)
	v_add_f64 v[107:108], v[107:108], -v[99:100]
	buffer_store_dword v105, off, s[20:23], 0 offset:368 ; 4-byte Folded Spill
	s_nop 0
	buffer_store_dword v106, off, s[20:23], 0 offset:372 ; 4-byte Folded Spill
	buffer_store_dword v107, off, s[20:23], 0 offset:376 ; 4-byte Folded Spill
	buffer_store_dword v108, off, s[20:23], 0 offset:380 ; 4-byte Folded Spill
	ds_read2_b64 v[99:102], v125 offset0:18 offset1:19
	;; [unrolled: 19-line block ×24, first 2 shown]
	buffer_load_dword v105, off, s[20:23], 0 ; 4-byte Folded Reload
	buffer_load_dword v106, off, s[20:23], 0 offset:4 ; 4-byte Folded Reload
	buffer_load_dword v107, off, s[20:23], 0 offset:8 ; 4-byte Folded Reload
	;; [unrolled: 1-line block ×3, first 2 shown]
	s_waitcnt lgkmcnt(0)
	v_mul_f64 v[103:104], v[101:102], v[109:110]
	v_fma_f64 v[103:104], v[99:100], v[97:98], -v[103:104]
	v_mul_f64 v[99:100], v[99:100], v[109:110]
	v_fma_f64 v[99:100], v[101:102], v[97:98], v[99:100]
	s_waitcnt vmcnt(2)
	v_add_f64 v[105:106], v[105:106], -v[103:104]
	s_waitcnt vmcnt(0)
	v_add_f64 v[107:108], v[107:108], -v[99:100]
	buffer_store_dword v105, off, s[20:23], 0 ; 4-byte Folded Spill
	s_nop 0
	buffer_store_dword v106, off, s[20:23], 0 offset:4 ; 4-byte Folded Spill
	buffer_store_dword v107, off, s[20:23], 0 offset:8 ; 4-byte Folded Spill
	;; [unrolled: 1-line block ×3, first 2 shown]
	ds_read2_b64 v[99:102], v125 offset0:64 offset1:65
	v_mov_b32_e32 v108, v98
	v_mov_b32_e32 v107, v97
	s_waitcnt lgkmcnt(0)
	v_mul_f64 v[103:104], v[101:102], v[109:110]
	v_fma_f64 v[103:104], v[99:100], v[97:98], -v[103:104]
	v_mul_f64 v[99:100], v[99:100], v[109:110]
	v_add_f64 v[93:94], v[93:94], -v[103:104]
	v_fma_f64 v[99:100], v[101:102], v[97:98], v[99:100]
	v_add_f64 v[95:96], v[95:96], -v[99:100]
	ds_read2_b64 v[99:102], v125 offset0:66 offset1:67
	s_waitcnt lgkmcnt(0)
	v_mul_f64 v[103:104], v[101:102], v[109:110]
	v_fma_f64 v[103:104], v[99:100], v[97:98], -v[103:104]
	v_mul_f64 v[99:100], v[99:100], v[109:110]
	v_add_f64 v[81:82], v[81:82], -v[103:104]
	v_fma_f64 v[99:100], v[101:102], v[97:98], v[99:100]
	v_add_f64 v[83:84], v[83:84], -v[99:100]
	ds_read2_b64 v[99:102], v125 offset0:68 offset1:69
	;; [unrolled: 8-line block ×21, first 2 shown]
	s_waitcnt lgkmcnt(0)
	v_mul_f64 v[103:104], v[101:102], v[109:110]
	v_fma_f64 v[103:104], v[99:100], v[97:98], -v[103:104]
	v_mul_f64 v[99:100], v[99:100], v[109:110]
	v_add_f64 v[1:2], v[1:2], -v[103:104]
	v_fma_f64 v[99:100], v[101:102], v[97:98], v[99:100]
	ds_read2_b64 v[101:104], v125 offset0:108 offset1:109
	v_add_f64 v[3:4], v[3:4], -v[99:100]
	s_waitcnt lgkmcnt(0)
	v_mul_f64 v[99:100], v[103:104], v[109:110]
	v_fma_f64 v[99:100], v[101:102], v[97:98], -v[99:100]
	v_mul_f64 v[101:102], v[101:102], v[109:110]
	buffer_store_dword v107, off, s[20:23], 0 offset:400 ; 4-byte Folded Spill
	s_nop 0
	buffer_store_dword v108, off, s[20:23], 0 offset:404 ; 4-byte Folded Spill
	buffer_store_dword v109, off, s[20:23], 0 offset:408 ; 4-byte Folded Spill
	;; [unrolled: 1-line block ×3, first 2 shown]
	v_add_f64 v[121:122], v[121:122], -v[99:100]
	v_fma_f64 v[101:102], v[103:104], v[97:98], v[101:102]
	v_add_f64 v[123:124], v[123:124], -v[101:102]
.LBB109_64:
	s_or_b64 exec, exec, s[2:3]
	v_cmp_eq_u32_e32 vcc, 7, v0
	s_waitcnt vmcnt(0)
	s_barrier
	s_and_saveexec_b64 s[4:5], vcc
	s_cbranch_execz .LBB109_71
; %bb.65:
	buffer_load_dword v97, off, s[20:23], 0 offset:384 ; 4-byte Folded Reload
	buffer_load_dword v98, off, s[20:23], 0 offset:388 ; 4-byte Folded Reload
	;; [unrolled: 1-line block ×4, first 2 shown]
	s_waitcnt vmcnt(0)
	ds_write2_b64 v127, v[97:98], v[99:100] offset1:1
	buffer_load_dword v97, off, s[20:23], 0 offset:368 ; 4-byte Folded Reload
	buffer_load_dword v98, off, s[20:23], 0 offset:372 ; 4-byte Folded Reload
	buffer_load_dword v99, off, s[20:23], 0 offset:376 ; 4-byte Folded Reload
	buffer_load_dword v100, off, s[20:23], 0 offset:380 ; 4-byte Folded Reload
	s_waitcnt vmcnt(0)
	ds_write2_b64 v125, v[97:98], v[99:100] offset0:16 offset1:17
	buffer_load_dword v97, off, s[20:23], 0 offset:352 ; 4-byte Folded Reload
	buffer_load_dword v98, off, s[20:23], 0 offset:356 ; 4-byte Folded Reload
	buffer_load_dword v99, off, s[20:23], 0 offset:360 ; 4-byte Folded Reload
	buffer_load_dword v100, off, s[20:23], 0 offset:364 ; 4-byte Folded Reload
	s_waitcnt vmcnt(0)
	ds_write2_b64 v125, v[97:98], v[99:100] offset0:18 offset1:19
	;; [unrolled: 6-line block ×23, first 2 shown]
	buffer_load_dword v97, off, s[20:23], 0 ; 4-byte Folded Reload
	buffer_load_dword v98, off, s[20:23], 0 offset:4 ; 4-byte Folded Reload
	buffer_load_dword v99, off, s[20:23], 0 offset:8 ; 4-byte Folded Reload
	;; [unrolled: 1-line block ×3, first 2 shown]
	s_waitcnt vmcnt(0)
	ds_write2_b64 v125, v[97:98], v[99:100] offset0:62 offset1:63
	ds_write2_b64 v125, v[93:94], v[95:96] offset0:64 offset1:65
	;; [unrolled: 1-line block ×24, first 2 shown]
	ds_read2_b64 v[97:100], v127 offset1:1
	s_waitcnt lgkmcnt(0)
	v_cmp_neq_f64_e32 vcc, 0, v[97:98]
	v_cmp_neq_f64_e64 s[2:3], 0, v[99:100]
	s_or_b64 s[2:3], vcc, s[2:3]
	s_and_b64 exec, exec, s[2:3]
	s_cbranch_execz .LBB109_71
; %bb.66:
	v_cmp_ngt_f64_e64 s[2:3], |v[97:98]|, |v[99:100]|
                                        ; implicit-def: $vgpr101_vgpr102
	s_and_saveexec_b64 s[6:7], s[2:3]
	s_xor_b64 s[2:3], exec, s[6:7]
                                        ; implicit-def: $vgpr103_vgpr104
	s_cbranch_execz .LBB109_68
; %bb.67:
	v_div_scale_f64 v[101:102], s[6:7], v[99:100], v[99:100], v[97:98]
	v_rcp_f64_e32 v[103:104], v[101:102]
	v_fma_f64 v[105:106], -v[101:102], v[103:104], 1.0
	v_fma_f64 v[103:104], v[103:104], v[105:106], v[103:104]
	v_div_scale_f64 v[105:106], vcc, v[97:98], v[99:100], v[97:98]
	v_fma_f64 v[107:108], -v[101:102], v[103:104], 1.0
	v_fma_f64 v[103:104], v[103:104], v[107:108], v[103:104]
	v_mul_f64 v[107:108], v[105:106], v[103:104]
	v_fma_f64 v[101:102], -v[101:102], v[107:108], v[105:106]
	v_div_fmas_f64 v[101:102], v[101:102], v[103:104], v[107:108]
	v_div_fixup_f64 v[101:102], v[101:102], v[99:100], v[97:98]
	v_fma_f64 v[97:98], v[97:98], v[101:102], v[99:100]
	v_div_scale_f64 v[99:100], s[6:7], v[97:98], v[97:98], 1.0
	v_div_scale_f64 v[107:108], vcc, 1.0, v[97:98], 1.0
	v_rcp_f64_e32 v[103:104], v[99:100]
	v_fma_f64 v[105:106], -v[99:100], v[103:104], 1.0
	v_fma_f64 v[103:104], v[103:104], v[105:106], v[103:104]
	v_fma_f64 v[105:106], -v[99:100], v[103:104], 1.0
	v_fma_f64 v[103:104], v[103:104], v[105:106], v[103:104]
	v_mul_f64 v[105:106], v[107:108], v[103:104]
	v_fma_f64 v[99:100], -v[99:100], v[105:106], v[107:108]
	v_div_fmas_f64 v[99:100], v[99:100], v[103:104], v[105:106]
	v_div_fixup_f64 v[103:104], v[99:100], v[97:98], 1.0
                                        ; implicit-def: $vgpr97_vgpr98
	v_mul_f64 v[101:102], v[101:102], v[103:104]
	v_xor_b32_e32 v104, 0x80000000, v104
.LBB109_68:
	s_andn2_saveexec_b64 s[2:3], s[2:3]
	s_cbranch_execz .LBB109_70
; %bb.69:
	v_div_scale_f64 v[101:102], s[6:7], v[97:98], v[97:98], v[99:100]
	v_rcp_f64_e32 v[103:104], v[101:102]
	v_fma_f64 v[105:106], -v[101:102], v[103:104], 1.0
	v_fma_f64 v[103:104], v[103:104], v[105:106], v[103:104]
	v_div_scale_f64 v[105:106], vcc, v[99:100], v[97:98], v[99:100]
	v_fma_f64 v[107:108], -v[101:102], v[103:104], 1.0
	v_fma_f64 v[103:104], v[103:104], v[107:108], v[103:104]
	v_mul_f64 v[107:108], v[105:106], v[103:104]
	v_fma_f64 v[101:102], -v[101:102], v[107:108], v[105:106]
	v_div_fmas_f64 v[101:102], v[101:102], v[103:104], v[107:108]
	v_div_fixup_f64 v[103:104], v[101:102], v[97:98], v[99:100]
	v_fma_f64 v[97:98], v[99:100], v[103:104], v[97:98]
	v_div_scale_f64 v[99:100], s[6:7], v[97:98], v[97:98], 1.0
	v_div_scale_f64 v[107:108], vcc, 1.0, v[97:98], 1.0
	v_rcp_f64_e32 v[101:102], v[99:100]
	v_fma_f64 v[105:106], -v[99:100], v[101:102], 1.0
	v_fma_f64 v[101:102], v[101:102], v[105:106], v[101:102]
	v_fma_f64 v[105:106], -v[99:100], v[101:102], 1.0
	v_fma_f64 v[101:102], v[101:102], v[105:106], v[101:102]
	v_mul_f64 v[105:106], v[107:108], v[101:102]
	v_fma_f64 v[99:100], -v[99:100], v[105:106], v[107:108]
	v_div_fmas_f64 v[99:100], v[99:100], v[101:102], v[105:106]
	v_div_fixup_f64 v[101:102], v[99:100], v[97:98], 1.0
	v_mul_f64 v[103:104], v[103:104], -v[101:102]
.LBB109_70:
	s_or_b64 exec, exec, s[2:3]
	ds_write2_b64 v127, v[101:102], v[103:104] offset1:1
.LBB109_71:
	s_or_b64 exec, exec, s[4:5]
	s_waitcnt lgkmcnt(0)
	s_barrier
	ds_read2_b64 v[87:90], v127 offset1:1
	v_cmp_lt_u32_e32 vcc, 7, v0
	s_waitcnt lgkmcnt(0)
	buffer_store_dword v87, off, s[20:23], 0 offset:1056 ; 4-byte Folded Spill
	s_nop 0
	buffer_store_dword v88, off, s[20:23], 0 offset:1060 ; 4-byte Folded Spill
	buffer_store_dword v89, off, s[20:23], 0 offset:1064 ; 4-byte Folded Spill
	;; [unrolled: 1-line block ×3, first 2 shown]
	s_and_saveexec_b64 s[2:3], vcc
	s_cbranch_execz .LBB109_73
; %bb.72:
	buffer_load_dword v107, off, s[20:23], 0 offset:384 ; 4-byte Folded Reload
	buffer_load_dword v108, off, s[20:23], 0 offset:388 ; 4-byte Folded Reload
	buffer_load_dword v109, off, s[20:23], 0 offset:392 ; 4-byte Folded Reload
	buffer_load_dword v110, off, s[20:23], 0 offset:396 ; 4-byte Folded Reload
	buffer_load_dword v87, off, s[20:23], 0 offset:1056 ; 4-byte Folded Reload
	buffer_load_dword v88, off, s[20:23], 0 offset:1060 ; 4-byte Folded Reload
	buffer_load_dword v89, off, s[20:23], 0 offset:1064 ; 4-byte Folded Reload
	buffer_load_dword v90, off, s[20:23], 0 offset:1068 ; 4-byte Folded Reload
	s_waitcnt vmcnt(2)
	v_mul_f64 v[99:100], v[87:88], v[109:110]
	s_waitcnt vmcnt(0)
	v_mul_f64 v[97:98], v[89:90], v[109:110]
	v_fma_f64 v[109:110], v[89:90], v[107:108], v[99:100]
	ds_read2_b64 v[99:102], v125 offset0:16 offset1:17
	v_fma_f64 v[97:98], v[87:88], v[107:108], -v[97:98]
	buffer_load_dword v105, off, s[20:23], 0 offset:368 ; 4-byte Folded Reload
	buffer_load_dword v106, off, s[20:23], 0 offset:372 ; 4-byte Folded Reload
	buffer_load_dword v107, off, s[20:23], 0 offset:376 ; 4-byte Folded Reload
	buffer_load_dword v108, off, s[20:23], 0 offset:380 ; 4-byte Folded Reload
	s_waitcnt lgkmcnt(0)
	v_mul_f64 v[103:104], v[101:102], v[109:110]
	v_fma_f64 v[103:104], v[99:100], v[97:98], -v[103:104]
	v_mul_f64 v[99:100], v[99:100], v[109:110]
	v_fma_f64 v[99:100], v[101:102], v[97:98], v[99:100]
	s_waitcnt vmcnt(2)
	v_add_f64 v[105:106], v[105:106], -v[103:104]
	s_waitcnt vmcnt(0)
	v_add_f64 v[107:108], v[107:108], -v[99:100]
	buffer_store_dword v105, off, s[20:23], 0 offset:368 ; 4-byte Folded Spill
	s_nop 0
	buffer_store_dword v106, off, s[20:23], 0 offset:372 ; 4-byte Folded Spill
	buffer_store_dword v107, off, s[20:23], 0 offset:376 ; 4-byte Folded Spill
	buffer_store_dword v108, off, s[20:23], 0 offset:380 ; 4-byte Folded Spill
	ds_read2_b64 v[99:102], v125 offset0:18 offset1:19
	buffer_load_dword v105, off, s[20:23], 0 offset:352 ; 4-byte Folded Reload
	buffer_load_dword v106, off, s[20:23], 0 offset:356 ; 4-byte Folded Reload
	buffer_load_dword v107, off, s[20:23], 0 offset:360 ; 4-byte Folded Reload
	buffer_load_dword v108, off, s[20:23], 0 offset:364 ; 4-byte Folded Reload
	s_waitcnt lgkmcnt(0)
	v_mul_f64 v[103:104], v[101:102], v[109:110]
	v_fma_f64 v[103:104], v[99:100], v[97:98], -v[103:104]
	v_mul_f64 v[99:100], v[99:100], v[109:110]
	v_fma_f64 v[99:100], v[101:102], v[97:98], v[99:100]
	s_waitcnt vmcnt(2)
	v_add_f64 v[105:106], v[105:106], -v[103:104]
	s_waitcnt vmcnt(0)
	v_add_f64 v[107:108], v[107:108], -v[99:100]
	buffer_store_dword v105, off, s[20:23], 0 offset:352 ; 4-byte Folded Spill
	s_nop 0
	buffer_store_dword v106, off, s[20:23], 0 offset:356 ; 4-byte Folded Spill
	buffer_store_dword v107, off, s[20:23], 0 offset:360 ; 4-byte Folded Spill
	buffer_store_dword v108, off, s[20:23], 0 offset:364 ; 4-byte Folded Spill
	ds_read2_b64 v[99:102], v125 offset0:20 offset1:21
	;; [unrolled: 19-line block ×23, first 2 shown]
	buffer_load_dword v105, off, s[20:23], 0 ; 4-byte Folded Reload
	buffer_load_dword v106, off, s[20:23], 0 offset:4 ; 4-byte Folded Reload
	buffer_load_dword v107, off, s[20:23], 0 offset:8 ; 4-byte Folded Reload
	;; [unrolled: 1-line block ×3, first 2 shown]
	s_waitcnt lgkmcnt(0)
	v_mul_f64 v[103:104], v[101:102], v[109:110]
	v_fma_f64 v[103:104], v[99:100], v[97:98], -v[103:104]
	v_mul_f64 v[99:100], v[99:100], v[109:110]
	v_fma_f64 v[99:100], v[101:102], v[97:98], v[99:100]
	s_waitcnt vmcnt(2)
	v_add_f64 v[105:106], v[105:106], -v[103:104]
	s_waitcnt vmcnt(0)
	v_add_f64 v[107:108], v[107:108], -v[99:100]
	buffer_store_dword v105, off, s[20:23], 0 ; 4-byte Folded Spill
	s_nop 0
	buffer_store_dword v106, off, s[20:23], 0 offset:4 ; 4-byte Folded Spill
	buffer_store_dword v107, off, s[20:23], 0 offset:8 ; 4-byte Folded Spill
	;; [unrolled: 1-line block ×3, first 2 shown]
	ds_read2_b64 v[99:102], v125 offset0:64 offset1:65
	v_mov_b32_e32 v108, v98
	v_mov_b32_e32 v107, v97
	s_waitcnt lgkmcnt(0)
	v_mul_f64 v[103:104], v[101:102], v[109:110]
	v_fma_f64 v[103:104], v[99:100], v[97:98], -v[103:104]
	v_mul_f64 v[99:100], v[99:100], v[109:110]
	v_add_f64 v[93:94], v[93:94], -v[103:104]
	v_fma_f64 v[99:100], v[101:102], v[97:98], v[99:100]
	v_add_f64 v[95:96], v[95:96], -v[99:100]
	ds_read2_b64 v[99:102], v125 offset0:66 offset1:67
	s_waitcnt lgkmcnt(0)
	v_mul_f64 v[103:104], v[101:102], v[109:110]
	v_fma_f64 v[103:104], v[99:100], v[97:98], -v[103:104]
	v_mul_f64 v[99:100], v[99:100], v[109:110]
	v_add_f64 v[81:82], v[81:82], -v[103:104]
	v_fma_f64 v[99:100], v[101:102], v[97:98], v[99:100]
	v_add_f64 v[83:84], v[83:84], -v[99:100]
	ds_read2_b64 v[99:102], v125 offset0:68 offset1:69
	;; [unrolled: 8-line block ×21, first 2 shown]
	s_waitcnt lgkmcnt(0)
	v_mul_f64 v[103:104], v[101:102], v[109:110]
	v_fma_f64 v[103:104], v[99:100], v[97:98], -v[103:104]
	v_mul_f64 v[99:100], v[99:100], v[109:110]
	v_add_f64 v[1:2], v[1:2], -v[103:104]
	v_fma_f64 v[99:100], v[101:102], v[97:98], v[99:100]
	ds_read2_b64 v[101:104], v125 offset0:108 offset1:109
	v_add_f64 v[3:4], v[3:4], -v[99:100]
	s_waitcnt lgkmcnt(0)
	v_mul_f64 v[99:100], v[103:104], v[109:110]
	v_fma_f64 v[99:100], v[101:102], v[97:98], -v[99:100]
	v_mul_f64 v[101:102], v[101:102], v[109:110]
	buffer_store_dword v107, off, s[20:23], 0 offset:384 ; 4-byte Folded Spill
	s_nop 0
	buffer_store_dword v108, off, s[20:23], 0 offset:388 ; 4-byte Folded Spill
	buffer_store_dword v109, off, s[20:23], 0 offset:392 ; 4-byte Folded Spill
	;; [unrolled: 1-line block ×3, first 2 shown]
	v_add_f64 v[121:122], v[121:122], -v[99:100]
	v_fma_f64 v[101:102], v[103:104], v[97:98], v[101:102]
	v_add_f64 v[123:124], v[123:124], -v[101:102]
.LBB109_73:
	s_or_b64 exec, exec, s[2:3]
	v_cmp_eq_u32_e32 vcc, 8, v0
	s_waitcnt vmcnt(0)
	s_barrier
	s_and_saveexec_b64 s[4:5], vcc
	s_cbranch_execz .LBB109_80
; %bb.74:
	buffer_load_dword v97, off, s[20:23], 0 offset:368 ; 4-byte Folded Reload
	buffer_load_dword v98, off, s[20:23], 0 offset:372 ; 4-byte Folded Reload
	;; [unrolled: 1-line block ×4, first 2 shown]
	s_waitcnt vmcnt(0)
	ds_write2_b64 v127, v[97:98], v[99:100] offset1:1
	buffer_load_dword v97, off, s[20:23], 0 offset:352 ; 4-byte Folded Reload
	buffer_load_dword v98, off, s[20:23], 0 offset:356 ; 4-byte Folded Reload
	buffer_load_dword v99, off, s[20:23], 0 offset:360 ; 4-byte Folded Reload
	buffer_load_dword v100, off, s[20:23], 0 offset:364 ; 4-byte Folded Reload
	s_waitcnt vmcnt(0)
	ds_write2_b64 v125, v[97:98], v[99:100] offset0:18 offset1:19
	buffer_load_dword v97, off, s[20:23], 0 offset:336 ; 4-byte Folded Reload
	buffer_load_dword v98, off, s[20:23], 0 offset:340 ; 4-byte Folded Reload
	buffer_load_dword v99, off, s[20:23], 0 offset:344 ; 4-byte Folded Reload
	buffer_load_dword v100, off, s[20:23], 0 offset:348 ; 4-byte Folded Reload
	s_waitcnt vmcnt(0)
	ds_write2_b64 v125, v[97:98], v[99:100] offset0:20 offset1:21
	;; [unrolled: 6-line block ×22, first 2 shown]
	buffer_load_dword v97, off, s[20:23], 0 ; 4-byte Folded Reload
	buffer_load_dword v98, off, s[20:23], 0 offset:4 ; 4-byte Folded Reload
	buffer_load_dword v99, off, s[20:23], 0 offset:8 ; 4-byte Folded Reload
	;; [unrolled: 1-line block ×3, first 2 shown]
	s_waitcnt vmcnt(0)
	ds_write2_b64 v125, v[97:98], v[99:100] offset0:62 offset1:63
	ds_write2_b64 v125, v[93:94], v[95:96] offset0:64 offset1:65
	;; [unrolled: 1-line block ×24, first 2 shown]
	ds_read2_b64 v[97:100], v127 offset1:1
	s_waitcnt lgkmcnt(0)
	v_cmp_neq_f64_e32 vcc, 0, v[97:98]
	v_cmp_neq_f64_e64 s[2:3], 0, v[99:100]
	s_or_b64 s[2:3], vcc, s[2:3]
	s_and_b64 exec, exec, s[2:3]
	s_cbranch_execz .LBB109_80
; %bb.75:
	v_cmp_ngt_f64_e64 s[2:3], |v[97:98]|, |v[99:100]|
                                        ; implicit-def: $vgpr101_vgpr102
	s_and_saveexec_b64 s[6:7], s[2:3]
	s_xor_b64 s[2:3], exec, s[6:7]
                                        ; implicit-def: $vgpr103_vgpr104
	s_cbranch_execz .LBB109_77
; %bb.76:
	v_div_scale_f64 v[101:102], s[6:7], v[99:100], v[99:100], v[97:98]
	v_rcp_f64_e32 v[103:104], v[101:102]
	v_fma_f64 v[105:106], -v[101:102], v[103:104], 1.0
	v_fma_f64 v[103:104], v[103:104], v[105:106], v[103:104]
	v_div_scale_f64 v[105:106], vcc, v[97:98], v[99:100], v[97:98]
	v_fma_f64 v[107:108], -v[101:102], v[103:104], 1.0
	v_fma_f64 v[103:104], v[103:104], v[107:108], v[103:104]
	v_mul_f64 v[107:108], v[105:106], v[103:104]
	v_fma_f64 v[101:102], -v[101:102], v[107:108], v[105:106]
	v_div_fmas_f64 v[101:102], v[101:102], v[103:104], v[107:108]
	v_div_fixup_f64 v[101:102], v[101:102], v[99:100], v[97:98]
	v_fma_f64 v[97:98], v[97:98], v[101:102], v[99:100]
	v_div_scale_f64 v[99:100], s[6:7], v[97:98], v[97:98], 1.0
	v_div_scale_f64 v[107:108], vcc, 1.0, v[97:98], 1.0
	v_rcp_f64_e32 v[103:104], v[99:100]
	v_fma_f64 v[105:106], -v[99:100], v[103:104], 1.0
	v_fma_f64 v[103:104], v[103:104], v[105:106], v[103:104]
	v_fma_f64 v[105:106], -v[99:100], v[103:104], 1.0
	v_fma_f64 v[103:104], v[103:104], v[105:106], v[103:104]
	v_mul_f64 v[105:106], v[107:108], v[103:104]
	v_fma_f64 v[99:100], -v[99:100], v[105:106], v[107:108]
	v_div_fmas_f64 v[99:100], v[99:100], v[103:104], v[105:106]
	v_div_fixup_f64 v[103:104], v[99:100], v[97:98], 1.0
                                        ; implicit-def: $vgpr97_vgpr98
	v_mul_f64 v[101:102], v[101:102], v[103:104]
	v_xor_b32_e32 v104, 0x80000000, v104
.LBB109_77:
	s_andn2_saveexec_b64 s[2:3], s[2:3]
	s_cbranch_execz .LBB109_79
; %bb.78:
	v_div_scale_f64 v[101:102], s[6:7], v[97:98], v[97:98], v[99:100]
	v_rcp_f64_e32 v[103:104], v[101:102]
	v_fma_f64 v[105:106], -v[101:102], v[103:104], 1.0
	v_fma_f64 v[103:104], v[103:104], v[105:106], v[103:104]
	v_div_scale_f64 v[105:106], vcc, v[99:100], v[97:98], v[99:100]
	v_fma_f64 v[107:108], -v[101:102], v[103:104], 1.0
	v_fma_f64 v[103:104], v[103:104], v[107:108], v[103:104]
	v_mul_f64 v[107:108], v[105:106], v[103:104]
	v_fma_f64 v[101:102], -v[101:102], v[107:108], v[105:106]
	v_div_fmas_f64 v[101:102], v[101:102], v[103:104], v[107:108]
	v_div_fixup_f64 v[103:104], v[101:102], v[97:98], v[99:100]
	v_fma_f64 v[97:98], v[99:100], v[103:104], v[97:98]
	v_div_scale_f64 v[99:100], s[6:7], v[97:98], v[97:98], 1.0
	v_div_scale_f64 v[107:108], vcc, 1.0, v[97:98], 1.0
	v_rcp_f64_e32 v[101:102], v[99:100]
	v_fma_f64 v[105:106], -v[99:100], v[101:102], 1.0
	v_fma_f64 v[101:102], v[101:102], v[105:106], v[101:102]
	v_fma_f64 v[105:106], -v[99:100], v[101:102], 1.0
	v_fma_f64 v[101:102], v[101:102], v[105:106], v[101:102]
	v_mul_f64 v[105:106], v[107:108], v[101:102]
	v_fma_f64 v[99:100], -v[99:100], v[105:106], v[107:108]
	v_div_fmas_f64 v[99:100], v[99:100], v[101:102], v[105:106]
	v_div_fixup_f64 v[101:102], v[99:100], v[97:98], 1.0
	v_mul_f64 v[103:104], v[103:104], -v[101:102]
.LBB109_79:
	s_or_b64 exec, exec, s[2:3]
	ds_write2_b64 v127, v[101:102], v[103:104] offset1:1
.LBB109_80:
	s_or_b64 exec, exec, s[4:5]
	s_waitcnt lgkmcnt(0)
	s_barrier
	ds_read2_b64 v[87:90], v127 offset1:1
	v_cmp_lt_u32_e32 vcc, 8, v0
	s_waitcnt lgkmcnt(0)
	buffer_store_dword v87, off, s[20:23], 0 offset:1072 ; 4-byte Folded Spill
	s_nop 0
	buffer_store_dword v88, off, s[20:23], 0 offset:1076 ; 4-byte Folded Spill
	buffer_store_dword v89, off, s[20:23], 0 offset:1080 ; 4-byte Folded Spill
	;; [unrolled: 1-line block ×3, first 2 shown]
	s_and_saveexec_b64 s[2:3], vcc
	s_cbranch_execz .LBB109_82
; %bb.81:
	buffer_load_dword v107, off, s[20:23], 0 offset:368 ; 4-byte Folded Reload
	buffer_load_dword v108, off, s[20:23], 0 offset:372 ; 4-byte Folded Reload
	;; [unrolled: 1-line block ×8, first 2 shown]
	s_waitcnt vmcnt(2)
	v_mul_f64 v[99:100], v[87:88], v[109:110]
	s_waitcnt vmcnt(0)
	v_mul_f64 v[97:98], v[89:90], v[109:110]
	v_fma_f64 v[109:110], v[89:90], v[107:108], v[99:100]
	ds_read2_b64 v[99:102], v125 offset0:18 offset1:19
	v_fma_f64 v[97:98], v[87:88], v[107:108], -v[97:98]
	buffer_load_dword v105, off, s[20:23], 0 offset:352 ; 4-byte Folded Reload
	buffer_load_dword v106, off, s[20:23], 0 offset:356 ; 4-byte Folded Reload
	buffer_load_dword v107, off, s[20:23], 0 offset:360 ; 4-byte Folded Reload
	buffer_load_dword v108, off, s[20:23], 0 offset:364 ; 4-byte Folded Reload
	s_waitcnt lgkmcnt(0)
	v_mul_f64 v[103:104], v[101:102], v[109:110]
	v_fma_f64 v[103:104], v[99:100], v[97:98], -v[103:104]
	v_mul_f64 v[99:100], v[99:100], v[109:110]
	v_fma_f64 v[99:100], v[101:102], v[97:98], v[99:100]
	s_waitcnt vmcnt(2)
	v_add_f64 v[105:106], v[105:106], -v[103:104]
	s_waitcnt vmcnt(0)
	v_add_f64 v[107:108], v[107:108], -v[99:100]
	buffer_store_dword v105, off, s[20:23], 0 offset:352 ; 4-byte Folded Spill
	s_nop 0
	buffer_store_dword v106, off, s[20:23], 0 offset:356 ; 4-byte Folded Spill
	buffer_store_dword v107, off, s[20:23], 0 offset:360 ; 4-byte Folded Spill
	buffer_store_dword v108, off, s[20:23], 0 offset:364 ; 4-byte Folded Spill
	ds_read2_b64 v[99:102], v125 offset0:20 offset1:21
	buffer_load_dword v105, off, s[20:23], 0 offset:336 ; 4-byte Folded Reload
	buffer_load_dword v106, off, s[20:23], 0 offset:340 ; 4-byte Folded Reload
	buffer_load_dword v107, off, s[20:23], 0 offset:344 ; 4-byte Folded Reload
	buffer_load_dword v108, off, s[20:23], 0 offset:348 ; 4-byte Folded Reload
	s_waitcnt lgkmcnt(0)
	v_mul_f64 v[103:104], v[101:102], v[109:110]
	v_fma_f64 v[103:104], v[99:100], v[97:98], -v[103:104]
	v_mul_f64 v[99:100], v[99:100], v[109:110]
	v_fma_f64 v[99:100], v[101:102], v[97:98], v[99:100]
	s_waitcnt vmcnt(2)
	v_add_f64 v[105:106], v[105:106], -v[103:104]
	s_waitcnt vmcnt(0)
	v_add_f64 v[107:108], v[107:108], -v[99:100]
	buffer_store_dword v105, off, s[20:23], 0 offset:336 ; 4-byte Folded Spill
	s_nop 0
	buffer_store_dword v106, off, s[20:23], 0 offset:340 ; 4-byte Folded Spill
	buffer_store_dword v107, off, s[20:23], 0 offset:344 ; 4-byte Folded Spill
	buffer_store_dword v108, off, s[20:23], 0 offset:348 ; 4-byte Folded Spill
	ds_read2_b64 v[99:102], v125 offset0:22 offset1:23
	;; [unrolled: 19-line block ×22, first 2 shown]
	buffer_load_dword v105, off, s[20:23], 0 ; 4-byte Folded Reload
	buffer_load_dword v106, off, s[20:23], 0 offset:4 ; 4-byte Folded Reload
	buffer_load_dword v107, off, s[20:23], 0 offset:8 ; 4-byte Folded Reload
	;; [unrolled: 1-line block ×3, first 2 shown]
	s_waitcnt lgkmcnt(0)
	v_mul_f64 v[103:104], v[101:102], v[109:110]
	v_fma_f64 v[103:104], v[99:100], v[97:98], -v[103:104]
	v_mul_f64 v[99:100], v[99:100], v[109:110]
	v_fma_f64 v[99:100], v[101:102], v[97:98], v[99:100]
	s_waitcnt vmcnt(2)
	v_add_f64 v[105:106], v[105:106], -v[103:104]
	s_waitcnt vmcnt(0)
	v_add_f64 v[107:108], v[107:108], -v[99:100]
	buffer_store_dword v105, off, s[20:23], 0 ; 4-byte Folded Spill
	s_nop 0
	buffer_store_dword v106, off, s[20:23], 0 offset:4 ; 4-byte Folded Spill
	buffer_store_dword v107, off, s[20:23], 0 offset:8 ; 4-byte Folded Spill
	;; [unrolled: 1-line block ×3, first 2 shown]
	ds_read2_b64 v[99:102], v125 offset0:64 offset1:65
	v_mov_b32_e32 v108, v98
	v_mov_b32_e32 v107, v97
	s_waitcnt lgkmcnt(0)
	v_mul_f64 v[103:104], v[101:102], v[109:110]
	v_fma_f64 v[103:104], v[99:100], v[97:98], -v[103:104]
	v_mul_f64 v[99:100], v[99:100], v[109:110]
	v_add_f64 v[93:94], v[93:94], -v[103:104]
	v_fma_f64 v[99:100], v[101:102], v[97:98], v[99:100]
	v_add_f64 v[95:96], v[95:96], -v[99:100]
	ds_read2_b64 v[99:102], v125 offset0:66 offset1:67
	s_waitcnt lgkmcnt(0)
	v_mul_f64 v[103:104], v[101:102], v[109:110]
	v_fma_f64 v[103:104], v[99:100], v[97:98], -v[103:104]
	v_mul_f64 v[99:100], v[99:100], v[109:110]
	v_add_f64 v[81:82], v[81:82], -v[103:104]
	v_fma_f64 v[99:100], v[101:102], v[97:98], v[99:100]
	v_add_f64 v[83:84], v[83:84], -v[99:100]
	ds_read2_b64 v[99:102], v125 offset0:68 offset1:69
	;; [unrolled: 8-line block ×21, first 2 shown]
	s_waitcnt lgkmcnt(0)
	v_mul_f64 v[103:104], v[101:102], v[109:110]
	v_fma_f64 v[103:104], v[99:100], v[97:98], -v[103:104]
	v_mul_f64 v[99:100], v[99:100], v[109:110]
	v_add_f64 v[1:2], v[1:2], -v[103:104]
	v_fma_f64 v[99:100], v[101:102], v[97:98], v[99:100]
	ds_read2_b64 v[101:104], v125 offset0:108 offset1:109
	v_add_f64 v[3:4], v[3:4], -v[99:100]
	s_waitcnt lgkmcnt(0)
	v_mul_f64 v[99:100], v[103:104], v[109:110]
	v_fma_f64 v[99:100], v[101:102], v[97:98], -v[99:100]
	v_mul_f64 v[101:102], v[101:102], v[109:110]
	buffer_store_dword v107, off, s[20:23], 0 offset:368 ; 4-byte Folded Spill
	s_nop 0
	buffer_store_dword v108, off, s[20:23], 0 offset:372 ; 4-byte Folded Spill
	buffer_store_dword v109, off, s[20:23], 0 offset:376 ; 4-byte Folded Spill
	;; [unrolled: 1-line block ×3, first 2 shown]
	v_add_f64 v[121:122], v[121:122], -v[99:100]
	v_fma_f64 v[101:102], v[103:104], v[97:98], v[101:102]
	v_add_f64 v[123:124], v[123:124], -v[101:102]
.LBB109_82:
	s_or_b64 exec, exec, s[2:3]
	v_cmp_eq_u32_e32 vcc, 9, v0
	s_waitcnt vmcnt(0)
	s_barrier
	s_and_saveexec_b64 s[4:5], vcc
	s_cbranch_execz .LBB109_89
; %bb.83:
	buffer_load_dword v97, off, s[20:23], 0 offset:352 ; 4-byte Folded Reload
	buffer_load_dword v98, off, s[20:23], 0 offset:356 ; 4-byte Folded Reload
	;; [unrolled: 1-line block ×4, first 2 shown]
	s_waitcnt vmcnt(0)
	ds_write2_b64 v127, v[97:98], v[99:100] offset1:1
	buffer_load_dword v97, off, s[20:23], 0 offset:336 ; 4-byte Folded Reload
	buffer_load_dword v98, off, s[20:23], 0 offset:340 ; 4-byte Folded Reload
	buffer_load_dword v99, off, s[20:23], 0 offset:344 ; 4-byte Folded Reload
	buffer_load_dword v100, off, s[20:23], 0 offset:348 ; 4-byte Folded Reload
	s_waitcnt vmcnt(0)
	ds_write2_b64 v125, v[97:98], v[99:100] offset0:20 offset1:21
	buffer_load_dword v97, off, s[20:23], 0 offset:320 ; 4-byte Folded Reload
	buffer_load_dword v98, off, s[20:23], 0 offset:324 ; 4-byte Folded Reload
	buffer_load_dword v99, off, s[20:23], 0 offset:328 ; 4-byte Folded Reload
	buffer_load_dword v100, off, s[20:23], 0 offset:332 ; 4-byte Folded Reload
	s_waitcnt vmcnt(0)
	ds_write2_b64 v125, v[97:98], v[99:100] offset0:22 offset1:23
	;; [unrolled: 6-line block ×21, first 2 shown]
	buffer_load_dword v97, off, s[20:23], 0 ; 4-byte Folded Reload
	buffer_load_dword v98, off, s[20:23], 0 offset:4 ; 4-byte Folded Reload
	buffer_load_dword v99, off, s[20:23], 0 offset:8 ; 4-byte Folded Reload
	;; [unrolled: 1-line block ×3, first 2 shown]
	s_waitcnt vmcnt(0)
	ds_write2_b64 v125, v[97:98], v[99:100] offset0:62 offset1:63
	ds_write2_b64 v125, v[93:94], v[95:96] offset0:64 offset1:65
	;; [unrolled: 1-line block ×24, first 2 shown]
	ds_read2_b64 v[97:100], v127 offset1:1
	s_waitcnt lgkmcnt(0)
	v_cmp_neq_f64_e32 vcc, 0, v[97:98]
	v_cmp_neq_f64_e64 s[2:3], 0, v[99:100]
	s_or_b64 s[2:3], vcc, s[2:3]
	s_and_b64 exec, exec, s[2:3]
	s_cbranch_execz .LBB109_89
; %bb.84:
	v_cmp_ngt_f64_e64 s[2:3], |v[97:98]|, |v[99:100]|
                                        ; implicit-def: $vgpr101_vgpr102
	s_and_saveexec_b64 s[6:7], s[2:3]
	s_xor_b64 s[2:3], exec, s[6:7]
                                        ; implicit-def: $vgpr103_vgpr104
	s_cbranch_execz .LBB109_86
; %bb.85:
	v_div_scale_f64 v[101:102], s[6:7], v[99:100], v[99:100], v[97:98]
	v_rcp_f64_e32 v[103:104], v[101:102]
	v_fma_f64 v[105:106], -v[101:102], v[103:104], 1.0
	v_fma_f64 v[103:104], v[103:104], v[105:106], v[103:104]
	v_div_scale_f64 v[105:106], vcc, v[97:98], v[99:100], v[97:98]
	v_fma_f64 v[107:108], -v[101:102], v[103:104], 1.0
	v_fma_f64 v[103:104], v[103:104], v[107:108], v[103:104]
	v_mul_f64 v[107:108], v[105:106], v[103:104]
	v_fma_f64 v[101:102], -v[101:102], v[107:108], v[105:106]
	v_div_fmas_f64 v[101:102], v[101:102], v[103:104], v[107:108]
	v_div_fixup_f64 v[101:102], v[101:102], v[99:100], v[97:98]
	v_fma_f64 v[97:98], v[97:98], v[101:102], v[99:100]
	v_div_scale_f64 v[99:100], s[6:7], v[97:98], v[97:98], 1.0
	v_div_scale_f64 v[107:108], vcc, 1.0, v[97:98], 1.0
	v_rcp_f64_e32 v[103:104], v[99:100]
	v_fma_f64 v[105:106], -v[99:100], v[103:104], 1.0
	v_fma_f64 v[103:104], v[103:104], v[105:106], v[103:104]
	v_fma_f64 v[105:106], -v[99:100], v[103:104], 1.0
	v_fma_f64 v[103:104], v[103:104], v[105:106], v[103:104]
	v_mul_f64 v[105:106], v[107:108], v[103:104]
	v_fma_f64 v[99:100], -v[99:100], v[105:106], v[107:108]
	v_div_fmas_f64 v[99:100], v[99:100], v[103:104], v[105:106]
	v_div_fixup_f64 v[103:104], v[99:100], v[97:98], 1.0
                                        ; implicit-def: $vgpr97_vgpr98
	v_mul_f64 v[101:102], v[101:102], v[103:104]
	v_xor_b32_e32 v104, 0x80000000, v104
.LBB109_86:
	s_andn2_saveexec_b64 s[2:3], s[2:3]
	s_cbranch_execz .LBB109_88
; %bb.87:
	v_div_scale_f64 v[101:102], s[6:7], v[97:98], v[97:98], v[99:100]
	v_rcp_f64_e32 v[103:104], v[101:102]
	v_fma_f64 v[105:106], -v[101:102], v[103:104], 1.0
	v_fma_f64 v[103:104], v[103:104], v[105:106], v[103:104]
	v_div_scale_f64 v[105:106], vcc, v[99:100], v[97:98], v[99:100]
	v_fma_f64 v[107:108], -v[101:102], v[103:104], 1.0
	v_fma_f64 v[103:104], v[103:104], v[107:108], v[103:104]
	v_mul_f64 v[107:108], v[105:106], v[103:104]
	v_fma_f64 v[101:102], -v[101:102], v[107:108], v[105:106]
	v_div_fmas_f64 v[101:102], v[101:102], v[103:104], v[107:108]
	v_div_fixup_f64 v[103:104], v[101:102], v[97:98], v[99:100]
	v_fma_f64 v[97:98], v[99:100], v[103:104], v[97:98]
	v_div_scale_f64 v[99:100], s[6:7], v[97:98], v[97:98], 1.0
	v_div_scale_f64 v[107:108], vcc, 1.0, v[97:98], 1.0
	v_rcp_f64_e32 v[101:102], v[99:100]
	v_fma_f64 v[105:106], -v[99:100], v[101:102], 1.0
	v_fma_f64 v[101:102], v[101:102], v[105:106], v[101:102]
	v_fma_f64 v[105:106], -v[99:100], v[101:102], 1.0
	v_fma_f64 v[101:102], v[101:102], v[105:106], v[101:102]
	v_mul_f64 v[105:106], v[107:108], v[101:102]
	v_fma_f64 v[99:100], -v[99:100], v[105:106], v[107:108]
	v_div_fmas_f64 v[99:100], v[99:100], v[101:102], v[105:106]
	v_div_fixup_f64 v[101:102], v[99:100], v[97:98], 1.0
	v_mul_f64 v[103:104], v[103:104], -v[101:102]
.LBB109_88:
	s_or_b64 exec, exec, s[2:3]
	ds_write2_b64 v127, v[101:102], v[103:104] offset1:1
.LBB109_89:
	s_or_b64 exec, exec, s[4:5]
	s_waitcnt lgkmcnt(0)
	s_barrier
	ds_read2_b64 v[87:90], v127 offset1:1
	v_cmp_lt_u32_e32 vcc, 9, v0
	s_waitcnt lgkmcnt(0)
	buffer_store_dword v87, off, s[20:23], 0 offset:1088 ; 4-byte Folded Spill
	s_nop 0
	buffer_store_dword v88, off, s[20:23], 0 offset:1092 ; 4-byte Folded Spill
	buffer_store_dword v89, off, s[20:23], 0 offset:1096 ; 4-byte Folded Spill
	;; [unrolled: 1-line block ×3, first 2 shown]
	s_and_saveexec_b64 s[2:3], vcc
	s_cbranch_execz .LBB109_91
; %bb.90:
	buffer_load_dword v107, off, s[20:23], 0 offset:352 ; 4-byte Folded Reload
	buffer_load_dword v108, off, s[20:23], 0 offset:356 ; 4-byte Folded Reload
	;; [unrolled: 1-line block ×8, first 2 shown]
	s_waitcnt vmcnt(2)
	v_mul_f64 v[99:100], v[87:88], v[109:110]
	s_waitcnt vmcnt(0)
	v_mul_f64 v[97:98], v[89:90], v[109:110]
	v_fma_f64 v[109:110], v[89:90], v[107:108], v[99:100]
	ds_read2_b64 v[99:102], v125 offset0:20 offset1:21
	v_fma_f64 v[97:98], v[87:88], v[107:108], -v[97:98]
	buffer_load_dword v105, off, s[20:23], 0 offset:336 ; 4-byte Folded Reload
	buffer_load_dword v106, off, s[20:23], 0 offset:340 ; 4-byte Folded Reload
	buffer_load_dword v107, off, s[20:23], 0 offset:344 ; 4-byte Folded Reload
	buffer_load_dword v108, off, s[20:23], 0 offset:348 ; 4-byte Folded Reload
	s_waitcnt lgkmcnt(0)
	v_mul_f64 v[103:104], v[101:102], v[109:110]
	v_fma_f64 v[103:104], v[99:100], v[97:98], -v[103:104]
	v_mul_f64 v[99:100], v[99:100], v[109:110]
	v_fma_f64 v[99:100], v[101:102], v[97:98], v[99:100]
	s_waitcnt vmcnt(2)
	v_add_f64 v[105:106], v[105:106], -v[103:104]
	s_waitcnt vmcnt(0)
	v_add_f64 v[107:108], v[107:108], -v[99:100]
	buffer_store_dword v105, off, s[20:23], 0 offset:336 ; 4-byte Folded Spill
	s_nop 0
	buffer_store_dword v106, off, s[20:23], 0 offset:340 ; 4-byte Folded Spill
	buffer_store_dword v107, off, s[20:23], 0 offset:344 ; 4-byte Folded Spill
	buffer_store_dword v108, off, s[20:23], 0 offset:348 ; 4-byte Folded Spill
	ds_read2_b64 v[99:102], v125 offset0:22 offset1:23
	buffer_load_dword v105, off, s[20:23], 0 offset:320 ; 4-byte Folded Reload
	buffer_load_dword v106, off, s[20:23], 0 offset:324 ; 4-byte Folded Reload
	buffer_load_dword v107, off, s[20:23], 0 offset:328 ; 4-byte Folded Reload
	buffer_load_dword v108, off, s[20:23], 0 offset:332 ; 4-byte Folded Reload
	s_waitcnt lgkmcnt(0)
	v_mul_f64 v[103:104], v[101:102], v[109:110]
	v_fma_f64 v[103:104], v[99:100], v[97:98], -v[103:104]
	v_mul_f64 v[99:100], v[99:100], v[109:110]
	v_fma_f64 v[99:100], v[101:102], v[97:98], v[99:100]
	s_waitcnt vmcnt(2)
	v_add_f64 v[105:106], v[105:106], -v[103:104]
	s_waitcnt vmcnt(0)
	v_add_f64 v[107:108], v[107:108], -v[99:100]
	buffer_store_dword v105, off, s[20:23], 0 offset:320 ; 4-byte Folded Spill
	s_nop 0
	buffer_store_dword v106, off, s[20:23], 0 offset:324 ; 4-byte Folded Spill
	buffer_store_dword v107, off, s[20:23], 0 offset:328 ; 4-byte Folded Spill
	buffer_store_dword v108, off, s[20:23], 0 offset:332 ; 4-byte Folded Spill
	ds_read2_b64 v[99:102], v125 offset0:24 offset1:25
	;; [unrolled: 19-line block ×21, first 2 shown]
	buffer_load_dword v105, off, s[20:23], 0 ; 4-byte Folded Reload
	buffer_load_dword v106, off, s[20:23], 0 offset:4 ; 4-byte Folded Reload
	buffer_load_dword v107, off, s[20:23], 0 offset:8 ; 4-byte Folded Reload
	;; [unrolled: 1-line block ×3, first 2 shown]
	s_waitcnt lgkmcnt(0)
	v_mul_f64 v[103:104], v[101:102], v[109:110]
	v_fma_f64 v[103:104], v[99:100], v[97:98], -v[103:104]
	v_mul_f64 v[99:100], v[99:100], v[109:110]
	v_fma_f64 v[99:100], v[101:102], v[97:98], v[99:100]
	s_waitcnt vmcnt(2)
	v_add_f64 v[105:106], v[105:106], -v[103:104]
	s_waitcnt vmcnt(0)
	v_add_f64 v[107:108], v[107:108], -v[99:100]
	buffer_store_dword v105, off, s[20:23], 0 ; 4-byte Folded Spill
	s_nop 0
	buffer_store_dword v106, off, s[20:23], 0 offset:4 ; 4-byte Folded Spill
	buffer_store_dword v107, off, s[20:23], 0 offset:8 ; 4-byte Folded Spill
	;; [unrolled: 1-line block ×3, first 2 shown]
	ds_read2_b64 v[99:102], v125 offset0:64 offset1:65
	v_mov_b32_e32 v108, v98
	v_mov_b32_e32 v107, v97
	s_waitcnt lgkmcnt(0)
	v_mul_f64 v[103:104], v[101:102], v[109:110]
	v_fma_f64 v[103:104], v[99:100], v[97:98], -v[103:104]
	v_mul_f64 v[99:100], v[99:100], v[109:110]
	v_add_f64 v[93:94], v[93:94], -v[103:104]
	v_fma_f64 v[99:100], v[101:102], v[97:98], v[99:100]
	v_add_f64 v[95:96], v[95:96], -v[99:100]
	ds_read2_b64 v[99:102], v125 offset0:66 offset1:67
	s_waitcnt lgkmcnt(0)
	v_mul_f64 v[103:104], v[101:102], v[109:110]
	v_fma_f64 v[103:104], v[99:100], v[97:98], -v[103:104]
	v_mul_f64 v[99:100], v[99:100], v[109:110]
	v_add_f64 v[81:82], v[81:82], -v[103:104]
	v_fma_f64 v[99:100], v[101:102], v[97:98], v[99:100]
	v_add_f64 v[83:84], v[83:84], -v[99:100]
	ds_read2_b64 v[99:102], v125 offset0:68 offset1:69
	;; [unrolled: 8-line block ×21, first 2 shown]
	s_waitcnt lgkmcnt(0)
	v_mul_f64 v[103:104], v[101:102], v[109:110]
	v_fma_f64 v[103:104], v[99:100], v[97:98], -v[103:104]
	v_mul_f64 v[99:100], v[99:100], v[109:110]
	v_add_f64 v[1:2], v[1:2], -v[103:104]
	v_fma_f64 v[99:100], v[101:102], v[97:98], v[99:100]
	ds_read2_b64 v[101:104], v125 offset0:108 offset1:109
	v_add_f64 v[3:4], v[3:4], -v[99:100]
	s_waitcnt lgkmcnt(0)
	v_mul_f64 v[99:100], v[103:104], v[109:110]
	v_fma_f64 v[99:100], v[101:102], v[97:98], -v[99:100]
	v_mul_f64 v[101:102], v[101:102], v[109:110]
	buffer_store_dword v107, off, s[20:23], 0 offset:352 ; 4-byte Folded Spill
	s_nop 0
	buffer_store_dword v108, off, s[20:23], 0 offset:356 ; 4-byte Folded Spill
	buffer_store_dword v109, off, s[20:23], 0 offset:360 ; 4-byte Folded Spill
	;; [unrolled: 1-line block ×3, first 2 shown]
	v_add_f64 v[121:122], v[121:122], -v[99:100]
	v_fma_f64 v[101:102], v[103:104], v[97:98], v[101:102]
	v_add_f64 v[123:124], v[123:124], -v[101:102]
.LBB109_91:
	s_or_b64 exec, exec, s[2:3]
	v_cmp_eq_u32_e32 vcc, 10, v0
	s_waitcnt vmcnt(0)
	s_barrier
	s_and_saveexec_b64 s[4:5], vcc
	s_cbranch_execz .LBB109_98
; %bb.92:
	buffer_load_dword v97, off, s[20:23], 0 offset:336 ; 4-byte Folded Reload
	buffer_load_dword v98, off, s[20:23], 0 offset:340 ; 4-byte Folded Reload
	;; [unrolled: 1-line block ×4, first 2 shown]
	s_waitcnt vmcnt(0)
	ds_write2_b64 v127, v[97:98], v[99:100] offset1:1
	buffer_load_dword v97, off, s[20:23], 0 offset:320 ; 4-byte Folded Reload
	buffer_load_dword v98, off, s[20:23], 0 offset:324 ; 4-byte Folded Reload
	buffer_load_dword v99, off, s[20:23], 0 offset:328 ; 4-byte Folded Reload
	buffer_load_dword v100, off, s[20:23], 0 offset:332 ; 4-byte Folded Reload
	s_waitcnt vmcnt(0)
	ds_write2_b64 v125, v[97:98], v[99:100] offset0:22 offset1:23
	buffer_load_dword v97, off, s[20:23], 0 offset:304 ; 4-byte Folded Reload
	buffer_load_dword v98, off, s[20:23], 0 offset:308 ; 4-byte Folded Reload
	buffer_load_dword v99, off, s[20:23], 0 offset:312 ; 4-byte Folded Reload
	buffer_load_dword v100, off, s[20:23], 0 offset:316 ; 4-byte Folded Reload
	s_waitcnt vmcnt(0)
	ds_write2_b64 v125, v[97:98], v[99:100] offset0:24 offset1:25
	;; [unrolled: 6-line block ×20, first 2 shown]
	buffer_load_dword v97, off, s[20:23], 0 ; 4-byte Folded Reload
	buffer_load_dword v98, off, s[20:23], 0 offset:4 ; 4-byte Folded Reload
	buffer_load_dword v99, off, s[20:23], 0 offset:8 ; 4-byte Folded Reload
	;; [unrolled: 1-line block ×3, first 2 shown]
	s_waitcnt vmcnt(0)
	ds_write2_b64 v125, v[97:98], v[99:100] offset0:62 offset1:63
	ds_write2_b64 v125, v[93:94], v[95:96] offset0:64 offset1:65
	;; [unrolled: 1-line block ×24, first 2 shown]
	ds_read2_b64 v[97:100], v127 offset1:1
	s_waitcnt lgkmcnt(0)
	v_cmp_neq_f64_e32 vcc, 0, v[97:98]
	v_cmp_neq_f64_e64 s[2:3], 0, v[99:100]
	s_or_b64 s[2:3], vcc, s[2:3]
	s_and_b64 exec, exec, s[2:3]
	s_cbranch_execz .LBB109_98
; %bb.93:
	v_cmp_ngt_f64_e64 s[2:3], |v[97:98]|, |v[99:100]|
                                        ; implicit-def: $vgpr101_vgpr102
	s_and_saveexec_b64 s[6:7], s[2:3]
	s_xor_b64 s[2:3], exec, s[6:7]
                                        ; implicit-def: $vgpr103_vgpr104
	s_cbranch_execz .LBB109_95
; %bb.94:
	v_div_scale_f64 v[101:102], s[6:7], v[99:100], v[99:100], v[97:98]
	v_rcp_f64_e32 v[103:104], v[101:102]
	v_fma_f64 v[105:106], -v[101:102], v[103:104], 1.0
	v_fma_f64 v[103:104], v[103:104], v[105:106], v[103:104]
	v_div_scale_f64 v[105:106], vcc, v[97:98], v[99:100], v[97:98]
	v_fma_f64 v[107:108], -v[101:102], v[103:104], 1.0
	v_fma_f64 v[103:104], v[103:104], v[107:108], v[103:104]
	v_mul_f64 v[107:108], v[105:106], v[103:104]
	v_fma_f64 v[101:102], -v[101:102], v[107:108], v[105:106]
	v_div_fmas_f64 v[101:102], v[101:102], v[103:104], v[107:108]
	v_div_fixup_f64 v[101:102], v[101:102], v[99:100], v[97:98]
	v_fma_f64 v[97:98], v[97:98], v[101:102], v[99:100]
	v_div_scale_f64 v[99:100], s[6:7], v[97:98], v[97:98], 1.0
	v_div_scale_f64 v[107:108], vcc, 1.0, v[97:98], 1.0
	v_rcp_f64_e32 v[103:104], v[99:100]
	v_fma_f64 v[105:106], -v[99:100], v[103:104], 1.0
	v_fma_f64 v[103:104], v[103:104], v[105:106], v[103:104]
	v_fma_f64 v[105:106], -v[99:100], v[103:104], 1.0
	v_fma_f64 v[103:104], v[103:104], v[105:106], v[103:104]
	v_mul_f64 v[105:106], v[107:108], v[103:104]
	v_fma_f64 v[99:100], -v[99:100], v[105:106], v[107:108]
	v_div_fmas_f64 v[99:100], v[99:100], v[103:104], v[105:106]
	v_div_fixup_f64 v[103:104], v[99:100], v[97:98], 1.0
                                        ; implicit-def: $vgpr97_vgpr98
	v_mul_f64 v[101:102], v[101:102], v[103:104]
	v_xor_b32_e32 v104, 0x80000000, v104
.LBB109_95:
	s_andn2_saveexec_b64 s[2:3], s[2:3]
	s_cbranch_execz .LBB109_97
; %bb.96:
	v_div_scale_f64 v[101:102], s[6:7], v[97:98], v[97:98], v[99:100]
	v_rcp_f64_e32 v[103:104], v[101:102]
	v_fma_f64 v[105:106], -v[101:102], v[103:104], 1.0
	v_fma_f64 v[103:104], v[103:104], v[105:106], v[103:104]
	v_div_scale_f64 v[105:106], vcc, v[99:100], v[97:98], v[99:100]
	v_fma_f64 v[107:108], -v[101:102], v[103:104], 1.0
	v_fma_f64 v[103:104], v[103:104], v[107:108], v[103:104]
	v_mul_f64 v[107:108], v[105:106], v[103:104]
	v_fma_f64 v[101:102], -v[101:102], v[107:108], v[105:106]
	v_div_fmas_f64 v[101:102], v[101:102], v[103:104], v[107:108]
	v_div_fixup_f64 v[103:104], v[101:102], v[97:98], v[99:100]
	v_fma_f64 v[97:98], v[99:100], v[103:104], v[97:98]
	v_div_scale_f64 v[99:100], s[6:7], v[97:98], v[97:98], 1.0
	v_div_scale_f64 v[107:108], vcc, 1.0, v[97:98], 1.0
	v_rcp_f64_e32 v[101:102], v[99:100]
	v_fma_f64 v[105:106], -v[99:100], v[101:102], 1.0
	v_fma_f64 v[101:102], v[101:102], v[105:106], v[101:102]
	v_fma_f64 v[105:106], -v[99:100], v[101:102], 1.0
	v_fma_f64 v[101:102], v[101:102], v[105:106], v[101:102]
	v_mul_f64 v[105:106], v[107:108], v[101:102]
	v_fma_f64 v[99:100], -v[99:100], v[105:106], v[107:108]
	v_div_fmas_f64 v[99:100], v[99:100], v[101:102], v[105:106]
	v_div_fixup_f64 v[101:102], v[99:100], v[97:98], 1.0
	v_mul_f64 v[103:104], v[103:104], -v[101:102]
.LBB109_97:
	s_or_b64 exec, exec, s[2:3]
	ds_write2_b64 v127, v[101:102], v[103:104] offset1:1
.LBB109_98:
	s_or_b64 exec, exec, s[4:5]
	s_waitcnt lgkmcnt(0)
	s_barrier
	ds_read2_b64 v[87:90], v127 offset1:1
	v_cmp_lt_u32_e32 vcc, 10, v0
	s_waitcnt lgkmcnt(0)
	buffer_store_dword v87, off, s[20:23], 0 offset:1104 ; 4-byte Folded Spill
	s_nop 0
	buffer_store_dword v88, off, s[20:23], 0 offset:1108 ; 4-byte Folded Spill
	buffer_store_dword v89, off, s[20:23], 0 offset:1112 ; 4-byte Folded Spill
	;; [unrolled: 1-line block ×3, first 2 shown]
	s_and_saveexec_b64 s[2:3], vcc
	s_cbranch_execz .LBB109_100
; %bb.99:
	buffer_load_dword v107, off, s[20:23], 0 offset:336 ; 4-byte Folded Reload
	buffer_load_dword v108, off, s[20:23], 0 offset:340 ; 4-byte Folded Reload
	;; [unrolled: 1-line block ×8, first 2 shown]
	s_waitcnt vmcnt(2)
	v_mul_f64 v[99:100], v[87:88], v[109:110]
	s_waitcnt vmcnt(0)
	v_mul_f64 v[97:98], v[89:90], v[109:110]
	v_fma_f64 v[109:110], v[89:90], v[107:108], v[99:100]
	ds_read2_b64 v[99:102], v125 offset0:22 offset1:23
	v_fma_f64 v[97:98], v[87:88], v[107:108], -v[97:98]
	buffer_load_dword v105, off, s[20:23], 0 offset:320 ; 4-byte Folded Reload
	buffer_load_dword v106, off, s[20:23], 0 offset:324 ; 4-byte Folded Reload
	buffer_load_dword v107, off, s[20:23], 0 offset:328 ; 4-byte Folded Reload
	buffer_load_dword v108, off, s[20:23], 0 offset:332 ; 4-byte Folded Reload
	s_waitcnt lgkmcnt(0)
	v_mul_f64 v[103:104], v[101:102], v[109:110]
	v_fma_f64 v[103:104], v[99:100], v[97:98], -v[103:104]
	v_mul_f64 v[99:100], v[99:100], v[109:110]
	v_fma_f64 v[99:100], v[101:102], v[97:98], v[99:100]
	s_waitcnt vmcnt(2)
	v_add_f64 v[105:106], v[105:106], -v[103:104]
	s_waitcnt vmcnt(0)
	v_add_f64 v[107:108], v[107:108], -v[99:100]
	buffer_store_dword v105, off, s[20:23], 0 offset:320 ; 4-byte Folded Spill
	s_nop 0
	buffer_store_dword v106, off, s[20:23], 0 offset:324 ; 4-byte Folded Spill
	buffer_store_dword v107, off, s[20:23], 0 offset:328 ; 4-byte Folded Spill
	buffer_store_dword v108, off, s[20:23], 0 offset:332 ; 4-byte Folded Spill
	ds_read2_b64 v[99:102], v125 offset0:24 offset1:25
	buffer_load_dword v105, off, s[20:23], 0 offset:304 ; 4-byte Folded Reload
	buffer_load_dword v106, off, s[20:23], 0 offset:308 ; 4-byte Folded Reload
	buffer_load_dword v107, off, s[20:23], 0 offset:312 ; 4-byte Folded Reload
	buffer_load_dword v108, off, s[20:23], 0 offset:316 ; 4-byte Folded Reload
	s_waitcnt lgkmcnt(0)
	v_mul_f64 v[103:104], v[101:102], v[109:110]
	v_fma_f64 v[103:104], v[99:100], v[97:98], -v[103:104]
	v_mul_f64 v[99:100], v[99:100], v[109:110]
	v_fma_f64 v[99:100], v[101:102], v[97:98], v[99:100]
	s_waitcnt vmcnt(2)
	v_add_f64 v[105:106], v[105:106], -v[103:104]
	s_waitcnt vmcnt(0)
	v_add_f64 v[107:108], v[107:108], -v[99:100]
	buffer_store_dword v105, off, s[20:23], 0 offset:304 ; 4-byte Folded Spill
	s_nop 0
	buffer_store_dword v106, off, s[20:23], 0 offset:308 ; 4-byte Folded Spill
	buffer_store_dword v107, off, s[20:23], 0 offset:312 ; 4-byte Folded Spill
	buffer_store_dword v108, off, s[20:23], 0 offset:316 ; 4-byte Folded Spill
	ds_read2_b64 v[99:102], v125 offset0:26 offset1:27
	;; [unrolled: 19-line block ×20, first 2 shown]
	buffer_load_dword v105, off, s[20:23], 0 ; 4-byte Folded Reload
	buffer_load_dword v106, off, s[20:23], 0 offset:4 ; 4-byte Folded Reload
	buffer_load_dword v107, off, s[20:23], 0 offset:8 ; 4-byte Folded Reload
	;; [unrolled: 1-line block ×3, first 2 shown]
	s_waitcnt lgkmcnt(0)
	v_mul_f64 v[103:104], v[101:102], v[109:110]
	v_fma_f64 v[103:104], v[99:100], v[97:98], -v[103:104]
	v_mul_f64 v[99:100], v[99:100], v[109:110]
	v_fma_f64 v[99:100], v[101:102], v[97:98], v[99:100]
	s_waitcnt vmcnt(2)
	v_add_f64 v[105:106], v[105:106], -v[103:104]
	s_waitcnt vmcnt(0)
	v_add_f64 v[107:108], v[107:108], -v[99:100]
	buffer_store_dword v105, off, s[20:23], 0 ; 4-byte Folded Spill
	s_nop 0
	buffer_store_dword v106, off, s[20:23], 0 offset:4 ; 4-byte Folded Spill
	buffer_store_dword v107, off, s[20:23], 0 offset:8 ; 4-byte Folded Spill
	;; [unrolled: 1-line block ×3, first 2 shown]
	ds_read2_b64 v[99:102], v125 offset0:64 offset1:65
	v_mov_b32_e32 v108, v98
	v_mov_b32_e32 v107, v97
	s_waitcnt lgkmcnt(0)
	v_mul_f64 v[103:104], v[101:102], v[109:110]
	v_fma_f64 v[103:104], v[99:100], v[97:98], -v[103:104]
	v_mul_f64 v[99:100], v[99:100], v[109:110]
	v_add_f64 v[93:94], v[93:94], -v[103:104]
	v_fma_f64 v[99:100], v[101:102], v[97:98], v[99:100]
	v_add_f64 v[95:96], v[95:96], -v[99:100]
	ds_read2_b64 v[99:102], v125 offset0:66 offset1:67
	s_waitcnt lgkmcnt(0)
	v_mul_f64 v[103:104], v[101:102], v[109:110]
	v_fma_f64 v[103:104], v[99:100], v[97:98], -v[103:104]
	v_mul_f64 v[99:100], v[99:100], v[109:110]
	v_add_f64 v[81:82], v[81:82], -v[103:104]
	v_fma_f64 v[99:100], v[101:102], v[97:98], v[99:100]
	v_add_f64 v[83:84], v[83:84], -v[99:100]
	ds_read2_b64 v[99:102], v125 offset0:68 offset1:69
	;; [unrolled: 8-line block ×21, first 2 shown]
	s_waitcnt lgkmcnt(0)
	v_mul_f64 v[103:104], v[101:102], v[109:110]
	v_fma_f64 v[103:104], v[99:100], v[97:98], -v[103:104]
	v_mul_f64 v[99:100], v[99:100], v[109:110]
	v_add_f64 v[1:2], v[1:2], -v[103:104]
	v_fma_f64 v[99:100], v[101:102], v[97:98], v[99:100]
	ds_read2_b64 v[101:104], v125 offset0:108 offset1:109
	v_add_f64 v[3:4], v[3:4], -v[99:100]
	s_waitcnt lgkmcnt(0)
	v_mul_f64 v[99:100], v[103:104], v[109:110]
	v_fma_f64 v[99:100], v[101:102], v[97:98], -v[99:100]
	v_mul_f64 v[101:102], v[101:102], v[109:110]
	buffer_store_dword v107, off, s[20:23], 0 offset:336 ; 4-byte Folded Spill
	s_nop 0
	buffer_store_dword v108, off, s[20:23], 0 offset:340 ; 4-byte Folded Spill
	buffer_store_dword v109, off, s[20:23], 0 offset:344 ; 4-byte Folded Spill
	;; [unrolled: 1-line block ×3, first 2 shown]
	v_add_f64 v[121:122], v[121:122], -v[99:100]
	v_fma_f64 v[101:102], v[103:104], v[97:98], v[101:102]
	v_add_f64 v[123:124], v[123:124], -v[101:102]
.LBB109_100:
	s_or_b64 exec, exec, s[2:3]
	v_cmp_eq_u32_e32 vcc, 11, v0
	s_waitcnt vmcnt(0)
	s_barrier
	s_and_saveexec_b64 s[4:5], vcc
	s_cbranch_execz .LBB109_107
; %bb.101:
	buffer_load_dword v97, off, s[20:23], 0 offset:320 ; 4-byte Folded Reload
	buffer_load_dword v98, off, s[20:23], 0 offset:324 ; 4-byte Folded Reload
	;; [unrolled: 1-line block ×4, first 2 shown]
	s_waitcnt vmcnt(0)
	ds_write2_b64 v127, v[97:98], v[99:100] offset1:1
	buffer_load_dword v97, off, s[20:23], 0 offset:304 ; 4-byte Folded Reload
	buffer_load_dword v98, off, s[20:23], 0 offset:308 ; 4-byte Folded Reload
	buffer_load_dword v99, off, s[20:23], 0 offset:312 ; 4-byte Folded Reload
	buffer_load_dword v100, off, s[20:23], 0 offset:316 ; 4-byte Folded Reload
	s_waitcnt vmcnt(0)
	ds_write2_b64 v125, v[97:98], v[99:100] offset0:24 offset1:25
	buffer_load_dword v97, off, s[20:23], 0 offset:288 ; 4-byte Folded Reload
	buffer_load_dword v98, off, s[20:23], 0 offset:292 ; 4-byte Folded Reload
	buffer_load_dword v99, off, s[20:23], 0 offset:296 ; 4-byte Folded Reload
	buffer_load_dword v100, off, s[20:23], 0 offset:300 ; 4-byte Folded Reload
	s_waitcnt vmcnt(0)
	ds_write2_b64 v125, v[97:98], v[99:100] offset0:26 offset1:27
	;; [unrolled: 6-line block ×19, first 2 shown]
	buffer_load_dword v97, off, s[20:23], 0 ; 4-byte Folded Reload
	buffer_load_dword v98, off, s[20:23], 0 offset:4 ; 4-byte Folded Reload
	buffer_load_dword v99, off, s[20:23], 0 offset:8 ; 4-byte Folded Reload
	;; [unrolled: 1-line block ×3, first 2 shown]
	s_waitcnt vmcnt(0)
	ds_write2_b64 v125, v[97:98], v[99:100] offset0:62 offset1:63
	ds_write2_b64 v125, v[93:94], v[95:96] offset0:64 offset1:65
	;; [unrolled: 1-line block ×24, first 2 shown]
	ds_read2_b64 v[97:100], v127 offset1:1
	s_waitcnt lgkmcnt(0)
	v_cmp_neq_f64_e32 vcc, 0, v[97:98]
	v_cmp_neq_f64_e64 s[2:3], 0, v[99:100]
	s_or_b64 s[2:3], vcc, s[2:3]
	s_and_b64 exec, exec, s[2:3]
	s_cbranch_execz .LBB109_107
; %bb.102:
	v_cmp_ngt_f64_e64 s[2:3], |v[97:98]|, |v[99:100]|
                                        ; implicit-def: $vgpr101_vgpr102
	s_and_saveexec_b64 s[6:7], s[2:3]
	s_xor_b64 s[2:3], exec, s[6:7]
                                        ; implicit-def: $vgpr103_vgpr104
	s_cbranch_execz .LBB109_104
; %bb.103:
	v_div_scale_f64 v[101:102], s[6:7], v[99:100], v[99:100], v[97:98]
	v_rcp_f64_e32 v[103:104], v[101:102]
	v_fma_f64 v[105:106], -v[101:102], v[103:104], 1.0
	v_fma_f64 v[103:104], v[103:104], v[105:106], v[103:104]
	v_div_scale_f64 v[105:106], vcc, v[97:98], v[99:100], v[97:98]
	v_fma_f64 v[107:108], -v[101:102], v[103:104], 1.0
	v_fma_f64 v[103:104], v[103:104], v[107:108], v[103:104]
	v_mul_f64 v[107:108], v[105:106], v[103:104]
	v_fma_f64 v[101:102], -v[101:102], v[107:108], v[105:106]
	v_div_fmas_f64 v[101:102], v[101:102], v[103:104], v[107:108]
	v_div_fixup_f64 v[101:102], v[101:102], v[99:100], v[97:98]
	v_fma_f64 v[97:98], v[97:98], v[101:102], v[99:100]
	v_div_scale_f64 v[99:100], s[6:7], v[97:98], v[97:98], 1.0
	v_div_scale_f64 v[107:108], vcc, 1.0, v[97:98], 1.0
	v_rcp_f64_e32 v[103:104], v[99:100]
	v_fma_f64 v[105:106], -v[99:100], v[103:104], 1.0
	v_fma_f64 v[103:104], v[103:104], v[105:106], v[103:104]
	v_fma_f64 v[105:106], -v[99:100], v[103:104], 1.0
	v_fma_f64 v[103:104], v[103:104], v[105:106], v[103:104]
	v_mul_f64 v[105:106], v[107:108], v[103:104]
	v_fma_f64 v[99:100], -v[99:100], v[105:106], v[107:108]
	v_div_fmas_f64 v[99:100], v[99:100], v[103:104], v[105:106]
	v_div_fixup_f64 v[103:104], v[99:100], v[97:98], 1.0
                                        ; implicit-def: $vgpr97_vgpr98
	v_mul_f64 v[101:102], v[101:102], v[103:104]
	v_xor_b32_e32 v104, 0x80000000, v104
.LBB109_104:
	s_andn2_saveexec_b64 s[2:3], s[2:3]
	s_cbranch_execz .LBB109_106
; %bb.105:
	v_div_scale_f64 v[101:102], s[6:7], v[97:98], v[97:98], v[99:100]
	v_rcp_f64_e32 v[103:104], v[101:102]
	v_fma_f64 v[105:106], -v[101:102], v[103:104], 1.0
	v_fma_f64 v[103:104], v[103:104], v[105:106], v[103:104]
	v_div_scale_f64 v[105:106], vcc, v[99:100], v[97:98], v[99:100]
	v_fma_f64 v[107:108], -v[101:102], v[103:104], 1.0
	v_fma_f64 v[103:104], v[103:104], v[107:108], v[103:104]
	v_mul_f64 v[107:108], v[105:106], v[103:104]
	v_fma_f64 v[101:102], -v[101:102], v[107:108], v[105:106]
	v_div_fmas_f64 v[101:102], v[101:102], v[103:104], v[107:108]
	v_div_fixup_f64 v[103:104], v[101:102], v[97:98], v[99:100]
	v_fma_f64 v[97:98], v[99:100], v[103:104], v[97:98]
	v_div_scale_f64 v[99:100], s[6:7], v[97:98], v[97:98], 1.0
	v_div_scale_f64 v[107:108], vcc, 1.0, v[97:98], 1.0
	v_rcp_f64_e32 v[101:102], v[99:100]
	v_fma_f64 v[105:106], -v[99:100], v[101:102], 1.0
	v_fma_f64 v[101:102], v[101:102], v[105:106], v[101:102]
	v_fma_f64 v[105:106], -v[99:100], v[101:102], 1.0
	v_fma_f64 v[101:102], v[101:102], v[105:106], v[101:102]
	v_mul_f64 v[105:106], v[107:108], v[101:102]
	v_fma_f64 v[99:100], -v[99:100], v[105:106], v[107:108]
	v_div_fmas_f64 v[99:100], v[99:100], v[101:102], v[105:106]
	v_div_fixup_f64 v[101:102], v[99:100], v[97:98], 1.0
	v_mul_f64 v[103:104], v[103:104], -v[101:102]
.LBB109_106:
	s_or_b64 exec, exec, s[2:3]
	ds_write2_b64 v127, v[101:102], v[103:104] offset1:1
.LBB109_107:
	s_or_b64 exec, exec, s[4:5]
	s_waitcnt lgkmcnt(0)
	s_barrier
	ds_read2_b64 v[87:90], v127 offset1:1
	v_cmp_lt_u32_e32 vcc, 11, v0
	s_waitcnt lgkmcnt(0)
	buffer_store_dword v87, off, s[20:23], 0 offset:1120 ; 4-byte Folded Spill
	s_nop 0
	buffer_store_dword v88, off, s[20:23], 0 offset:1124 ; 4-byte Folded Spill
	buffer_store_dword v89, off, s[20:23], 0 offset:1128 ; 4-byte Folded Spill
	;; [unrolled: 1-line block ×3, first 2 shown]
	s_and_saveexec_b64 s[2:3], vcc
	s_cbranch_execz .LBB109_109
; %bb.108:
	buffer_load_dword v107, off, s[20:23], 0 offset:320 ; 4-byte Folded Reload
	buffer_load_dword v108, off, s[20:23], 0 offset:324 ; 4-byte Folded Reload
	buffer_load_dword v109, off, s[20:23], 0 offset:328 ; 4-byte Folded Reload
	buffer_load_dword v110, off, s[20:23], 0 offset:332 ; 4-byte Folded Reload
	buffer_load_dword v87, off, s[20:23], 0 offset:1120 ; 4-byte Folded Reload
	buffer_load_dword v88, off, s[20:23], 0 offset:1124 ; 4-byte Folded Reload
	buffer_load_dword v89, off, s[20:23], 0 offset:1128 ; 4-byte Folded Reload
	buffer_load_dword v90, off, s[20:23], 0 offset:1132 ; 4-byte Folded Reload
	s_waitcnt vmcnt(2)
	v_mul_f64 v[99:100], v[87:88], v[109:110]
	s_waitcnt vmcnt(0)
	v_mul_f64 v[97:98], v[89:90], v[109:110]
	v_fma_f64 v[109:110], v[89:90], v[107:108], v[99:100]
	ds_read2_b64 v[99:102], v125 offset0:24 offset1:25
	v_fma_f64 v[97:98], v[87:88], v[107:108], -v[97:98]
	buffer_load_dword v105, off, s[20:23], 0 offset:304 ; 4-byte Folded Reload
	buffer_load_dword v106, off, s[20:23], 0 offset:308 ; 4-byte Folded Reload
	buffer_load_dword v107, off, s[20:23], 0 offset:312 ; 4-byte Folded Reload
	buffer_load_dword v108, off, s[20:23], 0 offset:316 ; 4-byte Folded Reload
	s_waitcnt lgkmcnt(0)
	v_mul_f64 v[103:104], v[101:102], v[109:110]
	v_fma_f64 v[103:104], v[99:100], v[97:98], -v[103:104]
	v_mul_f64 v[99:100], v[99:100], v[109:110]
	v_fma_f64 v[99:100], v[101:102], v[97:98], v[99:100]
	s_waitcnt vmcnt(2)
	v_add_f64 v[105:106], v[105:106], -v[103:104]
	s_waitcnt vmcnt(0)
	v_add_f64 v[107:108], v[107:108], -v[99:100]
	buffer_store_dword v105, off, s[20:23], 0 offset:304 ; 4-byte Folded Spill
	s_nop 0
	buffer_store_dword v106, off, s[20:23], 0 offset:308 ; 4-byte Folded Spill
	buffer_store_dword v107, off, s[20:23], 0 offset:312 ; 4-byte Folded Spill
	buffer_store_dword v108, off, s[20:23], 0 offset:316 ; 4-byte Folded Spill
	ds_read2_b64 v[99:102], v125 offset0:26 offset1:27
	buffer_load_dword v105, off, s[20:23], 0 offset:288 ; 4-byte Folded Reload
	buffer_load_dword v106, off, s[20:23], 0 offset:292 ; 4-byte Folded Reload
	buffer_load_dword v107, off, s[20:23], 0 offset:296 ; 4-byte Folded Reload
	buffer_load_dword v108, off, s[20:23], 0 offset:300 ; 4-byte Folded Reload
	s_waitcnt lgkmcnt(0)
	v_mul_f64 v[103:104], v[101:102], v[109:110]
	v_fma_f64 v[103:104], v[99:100], v[97:98], -v[103:104]
	v_mul_f64 v[99:100], v[99:100], v[109:110]
	v_fma_f64 v[99:100], v[101:102], v[97:98], v[99:100]
	s_waitcnt vmcnt(2)
	v_add_f64 v[105:106], v[105:106], -v[103:104]
	s_waitcnt vmcnt(0)
	v_add_f64 v[107:108], v[107:108], -v[99:100]
	buffer_store_dword v105, off, s[20:23], 0 offset:288 ; 4-byte Folded Spill
	s_nop 0
	buffer_store_dword v106, off, s[20:23], 0 offset:292 ; 4-byte Folded Spill
	buffer_store_dword v107, off, s[20:23], 0 offset:296 ; 4-byte Folded Spill
	buffer_store_dword v108, off, s[20:23], 0 offset:300 ; 4-byte Folded Spill
	ds_read2_b64 v[99:102], v125 offset0:28 offset1:29
	;; [unrolled: 19-line block ×19, first 2 shown]
	buffer_load_dword v105, off, s[20:23], 0 ; 4-byte Folded Reload
	buffer_load_dword v106, off, s[20:23], 0 offset:4 ; 4-byte Folded Reload
	buffer_load_dword v107, off, s[20:23], 0 offset:8 ; 4-byte Folded Reload
	;; [unrolled: 1-line block ×3, first 2 shown]
	s_waitcnt lgkmcnt(0)
	v_mul_f64 v[103:104], v[101:102], v[109:110]
	v_fma_f64 v[103:104], v[99:100], v[97:98], -v[103:104]
	v_mul_f64 v[99:100], v[99:100], v[109:110]
	v_fma_f64 v[99:100], v[101:102], v[97:98], v[99:100]
	s_waitcnt vmcnt(2)
	v_add_f64 v[105:106], v[105:106], -v[103:104]
	s_waitcnt vmcnt(0)
	v_add_f64 v[107:108], v[107:108], -v[99:100]
	buffer_store_dword v105, off, s[20:23], 0 ; 4-byte Folded Spill
	s_nop 0
	buffer_store_dword v106, off, s[20:23], 0 offset:4 ; 4-byte Folded Spill
	buffer_store_dword v107, off, s[20:23], 0 offset:8 ; 4-byte Folded Spill
	;; [unrolled: 1-line block ×3, first 2 shown]
	ds_read2_b64 v[99:102], v125 offset0:64 offset1:65
	v_mov_b32_e32 v108, v98
	v_mov_b32_e32 v107, v97
	s_waitcnt lgkmcnt(0)
	v_mul_f64 v[103:104], v[101:102], v[109:110]
	v_fma_f64 v[103:104], v[99:100], v[97:98], -v[103:104]
	v_mul_f64 v[99:100], v[99:100], v[109:110]
	v_add_f64 v[93:94], v[93:94], -v[103:104]
	v_fma_f64 v[99:100], v[101:102], v[97:98], v[99:100]
	v_add_f64 v[95:96], v[95:96], -v[99:100]
	ds_read2_b64 v[99:102], v125 offset0:66 offset1:67
	s_waitcnt lgkmcnt(0)
	v_mul_f64 v[103:104], v[101:102], v[109:110]
	v_fma_f64 v[103:104], v[99:100], v[97:98], -v[103:104]
	v_mul_f64 v[99:100], v[99:100], v[109:110]
	v_add_f64 v[81:82], v[81:82], -v[103:104]
	v_fma_f64 v[99:100], v[101:102], v[97:98], v[99:100]
	v_add_f64 v[83:84], v[83:84], -v[99:100]
	ds_read2_b64 v[99:102], v125 offset0:68 offset1:69
	;; [unrolled: 8-line block ×21, first 2 shown]
	s_waitcnt lgkmcnt(0)
	v_mul_f64 v[103:104], v[101:102], v[109:110]
	v_fma_f64 v[103:104], v[99:100], v[97:98], -v[103:104]
	v_mul_f64 v[99:100], v[99:100], v[109:110]
	v_add_f64 v[1:2], v[1:2], -v[103:104]
	v_fma_f64 v[99:100], v[101:102], v[97:98], v[99:100]
	ds_read2_b64 v[101:104], v125 offset0:108 offset1:109
	v_add_f64 v[3:4], v[3:4], -v[99:100]
	s_waitcnt lgkmcnt(0)
	v_mul_f64 v[99:100], v[103:104], v[109:110]
	v_fma_f64 v[99:100], v[101:102], v[97:98], -v[99:100]
	v_mul_f64 v[101:102], v[101:102], v[109:110]
	buffer_store_dword v107, off, s[20:23], 0 offset:320 ; 4-byte Folded Spill
	s_nop 0
	buffer_store_dword v108, off, s[20:23], 0 offset:324 ; 4-byte Folded Spill
	buffer_store_dword v109, off, s[20:23], 0 offset:328 ; 4-byte Folded Spill
	;; [unrolled: 1-line block ×3, first 2 shown]
	v_add_f64 v[121:122], v[121:122], -v[99:100]
	v_fma_f64 v[101:102], v[103:104], v[97:98], v[101:102]
	v_add_f64 v[123:124], v[123:124], -v[101:102]
.LBB109_109:
	s_or_b64 exec, exec, s[2:3]
	v_cmp_eq_u32_e32 vcc, 12, v0
	s_waitcnt vmcnt(0)
	s_barrier
	s_and_saveexec_b64 s[4:5], vcc
	s_cbranch_execz .LBB109_116
; %bb.110:
	buffer_load_dword v97, off, s[20:23], 0 offset:304 ; 4-byte Folded Reload
	buffer_load_dword v98, off, s[20:23], 0 offset:308 ; 4-byte Folded Reload
	;; [unrolled: 1-line block ×4, first 2 shown]
	s_waitcnt vmcnt(0)
	ds_write2_b64 v127, v[97:98], v[99:100] offset1:1
	buffer_load_dword v97, off, s[20:23], 0 offset:288 ; 4-byte Folded Reload
	buffer_load_dword v98, off, s[20:23], 0 offset:292 ; 4-byte Folded Reload
	buffer_load_dword v99, off, s[20:23], 0 offset:296 ; 4-byte Folded Reload
	buffer_load_dword v100, off, s[20:23], 0 offset:300 ; 4-byte Folded Reload
	s_waitcnt vmcnt(0)
	ds_write2_b64 v125, v[97:98], v[99:100] offset0:26 offset1:27
	buffer_load_dword v97, off, s[20:23], 0 offset:272 ; 4-byte Folded Reload
	buffer_load_dword v98, off, s[20:23], 0 offset:276 ; 4-byte Folded Reload
	buffer_load_dword v99, off, s[20:23], 0 offset:280 ; 4-byte Folded Reload
	buffer_load_dword v100, off, s[20:23], 0 offset:284 ; 4-byte Folded Reload
	s_waitcnt vmcnt(0)
	ds_write2_b64 v125, v[97:98], v[99:100] offset0:28 offset1:29
	;; [unrolled: 6-line block ×18, first 2 shown]
	buffer_load_dword v97, off, s[20:23], 0 ; 4-byte Folded Reload
	buffer_load_dword v98, off, s[20:23], 0 offset:4 ; 4-byte Folded Reload
	buffer_load_dword v99, off, s[20:23], 0 offset:8 ; 4-byte Folded Reload
	;; [unrolled: 1-line block ×3, first 2 shown]
	s_waitcnt vmcnt(0)
	ds_write2_b64 v125, v[97:98], v[99:100] offset0:62 offset1:63
	ds_write2_b64 v125, v[93:94], v[95:96] offset0:64 offset1:65
	;; [unrolled: 1-line block ×24, first 2 shown]
	ds_read2_b64 v[97:100], v127 offset1:1
	s_waitcnt lgkmcnt(0)
	v_cmp_neq_f64_e32 vcc, 0, v[97:98]
	v_cmp_neq_f64_e64 s[2:3], 0, v[99:100]
	s_or_b64 s[2:3], vcc, s[2:3]
	s_and_b64 exec, exec, s[2:3]
	s_cbranch_execz .LBB109_116
; %bb.111:
	v_cmp_ngt_f64_e64 s[2:3], |v[97:98]|, |v[99:100]|
                                        ; implicit-def: $vgpr101_vgpr102
	s_and_saveexec_b64 s[6:7], s[2:3]
	s_xor_b64 s[2:3], exec, s[6:7]
                                        ; implicit-def: $vgpr103_vgpr104
	s_cbranch_execz .LBB109_113
; %bb.112:
	v_div_scale_f64 v[101:102], s[6:7], v[99:100], v[99:100], v[97:98]
	v_rcp_f64_e32 v[103:104], v[101:102]
	v_fma_f64 v[105:106], -v[101:102], v[103:104], 1.0
	v_fma_f64 v[103:104], v[103:104], v[105:106], v[103:104]
	v_div_scale_f64 v[105:106], vcc, v[97:98], v[99:100], v[97:98]
	v_fma_f64 v[107:108], -v[101:102], v[103:104], 1.0
	v_fma_f64 v[103:104], v[103:104], v[107:108], v[103:104]
	v_mul_f64 v[107:108], v[105:106], v[103:104]
	v_fma_f64 v[101:102], -v[101:102], v[107:108], v[105:106]
	v_div_fmas_f64 v[101:102], v[101:102], v[103:104], v[107:108]
	v_div_fixup_f64 v[101:102], v[101:102], v[99:100], v[97:98]
	v_fma_f64 v[97:98], v[97:98], v[101:102], v[99:100]
	v_div_scale_f64 v[99:100], s[6:7], v[97:98], v[97:98], 1.0
	v_div_scale_f64 v[107:108], vcc, 1.0, v[97:98], 1.0
	v_rcp_f64_e32 v[103:104], v[99:100]
	v_fma_f64 v[105:106], -v[99:100], v[103:104], 1.0
	v_fma_f64 v[103:104], v[103:104], v[105:106], v[103:104]
	v_fma_f64 v[105:106], -v[99:100], v[103:104], 1.0
	v_fma_f64 v[103:104], v[103:104], v[105:106], v[103:104]
	v_mul_f64 v[105:106], v[107:108], v[103:104]
	v_fma_f64 v[99:100], -v[99:100], v[105:106], v[107:108]
	v_div_fmas_f64 v[99:100], v[99:100], v[103:104], v[105:106]
	v_div_fixup_f64 v[103:104], v[99:100], v[97:98], 1.0
                                        ; implicit-def: $vgpr97_vgpr98
	v_mul_f64 v[101:102], v[101:102], v[103:104]
	v_xor_b32_e32 v104, 0x80000000, v104
.LBB109_113:
	s_andn2_saveexec_b64 s[2:3], s[2:3]
	s_cbranch_execz .LBB109_115
; %bb.114:
	v_div_scale_f64 v[101:102], s[6:7], v[97:98], v[97:98], v[99:100]
	v_rcp_f64_e32 v[103:104], v[101:102]
	v_fma_f64 v[105:106], -v[101:102], v[103:104], 1.0
	v_fma_f64 v[103:104], v[103:104], v[105:106], v[103:104]
	v_div_scale_f64 v[105:106], vcc, v[99:100], v[97:98], v[99:100]
	v_fma_f64 v[107:108], -v[101:102], v[103:104], 1.0
	v_fma_f64 v[103:104], v[103:104], v[107:108], v[103:104]
	v_mul_f64 v[107:108], v[105:106], v[103:104]
	v_fma_f64 v[101:102], -v[101:102], v[107:108], v[105:106]
	v_div_fmas_f64 v[101:102], v[101:102], v[103:104], v[107:108]
	v_div_fixup_f64 v[103:104], v[101:102], v[97:98], v[99:100]
	v_fma_f64 v[97:98], v[99:100], v[103:104], v[97:98]
	v_div_scale_f64 v[99:100], s[6:7], v[97:98], v[97:98], 1.0
	v_div_scale_f64 v[107:108], vcc, 1.0, v[97:98], 1.0
	v_rcp_f64_e32 v[101:102], v[99:100]
	v_fma_f64 v[105:106], -v[99:100], v[101:102], 1.0
	v_fma_f64 v[101:102], v[101:102], v[105:106], v[101:102]
	v_fma_f64 v[105:106], -v[99:100], v[101:102], 1.0
	v_fma_f64 v[101:102], v[101:102], v[105:106], v[101:102]
	v_mul_f64 v[105:106], v[107:108], v[101:102]
	v_fma_f64 v[99:100], -v[99:100], v[105:106], v[107:108]
	v_div_fmas_f64 v[99:100], v[99:100], v[101:102], v[105:106]
	v_div_fixup_f64 v[101:102], v[99:100], v[97:98], 1.0
	v_mul_f64 v[103:104], v[103:104], -v[101:102]
.LBB109_115:
	s_or_b64 exec, exec, s[2:3]
	ds_write2_b64 v127, v[101:102], v[103:104] offset1:1
.LBB109_116:
	s_or_b64 exec, exec, s[4:5]
	s_waitcnt lgkmcnt(0)
	s_barrier
	ds_read2_b64 v[87:90], v127 offset1:1
	v_cmp_lt_u32_e32 vcc, 12, v0
	s_waitcnt lgkmcnt(0)
	buffer_store_dword v87, off, s[20:23], 0 offset:1136 ; 4-byte Folded Spill
	s_nop 0
	buffer_store_dword v88, off, s[20:23], 0 offset:1140 ; 4-byte Folded Spill
	buffer_store_dword v89, off, s[20:23], 0 offset:1144 ; 4-byte Folded Spill
	;; [unrolled: 1-line block ×3, first 2 shown]
	s_and_saveexec_b64 s[2:3], vcc
	s_cbranch_execz .LBB109_118
; %bb.117:
	buffer_load_dword v107, off, s[20:23], 0 offset:304 ; 4-byte Folded Reload
	buffer_load_dword v108, off, s[20:23], 0 offset:308 ; 4-byte Folded Reload
	;; [unrolled: 1-line block ×8, first 2 shown]
	s_waitcnt vmcnt(2)
	v_mul_f64 v[99:100], v[87:88], v[109:110]
	s_waitcnt vmcnt(0)
	v_mul_f64 v[97:98], v[89:90], v[109:110]
	v_fma_f64 v[109:110], v[89:90], v[107:108], v[99:100]
	ds_read2_b64 v[99:102], v125 offset0:26 offset1:27
	v_fma_f64 v[97:98], v[87:88], v[107:108], -v[97:98]
	buffer_load_dword v105, off, s[20:23], 0 offset:288 ; 4-byte Folded Reload
	buffer_load_dword v106, off, s[20:23], 0 offset:292 ; 4-byte Folded Reload
	buffer_load_dword v107, off, s[20:23], 0 offset:296 ; 4-byte Folded Reload
	buffer_load_dword v108, off, s[20:23], 0 offset:300 ; 4-byte Folded Reload
	s_waitcnt lgkmcnt(0)
	v_mul_f64 v[103:104], v[101:102], v[109:110]
	v_fma_f64 v[103:104], v[99:100], v[97:98], -v[103:104]
	v_mul_f64 v[99:100], v[99:100], v[109:110]
	v_fma_f64 v[99:100], v[101:102], v[97:98], v[99:100]
	s_waitcnt vmcnt(2)
	v_add_f64 v[105:106], v[105:106], -v[103:104]
	s_waitcnt vmcnt(0)
	v_add_f64 v[107:108], v[107:108], -v[99:100]
	buffer_store_dword v105, off, s[20:23], 0 offset:288 ; 4-byte Folded Spill
	s_nop 0
	buffer_store_dword v106, off, s[20:23], 0 offset:292 ; 4-byte Folded Spill
	buffer_store_dword v107, off, s[20:23], 0 offset:296 ; 4-byte Folded Spill
	buffer_store_dword v108, off, s[20:23], 0 offset:300 ; 4-byte Folded Spill
	ds_read2_b64 v[99:102], v125 offset0:28 offset1:29
	buffer_load_dword v105, off, s[20:23], 0 offset:272 ; 4-byte Folded Reload
	buffer_load_dword v106, off, s[20:23], 0 offset:276 ; 4-byte Folded Reload
	buffer_load_dword v107, off, s[20:23], 0 offset:280 ; 4-byte Folded Reload
	buffer_load_dword v108, off, s[20:23], 0 offset:284 ; 4-byte Folded Reload
	s_waitcnt lgkmcnt(0)
	v_mul_f64 v[103:104], v[101:102], v[109:110]
	v_fma_f64 v[103:104], v[99:100], v[97:98], -v[103:104]
	v_mul_f64 v[99:100], v[99:100], v[109:110]
	v_fma_f64 v[99:100], v[101:102], v[97:98], v[99:100]
	s_waitcnt vmcnt(2)
	v_add_f64 v[105:106], v[105:106], -v[103:104]
	s_waitcnt vmcnt(0)
	v_add_f64 v[107:108], v[107:108], -v[99:100]
	buffer_store_dword v105, off, s[20:23], 0 offset:272 ; 4-byte Folded Spill
	s_nop 0
	buffer_store_dword v106, off, s[20:23], 0 offset:276 ; 4-byte Folded Spill
	buffer_store_dword v107, off, s[20:23], 0 offset:280 ; 4-byte Folded Spill
	buffer_store_dword v108, off, s[20:23], 0 offset:284 ; 4-byte Folded Spill
	ds_read2_b64 v[99:102], v125 offset0:30 offset1:31
	;; [unrolled: 19-line block ×18, first 2 shown]
	buffer_load_dword v105, off, s[20:23], 0 ; 4-byte Folded Reload
	buffer_load_dword v106, off, s[20:23], 0 offset:4 ; 4-byte Folded Reload
	buffer_load_dword v107, off, s[20:23], 0 offset:8 ; 4-byte Folded Reload
	;; [unrolled: 1-line block ×3, first 2 shown]
	s_waitcnt lgkmcnt(0)
	v_mul_f64 v[103:104], v[101:102], v[109:110]
	v_fma_f64 v[103:104], v[99:100], v[97:98], -v[103:104]
	v_mul_f64 v[99:100], v[99:100], v[109:110]
	v_fma_f64 v[99:100], v[101:102], v[97:98], v[99:100]
	s_waitcnt vmcnt(2)
	v_add_f64 v[105:106], v[105:106], -v[103:104]
	s_waitcnt vmcnt(0)
	v_add_f64 v[107:108], v[107:108], -v[99:100]
	buffer_store_dword v105, off, s[20:23], 0 ; 4-byte Folded Spill
	s_nop 0
	buffer_store_dword v106, off, s[20:23], 0 offset:4 ; 4-byte Folded Spill
	buffer_store_dword v107, off, s[20:23], 0 offset:8 ; 4-byte Folded Spill
	;; [unrolled: 1-line block ×3, first 2 shown]
	ds_read2_b64 v[99:102], v125 offset0:64 offset1:65
	v_mov_b32_e32 v108, v98
	v_mov_b32_e32 v107, v97
	s_waitcnt lgkmcnt(0)
	v_mul_f64 v[103:104], v[101:102], v[109:110]
	v_fma_f64 v[103:104], v[99:100], v[97:98], -v[103:104]
	v_mul_f64 v[99:100], v[99:100], v[109:110]
	v_add_f64 v[93:94], v[93:94], -v[103:104]
	v_fma_f64 v[99:100], v[101:102], v[97:98], v[99:100]
	v_add_f64 v[95:96], v[95:96], -v[99:100]
	ds_read2_b64 v[99:102], v125 offset0:66 offset1:67
	s_waitcnt lgkmcnt(0)
	v_mul_f64 v[103:104], v[101:102], v[109:110]
	v_fma_f64 v[103:104], v[99:100], v[97:98], -v[103:104]
	v_mul_f64 v[99:100], v[99:100], v[109:110]
	v_add_f64 v[81:82], v[81:82], -v[103:104]
	v_fma_f64 v[99:100], v[101:102], v[97:98], v[99:100]
	v_add_f64 v[83:84], v[83:84], -v[99:100]
	ds_read2_b64 v[99:102], v125 offset0:68 offset1:69
	;; [unrolled: 8-line block ×22, first 2 shown]
	s_waitcnt lgkmcnt(0)
	v_mul_f64 v[103:104], v[101:102], v[109:110]
	v_fma_f64 v[103:104], v[99:100], v[97:98], -v[103:104]
	v_mul_f64 v[99:100], v[99:100], v[109:110]
	buffer_store_dword v107, off, s[20:23], 0 offset:304 ; 4-byte Folded Spill
	s_nop 0
	buffer_store_dword v108, off, s[20:23], 0 offset:308 ; 4-byte Folded Spill
	buffer_store_dword v109, off, s[20:23], 0 offset:312 ; 4-byte Folded Spill
	;; [unrolled: 1-line block ×3, first 2 shown]
	v_add_f64 v[121:122], v[121:122], -v[103:104]
	v_fma_f64 v[99:100], v[101:102], v[97:98], v[99:100]
	v_add_f64 v[123:124], v[123:124], -v[99:100]
.LBB109_118:
	s_or_b64 exec, exec, s[2:3]
	v_cmp_eq_u32_e32 vcc, 13, v0
	s_waitcnt vmcnt(0)
	s_barrier
	s_and_saveexec_b64 s[4:5], vcc
	s_cbranch_execz .LBB109_125
; %bb.119:
	buffer_load_dword v97, off, s[20:23], 0 offset:288 ; 4-byte Folded Reload
	buffer_load_dword v98, off, s[20:23], 0 offset:292 ; 4-byte Folded Reload
	;; [unrolled: 1-line block ×4, first 2 shown]
	s_waitcnt vmcnt(0)
	ds_write2_b64 v127, v[97:98], v[99:100] offset1:1
	buffer_load_dword v97, off, s[20:23], 0 offset:272 ; 4-byte Folded Reload
	buffer_load_dword v98, off, s[20:23], 0 offset:276 ; 4-byte Folded Reload
	buffer_load_dword v99, off, s[20:23], 0 offset:280 ; 4-byte Folded Reload
	buffer_load_dword v100, off, s[20:23], 0 offset:284 ; 4-byte Folded Reload
	s_waitcnt vmcnt(0)
	ds_write2_b64 v125, v[97:98], v[99:100] offset0:28 offset1:29
	buffer_load_dword v97, off, s[20:23], 0 offset:256 ; 4-byte Folded Reload
	buffer_load_dword v98, off, s[20:23], 0 offset:260 ; 4-byte Folded Reload
	buffer_load_dword v99, off, s[20:23], 0 offset:264 ; 4-byte Folded Reload
	buffer_load_dword v100, off, s[20:23], 0 offset:268 ; 4-byte Folded Reload
	s_waitcnt vmcnt(0)
	ds_write2_b64 v125, v[97:98], v[99:100] offset0:30 offset1:31
	;; [unrolled: 6-line block ×17, first 2 shown]
	buffer_load_dword v97, off, s[20:23], 0 ; 4-byte Folded Reload
	buffer_load_dword v98, off, s[20:23], 0 offset:4 ; 4-byte Folded Reload
	buffer_load_dword v99, off, s[20:23], 0 offset:8 ; 4-byte Folded Reload
	;; [unrolled: 1-line block ×3, first 2 shown]
	s_waitcnt vmcnt(0)
	ds_write2_b64 v125, v[97:98], v[99:100] offset0:62 offset1:63
	ds_write2_b64 v125, v[93:94], v[95:96] offset0:64 offset1:65
	;; [unrolled: 1-line block ×24, first 2 shown]
	ds_read2_b64 v[97:100], v127 offset1:1
	s_waitcnt lgkmcnt(0)
	v_cmp_neq_f64_e32 vcc, 0, v[97:98]
	v_cmp_neq_f64_e64 s[2:3], 0, v[99:100]
	s_or_b64 s[2:3], vcc, s[2:3]
	s_and_b64 exec, exec, s[2:3]
	s_cbranch_execz .LBB109_125
; %bb.120:
	v_cmp_ngt_f64_e64 s[2:3], |v[97:98]|, |v[99:100]|
                                        ; implicit-def: $vgpr101_vgpr102
	s_and_saveexec_b64 s[6:7], s[2:3]
	s_xor_b64 s[2:3], exec, s[6:7]
                                        ; implicit-def: $vgpr103_vgpr104
	s_cbranch_execz .LBB109_122
; %bb.121:
	v_div_scale_f64 v[101:102], s[6:7], v[99:100], v[99:100], v[97:98]
	v_rcp_f64_e32 v[103:104], v[101:102]
	v_fma_f64 v[105:106], -v[101:102], v[103:104], 1.0
	v_fma_f64 v[103:104], v[103:104], v[105:106], v[103:104]
	v_div_scale_f64 v[105:106], vcc, v[97:98], v[99:100], v[97:98]
	v_fma_f64 v[107:108], -v[101:102], v[103:104], 1.0
	v_fma_f64 v[103:104], v[103:104], v[107:108], v[103:104]
	v_mul_f64 v[107:108], v[105:106], v[103:104]
	v_fma_f64 v[101:102], -v[101:102], v[107:108], v[105:106]
	v_div_fmas_f64 v[101:102], v[101:102], v[103:104], v[107:108]
	v_div_fixup_f64 v[101:102], v[101:102], v[99:100], v[97:98]
	v_fma_f64 v[97:98], v[97:98], v[101:102], v[99:100]
	v_div_scale_f64 v[99:100], s[6:7], v[97:98], v[97:98], 1.0
	v_div_scale_f64 v[107:108], vcc, 1.0, v[97:98], 1.0
	v_rcp_f64_e32 v[103:104], v[99:100]
	v_fma_f64 v[105:106], -v[99:100], v[103:104], 1.0
	v_fma_f64 v[103:104], v[103:104], v[105:106], v[103:104]
	v_fma_f64 v[105:106], -v[99:100], v[103:104], 1.0
	v_fma_f64 v[103:104], v[103:104], v[105:106], v[103:104]
	v_mul_f64 v[105:106], v[107:108], v[103:104]
	v_fma_f64 v[99:100], -v[99:100], v[105:106], v[107:108]
	v_div_fmas_f64 v[99:100], v[99:100], v[103:104], v[105:106]
	v_div_fixup_f64 v[103:104], v[99:100], v[97:98], 1.0
                                        ; implicit-def: $vgpr97_vgpr98
	v_mul_f64 v[101:102], v[101:102], v[103:104]
	v_xor_b32_e32 v104, 0x80000000, v104
.LBB109_122:
	s_andn2_saveexec_b64 s[2:3], s[2:3]
	s_cbranch_execz .LBB109_124
; %bb.123:
	v_div_scale_f64 v[101:102], s[6:7], v[97:98], v[97:98], v[99:100]
	v_rcp_f64_e32 v[103:104], v[101:102]
	v_fma_f64 v[105:106], -v[101:102], v[103:104], 1.0
	v_fma_f64 v[103:104], v[103:104], v[105:106], v[103:104]
	v_div_scale_f64 v[105:106], vcc, v[99:100], v[97:98], v[99:100]
	v_fma_f64 v[107:108], -v[101:102], v[103:104], 1.0
	v_fma_f64 v[103:104], v[103:104], v[107:108], v[103:104]
	v_mul_f64 v[107:108], v[105:106], v[103:104]
	v_fma_f64 v[101:102], -v[101:102], v[107:108], v[105:106]
	v_div_fmas_f64 v[101:102], v[101:102], v[103:104], v[107:108]
	v_div_fixup_f64 v[103:104], v[101:102], v[97:98], v[99:100]
	v_fma_f64 v[97:98], v[99:100], v[103:104], v[97:98]
	v_div_scale_f64 v[99:100], s[6:7], v[97:98], v[97:98], 1.0
	v_div_scale_f64 v[107:108], vcc, 1.0, v[97:98], 1.0
	v_rcp_f64_e32 v[101:102], v[99:100]
	v_fma_f64 v[105:106], -v[99:100], v[101:102], 1.0
	v_fma_f64 v[101:102], v[101:102], v[105:106], v[101:102]
	v_fma_f64 v[105:106], -v[99:100], v[101:102], 1.0
	v_fma_f64 v[101:102], v[101:102], v[105:106], v[101:102]
	v_mul_f64 v[105:106], v[107:108], v[101:102]
	v_fma_f64 v[99:100], -v[99:100], v[105:106], v[107:108]
	v_div_fmas_f64 v[99:100], v[99:100], v[101:102], v[105:106]
	v_div_fixup_f64 v[101:102], v[99:100], v[97:98], 1.0
	v_mul_f64 v[103:104], v[103:104], -v[101:102]
.LBB109_124:
	s_or_b64 exec, exec, s[2:3]
	ds_write2_b64 v127, v[101:102], v[103:104] offset1:1
.LBB109_125:
	s_or_b64 exec, exec, s[4:5]
	s_waitcnt lgkmcnt(0)
	s_barrier
	ds_read2_b64 v[87:90], v127 offset1:1
	v_cmp_lt_u32_e32 vcc, 13, v0
	s_waitcnt lgkmcnt(0)
	buffer_store_dword v87, off, s[20:23], 0 offset:1152 ; 4-byte Folded Spill
	s_nop 0
	buffer_store_dword v88, off, s[20:23], 0 offset:1156 ; 4-byte Folded Spill
	buffer_store_dword v89, off, s[20:23], 0 offset:1160 ; 4-byte Folded Spill
	buffer_store_dword v90, off, s[20:23], 0 offset:1164 ; 4-byte Folded Spill
	s_and_saveexec_b64 s[2:3], vcc
	s_cbranch_execz .LBB109_127
; %bb.126:
	buffer_load_dword v107, off, s[20:23], 0 offset:288 ; 4-byte Folded Reload
	buffer_load_dword v108, off, s[20:23], 0 offset:292 ; 4-byte Folded Reload
	;; [unrolled: 1-line block ×8, first 2 shown]
	s_waitcnt vmcnt(2)
	v_mul_f64 v[99:100], v[87:88], v[109:110]
	s_waitcnt vmcnt(0)
	v_mul_f64 v[97:98], v[89:90], v[109:110]
	v_fma_f64 v[109:110], v[89:90], v[107:108], v[99:100]
	ds_read2_b64 v[99:102], v125 offset0:28 offset1:29
	v_fma_f64 v[97:98], v[87:88], v[107:108], -v[97:98]
	buffer_load_dword v105, off, s[20:23], 0 offset:272 ; 4-byte Folded Reload
	buffer_load_dword v106, off, s[20:23], 0 offset:276 ; 4-byte Folded Reload
	buffer_load_dword v107, off, s[20:23], 0 offset:280 ; 4-byte Folded Reload
	buffer_load_dword v108, off, s[20:23], 0 offset:284 ; 4-byte Folded Reload
	s_waitcnt lgkmcnt(0)
	v_mul_f64 v[103:104], v[101:102], v[109:110]
	v_fma_f64 v[103:104], v[99:100], v[97:98], -v[103:104]
	v_mul_f64 v[99:100], v[99:100], v[109:110]
	v_fma_f64 v[99:100], v[101:102], v[97:98], v[99:100]
	s_waitcnt vmcnt(2)
	v_add_f64 v[105:106], v[105:106], -v[103:104]
	s_waitcnt vmcnt(0)
	v_add_f64 v[107:108], v[107:108], -v[99:100]
	buffer_store_dword v105, off, s[20:23], 0 offset:272 ; 4-byte Folded Spill
	s_nop 0
	buffer_store_dword v106, off, s[20:23], 0 offset:276 ; 4-byte Folded Spill
	buffer_store_dword v107, off, s[20:23], 0 offset:280 ; 4-byte Folded Spill
	buffer_store_dword v108, off, s[20:23], 0 offset:284 ; 4-byte Folded Spill
	ds_read2_b64 v[99:102], v125 offset0:30 offset1:31
	buffer_load_dword v105, off, s[20:23], 0 offset:256 ; 4-byte Folded Reload
	buffer_load_dword v106, off, s[20:23], 0 offset:260 ; 4-byte Folded Reload
	buffer_load_dword v107, off, s[20:23], 0 offset:264 ; 4-byte Folded Reload
	buffer_load_dword v108, off, s[20:23], 0 offset:268 ; 4-byte Folded Reload
	s_waitcnt lgkmcnt(0)
	v_mul_f64 v[103:104], v[101:102], v[109:110]
	v_fma_f64 v[103:104], v[99:100], v[97:98], -v[103:104]
	v_mul_f64 v[99:100], v[99:100], v[109:110]
	v_fma_f64 v[99:100], v[101:102], v[97:98], v[99:100]
	s_waitcnt vmcnt(2)
	v_add_f64 v[105:106], v[105:106], -v[103:104]
	s_waitcnt vmcnt(0)
	v_add_f64 v[107:108], v[107:108], -v[99:100]
	buffer_store_dword v105, off, s[20:23], 0 offset:256 ; 4-byte Folded Spill
	s_nop 0
	buffer_store_dword v106, off, s[20:23], 0 offset:260 ; 4-byte Folded Spill
	buffer_store_dword v107, off, s[20:23], 0 offset:264 ; 4-byte Folded Spill
	buffer_store_dword v108, off, s[20:23], 0 offset:268 ; 4-byte Folded Spill
	ds_read2_b64 v[99:102], v125 offset0:32 offset1:33
	;; [unrolled: 19-line block ×17, first 2 shown]
	buffer_load_dword v105, off, s[20:23], 0 ; 4-byte Folded Reload
	buffer_load_dword v106, off, s[20:23], 0 offset:4 ; 4-byte Folded Reload
	buffer_load_dword v107, off, s[20:23], 0 offset:8 ; 4-byte Folded Reload
	;; [unrolled: 1-line block ×3, first 2 shown]
	s_waitcnt lgkmcnt(0)
	v_mul_f64 v[103:104], v[101:102], v[109:110]
	v_fma_f64 v[103:104], v[99:100], v[97:98], -v[103:104]
	v_mul_f64 v[99:100], v[99:100], v[109:110]
	v_fma_f64 v[99:100], v[101:102], v[97:98], v[99:100]
	s_waitcnt vmcnt(2)
	v_add_f64 v[105:106], v[105:106], -v[103:104]
	s_waitcnt vmcnt(0)
	v_add_f64 v[107:108], v[107:108], -v[99:100]
	buffer_store_dword v105, off, s[20:23], 0 ; 4-byte Folded Spill
	s_nop 0
	buffer_store_dword v106, off, s[20:23], 0 offset:4 ; 4-byte Folded Spill
	buffer_store_dword v107, off, s[20:23], 0 offset:8 ; 4-byte Folded Spill
	;; [unrolled: 1-line block ×3, first 2 shown]
	ds_read2_b64 v[99:102], v125 offset0:64 offset1:65
	v_mov_b32_e32 v108, v98
	v_mov_b32_e32 v107, v97
	s_waitcnt lgkmcnt(0)
	v_mul_f64 v[103:104], v[101:102], v[109:110]
	v_fma_f64 v[103:104], v[99:100], v[97:98], -v[103:104]
	v_mul_f64 v[99:100], v[99:100], v[109:110]
	v_add_f64 v[93:94], v[93:94], -v[103:104]
	v_fma_f64 v[99:100], v[101:102], v[97:98], v[99:100]
	v_add_f64 v[95:96], v[95:96], -v[99:100]
	ds_read2_b64 v[99:102], v125 offset0:66 offset1:67
	s_waitcnt lgkmcnt(0)
	v_mul_f64 v[103:104], v[101:102], v[109:110]
	v_fma_f64 v[103:104], v[99:100], v[97:98], -v[103:104]
	v_mul_f64 v[99:100], v[99:100], v[109:110]
	v_add_f64 v[81:82], v[81:82], -v[103:104]
	v_fma_f64 v[99:100], v[101:102], v[97:98], v[99:100]
	v_add_f64 v[83:84], v[83:84], -v[99:100]
	ds_read2_b64 v[99:102], v125 offset0:68 offset1:69
	;; [unrolled: 8-line block ×22, first 2 shown]
	s_waitcnt lgkmcnt(0)
	v_mul_f64 v[103:104], v[101:102], v[109:110]
	v_fma_f64 v[103:104], v[99:100], v[97:98], -v[103:104]
	v_mul_f64 v[99:100], v[99:100], v[109:110]
	buffer_store_dword v107, off, s[20:23], 0 offset:288 ; 4-byte Folded Spill
	s_nop 0
	buffer_store_dword v108, off, s[20:23], 0 offset:292 ; 4-byte Folded Spill
	buffer_store_dword v109, off, s[20:23], 0 offset:296 ; 4-byte Folded Spill
	buffer_store_dword v110, off, s[20:23], 0 offset:300 ; 4-byte Folded Spill
	v_add_f64 v[121:122], v[121:122], -v[103:104]
	v_fma_f64 v[99:100], v[101:102], v[97:98], v[99:100]
	v_add_f64 v[123:124], v[123:124], -v[99:100]
.LBB109_127:
	s_or_b64 exec, exec, s[2:3]
	v_cmp_eq_u32_e32 vcc, 14, v0
	s_waitcnt vmcnt(0)
	s_barrier
	s_and_saveexec_b64 s[4:5], vcc
	s_cbranch_execz .LBB109_134
; %bb.128:
	buffer_load_dword v97, off, s[20:23], 0 offset:272 ; 4-byte Folded Reload
	buffer_load_dword v98, off, s[20:23], 0 offset:276 ; 4-byte Folded Reload
	;; [unrolled: 1-line block ×4, first 2 shown]
	s_waitcnt vmcnt(0)
	ds_write2_b64 v127, v[97:98], v[99:100] offset1:1
	buffer_load_dword v97, off, s[20:23], 0 offset:256 ; 4-byte Folded Reload
	buffer_load_dword v98, off, s[20:23], 0 offset:260 ; 4-byte Folded Reload
	buffer_load_dword v99, off, s[20:23], 0 offset:264 ; 4-byte Folded Reload
	buffer_load_dword v100, off, s[20:23], 0 offset:268 ; 4-byte Folded Reload
	s_waitcnt vmcnt(0)
	ds_write2_b64 v125, v[97:98], v[99:100] offset0:30 offset1:31
	buffer_load_dword v97, off, s[20:23], 0 offset:240 ; 4-byte Folded Reload
	buffer_load_dword v98, off, s[20:23], 0 offset:244 ; 4-byte Folded Reload
	buffer_load_dword v99, off, s[20:23], 0 offset:248 ; 4-byte Folded Reload
	buffer_load_dword v100, off, s[20:23], 0 offset:252 ; 4-byte Folded Reload
	s_waitcnt vmcnt(0)
	ds_write2_b64 v125, v[97:98], v[99:100] offset0:32 offset1:33
	;; [unrolled: 6-line block ×16, first 2 shown]
	buffer_load_dword v97, off, s[20:23], 0 ; 4-byte Folded Reload
	buffer_load_dword v98, off, s[20:23], 0 offset:4 ; 4-byte Folded Reload
	buffer_load_dword v99, off, s[20:23], 0 offset:8 ; 4-byte Folded Reload
	;; [unrolled: 1-line block ×3, first 2 shown]
	s_waitcnt vmcnt(0)
	ds_write2_b64 v125, v[97:98], v[99:100] offset0:62 offset1:63
	ds_write2_b64 v125, v[93:94], v[95:96] offset0:64 offset1:65
	;; [unrolled: 1-line block ×24, first 2 shown]
	ds_read2_b64 v[97:100], v127 offset1:1
	s_waitcnt lgkmcnt(0)
	v_cmp_neq_f64_e32 vcc, 0, v[97:98]
	v_cmp_neq_f64_e64 s[2:3], 0, v[99:100]
	s_or_b64 s[2:3], vcc, s[2:3]
	s_and_b64 exec, exec, s[2:3]
	s_cbranch_execz .LBB109_134
; %bb.129:
	v_cmp_ngt_f64_e64 s[2:3], |v[97:98]|, |v[99:100]|
                                        ; implicit-def: $vgpr101_vgpr102
	s_and_saveexec_b64 s[6:7], s[2:3]
	s_xor_b64 s[2:3], exec, s[6:7]
                                        ; implicit-def: $vgpr103_vgpr104
	s_cbranch_execz .LBB109_131
; %bb.130:
	v_div_scale_f64 v[101:102], s[6:7], v[99:100], v[99:100], v[97:98]
	v_rcp_f64_e32 v[103:104], v[101:102]
	v_fma_f64 v[105:106], -v[101:102], v[103:104], 1.0
	v_fma_f64 v[103:104], v[103:104], v[105:106], v[103:104]
	v_div_scale_f64 v[105:106], vcc, v[97:98], v[99:100], v[97:98]
	v_fma_f64 v[107:108], -v[101:102], v[103:104], 1.0
	v_fma_f64 v[103:104], v[103:104], v[107:108], v[103:104]
	v_mul_f64 v[107:108], v[105:106], v[103:104]
	v_fma_f64 v[101:102], -v[101:102], v[107:108], v[105:106]
	v_div_fmas_f64 v[101:102], v[101:102], v[103:104], v[107:108]
	v_div_fixup_f64 v[101:102], v[101:102], v[99:100], v[97:98]
	v_fma_f64 v[97:98], v[97:98], v[101:102], v[99:100]
	v_div_scale_f64 v[99:100], s[6:7], v[97:98], v[97:98], 1.0
	v_div_scale_f64 v[107:108], vcc, 1.0, v[97:98], 1.0
	v_rcp_f64_e32 v[103:104], v[99:100]
	v_fma_f64 v[105:106], -v[99:100], v[103:104], 1.0
	v_fma_f64 v[103:104], v[103:104], v[105:106], v[103:104]
	v_fma_f64 v[105:106], -v[99:100], v[103:104], 1.0
	v_fma_f64 v[103:104], v[103:104], v[105:106], v[103:104]
	v_mul_f64 v[105:106], v[107:108], v[103:104]
	v_fma_f64 v[99:100], -v[99:100], v[105:106], v[107:108]
	v_div_fmas_f64 v[99:100], v[99:100], v[103:104], v[105:106]
	v_div_fixup_f64 v[103:104], v[99:100], v[97:98], 1.0
                                        ; implicit-def: $vgpr97_vgpr98
	v_mul_f64 v[101:102], v[101:102], v[103:104]
	v_xor_b32_e32 v104, 0x80000000, v104
.LBB109_131:
	s_andn2_saveexec_b64 s[2:3], s[2:3]
	s_cbranch_execz .LBB109_133
; %bb.132:
	v_div_scale_f64 v[101:102], s[6:7], v[97:98], v[97:98], v[99:100]
	v_rcp_f64_e32 v[103:104], v[101:102]
	v_fma_f64 v[105:106], -v[101:102], v[103:104], 1.0
	v_fma_f64 v[103:104], v[103:104], v[105:106], v[103:104]
	v_div_scale_f64 v[105:106], vcc, v[99:100], v[97:98], v[99:100]
	v_fma_f64 v[107:108], -v[101:102], v[103:104], 1.0
	v_fma_f64 v[103:104], v[103:104], v[107:108], v[103:104]
	v_mul_f64 v[107:108], v[105:106], v[103:104]
	v_fma_f64 v[101:102], -v[101:102], v[107:108], v[105:106]
	v_div_fmas_f64 v[101:102], v[101:102], v[103:104], v[107:108]
	v_div_fixup_f64 v[103:104], v[101:102], v[97:98], v[99:100]
	v_fma_f64 v[97:98], v[99:100], v[103:104], v[97:98]
	v_div_scale_f64 v[99:100], s[6:7], v[97:98], v[97:98], 1.0
	v_div_scale_f64 v[107:108], vcc, 1.0, v[97:98], 1.0
	v_rcp_f64_e32 v[101:102], v[99:100]
	v_fma_f64 v[105:106], -v[99:100], v[101:102], 1.0
	v_fma_f64 v[101:102], v[101:102], v[105:106], v[101:102]
	v_fma_f64 v[105:106], -v[99:100], v[101:102], 1.0
	v_fma_f64 v[101:102], v[101:102], v[105:106], v[101:102]
	v_mul_f64 v[105:106], v[107:108], v[101:102]
	v_fma_f64 v[99:100], -v[99:100], v[105:106], v[107:108]
	v_div_fmas_f64 v[99:100], v[99:100], v[101:102], v[105:106]
	v_div_fixup_f64 v[101:102], v[99:100], v[97:98], 1.0
	v_mul_f64 v[103:104], v[103:104], -v[101:102]
.LBB109_133:
	s_or_b64 exec, exec, s[2:3]
	ds_write2_b64 v127, v[101:102], v[103:104] offset1:1
.LBB109_134:
	s_or_b64 exec, exec, s[4:5]
	s_waitcnt lgkmcnt(0)
	s_barrier
	ds_read2_b64 v[87:90], v127 offset1:1
	v_cmp_lt_u32_e32 vcc, 14, v0
	s_waitcnt lgkmcnt(0)
	buffer_store_dword v87, off, s[20:23], 0 offset:1168 ; 4-byte Folded Spill
	s_nop 0
	buffer_store_dword v88, off, s[20:23], 0 offset:1172 ; 4-byte Folded Spill
	buffer_store_dword v89, off, s[20:23], 0 offset:1176 ; 4-byte Folded Spill
	;; [unrolled: 1-line block ×3, first 2 shown]
	s_and_saveexec_b64 s[2:3], vcc
	s_cbranch_execz .LBB109_136
; %bb.135:
	buffer_load_dword v107, off, s[20:23], 0 offset:272 ; 4-byte Folded Reload
	buffer_load_dword v108, off, s[20:23], 0 offset:276 ; 4-byte Folded Reload
	;; [unrolled: 1-line block ×8, first 2 shown]
	s_waitcnt vmcnt(2)
	v_mul_f64 v[99:100], v[87:88], v[109:110]
	s_waitcnt vmcnt(0)
	v_mul_f64 v[97:98], v[89:90], v[109:110]
	v_fma_f64 v[109:110], v[89:90], v[107:108], v[99:100]
	ds_read2_b64 v[99:102], v125 offset0:30 offset1:31
	v_fma_f64 v[97:98], v[87:88], v[107:108], -v[97:98]
	buffer_load_dword v105, off, s[20:23], 0 offset:256 ; 4-byte Folded Reload
	buffer_load_dword v106, off, s[20:23], 0 offset:260 ; 4-byte Folded Reload
	buffer_load_dword v107, off, s[20:23], 0 offset:264 ; 4-byte Folded Reload
	buffer_load_dword v108, off, s[20:23], 0 offset:268 ; 4-byte Folded Reload
	s_waitcnt lgkmcnt(0)
	v_mul_f64 v[103:104], v[101:102], v[109:110]
	v_fma_f64 v[103:104], v[99:100], v[97:98], -v[103:104]
	v_mul_f64 v[99:100], v[99:100], v[109:110]
	v_fma_f64 v[99:100], v[101:102], v[97:98], v[99:100]
	s_waitcnt vmcnt(2)
	v_add_f64 v[105:106], v[105:106], -v[103:104]
	s_waitcnt vmcnt(0)
	v_add_f64 v[107:108], v[107:108], -v[99:100]
	buffer_store_dword v105, off, s[20:23], 0 offset:256 ; 4-byte Folded Spill
	s_nop 0
	buffer_store_dword v106, off, s[20:23], 0 offset:260 ; 4-byte Folded Spill
	buffer_store_dword v107, off, s[20:23], 0 offset:264 ; 4-byte Folded Spill
	buffer_store_dword v108, off, s[20:23], 0 offset:268 ; 4-byte Folded Spill
	ds_read2_b64 v[99:102], v125 offset0:32 offset1:33
	buffer_load_dword v105, off, s[20:23], 0 offset:240 ; 4-byte Folded Reload
	buffer_load_dword v106, off, s[20:23], 0 offset:244 ; 4-byte Folded Reload
	buffer_load_dword v107, off, s[20:23], 0 offset:248 ; 4-byte Folded Reload
	buffer_load_dword v108, off, s[20:23], 0 offset:252 ; 4-byte Folded Reload
	s_waitcnt lgkmcnt(0)
	v_mul_f64 v[103:104], v[101:102], v[109:110]
	v_fma_f64 v[103:104], v[99:100], v[97:98], -v[103:104]
	v_mul_f64 v[99:100], v[99:100], v[109:110]
	v_fma_f64 v[99:100], v[101:102], v[97:98], v[99:100]
	s_waitcnt vmcnt(2)
	v_add_f64 v[105:106], v[105:106], -v[103:104]
	s_waitcnt vmcnt(0)
	v_add_f64 v[107:108], v[107:108], -v[99:100]
	buffer_store_dword v105, off, s[20:23], 0 offset:240 ; 4-byte Folded Spill
	s_nop 0
	buffer_store_dword v106, off, s[20:23], 0 offset:244 ; 4-byte Folded Spill
	buffer_store_dword v107, off, s[20:23], 0 offset:248 ; 4-byte Folded Spill
	buffer_store_dword v108, off, s[20:23], 0 offset:252 ; 4-byte Folded Spill
	ds_read2_b64 v[99:102], v125 offset0:34 offset1:35
	;; [unrolled: 19-line block ×16, first 2 shown]
	buffer_load_dword v105, off, s[20:23], 0 ; 4-byte Folded Reload
	buffer_load_dword v106, off, s[20:23], 0 offset:4 ; 4-byte Folded Reload
	buffer_load_dword v107, off, s[20:23], 0 offset:8 ; 4-byte Folded Reload
	;; [unrolled: 1-line block ×3, first 2 shown]
	s_waitcnt lgkmcnt(0)
	v_mul_f64 v[103:104], v[101:102], v[109:110]
	v_fma_f64 v[103:104], v[99:100], v[97:98], -v[103:104]
	v_mul_f64 v[99:100], v[99:100], v[109:110]
	v_fma_f64 v[99:100], v[101:102], v[97:98], v[99:100]
	s_waitcnt vmcnt(2)
	v_add_f64 v[105:106], v[105:106], -v[103:104]
	s_waitcnt vmcnt(0)
	v_add_f64 v[107:108], v[107:108], -v[99:100]
	buffer_store_dword v105, off, s[20:23], 0 ; 4-byte Folded Spill
	s_nop 0
	buffer_store_dword v106, off, s[20:23], 0 offset:4 ; 4-byte Folded Spill
	buffer_store_dword v107, off, s[20:23], 0 offset:8 ; 4-byte Folded Spill
	;; [unrolled: 1-line block ×3, first 2 shown]
	ds_read2_b64 v[99:102], v125 offset0:64 offset1:65
	v_mov_b32_e32 v108, v98
	v_mov_b32_e32 v107, v97
	s_waitcnt lgkmcnt(0)
	v_mul_f64 v[103:104], v[101:102], v[109:110]
	v_fma_f64 v[103:104], v[99:100], v[97:98], -v[103:104]
	v_mul_f64 v[99:100], v[99:100], v[109:110]
	v_add_f64 v[93:94], v[93:94], -v[103:104]
	v_fma_f64 v[99:100], v[101:102], v[97:98], v[99:100]
	v_add_f64 v[95:96], v[95:96], -v[99:100]
	ds_read2_b64 v[99:102], v125 offset0:66 offset1:67
	s_waitcnt lgkmcnt(0)
	v_mul_f64 v[103:104], v[101:102], v[109:110]
	v_fma_f64 v[103:104], v[99:100], v[97:98], -v[103:104]
	v_mul_f64 v[99:100], v[99:100], v[109:110]
	v_add_f64 v[81:82], v[81:82], -v[103:104]
	v_fma_f64 v[99:100], v[101:102], v[97:98], v[99:100]
	v_add_f64 v[83:84], v[83:84], -v[99:100]
	ds_read2_b64 v[99:102], v125 offset0:68 offset1:69
	;; [unrolled: 8-line block ×22, first 2 shown]
	s_waitcnt lgkmcnt(0)
	v_mul_f64 v[103:104], v[101:102], v[109:110]
	v_fma_f64 v[103:104], v[99:100], v[97:98], -v[103:104]
	v_mul_f64 v[99:100], v[99:100], v[109:110]
	buffer_store_dword v107, off, s[20:23], 0 offset:272 ; 4-byte Folded Spill
	s_nop 0
	buffer_store_dword v108, off, s[20:23], 0 offset:276 ; 4-byte Folded Spill
	buffer_store_dword v109, off, s[20:23], 0 offset:280 ; 4-byte Folded Spill
	;; [unrolled: 1-line block ×3, first 2 shown]
	v_add_f64 v[121:122], v[121:122], -v[103:104]
	v_fma_f64 v[99:100], v[101:102], v[97:98], v[99:100]
	v_add_f64 v[123:124], v[123:124], -v[99:100]
.LBB109_136:
	s_or_b64 exec, exec, s[2:3]
	v_cmp_eq_u32_e32 vcc, 15, v0
	s_waitcnt vmcnt(0)
	s_barrier
	s_and_saveexec_b64 s[4:5], vcc
	s_cbranch_execz .LBB109_143
; %bb.137:
	buffer_load_dword v97, off, s[20:23], 0 offset:256 ; 4-byte Folded Reload
	buffer_load_dword v98, off, s[20:23], 0 offset:260 ; 4-byte Folded Reload
	;; [unrolled: 1-line block ×4, first 2 shown]
	s_waitcnt vmcnt(0)
	ds_write2_b64 v127, v[97:98], v[99:100] offset1:1
	buffer_load_dword v97, off, s[20:23], 0 offset:240 ; 4-byte Folded Reload
	buffer_load_dword v98, off, s[20:23], 0 offset:244 ; 4-byte Folded Reload
	buffer_load_dword v99, off, s[20:23], 0 offset:248 ; 4-byte Folded Reload
	buffer_load_dword v100, off, s[20:23], 0 offset:252 ; 4-byte Folded Reload
	s_waitcnt vmcnt(0)
	ds_write2_b64 v125, v[97:98], v[99:100] offset0:32 offset1:33
	buffer_load_dword v97, off, s[20:23], 0 offset:224 ; 4-byte Folded Reload
	buffer_load_dword v98, off, s[20:23], 0 offset:228 ; 4-byte Folded Reload
	buffer_load_dword v99, off, s[20:23], 0 offset:232 ; 4-byte Folded Reload
	buffer_load_dword v100, off, s[20:23], 0 offset:236 ; 4-byte Folded Reload
	s_waitcnt vmcnt(0)
	ds_write2_b64 v125, v[97:98], v[99:100] offset0:34 offset1:35
	;; [unrolled: 6-line block ×15, first 2 shown]
	buffer_load_dword v97, off, s[20:23], 0 ; 4-byte Folded Reload
	buffer_load_dword v98, off, s[20:23], 0 offset:4 ; 4-byte Folded Reload
	buffer_load_dword v99, off, s[20:23], 0 offset:8 ; 4-byte Folded Reload
	;; [unrolled: 1-line block ×3, first 2 shown]
	s_waitcnt vmcnt(0)
	ds_write2_b64 v125, v[97:98], v[99:100] offset0:62 offset1:63
	ds_write2_b64 v125, v[93:94], v[95:96] offset0:64 offset1:65
	;; [unrolled: 1-line block ×24, first 2 shown]
	ds_read2_b64 v[97:100], v127 offset1:1
	s_waitcnt lgkmcnt(0)
	v_cmp_neq_f64_e32 vcc, 0, v[97:98]
	v_cmp_neq_f64_e64 s[2:3], 0, v[99:100]
	s_or_b64 s[2:3], vcc, s[2:3]
	s_and_b64 exec, exec, s[2:3]
	s_cbranch_execz .LBB109_143
; %bb.138:
	v_cmp_ngt_f64_e64 s[2:3], |v[97:98]|, |v[99:100]|
                                        ; implicit-def: $vgpr101_vgpr102
	s_and_saveexec_b64 s[6:7], s[2:3]
	s_xor_b64 s[2:3], exec, s[6:7]
                                        ; implicit-def: $vgpr103_vgpr104
	s_cbranch_execz .LBB109_140
; %bb.139:
	v_div_scale_f64 v[101:102], s[6:7], v[99:100], v[99:100], v[97:98]
	v_rcp_f64_e32 v[103:104], v[101:102]
	v_fma_f64 v[105:106], -v[101:102], v[103:104], 1.0
	v_fma_f64 v[103:104], v[103:104], v[105:106], v[103:104]
	v_div_scale_f64 v[105:106], vcc, v[97:98], v[99:100], v[97:98]
	v_fma_f64 v[107:108], -v[101:102], v[103:104], 1.0
	v_fma_f64 v[103:104], v[103:104], v[107:108], v[103:104]
	v_mul_f64 v[107:108], v[105:106], v[103:104]
	v_fma_f64 v[101:102], -v[101:102], v[107:108], v[105:106]
	v_div_fmas_f64 v[101:102], v[101:102], v[103:104], v[107:108]
	v_div_fixup_f64 v[101:102], v[101:102], v[99:100], v[97:98]
	v_fma_f64 v[97:98], v[97:98], v[101:102], v[99:100]
	v_div_scale_f64 v[99:100], s[6:7], v[97:98], v[97:98], 1.0
	v_div_scale_f64 v[107:108], vcc, 1.0, v[97:98], 1.0
	v_rcp_f64_e32 v[103:104], v[99:100]
	v_fma_f64 v[105:106], -v[99:100], v[103:104], 1.0
	v_fma_f64 v[103:104], v[103:104], v[105:106], v[103:104]
	v_fma_f64 v[105:106], -v[99:100], v[103:104], 1.0
	v_fma_f64 v[103:104], v[103:104], v[105:106], v[103:104]
	v_mul_f64 v[105:106], v[107:108], v[103:104]
	v_fma_f64 v[99:100], -v[99:100], v[105:106], v[107:108]
	v_div_fmas_f64 v[99:100], v[99:100], v[103:104], v[105:106]
	v_div_fixup_f64 v[103:104], v[99:100], v[97:98], 1.0
                                        ; implicit-def: $vgpr97_vgpr98
	v_mul_f64 v[101:102], v[101:102], v[103:104]
	v_xor_b32_e32 v104, 0x80000000, v104
.LBB109_140:
	s_andn2_saveexec_b64 s[2:3], s[2:3]
	s_cbranch_execz .LBB109_142
; %bb.141:
	v_div_scale_f64 v[101:102], s[6:7], v[97:98], v[97:98], v[99:100]
	v_rcp_f64_e32 v[103:104], v[101:102]
	v_fma_f64 v[105:106], -v[101:102], v[103:104], 1.0
	v_fma_f64 v[103:104], v[103:104], v[105:106], v[103:104]
	v_div_scale_f64 v[105:106], vcc, v[99:100], v[97:98], v[99:100]
	v_fma_f64 v[107:108], -v[101:102], v[103:104], 1.0
	v_fma_f64 v[103:104], v[103:104], v[107:108], v[103:104]
	v_mul_f64 v[107:108], v[105:106], v[103:104]
	v_fma_f64 v[101:102], -v[101:102], v[107:108], v[105:106]
	v_div_fmas_f64 v[101:102], v[101:102], v[103:104], v[107:108]
	v_div_fixup_f64 v[103:104], v[101:102], v[97:98], v[99:100]
	v_fma_f64 v[97:98], v[99:100], v[103:104], v[97:98]
	v_div_scale_f64 v[99:100], s[6:7], v[97:98], v[97:98], 1.0
	v_div_scale_f64 v[107:108], vcc, 1.0, v[97:98], 1.0
	v_rcp_f64_e32 v[101:102], v[99:100]
	v_fma_f64 v[105:106], -v[99:100], v[101:102], 1.0
	v_fma_f64 v[101:102], v[101:102], v[105:106], v[101:102]
	v_fma_f64 v[105:106], -v[99:100], v[101:102], 1.0
	v_fma_f64 v[101:102], v[101:102], v[105:106], v[101:102]
	v_mul_f64 v[105:106], v[107:108], v[101:102]
	v_fma_f64 v[99:100], -v[99:100], v[105:106], v[107:108]
	v_div_fmas_f64 v[99:100], v[99:100], v[101:102], v[105:106]
	v_div_fixup_f64 v[101:102], v[99:100], v[97:98], 1.0
	v_mul_f64 v[103:104], v[103:104], -v[101:102]
.LBB109_142:
	s_or_b64 exec, exec, s[2:3]
	ds_write2_b64 v127, v[101:102], v[103:104] offset1:1
.LBB109_143:
	s_or_b64 exec, exec, s[4:5]
	s_waitcnt lgkmcnt(0)
	s_barrier
	ds_read2_b64 v[87:90], v127 offset1:1
	v_cmp_lt_u32_e32 vcc, 15, v0
	s_waitcnt lgkmcnt(0)
	buffer_store_dword v87, off, s[20:23], 0 offset:1184 ; 4-byte Folded Spill
	s_nop 0
	buffer_store_dword v88, off, s[20:23], 0 offset:1188 ; 4-byte Folded Spill
	buffer_store_dword v89, off, s[20:23], 0 offset:1192 ; 4-byte Folded Spill
	;; [unrolled: 1-line block ×3, first 2 shown]
	s_and_saveexec_b64 s[2:3], vcc
	s_cbranch_execz .LBB109_145
; %bb.144:
	buffer_load_dword v107, off, s[20:23], 0 offset:256 ; 4-byte Folded Reload
	buffer_load_dword v108, off, s[20:23], 0 offset:260 ; 4-byte Folded Reload
	;; [unrolled: 1-line block ×8, first 2 shown]
	s_waitcnt vmcnt(2)
	v_mul_f64 v[99:100], v[87:88], v[109:110]
	s_waitcnt vmcnt(0)
	v_mul_f64 v[97:98], v[89:90], v[109:110]
	v_fma_f64 v[109:110], v[89:90], v[107:108], v[99:100]
	ds_read2_b64 v[99:102], v125 offset0:32 offset1:33
	v_fma_f64 v[97:98], v[87:88], v[107:108], -v[97:98]
	buffer_load_dword v105, off, s[20:23], 0 offset:240 ; 4-byte Folded Reload
	buffer_load_dword v106, off, s[20:23], 0 offset:244 ; 4-byte Folded Reload
	buffer_load_dword v107, off, s[20:23], 0 offset:248 ; 4-byte Folded Reload
	buffer_load_dword v108, off, s[20:23], 0 offset:252 ; 4-byte Folded Reload
	s_waitcnt lgkmcnt(0)
	v_mul_f64 v[103:104], v[101:102], v[109:110]
	v_fma_f64 v[103:104], v[99:100], v[97:98], -v[103:104]
	v_mul_f64 v[99:100], v[99:100], v[109:110]
	v_fma_f64 v[99:100], v[101:102], v[97:98], v[99:100]
	s_waitcnt vmcnt(2)
	v_add_f64 v[105:106], v[105:106], -v[103:104]
	s_waitcnt vmcnt(0)
	v_add_f64 v[107:108], v[107:108], -v[99:100]
	buffer_store_dword v105, off, s[20:23], 0 offset:240 ; 4-byte Folded Spill
	s_nop 0
	buffer_store_dword v106, off, s[20:23], 0 offset:244 ; 4-byte Folded Spill
	buffer_store_dword v107, off, s[20:23], 0 offset:248 ; 4-byte Folded Spill
	buffer_store_dword v108, off, s[20:23], 0 offset:252 ; 4-byte Folded Spill
	ds_read2_b64 v[99:102], v125 offset0:34 offset1:35
	buffer_load_dword v105, off, s[20:23], 0 offset:224 ; 4-byte Folded Reload
	buffer_load_dword v106, off, s[20:23], 0 offset:228 ; 4-byte Folded Reload
	buffer_load_dword v107, off, s[20:23], 0 offset:232 ; 4-byte Folded Reload
	buffer_load_dword v108, off, s[20:23], 0 offset:236 ; 4-byte Folded Reload
	s_waitcnt lgkmcnt(0)
	v_mul_f64 v[103:104], v[101:102], v[109:110]
	v_fma_f64 v[103:104], v[99:100], v[97:98], -v[103:104]
	v_mul_f64 v[99:100], v[99:100], v[109:110]
	v_fma_f64 v[99:100], v[101:102], v[97:98], v[99:100]
	s_waitcnt vmcnt(2)
	v_add_f64 v[105:106], v[105:106], -v[103:104]
	s_waitcnt vmcnt(0)
	v_add_f64 v[107:108], v[107:108], -v[99:100]
	buffer_store_dword v105, off, s[20:23], 0 offset:224 ; 4-byte Folded Spill
	s_nop 0
	buffer_store_dword v106, off, s[20:23], 0 offset:228 ; 4-byte Folded Spill
	buffer_store_dword v107, off, s[20:23], 0 offset:232 ; 4-byte Folded Spill
	buffer_store_dword v108, off, s[20:23], 0 offset:236 ; 4-byte Folded Spill
	ds_read2_b64 v[99:102], v125 offset0:36 offset1:37
	;; [unrolled: 19-line block ×15, first 2 shown]
	buffer_load_dword v105, off, s[20:23], 0 ; 4-byte Folded Reload
	buffer_load_dword v106, off, s[20:23], 0 offset:4 ; 4-byte Folded Reload
	buffer_load_dword v107, off, s[20:23], 0 offset:8 ; 4-byte Folded Reload
	;; [unrolled: 1-line block ×3, first 2 shown]
	s_waitcnt lgkmcnt(0)
	v_mul_f64 v[103:104], v[101:102], v[109:110]
	v_fma_f64 v[103:104], v[99:100], v[97:98], -v[103:104]
	v_mul_f64 v[99:100], v[99:100], v[109:110]
	v_fma_f64 v[99:100], v[101:102], v[97:98], v[99:100]
	s_waitcnt vmcnt(2)
	v_add_f64 v[105:106], v[105:106], -v[103:104]
	s_waitcnt vmcnt(0)
	v_add_f64 v[107:108], v[107:108], -v[99:100]
	buffer_store_dword v105, off, s[20:23], 0 ; 4-byte Folded Spill
	s_nop 0
	buffer_store_dword v106, off, s[20:23], 0 offset:4 ; 4-byte Folded Spill
	buffer_store_dword v107, off, s[20:23], 0 offset:8 ; 4-byte Folded Spill
	;; [unrolled: 1-line block ×3, first 2 shown]
	ds_read2_b64 v[99:102], v125 offset0:64 offset1:65
	v_mov_b32_e32 v108, v98
	v_mov_b32_e32 v107, v97
	s_waitcnt lgkmcnt(0)
	v_mul_f64 v[103:104], v[101:102], v[109:110]
	v_fma_f64 v[103:104], v[99:100], v[97:98], -v[103:104]
	v_mul_f64 v[99:100], v[99:100], v[109:110]
	v_add_f64 v[93:94], v[93:94], -v[103:104]
	v_fma_f64 v[99:100], v[101:102], v[97:98], v[99:100]
	v_add_f64 v[95:96], v[95:96], -v[99:100]
	ds_read2_b64 v[99:102], v125 offset0:66 offset1:67
	s_waitcnt lgkmcnt(0)
	v_mul_f64 v[103:104], v[101:102], v[109:110]
	v_fma_f64 v[103:104], v[99:100], v[97:98], -v[103:104]
	v_mul_f64 v[99:100], v[99:100], v[109:110]
	v_add_f64 v[81:82], v[81:82], -v[103:104]
	v_fma_f64 v[99:100], v[101:102], v[97:98], v[99:100]
	v_add_f64 v[83:84], v[83:84], -v[99:100]
	ds_read2_b64 v[99:102], v125 offset0:68 offset1:69
	;; [unrolled: 8-line block ×22, first 2 shown]
	s_waitcnt lgkmcnt(0)
	v_mul_f64 v[103:104], v[101:102], v[109:110]
	v_fma_f64 v[103:104], v[99:100], v[97:98], -v[103:104]
	v_mul_f64 v[99:100], v[99:100], v[109:110]
	buffer_store_dword v107, off, s[20:23], 0 offset:256 ; 4-byte Folded Spill
	s_nop 0
	buffer_store_dword v108, off, s[20:23], 0 offset:260 ; 4-byte Folded Spill
	buffer_store_dword v109, off, s[20:23], 0 offset:264 ; 4-byte Folded Spill
	;; [unrolled: 1-line block ×3, first 2 shown]
	v_add_f64 v[121:122], v[121:122], -v[103:104]
	v_fma_f64 v[99:100], v[101:102], v[97:98], v[99:100]
	v_add_f64 v[123:124], v[123:124], -v[99:100]
.LBB109_145:
	s_or_b64 exec, exec, s[2:3]
	v_cmp_eq_u32_e32 vcc, 16, v0
	s_waitcnt vmcnt(0)
	s_barrier
	s_and_saveexec_b64 s[4:5], vcc
	s_cbranch_execz .LBB109_152
; %bb.146:
	buffer_load_dword v97, off, s[20:23], 0 offset:240 ; 4-byte Folded Reload
	buffer_load_dword v98, off, s[20:23], 0 offset:244 ; 4-byte Folded Reload
	;; [unrolled: 1-line block ×4, first 2 shown]
	s_waitcnt vmcnt(0)
	ds_write2_b64 v127, v[97:98], v[99:100] offset1:1
	buffer_load_dword v97, off, s[20:23], 0 offset:224 ; 4-byte Folded Reload
	buffer_load_dword v98, off, s[20:23], 0 offset:228 ; 4-byte Folded Reload
	buffer_load_dword v99, off, s[20:23], 0 offset:232 ; 4-byte Folded Reload
	buffer_load_dword v100, off, s[20:23], 0 offset:236 ; 4-byte Folded Reload
	s_waitcnt vmcnt(0)
	ds_write2_b64 v125, v[97:98], v[99:100] offset0:34 offset1:35
	buffer_load_dword v97, off, s[20:23], 0 offset:208 ; 4-byte Folded Reload
	buffer_load_dword v98, off, s[20:23], 0 offset:212 ; 4-byte Folded Reload
	buffer_load_dword v99, off, s[20:23], 0 offset:216 ; 4-byte Folded Reload
	buffer_load_dword v100, off, s[20:23], 0 offset:220 ; 4-byte Folded Reload
	s_waitcnt vmcnt(0)
	ds_write2_b64 v125, v[97:98], v[99:100] offset0:36 offset1:37
	;; [unrolled: 6-line block ×14, first 2 shown]
	buffer_load_dword v97, off, s[20:23], 0 ; 4-byte Folded Reload
	buffer_load_dword v98, off, s[20:23], 0 offset:4 ; 4-byte Folded Reload
	buffer_load_dword v99, off, s[20:23], 0 offset:8 ; 4-byte Folded Reload
	;; [unrolled: 1-line block ×3, first 2 shown]
	s_waitcnt vmcnt(0)
	ds_write2_b64 v125, v[97:98], v[99:100] offset0:62 offset1:63
	ds_write2_b64 v125, v[93:94], v[95:96] offset0:64 offset1:65
	;; [unrolled: 1-line block ×24, first 2 shown]
	ds_read2_b64 v[97:100], v127 offset1:1
	s_waitcnt lgkmcnt(0)
	v_cmp_neq_f64_e32 vcc, 0, v[97:98]
	v_cmp_neq_f64_e64 s[2:3], 0, v[99:100]
	s_or_b64 s[2:3], vcc, s[2:3]
	s_and_b64 exec, exec, s[2:3]
	s_cbranch_execz .LBB109_152
; %bb.147:
	v_cmp_ngt_f64_e64 s[2:3], |v[97:98]|, |v[99:100]|
                                        ; implicit-def: $vgpr101_vgpr102
	s_and_saveexec_b64 s[6:7], s[2:3]
	s_xor_b64 s[2:3], exec, s[6:7]
                                        ; implicit-def: $vgpr103_vgpr104
	s_cbranch_execz .LBB109_149
; %bb.148:
	v_div_scale_f64 v[101:102], s[6:7], v[99:100], v[99:100], v[97:98]
	v_rcp_f64_e32 v[103:104], v[101:102]
	v_fma_f64 v[105:106], -v[101:102], v[103:104], 1.0
	v_fma_f64 v[103:104], v[103:104], v[105:106], v[103:104]
	v_div_scale_f64 v[105:106], vcc, v[97:98], v[99:100], v[97:98]
	v_fma_f64 v[107:108], -v[101:102], v[103:104], 1.0
	v_fma_f64 v[103:104], v[103:104], v[107:108], v[103:104]
	v_mul_f64 v[107:108], v[105:106], v[103:104]
	v_fma_f64 v[101:102], -v[101:102], v[107:108], v[105:106]
	v_div_fmas_f64 v[101:102], v[101:102], v[103:104], v[107:108]
	v_div_fixup_f64 v[101:102], v[101:102], v[99:100], v[97:98]
	v_fma_f64 v[97:98], v[97:98], v[101:102], v[99:100]
	v_div_scale_f64 v[99:100], s[6:7], v[97:98], v[97:98], 1.0
	v_div_scale_f64 v[107:108], vcc, 1.0, v[97:98], 1.0
	v_rcp_f64_e32 v[103:104], v[99:100]
	v_fma_f64 v[105:106], -v[99:100], v[103:104], 1.0
	v_fma_f64 v[103:104], v[103:104], v[105:106], v[103:104]
	v_fma_f64 v[105:106], -v[99:100], v[103:104], 1.0
	v_fma_f64 v[103:104], v[103:104], v[105:106], v[103:104]
	v_mul_f64 v[105:106], v[107:108], v[103:104]
	v_fma_f64 v[99:100], -v[99:100], v[105:106], v[107:108]
	v_div_fmas_f64 v[99:100], v[99:100], v[103:104], v[105:106]
	v_div_fixup_f64 v[103:104], v[99:100], v[97:98], 1.0
                                        ; implicit-def: $vgpr97_vgpr98
	v_mul_f64 v[101:102], v[101:102], v[103:104]
	v_xor_b32_e32 v104, 0x80000000, v104
.LBB109_149:
	s_andn2_saveexec_b64 s[2:3], s[2:3]
	s_cbranch_execz .LBB109_151
; %bb.150:
	v_div_scale_f64 v[101:102], s[6:7], v[97:98], v[97:98], v[99:100]
	v_rcp_f64_e32 v[103:104], v[101:102]
	v_fma_f64 v[105:106], -v[101:102], v[103:104], 1.0
	v_fma_f64 v[103:104], v[103:104], v[105:106], v[103:104]
	v_div_scale_f64 v[105:106], vcc, v[99:100], v[97:98], v[99:100]
	v_fma_f64 v[107:108], -v[101:102], v[103:104], 1.0
	v_fma_f64 v[103:104], v[103:104], v[107:108], v[103:104]
	v_mul_f64 v[107:108], v[105:106], v[103:104]
	v_fma_f64 v[101:102], -v[101:102], v[107:108], v[105:106]
	v_div_fmas_f64 v[101:102], v[101:102], v[103:104], v[107:108]
	v_div_fixup_f64 v[103:104], v[101:102], v[97:98], v[99:100]
	v_fma_f64 v[97:98], v[99:100], v[103:104], v[97:98]
	v_div_scale_f64 v[99:100], s[6:7], v[97:98], v[97:98], 1.0
	v_div_scale_f64 v[107:108], vcc, 1.0, v[97:98], 1.0
	v_rcp_f64_e32 v[101:102], v[99:100]
	v_fma_f64 v[105:106], -v[99:100], v[101:102], 1.0
	v_fma_f64 v[101:102], v[101:102], v[105:106], v[101:102]
	v_fma_f64 v[105:106], -v[99:100], v[101:102], 1.0
	v_fma_f64 v[101:102], v[101:102], v[105:106], v[101:102]
	v_mul_f64 v[105:106], v[107:108], v[101:102]
	v_fma_f64 v[99:100], -v[99:100], v[105:106], v[107:108]
	v_div_fmas_f64 v[99:100], v[99:100], v[101:102], v[105:106]
	v_div_fixup_f64 v[101:102], v[99:100], v[97:98], 1.0
	v_mul_f64 v[103:104], v[103:104], -v[101:102]
.LBB109_151:
	s_or_b64 exec, exec, s[2:3]
	ds_write2_b64 v127, v[101:102], v[103:104] offset1:1
.LBB109_152:
	s_or_b64 exec, exec, s[4:5]
	s_waitcnt lgkmcnt(0)
	s_barrier
	ds_read2_b64 v[87:90], v127 offset1:1
	v_cmp_lt_u32_e32 vcc, 16, v0
	s_waitcnt lgkmcnt(0)
	buffer_store_dword v87, off, s[20:23], 0 offset:1200 ; 4-byte Folded Spill
	s_nop 0
	buffer_store_dword v88, off, s[20:23], 0 offset:1204 ; 4-byte Folded Spill
	buffer_store_dword v89, off, s[20:23], 0 offset:1208 ; 4-byte Folded Spill
	;; [unrolled: 1-line block ×3, first 2 shown]
	s_and_saveexec_b64 s[2:3], vcc
	s_cbranch_execz .LBB109_154
; %bb.153:
	buffer_load_dword v107, off, s[20:23], 0 offset:240 ; 4-byte Folded Reload
	buffer_load_dword v108, off, s[20:23], 0 offset:244 ; 4-byte Folded Reload
	;; [unrolled: 1-line block ×8, first 2 shown]
	s_waitcnt vmcnt(2)
	v_mul_f64 v[99:100], v[87:88], v[109:110]
	s_waitcnt vmcnt(0)
	v_mul_f64 v[97:98], v[89:90], v[109:110]
	v_fma_f64 v[109:110], v[89:90], v[107:108], v[99:100]
	ds_read2_b64 v[99:102], v125 offset0:34 offset1:35
	v_fma_f64 v[97:98], v[87:88], v[107:108], -v[97:98]
	buffer_load_dword v105, off, s[20:23], 0 offset:224 ; 4-byte Folded Reload
	buffer_load_dword v106, off, s[20:23], 0 offset:228 ; 4-byte Folded Reload
	buffer_load_dword v107, off, s[20:23], 0 offset:232 ; 4-byte Folded Reload
	buffer_load_dword v108, off, s[20:23], 0 offset:236 ; 4-byte Folded Reload
	s_waitcnt lgkmcnt(0)
	v_mul_f64 v[103:104], v[101:102], v[109:110]
	v_fma_f64 v[103:104], v[99:100], v[97:98], -v[103:104]
	v_mul_f64 v[99:100], v[99:100], v[109:110]
	v_fma_f64 v[99:100], v[101:102], v[97:98], v[99:100]
	s_waitcnt vmcnt(2)
	v_add_f64 v[105:106], v[105:106], -v[103:104]
	s_waitcnt vmcnt(0)
	v_add_f64 v[107:108], v[107:108], -v[99:100]
	buffer_store_dword v105, off, s[20:23], 0 offset:224 ; 4-byte Folded Spill
	s_nop 0
	buffer_store_dword v106, off, s[20:23], 0 offset:228 ; 4-byte Folded Spill
	buffer_store_dword v107, off, s[20:23], 0 offset:232 ; 4-byte Folded Spill
	buffer_store_dword v108, off, s[20:23], 0 offset:236 ; 4-byte Folded Spill
	ds_read2_b64 v[99:102], v125 offset0:36 offset1:37
	buffer_load_dword v105, off, s[20:23], 0 offset:208 ; 4-byte Folded Reload
	buffer_load_dword v106, off, s[20:23], 0 offset:212 ; 4-byte Folded Reload
	buffer_load_dword v107, off, s[20:23], 0 offset:216 ; 4-byte Folded Reload
	buffer_load_dword v108, off, s[20:23], 0 offset:220 ; 4-byte Folded Reload
	s_waitcnt lgkmcnt(0)
	v_mul_f64 v[103:104], v[101:102], v[109:110]
	v_fma_f64 v[103:104], v[99:100], v[97:98], -v[103:104]
	v_mul_f64 v[99:100], v[99:100], v[109:110]
	v_fma_f64 v[99:100], v[101:102], v[97:98], v[99:100]
	s_waitcnt vmcnt(2)
	v_add_f64 v[105:106], v[105:106], -v[103:104]
	s_waitcnt vmcnt(0)
	v_add_f64 v[107:108], v[107:108], -v[99:100]
	buffer_store_dword v105, off, s[20:23], 0 offset:208 ; 4-byte Folded Spill
	s_nop 0
	buffer_store_dword v106, off, s[20:23], 0 offset:212 ; 4-byte Folded Spill
	buffer_store_dword v107, off, s[20:23], 0 offset:216 ; 4-byte Folded Spill
	buffer_store_dword v108, off, s[20:23], 0 offset:220 ; 4-byte Folded Spill
	ds_read2_b64 v[99:102], v125 offset0:38 offset1:39
	buffer_load_dword v105, off, s[20:23], 0 offset:192 ; 4-byte Folded Reload
	buffer_load_dword v106, off, s[20:23], 0 offset:196 ; 4-byte Folded Reload
	buffer_load_dword v107, off, s[20:23], 0 offset:200 ; 4-byte Folded Reload
	buffer_load_dword v108, off, s[20:23], 0 offset:204 ; 4-byte Folded Reload
	s_waitcnt lgkmcnt(0)
	v_mul_f64 v[103:104], v[101:102], v[109:110]
	v_fma_f64 v[103:104], v[99:100], v[97:98], -v[103:104]
	v_mul_f64 v[99:100], v[99:100], v[109:110]
	v_fma_f64 v[99:100], v[101:102], v[97:98], v[99:100]
	s_waitcnt vmcnt(2)
	v_add_f64 v[105:106], v[105:106], -v[103:104]
	s_waitcnt vmcnt(0)
	v_add_f64 v[107:108], v[107:108], -v[99:100]
	buffer_store_dword v105, off, s[20:23], 0 offset:192 ; 4-byte Folded Spill
	s_nop 0
	buffer_store_dword v106, off, s[20:23], 0 offset:196 ; 4-byte Folded Spill
	buffer_store_dword v107, off, s[20:23], 0 offset:200 ; 4-byte Folded Spill
	buffer_store_dword v108, off, s[20:23], 0 offset:204 ; 4-byte Folded Spill
	ds_read2_b64 v[99:102], v125 offset0:40 offset1:41
	buffer_load_dword v105, off, s[20:23], 0 offset:176 ; 4-byte Folded Reload
	buffer_load_dword v106, off, s[20:23], 0 offset:180 ; 4-byte Folded Reload
	buffer_load_dword v107, off, s[20:23], 0 offset:184 ; 4-byte Folded Reload
	buffer_load_dword v108, off, s[20:23], 0 offset:188 ; 4-byte Folded Reload
	s_waitcnt lgkmcnt(0)
	v_mul_f64 v[103:104], v[101:102], v[109:110]
	v_fma_f64 v[103:104], v[99:100], v[97:98], -v[103:104]
	v_mul_f64 v[99:100], v[99:100], v[109:110]
	v_fma_f64 v[99:100], v[101:102], v[97:98], v[99:100]
	s_waitcnt vmcnt(2)
	v_add_f64 v[105:106], v[105:106], -v[103:104]
	s_waitcnt vmcnt(0)
	v_add_f64 v[107:108], v[107:108], -v[99:100]
	buffer_store_dword v105, off, s[20:23], 0 offset:176 ; 4-byte Folded Spill
	s_nop 0
	buffer_store_dword v106, off, s[20:23], 0 offset:180 ; 4-byte Folded Spill
	buffer_store_dword v107, off, s[20:23], 0 offset:184 ; 4-byte Folded Spill
	buffer_store_dword v108, off, s[20:23], 0 offset:188 ; 4-byte Folded Spill
	ds_read2_b64 v[99:102], v125 offset0:42 offset1:43
	buffer_load_dword v105, off, s[20:23], 0 offset:160 ; 4-byte Folded Reload
	buffer_load_dword v106, off, s[20:23], 0 offset:164 ; 4-byte Folded Reload
	buffer_load_dword v107, off, s[20:23], 0 offset:168 ; 4-byte Folded Reload
	buffer_load_dword v108, off, s[20:23], 0 offset:172 ; 4-byte Folded Reload
	s_waitcnt lgkmcnt(0)
	v_mul_f64 v[103:104], v[101:102], v[109:110]
	v_fma_f64 v[103:104], v[99:100], v[97:98], -v[103:104]
	v_mul_f64 v[99:100], v[99:100], v[109:110]
	v_fma_f64 v[99:100], v[101:102], v[97:98], v[99:100]
	s_waitcnt vmcnt(2)
	v_add_f64 v[105:106], v[105:106], -v[103:104]
	s_waitcnt vmcnt(0)
	v_add_f64 v[107:108], v[107:108], -v[99:100]
	buffer_store_dword v105, off, s[20:23], 0 offset:160 ; 4-byte Folded Spill
	s_nop 0
	buffer_store_dword v106, off, s[20:23], 0 offset:164 ; 4-byte Folded Spill
	buffer_store_dword v107, off, s[20:23], 0 offset:168 ; 4-byte Folded Spill
	buffer_store_dword v108, off, s[20:23], 0 offset:172 ; 4-byte Folded Spill
	ds_read2_b64 v[99:102], v125 offset0:44 offset1:45
	buffer_load_dword v105, off, s[20:23], 0 offset:144 ; 4-byte Folded Reload
	buffer_load_dword v106, off, s[20:23], 0 offset:148 ; 4-byte Folded Reload
	buffer_load_dword v107, off, s[20:23], 0 offset:152 ; 4-byte Folded Reload
	buffer_load_dword v108, off, s[20:23], 0 offset:156 ; 4-byte Folded Reload
	s_waitcnt lgkmcnt(0)
	v_mul_f64 v[103:104], v[101:102], v[109:110]
	v_fma_f64 v[103:104], v[99:100], v[97:98], -v[103:104]
	v_mul_f64 v[99:100], v[99:100], v[109:110]
	v_fma_f64 v[99:100], v[101:102], v[97:98], v[99:100]
	s_waitcnt vmcnt(2)
	v_add_f64 v[105:106], v[105:106], -v[103:104]
	s_waitcnt vmcnt(0)
	v_add_f64 v[107:108], v[107:108], -v[99:100]
	buffer_store_dword v105, off, s[20:23], 0 offset:144 ; 4-byte Folded Spill
	s_nop 0
	buffer_store_dword v106, off, s[20:23], 0 offset:148 ; 4-byte Folded Spill
	buffer_store_dword v107, off, s[20:23], 0 offset:152 ; 4-byte Folded Spill
	buffer_store_dword v108, off, s[20:23], 0 offset:156 ; 4-byte Folded Spill
	ds_read2_b64 v[99:102], v125 offset0:46 offset1:47
	buffer_load_dword v105, off, s[20:23], 0 offset:128 ; 4-byte Folded Reload
	buffer_load_dword v106, off, s[20:23], 0 offset:132 ; 4-byte Folded Reload
	buffer_load_dword v107, off, s[20:23], 0 offset:136 ; 4-byte Folded Reload
	buffer_load_dword v108, off, s[20:23], 0 offset:140 ; 4-byte Folded Reload
	s_waitcnt lgkmcnt(0)
	v_mul_f64 v[103:104], v[101:102], v[109:110]
	v_fma_f64 v[103:104], v[99:100], v[97:98], -v[103:104]
	v_mul_f64 v[99:100], v[99:100], v[109:110]
	v_fma_f64 v[99:100], v[101:102], v[97:98], v[99:100]
	s_waitcnt vmcnt(2)
	v_add_f64 v[105:106], v[105:106], -v[103:104]
	s_waitcnt vmcnt(0)
	v_add_f64 v[107:108], v[107:108], -v[99:100]
	buffer_store_dword v105, off, s[20:23], 0 offset:128 ; 4-byte Folded Spill
	s_nop 0
	buffer_store_dword v106, off, s[20:23], 0 offset:132 ; 4-byte Folded Spill
	buffer_store_dword v107, off, s[20:23], 0 offset:136 ; 4-byte Folded Spill
	buffer_store_dword v108, off, s[20:23], 0 offset:140 ; 4-byte Folded Spill
	ds_read2_b64 v[99:102], v125 offset0:48 offset1:49
	buffer_load_dword v105, off, s[20:23], 0 offset:112 ; 4-byte Folded Reload
	buffer_load_dword v106, off, s[20:23], 0 offset:116 ; 4-byte Folded Reload
	buffer_load_dword v107, off, s[20:23], 0 offset:120 ; 4-byte Folded Reload
	buffer_load_dword v108, off, s[20:23], 0 offset:124 ; 4-byte Folded Reload
	s_waitcnt lgkmcnt(0)
	v_mul_f64 v[103:104], v[101:102], v[109:110]
	v_fma_f64 v[103:104], v[99:100], v[97:98], -v[103:104]
	v_mul_f64 v[99:100], v[99:100], v[109:110]
	v_fma_f64 v[99:100], v[101:102], v[97:98], v[99:100]
	s_waitcnt vmcnt(2)
	v_add_f64 v[105:106], v[105:106], -v[103:104]
	s_waitcnt vmcnt(0)
	v_add_f64 v[107:108], v[107:108], -v[99:100]
	buffer_store_dword v105, off, s[20:23], 0 offset:112 ; 4-byte Folded Spill
	s_nop 0
	buffer_store_dword v106, off, s[20:23], 0 offset:116 ; 4-byte Folded Spill
	buffer_store_dword v107, off, s[20:23], 0 offset:120 ; 4-byte Folded Spill
	buffer_store_dword v108, off, s[20:23], 0 offset:124 ; 4-byte Folded Spill
	ds_read2_b64 v[99:102], v125 offset0:50 offset1:51
	buffer_load_dword v105, off, s[20:23], 0 offset:96 ; 4-byte Folded Reload
	buffer_load_dword v106, off, s[20:23], 0 offset:100 ; 4-byte Folded Reload
	buffer_load_dword v107, off, s[20:23], 0 offset:104 ; 4-byte Folded Reload
	buffer_load_dword v108, off, s[20:23], 0 offset:108 ; 4-byte Folded Reload
	s_waitcnt lgkmcnt(0)
	v_mul_f64 v[103:104], v[101:102], v[109:110]
	v_fma_f64 v[103:104], v[99:100], v[97:98], -v[103:104]
	v_mul_f64 v[99:100], v[99:100], v[109:110]
	v_fma_f64 v[99:100], v[101:102], v[97:98], v[99:100]
	s_waitcnt vmcnt(2)
	v_add_f64 v[105:106], v[105:106], -v[103:104]
	s_waitcnt vmcnt(0)
	v_add_f64 v[107:108], v[107:108], -v[99:100]
	buffer_store_dword v105, off, s[20:23], 0 offset:96 ; 4-byte Folded Spill
	s_nop 0
	buffer_store_dword v106, off, s[20:23], 0 offset:100 ; 4-byte Folded Spill
	buffer_store_dword v107, off, s[20:23], 0 offset:104 ; 4-byte Folded Spill
	buffer_store_dword v108, off, s[20:23], 0 offset:108 ; 4-byte Folded Spill
	ds_read2_b64 v[99:102], v125 offset0:52 offset1:53
	buffer_load_dword v105, off, s[20:23], 0 offset:80 ; 4-byte Folded Reload
	buffer_load_dword v106, off, s[20:23], 0 offset:84 ; 4-byte Folded Reload
	buffer_load_dword v107, off, s[20:23], 0 offset:88 ; 4-byte Folded Reload
	buffer_load_dword v108, off, s[20:23], 0 offset:92 ; 4-byte Folded Reload
	s_waitcnt lgkmcnt(0)
	v_mul_f64 v[103:104], v[101:102], v[109:110]
	v_fma_f64 v[103:104], v[99:100], v[97:98], -v[103:104]
	v_mul_f64 v[99:100], v[99:100], v[109:110]
	v_fma_f64 v[99:100], v[101:102], v[97:98], v[99:100]
	s_waitcnt vmcnt(2)
	v_add_f64 v[105:106], v[105:106], -v[103:104]
	s_waitcnt vmcnt(0)
	v_add_f64 v[107:108], v[107:108], -v[99:100]
	buffer_store_dword v105, off, s[20:23], 0 offset:80 ; 4-byte Folded Spill
	s_nop 0
	buffer_store_dword v106, off, s[20:23], 0 offset:84 ; 4-byte Folded Spill
	buffer_store_dword v107, off, s[20:23], 0 offset:88 ; 4-byte Folded Spill
	buffer_store_dword v108, off, s[20:23], 0 offset:92 ; 4-byte Folded Spill
	ds_read2_b64 v[99:102], v125 offset0:54 offset1:55
	buffer_load_dword v105, off, s[20:23], 0 offset:64 ; 4-byte Folded Reload
	buffer_load_dword v106, off, s[20:23], 0 offset:68 ; 4-byte Folded Reload
	buffer_load_dword v107, off, s[20:23], 0 offset:72 ; 4-byte Folded Reload
	buffer_load_dword v108, off, s[20:23], 0 offset:76 ; 4-byte Folded Reload
	s_waitcnt lgkmcnt(0)
	v_mul_f64 v[103:104], v[101:102], v[109:110]
	v_fma_f64 v[103:104], v[99:100], v[97:98], -v[103:104]
	v_mul_f64 v[99:100], v[99:100], v[109:110]
	v_fma_f64 v[99:100], v[101:102], v[97:98], v[99:100]
	s_waitcnt vmcnt(2)
	v_add_f64 v[105:106], v[105:106], -v[103:104]
	s_waitcnt vmcnt(0)
	v_add_f64 v[107:108], v[107:108], -v[99:100]
	buffer_store_dword v105, off, s[20:23], 0 offset:64 ; 4-byte Folded Spill
	s_nop 0
	buffer_store_dword v106, off, s[20:23], 0 offset:68 ; 4-byte Folded Spill
	buffer_store_dword v107, off, s[20:23], 0 offset:72 ; 4-byte Folded Spill
	buffer_store_dword v108, off, s[20:23], 0 offset:76 ; 4-byte Folded Spill
	ds_read2_b64 v[99:102], v125 offset0:56 offset1:57
	buffer_load_dword v105, off, s[20:23], 0 offset:48 ; 4-byte Folded Reload
	buffer_load_dword v106, off, s[20:23], 0 offset:52 ; 4-byte Folded Reload
	buffer_load_dword v107, off, s[20:23], 0 offset:56 ; 4-byte Folded Reload
	buffer_load_dword v108, off, s[20:23], 0 offset:60 ; 4-byte Folded Reload
	s_waitcnt lgkmcnt(0)
	v_mul_f64 v[103:104], v[101:102], v[109:110]
	v_fma_f64 v[103:104], v[99:100], v[97:98], -v[103:104]
	v_mul_f64 v[99:100], v[99:100], v[109:110]
	v_fma_f64 v[99:100], v[101:102], v[97:98], v[99:100]
	s_waitcnt vmcnt(2)
	v_add_f64 v[105:106], v[105:106], -v[103:104]
	s_waitcnt vmcnt(0)
	v_add_f64 v[107:108], v[107:108], -v[99:100]
	buffer_store_dword v105, off, s[20:23], 0 offset:48 ; 4-byte Folded Spill
	s_nop 0
	buffer_store_dword v106, off, s[20:23], 0 offset:52 ; 4-byte Folded Spill
	buffer_store_dword v107, off, s[20:23], 0 offset:56 ; 4-byte Folded Spill
	buffer_store_dword v108, off, s[20:23], 0 offset:60 ; 4-byte Folded Spill
	ds_read2_b64 v[99:102], v125 offset0:58 offset1:59
	buffer_load_dword v105, off, s[20:23], 0 offset:32 ; 4-byte Folded Reload
	buffer_load_dword v106, off, s[20:23], 0 offset:36 ; 4-byte Folded Reload
	buffer_load_dword v107, off, s[20:23], 0 offset:40 ; 4-byte Folded Reload
	buffer_load_dword v108, off, s[20:23], 0 offset:44 ; 4-byte Folded Reload
	s_waitcnt lgkmcnt(0)
	v_mul_f64 v[103:104], v[101:102], v[109:110]
	v_fma_f64 v[103:104], v[99:100], v[97:98], -v[103:104]
	v_mul_f64 v[99:100], v[99:100], v[109:110]
	v_fma_f64 v[99:100], v[101:102], v[97:98], v[99:100]
	s_waitcnt vmcnt(2)
	v_add_f64 v[105:106], v[105:106], -v[103:104]
	s_waitcnt vmcnt(0)
	v_add_f64 v[107:108], v[107:108], -v[99:100]
	buffer_store_dword v105, off, s[20:23], 0 offset:32 ; 4-byte Folded Spill
	s_nop 0
	buffer_store_dword v106, off, s[20:23], 0 offset:36 ; 4-byte Folded Spill
	buffer_store_dword v107, off, s[20:23], 0 offset:40 ; 4-byte Folded Spill
	buffer_store_dword v108, off, s[20:23], 0 offset:44 ; 4-byte Folded Spill
	ds_read2_b64 v[99:102], v125 offset0:60 offset1:61
	buffer_load_dword v105, off, s[20:23], 0 offset:16 ; 4-byte Folded Reload
	buffer_load_dword v106, off, s[20:23], 0 offset:20 ; 4-byte Folded Reload
	buffer_load_dword v107, off, s[20:23], 0 offset:24 ; 4-byte Folded Reload
	buffer_load_dword v108, off, s[20:23], 0 offset:28 ; 4-byte Folded Reload
	s_waitcnt lgkmcnt(0)
	v_mul_f64 v[103:104], v[101:102], v[109:110]
	v_fma_f64 v[103:104], v[99:100], v[97:98], -v[103:104]
	v_mul_f64 v[99:100], v[99:100], v[109:110]
	v_fma_f64 v[99:100], v[101:102], v[97:98], v[99:100]
	s_waitcnt vmcnt(2)
	v_add_f64 v[105:106], v[105:106], -v[103:104]
	s_waitcnt vmcnt(0)
	v_add_f64 v[107:108], v[107:108], -v[99:100]
	buffer_store_dword v105, off, s[20:23], 0 offset:16 ; 4-byte Folded Spill
	s_nop 0
	buffer_store_dword v106, off, s[20:23], 0 offset:20 ; 4-byte Folded Spill
	buffer_store_dword v107, off, s[20:23], 0 offset:24 ; 4-byte Folded Spill
	buffer_store_dword v108, off, s[20:23], 0 offset:28 ; 4-byte Folded Spill
	ds_read2_b64 v[99:102], v125 offset0:62 offset1:63
	buffer_load_dword v105, off, s[20:23], 0 ; 4-byte Folded Reload
	buffer_load_dword v106, off, s[20:23], 0 offset:4 ; 4-byte Folded Reload
	buffer_load_dword v107, off, s[20:23], 0 offset:8 ; 4-byte Folded Reload
	;; [unrolled: 1-line block ×3, first 2 shown]
	s_waitcnt lgkmcnt(0)
	v_mul_f64 v[103:104], v[101:102], v[109:110]
	v_fma_f64 v[103:104], v[99:100], v[97:98], -v[103:104]
	v_mul_f64 v[99:100], v[99:100], v[109:110]
	v_fma_f64 v[99:100], v[101:102], v[97:98], v[99:100]
	s_waitcnt vmcnt(2)
	v_add_f64 v[105:106], v[105:106], -v[103:104]
	s_waitcnt vmcnt(0)
	v_add_f64 v[107:108], v[107:108], -v[99:100]
	buffer_store_dword v105, off, s[20:23], 0 ; 4-byte Folded Spill
	s_nop 0
	buffer_store_dword v106, off, s[20:23], 0 offset:4 ; 4-byte Folded Spill
	buffer_store_dword v107, off, s[20:23], 0 offset:8 ; 4-byte Folded Spill
	;; [unrolled: 1-line block ×3, first 2 shown]
	ds_read2_b64 v[99:102], v125 offset0:64 offset1:65
	v_mov_b32_e32 v108, v98
	v_mov_b32_e32 v107, v97
	s_waitcnt lgkmcnt(0)
	v_mul_f64 v[103:104], v[101:102], v[109:110]
	v_fma_f64 v[103:104], v[99:100], v[97:98], -v[103:104]
	v_mul_f64 v[99:100], v[99:100], v[109:110]
	v_add_f64 v[93:94], v[93:94], -v[103:104]
	v_fma_f64 v[99:100], v[101:102], v[97:98], v[99:100]
	v_add_f64 v[95:96], v[95:96], -v[99:100]
	ds_read2_b64 v[99:102], v125 offset0:66 offset1:67
	s_waitcnt lgkmcnt(0)
	v_mul_f64 v[103:104], v[101:102], v[109:110]
	v_fma_f64 v[103:104], v[99:100], v[97:98], -v[103:104]
	v_mul_f64 v[99:100], v[99:100], v[109:110]
	v_add_f64 v[81:82], v[81:82], -v[103:104]
	v_fma_f64 v[99:100], v[101:102], v[97:98], v[99:100]
	v_add_f64 v[83:84], v[83:84], -v[99:100]
	ds_read2_b64 v[99:102], v125 offset0:68 offset1:69
	;; [unrolled: 8-line block ×22, first 2 shown]
	s_waitcnt lgkmcnt(0)
	v_mul_f64 v[103:104], v[101:102], v[109:110]
	v_fma_f64 v[103:104], v[99:100], v[97:98], -v[103:104]
	v_mul_f64 v[99:100], v[99:100], v[109:110]
	buffer_store_dword v107, off, s[20:23], 0 offset:240 ; 4-byte Folded Spill
	s_nop 0
	buffer_store_dword v108, off, s[20:23], 0 offset:244 ; 4-byte Folded Spill
	buffer_store_dword v109, off, s[20:23], 0 offset:248 ; 4-byte Folded Spill
	;; [unrolled: 1-line block ×3, first 2 shown]
	v_add_f64 v[121:122], v[121:122], -v[103:104]
	v_fma_f64 v[99:100], v[101:102], v[97:98], v[99:100]
	v_add_f64 v[123:124], v[123:124], -v[99:100]
.LBB109_154:
	s_or_b64 exec, exec, s[2:3]
	v_cmp_eq_u32_e32 vcc, 17, v0
	s_waitcnt vmcnt(0)
	s_barrier
	s_and_saveexec_b64 s[4:5], vcc
	s_cbranch_execz .LBB109_161
; %bb.155:
	buffer_load_dword v97, off, s[20:23], 0 offset:224 ; 4-byte Folded Reload
	buffer_load_dword v98, off, s[20:23], 0 offset:228 ; 4-byte Folded Reload
	;; [unrolled: 1-line block ×4, first 2 shown]
	s_waitcnt vmcnt(0)
	ds_write2_b64 v127, v[97:98], v[99:100] offset1:1
	buffer_load_dword v97, off, s[20:23], 0 offset:208 ; 4-byte Folded Reload
	buffer_load_dword v98, off, s[20:23], 0 offset:212 ; 4-byte Folded Reload
	buffer_load_dword v99, off, s[20:23], 0 offset:216 ; 4-byte Folded Reload
	buffer_load_dword v100, off, s[20:23], 0 offset:220 ; 4-byte Folded Reload
	s_waitcnt vmcnt(0)
	ds_write2_b64 v125, v[97:98], v[99:100] offset0:36 offset1:37
	buffer_load_dword v97, off, s[20:23], 0 offset:192 ; 4-byte Folded Reload
	buffer_load_dword v98, off, s[20:23], 0 offset:196 ; 4-byte Folded Reload
	buffer_load_dword v99, off, s[20:23], 0 offset:200 ; 4-byte Folded Reload
	buffer_load_dword v100, off, s[20:23], 0 offset:204 ; 4-byte Folded Reload
	s_waitcnt vmcnt(0)
	ds_write2_b64 v125, v[97:98], v[99:100] offset0:38 offset1:39
	;; [unrolled: 6-line block ×13, first 2 shown]
	buffer_load_dword v97, off, s[20:23], 0 ; 4-byte Folded Reload
	buffer_load_dword v98, off, s[20:23], 0 offset:4 ; 4-byte Folded Reload
	buffer_load_dword v99, off, s[20:23], 0 offset:8 ; 4-byte Folded Reload
	;; [unrolled: 1-line block ×3, first 2 shown]
	s_waitcnt vmcnt(0)
	ds_write2_b64 v125, v[97:98], v[99:100] offset0:62 offset1:63
	ds_write2_b64 v125, v[93:94], v[95:96] offset0:64 offset1:65
	;; [unrolled: 1-line block ×24, first 2 shown]
	ds_read2_b64 v[97:100], v127 offset1:1
	s_waitcnt lgkmcnt(0)
	v_cmp_neq_f64_e32 vcc, 0, v[97:98]
	v_cmp_neq_f64_e64 s[2:3], 0, v[99:100]
	s_or_b64 s[2:3], vcc, s[2:3]
	s_and_b64 exec, exec, s[2:3]
	s_cbranch_execz .LBB109_161
; %bb.156:
	v_cmp_ngt_f64_e64 s[2:3], |v[97:98]|, |v[99:100]|
                                        ; implicit-def: $vgpr101_vgpr102
	s_and_saveexec_b64 s[6:7], s[2:3]
	s_xor_b64 s[2:3], exec, s[6:7]
                                        ; implicit-def: $vgpr103_vgpr104
	s_cbranch_execz .LBB109_158
; %bb.157:
	v_div_scale_f64 v[101:102], s[6:7], v[99:100], v[99:100], v[97:98]
	v_rcp_f64_e32 v[103:104], v[101:102]
	v_fma_f64 v[105:106], -v[101:102], v[103:104], 1.0
	v_fma_f64 v[103:104], v[103:104], v[105:106], v[103:104]
	v_div_scale_f64 v[105:106], vcc, v[97:98], v[99:100], v[97:98]
	v_fma_f64 v[107:108], -v[101:102], v[103:104], 1.0
	v_fma_f64 v[103:104], v[103:104], v[107:108], v[103:104]
	v_mul_f64 v[107:108], v[105:106], v[103:104]
	v_fma_f64 v[101:102], -v[101:102], v[107:108], v[105:106]
	v_div_fmas_f64 v[101:102], v[101:102], v[103:104], v[107:108]
	v_div_fixup_f64 v[101:102], v[101:102], v[99:100], v[97:98]
	v_fma_f64 v[97:98], v[97:98], v[101:102], v[99:100]
	v_div_scale_f64 v[99:100], s[6:7], v[97:98], v[97:98], 1.0
	v_div_scale_f64 v[107:108], vcc, 1.0, v[97:98], 1.0
	v_rcp_f64_e32 v[103:104], v[99:100]
	v_fma_f64 v[105:106], -v[99:100], v[103:104], 1.0
	v_fma_f64 v[103:104], v[103:104], v[105:106], v[103:104]
	v_fma_f64 v[105:106], -v[99:100], v[103:104], 1.0
	v_fma_f64 v[103:104], v[103:104], v[105:106], v[103:104]
	v_mul_f64 v[105:106], v[107:108], v[103:104]
	v_fma_f64 v[99:100], -v[99:100], v[105:106], v[107:108]
	v_div_fmas_f64 v[99:100], v[99:100], v[103:104], v[105:106]
	v_div_fixup_f64 v[103:104], v[99:100], v[97:98], 1.0
                                        ; implicit-def: $vgpr97_vgpr98
	v_mul_f64 v[101:102], v[101:102], v[103:104]
	v_xor_b32_e32 v104, 0x80000000, v104
.LBB109_158:
	s_andn2_saveexec_b64 s[2:3], s[2:3]
	s_cbranch_execz .LBB109_160
; %bb.159:
	v_div_scale_f64 v[101:102], s[6:7], v[97:98], v[97:98], v[99:100]
	v_rcp_f64_e32 v[103:104], v[101:102]
	v_fma_f64 v[105:106], -v[101:102], v[103:104], 1.0
	v_fma_f64 v[103:104], v[103:104], v[105:106], v[103:104]
	v_div_scale_f64 v[105:106], vcc, v[99:100], v[97:98], v[99:100]
	v_fma_f64 v[107:108], -v[101:102], v[103:104], 1.0
	v_fma_f64 v[103:104], v[103:104], v[107:108], v[103:104]
	v_mul_f64 v[107:108], v[105:106], v[103:104]
	v_fma_f64 v[101:102], -v[101:102], v[107:108], v[105:106]
	v_div_fmas_f64 v[101:102], v[101:102], v[103:104], v[107:108]
	v_div_fixup_f64 v[103:104], v[101:102], v[97:98], v[99:100]
	v_fma_f64 v[97:98], v[99:100], v[103:104], v[97:98]
	v_div_scale_f64 v[99:100], s[6:7], v[97:98], v[97:98], 1.0
	v_div_scale_f64 v[107:108], vcc, 1.0, v[97:98], 1.0
	v_rcp_f64_e32 v[101:102], v[99:100]
	v_fma_f64 v[105:106], -v[99:100], v[101:102], 1.0
	v_fma_f64 v[101:102], v[101:102], v[105:106], v[101:102]
	v_fma_f64 v[105:106], -v[99:100], v[101:102], 1.0
	v_fma_f64 v[101:102], v[101:102], v[105:106], v[101:102]
	v_mul_f64 v[105:106], v[107:108], v[101:102]
	v_fma_f64 v[99:100], -v[99:100], v[105:106], v[107:108]
	v_div_fmas_f64 v[99:100], v[99:100], v[101:102], v[105:106]
	v_div_fixup_f64 v[101:102], v[99:100], v[97:98], 1.0
	v_mul_f64 v[103:104], v[103:104], -v[101:102]
.LBB109_160:
	s_or_b64 exec, exec, s[2:3]
	ds_write2_b64 v127, v[101:102], v[103:104] offset1:1
.LBB109_161:
	s_or_b64 exec, exec, s[4:5]
	s_waitcnt lgkmcnt(0)
	s_barrier
	ds_read2_b64 v[87:90], v127 offset1:1
	v_cmp_lt_u32_e32 vcc, 17, v0
	s_waitcnt lgkmcnt(0)
	buffer_store_dword v87, off, s[20:23], 0 offset:1216 ; 4-byte Folded Spill
	s_nop 0
	buffer_store_dword v88, off, s[20:23], 0 offset:1220 ; 4-byte Folded Spill
	buffer_store_dword v89, off, s[20:23], 0 offset:1224 ; 4-byte Folded Spill
	;; [unrolled: 1-line block ×3, first 2 shown]
	s_and_saveexec_b64 s[2:3], vcc
	s_cbranch_execz .LBB109_163
; %bb.162:
	buffer_load_dword v107, off, s[20:23], 0 offset:224 ; 4-byte Folded Reload
	buffer_load_dword v108, off, s[20:23], 0 offset:228 ; 4-byte Folded Reload
	;; [unrolled: 1-line block ×8, first 2 shown]
	s_waitcnt vmcnt(2)
	v_mul_f64 v[99:100], v[87:88], v[109:110]
	s_waitcnt vmcnt(0)
	v_mul_f64 v[97:98], v[89:90], v[109:110]
	v_fma_f64 v[109:110], v[89:90], v[107:108], v[99:100]
	ds_read2_b64 v[99:102], v125 offset0:36 offset1:37
	v_fma_f64 v[97:98], v[87:88], v[107:108], -v[97:98]
	buffer_load_dword v105, off, s[20:23], 0 offset:208 ; 4-byte Folded Reload
	buffer_load_dword v106, off, s[20:23], 0 offset:212 ; 4-byte Folded Reload
	buffer_load_dword v107, off, s[20:23], 0 offset:216 ; 4-byte Folded Reload
	buffer_load_dword v108, off, s[20:23], 0 offset:220 ; 4-byte Folded Reload
	s_waitcnt lgkmcnt(0)
	v_mul_f64 v[103:104], v[101:102], v[109:110]
	v_fma_f64 v[103:104], v[99:100], v[97:98], -v[103:104]
	v_mul_f64 v[99:100], v[99:100], v[109:110]
	v_fma_f64 v[99:100], v[101:102], v[97:98], v[99:100]
	s_waitcnt vmcnt(2)
	v_add_f64 v[105:106], v[105:106], -v[103:104]
	s_waitcnt vmcnt(0)
	v_add_f64 v[107:108], v[107:108], -v[99:100]
	buffer_store_dword v105, off, s[20:23], 0 offset:208 ; 4-byte Folded Spill
	s_nop 0
	buffer_store_dword v106, off, s[20:23], 0 offset:212 ; 4-byte Folded Spill
	buffer_store_dword v107, off, s[20:23], 0 offset:216 ; 4-byte Folded Spill
	buffer_store_dword v108, off, s[20:23], 0 offset:220 ; 4-byte Folded Spill
	ds_read2_b64 v[99:102], v125 offset0:38 offset1:39
	buffer_load_dword v105, off, s[20:23], 0 offset:192 ; 4-byte Folded Reload
	buffer_load_dword v106, off, s[20:23], 0 offset:196 ; 4-byte Folded Reload
	buffer_load_dword v107, off, s[20:23], 0 offset:200 ; 4-byte Folded Reload
	buffer_load_dword v108, off, s[20:23], 0 offset:204 ; 4-byte Folded Reload
	s_waitcnt lgkmcnt(0)
	v_mul_f64 v[103:104], v[101:102], v[109:110]
	v_fma_f64 v[103:104], v[99:100], v[97:98], -v[103:104]
	v_mul_f64 v[99:100], v[99:100], v[109:110]
	v_fma_f64 v[99:100], v[101:102], v[97:98], v[99:100]
	s_waitcnt vmcnt(2)
	v_add_f64 v[105:106], v[105:106], -v[103:104]
	s_waitcnt vmcnt(0)
	v_add_f64 v[107:108], v[107:108], -v[99:100]
	buffer_store_dword v105, off, s[20:23], 0 offset:192 ; 4-byte Folded Spill
	s_nop 0
	buffer_store_dword v106, off, s[20:23], 0 offset:196 ; 4-byte Folded Spill
	buffer_store_dword v107, off, s[20:23], 0 offset:200 ; 4-byte Folded Spill
	buffer_store_dword v108, off, s[20:23], 0 offset:204 ; 4-byte Folded Spill
	ds_read2_b64 v[99:102], v125 offset0:40 offset1:41
	;; [unrolled: 19-line block ×13, first 2 shown]
	buffer_load_dword v105, off, s[20:23], 0 ; 4-byte Folded Reload
	buffer_load_dword v106, off, s[20:23], 0 offset:4 ; 4-byte Folded Reload
	buffer_load_dword v107, off, s[20:23], 0 offset:8 ; 4-byte Folded Reload
	;; [unrolled: 1-line block ×3, first 2 shown]
	s_waitcnt lgkmcnt(0)
	v_mul_f64 v[103:104], v[101:102], v[109:110]
	v_fma_f64 v[103:104], v[99:100], v[97:98], -v[103:104]
	v_mul_f64 v[99:100], v[99:100], v[109:110]
	v_fma_f64 v[99:100], v[101:102], v[97:98], v[99:100]
	s_waitcnt vmcnt(2)
	v_add_f64 v[105:106], v[105:106], -v[103:104]
	s_waitcnt vmcnt(0)
	v_add_f64 v[107:108], v[107:108], -v[99:100]
	buffer_store_dword v105, off, s[20:23], 0 ; 4-byte Folded Spill
	s_nop 0
	buffer_store_dword v106, off, s[20:23], 0 offset:4 ; 4-byte Folded Spill
	buffer_store_dword v107, off, s[20:23], 0 offset:8 ; 4-byte Folded Spill
	;; [unrolled: 1-line block ×3, first 2 shown]
	ds_read2_b64 v[99:102], v125 offset0:64 offset1:65
	v_mov_b32_e32 v108, v98
	v_mov_b32_e32 v107, v97
	s_waitcnt lgkmcnt(0)
	v_mul_f64 v[103:104], v[101:102], v[109:110]
	v_fma_f64 v[103:104], v[99:100], v[97:98], -v[103:104]
	v_mul_f64 v[99:100], v[99:100], v[109:110]
	v_add_f64 v[93:94], v[93:94], -v[103:104]
	v_fma_f64 v[99:100], v[101:102], v[97:98], v[99:100]
	v_add_f64 v[95:96], v[95:96], -v[99:100]
	ds_read2_b64 v[99:102], v125 offset0:66 offset1:67
	s_waitcnt lgkmcnt(0)
	v_mul_f64 v[103:104], v[101:102], v[109:110]
	v_fma_f64 v[103:104], v[99:100], v[97:98], -v[103:104]
	v_mul_f64 v[99:100], v[99:100], v[109:110]
	v_add_f64 v[81:82], v[81:82], -v[103:104]
	v_fma_f64 v[99:100], v[101:102], v[97:98], v[99:100]
	v_add_f64 v[83:84], v[83:84], -v[99:100]
	ds_read2_b64 v[99:102], v125 offset0:68 offset1:69
	;; [unrolled: 8-line block ×22, first 2 shown]
	s_waitcnt lgkmcnt(0)
	v_mul_f64 v[103:104], v[101:102], v[109:110]
	v_fma_f64 v[103:104], v[99:100], v[97:98], -v[103:104]
	v_mul_f64 v[99:100], v[99:100], v[109:110]
	buffer_store_dword v107, off, s[20:23], 0 offset:224 ; 4-byte Folded Spill
	s_nop 0
	buffer_store_dword v108, off, s[20:23], 0 offset:228 ; 4-byte Folded Spill
	buffer_store_dword v109, off, s[20:23], 0 offset:232 ; 4-byte Folded Spill
	;; [unrolled: 1-line block ×3, first 2 shown]
	v_add_f64 v[121:122], v[121:122], -v[103:104]
	v_fma_f64 v[99:100], v[101:102], v[97:98], v[99:100]
	v_add_f64 v[123:124], v[123:124], -v[99:100]
.LBB109_163:
	s_or_b64 exec, exec, s[2:3]
	v_cmp_eq_u32_e32 vcc, 18, v0
	s_waitcnt vmcnt(0)
	s_barrier
	s_and_saveexec_b64 s[4:5], vcc
	s_cbranch_execz .LBB109_170
; %bb.164:
	buffer_load_dword v97, off, s[20:23], 0 offset:208 ; 4-byte Folded Reload
	buffer_load_dword v98, off, s[20:23], 0 offset:212 ; 4-byte Folded Reload
	;; [unrolled: 1-line block ×4, first 2 shown]
	s_waitcnt vmcnt(0)
	ds_write2_b64 v127, v[97:98], v[99:100] offset1:1
	buffer_load_dword v97, off, s[20:23], 0 offset:192 ; 4-byte Folded Reload
	buffer_load_dword v98, off, s[20:23], 0 offset:196 ; 4-byte Folded Reload
	buffer_load_dword v99, off, s[20:23], 0 offset:200 ; 4-byte Folded Reload
	buffer_load_dword v100, off, s[20:23], 0 offset:204 ; 4-byte Folded Reload
	s_waitcnt vmcnt(0)
	ds_write2_b64 v125, v[97:98], v[99:100] offset0:38 offset1:39
	buffer_load_dword v97, off, s[20:23], 0 offset:176 ; 4-byte Folded Reload
	buffer_load_dword v98, off, s[20:23], 0 offset:180 ; 4-byte Folded Reload
	buffer_load_dword v99, off, s[20:23], 0 offset:184 ; 4-byte Folded Reload
	buffer_load_dword v100, off, s[20:23], 0 offset:188 ; 4-byte Folded Reload
	s_waitcnt vmcnt(0)
	ds_write2_b64 v125, v[97:98], v[99:100] offset0:40 offset1:41
	;; [unrolled: 6-line block ×12, first 2 shown]
	buffer_load_dword v97, off, s[20:23], 0 ; 4-byte Folded Reload
	buffer_load_dword v98, off, s[20:23], 0 offset:4 ; 4-byte Folded Reload
	buffer_load_dword v99, off, s[20:23], 0 offset:8 ; 4-byte Folded Reload
	;; [unrolled: 1-line block ×3, first 2 shown]
	s_waitcnt vmcnt(0)
	ds_write2_b64 v125, v[97:98], v[99:100] offset0:62 offset1:63
	ds_write2_b64 v125, v[93:94], v[95:96] offset0:64 offset1:65
	;; [unrolled: 1-line block ×24, first 2 shown]
	ds_read2_b64 v[97:100], v127 offset1:1
	s_waitcnt lgkmcnt(0)
	v_cmp_neq_f64_e32 vcc, 0, v[97:98]
	v_cmp_neq_f64_e64 s[2:3], 0, v[99:100]
	s_or_b64 s[2:3], vcc, s[2:3]
	s_and_b64 exec, exec, s[2:3]
	s_cbranch_execz .LBB109_170
; %bb.165:
	v_cmp_ngt_f64_e64 s[2:3], |v[97:98]|, |v[99:100]|
                                        ; implicit-def: $vgpr101_vgpr102
	s_and_saveexec_b64 s[6:7], s[2:3]
	s_xor_b64 s[2:3], exec, s[6:7]
                                        ; implicit-def: $vgpr103_vgpr104
	s_cbranch_execz .LBB109_167
; %bb.166:
	v_div_scale_f64 v[101:102], s[6:7], v[99:100], v[99:100], v[97:98]
	v_rcp_f64_e32 v[103:104], v[101:102]
	v_fma_f64 v[105:106], -v[101:102], v[103:104], 1.0
	v_fma_f64 v[103:104], v[103:104], v[105:106], v[103:104]
	v_div_scale_f64 v[105:106], vcc, v[97:98], v[99:100], v[97:98]
	v_fma_f64 v[107:108], -v[101:102], v[103:104], 1.0
	v_fma_f64 v[103:104], v[103:104], v[107:108], v[103:104]
	v_mul_f64 v[107:108], v[105:106], v[103:104]
	v_fma_f64 v[101:102], -v[101:102], v[107:108], v[105:106]
	v_div_fmas_f64 v[101:102], v[101:102], v[103:104], v[107:108]
	v_div_fixup_f64 v[101:102], v[101:102], v[99:100], v[97:98]
	v_fma_f64 v[97:98], v[97:98], v[101:102], v[99:100]
	v_div_scale_f64 v[99:100], s[6:7], v[97:98], v[97:98], 1.0
	v_div_scale_f64 v[107:108], vcc, 1.0, v[97:98], 1.0
	v_rcp_f64_e32 v[103:104], v[99:100]
	v_fma_f64 v[105:106], -v[99:100], v[103:104], 1.0
	v_fma_f64 v[103:104], v[103:104], v[105:106], v[103:104]
	v_fma_f64 v[105:106], -v[99:100], v[103:104], 1.0
	v_fma_f64 v[103:104], v[103:104], v[105:106], v[103:104]
	v_mul_f64 v[105:106], v[107:108], v[103:104]
	v_fma_f64 v[99:100], -v[99:100], v[105:106], v[107:108]
	v_div_fmas_f64 v[99:100], v[99:100], v[103:104], v[105:106]
	v_div_fixup_f64 v[103:104], v[99:100], v[97:98], 1.0
                                        ; implicit-def: $vgpr97_vgpr98
	v_mul_f64 v[101:102], v[101:102], v[103:104]
	v_xor_b32_e32 v104, 0x80000000, v104
.LBB109_167:
	s_andn2_saveexec_b64 s[2:3], s[2:3]
	s_cbranch_execz .LBB109_169
; %bb.168:
	v_div_scale_f64 v[101:102], s[6:7], v[97:98], v[97:98], v[99:100]
	v_rcp_f64_e32 v[103:104], v[101:102]
	v_fma_f64 v[105:106], -v[101:102], v[103:104], 1.0
	v_fma_f64 v[103:104], v[103:104], v[105:106], v[103:104]
	v_div_scale_f64 v[105:106], vcc, v[99:100], v[97:98], v[99:100]
	v_fma_f64 v[107:108], -v[101:102], v[103:104], 1.0
	v_fma_f64 v[103:104], v[103:104], v[107:108], v[103:104]
	v_mul_f64 v[107:108], v[105:106], v[103:104]
	v_fma_f64 v[101:102], -v[101:102], v[107:108], v[105:106]
	v_div_fmas_f64 v[101:102], v[101:102], v[103:104], v[107:108]
	v_div_fixup_f64 v[103:104], v[101:102], v[97:98], v[99:100]
	v_fma_f64 v[97:98], v[99:100], v[103:104], v[97:98]
	v_div_scale_f64 v[99:100], s[6:7], v[97:98], v[97:98], 1.0
	v_div_scale_f64 v[107:108], vcc, 1.0, v[97:98], 1.0
	v_rcp_f64_e32 v[101:102], v[99:100]
	v_fma_f64 v[105:106], -v[99:100], v[101:102], 1.0
	v_fma_f64 v[101:102], v[101:102], v[105:106], v[101:102]
	v_fma_f64 v[105:106], -v[99:100], v[101:102], 1.0
	v_fma_f64 v[101:102], v[101:102], v[105:106], v[101:102]
	v_mul_f64 v[105:106], v[107:108], v[101:102]
	v_fma_f64 v[99:100], -v[99:100], v[105:106], v[107:108]
	v_div_fmas_f64 v[99:100], v[99:100], v[101:102], v[105:106]
	v_div_fixup_f64 v[101:102], v[99:100], v[97:98], 1.0
	v_mul_f64 v[103:104], v[103:104], -v[101:102]
.LBB109_169:
	s_or_b64 exec, exec, s[2:3]
	ds_write2_b64 v127, v[101:102], v[103:104] offset1:1
.LBB109_170:
	s_or_b64 exec, exec, s[4:5]
	s_waitcnt lgkmcnt(0)
	s_barrier
	ds_read2_b64 v[87:90], v127 offset1:1
	v_cmp_lt_u32_e32 vcc, 18, v0
	s_waitcnt lgkmcnt(0)
	buffer_store_dword v87, off, s[20:23], 0 offset:1232 ; 4-byte Folded Spill
	s_nop 0
	buffer_store_dword v88, off, s[20:23], 0 offset:1236 ; 4-byte Folded Spill
	buffer_store_dword v89, off, s[20:23], 0 offset:1240 ; 4-byte Folded Spill
	;; [unrolled: 1-line block ×3, first 2 shown]
	s_and_saveexec_b64 s[2:3], vcc
	s_cbranch_execz .LBB109_172
; %bb.171:
	buffer_load_dword v107, off, s[20:23], 0 offset:208 ; 4-byte Folded Reload
	buffer_load_dword v108, off, s[20:23], 0 offset:212 ; 4-byte Folded Reload
	;; [unrolled: 1-line block ×8, first 2 shown]
	s_waitcnt vmcnt(2)
	v_mul_f64 v[99:100], v[87:88], v[109:110]
	s_waitcnt vmcnt(0)
	v_mul_f64 v[97:98], v[89:90], v[109:110]
	v_fma_f64 v[109:110], v[89:90], v[107:108], v[99:100]
	ds_read2_b64 v[99:102], v125 offset0:38 offset1:39
	v_fma_f64 v[97:98], v[87:88], v[107:108], -v[97:98]
	buffer_load_dword v105, off, s[20:23], 0 offset:192 ; 4-byte Folded Reload
	buffer_load_dword v106, off, s[20:23], 0 offset:196 ; 4-byte Folded Reload
	buffer_load_dword v107, off, s[20:23], 0 offset:200 ; 4-byte Folded Reload
	buffer_load_dword v108, off, s[20:23], 0 offset:204 ; 4-byte Folded Reload
	s_waitcnt lgkmcnt(0)
	v_mul_f64 v[103:104], v[101:102], v[109:110]
	v_fma_f64 v[103:104], v[99:100], v[97:98], -v[103:104]
	v_mul_f64 v[99:100], v[99:100], v[109:110]
	v_fma_f64 v[99:100], v[101:102], v[97:98], v[99:100]
	s_waitcnt vmcnt(2)
	v_add_f64 v[105:106], v[105:106], -v[103:104]
	s_waitcnt vmcnt(0)
	v_add_f64 v[107:108], v[107:108], -v[99:100]
	buffer_store_dword v105, off, s[20:23], 0 offset:192 ; 4-byte Folded Spill
	s_nop 0
	buffer_store_dword v106, off, s[20:23], 0 offset:196 ; 4-byte Folded Spill
	buffer_store_dword v107, off, s[20:23], 0 offset:200 ; 4-byte Folded Spill
	buffer_store_dword v108, off, s[20:23], 0 offset:204 ; 4-byte Folded Spill
	ds_read2_b64 v[99:102], v125 offset0:40 offset1:41
	buffer_load_dword v105, off, s[20:23], 0 offset:176 ; 4-byte Folded Reload
	buffer_load_dword v106, off, s[20:23], 0 offset:180 ; 4-byte Folded Reload
	buffer_load_dword v107, off, s[20:23], 0 offset:184 ; 4-byte Folded Reload
	buffer_load_dword v108, off, s[20:23], 0 offset:188 ; 4-byte Folded Reload
	s_waitcnt lgkmcnt(0)
	v_mul_f64 v[103:104], v[101:102], v[109:110]
	v_fma_f64 v[103:104], v[99:100], v[97:98], -v[103:104]
	v_mul_f64 v[99:100], v[99:100], v[109:110]
	v_fma_f64 v[99:100], v[101:102], v[97:98], v[99:100]
	s_waitcnt vmcnt(2)
	v_add_f64 v[105:106], v[105:106], -v[103:104]
	s_waitcnt vmcnt(0)
	v_add_f64 v[107:108], v[107:108], -v[99:100]
	buffer_store_dword v105, off, s[20:23], 0 offset:176 ; 4-byte Folded Spill
	s_nop 0
	buffer_store_dword v106, off, s[20:23], 0 offset:180 ; 4-byte Folded Spill
	buffer_store_dword v107, off, s[20:23], 0 offset:184 ; 4-byte Folded Spill
	buffer_store_dword v108, off, s[20:23], 0 offset:188 ; 4-byte Folded Spill
	ds_read2_b64 v[99:102], v125 offset0:42 offset1:43
	;; [unrolled: 19-line block ×12, first 2 shown]
	buffer_load_dword v105, off, s[20:23], 0 ; 4-byte Folded Reload
	buffer_load_dword v106, off, s[20:23], 0 offset:4 ; 4-byte Folded Reload
	buffer_load_dword v107, off, s[20:23], 0 offset:8 ; 4-byte Folded Reload
	;; [unrolled: 1-line block ×3, first 2 shown]
	s_waitcnt lgkmcnt(0)
	v_mul_f64 v[103:104], v[101:102], v[109:110]
	v_fma_f64 v[103:104], v[99:100], v[97:98], -v[103:104]
	v_mul_f64 v[99:100], v[99:100], v[109:110]
	v_fma_f64 v[99:100], v[101:102], v[97:98], v[99:100]
	s_waitcnt vmcnt(2)
	v_add_f64 v[105:106], v[105:106], -v[103:104]
	s_waitcnt vmcnt(0)
	v_add_f64 v[107:108], v[107:108], -v[99:100]
	buffer_store_dword v105, off, s[20:23], 0 ; 4-byte Folded Spill
	s_nop 0
	buffer_store_dword v106, off, s[20:23], 0 offset:4 ; 4-byte Folded Spill
	buffer_store_dword v107, off, s[20:23], 0 offset:8 ; 4-byte Folded Spill
	;; [unrolled: 1-line block ×3, first 2 shown]
	ds_read2_b64 v[99:102], v125 offset0:64 offset1:65
	v_mov_b32_e32 v108, v98
	v_mov_b32_e32 v107, v97
	s_waitcnt lgkmcnt(0)
	v_mul_f64 v[103:104], v[101:102], v[109:110]
	v_fma_f64 v[103:104], v[99:100], v[97:98], -v[103:104]
	v_mul_f64 v[99:100], v[99:100], v[109:110]
	v_add_f64 v[93:94], v[93:94], -v[103:104]
	v_fma_f64 v[99:100], v[101:102], v[97:98], v[99:100]
	v_add_f64 v[95:96], v[95:96], -v[99:100]
	ds_read2_b64 v[99:102], v125 offset0:66 offset1:67
	s_waitcnt lgkmcnt(0)
	v_mul_f64 v[103:104], v[101:102], v[109:110]
	v_fma_f64 v[103:104], v[99:100], v[97:98], -v[103:104]
	v_mul_f64 v[99:100], v[99:100], v[109:110]
	v_add_f64 v[81:82], v[81:82], -v[103:104]
	v_fma_f64 v[99:100], v[101:102], v[97:98], v[99:100]
	v_add_f64 v[83:84], v[83:84], -v[99:100]
	ds_read2_b64 v[99:102], v125 offset0:68 offset1:69
	;; [unrolled: 8-line block ×22, first 2 shown]
	s_waitcnt lgkmcnt(0)
	v_mul_f64 v[103:104], v[101:102], v[109:110]
	v_fma_f64 v[103:104], v[99:100], v[97:98], -v[103:104]
	v_mul_f64 v[99:100], v[99:100], v[109:110]
	buffer_store_dword v107, off, s[20:23], 0 offset:208 ; 4-byte Folded Spill
	s_nop 0
	buffer_store_dword v108, off, s[20:23], 0 offset:212 ; 4-byte Folded Spill
	buffer_store_dword v109, off, s[20:23], 0 offset:216 ; 4-byte Folded Spill
	;; [unrolled: 1-line block ×3, first 2 shown]
	v_add_f64 v[121:122], v[121:122], -v[103:104]
	v_fma_f64 v[99:100], v[101:102], v[97:98], v[99:100]
	v_add_f64 v[123:124], v[123:124], -v[99:100]
.LBB109_172:
	s_or_b64 exec, exec, s[2:3]
	v_cmp_eq_u32_e32 vcc, 19, v0
	s_waitcnt vmcnt(0)
	s_barrier
	s_and_saveexec_b64 s[4:5], vcc
	s_cbranch_execz .LBB109_179
; %bb.173:
	buffer_load_dword v97, off, s[20:23], 0 offset:192 ; 4-byte Folded Reload
	buffer_load_dword v98, off, s[20:23], 0 offset:196 ; 4-byte Folded Reload
	buffer_load_dword v99, off, s[20:23], 0 offset:200 ; 4-byte Folded Reload
	buffer_load_dword v100, off, s[20:23], 0 offset:204 ; 4-byte Folded Reload
	s_waitcnt vmcnt(0)
	ds_write2_b64 v127, v[97:98], v[99:100] offset1:1
	buffer_load_dword v97, off, s[20:23], 0 offset:176 ; 4-byte Folded Reload
	buffer_load_dword v98, off, s[20:23], 0 offset:180 ; 4-byte Folded Reload
	buffer_load_dword v99, off, s[20:23], 0 offset:184 ; 4-byte Folded Reload
	buffer_load_dword v100, off, s[20:23], 0 offset:188 ; 4-byte Folded Reload
	s_waitcnt vmcnt(0)
	ds_write2_b64 v125, v[97:98], v[99:100] offset0:40 offset1:41
	buffer_load_dword v97, off, s[20:23], 0 offset:160 ; 4-byte Folded Reload
	buffer_load_dword v98, off, s[20:23], 0 offset:164 ; 4-byte Folded Reload
	buffer_load_dword v99, off, s[20:23], 0 offset:168 ; 4-byte Folded Reload
	buffer_load_dword v100, off, s[20:23], 0 offset:172 ; 4-byte Folded Reload
	s_waitcnt vmcnt(0)
	ds_write2_b64 v125, v[97:98], v[99:100] offset0:42 offset1:43
	;; [unrolled: 6-line block ×11, first 2 shown]
	buffer_load_dword v97, off, s[20:23], 0 ; 4-byte Folded Reload
	buffer_load_dword v98, off, s[20:23], 0 offset:4 ; 4-byte Folded Reload
	buffer_load_dword v99, off, s[20:23], 0 offset:8 ; 4-byte Folded Reload
	buffer_load_dword v100, off, s[20:23], 0 offset:12 ; 4-byte Folded Reload
	s_waitcnt vmcnt(0)
	ds_write2_b64 v125, v[97:98], v[99:100] offset0:62 offset1:63
	ds_write2_b64 v125, v[93:94], v[95:96] offset0:64 offset1:65
	;; [unrolled: 1-line block ×24, first 2 shown]
	ds_read2_b64 v[97:100], v127 offset1:1
	s_waitcnt lgkmcnt(0)
	v_cmp_neq_f64_e32 vcc, 0, v[97:98]
	v_cmp_neq_f64_e64 s[2:3], 0, v[99:100]
	s_or_b64 s[2:3], vcc, s[2:3]
	s_and_b64 exec, exec, s[2:3]
	s_cbranch_execz .LBB109_179
; %bb.174:
	v_cmp_ngt_f64_e64 s[2:3], |v[97:98]|, |v[99:100]|
                                        ; implicit-def: $vgpr101_vgpr102
	s_and_saveexec_b64 s[6:7], s[2:3]
	s_xor_b64 s[2:3], exec, s[6:7]
                                        ; implicit-def: $vgpr103_vgpr104
	s_cbranch_execz .LBB109_176
; %bb.175:
	v_div_scale_f64 v[101:102], s[6:7], v[99:100], v[99:100], v[97:98]
	v_rcp_f64_e32 v[103:104], v[101:102]
	v_fma_f64 v[105:106], -v[101:102], v[103:104], 1.0
	v_fma_f64 v[103:104], v[103:104], v[105:106], v[103:104]
	v_div_scale_f64 v[105:106], vcc, v[97:98], v[99:100], v[97:98]
	v_fma_f64 v[107:108], -v[101:102], v[103:104], 1.0
	v_fma_f64 v[103:104], v[103:104], v[107:108], v[103:104]
	v_mul_f64 v[107:108], v[105:106], v[103:104]
	v_fma_f64 v[101:102], -v[101:102], v[107:108], v[105:106]
	v_div_fmas_f64 v[101:102], v[101:102], v[103:104], v[107:108]
	v_div_fixup_f64 v[101:102], v[101:102], v[99:100], v[97:98]
	v_fma_f64 v[97:98], v[97:98], v[101:102], v[99:100]
	v_div_scale_f64 v[99:100], s[6:7], v[97:98], v[97:98], 1.0
	v_div_scale_f64 v[107:108], vcc, 1.0, v[97:98], 1.0
	v_rcp_f64_e32 v[103:104], v[99:100]
	v_fma_f64 v[105:106], -v[99:100], v[103:104], 1.0
	v_fma_f64 v[103:104], v[103:104], v[105:106], v[103:104]
	v_fma_f64 v[105:106], -v[99:100], v[103:104], 1.0
	v_fma_f64 v[103:104], v[103:104], v[105:106], v[103:104]
	v_mul_f64 v[105:106], v[107:108], v[103:104]
	v_fma_f64 v[99:100], -v[99:100], v[105:106], v[107:108]
	v_div_fmas_f64 v[99:100], v[99:100], v[103:104], v[105:106]
	v_div_fixup_f64 v[103:104], v[99:100], v[97:98], 1.0
                                        ; implicit-def: $vgpr97_vgpr98
	v_mul_f64 v[101:102], v[101:102], v[103:104]
	v_xor_b32_e32 v104, 0x80000000, v104
.LBB109_176:
	s_andn2_saveexec_b64 s[2:3], s[2:3]
	s_cbranch_execz .LBB109_178
; %bb.177:
	v_div_scale_f64 v[101:102], s[6:7], v[97:98], v[97:98], v[99:100]
	v_rcp_f64_e32 v[103:104], v[101:102]
	v_fma_f64 v[105:106], -v[101:102], v[103:104], 1.0
	v_fma_f64 v[103:104], v[103:104], v[105:106], v[103:104]
	v_div_scale_f64 v[105:106], vcc, v[99:100], v[97:98], v[99:100]
	v_fma_f64 v[107:108], -v[101:102], v[103:104], 1.0
	v_fma_f64 v[103:104], v[103:104], v[107:108], v[103:104]
	v_mul_f64 v[107:108], v[105:106], v[103:104]
	v_fma_f64 v[101:102], -v[101:102], v[107:108], v[105:106]
	v_div_fmas_f64 v[101:102], v[101:102], v[103:104], v[107:108]
	v_div_fixup_f64 v[103:104], v[101:102], v[97:98], v[99:100]
	v_fma_f64 v[97:98], v[99:100], v[103:104], v[97:98]
	v_div_scale_f64 v[99:100], s[6:7], v[97:98], v[97:98], 1.0
	v_div_scale_f64 v[107:108], vcc, 1.0, v[97:98], 1.0
	v_rcp_f64_e32 v[101:102], v[99:100]
	v_fma_f64 v[105:106], -v[99:100], v[101:102], 1.0
	v_fma_f64 v[101:102], v[101:102], v[105:106], v[101:102]
	v_fma_f64 v[105:106], -v[99:100], v[101:102], 1.0
	v_fma_f64 v[101:102], v[101:102], v[105:106], v[101:102]
	v_mul_f64 v[105:106], v[107:108], v[101:102]
	v_fma_f64 v[99:100], -v[99:100], v[105:106], v[107:108]
	v_div_fmas_f64 v[99:100], v[99:100], v[101:102], v[105:106]
	v_div_fixup_f64 v[101:102], v[99:100], v[97:98], 1.0
	v_mul_f64 v[103:104], v[103:104], -v[101:102]
.LBB109_178:
	s_or_b64 exec, exec, s[2:3]
	ds_write2_b64 v127, v[101:102], v[103:104] offset1:1
.LBB109_179:
	s_or_b64 exec, exec, s[4:5]
	s_waitcnt lgkmcnt(0)
	s_barrier
	ds_read2_b64 v[87:90], v127 offset1:1
	v_cmp_lt_u32_e32 vcc, 19, v0
	s_waitcnt lgkmcnt(0)
	buffer_store_dword v87, off, s[20:23], 0 offset:1248 ; 4-byte Folded Spill
	s_nop 0
	buffer_store_dword v88, off, s[20:23], 0 offset:1252 ; 4-byte Folded Spill
	buffer_store_dword v89, off, s[20:23], 0 offset:1256 ; 4-byte Folded Spill
	;; [unrolled: 1-line block ×3, first 2 shown]
	s_and_saveexec_b64 s[2:3], vcc
	s_cbranch_execz .LBB109_181
; %bb.180:
	buffer_load_dword v107, off, s[20:23], 0 offset:192 ; 4-byte Folded Reload
	buffer_load_dword v108, off, s[20:23], 0 offset:196 ; 4-byte Folded Reload
	;; [unrolled: 1-line block ×8, first 2 shown]
	s_waitcnt vmcnt(2)
	v_mul_f64 v[99:100], v[87:88], v[109:110]
	s_waitcnt vmcnt(0)
	v_mul_f64 v[97:98], v[89:90], v[109:110]
	v_fma_f64 v[109:110], v[89:90], v[107:108], v[99:100]
	ds_read2_b64 v[99:102], v125 offset0:40 offset1:41
	v_fma_f64 v[97:98], v[87:88], v[107:108], -v[97:98]
	buffer_load_dword v105, off, s[20:23], 0 offset:176 ; 4-byte Folded Reload
	buffer_load_dword v106, off, s[20:23], 0 offset:180 ; 4-byte Folded Reload
	buffer_load_dword v107, off, s[20:23], 0 offset:184 ; 4-byte Folded Reload
	buffer_load_dword v108, off, s[20:23], 0 offset:188 ; 4-byte Folded Reload
	s_waitcnt lgkmcnt(0)
	v_mul_f64 v[103:104], v[101:102], v[109:110]
	v_fma_f64 v[103:104], v[99:100], v[97:98], -v[103:104]
	v_mul_f64 v[99:100], v[99:100], v[109:110]
	v_fma_f64 v[99:100], v[101:102], v[97:98], v[99:100]
	s_waitcnt vmcnt(2)
	v_add_f64 v[105:106], v[105:106], -v[103:104]
	s_waitcnt vmcnt(0)
	v_add_f64 v[107:108], v[107:108], -v[99:100]
	buffer_store_dword v105, off, s[20:23], 0 offset:176 ; 4-byte Folded Spill
	s_nop 0
	buffer_store_dword v106, off, s[20:23], 0 offset:180 ; 4-byte Folded Spill
	buffer_store_dword v107, off, s[20:23], 0 offset:184 ; 4-byte Folded Spill
	buffer_store_dword v108, off, s[20:23], 0 offset:188 ; 4-byte Folded Spill
	ds_read2_b64 v[99:102], v125 offset0:42 offset1:43
	buffer_load_dword v105, off, s[20:23], 0 offset:160 ; 4-byte Folded Reload
	buffer_load_dword v106, off, s[20:23], 0 offset:164 ; 4-byte Folded Reload
	buffer_load_dword v107, off, s[20:23], 0 offset:168 ; 4-byte Folded Reload
	buffer_load_dword v108, off, s[20:23], 0 offset:172 ; 4-byte Folded Reload
	s_waitcnt lgkmcnt(0)
	v_mul_f64 v[103:104], v[101:102], v[109:110]
	v_fma_f64 v[103:104], v[99:100], v[97:98], -v[103:104]
	v_mul_f64 v[99:100], v[99:100], v[109:110]
	v_fma_f64 v[99:100], v[101:102], v[97:98], v[99:100]
	s_waitcnt vmcnt(2)
	v_add_f64 v[105:106], v[105:106], -v[103:104]
	s_waitcnt vmcnt(0)
	v_add_f64 v[107:108], v[107:108], -v[99:100]
	buffer_store_dword v105, off, s[20:23], 0 offset:160 ; 4-byte Folded Spill
	s_nop 0
	buffer_store_dword v106, off, s[20:23], 0 offset:164 ; 4-byte Folded Spill
	buffer_store_dword v107, off, s[20:23], 0 offset:168 ; 4-byte Folded Spill
	buffer_store_dword v108, off, s[20:23], 0 offset:172 ; 4-byte Folded Spill
	ds_read2_b64 v[99:102], v125 offset0:44 offset1:45
	;; [unrolled: 19-line block ×11, first 2 shown]
	buffer_load_dword v105, off, s[20:23], 0 ; 4-byte Folded Reload
	buffer_load_dword v106, off, s[20:23], 0 offset:4 ; 4-byte Folded Reload
	buffer_load_dword v107, off, s[20:23], 0 offset:8 ; 4-byte Folded Reload
	;; [unrolled: 1-line block ×3, first 2 shown]
	s_waitcnt lgkmcnt(0)
	v_mul_f64 v[103:104], v[101:102], v[109:110]
	v_fma_f64 v[103:104], v[99:100], v[97:98], -v[103:104]
	v_mul_f64 v[99:100], v[99:100], v[109:110]
	v_fma_f64 v[99:100], v[101:102], v[97:98], v[99:100]
	s_waitcnt vmcnt(2)
	v_add_f64 v[105:106], v[105:106], -v[103:104]
	s_waitcnt vmcnt(0)
	v_add_f64 v[107:108], v[107:108], -v[99:100]
	buffer_store_dword v105, off, s[20:23], 0 ; 4-byte Folded Spill
	s_nop 0
	buffer_store_dword v106, off, s[20:23], 0 offset:4 ; 4-byte Folded Spill
	buffer_store_dword v107, off, s[20:23], 0 offset:8 ; 4-byte Folded Spill
	;; [unrolled: 1-line block ×3, first 2 shown]
	ds_read2_b64 v[99:102], v125 offset0:64 offset1:65
	v_mov_b32_e32 v108, v98
	v_mov_b32_e32 v107, v97
	s_waitcnt lgkmcnt(0)
	v_mul_f64 v[103:104], v[101:102], v[109:110]
	v_fma_f64 v[103:104], v[99:100], v[97:98], -v[103:104]
	v_mul_f64 v[99:100], v[99:100], v[109:110]
	v_add_f64 v[93:94], v[93:94], -v[103:104]
	v_fma_f64 v[99:100], v[101:102], v[97:98], v[99:100]
	v_add_f64 v[95:96], v[95:96], -v[99:100]
	ds_read2_b64 v[99:102], v125 offset0:66 offset1:67
	s_waitcnt lgkmcnt(0)
	v_mul_f64 v[103:104], v[101:102], v[109:110]
	v_fma_f64 v[103:104], v[99:100], v[97:98], -v[103:104]
	v_mul_f64 v[99:100], v[99:100], v[109:110]
	v_add_f64 v[81:82], v[81:82], -v[103:104]
	v_fma_f64 v[99:100], v[101:102], v[97:98], v[99:100]
	v_add_f64 v[83:84], v[83:84], -v[99:100]
	ds_read2_b64 v[99:102], v125 offset0:68 offset1:69
	;; [unrolled: 8-line block ×22, first 2 shown]
	s_waitcnt lgkmcnt(0)
	v_mul_f64 v[103:104], v[101:102], v[109:110]
	v_fma_f64 v[103:104], v[99:100], v[97:98], -v[103:104]
	v_mul_f64 v[99:100], v[99:100], v[109:110]
	buffer_store_dword v107, off, s[20:23], 0 offset:192 ; 4-byte Folded Spill
	s_nop 0
	buffer_store_dword v108, off, s[20:23], 0 offset:196 ; 4-byte Folded Spill
	buffer_store_dword v109, off, s[20:23], 0 offset:200 ; 4-byte Folded Spill
	;; [unrolled: 1-line block ×3, first 2 shown]
	v_add_f64 v[121:122], v[121:122], -v[103:104]
	v_fma_f64 v[99:100], v[101:102], v[97:98], v[99:100]
	v_add_f64 v[123:124], v[123:124], -v[99:100]
.LBB109_181:
	s_or_b64 exec, exec, s[2:3]
	v_cmp_eq_u32_e32 vcc, 20, v0
	s_waitcnt vmcnt(0)
	s_barrier
	s_and_saveexec_b64 s[4:5], vcc
	s_cbranch_execz .LBB109_188
; %bb.182:
	buffer_load_dword v97, off, s[20:23], 0 offset:176 ; 4-byte Folded Reload
	buffer_load_dword v98, off, s[20:23], 0 offset:180 ; 4-byte Folded Reload
	;; [unrolled: 1-line block ×4, first 2 shown]
	s_waitcnt vmcnt(0)
	ds_write2_b64 v127, v[97:98], v[99:100] offset1:1
	buffer_load_dword v97, off, s[20:23], 0 offset:160 ; 4-byte Folded Reload
	buffer_load_dword v98, off, s[20:23], 0 offset:164 ; 4-byte Folded Reload
	buffer_load_dword v99, off, s[20:23], 0 offset:168 ; 4-byte Folded Reload
	buffer_load_dword v100, off, s[20:23], 0 offset:172 ; 4-byte Folded Reload
	s_waitcnt vmcnt(0)
	ds_write2_b64 v125, v[97:98], v[99:100] offset0:42 offset1:43
	buffer_load_dword v97, off, s[20:23], 0 offset:144 ; 4-byte Folded Reload
	buffer_load_dword v98, off, s[20:23], 0 offset:148 ; 4-byte Folded Reload
	buffer_load_dword v99, off, s[20:23], 0 offset:152 ; 4-byte Folded Reload
	buffer_load_dword v100, off, s[20:23], 0 offset:156 ; 4-byte Folded Reload
	s_waitcnt vmcnt(0)
	ds_write2_b64 v125, v[97:98], v[99:100] offset0:44 offset1:45
	;; [unrolled: 6-line block ×10, first 2 shown]
	buffer_load_dword v97, off, s[20:23], 0 ; 4-byte Folded Reload
	buffer_load_dword v98, off, s[20:23], 0 offset:4 ; 4-byte Folded Reload
	buffer_load_dword v99, off, s[20:23], 0 offset:8 ; 4-byte Folded Reload
	;; [unrolled: 1-line block ×3, first 2 shown]
	s_waitcnt vmcnt(0)
	ds_write2_b64 v125, v[97:98], v[99:100] offset0:62 offset1:63
	ds_write2_b64 v125, v[93:94], v[95:96] offset0:64 offset1:65
	;; [unrolled: 1-line block ×24, first 2 shown]
	ds_read2_b64 v[97:100], v127 offset1:1
	s_waitcnt lgkmcnt(0)
	v_cmp_neq_f64_e32 vcc, 0, v[97:98]
	v_cmp_neq_f64_e64 s[2:3], 0, v[99:100]
	s_or_b64 s[2:3], vcc, s[2:3]
	s_and_b64 exec, exec, s[2:3]
	s_cbranch_execz .LBB109_188
; %bb.183:
	v_cmp_ngt_f64_e64 s[2:3], |v[97:98]|, |v[99:100]|
                                        ; implicit-def: $vgpr101_vgpr102
	s_and_saveexec_b64 s[6:7], s[2:3]
	s_xor_b64 s[2:3], exec, s[6:7]
                                        ; implicit-def: $vgpr103_vgpr104
	s_cbranch_execz .LBB109_185
; %bb.184:
	v_div_scale_f64 v[101:102], s[6:7], v[99:100], v[99:100], v[97:98]
	v_rcp_f64_e32 v[103:104], v[101:102]
	v_fma_f64 v[105:106], -v[101:102], v[103:104], 1.0
	v_fma_f64 v[103:104], v[103:104], v[105:106], v[103:104]
	v_div_scale_f64 v[105:106], vcc, v[97:98], v[99:100], v[97:98]
	v_fma_f64 v[107:108], -v[101:102], v[103:104], 1.0
	v_fma_f64 v[103:104], v[103:104], v[107:108], v[103:104]
	v_mul_f64 v[107:108], v[105:106], v[103:104]
	v_fma_f64 v[101:102], -v[101:102], v[107:108], v[105:106]
	v_div_fmas_f64 v[101:102], v[101:102], v[103:104], v[107:108]
	v_div_fixup_f64 v[101:102], v[101:102], v[99:100], v[97:98]
	v_fma_f64 v[97:98], v[97:98], v[101:102], v[99:100]
	v_div_scale_f64 v[99:100], s[6:7], v[97:98], v[97:98], 1.0
	v_div_scale_f64 v[107:108], vcc, 1.0, v[97:98], 1.0
	v_rcp_f64_e32 v[103:104], v[99:100]
	v_fma_f64 v[105:106], -v[99:100], v[103:104], 1.0
	v_fma_f64 v[103:104], v[103:104], v[105:106], v[103:104]
	v_fma_f64 v[105:106], -v[99:100], v[103:104], 1.0
	v_fma_f64 v[103:104], v[103:104], v[105:106], v[103:104]
	v_mul_f64 v[105:106], v[107:108], v[103:104]
	v_fma_f64 v[99:100], -v[99:100], v[105:106], v[107:108]
	v_div_fmas_f64 v[99:100], v[99:100], v[103:104], v[105:106]
	v_div_fixup_f64 v[103:104], v[99:100], v[97:98], 1.0
                                        ; implicit-def: $vgpr97_vgpr98
	v_mul_f64 v[101:102], v[101:102], v[103:104]
	v_xor_b32_e32 v104, 0x80000000, v104
.LBB109_185:
	s_andn2_saveexec_b64 s[2:3], s[2:3]
	s_cbranch_execz .LBB109_187
; %bb.186:
	v_div_scale_f64 v[101:102], s[6:7], v[97:98], v[97:98], v[99:100]
	v_rcp_f64_e32 v[103:104], v[101:102]
	v_fma_f64 v[105:106], -v[101:102], v[103:104], 1.0
	v_fma_f64 v[103:104], v[103:104], v[105:106], v[103:104]
	v_div_scale_f64 v[105:106], vcc, v[99:100], v[97:98], v[99:100]
	v_fma_f64 v[107:108], -v[101:102], v[103:104], 1.0
	v_fma_f64 v[103:104], v[103:104], v[107:108], v[103:104]
	v_mul_f64 v[107:108], v[105:106], v[103:104]
	v_fma_f64 v[101:102], -v[101:102], v[107:108], v[105:106]
	v_div_fmas_f64 v[101:102], v[101:102], v[103:104], v[107:108]
	v_div_fixup_f64 v[103:104], v[101:102], v[97:98], v[99:100]
	v_fma_f64 v[97:98], v[99:100], v[103:104], v[97:98]
	v_div_scale_f64 v[99:100], s[6:7], v[97:98], v[97:98], 1.0
	v_div_scale_f64 v[107:108], vcc, 1.0, v[97:98], 1.0
	v_rcp_f64_e32 v[101:102], v[99:100]
	v_fma_f64 v[105:106], -v[99:100], v[101:102], 1.0
	v_fma_f64 v[101:102], v[101:102], v[105:106], v[101:102]
	v_fma_f64 v[105:106], -v[99:100], v[101:102], 1.0
	v_fma_f64 v[101:102], v[101:102], v[105:106], v[101:102]
	v_mul_f64 v[105:106], v[107:108], v[101:102]
	v_fma_f64 v[99:100], -v[99:100], v[105:106], v[107:108]
	v_div_fmas_f64 v[99:100], v[99:100], v[101:102], v[105:106]
	v_div_fixup_f64 v[101:102], v[99:100], v[97:98], 1.0
	v_mul_f64 v[103:104], v[103:104], -v[101:102]
.LBB109_187:
	s_or_b64 exec, exec, s[2:3]
	ds_write2_b64 v127, v[101:102], v[103:104] offset1:1
.LBB109_188:
	s_or_b64 exec, exec, s[4:5]
	s_waitcnt lgkmcnt(0)
	s_barrier
	ds_read2_b64 v[87:90], v127 offset1:1
	v_cmp_lt_u32_e32 vcc, 20, v0
	s_waitcnt lgkmcnt(0)
	buffer_store_dword v87, off, s[20:23], 0 offset:1264 ; 4-byte Folded Spill
	s_nop 0
	buffer_store_dword v88, off, s[20:23], 0 offset:1268 ; 4-byte Folded Spill
	buffer_store_dword v89, off, s[20:23], 0 offset:1272 ; 4-byte Folded Spill
	;; [unrolled: 1-line block ×3, first 2 shown]
	s_and_saveexec_b64 s[2:3], vcc
	s_cbranch_execz .LBB109_190
; %bb.189:
	buffer_load_dword v107, off, s[20:23], 0 offset:176 ; 4-byte Folded Reload
	buffer_load_dword v108, off, s[20:23], 0 offset:180 ; 4-byte Folded Reload
	;; [unrolled: 1-line block ×8, first 2 shown]
	s_waitcnt vmcnt(2)
	v_mul_f64 v[99:100], v[87:88], v[109:110]
	s_waitcnt vmcnt(0)
	v_mul_f64 v[97:98], v[89:90], v[109:110]
	v_fma_f64 v[109:110], v[89:90], v[107:108], v[99:100]
	ds_read2_b64 v[99:102], v125 offset0:42 offset1:43
	v_fma_f64 v[97:98], v[87:88], v[107:108], -v[97:98]
	buffer_load_dword v105, off, s[20:23], 0 offset:160 ; 4-byte Folded Reload
	buffer_load_dword v106, off, s[20:23], 0 offset:164 ; 4-byte Folded Reload
	buffer_load_dword v107, off, s[20:23], 0 offset:168 ; 4-byte Folded Reload
	buffer_load_dword v108, off, s[20:23], 0 offset:172 ; 4-byte Folded Reload
	s_waitcnt lgkmcnt(0)
	v_mul_f64 v[103:104], v[101:102], v[109:110]
	v_fma_f64 v[103:104], v[99:100], v[97:98], -v[103:104]
	v_mul_f64 v[99:100], v[99:100], v[109:110]
	v_fma_f64 v[99:100], v[101:102], v[97:98], v[99:100]
	s_waitcnt vmcnt(2)
	v_add_f64 v[105:106], v[105:106], -v[103:104]
	s_waitcnt vmcnt(0)
	v_add_f64 v[107:108], v[107:108], -v[99:100]
	buffer_store_dword v105, off, s[20:23], 0 offset:160 ; 4-byte Folded Spill
	s_nop 0
	buffer_store_dword v106, off, s[20:23], 0 offset:164 ; 4-byte Folded Spill
	buffer_store_dword v107, off, s[20:23], 0 offset:168 ; 4-byte Folded Spill
	buffer_store_dword v108, off, s[20:23], 0 offset:172 ; 4-byte Folded Spill
	ds_read2_b64 v[99:102], v125 offset0:44 offset1:45
	buffer_load_dword v105, off, s[20:23], 0 offset:144 ; 4-byte Folded Reload
	buffer_load_dword v106, off, s[20:23], 0 offset:148 ; 4-byte Folded Reload
	buffer_load_dword v107, off, s[20:23], 0 offset:152 ; 4-byte Folded Reload
	buffer_load_dword v108, off, s[20:23], 0 offset:156 ; 4-byte Folded Reload
	s_waitcnt lgkmcnt(0)
	v_mul_f64 v[103:104], v[101:102], v[109:110]
	v_fma_f64 v[103:104], v[99:100], v[97:98], -v[103:104]
	v_mul_f64 v[99:100], v[99:100], v[109:110]
	v_fma_f64 v[99:100], v[101:102], v[97:98], v[99:100]
	s_waitcnt vmcnt(2)
	v_add_f64 v[105:106], v[105:106], -v[103:104]
	s_waitcnt vmcnt(0)
	v_add_f64 v[107:108], v[107:108], -v[99:100]
	buffer_store_dword v105, off, s[20:23], 0 offset:144 ; 4-byte Folded Spill
	s_nop 0
	buffer_store_dword v106, off, s[20:23], 0 offset:148 ; 4-byte Folded Spill
	buffer_store_dword v107, off, s[20:23], 0 offset:152 ; 4-byte Folded Spill
	buffer_store_dword v108, off, s[20:23], 0 offset:156 ; 4-byte Folded Spill
	ds_read2_b64 v[99:102], v125 offset0:46 offset1:47
	;; [unrolled: 19-line block ×10, first 2 shown]
	buffer_load_dword v105, off, s[20:23], 0 ; 4-byte Folded Reload
	buffer_load_dword v106, off, s[20:23], 0 offset:4 ; 4-byte Folded Reload
	buffer_load_dword v107, off, s[20:23], 0 offset:8 ; 4-byte Folded Reload
	;; [unrolled: 1-line block ×3, first 2 shown]
	s_waitcnt lgkmcnt(0)
	v_mul_f64 v[103:104], v[101:102], v[109:110]
	v_fma_f64 v[103:104], v[99:100], v[97:98], -v[103:104]
	v_mul_f64 v[99:100], v[99:100], v[109:110]
	v_fma_f64 v[99:100], v[101:102], v[97:98], v[99:100]
	s_waitcnt vmcnt(2)
	v_add_f64 v[105:106], v[105:106], -v[103:104]
	s_waitcnt vmcnt(0)
	v_add_f64 v[107:108], v[107:108], -v[99:100]
	buffer_store_dword v105, off, s[20:23], 0 ; 4-byte Folded Spill
	s_nop 0
	buffer_store_dword v106, off, s[20:23], 0 offset:4 ; 4-byte Folded Spill
	buffer_store_dword v107, off, s[20:23], 0 offset:8 ; 4-byte Folded Spill
	;; [unrolled: 1-line block ×3, first 2 shown]
	ds_read2_b64 v[99:102], v125 offset0:64 offset1:65
	v_mov_b32_e32 v108, v98
	v_mov_b32_e32 v107, v97
	s_waitcnt lgkmcnt(0)
	v_mul_f64 v[103:104], v[101:102], v[109:110]
	v_fma_f64 v[103:104], v[99:100], v[97:98], -v[103:104]
	v_mul_f64 v[99:100], v[99:100], v[109:110]
	v_add_f64 v[93:94], v[93:94], -v[103:104]
	v_fma_f64 v[99:100], v[101:102], v[97:98], v[99:100]
	v_add_f64 v[95:96], v[95:96], -v[99:100]
	ds_read2_b64 v[99:102], v125 offset0:66 offset1:67
	s_waitcnt lgkmcnt(0)
	v_mul_f64 v[103:104], v[101:102], v[109:110]
	v_fma_f64 v[103:104], v[99:100], v[97:98], -v[103:104]
	v_mul_f64 v[99:100], v[99:100], v[109:110]
	v_add_f64 v[81:82], v[81:82], -v[103:104]
	v_fma_f64 v[99:100], v[101:102], v[97:98], v[99:100]
	v_add_f64 v[83:84], v[83:84], -v[99:100]
	ds_read2_b64 v[99:102], v125 offset0:68 offset1:69
	;; [unrolled: 8-line block ×22, first 2 shown]
	s_waitcnt lgkmcnt(0)
	v_mul_f64 v[103:104], v[101:102], v[109:110]
	v_fma_f64 v[103:104], v[99:100], v[97:98], -v[103:104]
	v_mul_f64 v[99:100], v[99:100], v[109:110]
	buffer_store_dword v107, off, s[20:23], 0 offset:176 ; 4-byte Folded Spill
	s_nop 0
	buffer_store_dword v108, off, s[20:23], 0 offset:180 ; 4-byte Folded Spill
	buffer_store_dword v109, off, s[20:23], 0 offset:184 ; 4-byte Folded Spill
	;; [unrolled: 1-line block ×3, first 2 shown]
	v_add_f64 v[121:122], v[121:122], -v[103:104]
	v_fma_f64 v[99:100], v[101:102], v[97:98], v[99:100]
	v_add_f64 v[123:124], v[123:124], -v[99:100]
.LBB109_190:
	s_or_b64 exec, exec, s[2:3]
	v_cmp_eq_u32_e32 vcc, 21, v0
	s_waitcnt vmcnt(0)
	s_barrier
	s_and_saveexec_b64 s[4:5], vcc
	s_cbranch_execz .LBB109_197
; %bb.191:
	buffer_load_dword v97, off, s[20:23], 0 offset:160 ; 4-byte Folded Reload
	buffer_load_dword v98, off, s[20:23], 0 offset:164 ; 4-byte Folded Reload
	;; [unrolled: 1-line block ×4, first 2 shown]
	s_waitcnt vmcnt(0)
	ds_write2_b64 v127, v[97:98], v[99:100] offset1:1
	buffer_load_dword v97, off, s[20:23], 0 offset:144 ; 4-byte Folded Reload
	buffer_load_dword v98, off, s[20:23], 0 offset:148 ; 4-byte Folded Reload
	buffer_load_dword v99, off, s[20:23], 0 offset:152 ; 4-byte Folded Reload
	buffer_load_dword v100, off, s[20:23], 0 offset:156 ; 4-byte Folded Reload
	s_waitcnt vmcnt(0)
	ds_write2_b64 v125, v[97:98], v[99:100] offset0:44 offset1:45
	buffer_load_dword v97, off, s[20:23], 0 offset:128 ; 4-byte Folded Reload
	buffer_load_dword v98, off, s[20:23], 0 offset:132 ; 4-byte Folded Reload
	buffer_load_dword v99, off, s[20:23], 0 offset:136 ; 4-byte Folded Reload
	buffer_load_dword v100, off, s[20:23], 0 offset:140 ; 4-byte Folded Reload
	s_waitcnt vmcnt(0)
	ds_write2_b64 v125, v[97:98], v[99:100] offset0:46 offset1:47
	;; [unrolled: 6-line block ×9, first 2 shown]
	buffer_load_dword v97, off, s[20:23], 0 ; 4-byte Folded Reload
	buffer_load_dword v98, off, s[20:23], 0 offset:4 ; 4-byte Folded Reload
	buffer_load_dword v99, off, s[20:23], 0 offset:8 ; 4-byte Folded Reload
	;; [unrolled: 1-line block ×3, first 2 shown]
	s_waitcnt vmcnt(0)
	ds_write2_b64 v125, v[97:98], v[99:100] offset0:62 offset1:63
	ds_write2_b64 v125, v[93:94], v[95:96] offset0:64 offset1:65
	;; [unrolled: 1-line block ×24, first 2 shown]
	ds_read2_b64 v[97:100], v127 offset1:1
	s_waitcnt lgkmcnt(0)
	v_cmp_neq_f64_e32 vcc, 0, v[97:98]
	v_cmp_neq_f64_e64 s[2:3], 0, v[99:100]
	s_or_b64 s[2:3], vcc, s[2:3]
	s_and_b64 exec, exec, s[2:3]
	s_cbranch_execz .LBB109_197
; %bb.192:
	v_cmp_ngt_f64_e64 s[2:3], |v[97:98]|, |v[99:100]|
                                        ; implicit-def: $vgpr101_vgpr102
	s_and_saveexec_b64 s[6:7], s[2:3]
	s_xor_b64 s[2:3], exec, s[6:7]
                                        ; implicit-def: $vgpr103_vgpr104
	s_cbranch_execz .LBB109_194
; %bb.193:
	v_div_scale_f64 v[101:102], s[6:7], v[99:100], v[99:100], v[97:98]
	v_rcp_f64_e32 v[103:104], v[101:102]
	v_fma_f64 v[105:106], -v[101:102], v[103:104], 1.0
	v_fma_f64 v[103:104], v[103:104], v[105:106], v[103:104]
	v_div_scale_f64 v[105:106], vcc, v[97:98], v[99:100], v[97:98]
	v_fma_f64 v[107:108], -v[101:102], v[103:104], 1.0
	v_fma_f64 v[103:104], v[103:104], v[107:108], v[103:104]
	v_mul_f64 v[107:108], v[105:106], v[103:104]
	v_fma_f64 v[101:102], -v[101:102], v[107:108], v[105:106]
	v_div_fmas_f64 v[101:102], v[101:102], v[103:104], v[107:108]
	v_div_fixup_f64 v[101:102], v[101:102], v[99:100], v[97:98]
	v_fma_f64 v[97:98], v[97:98], v[101:102], v[99:100]
	v_div_scale_f64 v[99:100], s[6:7], v[97:98], v[97:98], 1.0
	v_div_scale_f64 v[107:108], vcc, 1.0, v[97:98], 1.0
	v_rcp_f64_e32 v[103:104], v[99:100]
	v_fma_f64 v[105:106], -v[99:100], v[103:104], 1.0
	v_fma_f64 v[103:104], v[103:104], v[105:106], v[103:104]
	v_fma_f64 v[105:106], -v[99:100], v[103:104], 1.0
	v_fma_f64 v[103:104], v[103:104], v[105:106], v[103:104]
	v_mul_f64 v[105:106], v[107:108], v[103:104]
	v_fma_f64 v[99:100], -v[99:100], v[105:106], v[107:108]
	v_div_fmas_f64 v[99:100], v[99:100], v[103:104], v[105:106]
	v_div_fixup_f64 v[103:104], v[99:100], v[97:98], 1.0
                                        ; implicit-def: $vgpr97_vgpr98
	v_mul_f64 v[101:102], v[101:102], v[103:104]
	v_xor_b32_e32 v104, 0x80000000, v104
.LBB109_194:
	s_andn2_saveexec_b64 s[2:3], s[2:3]
	s_cbranch_execz .LBB109_196
; %bb.195:
	v_div_scale_f64 v[101:102], s[6:7], v[97:98], v[97:98], v[99:100]
	v_rcp_f64_e32 v[103:104], v[101:102]
	v_fma_f64 v[105:106], -v[101:102], v[103:104], 1.0
	v_fma_f64 v[103:104], v[103:104], v[105:106], v[103:104]
	v_div_scale_f64 v[105:106], vcc, v[99:100], v[97:98], v[99:100]
	v_fma_f64 v[107:108], -v[101:102], v[103:104], 1.0
	v_fma_f64 v[103:104], v[103:104], v[107:108], v[103:104]
	v_mul_f64 v[107:108], v[105:106], v[103:104]
	v_fma_f64 v[101:102], -v[101:102], v[107:108], v[105:106]
	v_div_fmas_f64 v[101:102], v[101:102], v[103:104], v[107:108]
	v_div_fixup_f64 v[103:104], v[101:102], v[97:98], v[99:100]
	v_fma_f64 v[97:98], v[99:100], v[103:104], v[97:98]
	v_div_scale_f64 v[99:100], s[6:7], v[97:98], v[97:98], 1.0
	v_div_scale_f64 v[107:108], vcc, 1.0, v[97:98], 1.0
	v_rcp_f64_e32 v[101:102], v[99:100]
	v_fma_f64 v[105:106], -v[99:100], v[101:102], 1.0
	v_fma_f64 v[101:102], v[101:102], v[105:106], v[101:102]
	v_fma_f64 v[105:106], -v[99:100], v[101:102], 1.0
	v_fma_f64 v[101:102], v[101:102], v[105:106], v[101:102]
	v_mul_f64 v[105:106], v[107:108], v[101:102]
	v_fma_f64 v[99:100], -v[99:100], v[105:106], v[107:108]
	v_div_fmas_f64 v[99:100], v[99:100], v[101:102], v[105:106]
	v_div_fixup_f64 v[101:102], v[99:100], v[97:98], 1.0
	v_mul_f64 v[103:104], v[103:104], -v[101:102]
.LBB109_196:
	s_or_b64 exec, exec, s[2:3]
	ds_write2_b64 v127, v[101:102], v[103:104] offset1:1
.LBB109_197:
	s_or_b64 exec, exec, s[4:5]
	s_waitcnt lgkmcnt(0)
	s_barrier
	ds_read2_b64 v[87:90], v127 offset1:1
	v_cmp_lt_u32_e32 vcc, 21, v0
	s_waitcnt lgkmcnt(0)
	buffer_store_dword v87, off, s[20:23], 0 offset:1280 ; 4-byte Folded Spill
	s_nop 0
	buffer_store_dword v88, off, s[20:23], 0 offset:1284 ; 4-byte Folded Spill
	buffer_store_dword v89, off, s[20:23], 0 offset:1288 ; 4-byte Folded Spill
	;; [unrolled: 1-line block ×3, first 2 shown]
	s_and_saveexec_b64 s[2:3], vcc
	s_cbranch_execz .LBB109_199
; %bb.198:
	buffer_load_dword v107, off, s[20:23], 0 offset:160 ; 4-byte Folded Reload
	buffer_load_dword v108, off, s[20:23], 0 offset:164 ; 4-byte Folded Reload
	;; [unrolled: 1-line block ×8, first 2 shown]
	s_waitcnt vmcnt(2)
	v_mul_f64 v[99:100], v[87:88], v[109:110]
	s_waitcnt vmcnt(0)
	v_mul_f64 v[97:98], v[89:90], v[109:110]
	v_fma_f64 v[109:110], v[89:90], v[107:108], v[99:100]
	ds_read2_b64 v[99:102], v125 offset0:44 offset1:45
	v_fma_f64 v[97:98], v[87:88], v[107:108], -v[97:98]
	buffer_load_dword v105, off, s[20:23], 0 offset:144 ; 4-byte Folded Reload
	buffer_load_dword v106, off, s[20:23], 0 offset:148 ; 4-byte Folded Reload
	buffer_load_dword v107, off, s[20:23], 0 offset:152 ; 4-byte Folded Reload
	buffer_load_dword v108, off, s[20:23], 0 offset:156 ; 4-byte Folded Reload
	s_waitcnt lgkmcnt(0)
	v_mul_f64 v[103:104], v[101:102], v[109:110]
	v_fma_f64 v[103:104], v[99:100], v[97:98], -v[103:104]
	v_mul_f64 v[99:100], v[99:100], v[109:110]
	v_fma_f64 v[99:100], v[101:102], v[97:98], v[99:100]
	s_waitcnt vmcnt(2)
	v_add_f64 v[105:106], v[105:106], -v[103:104]
	s_waitcnt vmcnt(0)
	v_add_f64 v[107:108], v[107:108], -v[99:100]
	buffer_store_dword v105, off, s[20:23], 0 offset:144 ; 4-byte Folded Spill
	s_nop 0
	buffer_store_dword v106, off, s[20:23], 0 offset:148 ; 4-byte Folded Spill
	buffer_store_dword v107, off, s[20:23], 0 offset:152 ; 4-byte Folded Spill
	buffer_store_dword v108, off, s[20:23], 0 offset:156 ; 4-byte Folded Spill
	ds_read2_b64 v[99:102], v125 offset0:46 offset1:47
	buffer_load_dword v105, off, s[20:23], 0 offset:128 ; 4-byte Folded Reload
	buffer_load_dword v106, off, s[20:23], 0 offset:132 ; 4-byte Folded Reload
	buffer_load_dword v107, off, s[20:23], 0 offset:136 ; 4-byte Folded Reload
	buffer_load_dword v108, off, s[20:23], 0 offset:140 ; 4-byte Folded Reload
	s_waitcnt lgkmcnt(0)
	v_mul_f64 v[103:104], v[101:102], v[109:110]
	v_fma_f64 v[103:104], v[99:100], v[97:98], -v[103:104]
	v_mul_f64 v[99:100], v[99:100], v[109:110]
	v_fma_f64 v[99:100], v[101:102], v[97:98], v[99:100]
	s_waitcnt vmcnt(2)
	v_add_f64 v[105:106], v[105:106], -v[103:104]
	s_waitcnt vmcnt(0)
	v_add_f64 v[107:108], v[107:108], -v[99:100]
	buffer_store_dword v105, off, s[20:23], 0 offset:128 ; 4-byte Folded Spill
	s_nop 0
	buffer_store_dword v106, off, s[20:23], 0 offset:132 ; 4-byte Folded Spill
	buffer_store_dword v107, off, s[20:23], 0 offset:136 ; 4-byte Folded Spill
	buffer_store_dword v108, off, s[20:23], 0 offset:140 ; 4-byte Folded Spill
	ds_read2_b64 v[99:102], v125 offset0:48 offset1:49
	;; [unrolled: 19-line block ×9, first 2 shown]
	buffer_load_dword v105, off, s[20:23], 0 ; 4-byte Folded Reload
	buffer_load_dword v106, off, s[20:23], 0 offset:4 ; 4-byte Folded Reload
	buffer_load_dword v107, off, s[20:23], 0 offset:8 ; 4-byte Folded Reload
	buffer_load_dword v108, off, s[20:23], 0 offset:12 ; 4-byte Folded Reload
	s_waitcnt lgkmcnt(0)
	v_mul_f64 v[103:104], v[101:102], v[109:110]
	v_fma_f64 v[103:104], v[99:100], v[97:98], -v[103:104]
	v_mul_f64 v[99:100], v[99:100], v[109:110]
	v_fma_f64 v[99:100], v[101:102], v[97:98], v[99:100]
	s_waitcnt vmcnt(2)
	v_add_f64 v[105:106], v[105:106], -v[103:104]
	s_waitcnt vmcnt(0)
	v_add_f64 v[107:108], v[107:108], -v[99:100]
	buffer_store_dword v105, off, s[20:23], 0 ; 4-byte Folded Spill
	s_nop 0
	buffer_store_dword v106, off, s[20:23], 0 offset:4 ; 4-byte Folded Spill
	buffer_store_dword v107, off, s[20:23], 0 offset:8 ; 4-byte Folded Spill
	;; [unrolled: 1-line block ×3, first 2 shown]
	ds_read2_b64 v[99:102], v125 offset0:64 offset1:65
	v_mov_b32_e32 v108, v98
	v_mov_b32_e32 v107, v97
	s_waitcnt lgkmcnt(0)
	v_mul_f64 v[103:104], v[101:102], v[109:110]
	v_fma_f64 v[103:104], v[99:100], v[97:98], -v[103:104]
	v_mul_f64 v[99:100], v[99:100], v[109:110]
	v_add_f64 v[93:94], v[93:94], -v[103:104]
	v_fma_f64 v[99:100], v[101:102], v[97:98], v[99:100]
	v_add_f64 v[95:96], v[95:96], -v[99:100]
	ds_read2_b64 v[99:102], v125 offset0:66 offset1:67
	s_waitcnt lgkmcnt(0)
	v_mul_f64 v[103:104], v[101:102], v[109:110]
	v_fma_f64 v[103:104], v[99:100], v[97:98], -v[103:104]
	v_mul_f64 v[99:100], v[99:100], v[109:110]
	v_add_f64 v[81:82], v[81:82], -v[103:104]
	v_fma_f64 v[99:100], v[101:102], v[97:98], v[99:100]
	v_add_f64 v[83:84], v[83:84], -v[99:100]
	ds_read2_b64 v[99:102], v125 offset0:68 offset1:69
	;; [unrolled: 8-line block ×22, first 2 shown]
	s_waitcnt lgkmcnt(0)
	v_mul_f64 v[103:104], v[101:102], v[109:110]
	v_fma_f64 v[103:104], v[99:100], v[97:98], -v[103:104]
	v_mul_f64 v[99:100], v[99:100], v[109:110]
	buffer_store_dword v107, off, s[20:23], 0 offset:160 ; 4-byte Folded Spill
	s_nop 0
	buffer_store_dword v108, off, s[20:23], 0 offset:164 ; 4-byte Folded Spill
	buffer_store_dword v109, off, s[20:23], 0 offset:168 ; 4-byte Folded Spill
	;; [unrolled: 1-line block ×3, first 2 shown]
	v_add_f64 v[121:122], v[121:122], -v[103:104]
	v_fma_f64 v[99:100], v[101:102], v[97:98], v[99:100]
	v_add_f64 v[123:124], v[123:124], -v[99:100]
.LBB109_199:
	s_or_b64 exec, exec, s[2:3]
	v_cmp_eq_u32_e32 vcc, 22, v0
	s_waitcnt vmcnt(0)
	s_barrier
	s_and_saveexec_b64 s[4:5], vcc
	s_cbranch_execz .LBB109_206
; %bb.200:
	buffer_load_dword v97, off, s[20:23], 0 offset:144 ; 4-byte Folded Reload
	buffer_load_dword v98, off, s[20:23], 0 offset:148 ; 4-byte Folded Reload
	;; [unrolled: 1-line block ×4, first 2 shown]
	s_waitcnt vmcnt(0)
	ds_write2_b64 v127, v[97:98], v[99:100] offset1:1
	buffer_load_dword v97, off, s[20:23], 0 offset:128 ; 4-byte Folded Reload
	buffer_load_dword v98, off, s[20:23], 0 offset:132 ; 4-byte Folded Reload
	buffer_load_dword v99, off, s[20:23], 0 offset:136 ; 4-byte Folded Reload
	buffer_load_dword v100, off, s[20:23], 0 offset:140 ; 4-byte Folded Reload
	s_waitcnt vmcnt(0)
	ds_write2_b64 v125, v[97:98], v[99:100] offset0:46 offset1:47
	buffer_load_dword v97, off, s[20:23], 0 offset:112 ; 4-byte Folded Reload
	buffer_load_dword v98, off, s[20:23], 0 offset:116 ; 4-byte Folded Reload
	buffer_load_dword v99, off, s[20:23], 0 offset:120 ; 4-byte Folded Reload
	buffer_load_dword v100, off, s[20:23], 0 offset:124 ; 4-byte Folded Reload
	s_waitcnt vmcnt(0)
	ds_write2_b64 v125, v[97:98], v[99:100] offset0:48 offset1:49
	;; [unrolled: 6-line block ×8, first 2 shown]
	buffer_load_dword v97, off, s[20:23], 0 ; 4-byte Folded Reload
	buffer_load_dword v98, off, s[20:23], 0 offset:4 ; 4-byte Folded Reload
	buffer_load_dword v99, off, s[20:23], 0 offset:8 ; 4-byte Folded Reload
	;; [unrolled: 1-line block ×3, first 2 shown]
	s_waitcnt vmcnt(0)
	ds_write2_b64 v125, v[97:98], v[99:100] offset0:62 offset1:63
	ds_write2_b64 v125, v[93:94], v[95:96] offset0:64 offset1:65
	;; [unrolled: 1-line block ×24, first 2 shown]
	ds_read2_b64 v[97:100], v127 offset1:1
	s_waitcnt lgkmcnt(0)
	v_cmp_neq_f64_e32 vcc, 0, v[97:98]
	v_cmp_neq_f64_e64 s[2:3], 0, v[99:100]
	s_or_b64 s[2:3], vcc, s[2:3]
	s_and_b64 exec, exec, s[2:3]
	s_cbranch_execz .LBB109_206
; %bb.201:
	v_cmp_ngt_f64_e64 s[2:3], |v[97:98]|, |v[99:100]|
                                        ; implicit-def: $vgpr101_vgpr102
	s_and_saveexec_b64 s[6:7], s[2:3]
	s_xor_b64 s[2:3], exec, s[6:7]
                                        ; implicit-def: $vgpr103_vgpr104
	s_cbranch_execz .LBB109_203
; %bb.202:
	v_div_scale_f64 v[101:102], s[6:7], v[99:100], v[99:100], v[97:98]
	v_rcp_f64_e32 v[103:104], v[101:102]
	v_fma_f64 v[105:106], -v[101:102], v[103:104], 1.0
	v_fma_f64 v[103:104], v[103:104], v[105:106], v[103:104]
	v_div_scale_f64 v[105:106], vcc, v[97:98], v[99:100], v[97:98]
	v_fma_f64 v[107:108], -v[101:102], v[103:104], 1.0
	v_fma_f64 v[103:104], v[103:104], v[107:108], v[103:104]
	v_mul_f64 v[107:108], v[105:106], v[103:104]
	v_fma_f64 v[101:102], -v[101:102], v[107:108], v[105:106]
	v_div_fmas_f64 v[101:102], v[101:102], v[103:104], v[107:108]
	v_div_fixup_f64 v[101:102], v[101:102], v[99:100], v[97:98]
	v_fma_f64 v[97:98], v[97:98], v[101:102], v[99:100]
	v_div_scale_f64 v[99:100], s[6:7], v[97:98], v[97:98], 1.0
	v_div_scale_f64 v[107:108], vcc, 1.0, v[97:98], 1.0
	v_rcp_f64_e32 v[103:104], v[99:100]
	v_fma_f64 v[105:106], -v[99:100], v[103:104], 1.0
	v_fma_f64 v[103:104], v[103:104], v[105:106], v[103:104]
	v_fma_f64 v[105:106], -v[99:100], v[103:104], 1.0
	v_fma_f64 v[103:104], v[103:104], v[105:106], v[103:104]
	v_mul_f64 v[105:106], v[107:108], v[103:104]
	v_fma_f64 v[99:100], -v[99:100], v[105:106], v[107:108]
	v_div_fmas_f64 v[99:100], v[99:100], v[103:104], v[105:106]
	v_div_fixup_f64 v[103:104], v[99:100], v[97:98], 1.0
                                        ; implicit-def: $vgpr97_vgpr98
	v_mul_f64 v[101:102], v[101:102], v[103:104]
	v_xor_b32_e32 v104, 0x80000000, v104
.LBB109_203:
	s_andn2_saveexec_b64 s[2:3], s[2:3]
	s_cbranch_execz .LBB109_205
; %bb.204:
	v_div_scale_f64 v[101:102], s[6:7], v[97:98], v[97:98], v[99:100]
	v_rcp_f64_e32 v[103:104], v[101:102]
	v_fma_f64 v[105:106], -v[101:102], v[103:104], 1.0
	v_fma_f64 v[103:104], v[103:104], v[105:106], v[103:104]
	v_div_scale_f64 v[105:106], vcc, v[99:100], v[97:98], v[99:100]
	v_fma_f64 v[107:108], -v[101:102], v[103:104], 1.0
	v_fma_f64 v[103:104], v[103:104], v[107:108], v[103:104]
	v_mul_f64 v[107:108], v[105:106], v[103:104]
	v_fma_f64 v[101:102], -v[101:102], v[107:108], v[105:106]
	v_div_fmas_f64 v[101:102], v[101:102], v[103:104], v[107:108]
	v_div_fixup_f64 v[103:104], v[101:102], v[97:98], v[99:100]
	v_fma_f64 v[97:98], v[99:100], v[103:104], v[97:98]
	v_div_scale_f64 v[99:100], s[6:7], v[97:98], v[97:98], 1.0
	v_div_scale_f64 v[107:108], vcc, 1.0, v[97:98], 1.0
	v_rcp_f64_e32 v[101:102], v[99:100]
	v_fma_f64 v[105:106], -v[99:100], v[101:102], 1.0
	v_fma_f64 v[101:102], v[101:102], v[105:106], v[101:102]
	v_fma_f64 v[105:106], -v[99:100], v[101:102], 1.0
	v_fma_f64 v[101:102], v[101:102], v[105:106], v[101:102]
	v_mul_f64 v[105:106], v[107:108], v[101:102]
	v_fma_f64 v[99:100], -v[99:100], v[105:106], v[107:108]
	v_div_fmas_f64 v[99:100], v[99:100], v[101:102], v[105:106]
	v_div_fixup_f64 v[101:102], v[99:100], v[97:98], 1.0
	v_mul_f64 v[103:104], v[103:104], -v[101:102]
.LBB109_205:
	s_or_b64 exec, exec, s[2:3]
	ds_write2_b64 v127, v[101:102], v[103:104] offset1:1
.LBB109_206:
	s_or_b64 exec, exec, s[4:5]
	s_waitcnt lgkmcnt(0)
	s_barrier
	ds_read2_b64 v[87:90], v127 offset1:1
	v_cmp_lt_u32_e32 vcc, 22, v0
	s_waitcnt lgkmcnt(0)
	buffer_store_dword v87, off, s[20:23], 0 offset:1296 ; 4-byte Folded Spill
	s_nop 0
	buffer_store_dword v88, off, s[20:23], 0 offset:1300 ; 4-byte Folded Spill
	buffer_store_dword v89, off, s[20:23], 0 offset:1304 ; 4-byte Folded Spill
	;; [unrolled: 1-line block ×3, first 2 shown]
	s_and_saveexec_b64 s[2:3], vcc
	s_cbranch_execz .LBB109_208
; %bb.207:
	buffer_load_dword v107, off, s[20:23], 0 offset:144 ; 4-byte Folded Reload
	buffer_load_dword v108, off, s[20:23], 0 offset:148 ; 4-byte Folded Reload
	;; [unrolled: 1-line block ×8, first 2 shown]
	s_waitcnt vmcnt(2)
	v_mul_f64 v[99:100], v[87:88], v[109:110]
	s_waitcnt vmcnt(0)
	v_mul_f64 v[97:98], v[89:90], v[109:110]
	v_fma_f64 v[109:110], v[89:90], v[107:108], v[99:100]
	ds_read2_b64 v[99:102], v125 offset0:46 offset1:47
	v_fma_f64 v[97:98], v[87:88], v[107:108], -v[97:98]
	buffer_load_dword v105, off, s[20:23], 0 offset:128 ; 4-byte Folded Reload
	buffer_load_dword v106, off, s[20:23], 0 offset:132 ; 4-byte Folded Reload
	buffer_load_dword v107, off, s[20:23], 0 offset:136 ; 4-byte Folded Reload
	buffer_load_dword v108, off, s[20:23], 0 offset:140 ; 4-byte Folded Reload
	s_waitcnt lgkmcnt(0)
	v_mul_f64 v[103:104], v[101:102], v[109:110]
	v_fma_f64 v[103:104], v[99:100], v[97:98], -v[103:104]
	v_mul_f64 v[99:100], v[99:100], v[109:110]
	v_fma_f64 v[99:100], v[101:102], v[97:98], v[99:100]
	s_waitcnt vmcnt(2)
	v_add_f64 v[105:106], v[105:106], -v[103:104]
	s_waitcnt vmcnt(0)
	v_add_f64 v[107:108], v[107:108], -v[99:100]
	buffer_store_dword v105, off, s[20:23], 0 offset:128 ; 4-byte Folded Spill
	s_nop 0
	buffer_store_dword v106, off, s[20:23], 0 offset:132 ; 4-byte Folded Spill
	buffer_store_dword v107, off, s[20:23], 0 offset:136 ; 4-byte Folded Spill
	buffer_store_dword v108, off, s[20:23], 0 offset:140 ; 4-byte Folded Spill
	ds_read2_b64 v[99:102], v125 offset0:48 offset1:49
	buffer_load_dword v105, off, s[20:23], 0 offset:112 ; 4-byte Folded Reload
	buffer_load_dword v106, off, s[20:23], 0 offset:116 ; 4-byte Folded Reload
	buffer_load_dword v107, off, s[20:23], 0 offset:120 ; 4-byte Folded Reload
	buffer_load_dword v108, off, s[20:23], 0 offset:124 ; 4-byte Folded Reload
	s_waitcnt lgkmcnt(0)
	v_mul_f64 v[103:104], v[101:102], v[109:110]
	v_fma_f64 v[103:104], v[99:100], v[97:98], -v[103:104]
	v_mul_f64 v[99:100], v[99:100], v[109:110]
	v_fma_f64 v[99:100], v[101:102], v[97:98], v[99:100]
	s_waitcnt vmcnt(2)
	v_add_f64 v[105:106], v[105:106], -v[103:104]
	s_waitcnt vmcnt(0)
	v_add_f64 v[107:108], v[107:108], -v[99:100]
	buffer_store_dword v105, off, s[20:23], 0 offset:112 ; 4-byte Folded Spill
	s_nop 0
	buffer_store_dword v106, off, s[20:23], 0 offset:116 ; 4-byte Folded Spill
	buffer_store_dword v107, off, s[20:23], 0 offset:120 ; 4-byte Folded Spill
	buffer_store_dword v108, off, s[20:23], 0 offset:124 ; 4-byte Folded Spill
	ds_read2_b64 v[99:102], v125 offset0:50 offset1:51
	;; [unrolled: 19-line block ×8, first 2 shown]
	buffer_load_dword v105, off, s[20:23], 0 ; 4-byte Folded Reload
	buffer_load_dword v106, off, s[20:23], 0 offset:4 ; 4-byte Folded Reload
	buffer_load_dword v107, off, s[20:23], 0 offset:8 ; 4-byte Folded Reload
	buffer_load_dword v108, off, s[20:23], 0 offset:12 ; 4-byte Folded Reload
	s_waitcnt lgkmcnt(0)
	v_mul_f64 v[103:104], v[101:102], v[109:110]
	v_fma_f64 v[103:104], v[99:100], v[97:98], -v[103:104]
	v_mul_f64 v[99:100], v[99:100], v[109:110]
	v_fma_f64 v[99:100], v[101:102], v[97:98], v[99:100]
	s_waitcnt vmcnt(2)
	v_add_f64 v[105:106], v[105:106], -v[103:104]
	s_waitcnt vmcnt(0)
	v_add_f64 v[107:108], v[107:108], -v[99:100]
	buffer_store_dword v105, off, s[20:23], 0 ; 4-byte Folded Spill
	s_nop 0
	buffer_store_dword v106, off, s[20:23], 0 offset:4 ; 4-byte Folded Spill
	buffer_store_dword v107, off, s[20:23], 0 offset:8 ; 4-byte Folded Spill
	;; [unrolled: 1-line block ×3, first 2 shown]
	ds_read2_b64 v[99:102], v125 offset0:64 offset1:65
	v_mov_b32_e32 v108, v98
	v_mov_b32_e32 v107, v97
	s_waitcnt lgkmcnt(0)
	v_mul_f64 v[103:104], v[101:102], v[109:110]
	v_fma_f64 v[103:104], v[99:100], v[97:98], -v[103:104]
	v_mul_f64 v[99:100], v[99:100], v[109:110]
	v_add_f64 v[93:94], v[93:94], -v[103:104]
	v_fma_f64 v[99:100], v[101:102], v[97:98], v[99:100]
	v_add_f64 v[95:96], v[95:96], -v[99:100]
	ds_read2_b64 v[99:102], v125 offset0:66 offset1:67
	s_waitcnt lgkmcnt(0)
	v_mul_f64 v[103:104], v[101:102], v[109:110]
	v_fma_f64 v[103:104], v[99:100], v[97:98], -v[103:104]
	v_mul_f64 v[99:100], v[99:100], v[109:110]
	v_add_f64 v[81:82], v[81:82], -v[103:104]
	v_fma_f64 v[99:100], v[101:102], v[97:98], v[99:100]
	v_add_f64 v[83:84], v[83:84], -v[99:100]
	ds_read2_b64 v[99:102], v125 offset0:68 offset1:69
	;; [unrolled: 8-line block ×22, first 2 shown]
	s_waitcnt lgkmcnt(0)
	v_mul_f64 v[103:104], v[101:102], v[109:110]
	v_fma_f64 v[103:104], v[99:100], v[97:98], -v[103:104]
	v_mul_f64 v[99:100], v[99:100], v[109:110]
	buffer_store_dword v107, off, s[20:23], 0 offset:144 ; 4-byte Folded Spill
	s_nop 0
	buffer_store_dword v108, off, s[20:23], 0 offset:148 ; 4-byte Folded Spill
	buffer_store_dword v109, off, s[20:23], 0 offset:152 ; 4-byte Folded Spill
	;; [unrolled: 1-line block ×3, first 2 shown]
	v_add_f64 v[121:122], v[121:122], -v[103:104]
	v_fma_f64 v[99:100], v[101:102], v[97:98], v[99:100]
	v_add_f64 v[123:124], v[123:124], -v[99:100]
.LBB109_208:
	s_or_b64 exec, exec, s[2:3]
	v_cmp_eq_u32_e32 vcc, 23, v0
	s_waitcnt vmcnt(0)
	s_barrier
	s_and_saveexec_b64 s[4:5], vcc
	s_cbranch_execz .LBB109_215
; %bb.209:
	buffer_load_dword v97, off, s[20:23], 0 offset:128 ; 4-byte Folded Reload
	buffer_load_dword v98, off, s[20:23], 0 offset:132 ; 4-byte Folded Reload
	;; [unrolled: 1-line block ×4, first 2 shown]
	s_waitcnt vmcnt(0)
	ds_write2_b64 v127, v[97:98], v[99:100] offset1:1
	buffer_load_dword v97, off, s[20:23], 0 offset:112 ; 4-byte Folded Reload
	buffer_load_dword v98, off, s[20:23], 0 offset:116 ; 4-byte Folded Reload
	buffer_load_dword v99, off, s[20:23], 0 offset:120 ; 4-byte Folded Reload
	buffer_load_dword v100, off, s[20:23], 0 offset:124 ; 4-byte Folded Reload
	s_waitcnt vmcnt(0)
	ds_write2_b64 v125, v[97:98], v[99:100] offset0:48 offset1:49
	buffer_load_dword v97, off, s[20:23], 0 offset:96 ; 4-byte Folded Reload
	buffer_load_dword v98, off, s[20:23], 0 offset:100 ; 4-byte Folded Reload
	buffer_load_dword v99, off, s[20:23], 0 offset:104 ; 4-byte Folded Reload
	buffer_load_dword v100, off, s[20:23], 0 offset:108 ; 4-byte Folded Reload
	s_waitcnt vmcnt(0)
	ds_write2_b64 v125, v[97:98], v[99:100] offset0:50 offset1:51
	;; [unrolled: 6-line block ×7, first 2 shown]
	buffer_load_dword v97, off, s[20:23], 0 ; 4-byte Folded Reload
	buffer_load_dword v98, off, s[20:23], 0 offset:4 ; 4-byte Folded Reload
	buffer_load_dword v99, off, s[20:23], 0 offset:8 ; 4-byte Folded Reload
	;; [unrolled: 1-line block ×3, first 2 shown]
	s_waitcnt vmcnt(0)
	ds_write2_b64 v125, v[97:98], v[99:100] offset0:62 offset1:63
	ds_write2_b64 v125, v[93:94], v[95:96] offset0:64 offset1:65
	;; [unrolled: 1-line block ×24, first 2 shown]
	ds_read2_b64 v[97:100], v127 offset1:1
	s_waitcnt lgkmcnt(0)
	v_cmp_neq_f64_e32 vcc, 0, v[97:98]
	v_cmp_neq_f64_e64 s[2:3], 0, v[99:100]
	s_or_b64 s[2:3], vcc, s[2:3]
	s_and_b64 exec, exec, s[2:3]
	s_cbranch_execz .LBB109_215
; %bb.210:
	v_cmp_ngt_f64_e64 s[2:3], |v[97:98]|, |v[99:100]|
                                        ; implicit-def: $vgpr101_vgpr102
	s_and_saveexec_b64 s[6:7], s[2:3]
	s_xor_b64 s[2:3], exec, s[6:7]
                                        ; implicit-def: $vgpr103_vgpr104
	s_cbranch_execz .LBB109_212
; %bb.211:
	v_div_scale_f64 v[101:102], s[6:7], v[99:100], v[99:100], v[97:98]
	v_rcp_f64_e32 v[103:104], v[101:102]
	v_fma_f64 v[105:106], -v[101:102], v[103:104], 1.0
	v_fma_f64 v[103:104], v[103:104], v[105:106], v[103:104]
	v_div_scale_f64 v[105:106], vcc, v[97:98], v[99:100], v[97:98]
	v_fma_f64 v[107:108], -v[101:102], v[103:104], 1.0
	v_fma_f64 v[103:104], v[103:104], v[107:108], v[103:104]
	v_mul_f64 v[107:108], v[105:106], v[103:104]
	v_fma_f64 v[101:102], -v[101:102], v[107:108], v[105:106]
	v_div_fmas_f64 v[101:102], v[101:102], v[103:104], v[107:108]
	v_div_fixup_f64 v[101:102], v[101:102], v[99:100], v[97:98]
	v_fma_f64 v[97:98], v[97:98], v[101:102], v[99:100]
	v_div_scale_f64 v[99:100], s[6:7], v[97:98], v[97:98], 1.0
	v_div_scale_f64 v[107:108], vcc, 1.0, v[97:98], 1.0
	v_rcp_f64_e32 v[103:104], v[99:100]
	v_fma_f64 v[105:106], -v[99:100], v[103:104], 1.0
	v_fma_f64 v[103:104], v[103:104], v[105:106], v[103:104]
	v_fma_f64 v[105:106], -v[99:100], v[103:104], 1.0
	v_fma_f64 v[103:104], v[103:104], v[105:106], v[103:104]
	v_mul_f64 v[105:106], v[107:108], v[103:104]
	v_fma_f64 v[99:100], -v[99:100], v[105:106], v[107:108]
	v_div_fmas_f64 v[99:100], v[99:100], v[103:104], v[105:106]
	v_div_fixup_f64 v[103:104], v[99:100], v[97:98], 1.0
                                        ; implicit-def: $vgpr97_vgpr98
	v_mul_f64 v[101:102], v[101:102], v[103:104]
	v_xor_b32_e32 v104, 0x80000000, v104
.LBB109_212:
	s_andn2_saveexec_b64 s[2:3], s[2:3]
	s_cbranch_execz .LBB109_214
; %bb.213:
	v_div_scale_f64 v[101:102], s[6:7], v[97:98], v[97:98], v[99:100]
	v_rcp_f64_e32 v[103:104], v[101:102]
	v_fma_f64 v[105:106], -v[101:102], v[103:104], 1.0
	v_fma_f64 v[103:104], v[103:104], v[105:106], v[103:104]
	v_div_scale_f64 v[105:106], vcc, v[99:100], v[97:98], v[99:100]
	v_fma_f64 v[107:108], -v[101:102], v[103:104], 1.0
	v_fma_f64 v[103:104], v[103:104], v[107:108], v[103:104]
	v_mul_f64 v[107:108], v[105:106], v[103:104]
	v_fma_f64 v[101:102], -v[101:102], v[107:108], v[105:106]
	v_div_fmas_f64 v[101:102], v[101:102], v[103:104], v[107:108]
	v_div_fixup_f64 v[103:104], v[101:102], v[97:98], v[99:100]
	v_fma_f64 v[97:98], v[99:100], v[103:104], v[97:98]
	v_div_scale_f64 v[99:100], s[6:7], v[97:98], v[97:98], 1.0
	v_div_scale_f64 v[107:108], vcc, 1.0, v[97:98], 1.0
	v_rcp_f64_e32 v[101:102], v[99:100]
	v_fma_f64 v[105:106], -v[99:100], v[101:102], 1.0
	v_fma_f64 v[101:102], v[101:102], v[105:106], v[101:102]
	v_fma_f64 v[105:106], -v[99:100], v[101:102], 1.0
	v_fma_f64 v[101:102], v[101:102], v[105:106], v[101:102]
	v_mul_f64 v[105:106], v[107:108], v[101:102]
	v_fma_f64 v[99:100], -v[99:100], v[105:106], v[107:108]
	v_div_fmas_f64 v[99:100], v[99:100], v[101:102], v[105:106]
	v_div_fixup_f64 v[101:102], v[99:100], v[97:98], 1.0
	v_mul_f64 v[103:104], v[103:104], -v[101:102]
.LBB109_214:
	s_or_b64 exec, exec, s[2:3]
	ds_write2_b64 v127, v[101:102], v[103:104] offset1:1
.LBB109_215:
	s_or_b64 exec, exec, s[4:5]
	s_waitcnt lgkmcnt(0)
	s_barrier
	ds_read2_b64 v[87:90], v127 offset1:1
	v_cmp_lt_u32_e32 vcc, 23, v0
	s_waitcnt lgkmcnt(0)
	buffer_store_dword v87, off, s[20:23], 0 offset:1312 ; 4-byte Folded Spill
	s_nop 0
	buffer_store_dword v88, off, s[20:23], 0 offset:1316 ; 4-byte Folded Spill
	buffer_store_dword v89, off, s[20:23], 0 offset:1320 ; 4-byte Folded Spill
	;; [unrolled: 1-line block ×3, first 2 shown]
	s_and_saveexec_b64 s[2:3], vcc
	s_cbranch_execz .LBB109_217
; %bb.216:
	buffer_load_dword v107, off, s[20:23], 0 offset:128 ; 4-byte Folded Reload
	buffer_load_dword v108, off, s[20:23], 0 offset:132 ; 4-byte Folded Reload
	buffer_load_dword v109, off, s[20:23], 0 offset:136 ; 4-byte Folded Reload
	buffer_load_dword v110, off, s[20:23], 0 offset:140 ; 4-byte Folded Reload
	buffer_load_dword v87, off, s[20:23], 0 offset:1312 ; 4-byte Folded Reload
	buffer_load_dword v88, off, s[20:23], 0 offset:1316 ; 4-byte Folded Reload
	buffer_load_dword v89, off, s[20:23], 0 offset:1320 ; 4-byte Folded Reload
	buffer_load_dword v90, off, s[20:23], 0 offset:1324 ; 4-byte Folded Reload
	s_waitcnt vmcnt(2)
	v_mul_f64 v[99:100], v[87:88], v[109:110]
	s_waitcnt vmcnt(0)
	v_mul_f64 v[97:98], v[89:90], v[109:110]
	v_fma_f64 v[109:110], v[89:90], v[107:108], v[99:100]
	ds_read2_b64 v[99:102], v125 offset0:48 offset1:49
	v_fma_f64 v[97:98], v[87:88], v[107:108], -v[97:98]
	buffer_load_dword v105, off, s[20:23], 0 offset:112 ; 4-byte Folded Reload
	buffer_load_dword v106, off, s[20:23], 0 offset:116 ; 4-byte Folded Reload
	buffer_load_dword v107, off, s[20:23], 0 offset:120 ; 4-byte Folded Reload
	buffer_load_dword v108, off, s[20:23], 0 offset:124 ; 4-byte Folded Reload
	s_waitcnt lgkmcnt(0)
	v_mul_f64 v[103:104], v[101:102], v[109:110]
	v_fma_f64 v[103:104], v[99:100], v[97:98], -v[103:104]
	v_mul_f64 v[99:100], v[99:100], v[109:110]
	v_fma_f64 v[99:100], v[101:102], v[97:98], v[99:100]
	s_waitcnt vmcnt(2)
	v_add_f64 v[105:106], v[105:106], -v[103:104]
	s_waitcnt vmcnt(0)
	v_add_f64 v[107:108], v[107:108], -v[99:100]
	buffer_store_dword v105, off, s[20:23], 0 offset:112 ; 4-byte Folded Spill
	s_nop 0
	buffer_store_dword v106, off, s[20:23], 0 offset:116 ; 4-byte Folded Spill
	buffer_store_dword v107, off, s[20:23], 0 offset:120 ; 4-byte Folded Spill
	buffer_store_dword v108, off, s[20:23], 0 offset:124 ; 4-byte Folded Spill
	ds_read2_b64 v[99:102], v125 offset0:50 offset1:51
	buffer_load_dword v105, off, s[20:23], 0 offset:96 ; 4-byte Folded Reload
	buffer_load_dword v106, off, s[20:23], 0 offset:100 ; 4-byte Folded Reload
	buffer_load_dword v107, off, s[20:23], 0 offset:104 ; 4-byte Folded Reload
	buffer_load_dword v108, off, s[20:23], 0 offset:108 ; 4-byte Folded Reload
	s_waitcnt lgkmcnt(0)
	v_mul_f64 v[103:104], v[101:102], v[109:110]
	v_fma_f64 v[103:104], v[99:100], v[97:98], -v[103:104]
	v_mul_f64 v[99:100], v[99:100], v[109:110]
	v_fma_f64 v[99:100], v[101:102], v[97:98], v[99:100]
	s_waitcnt vmcnt(2)
	v_add_f64 v[105:106], v[105:106], -v[103:104]
	s_waitcnt vmcnt(0)
	v_add_f64 v[107:108], v[107:108], -v[99:100]
	buffer_store_dword v105, off, s[20:23], 0 offset:96 ; 4-byte Folded Spill
	s_nop 0
	buffer_store_dword v106, off, s[20:23], 0 offset:100 ; 4-byte Folded Spill
	buffer_store_dword v107, off, s[20:23], 0 offset:104 ; 4-byte Folded Spill
	buffer_store_dword v108, off, s[20:23], 0 offset:108 ; 4-byte Folded Spill
	ds_read2_b64 v[99:102], v125 offset0:52 offset1:53
	;; [unrolled: 19-line block ×7, first 2 shown]
	buffer_load_dword v105, off, s[20:23], 0 ; 4-byte Folded Reload
	buffer_load_dword v106, off, s[20:23], 0 offset:4 ; 4-byte Folded Reload
	buffer_load_dword v107, off, s[20:23], 0 offset:8 ; 4-byte Folded Reload
	;; [unrolled: 1-line block ×3, first 2 shown]
	s_waitcnt lgkmcnt(0)
	v_mul_f64 v[103:104], v[101:102], v[109:110]
	v_fma_f64 v[103:104], v[99:100], v[97:98], -v[103:104]
	v_mul_f64 v[99:100], v[99:100], v[109:110]
	v_fma_f64 v[99:100], v[101:102], v[97:98], v[99:100]
	s_waitcnt vmcnt(2)
	v_add_f64 v[105:106], v[105:106], -v[103:104]
	s_waitcnt vmcnt(0)
	v_add_f64 v[107:108], v[107:108], -v[99:100]
	buffer_store_dword v105, off, s[20:23], 0 ; 4-byte Folded Spill
	s_nop 0
	buffer_store_dword v106, off, s[20:23], 0 offset:4 ; 4-byte Folded Spill
	buffer_store_dword v107, off, s[20:23], 0 offset:8 ; 4-byte Folded Spill
	;; [unrolled: 1-line block ×3, first 2 shown]
	ds_read2_b64 v[99:102], v125 offset0:64 offset1:65
	v_mov_b32_e32 v108, v98
	v_mov_b32_e32 v107, v97
	s_waitcnt lgkmcnt(0)
	v_mul_f64 v[103:104], v[101:102], v[109:110]
	v_fma_f64 v[103:104], v[99:100], v[97:98], -v[103:104]
	v_mul_f64 v[99:100], v[99:100], v[109:110]
	v_add_f64 v[93:94], v[93:94], -v[103:104]
	v_fma_f64 v[99:100], v[101:102], v[97:98], v[99:100]
	v_add_f64 v[95:96], v[95:96], -v[99:100]
	ds_read2_b64 v[99:102], v125 offset0:66 offset1:67
	s_waitcnt lgkmcnt(0)
	v_mul_f64 v[103:104], v[101:102], v[109:110]
	v_fma_f64 v[103:104], v[99:100], v[97:98], -v[103:104]
	v_mul_f64 v[99:100], v[99:100], v[109:110]
	v_add_f64 v[81:82], v[81:82], -v[103:104]
	v_fma_f64 v[99:100], v[101:102], v[97:98], v[99:100]
	v_add_f64 v[83:84], v[83:84], -v[99:100]
	ds_read2_b64 v[99:102], v125 offset0:68 offset1:69
	;; [unrolled: 8-line block ×22, first 2 shown]
	s_waitcnt lgkmcnt(0)
	v_mul_f64 v[103:104], v[101:102], v[109:110]
	v_fma_f64 v[103:104], v[99:100], v[97:98], -v[103:104]
	v_mul_f64 v[99:100], v[99:100], v[109:110]
	buffer_store_dword v107, off, s[20:23], 0 offset:128 ; 4-byte Folded Spill
	s_nop 0
	buffer_store_dword v108, off, s[20:23], 0 offset:132 ; 4-byte Folded Spill
	buffer_store_dword v109, off, s[20:23], 0 offset:136 ; 4-byte Folded Spill
	;; [unrolled: 1-line block ×3, first 2 shown]
	v_add_f64 v[121:122], v[121:122], -v[103:104]
	v_fma_f64 v[99:100], v[101:102], v[97:98], v[99:100]
	v_add_f64 v[123:124], v[123:124], -v[99:100]
.LBB109_217:
	s_or_b64 exec, exec, s[2:3]
	v_cmp_eq_u32_e32 vcc, 24, v0
	s_waitcnt vmcnt(0)
	s_barrier
	s_and_saveexec_b64 s[4:5], vcc
	s_cbranch_execz .LBB109_224
; %bb.218:
	buffer_load_dword v97, off, s[20:23], 0 offset:112 ; 4-byte Folded Reload
	buffer_load_dword v98, off, s[20:23], 0 offset:116 ; 4-byte Folded Reload
	;; [unrolled: 1-line block ×4, first 2 shown]
	s_waitcnt vmcnt(0)
	ds_write2_b64 v127, v[97:98], v[99:100] offset1:1
	buffer_load_dword v97, off, s[20:23], 0 offset:96 ; 4-byte Folded Reload
	buffer_load_dword v98, off, s[20:23], 0 offset:100 ; 4-byte Folded Reload
	buffer_load_dword v99, off, s[20:23], 0 offset:104 ; 4-byte Folded Reload
	buffer_load_dword v100, off, s[20:23], 0 offset:108 ; 4-byte Folded Reload
	s_waitcnt vmcnt(0)
	ds_write2_b64 v125, v[97:98], v[99:100] offset0:50 offset1:51
	buffer_load_dword v97, off, s[20:23], 0 offset:80 ; 4-byte Folded Reload
	buffer_load_dword v98, off, s[20:23], 0 offset:84 ; 4-byte Folded Reload
	buffer_load_dword v99, off, s[20:23], 0 offset:88 ; 4-byte Folded Reload
	buffer_load_dword v100, off, s[20:23], 0 offset:92 ; 4-byte Folded Reload
	s_waitcnt vmcnt(0)
	ds_write2_b64 v125, v[97:98], v[99:100] offset0:52 offset1:53
	;; [unrolled: 6-line block ×6, first 2 shown]
	buffer_load_dword v97, off, s[20:23], 0 ; 4-byte Folded Reload
	buffer_load_dword v98, off, s[20:23], 0 offset:4 ; 4-byte Folded Reload
	buffer_load_dword v99, off, s[20:23], 0 offset:8 ; 4-byte Folded Reload
	;; [unrolled: 1-line block ×3, first 2 shown]
	s_waitcnt vmcnt(0)
	ds_write2_b64 v125, v[97:98], v[99:100] offset0:62 offset1:63
	ds_write2_b64 v125, v[93:94], v[95:96] offset0:64 offset1:65
	;; [unrolled: 1-line block ×24, first 2 shown]
	ds_read2_b64 v[97:100], v127 offset1:1
	s_waitcnt lgkmcnt(0)
	v_cmp_neq_f64_e32 vcc, 0, v[97:98]
	v_cmp_neq_f64_e64 s[2:3], 0, v[99:100]
	s_or_b64 s[2:3], vcc, s[2:3]
	s_and_b64 exec, exec, s[2:3]
	s_cbranch_execz .LBB109_224
; %bb.219:
	v_cmp_ngt_f64_e64 s[2:3], |v[97:98]|, |v[99:100]|
                                        ; implicit-def: $vgpr101_vgpr102
	s_and_saveexec_b64 s[6:7], s[2:3]
	s_xor_b64 s[2:3], exec, s[6:7]
                                        ; implicit-def: $vgpr103_vgpr104
	s_cbranch_execz .LBB109_221
; %bb.220:
	v_div_scale_f64 v[101:102], s[6:7], v[99:100], v[99:100], v[97:98]
	v_rcp_f64_e32 v[103:104], v[101:102]
	v_fma_f64 v[105:106], -v[101:102], v[103:104], 1.0
	v_fma_f64 v[103:104], v[103:104], v[105:106], v[103:104]
	v_div_scale_f64 v[105:106], vcc, v[97:98], v[99:100], v[97:98]
	v_fma_f64 v[107:108], -v[101:102], v[103:104], 1.0
	v_fma_f64 v[103:104], v[103:104], v[107:108], v[103:104]
	v_mul_f64 v[107:108], v[105:106], v[103:104]
	v_fma_f64 v[101:102], -v[101:102], v[107:108], v[105:106]
	v_div_fmas_f64 v[101:102], v[101:102], v[103:104], v[107:108]
	v_div_fixup_f64 v[101:102], v[101:102], v[99:100], v[97:98]
	v_fma_f64 v[97:98], v[97:98], v[101:102], v[99:100]
	v_div_scale_f64 v[99:100], s[6:7], v[97:98], v[97:98], 1.0
	v_div_scale_f64 v[107:108], vcc, 1.0, v[97:98], 1.0
	v_rcp_f64_e32 v[103:104], v[99:100]
	v_fma_f64 v[105:106], -v[99:100], v[103:104], 1.0
	v_fma_f64 v[103:104], v[103:104], v[105:106], v[103:104]
	v_fma_f64 v[105:106], -v[99:100], v[103:104], 1.0
	v_fma_f64 v[103:104], v[103:104], v[105:106], v[103:104]
	v_mul_f64 v[105:106], v[107:108], v[103:104]
	v_fma_f64 v[99:100], -v[99:100], v[105:106], v[107:108]
	v_div_fmas_f64 v[99:100], v[99:100], v[103:104], v[105:106]
	v_div_fixup_f64 v[103:104], v[99:100], v[97:98], 1.0
                                        ; implicit-def: $vgpr97_vgpr98
	v_mul_f64 v[101:102], v[101:102], v[103:104]
	v_xor_b32_e32 v104, 0x80000000, v104
.LBB109_221:
	s_andn2_saveexec_b64 s[2:3], s[2:3]
	s_cbranch_execz .LBB109_223
; %bb.222:
	v_div_scale_f64 v[101:102], s[6:7], v[97:98], v[97:98], v[99:100]
	v_rcp_f64_e32 v[103:104], v[101:102]
	v_fma_f64 v[105:106], -v[101:102], v[103:104], 1.0
	v_fma_f64 v[103:104], v[103:104], v[105:106], v[103:104]
	v_div_scale_f64 v[105:106], vcc, v[99:100], v[97:98], v[99:100]
	v_fma_f64 v[107:108], -v[101:102], v[103:104], 1.0
	v_fma_f64 v[103:104], v[103:104], v[107:108], v[103:104]
	v_mul_f64 v[107:108], v[105:106], v[103:104]
	v_fma_f64 v[101:102], -v[101:102], v[107:108], v[105:106]
	v_div_fmas_f64 v[101:102], v[101:102], v[103:104], v[107:108]
	v_div_fixup_f64 v[103:104], v[101:102], v[97:98], v[99:100]
	v_fma_f64 v[97:98], v[99:100], v[103:104], v[97:98]
	v_div_scale_f64 v[99:100], s[6:7], v[97:98], v[97:98], 1.0
	v_div_scale_f64 v[107:108], vcc, 1.0, v[97:98], 1.0
	v_rcp_f64_e32 v[101:102], v[99:100]
	v_fma_f64 v[105:106], -v[99:100], v[101:102], 1.0
	v_fma_f64 v[101:102], v[101:102], v[105:106], v[101:102]
	v_fma_f64 v[105:106], -v[99:100], v[101:102], 1.0
	v_fma_f64 v[101:102], v[101:102], v[105:106], v[101:102]
	v_mul_f64 v[105:106], v[107:108], v[101:102]
	v_fma_f64 v[99:100], -v[99:100], v[105:106], v[107:108]
	v_div_fmas_f64 v[99:100], v[99:100], v[101:102], v[105:106]
	v_div_fixup_f64 v[101:102], v[99:100], v[97:98], 1.0
	v_mul_f64 v[103:104], v[103:104], -v[101:102]
.LBB109_223:
	s_or_b64 exec, exec, s[2:3]
	ds_write2_b64 v127, v[101:102], v[103:104] offset1:1
.LBB109_224:
	s_or_b64 exec, exec, s[4:5]
	s_waitcnt lgkmcnt(0)
	s_barrier
	ds_read2_b64 v[87:90], v127 offset1:1
	v_cmp_lt_u32_e32 vcc, 24, v0
	s_waitcnt lgkmcnt(0)
	buffer_store_dword v87, off, s[20:23], 0 offset:1328 ; 4-byte Folded Spill
	s_nop 0
	buffer_store_dword v88, off, s[20:23], 0 offset:1332 ; 4-byte Folded Spill
	buffer_store_dword v89, off, s[20:23], 0 offset:1336 ; 4-byte Folded Spill
	;; [unrolled: 1-line block ×3, first 2 shown]
	s_and_saveexec_b64 s[2:3], vcc
	s_cbranch_execz .LBB109_226
; %bb.225:
	buffer_load_dword v107, off, s[20:23], 0 offset:112 ; 4-byte Folded Reload
	buffer_load_dword v108, off, s[20:23], 0 offset:116 ; 4-byte Folded Reload
	buffer_load_dword v109, off, s[20:23], 0 offset:120 ; 4-byte Folded Reload
	buffer_load_dword v110, off, s[20:23], 0 offset:124 ; 4-byte Folded Reload
	buffer_load_dword v87, off, s[20:23], 0 offset:1328 ; 4-byte Folded Reload
	buffer_load_dword v88, off, s[20:23], 0 offset:1332 ; 4-byte Folded Reload
	buffer_load_dword v89, off, s[20:23], 0 offset:1336 ; 4-byte Folded Reload
	buffer_load_dword v90, off, s[20:23], 0 offset:1340 ; 4-byte Folded Reload
	s_waitcnt vmcnt(2)
	v_mul_f64 v[99:100], v[87:88], v[109:110]
	s_waitcnt vmcnt(0)
	v_mul_f64 v[97:98], v[89:90], v[109:110]
	v_fma_f64 v[109:110], v[89:90], v[107:108], v[99:100]
	ds_read2_b64 v[99:102], v125 offset0:50 offset1:51
	v_fma_f64 v[97:98], v[87:88], v[107:108], -v[97:98]
	buffer_load_dword v105, off, s[20:23], 0 offset:96 ; 4-byte Folded Reload
	buffer_load_dword v106, off, s[20:23], 0 offset:100 ; 4-byte Folded Reload
	buffer_load_dword v107, off, s[20:23], 0 offset:104 ; 4-byte Folded Reload
	buffer_load_dword v108, off, s[20:23], 0 offset:108 ; 4-byte Folded Reload
	s_waitcnt lgkmcnt(0)
	v_mul_f64 v[103:104], v[101:102], v[109:110]
	v_fma_f64 v[103:104], v[99:100], v[97:98], -v[103:104]
	v_mul_f64 v[99:100], v[99:100], v[109:110]
	v_fma_f64 v[99:100], v[101:102], v[97:98], v[99:100]
	s_waitcnt vmcnt(2)
	v_add_f64 v[105:106], v[105:106], -v[103:104]
	s_waitcnt vmcnt(0)
	v_add_f64 v[107:108], v[107:108], -v[99:100]
	buffer_store_dword v105, off, s[20:23], 0 offset:96 ; 4-byte Folded Spill
	s_nop 0
	buffer_store_dword v106, off, s[20:23], 0 offset:100 ; 4-byte Folded Spill
	buffer_store_dword v107, off, s[20:23], 0 offset:104 ; 4-byte Folded Spill
	buffer_store_dword v108, off, s[20:23], 0 offset:108 ; 4-byte Folded Spill
	ds_read2_b64 v[99:102], v125 offset0:52 offset1:53
	buffer_load_dword v105, off, s[20:23], 0 offset:80 ; 4-byte Folded Reload
	buffer_load_dword v106, off, s[20:23], 0 offset:84 ; 4-byte Folded Reload
	buffer_load_dword v107, off, s[20:23], 0 offset:88 ; 4-byte Folded Reload
	buffer_load_dword v108, off, s[20:23], 0 offset:92 ; 4-byte Folded Reload
	s_waitcnt lgkmcnt(0)
	v_mul_f64 v[103:104], v[101:102], v[109:110]
	v_fma_f64 v[103:104], v[99:100], v[97:98], -v[103:104]
	v_mul_f64 v[99:100], v[99:100], v[109:110]
	v_fma_f64 v[99:100], v[101:102], v[97:98], v[99:100]
	s_waitcnt vmcnt(2)
	v_add_f64 v[105:106], v[105:106], -v[103:104]
	s_waitcnt vmcnt(0)
	v_add_f64 v[107:108], v[107:108], -v[99:100]
	buffer_store_dword v105, off, s[20:23], 0 offset:80 ; 4-byte Folded Spill
	s_nop 0
	buffer_store_dword v106, off, s[20:23], 0 offset:84 ; 4-byte Folded Spill
	buffer_store_dword v107, off, s[20:23], 0 offset:88 ; 4-byte Folded Spill
	buffer_store_dword v108, off, s[20:23], 0 offset:92 ; 4-byte Folded Spill
	ds_read2_b64 v[99:102], v125 offset0:54 offset1:55
	;; [unrolled: 19-line block ×6, first 2 shown]
	buffer_load_dword v105, off, s[20:23], 0 ; 4-byte Folded Reload
	buffer_load_dword v106, off, s[20:23], 0 offset:4 ; 4-byte Folded Reload
	buffer_load_dword v107, off, s[20:23], 0 offset:8 ; 4-byte Folded Reload
	;; [unrolled: 1-line block ×3, first 2 shown]
	s_waitcnt lgkmcnt(0)
	v_mul_f64 v[103:104], v[101:102], v[109:110]
	v_fma_f64 v[103:104], v[99:100], v[97:98], -v[103:104]
	v_mul_f64 v[99:100], v[99:100], v[109:110]
	v_fma_f64 v[99:100], v[101:102], v[97:98], v[99:100]
	s_waitcnt vmcnt(2)
	v_add_f64 v[105:106], v[105:106], -v[103:104]
	s_waitcnt vmcnt(0)
	v_add_f64 v[107:108], v[107:108], -v[99:100]
	buffer_store_dword v105, off, s[20:23], 0 ; 4-byte Folded Spill
	s_nop 0
	buffer_store_dword v106, off, s[20:23], 0 offset:4 ; 4-byte Folded Spill
	buffer_store_dword v107, off, s[20:23], 0 offset:8 ; 4-byte Folded Spill
	;; [unrolled: 1-line block ×3, first 2 shown]
	ds_read2_b64 v[99:102], v125 offset0:64 offset1:65
	v_mov_b32_e32 v108, v98
	v_mov_b32_e32 v107, v97
	s_waitcnt lgkmcnt(0)
	v_mul_f64 v[103:104], v[101:102], v[109:110]
	v_fma_f64 v[103:104], v[99:100], v[97:98], -v[103:104]
	v_mul_f64 v[99:100], v[99:100], v[109:110]
	v_add_f64 v[93:94], v[93:94], -v[103:104]
	v_fma_f64 v[99:100], v[101:102], v[97:98], v[99:100]
	v_add_f64 v[95:96], v[95:96], -v[99:100]
	ds_read2_b64 v[99:102], v125 offset0:66 offset1:67
	s_waitcnt lgkmcnt(0)
	v_mul_f64 v[103:104], v[101:102], v[109:110]
	v_fma_f64 v[103:104], v[99:100], v[97:98], -v[103:104]
	v_mul_f64 v[99:100], v[99:100], v[109:110]
	v_add_f64 v[81:82], v[81:82], -v[103:104]
	v_fma_f64 v[99:100], v[101:102], v[97:98], v[99:100]
	v_add_f64 v[83:84], v[83:84], -v[99:100]
	ds_read2_b64 v[99:102], v125 offset0:68 offset1:69
	;; [unrolled: 8-line block ×22, first 2 shown]
	s_waitcnt lgkmcnt(0)
	v_mul_f64 v[103:104], v[101:102], v[109:110]
	v_fma_f64 v[103:104], v[99:100], v[97:98], -v[103:104]
	v_mul_f64 v[99:100], v[99:100], v[109:110]
	buffer_store_dword v107, off, s[20:23], 0 offset:112 ; 4-byte Folded Spill
	s_nop 0
	buffer_store_dword v108, off, s[20:23], 0 offset:116 ; 4-byte Folded Spill
	buffer_store_dword v109, off, s[20:23], 0 offset:120 ; 4-byte Folded Spill
	;; [unrolled: 1-line block ×3, first 2 shown]
	v_add_f64 v[121:122], v[121:122], -v[103:104]
	v_fma_f64 v[99:100], v[101:102], v[97:98], v[99:100]
	v_add_f64 v[123:124], v[123:124], -v[99:100]
.LBB109_226:
	s_or_b64 exec, exec, s[2:3]
	v_cmp_eq_u32_e32 vcc, 25, v0
	s_waitcnt vmcnt(0)
	s_barrier
	s_and_saveexec_b64 s[4:5], vcc
	s_cbranch_execz .LBB109_233
; %bb.227:
	buffer_load_dword v97, off, s[20:23], 0 offset:96 ; 4-byte Folded Reload
	buffer_load_dword v98, off, s[20:23], 0 offset:100 ; 4-byte Folded Reload
	;; [unrolled: 1-line block ×4, first 2 shown]
	s_waitcnt vmcnt(0)
	ds_write2_b64 v127, v[97:98], v[99:100] offset1:1
	buffer_load_dword v97, off, s[20:23], 0 offset:80 ; 4-byte Folded Reload
	buffer_load_dword v98, off, s[20:23], 0 offset:84 ; 4-byte Folded Reload
	buffer_load_dword v99, off, s[20:23], 0 offset:88 ; 4-byte Folded Reload
	buffer_load_dword v100, off, s[20:23], 0 offset:92 ; 4-byte Folded Reload
	s_waitcnt vmcnt(0)
	ds_write2_b64 v125, v[97:98], v[99:100] offset0:52 offset1:53
	buffer_load_dword v97, off, s[20:23], 0 offset:64 ; 4-byte Folded Reload
	buffer_load_dword v98, off, s[20:23], 0 offset:68 ; 4-byte Folded Reload
	buffer_load_dword v99, off, s[20:23], 0 offset:72 ; 4-byte Folded Reload
	buffer_load_dword v100, off, s[20:23], 0 offset:76 ; 4-byte Folded Reload
	s_waitcnt vmcnt(0)
	ds_write2_b64 v125, v[97:98], v[99:100] offset0:54 offset1:55
	;; [unrolled: 6-line block ×5, first 2 shown]
	buffer_load_dword v97, off, s[20:23], 0 ; 4-byte Folded Reload
	buffer_load_dword v98, off, s[20:23], 0 offset:4 ; 4-byte Folded Reload
	buffer_load_dword v99, off, s[20:23], 0 offset:8 ; 4-byte Folded Reload
	buffer_load_dword v100, off, s[20:23], 0 offset:12 ; 4-byte Folded Reload
	s_waitcnt vmcnt(0)
	ds_write2_b64 v125, v[97:98], v[99:100] offset0:62 offset1:63
	ds_write2_b64 v125, v[93:94], v[95:96] offset0:64 offset1:65
	;; [unrolled: 1-line block ×24, first 2 shown]
	ds_read2_b64 v[97:100], v127 offset1:1
	s_waitcnt lgkmcnt(0)
	v_cmp_neq_f64_e32 vcc, 0, v[97:98]
	v_cmp_neq_f64_e64 s[2:3], 0, v[99:100]
	s_or_b64 s[2:3], vcc, s[2:3]
	s_and_b64 exec, exec, s[2:3]
	s_cbranch_execz .LBB109_233
; %bb.228:
	v_cmp_ngt_f64_e64 s[2:3], |v[97:98]|, |v[99:100]|
                                        ; implicit-def: $vgpr101_vgpr102
	s_and_saveexec_b64 s[6:7], s[2:3]
	s_xor_b64 s[2:3], exec, s[6:7]
                                        ; implicit-def: $vgpr103_vgpr104
	s_cbranch_execz .LBB109_230
; %bb.229:
	v_div_scale_f64 v[101:102], s[6:7], v[99:100], v[99:100], v[97:98]
	v_rcp_f64_e32 v[103:104], v[101:102]
	v_fma_f64 v[105:106], -v[101:102], v[103:104], 1.0
	v_fma_f64 v[103:104], v[103:104], v[105:106], v[103:104]
	v_div_scale_f64 v[105:106], vcc, v[97:98], v[99:100], v[97:98]
	v_fma_f64 v[107:108], -v[101:102], v[103:104], 1.0
	v_fma_f64 v[103:104], v[103:104], v[107:108], v[103:104]
	v_mul_f64 v[107:108], v[105:106], v[103:104]
	v_fma_f64 v[101:102], -v[101:102], v[107:108], v[105:106]
	v_div_fmas_f64 v[101:102], v[101:102], v[103:104], v[107:108]
	v_div_fixup_f64 v[101:102], v[101:102], v[99:100], v[97:98]
	v_fma_f64 v[97:98], v[97:98], v[101:102], v[99:100]
	v_div_scale_f64 v[99:100], s[6:7], v[97:98], v[97:98], 1.0
	v_div_scale_f64 v[107:108], vcc, 1.0, v[97:98], 1.0
	v_rcp_f64_e32 v[103:104], v[99:100]
	v_fma_f64 v[105:106], -v[99:100], v[103:104], 1.0
	v_fma_f64 v[103:104], v[103:104], v[105:106], v[103:104]
	v_fma_f64 v[105:106], -v[99:100], v[103:104], 1.0
	v_fma_f64 v[103:104], v[103:104], v[105:106], v[103:104]
	v_mul_f64 v[105:106], v[107:108], v[103:104]
	v_fma_f64 v[99:100], -v[99:100], v[105:106], v[107:108]
	v_div_fmas_f64 v[99:100], v[99:100], v[103:104], v[105:106]
	v_div_fixup_f64 v[103:104], v[99:100], v[97:98], 1.0
                                        ; implicit-def: $vgpr97_vgpr98
	v_mul_f64 v[101:102], v[101:102], v[103:104]
	v_xor_b32_e32 v104, 0x80000000, v104
.LBB109_230:
	s_andn2_saveexec_b64 s[2:3], s[2:3]
	s_cbranch_execz .LBB109_232
; %bb.231:
	v_div_scale_f64 v[101:102], s[6:7], v[97:98], v[97:98], v[99:100]
	v_rcp_f64_e32 v[103:104], v[101:102]
	v_fma_f64 v[105:106], -v[101:102], v[103:104], 1.0
	v_fma_f64 v[103:104], v[103:104], v[105:106], v[103:104]
	v_div_scale_f64 v[105:106], vcc, v[99:100], v[97:98], v[99:100]
	v_fma_f64 v[107:108], -v[101:102], v[103:104], 1.0
	v_fma_f64 v[103:104], v[103:104], v[107:108], v[103:104]
	v_mul_f64 v[107:108], v[105:106], v[103:104]
	v_fma_f64 v[101:102], -v[101:102], v[107:108], v[105:106]
	v_div_fmas_f64 v[101:102], v[101:102], v[103:104], v[107:108]
	v_div_fixup_f64 v[103:104], v[101:102], v[97:98], v[99:100]
	v_fma_f64 v[97:98], v[99:100], v[103:104], v[97:98]
	v_div_scale_f64 v[99:100], s[6:7], v[97:98], v[97:98], 1.0
	v_div_scale_f64 v[107:108], vcc, 1.0, v[97:98], 1.0
	v_rcp_f64_e32 v[101:102], v[99:100]
	v_fma_f64 v[105:106], -v[99:100], v[101:102], 1.0
	v_fma_f64 v[101:102], v[101:102], v[105:106], v[101:102]
	v_fma_f64 v[105:106], -v[99:100], v[101:102], 1.0
	v_fma_f64 v[101:102], v[101:102], v[105:106], v[101:102]
	v_mul_f64 v[105:106], v[107:108], v[101:102]
	v_fma_f64 v[99:100], -v[99:100], v[105:106], v[107:108]
	v_div_fmas_f64 v[99:100], v[99:100], v[101:102], v[105:106]
	v_div_fixup_f64 v[101:102], v[99:100], v[97:98], 1.0
	v_mul_f64 v[103:104], v[103:104], -v[101:102]
.LBB109_232:
	s_or_b64 exec, exec, s[2:3]
	ds_write2_b64 v127, v[101:102], v[103:104] offset1:1
.LBB109_233:
	s_or_b64 exec, exec, s[4:5]
	s_waitcnt lgkmcnt(0)
	s_barrier
	ds_read2_b64 v[87:90], v127 offset1:1
	v_cmp_lt_u32_e32 vcc, 25, v0
	s_waitcnt lgkmcnt(0)
	buffer_store_dword v87, off, s[20:23], 0 offset:1344 ; 4-byte Folded Spill
	s_nop 0
	buffer_store_dword v88, off, s[20:23], 0 offset:1348 ; 4-byte Folded Spill
	buffer_store_dword v89, off, s[20:23], 0 offset:1352 ; 4-byte Folded Spill
	;; [unrolled: 1-line block ×3, first 2 shown]
	s_and_saveexec_b64 s[2:3], vcc
	s_cbranch_execz .LBB109_235
; %bb.234:
	buffer_load_dword v107, off, s[20:23], 0 offset:96 ; 4-byte Folded Reload
	buffer_load_dword v108, off, s[20:23], 0 offset:100 ; 4-byte Folded Reload
	;; [unrolled: 1-line block ×8, first 2 shown]
	s_waitcnt vmcnt(2)
	v_mul_f64 v[99:100], v[87:88], v[109:110]
	s_waitcnt vmcnt(0)
	v_mul_f64 v[97:98], v[89:90], v[109:110]
	v_fma_f64 v[109:110], v[89:90], v[107:108], v[99:100]
	ds_read2_b64 v[99:102], v125 offset0:52 offset1:53
	v_fma_f64 v[97:98], v[87:88], v[107:108], -v[97:98]
	buffer_load_dword v105, off, s[20:23], 0 offset:80 ; 4-byte Folded Reload
	buffer_load_dword v106, off, s[20:23], 0 offset:84 ; 4-byte Folded Reload
	buffer_load_dword v107, off, s[20:23], 0 offset:88 ; 4-byte Folded Reload
	buffer_load_dword v108, off, s[20:23], 0 offset:92 ; 4-byte Folded Reload
	s_waitcnt lgkmcnt(0)
	v_mul_f64 v[103:104], v[101:102], v[109:110]
	v_fma_f64 v[103:104], v[99:100], v[97:98], -v[103:104]
	v_mul_f64 v[99:100], v[99:100], v[109:110]
	v_fma_f64 v[99:100], v[101:102], v[97:98], v[99:100]
	s_waitcnt vmcnt(2)
	v_add_f64 v[105:106], v[105:106], -v[103:104]
	s_waitcnt vmcnt(0)
	v_add_f64 v[107:108], v[107:108], -v[99:100]
	buffer_store_dword v105, off, s[20:23], 0 offset:80 ; 4-byte Folded Spill
	s_nop 0
	buffer_store_dword v106, off, s[20:23], 0 offset:84 ; 4-byte Folded Spill
	buffer_store_dword v107, off, s[20:23], 0 offset:88 ; 4-byte Folded Spill
	buffer_store_dword v108, off, s[20:23], 0 offset:92 ; 4-byte Folded Spill
	ds_read2_b64 v[99:102], v125 offset0:54 offset1:55
	buffer_load_dword v105, off, s[20:23], 0 offset:64 ; 4-byte Folded Reload
	buffer_load_dword v106, off, s[20:23], 0 offset:68 ; 4-byte Folded Reload
	buffer_load_dword v107, off, s[20:23], 0 offset:72 ; 4-byte Folded Reload
	buffer_load_dword v108, off, s[20:23], 0 offset:76 ; 4-byte Folded Reload
	s_waitcnt lgkmcnt(0)
	v_mul_f64 v[103:104], v[101:102], v[109:110]
	v_fma_f64 v[103:104], v[99:100], v[97:98], -v[103:104]
	v_mul_f64 v[99:100], v[99:100], v[109:110]
	v_fma_f64 v[99:100], v[101:102], v[97:98], v[99:100]
	s_waitcnt vmcnt(2)
	v_add_f64 v[105:106], v[105:106], -v[103:104]
	s_waitcnt vmcnt(0)
	v_add_f64 v[107:108], v[107:108], -v[99:100]
	buffer_store_dword v105, off, s[20:23], 0 offset:64 ; 4-byte Folded Spill
	s_nop 0
	buffer_store_dword v106, off, s[20:23], 0 offset:68 ; 4-byte Folded Spill
	buffer_store_dword v107, off, s[20:23], 0 offset:72 ; 4-byte Folded Spill
	buffer_store_dword v108, off, s[20:23], 0 offset:76 ; 4-byte Folded Spill
	ds_read2_b64 v[99:102], v125 offset0:56 offset1:57
	;; [unrolled: 19-line block ×5, first 2 shown]
	buffer_load_dword v105, off, s[20:23], 0 ; 4-byte Folded Reload
	buffer_load_dword v106, off, s[20:23], 0 offset:4 ; 4-byte Folded Reload
	buffer_load_dword v107, off, s[20:23], 0 offset:8 ; 4-byte Folded Reload
	;; [unrolled: 1-line block ×3, first 2 shown]
	s_waitcnt lgkmcnt(0)
	v_mul_f64 v[103:104], v[101:102], v[109:110]
	v_fma_f64 v[103:104], v[99:100], v[97:98], -v[103:104]
	v_mul_f64 v[99:100], v[99:100], v[109:110]
	v_fma_f64 v[99:100], v[101:102], v[97:98], v[99:100]
	s_waitcnt vmcnt(2)
	v_add_f64 v[105:106], v[105:106], -v[103:104]
	s_waitcnt vmcnt(0)
	v_add_f64 v[107:108], v[107:108], -v[99:100]
	buffer_store_dword v105, off, s[20:23], 0 ; 4-byte Folded Spill
	s_nop 0
	buffer_store_dword v106, off, s[20:23], 0 offset:4 ; 4-byte Folded Spill
	buffer_store_dword v107, off, s[20:23], 0 offset:8 ; 4-byte Folded Spill
	;; [unrolled: 1-line block ×3, first 2 shown]
	ds_read2_b64 v[99:102], v125 offset0:64 offset1:65
	v_mov_b32_e32 v108, v98
	v_mov_b32_e32 v107, v97
	s_waitcnt lgkmcnt(0)
	v_mul_f64 v[103:104], v[101:102], v[109:110]
	v_fma_f64 v[103:104], v[99:100], v[97:98], -v[103:104]
	v_mul_f64 v[99:100], v[99:100], v[109:110]
	v_add_f64 v[93:94], v[93:94], -v[103:104]
	v_fma_f64 v[99:100], v[101:102], v[97:98], v[99:100]
	v_add_f64 v[95:96], v[95:96], -v[99:100]
	ds_read2_b64 v[99:102], v125 offset0:66 offset1:67
	s_waitcnt lgkmcnt(0)
	v_mul_f64 v[103:104], v[101:102], v[109:110]
	v_fma_f64 v[103:104], v[99:100], v[97:98], -v[103:104]
	v_mul_f64 v[99:100], v[99:100], v[109:110]
	v_add_f64 v[81:82], v[81:82], -v[103:104]
	v_fma_f64 v[99:100], v[101:102], v[97:98], v[99:100]
	v_add_f64 v[83:84], v[83:84], -v[99:100]
	ds_read2_b64 v[99:102], v125 offset0:68 offset1:69
	;; [unrolled: 8-line block ×22, first 2 shown]
	s_waitcnt lgkmcnt(0)
	v_mul_f64 v[103:104], v[101:102], v[109:110]
	v_fma_f64 v[103:104], v[99:100], v[97:98], -v[103:104]
	v_mul_f64 v[99:100], v[99:100], v[109:110]
	buffer_store_dword v107, off, s[20:23], 0 offset:96 ; 4-byte Folded Spill
	s_nop 0
	buffer_store_dword v108, off, s[20:23], 0 offset:100 ; 4-byte Folded Spill
	buffer_store_dword v109, off, s[20:23], 0 offset:104 ; 4-byte Folded Spill
	;; [unrolled: 1-line block ×3, first 2 shown]
	v_add_f64 v[121:122], v[121:122], -v[103:104]
	v_fma_f64 v[99:100], v[101:102], v[97:98], v[99:100]
	v_add_f64 v[123:124], v[123:124], -v[99:100]
.LBB109_235:
	s_or_b64 exec, exec, s[2:3]
	v_cmp_eq_u32_e32 vcc, 26, v0
	s_waitcnt vmcnt(0)
	s_barrier
	s_and_saveexec_b64 s[4:5], vcc
	s_cbranch_execz .LBB109_242
; %bb.236:
	buffer_load_dword v97, off, s[20:23], 0 offset:80 ; 4-byte Folded Reload
	buffer_load_dword v98, off, s[20:23], 0 offset:84 ; 4-byte Folded Reload
	;; [unrolled: 1-line block ×4, first 2 shown]
	s_waitcnt vmcnt(0)
	ds_write2_b64 v127, v[97:98], v[99:100] offset1:1
	buffer_load_dword v97, off, s[20:23], 0 offset:64 ; 4-byte Folded Reload
	buffer_load_dword v98, off, s[20:23], 0 offset:68 ; 4-byte Folded Reload
	buffer_load_dword v99, off, s[20:23], 0 offset:72 ; 4-byte Folded Reload
	buffer_load_dword v100, off, s[20:23], 0 offset:76 ; 4-byte Folded Reload
	s_waitcnt vmcnt(0)
	ds_write2_b64 v125, v[97:98], v[99:100] offset0:54 offset1:55
	buffer_load_dword v97, off, s[20:23], 0 offset:48 ; 4-byte Folded Reload
	buffer_load_dword v98, off, s[20:23], 0 offset:52 ; 4-byte Folded Reload
	buffer_load_dword v99, off, s[20:23], 0 offset:56 ; 4-byte Folded Reload
	buffer_load_dword v100, off, s[20:23], 0 offset:60 ; 4-byte Folded Reload
	s_waitcnt vmcnt(0)
	ds_write2_b64 v125, v[97:98], v[99:100] offset0:56 offset1:57
	;; [unrolled: 6-line block ×4, first 2 shown]
	buffer_load_dword v97, off, s[20:23], 0 ; 4-byte Folded Reload
	buffer_load_dword v98, off, s[20:23], 0 offset:4 ; 4-byte Folded Reload
	buffer_load_dword v99, off, s[20:23], 0 offset:8 ; 4-byte Folded Reload
	buffer_load_dword v100, off, s[20:23], 0 offset:12 ; 4-byte Folded Reload
	s_waitcnt vmcnt(0)
	ds_write2_b64 v125, v[97:98], v[99:100] offset0:62 offset1:63
	ds_write2_b64 v125, v[93:94], v[95:96] offset0:64 offset1:65
	;; [unrolled: 1-line block ×24, first 2 shown]
	ds_read2_b64 v[97:100], v127 offset1:1
	s_waitcnt lgkmcnt(0)
	v_cmp_neq_f64_e32 vcc, 0, v[97:98]
	v_cmp_neq_f64_e64 s[2:3], 0, v[99:100]
	s_or_b64 s[2:3], vcc, s[2:3]
	s_and_b64 exec, exec, s[2:3]
	s_cbranch_execz .LBB109_242
; %bb.237:
	v_cmp_ngt_f64_e64 s[2:3], |v[97:98]|, |v[99:100]|
                                        ; implicit-def: $vgpr101_vgpr102
	s_and_saveexec_b64 s[6:7], s[2:3]
	s_xor_b64 s[2:3], exec, s[6:7]
                                        ; implicit-def: $vgpr103_vgpr104
	s_cbranch_execz .LBB109_239
; %bb.238:
	v_div_scale_f64 v[101:102], s[6:7], v[99:100], v[99:100], v[97:98]
	v_rcp_f64_e32 v[103:104], v[101:102]
	v_fma_f64 v[105:106], -v[101:102], v[103:104], 1.0
	v_fma_f64 v[103:104], v[103:104], v[105:106], v[103:104]
	v_div_scale_f64 v[105:106], vcc, v[97:98], v[99:100], v[97:98]
	v_fma_f64 v[107:108], -v[101:102], v[103:104], 1.0
	v_fma_f64 v[103:104], v[103:104], v[107:108], v[103:104]
	v_mul_f64 v[107:108], v[105:106], v[103:104]
	v_fma_f64 v[101:102], -v[101:102], v[107:108], v[105:106]
	v_div_fmas_f64 v[101:102], v[101:102], v[103:104], v[107:108]
	v_div_fixup_f64 v[101:102], v[101:102], v[99:100], v[97:98]
	v_fma_f64 v[97:98], v[97:98], v[101:102], v[99:100]
	v_div_scale_f64 v[99:100], s[6:7], v[97:98], v[97:98], 1.0
	v_div_scale_f64 v[107:108], vcc, 1.0, v[97:98], 1.0
	v_rcp_f64_e32 v[103:104], v[99:100]
	v_fma_f64 v[105:106], -v[99:100], v[103:104], 1.0
	v_fma_f64 v[103:104], v[103:104], v[105:106], v[103:104]
	v_fma_f64 v[105:106], -v[99:100], v[103:104], 1.0
	v_fma_f64 v[103:104], v[103:104], v[105:106], v[103:104]
	v_mul_f64 v[105:106], v[107:108], v[103:104]
	v_fma_f64 v[99:100], -v[99:100], v[105:106], v[107:108]
	v_div_fmas_f64 v[99:100], v[99:100], v[103:104], v[105:106]
	v_div_fixup_f64 v[103:104], v[99:100], v[97:98], 1.0
                                        ; implicit-def: $vgpr97_vgpr98
	v_mul_f64 v[101:102], v[101:102], v[103:104]
	v_xor_b32_e32 v104, 0x80000000, v104
.LBB109_239:
	s_andn2_saveexec_b64 s[2:3], s[2:3]
	s_cbranch_execz .LBB109_241
; %bb.240:
	v_div_scale_f64 v[101:102], s[6:7], v[97:98], v[97:98], v[99:100]
	v_rcp_f64_e32 v[103:104], v[101:102]
	v_fma_f64 v[105:106], -v[101:102], v[103:104], 1.0
	v_fma_f64 v[103:104], v[103:104], v[105:106], v[103:104]
	v_div_scale_f64 v[105:106], vcc, v[99:100], v[97:98], v[99:100]
	v_fma_f64 v[107:108], -v[101:102], v[103:104], 1.0
	v_fma_f64 v[103:104], v[103:104], v[107:108], v[103:104]
	v_mul_f64 v[107:108], v[105:106], v[103:104]
	v_fma_f64 v[101:102], -v[101:102], v[107:108], v[105:106]
	v_div_fmas_f64 v[101:102], v[101:102], v[103:104], v[107:108]
	v_div_fixup_f64 v[103:104], v[101:102], v[97:98], v[99:100]
	v_fma_f64 v[97:98], v[99:100], v[103:104], v[97:98]
	v_div_scale_f64 v[99:100], s[6:7], v[97:98], v[97:98], 1.0
	v_div_scale_f64 v[107:108], vcc, 1.0, v[97:98], 1.0
	v_rcp_f64_e32 v[101:102], v[99:100]
	v_fma_f64 v[105:106], -v[99:100], v[101:102], 1.0
	v_fma_f64 v[101:102], v[101:102], v[105:106], v[101:102]
	v_fma_f64 v[105:106], -v[99:100], v[101:102], 1.0
	v_fma_f64 v[101:102], v[101:102], v[105:106], v[101:102]
	v_mul_f64 v[105:106], v[107:108], v[101:102]
	v_fma_f64 v[99:100], -v[99:100], v[105:106], v[107:108]
	v_div_fmas_f64 v[99:100], v[99:100], v[101:102], v[105:106]
	v_div_fixup_f64 v[101:102], v[99:100], v[97:98], 1.0
	v_mul_f64 v[103:104], v[103:104], -v[101:102]
.LBB109_241:
	s_or_b64 exec, exec, s[2:3]
	ds_write2_b64 v127, v[101:102], v[103:104] offset1:1
.LBB109_242:
	s_or_b64 exec, exec, s[4:5]
	s_waitcnt lgkmcnt(0)
	s_barrier
	ds_read2_b64 v[87:90], v127 offset1:1
	v_cmp_lt_u32_e32 vcc, 26, v0
	s_waitcnt lgkmcnt(0)
	buffer_store_dword v87, off, s[20:23], 0 offset:1360 ; 4-byte Folded Spill
	s_nop 0
	buffer_store_dword v88, off, s[20:23], 0 offset:1364 ; 4-byte Folded Spill
	buffer_store_dword v89, off, s[20:23], 0 offset:1368 ; 4-byte Folded Spill
	;; [unrolled: 1-line block ×3, first 2 shown]
	s_and_saveexec_b64 s[2:3], vcc
	s_cbranch_execz .LBB109_244
; %bb.243:
	buffer_load_dword v107, off, s[20:23], 0 offset:80 ; 4-byte Folded Reload
	buffer_load_dword v108, off, s[20:23], 0 offset:84 ; 4-byte Folded Reload
	buffer_load_dword v109, off, s[20:23], 0 offset:88 ; 4-byte Folded Reload
	buffer_load_dword v110, off, s[20:23], 0 offset:92 ; 4-byte Folded Reload
	buffer_load_dword v87, off, s[20:23], 0 offset:1360 ; 4-byte Folded Reload
	buffer_load_dword v88, off, s[20:23], 0 offset:1364 ; 4-byte Folded Reload
	buffer_load_dword v89, off, s[20:23], 0 offset:1368 ; 4-byte Folded Reload
	buffer_load_dword v90, off, s[20:23], 0 offset:1372 ; 4-byte Folded Reload
	s_waitcnt vmcnt(2)
	v_mul_f64 v[99:100], v[87:88], v[109:110]
	s_waitcnt vmcnt(0)
	v_mul_f64 v[97:98], v[89:90], v[109:110]
	v_fma_f64 v[109:110], v[89:90], v[107:108], v[99:100]
	ds_read2_b64 v[99:102], v125 offset0:54 offset1:55
	v_fma_f64 v[97:98], v[87:88], v[107:108], -v[97:98]
	buffer_load_dword v105, off, s[20:23], 0 offset:64 ; 4-byte Folded Reload
	buffer_load_dword v106, off, s[20:23], 0 offset:68 ; 4-byte Folded Reload
	buffer_load_dword v107, off, s[20:23], 0 offset:72 ; 4-byte Folded Reload
	buffer_load_dword v108, off, s[20:23], 0 offset:76 ; 4-byte Folded Reload
	s_waitcnt lgkmcnt(0)
	v_mul_f64 v[103:104], v[101:102], v[109:110]
	v_fma_f64 v[103:104], v[99:100], v[97:98], -v[103:104]
	v_mul_f64 v[99:100], v[99:100], v[109:110]
	v_fma_f64 v[99:100], v[101:102], v[97:98], v[99:100]
	s_waitcnt vmcnt(2)
	v_add_f64 v[105:106], v[105:106], -v[103:104]
	s_waitcnt vmcnt(0)
	v_add_f64 v[107:108], v[107:108], -v[99:100]
	buffer_store_dword v105, off, s[20:23], 0 offset:64 ; 4-byte Folded Spill
	s_nop 0
	buffer_store_dword v106, off, s[20:23], 0 offset:68 ; 4-byte Folded Spill
	buffer_store_dword v107, off, s[20:23], 0 offset:72 ; 4-byte Folded Spill
	buffer_store_dword v108, off, s[20:23], 0 offset:76 ; 4-byte Folded Spill
	ds_read2_b64 v[99:102], v125 offset0:56 offset1:57
	buffer_load_dword v105, off, s[20:23], 0 offset:48 ; 4-byte Folded Reload
	buffer_load_dword v106, off, s[20:23], 0 offset:52 ; 4-byte Folded Reload
	buffer_load_dword v107, off, s[20:23], 0 offset:56 ; 4-byte Folded Reload
	buffer_load_dword v108, off, s[20:23], 0 offset:60 ; 4-byte Folded Reload
	s_waitcnt lgkmcnt(0)
	v_mul_f64 v[103:104], v[101:102], v[109:110]
	v_fma_f64 v[103:104], v[99:100], v[97:98], -v[103:104]
	v_mul_f64 v[99:100], v[99:100], v[109:110]
	v_fma_f64 v[99:100], v[101:102], v[97:98], v[99:100]
	s_waitcnt vmcnt(2)
	v_add_f64 v[105:106], v[105:106], -v[103:104]
	s_waitcnt vmcnt(0)
	v_add_f64 v[107:108], v[107:108], -v[99:100]
	buffer_store_dword v105, off, s[20:23], 0 offset:48 ; 4-byte Folded Spill
	s_nop 0
	buffer_store_dword v106, off, s[20:23], 0 offset:52 ; 4-byte Folded Spill
	buffer_store_dword v107, off, s[20:23], 0 offset:56 ; 4-byte Folded Spill
	buffer_store_dword v108, off, s[20:23], 0 offset:60 ; 4-byte Folded Spill
	ds_read2_b64 v[99:102], v125 offset0:58 offset1:59
	;; [unrolled: 19-line block ×4, first 2 shown]
	buffer_load_dword v105, off, s[20:23], 0 ; 4-byte Folded Reload
	buffer_load_dword v106, off, s[20:23], 0 offset:4 ; 4-byte Folded Reload
	buffer_load_dword v107, off, s[20:23], 0 offset:8 ; 4-byte Folded Reload
	;; [unrolled: 1-line block ×3, first 2 shown]
	s_waitcnt lgkmcnt(0)
	v_mul_f64 v[103:104], v[101:102], v[109:110]
	v_fma_f64 v[103:104], v[99:100], v[97:98], -v[103:104]
	v_mul_f64 v[99:100], v[99:100], v[109:110]
	v_fma_f64 v[99:100], v[101:102], v[97:98], v[99:100]
	s_waitcnt vmcnt(2)
	v_add_f64 v[105:106], v[105:106], -v[103:104]
	s_waitcnt vmcnt(0)
	v_add_f64 v[107:108], v[107:108], -v[99:100]
	buffer_store_dword v105, off, s[20:23], 0 ; 4-byte Folded Spill
	s_nop 0
	buffer_store_dword v106, off, s[20:23], 0 offset:4 ; 4-byte Folded Spill
	buffer_store_dword v107, off, s[20:23], 0 offset:8 ; 4-byte Folded Spill
	;; [unrolled: 1-line block ×3, first 2 shown]
	ds_read2_b64 v[99:102], v125 offset0:64 offset1:65
	v_mov_b32_e32 v108, v98
	v_mov_b32_e32 v107, v97
	s_waitcnt lgkmcnt(0)
	v_mul_f64 v[103:104], v[101:102], v[109:110]
	v_fma_f64 v[103:104], v[99:100], v[97:98], -v[103:104]
	v_mul_f64 v[99:100], v[99:100], v[109:110]
	v_add_f64 v[93:94], v[93:94], -v[103:104]
	v_fma_f64 v[99:100], v[101:102], v[97:98], v[99:100]
	v_add_f64 v[95:96], v[95:96], -v[99:100]
	ds_read2_b64 v[99:102], v125 offset0:66 offset1:67
	s_waitcnt lgkmcnt(0)
	v_mul_f64 v[103:104], v[101:102], v[109:110]
	v_fma_f64 v[103:104], v[99:100], v[97:98], -v[103:104]
	v_mul_f64 v[99:100], v[99:100], v[109:110]
	v_add_f64 v[81:82], v[81:82], -v[103:104]
	v_fma_f64 v[99:100], v[101:102], v[97:98], v[99:100]
	v_add_f64 v[83:84], v[83:84], -v[99:100]
	ds_read2_b64 v[99:102], v125 offset0:68 offset1:69
	;; [unrolled: 8-line block ×22, first 2 shown]
	s_waitcnt lgkmcnt(0)
	v_mul_f64 v[103:104], v[101:102], v[109:110]
	v_fma_f64 v[103:104], v[99:100], v[97:98], -v[103:104]
	v_mul_f64 v[99:100], v[99:100], v[109:110]
	buffer_store_dword v107, off, s[20:23], 0 offset:80 ; 4-byte Folded Spill
	s_nop 0
	buffer_store_dword v108, off, s[20:23], 0 offset:84 ; 4-byte Folded Spill
	buffer_store_dword v109, off, s[20:23], 0 offset:88 ; 4-byte Folded Spill
	;; [unrolled: 1-line block ×3, first 2 shown]
	v_add_f64 v[121:122], v[121:122], -v[103:104]
	v_fma_f64 v[99:100], v[101:102], v[97:98], v[99:100]
	v_add_f64 v[123:124], v[123:124], -v[99:100]
.LBB109_244:
	s_or_b64 exec, exec, s[2:3]
	v_cmp_eq_u32_e32 vcc, 27, v0
	s_waitcnt vmcnt(0)
	s_barrier
	s_and_saveexec_b64 s[4:5], vcc
	s_cbranch_execz .LBB109_251
; %bb.245:
	buffer_load_dword v97, off, s[20:23], 0 offset:64 ; 4-byte Folded Reload
	buffer_load_dword v98, off, s[20:23], 0 offset:68 ; 4-byte Folded Reload
	;; [unrolled: 1-line block ×4, first 2 shown]
	s_waitcnt vmcnt(0)
	ds_write2_b64 v127, v[97:98], v[99:100] offset1:1
	buffer_load_dword v97, off, s[20:23], 0 offset:48 ; 4-byte Folded Reload
	buffer_load_dword v98, off, s[20:23], 0 offset:52 ; 4-byte Folded Reload
	buffer_load_dword v99, off, s[20:23], 0 offset:56 ; 4-byte Folded Reload
	buffer_load_dword v100, off, s[20:23], 0 offset:60 ; 4-byte Folded Reload
	s_waitcnt vmcnt(0)
	ds_write2_b64 v125, v[97:98], v[99:100] offset0:56 offset1:57
	buffer_load_dword v97, off, s[20:23], 0 offset:32 ; 4-byte Folded Reload
	buffer_load_dword v98, off, s[20:23], 0 offset:36 ; 4-byte Folded Reload
	buffer_load_dword v99, off, s[20:23], 0 offset:40 ; 4-byte Folded Reload
	buffer_load_dword v100, off, s[20:23], 0 offset:44 ; 4-byte Folded Reload
	s_waitcnt vmcnt(0)
	ds_write2_b64 v125, v[97:98], v[99:100] offset0:58 offset1:59
	buffer_load_dword v97, off, s[20:23], 0 offset:16 ; 4-byte Folded Reload
	buffer_load_dword v98, off, s[20:23], 0 offset:20 ; 4-byte Folded Reload
	buffer_load_dword v99, off, s[20:23], 0 offset:24 ; 4-byte Folded Reload
	buffer_load_dword v100, off, s[20:23], 0 offset:28 ; 4-byte Folded Reload
	s_waitcnt vmcnt(0)
	ds_write2_b64 v125, v[97:98], v[99:100] offset0:60 offset1:61
	buffer_load_dword v97, off, s[20:23], 0 ; 4-byte Folded Reload
	buffer_load_dword v98, off, s[20:23], 0 offset:4 ; 4-byte Folded Reload
	buffer_load_dword v99, off, s[20:23], 0 offset:8 ; 4-byte Folded Reload
	;; [unrolled: 1-line block ×3, first 2 shown]
	s_waitcnt vmcnt(0)
	ds_write2_b64 v125, v[97:98], v[99:100] offset0:62 offset1:63
	ds_write2_b64 v125, v[93:94], v[95:96] offset0:64 offset1:65
	;; [unrolled: 1-line block ×24, first 2 shown]
	ds_read2_b64 v[97:100], v127 offset1:1
	s_waitcnt lgkmcnt(0)
	v_cmp_neq_f64_e32 vcc, 0, v[97:98]
	v_cmp_neq_f64_e64 s[2:3], 0, v[99:100]
	s_or_b64 s[2:3], vcc, s[2:3]
	s_and_b64 exec, exec, s[2:3]
	s_cbranch_execz .LBB109_251
; %bb.246:
	v_cmp_ngt_f64_e64 s[2:3], |v[97:98]|, |v[99:100]|
                                        ; implicit-def: $vgpr101_vgpr102
	s_and_saveexec_b64 s[6:7], s[2:3]
	s_xor_b64 s[2:3], exec, s[6:7]
                                        ; implicit-def: $vgpr103_vgpr104
	s_cbranch_execz .LBB109_248
; %bb.247:
	v_div_scale_f64 v[101:102], s[6:7], v[99:100], v[99:100], v[97:98]
	v_rcp_f64_e32 v[103:104], v[101:102]
	v_fma_f64 v[105:106], -v[101:102], v[103:104], 1.0
	v_fma_f64 v[103:104], v[103:104], v[105:106], v[103:104]
	v_div_scale_f64 v[105:106], vcc, v[97:98], v[99:100], v[97:98]
	v_fma_f64 v[107:108], -v[101:102], v[103:104], 1.0
	v_fma_f64 v[103:104], v[103:104], v[107:108], v[103:104]
	v_mul_f64 v[107:108], v[105:106], v[103:104]
	v_fma_f64 v[101:102], -v[101:102], v[107:108], v[105:106]
	v_div_fmas_f64 v[101:102], v[101:102], v[103:104], v[107:108]
	v_div_fixup_f64 v[101:102], v[101:102], v[99:100], v[97:98]
	v_fma_f64 v[97:98], v[97:98], v[101:102], v[99:100]
	v_div_scale_f64 v[99:100], s[6:7], v[97:98], v[97:98], 1.0
	v_div_scale_f64 v[107:108], vcc, 1.0, v[97:98], 1.0
	v_rcp_f64_e32 v[103:104], v[99:100]
	v_fma_f64 v[105:106], -v[99:100], v[103:104], 1.0
	v_fma_f64 v[103:104], v[103:104], v[105:106], v[103:104]
	v_fma_f64 v[105:106], -v[99:100], v[103:104], 1.0
	v_fma_f64 v[103:104], v[103:104], v[105:106], v[103:104]
	v_mul_f64 v[105:106], v[107:108], v[103:104]
	v_fma_f64 v[99:100], -v[99:100], v[105:106], v[107:108]
	v_div_fmas_f64 v[99:100], v[99:100], v[103:104], v[105:106]
	v_div_fixup_f64 v[103:104], v[99:100], v[97:98], 1.0
                                        ; implicit-def: $vgpr97_vgpr98
	v_mul_f64 v[101:102], v[101:102], v[103:104]
	v_xor_b32_e32 v104, 0x80000000, v104
.LBB109_248:
	s_andn2_saveexec_b64 s[2:3], s[2:3]
	s_cbranch_execz .LBB109_250
; %bb.249:
	v_div_scale_f64 v[101:102], s[6:7], v[97:98], v[97:98], v[99:100]
	v_rcp_f64_e32 v[103:104], v[101:102]
	v_fma_f64 v[105:106], -v[101:102], v[103:104], 1.0
	v_fma_f64 v[103:104], v[103:104], v[105:106], v[103:104]
	v_div_scale_f64 v[105:106], vcc, v[99:100], v[97:98], v[99:100]
	v_fma_f64 v[107:108], -v[101:102], v[103:104], 1.0
	v_fma_f64 v[103:104], v[103:104], v[107:108], v[103:104]
	v_mul_f64 v[107:108], v[105:106], v[103:104]
	v_fma_f64 v[101:102], -v[101:102], v[107:108], v[105:106]
	v_div_fmas_f64 v[101:102], v[101:102], v[103:104], v[107:108]
	v_div_fixup_f64 v[103:104], v[101:102], v[97:98], v[99:100]
	v_fma_f64 v[97:98], v[99:100], v[103:104], v[97:98]
	v_div_scale_f64 v[99:100], s[6:7], v[97:98], v[97:98], 1.0
	v_div_scale_f64 v[107:108], vcc, 1.0, v[97:98], 1.0
	v_rcp_f64_e32 v[101:102], v[99:100]
	v_fma_f64 v[105:106], -v[99:100], v[101:102], 1.0
	v_fma_f64 v[101:102], v[101:102], v[105:106], v[101:102]
	v_fma_f64 v[105:106], -v[99:100], v[101:102], 1.0
	v_fma_f64 v[101:102], v[101:102], v[105:106], v[101:102]
	v_mul_f64 v[105:106], v[107:108], v[101:102]
	v_fma_f64 v[99:100], -v[99:100], v[105:106], v[107:108]
	v_div_fmas_f64 v[99:100], v[99:100], v[101:102], v[105:106]
	v_div_fixup_f64 v[101:102], v[99:100], v[97:98], 1.0
	v_mul_f64 v[103:104], v[103:104], -v[101:102]
.LBB109_250:
	s_or_b64 exec, exec, s[2:3]
	ds_write2_b64 v127, v[101:102], v[103:104] offset1:1
.LBB109_251:
	s_or_b64 exec, exec, s[4:5]
	s_waitcnt lgkmcnt(0)
	s_barrier
	ds_read2_b64 v[87:90], v127 offset1:1
	v_cmp_lt_u32_e32 vcc, 27, v0
	s_waitcnt lgkmcnt(0)
	buffer_store_dword v87, off, s[20:23], 0 offset:1376 ; 4-byte Folded Spill
	s_nop 0
	buffer_store_dword v88, off, s[20:23], 0 offset:1380 ; 4-byte Folded Spill
	buffer_store_dword v89, off, s[20:23], 0 offset:1384 ; 4-byte Folded Spill
	;; [unrolled: 1-line block ×3, first 2 shown]
	s_and_saveexec_b64 s[2:3], vcc
	s_cbranch_execz .LBB109_253
; %bb.252:
	buffer_load_dword v107, off, s[20:23], 0 offset:64 ; 4-byte Folded Reload
	buffer_load_dword v108, off, s[20:23], 0 offset:68 ; 4-byte Folded Reload
	;; [unrolled: 1-line block ×8, first 2 shown]
	s_waitcnt vmcnt(2)
	v_mul_f64 v[99:100], v[87:88], v[109:110]
	s_waitcnt vmcnt(0)
	v_mul_f64 v[97:98], v[89:90], v[109:110]
	v_fma_f64 v[109:110], v[89:90], v[107:108], v[99:100]
	ds_read2_b64 v[99:102], v125 offset0:56 offset1:57
	v_fma_f64 v[97:98], v[87:88], v[107:108], -v[97:98]
	buffer_load_dword v105, off, s[20:23], 0 offset:48 ; 4-byte Folded Reload
	buffer_load_dword v106, off, s[20:23], 0 offset:52 ; 4-byte Folded Reload
	buffer_load_dword v107, off, s[20:23], 0 offset:56 ; 4-byte Folded Reload
	buffer_load_dword v108, off, s[20:23], 0 offset:60 ; 4-byte Folded Reload
	s_waitcnt lgkmcnt(0)
	v_mul_f64 v[103:104], v[101:102], v[109:110]
	v_fma_f64 v[103:104], v[99:100], v[97:98], -v[103:104]
	v_mul_f64 v[99:100], v[99:100], v[109:110]
	v_fma_f64 v[99:100], v[101:102], v[97:98], v[99:100]
	s_waitcnt vmcnt(2)
	v_add_f64 v[105:106], v[105:106], -v[103:104]
	s_waitcnt vmcnt(0)
	v_add_f64 v[107:108], v[107:108], -v[99:100]
	buffer_store_dword v105, off, s[20:23], 0 offset:48 ; 4-byte Folded Spill
	s_nop 0
	buffer_store_dword v106, off, s[20:23], 0 offset:52 ; 4-byte Folded Spill
	buffer_store_dword v107, off, s[20:23], 0 offset:56 ; 4-byte Folded Spill
	buffer_store_dword v108, off, s[20:23], 0 offset:60 ; 4-byte Folded Spill
	ds_read2_b64 v[99:102], v125 offset0:58 offset1:59
	buffer_load_dword v105, off, s[20:23], 0 offset:32 ; 4-byte Folded Reload
	buffer_load_dword v106, off, s[20:23], 0 offset:36 ; 4-byte Folded Reload
	buffer_load_dword v107, off, s[20:23], 0 offset:40 ; 4-byte Folded Reload
	buffer_load_dword v108, off, s[20:23], 0 offset:44 ; 4-byte Folded Reload
	s_waitcnt lgkmcnt(0)
	v_mul_f64 v[103:104], v[101:102], v[109:110]
	v_fma_f64 v[103:104], v[99:100], v[97:98], -v[103:104]
	v_mul_f64 v[99:100], v[99:100], v[109:110]
	v_fma_f64 v[99:100], v[101:102], v[97:98], v[99:100]
	s_waitcnt vmcnt(2)
	v_add_f64 v[105:106], v[105:106], -v[103:104]
	s_waitcnt vmcnt(0)
	v_add_f64 v[107:108], v[107:108], -v[99:100]
	buffer_store_dword v105, off, s[20:23], 0 offset:32 ; 4-byte Folded Spill
	s_nop 0
	buffer_store_dword v106, off, s[20:23], 0 offset:36 ; 4-byte Folded Spill
	buffer_store_dword v107, off, s[20:23], 0 offset:40 ; 4-byte Folded Spill
	buffer_store_dword v108, off, s[20:23], 0 offset:44 ; 4-byte Folded Spill
	ds_read2_b64 v[99:102], v125 offset0:60 offset1:61
	;; [unrolled: 19-line block ×3, first 2 shown]
	buffer_load_dword v105, off, s[20:23], 0 ; 4-byte Folded Reload
	buffer_load_dword v106, off, s[20:23], 0 offset:4 ; 4-byte Folded Reload
	buffer_load_dword v107, off, s[20:23], 0 offset:8 ; 4-byte Folded Reload
	;; [unrolled: 1-line block ×3, first 2 shown]
	s_waitcnt lgkmcnt(0)
	v_mul_f64 v[103:104], v[101:102], v[109:110]
	v_fma_f64 v[103:104], v[99:100], v[97:98], -v[103:104]
	v_mul_f64 v[99:100], v[99:100], v[109:110]
	v_fma_f64 v[99:100], v[101:102], v[97:98], v[99:100]
	s_waitcnt vmcnt(2)
	v_add_f64 v[105:106], v[105:106], -v[103:104]
	s_waitcnt vmcnt(0)
	v_add_f64 v[107:108], v[107:108], -v[99:100]
	buffer_store_dword v105, off, s[20:23], 0 ; 4-byte Folded Spill
	s_nop 0
	buffer_store_dword v106, off, s[20:23], 0 offset:4 ; 4-byte Folded Spill
	buffer_store_dword v107, off, s[20:23], 0 offset:8 ; 4-byte Folded Spill
	;; [unrolled: 1-line block ×3, first 2 shown]
	ds_read2_b64 v[99:102], v125 offset0:64 offset1:65
	v_mov_b32_e32 v108, v98
	v_mov_b32_e32 v107, v97
	s_waitcnt lgkmcnt(0)
	v_mul_f64 v[103:104], v[101:102], v[109:110]
	v_fma_f64 v[103:104], v[99:100], v[97:98], -v[103:104]
	v_mul_f64 v[99:100], v[99:100], v[109:110]
	v_add_f64 v[93:94], v[93:94], -v[103:104]
	v_fma_f64 v[99:100], v[101:102], v[97:98], v[99:100]
	v_add_f64 v[95:96], v[95:96], -v[99:100]
	ds_read2_b64 v[99:102], v125 offset0:66 offset1:67
	s_waitcnt lgkmcnt(0)
	v_mul_f64 v[103:104], v[101:102], v[109:110]
	v_fma_f64 v[103:104], v[99:100], v[97:98], -v[103:104]
	v_mul_f64 v[99:100], v[99:100], v[109:110]
	v_add_f64 v[81:82], v[81:82], -v[103:104]
	v_fma_f64 v[99:100], v[101:102], v[97:98], v[99:100]
	v_add_f64 v[83:84], v[83:84], -v[99:100]
	ds_read2_b64 v[99:102], v125 offset0:68 offset1:69
	;; [unrolled: 8-line block ×22, first 2 shown]
	s_waitcnt lgkmcnt(0)
	v_mul_f64 v[103:104], v[101:102], v[109:110]
	v_fma_f64 v[103:104], v[99:100], v[97:98], -v[103:104]
	v_mul_f64 v[99:100], v[99:100], v[109:110]
	buffer_store_dword v107, off, s[20:23], 0 offset:64 ; 4-byte Folded Spill
	s_nop 0
	buffer_store_dword v108, off, s[20:23], 0 offset:68 ; 4-byte Folded Spill
	buffer_store_dword v109, off, s[20:23], 0 offset:72 ; 4-byte Folded Spill
	;; [unrolled: 1-line block ×3, first 2 shown]
	v_add_f64 v[121:122], v[121:122], -v[103:104]
	v_fma_f64 v[99:100], v[101:102], v[97:98], v[99:100]
	v_add_f64 v[123:124], v[123:124], -v[99:100]
.LBB109_253:
	s_or_b64 exec, exec, s[2:3]
	v_cmp_eq_u32_e32 vcc, 28, v0
	s_waitcnt vmcnt(0)
	s_barrier
	s_and_saveexec_b64 s[4:5], vcc
	s_cbranch_execz .LBB109_260
; %bb.254:
	buffer_load_dword v97, off, s[20:23], 0 offset:48 ; 4-byte Folded Reload
	buffer_load_dword v98, off, s[20:23], 0 offset:52 ; 4-byte Folded Reload
	buffer_load_dword v99, off, s[20:23], 0 offset:56 ; 4-byte Folded Reload
	buffer_load_dword v100, off, s[20:23], 0 offset:60 ; 4-byte Folded Reload
	s_waitcnt vmcnt(0)
	ds_write2_b64 v127, v[97:98], v[99:100] offset1:1
	buffer_load_dword v97, off, s[20:23], 0 offset:32 ; 4-byte Folded Reload
	buffer_load_dword v98, off, s[20:23], 0 offset:36 ; 4-byte Folded Reload
	;; [unrolled: 1-line block ×4, first 2 shown]
	s_waitcnt vmcnt(0)
	ds_write2_b64 v125, v[97:98], v[99:100] offset0:58 offset1:59
	buffer_load_dword v97, off, s[20:23], 0 offset:16 ; 4-byte Folded Reload
	buffer_load_dword v98, off, s[20:23], 0 offset:20 ; 4-byte Folded Reload
	buffer_load_dword v99, off, s[20:23], 0 offset:24 ; 4-byte Folded Reload
	buffer_load_dword v100, off, s[20:23], 0 offset:28 ; 4-byte Folded Reload
	s_waitcnt vmcnt(0)
	ds_write2_b64 v125, v[97:98], v[99:100] offset0:60 offset1:61
	buffer_load_dword v97, off, s[20:23], 0 ; 4-byte Folded Reload
	buffer_load_dword v98, off, s[20:23], 0 offset:4 ; 4-byte Folded Reload
	buffer_load_dword v99, off, s[20:23], 0 offset:8 ; 4-byte Folded Reload
	;; [unrolled: 1-line block ×3, first 2 shown]
	s_waitcnt vmcnt(0)
	ds_write2_b64 v125, v[97:98], v[99:100] offset0:62 offset1:63
	ds_write2_b64 v125, v[93:94], v[95:96] offset0:64 offset1:65
	;; [unrolled: 1-line block ×24, first 2 shown]
	ds_read2_b64 v[97:100], v127 offset1:1
	s_waitcnt lgkmcnt(0)
	v_cmp_neq_f64_e32 vcc, 0, v[97:98]
	v_cmp_neq_f64_e64 s[2:3], 0, v[99:100]
	s_or_b64 s[2:3], vcc, s[2:3]
	s_and_b64 exec, exec, s[2:3]
	s_cbranch_execz .LBB109_260
; %bb.255:
	v_cmp_ngt_f64_e64 s[2:3], |v[97:98]|, |v[99:100]|
                                        ; implicit-def: $vgpr101_vgpr102
	s_and_saveexec_b64 s[6:7], s[2:3]
	s_xor_b64 s[2:3], exec, s[6:7]
                                        ; implicit-def: $vgpr103_vgpr104
	s_cbranch_execz .LBB109_257
; %bb.256:
	v_div_scale_f64 v[101:102], s[6:7], v[99:100], v[99:100], v[97:98]
	v_rcp_f64_e32 v[103:104], v[101:102]
	v_fma_f64 v[105:106], -v[101:102], v[103:104], 1.0
	v_fma_f64 v[103:104], v[103:104], v[105:106], v[103:104]
	v_div_scale_f64 v[105:106], vcc, v[97:98], v[99:100], v[97:98]
	v_fma_f64 v[107:108], -v[101:102], v[103:104], 1.0
	v_fma_f64 v[103:104], v[103:104], v[107:108], v[103:104]
	v_mul_f64 v[107:108], v[105:106], v[103:104]
	v_fma_f64 v[101:102], -v[101:102], v[107:108], v[105:106]
	v_div_fmas_f64 v[101:102], v[101:102], v[103:104], v[107:108]
	v_div_fixup_f64 v[101:102], v[101:102], v[99:100], v[97:98]
	v_fma_f64 v[97:98], v[97:98], v[101:102], v[99:100]
	v_div_scale_f64 v[99:100], s[6:7], v[97:98], v[97:98], 1.0
	v_div_scale_f64 v[107:108], vcc, 1.0, v[97:98], 1.0
	v_rcp_f64_e32 v[103:104], v[99:100]
	v_fma_f64 v[105:106], -v[99:100], v[103:104], 1.0
	v_fma_f64 v[103:104], v[103:104], v[105:106], v[103:104]
	v_fma_f64 v[105:106], -v[99:100], v[103:104], 1.0
	v_fma_f64 v[103:104], v[103:104], v[105:106], v[103:104]
	v_mul_f64 v[105:106], v[107:108], v[103:104]
	v_fma_f64 v[99:100], -v[99:100], v[105:106], v[107:108]
	v_div_fmas_f64 v[99:100], v[99:100], v[103:104], v[105:106]
	v_div_fixup_f64 v[103:104], v[99:100], v[97:98], 1.0
                                        ; implicit-def: $vgpr97_vgpr98
	v_mul_f64 v[101:102], v[101:102], v[103:104]
	v_xor_b32_e32 v104, 0x80000000, v104
.LBB109_257:
	s_andn2_saveexec_b64 s[2:3], s[2:3]
	s_cbranch_execz .LBB109_259
; %bb.258:
	v_div_scale_f64 v[101:102], s[6:7], v[97:98], v[97:98], v[99:100]
	v_rcp_f64_e32 v[103:104], v[101:102]
	v_fma_f64 v[105:106], -v[101:102], v[103:104], 1.0
	v_fma_f64 v[103:104], v[103:104], v[105:106], v[103:104]
	v_div_scale_f64 v[105:106], vcc, v[99:100], v[97:98], v[99:100]
	v_fma_f64 v[107:108], -v[101:102], v[103:104], 1.0
	v_fma_f64 v[103:104], v[103:104], v[107:108], v[103:104]
	v_mul_f64 v[107:108], v[105:106], v[103:104]
	v_fma_f64 v[101:102], -v[101:102], v[107:108], v[105:106]
	v_div_fmas_f64 v[101:102], v[101:102], v[103:104], v[107:108]
	v_div_fixup_f64 v[103:104], v[101:102], v[97:98], v[99:100]
	v_fma_f64 v[97:98], v[99:100], v[103:104], v[97:98]
	v_div_scale_f64 v[99:100], s[6:7], v[97:98], v[97:98], 1.0
	v_div_scale_f64 v[107:108], vcc, 1.0, v[97:98], 1.0
	v_rcp_f64_e32 v[101:102], v[99:100]
	v_fma_f64 v[105:106], -v[99:100], v[101:102], 1.0
	v_fma_f64 v[101:102], v[101:102], v[105:106], v[101:102]
	v_fma_f64 v[105:106], -v[99:100], v[101:102], 1.0
	v_fma_f64 v[101:102], v[101:102], v[105:106], v[101:102]
	v_mul_f64 v[105:106], v[107:108], v[101:102]
	v_fma_f64 v[99:100], -v[99:100], v[105:106], v[107:108]
	v_div_fmas_f64 v[99:100], v[99:100], v[101:102], v[105:106]
	v_div_fixup_f64 v[101:102], v[99:100], v[97:98], 1.0
	v_mul_f64 v[103:104], v[103:104], -v[101:102]
.LBB109_259:
	s_or_b64 exec, exec, s[2:3]
	ds_write2_b64 v127, v[101:102], v[103:104] offset1:1
.LBB109_260:
	s_or_b64 exec, exec, s[4:5]
	s_waitcnt lgkmcnt(0)
	s_barrier
	ds_read2_b64 v[87:90], v127 offset1:1
	v_cmp_lt_u32_e32 vcc, 28, v0
	s_waitcnt lgkmcnt(0)
	buffer_store_dword v87, off, s[20:23], 0 offset:1392 ; 4-byte Folded Spill
	s_nop 0
	buffer_store_dword v88, off, s[20:23], 0 offset:1396 ; 4-byte Folded Spill
	buffer_store_dword v89, off, s[20:23], 0 offset:1400 ; 4-byte Folded Spill
	;; [unrolled: 1-line block ×3, first 2 shown]
	s_and_saveexec_b64 s[2:3], vcc
	s_cbranch_execz .LBB109_262
; %bb.261:
	buffer_load_dword v107, off, s[20:23], 0 offset:48 ; 4-byte Folded Reload
	buffer_load_dword v108, off, s[20:23], 0 offset:52 ; 4-byte Folded Reload
	;; [unrolled: 1-line block ×8, first 2 shown]
	s_waitcnt vmcnt(2)
	v_mul_f64 v[99:100], v[87:88], v[109:110]
	s_waitcnt vmcnt(0)
	v_mul_f64 v[97:98], v[89:90], v[109:110]
	v_fma_f64 v[109:110], v[89:90], v[107:108], v[99:100]
	ds_read2_b64 v[99:102], v125 offset0:58 offset1:59
	v_fma_f64 v[97:98], v[87:88], v[107:108], -v[97:98]
	buffer_load_dword v105, off, s[20:23], 0 offset:32 ; 4-byte Folded Reload
	buffer_load_dword v106, off, s[20:23], 0 offset:36 ; 4-byte Folded Reload
	;; [unrolled: 1-line block ×4, first 2 shown]
	s_waitcnt lgkmcnt(0)
	v_mul_f64 v[103:104], v[101:102], v[109:110]
	v_fma_f64 v[103:104], v[99:100], v[97:98], -v[103:104]
	v_mul_f64 v[99:100], v[99:100], v[109:110]
	v_fma_f64 v[99:100], v[101:102], v[97:98], v[99:100]
	s_waitcnt vmcnt(2)
	v_add_f64 v[105:106], v[105:106], -v[103:104]
	s_waitcnt vmcnt(0)
	v_add_f64 v[107:108], v[107:108], -v[99:100]
	buffer_store_dword v105, off, s[20:23], 0 offset:32 ; 4-byte Folded Spill
	s_nop 0
	buffer_store_dword v106, off, s[20:23], 0 offset:36 ; 4-byte Folded Spill
	buffer_store_dword v107, off, s[20:23], 0 offset:40 ; 4-byte Folded Spill
	;; [unrolled: 1-line block ×3, first 2 shown]
	ds_read2_b64 v[99:102], v125 offset0:60 offset1:61
	buffer_load_dword v105, off, s[20:23], 0 offset:16 ; 4-byte Folded Reload
	buffer_load_dword v106, off, s[20:23], 0 offset:20 ; 4-byte Folded Reload
	;; [unrolled: 1-line block ×4, first 2 shown]
	s_waitcnt lgkmcnt(0)
	v_mul_f64 v[103:104], v[101:102], v[109:110]
	v_fma_f64 v[103:104], v[99:100], v[97:98], -v[103:104]
	v_mul_f64 v[99:100], v[99:100], v[109:110]
	v_fma_f64 v[99:100], v[101:102], v[97:98], v[99:100]
	s_waitcnt vmcnt(2)
	v_add_f64 v[105:106], v[105:106], -v[103:104]
	s_waitcnt vmcnt(0)
	v_add_f64 v[107:108], v[107:108], -v[99:100]
	buffer_store_dword v105, off, s[20:23], 0 offset:16 ; 4-byte Folded Spill
	s_nop 0
	buffer_store_dword v106, off, s[20:23], 0 offset:20 ; 4-byte Folded Spill
	buffer_store_dword v107, off, s[20:23], 0 offset:24 ; 4-byte Folded Spill
	;; [unrolled: 1-line block ×3, first 2 shown]
	ds_read2_b64 v[99:102], v125 offset0:62 offset1:63
	buffer_load_dword v105, off, s[20:23], 0 ; 4-byte Folded Reload
	buffer_load_dword v106, off, s[20:23], 0 offset:4 ; 4-byte Folded Reload
	buffer_load_dword v107, off, s[20:23], 0 offset:8 ; 4-byte Folded Reload
	;; [unrolled: 1-line block ×3, first 2 shown]
	s_waitcnt lgkmcnt(0)
	v_mul_f64 v[103:104], v[101:102], v[109:110]
	v_fma_f64 v[103:104], v[99:100], v[97:98], -v[103:104]
	v_mul_f64 v[99:100], v[99:100], v[109:110]
	v_fma_f64 v[99:100], v[101:102], v[97:98], v[99:100]
	s_waitcnt vmcnt(2)
	v_add_f64 v[105:106], v[105:106], -v[103:104]
	s_waitcnt vmcnt(0)
	v_add_f64 v[107:108], v[107:108], -v[99:100]
	buffer_store_dword v105, off, s[20:23], 0 ; 4-byte Folded Spill
	s_nop 0
	buffer_store_dword v106, off, s[20:23], 0 offset:4 ; 4-byte Folded Spill
	buffer_store_dword v107, off, s[20:23], 0 offset:8 ; 4-byte Folded Spill
	;; [unrolled: 1-line block ×3, first 2 shown]
	ds_read2_b64 v[99:102], v125 offset0:64 offset1:65
	v_mov_b32_e32 v108, v98
	v_mov_b32_e32 v107, v97
	s_waitcnt lgkmcnt(0)
	v_mul_f64 v[103:104], v[101:102], v[109:110]
	v_fma_f64 v[103:104], v[99:100], v[97:98], -v[103:104]
	v_mul_f64 v[99:100], v[99:100], v[109:110]
	v_add_f64 v[93:94], v[93:94], -v[103:104]
	v_fma_f64 v[99:100], v[101:102], v[97:98], v[99:100]
	v_add_f64 v[95:96], v[95:96], -v[99:100]
	ds_read2_b64 v[99:102], v125 offset0:66 offset1:67
	s_waitcnt lgkmcnt(0)
	v_mul_f64 v[103:104], v[101:102], v[109:110]
	v_fma_f64 v[103:104], v[99:100], v[97:98], -v[103:104]
	v_mul_f64 v[99:100], v[99:100], v[109:110]
	v_add_f64 v[81:82], v[81:82], -v[103:104]
	v_fma_f64 v[99:100], v[101:102], v[97:98], v[99:100]
	v_add_f64 v[83:84], v[83:84], -v[99:100]
	ds_read2_b64 v[99:102], v125 offset0:68 offset1:69
	;; [unrolled: 8-line block ×22, first 2 shown]
	s_waitcnt lgkmcnt(0)
	v_mul_f64 v[103:104], v[101:102], v[109:110]
	v_fma_f64 v[103:104], v[99:100], v[97:98], -v[103:104]
	v_mul_f64 v[99:100], v[99:100], v[109:110]
	buffer_store_dword v107, off, s[20:23], 0 offset:48 ; 4-byte Folded Spill
	s_nop 0
	buffer_store_dword v108, off, s[20:23], 0 offset:52 ; 4-byte Folded Spill
	buffer_store_dword v109, off, s[20:23], 0 offset:56 ; 4-byte Folded Spill
	;; [unrolled: 1-line block ×3, first 2 shown]
	v_add_f64 v[121:122], v[121:122], -v[103:104]
	v_fma_f64 v[99:100], v[101:102], v[97:98], v[99:100]
	v_add_f64 v[123:124], v[123:124], -v[99:100]
.LBB109_262:
	s_or_b64 exec, exec, s[2:3]
	v_cmp_eq_u32_e32 vcc, 29, v0
	s_waitcnt vmcnt(0)
	s_barrier
	s_and_saveexec_b64 s[4:5], vcc
	s_cbranch_execz .LBB109_269
; %bb.263:
	buffer_load_dword v97, off, s[20:23], 0 offset:32 ; 4-byte Folded Reload
	buffer_load_dword v98, off, s[20:23], 0 offset:36 ; 4-byte Folded Reload
	buffer_load_dword v99, off, s[20:23], 0 offset:40 ; 4-byte Folded Reload
	buffer_load_dword v100, off, s[20:23], 0 offset:44 ; 4-byte Folded Reload
	s_waitcnt vmcnt(0)
	ds_write2_b64 v127, v[97:98], v[99:100] offset1:1
	buffer_load_dword v97, off, s[20:23], 0 offset:16 ; 4-byte Folded Reload
	buffer_load_dword v98, off, s[20:23], 0 offset:20 ; 4-byte Folded Reload
	;; [unrolled: 1-line block ×4, first 2 shown]
	s_waitcnt vmcnt(0)
	ds_write2_b64 v125, v[97:98], v[99:100] offset0:60 offset1:61
	buffer_load_dword v97, off, s[20:23], 0 ; 4-byte Folded Reload
	buffer_load_dword v98, off, s[20:23], 0 offset:4 ; 4-byte Folded Reload
	buffer_load_dword v99, off, s[20:23], 0 offset:8 ; 4-byte Folded Reload
	;; [unrolled: 1-line block ×3, first 2 shown]
	s_waitcnt vmcnt(0)
	ds_write2_b64 v125, v[97:98], v[99:100] offset0:62 offset1:63
	ds_write2_b64 v125, v[93:94], v[95:96] offset0:64 offset1:65
	;; [unrolled: 1-line block ×24, first 2 shown]
	ds_read2_b64 v[97:100], v127 offset1:1
	s_waitcnt lgkmcnt(0)
	v_cmp_neq_f64_e32 vcc, 0, v[97:98]
	v_cmp_neq_f64_e64 s[2:3], 0, v[99:100]
	s_or_b64 s[2:3], vcc, s[2:3]
	s_and_b64 exec, exec, s[2:3]
	s_cbranch_execz .LBB109_269
; %bb.264:
	v_cmp_ngt_f64_e64 s[2:3], |v[97:98]|, |v[99:100]|
                                        ; implicit-def: $vgpr101_vgpr102
	s_and_saveexec_b64 s[6:7], s[2:3]
	s_xor_b64 s[2:3], exec, s[6:7]
                                        ; implicit-def: $vgpr103_vgpr104
	s_cbranch_execz .LBB109_266
; %bb.265:
	v_div_scale_f64 v[101:102], s[6:7], v[99:100], v[99:100], v[97:98]
	v_rcp_f64_e32 v[103:104], v[101:102]
	v_fma_f64 v[105:106], -v[101:102], v[103:104], 1.0
	v_fma_f64 v[103:104], v[103:104], v[105:106], v[103:104]
	v_div_scale_f64 v[105:106], vcc, v[97:98], v[99:100], v[97:98]
	v_fma_f64 v[107:108], -v[101:102], v[103:104], 1.0
	v_fma_f64 v[103:104], v[103:104], v[107:108], v[103:104]
	v_mul_f64 v[107:108], v[105:106], v[103:104]
	v_fma_f64 v[101:102], -v[101:102], v[107:108], v[105:106]
	v_div_fmas_f64 v[101:102], v[101:102], v[103:104], v[107:108]
	v_div_fixup_f64 v[101:102], v[101:102], v[99:100], v[97:98]
	v_fma_f64 v[97:98], v[97:98], v[101:102], v[99:100]
	v_div_scale_f64 v[99:100], s[6:7], v[97:98], v[97:98], 1.0
	v_div_scale_f64 v[107:108], vcc, 1.0, v[97:98], 1.0
	v_rcp_f64_e32 v[103:104], v[99:100]
	v_fma_f64 v[105:106], -v[99:100], v[103:104], 1.0
	v_fma_f64 v[103:104], v[103:104], v[105:106], v[103:104]
	v_fma_f64 v[105:106], -v[99:100], v[103:104], 1.0
	v_fma_f64 v[103:104], v[103:104], v[105:106], v[103:104]
	v_mul_f64 v[105:106], v[107:108], v[103:104]
	v_fma_f64 v[99:100], -v[99:100], v[105:106], v[107:108]
	v_div_fmas_f64 v[99:100], v[99:100], v[103:104], v[105:106]
	v_div_fixup_f64 v[103:104], v[99:100], v[97:98], 1.0
                                        ; implicit-def: $vgpr97_vgpr98
	v_mul_f64 v[101:102], v[101:102], v[103:104]
	v_xor_b32_e32 v104, 0x80000000, v104
.LBB109_266:
	s_andn2_saveexec_b64 s[2:3], s[2:3]
	s_cbranch_execz .LBB109_268
; %bb.267:
	v_div_scale_f64 v[101:102], s[6:7], v[97:98], v[97:98], v[99:100]
	v_rcp_f64_e32 v[103:104], v[101:102]
	v_fma_f64 v[105:106], -v[101:102], v[103:104], 1.0
	v_fma_f64 v[103:104], v[103:104], v[105:106], v[103:104]
	v_div_scale_f64 v[105:106], vcc, v[99:100], v[97:98], v[99:100]
	v_fma_f64 v[107:108], -v[101:102], v[103:104], 1.0
	v_fma_f64 v[103:104], v[103:104], v[107:108], v[103:104]
	v_mul_f64 v[107:108], v[105:106], v[103:104]
	v_fma_f64 v[101:102], -v[101:102], v[107:108], v[105:106]
	v_div_fmas_f64 v[101:102], v[101:102], v[103:104], v[107:108]
	v_div_fixup_f64 v[103:104], v[101:102], v[97:98], v[99:100]
	v_fma_f64 v[97:98], v[99:100], v[103:104], v[97:98]
	v_div_scale_f64 v[99:100], s[6:7], v[97:98], v[97:98], 1.0
	v_div_scale_f64 v[107:108], vcc, 1.0, v[97:98], 1.0
	v_rcp_f64_e32 v[101:102], v[99:100]
	v_fma_f64 v[105:106], -v[99:100], v[101:102], 1.0
	v_fma_f64 v[101:102], v[101:102], v[105:106], v[101:102]
	v_fma_f64 v[105:106], -v[99:100], v[101:102], 1.0
	v_fma_f64 v[101:102], v[101:102], v[105:106], v[101:102]
	v_mul_f64 v[105:106], v[107:108], v[101:102]
	v_fma_f64 v[99:100], -v[99:100], v[105:106], v[107:108]
	v_div_fmas_f64 v[99:100], v[99:100], v[101:102], v[105:106]
	v_div_fixup_f64 v[101:102], v[99:100], v[97:98], 1.0
	v_mul_f64 v[103:104], v[103:104], -v[101:102]
.LBB109_268:
	s_or_b64 exec, exec, s[2:3]
	ds_write2_b64 v127, v[101:102], v[103:104] offset1:1
.LBB109_269:
	s_or_b64 exec, exec, s[4:5]
	s_waitcnt lgkmcnt(0)
	s_barrier
	ds_read2_b64 v[87:90], v127 offset1:1
	v_cmp_lt_u32_e32 vcc, 29, v0
	s_waitcnt lgkmcnt(0)
	buffer_store_dword v87, off, s[20:23], 0 offset:1408 ; 4-byte Folded Spill
	s_nop 0
	buffer_store_dword v88, off, s[20:23], 0 offset:1412 ; 4-byte Folded Spill
	buffer_store_dword v89, off, s[20:23], 0 offset:1416 ; 4-byte Folded Spill
	;; [unrolled: 1-line block ×3, first 2 shown]
	s_and_saveexec_b64 s[2:3], vcc
	s_cbranch_execz .LBB109_271
; %bb.270:
	buffer_load_dword v107, off, s[20:23], 0 offset:32 ; 4-byte Folded Reload
	buffer_load_dword v108, off, s[20:23], 0 offset:36 ; 4-byte Folded Reload
	;; [unrolled: 1-line block ×8, first 2 shown]
	s_waitcnt vmcnt(2)
	v_mul_f64 v[99:100], v[87:88], v[109:110]
	s_waitcnt vmcnt(0)
	v_mul_f64 v[97:98], v[89:90], v[109:110]
	v_fma_f64 v[109:110], v[89:90], v[107:108], v[99:100]
	ds_read2_b64 v[99:102], v125 offset0:60 offset1:61
	v_fma_f64 v[97:98], v[87:88], v[107:108], -v[97:98]
	buffer_load_dword v105, off, s[20:23], 0 offset:16 ; 4-byte Folded Reload
	buffer_load_dword v106, off, s[20:23], 0 offset:20 ; 4-byte Folded Reload
	;; [unrolled: 1-line block ×4, first 2 shown]
	s_waitcnt lgkmcnt(0)
	v_mul_f64 v[103:104], v[101:102], v[109:110]
	v_fma_f64 v[103:104], v[99:100], v[97:98], -v[103:104]
	v_mul_f64 v[99:100], v[99:100], v[109:110]
	v_fma_f64 v[99:100], v[101:102], v[97:98], v[99:100]
	s_waitcnt vmcnt(2)
	v_add_f64 v[105:106], v[105:106], -v[103:104]
	s_waitcnt vmcnt(0)
	v_add_f64 v[107:108], v[107:108], -v[99:100]
	buffer_store_dword v105, off, s[20:23], 0 offset:16 ; 4-byte Folded Spill
	s_nop 0
	buffer_store_dword v106, off, s[20:23], 0 offset:20 ; 4-byte Folded Spill
	buffer_store_dword v107, off, s[20:23], 0 offset:24 ; 4-byte Folded Spill
	;; [unrolled: 1-line block ×3, first 2 shown]
	ds_read2_b64 v[99:102], v125 offset0:62 offset1:63
	buffer_load_dword v105, off, s[20:23], 0 ; 4-byte Folded Reload
	buffer_load_dword v106, off, s[20:23], 0 offset:4 ; 4-byte Folded Reload
	buffer_load_dword v107, off, s[20:23], 0 offset:8 ; 4-byte Folded Reload
	;; [unrolled: 1-line block ×3, first 2 shown]
	s_waitcnt lgkmcnt(0)
	v_mul_f64 v[103:104], v[101:102], v[109:110]
	v_fma_f64 v[103:104], v[99:100], v[97:98], -v[103:104]
	v_mul_f64 v[99:100], v[99:100], v[109:110]
	v_fma_f64 v[99:100], v[101:102], v[97:98], v[99:100]
	s_waitcnt vmcnt(2)
	v_add_f64 v[105:106], v[105:106], -v[103:104]
	s_waitcnt vmcnt(0)
	v_add_f64 v[107:108], v[107:108], -v[99:100]
	buffer_store_dword v105, off, s[20:23], 0 ; 4-byte Folded Spill
	s_nop 0
	buffer_store_dword v106, off, s[20:23], 0 offset:4 ; 4-byte Folded Spill
	buffer_store_dword v107, off, s[20:23], 0 offset:8 ; 4-byte Folded Spill
	;; [unrolled: 1-line block ×3, first 2 shown]
	ds_read2_b64 v[99:102], v125 offset0:64 offset1:65
	v_mov_b32_e32 v108, v98
	v_mov_b32_e32 v107, v97
	s_waitcnt lgkmcnt(0)
	v_mul_f64 v[103:104], v[101:102], v[109:110]
	v_fma_f64 v[103:104], v[99:100], v[97:98], -v[103:104]
	v_mul_f64 v[99:100], v[99:100], v[109:110]
	v_add_f64 v[93:94], v[93:94], -v[103:104]
	v_fma_f64 v[99:100], v[101:102], v[97:98], v[99:100]
	v_add_f64 v[95:96], v[95:96], -v[99:100]
	ds_read2_b64 v[99:102], v125 offset0:66 offset1:67
	s_waitcnt lgkmcnt(0)
	v_mul_f64 v[103:104], v[101:102], v[109:110]
	v_fma_f64 v[103:104], v[99:100], v[97:98], -v[103:104]
	v_mul_f64 v[99:100], v[99:100], v[109:110]
	v_add_f64 v[81:82], v[81:82], -v[103:104]
	v_fma_f64 v[99:100], v[101:102], v[97:98], v[99:100]
	v_add_f64 v[83:84], v[83:84], -v[99:100]
	ds_read2_b64 v[99:102], v125 offset0:68 offset1:69
	;; [unrolled: 8-line block ×22, first 2 shown]
	s_waitcnt lgkmcnt(0)
	v_mul_f64 v[103:104], v[101:102], v[109:110]
	v_fma_f64 v[103:104], v[99:100], v[97:98], -v[103:104]
	v_mul_f64 v[99:100], v[99:100], v[109:110]
	buffer_store_dword v107, off, s[20:23], 0 offset:32 ; 4-byte Folded Spill
	s_nop 0
	buffer_store_dword v108, off, s[20:23], 0 offset:36 ; 4-byte Folded Spill
	buffer_store_dword v109, off, s[20:23], 0 offset:40 ; 4-byte Folded Spill
	buffer_store_dword v110, off, s[20:23], 0 offset:44 ; 4-byte Folded Spill
	v_add_f64 v[121:122], v[121:122], -v[103:104]
	v_fma_f64 v[99:100], v[101:102], v[97:98], v[99:100]
	v_add_f64 v[123:124], v[123:124], -v[99:100]
.LBB109_271:
	s_or_b64 exec, exec, s[2:3]
	v_cmp_eq_u32_e32 vcc, 30, v0
	s_waitcnt vmcnt(0)
	s_barrier
	s_and_saveexec_b64 s[4:5], vcc
	s_cbranch_execz .LBB109_278
; %bb.272:
	buffer_load_dword v97, off, s[20:23], 0 offset:16 ; 4-byte Folded Reload
	buffer_load_dword v98, off, s[20:23], 0 offset:20 ; 4-byte Folded Reload
	;; [unrolled: 1-line block ×4, first 2 shown]
	s_waitcnt vmcnt(0)
	ds_write2_b64 v127, v[97:98], v[99:100] offset1:1
	buffer_load_dword v97, off, s[20:23], 0 ; 4-byte Folded Reload
	buffer_load_dword v98, off, s[20:23], 0 offset:4 ; 4-byte Folded Reload
	buffer_load_dword v99, off, s[20:23], 0 offset:8 ; 4-byte Folded Reload
	;; [unrolled: 1-line block ×3, first 2 shown]
	s_waitcnt vmcnt(0)
	ds_write2_b64 v125, v[97:98], v[99:100] offset0:62 offset1:63
	ds_write2_b64 v125, v[93:94], v[95:96] offset0:64 offset1:65
	;; [unrolled: 1-line block ×24, first 2 shown]
	ds_read2_b64 v[97:100], v127 offset1:1
	s_waitcnt lgkmcnt(0)
	v_cmp_neq_f64_e32 vcc, 0, v[97:98]
	v_cmp_neq_f64_e64 s[2:3], 0, v[99:100]
	s_or_b64 s[2:3], vcc, s[2:3]
	s_and_b64 exec, exec, s[2:3]
	s_cbranch_execz .LBB109_278
; %bb.273:
	v_cmp_ngt_f64_e64 s[2:3], |v[97:98]|, |v[99:100]|
                                        ; implicit-def: $vgpr101_vgpr102
	s_and_saveexec_b64 s[6:7], s[2:3]
	s_xor_b64 s[2:3], exec, s[6:7]
                                        ; implicit-def: $vgpr103_vgpr104
	s_cbranch_execz .LBB109_275
; %bb.274:
	v_div_scale_f64 v[101:102], s[6:7], v[99:100], v[99:100], v[97:98]
	v_rcp_f64_e32 v[103:104], v[101:102]
	v_fma_f64 v[105:106], -v[101:102], v[103:104], 1.0
	v_fma_f64 v[103:104], v[103:104], v[105:106], v[103:104]
	v_div_scale_f64 v[105:106], vcc, v[97:98], v[99:100], v[97:98]
	v_fma_f64 v[107:108], -v[101:102], v[103:104], 1.0
	v_fma_f64 v[103:104], v[103:104], v[107:108], v[103:104]
	v_mul_f64 v[107:108], v[105:106], v[103:104]
	v_fma_f64 v[101:102], -v[101:102], v[107:108], v[105:106]
	v_div_fmas_f64 v[101:102], v[101:102], v[103:104], v[107:108]
	v_div_fixup_f64 v[101:102], v[101:102], v[99:100], v[97:98]
	v_fma_f64 v[97:98], v[97:98], v[101:102], v[99:100]
	v_div_scale_f64 v[99:100], s[6:7], v[97:98], v[97:98], 1.0
	v_div_scale_f64 v[107:108], vcc, 1.0, v[97:98], 1.0
	v_rcp_f64_e32 v[103:104], v[99:100]
	v_fma_f64 v[105:106], -v[99:100], v[103:104], 1.0
	v_fma_f64 v[103:104], v[103:104], v[105:106], v[103:104]
	v_fma_f64 v[105:106], -v[99:100], v[103:104], 1.0
	v_fma_f64 v[103:104], v[103:104], v[105:106], v[103:104]
	v_mul_f64 v[105:106], v[107:108], v[103:104]
	v_fma_f64 v[99:100], -v[99:100], v[105:106], v[107:108]
	v_div_fmas_f64 v[99:100], v[99:100], v[103:104], v[105:106]
	v_div_fixup_f64 v[103:104], v[99:100], v[97:98], 1.0
                                        ; implicit-def: $vgpr97_vgpr98
	v_mul_f64 v[101:102], v[101:102], v[103:104]
	v_xor_b32_e32 v104, 0x80000000, v104
.LBB109_275:
	s_andn2_saveexec_b64 s[2:3], s[2:3]
	s_cbranch_execz .LBB109_277
; %bb.276:
	v_div_scale_f64 v[101:102], s[6:7], v[97:98], v[97:98], v[99:100]
	v_rcp_f64_e32 v[103:104], v[101:102]
	v_fma_f64 v[105:106], -v[101:102], v[103:104], 1.0
	v_fma_f64 v[103:104], v[103:104], v[105:106], v[103:104]
	v_div_scale_f64 v[105:106], vcc, v[99:100], v[97:98], v[99:100]
	v_fma_f64 v[107:108], -v[101:102], v[103:104], 1.0
	v_fma_f64 v[103:104], v[103:104], v[107:108], v[103:104]
	v_mul_f64 v[107:108], v[105:106], v[103:104]
	v_fma_f64 v[101:102], -v[101:102], v[107:108], v[105:106]
	v_div_fmas_f64 v[101:102], v[101:102], v[103:104], v[107:108]
	v_div_fixup_f64 v[103:104], v[101:102], v[97:98], v[99:100]
	v_fma_f64 v[97:98], v[99:100], v[103:104], v[97:98]
	v_div_scale_f64 v[99:100], s[6:7], v[97:98], v[97:98], 1.0
	v_div_scale_f64 v[107:108], vcc, 1.0, v[97:98], 1.0
	v_rcp_f64_e32 v[101:102], v[99:100]
	v_fma_f64 v[105:106], -v[99:100], v[101:102], 1.0
	v_fma_f64 v[101:102], v[101:102], v[105:106], v[101:102]
	v_fma_f64 v[105:106], -v[99:100], v[101:102], 1.0
	v_fma_f64 v[101:102], v[101:102], v[105:106], v[101:102]
	v_mul_f64 v[105:106], v[107:108], v[101:102]
	v_fma_f64 v[99:100], -v[99:100], v[105:106], v[107:108]
	v_div_fmas_f64 v[99:100], v[99:100], v[101:102], v[105:106]
	v_div_fixup_f64 v[101:102], v[99:100], v[97:98], 1.0
	v_mul_f64 v[103:104], v[103:104], -v[101:102]
.LBB109_277:
	s_or_b64 exec, exec, s[2:3]
	ds_write2_b64 v127, v[101:102], v[103:104] offset1:1
.LBB109_278:
	s_or_b64 exec, exec, s[4:5]
	s_waitcnt lgkmcnt(0)
	s_barrier
	ds_read2_b64 v[87:90], v127 offset1:1
	v_cmp_lt_u32_e32 vcc, 30, v0
	s_waitcnt lgkmcnt(0)
	buffer_store_dword v87, off, s[20:23], 0 offset:1424 ; 4-byte Folded Spill
	s_nop 0
	buffer_store_dword v88, off, s[20:23], 0 offset:1428 ; 4-byte Folded Spill
	buffer_store_dword v89, off, s[20:23], 0 offset:1432 ; 4-byte Folded Spill
	;; [unrolled: 1-line block ×3, first 2 shown]
	s_and_saveexec_b64 s[2:3], vcc
	s_cbranch_execz .LBB109_280
; %bb.279:
	buffer_load_dword v109, off, s[20:23], 0 offset:16 ; 4-byte Folded Reload
	buffer_load_dword v110, off, s[20:23], 0 offset:20 ; 4-byte Folded Reload
	;; [unrolled: 1-line block ×8, first 2 shown]
	v_mov_b32_e32 v106, v96
	v_mov_b32_e32 v105, v95
	;; [unrolled: 1-line block ×4, first 2 shown]
	ds_read2_b64 v[99:102], v125 offset0:62 offset1:63
	s_waitcnt vmcnt(2)
	v_mul_f64 v[95:96], v[87:88], v[111:112]
	s_waitcnt vmcnt(0)
	v_mul_f64 v[97:98], v[89:90], v[111:112]
	v_fma_f64 v[111:112], v[89:90], v[109:110], v[95:96]
	v_fma_f64 v[97:98], v[87:88], v[109:110], -v[97:98]
	buffer_load_dword v107, off, s[20:23], 0 ; 4-byte Folded Reload
	buffer_load_dword v108, off, s[20:23], 0 offset:4 ; 4-byte Folded Reload
	buffer_load_dword v109, off, s[20:23], 0 offset:8 ; 4-byte Folded Reload
	;; [unrolled: 1-line block ×3, first 2 shown]
	s_waitcnt lgkmcnt(0)
	v_mul_f64 v[93:94], v[101:102], v[111:112]
	v_fma_f64 v[93:94], v[99:100], v[97:98], -v[93:94]
	v_mul_f64 v[99:100], v[99:100], v[111:112]
	v_fma_f64 v[99:100], v[101:102], v[97:98], v[99:100]
	s_waitcnt vmcnt(2)
	v_add_f64 v[107:108], v[107:108], -v[93:94]
	s_waitcnt vmcnt(0)
	v_add_f64 v[109:110], v[109:110], -v[99:100]
	buffer_store_dword v107, off, s[20:23], 0 ; 4-byte Folded Spill
	s_nop 0
	buffer_store_dword v108, off, s[20:23], 0 offset:4 ; 4-byte Folded Spill
	buffer_store_dword v109, off, s[20:23], 0 offset:8 ; 4-byte Folded Spill
	;; [unrolled: 1-line block ×3, first 2 shown]
	ds_read2_b64 v[99:102], v125 offset0:64 offset1:65
	v_mov_b32_e32 v110, v98
	v_mov_b32_e32 v109, v97
	s_waitcnt lgkmcnt(0)
	v_mul_f64 v[93:94], v[101:102], v[111:112]
	v_fma_f64 v[93:94], v[99:100], v[97:98], -v[93:94]
	v_mul_f64 v[99:100], v[99:100], v[111:112]
	v_add_f64 v[103:104], v[103:104], -v[93:94]
	v_fma_f64 v[99:100], v[101:102], v[97:98], v[99:100]
	v_add_f64 v[105:106], v[105:106], -v[99:100]
	ds_read2_b64 v[99:102], v125 offset0:66 offset1:67
	s_waitcnt lgkmcnt(0)
	v_mul_f64 v[93:94], v[101:102], v[111:112]
	v_fma_f64 v[93:94], v[99:100], v[97:98], -v[93:94]
	v_mul_f64 v[99:100], v[99:100], v[111:112]
	v_add_f64 v[81:82], v[81:82], -v[93:94]
	v_fma_f64 v[99:100], v[101:102], v[97:98], v[99:100]
	v_add_f64 v[83:84], v[83:84], -v[99:100]
	ds_read2_b64 v[99:102], v125 offset0:68 offset1:69
	;; [unrolled: 8-line block ×22, first 2 shown]
	s_waitcnt lgkmcnt(0)
	v_mul_f64 v[93:94], v[101:102], v[111:112]
	v_fma_f64 v[93:94], v[99:100], v[97:98], -v[93:94]
	v_mul_f64 v[99:100], v[99:100], v[111:112]
	buffer_store_dword v109, off, s[20:23], 0 offset:16 ; 4-byte Folded Spill
	s_nop 0
	buffer_store_dword v110, off, s[20:23], 0 offset:20 ; 4-byte Folded Spill
	buffer_store_dword v111, off, s[20:23], 0 offset:24 ; 4-byte Folded Spill
	;; [unrolled: 1-line block ×3, first 2 shown]
	v_add_f64 v[121:122], v[121:122], -v[93:94]
	v_fma_f64 v[99:100], v[101:102], v[97:98], v[99:100]
	v_mov_b32_e32 v93, v103
	v_mov_b32_e32 v94, v104
	;; [unrolled: 1-line block ×4, first 2 shown]
	v_add_f64 v[123:124], v[123:124], -v[99:100]
.LBB109_280:
	s_or_b64 exec, exec, s[2:3]
	v_cmp_eq_u32_e32 vcc, 31, v0
	s_waitcnt vmcnt(0)
	s_barrier
	s_and_saveexec_b64 s[4:5], vcc
	s_cbranch_execz .LBB109_287
; %bb.281:
	buffer_load_dword v97, off, s[20:23], 0 ; 4-byte Folded Reload
	buffer_load_dword v98, off, s[20:23], 0 offset:4 ; 4-byte Folded Reload
	buffer_load_dword v99, off, s[20:23], 0 offset:8 ; 4-byte Folded Reload
	;; [unrolled: 1-line block ×3, first 2 shown]
	s_waitcnt vmcnt(0)
	ds_write2_b64 v127, v[97:98], v[99:100] offset1:1
	ds_write2_b64 v125, v[93:94], v[95:96] offset0:64 offset1:65
	ds_write2_b64 v125, v[81:82], v[83:84] offset0:66 offset1:67
	;; [unrolled: 1-line block ×23, first 2 shown]
	ds_read2_b64 v[97:100], v127 offset1:1
	s_waitcnt lgkmcnt(0)
	v_cmp_neq_f64_e32 vcc, 0, v[97:98]
	v_cmp_neq_f64_e64 s[2:3], 0, v[99:100]
	s_or_b64 s[2:3], vcc, s[2:3]
	s_and_b64 exec, exec, s[2:3]
	s_cbranch_execz .LBB109_287
; %bb.282:
	v_cmp_ngt_f64_e64 s[2:3], |v[97:98]|, |v[99:100]|
                                        ; implicit-def: $vgpr101_vgpr102
	s_and_saveexec_b64 s[6:7], s[2:3]
	s_xor_b64 s[2:3], exec, s[6:7]
                                        ; implicit-def: $vgpr103_vgpr104
	s_cbranch_execz .LBB109_284
; %bb.283:
	v_div_scale_f64 v[101:102], s[6:7], v[99:100], v[99:100], v[97:98]
	v_rcp_f64_e32 v[103:104], v[101:102]
	v_fma_f64 v[105:106], -v[101:102], v[103:104], 1.0
	v_fma_f64 v[103:104], v[103:104], v[105:106], v[103:104]
	v_div_scale_f64 v[105:106], vcc, v[97:98], v[99:100], v[97:98]
	v_fma_f64 v[107:108], -v[101:102], v[103:104], 1.0
	v_fma_f64 v[103:104], v[103:104], v[107:108], v[103:104]
	v_mul_f64 v[107:108], v[105:106], v[103:104]
	v_fma_f64 v[101:102], -v[101:102], v[107:108], v[105:106]
	v_div_fmas_f64 v[101:102], v[101:102], v[103:104], v[107:108]
	v_div_fixup_f64 v[101:102], v[101:102], v[99:100], v[97:98]
	v_fma_f64 v[97:98], v[97:98], v[101:102], v[99:100]
	v_div_scale_f64 v[99:100], s[6:7], v[97:98], v[97:98], 1.0
	v_div_scale_f64 v[107:108], vcc, 1.0, v[97:98], 1.0
	v_rcp_f64_e32 v[103:104], v[99:100]
	v_fma_f64 v[105:106], -v[99:100], v[103:104], 1.0
	v_fma_f64 v[103:104], v[103:104], v[105:106], v[103:104]
	v_fma_f64 v[105:106], -v[99:100], v[103:104], 1.0
	v_fma_f64 v[103:104], v[103:104], v[105:106], v[103:104]
	v_mul_f64 v[105:106], v[107:108], v[103:104]
	v_fma_f64 v[99:100], -v[99:100], v[105:106], v[107:108]
	v_div_fmas_f64 v[99:100], v[99:100], v[103:104], v[105:106]
	v_div_fixup_f64 v[103:104], v[99:100], v[97:98], 1.0
                                        ; implicit-def: $vgpr97_vgpr98
	v_mul_f64 v[101:102], v[101:102], v[103:104]
	v_xor_b32_e32 v104, 0x80000000, v104
.LBB109_284:
	s_andn2_saveexec_b64 s[2:3], s[2:3]
	s_cbranch_execz .LBB109_286
; %bb.285:
	v_div_scale_f64 v[101:102], s[6:7], v[97:98], v[97:98], v[99:100]
	v_rcp_f64_e32 v[103:104], v[101:102]
	v_fma_f64 v[105:106], -v[101:102], v[103:104], 1.0
	v_fma_f64 v[103:104], v[103:104], v[105:106], v[103:104]
	v_div_scale_f64 v[105:106], vcc, v[99:100], v[97:98], v[99:100]
	v_fma_f64 v[107:108], -v[101:102], v[103:104], 1.0
	v_fma_f64 v[103:104], v[103:104], v[107:108], v[103:104]
	v_mul_f64 v[107:108], v[105:106], v[103:104]
	v_fma_f64 v[101:102], -v[101:102], v[107:108], v[105:106]
	v_div_fmas_f64 v[101:102], v[101:102], v[103:104], v[107:108]
	v_div_fixup_f64 v[103:104], v[101:102], v[97:98], v[99:100]
	v_fma_f64 v[97:98], v[99:100], v[103:104], v[97:98]
	v_div_scale_f64 v[99:100], s[6:7], v[97:98], v[97:98], 1.0
	v_div_scale_f64 v[107:108], vcc, 1.0, v[97:98], 1.0
	v_rcp_f64_e32 v[101:102], v[99:100]
	v_fma_f64 v[105:106], -v[99:100], v[101:102], 1.0
	v_fma_f64 v[101:102], v[101:102], v[105:106], v[101:102]
	v_fma_f64 v[105:106], -v[99:100], v[101:102], 1.0
	v_fma_f64 v[101:102], v[101:102], v[105:106], v[101:102]
	v_mul_f64 v[105:106], v[107:108], v[101:102]
	v_fma_f64 v[99:100], -v[99:100], v[105:106], v[107:108]
	v_div_fmas_f64 v[99:100], v[99:100], v[101:102], v[105:106]
	v_div_fixup_f64 v[101:102], v[99:100], v[97:98], 1.0
	v_mul_f64 v[103:104], v[103:104], -v[101:102]
.LBB109_286:
	s_or_b64 exec, exec, s[2:3]
	ds_write2_b64 v127, v[101:102], v[103:104] offset1:1
.LBB109_287:
	s_or_b64 exec, exec, s[4:5]
	s_waitcnt lgkmcnt(0)
	s_barrier
	ds_read2_b64 v[87:90], v127 offset1:1
	v_cmp_lt_u32_e32 vcc, 31, v0
	s_waitcnt lgkmcnt(0)
	buffer_store_dword v87, off, s[20:23], 0 offset:1440 ; 4-byte Folded Spill
	s_nop 0
	buffer_store_dword v88, off, s[20:23], 0 offset:1444 ; 4-byte Folded Spill
	buffer_store_dword v89, off, s[20:23], 0 offset:1448 ; 4-byte Folded Spill
	;; [unrolled: 1-line block ×3, first 2 shown]
	s_and_saveexec_b64 s[2:3], vcc
	s_cbranch_execz .LBB109_289
; %bb.288:
	buffer_load_dword v107, off, s[20:23], 0 ; 4-byte Folded Reload
	buffer_load_dword v108, off, s[20:23], 0 offset:4 ; 4-byte Folded Reload
	buffer_load_dword v109, off, s[20:23], 0 offset:8 ; 4-byte Folded Reload
	buffer_load_dword v110, off, s[20:23], 0 offset:12 ; 4-byte Folded Reload
	buffer_load_dword v87, off, s[20:23], 0 offset:1440 ; 4-byte Folded Reload
	buffer_load_dword v88, off, s[20:23], 0 offset:1444 ; 4-byte Folded Reload
	buffer_load_dword v89, off, s[20:23], 0 offset:1448 ; 4-byte Folded Reload
	buffer_load_dword v90, off, s[20:23], 0 offset:1452 ; 4-byte Folded Reload
	ds_read2_b64 v[99:102], v125 offset0:64 offset1:65
	v_mov_b32_e32 v106, v96
	v_mov_b32_e32 v105, v95
	v_mov_b32_e32 v104, v94
	v_mov_b32_e32 v103, v93
	s_waitcnt vmcnt(2)
	v_mul_f64 v[91:92], v[87:88], v[109:110]
	s_waitcnt vmcnt(0)
	v_mul_f64 v[97:98], v[89:90], v[109:110]
	v_fma_f64 v[109:110], v[89:90], v[107:108], v[91:92]
	v_fma_f64 v[97:98], v[87:88], v[107:108], -v[97:98]
	s_waitcnt lgkmcnt(0)
	v_mul_f64 v[89:90], v[101:102], v[109:110]
	v_mov_b32_e32 v108, v98
	v_mov_b32_e32 v107, v97
	v_fma_f64 v[89:90], v[99:100], v[97:98], -v[89:90]
	v_mul_f64 v[99:100], v[99:100], v[109:110]
	v_add_f64 v[103:104], v[103:104], -v[89:90]
	v_fma_f64 v[99:100], v[101:102], v[97:98], v[99:100]
	v_add_f64 v[105:106], v[105:106], -v[99:100]
	ds_read2_b64 v[99:102], v125 offset0:66 offset1:67
	v_mov_b32_e32 v93, v103
	v_mov_b32_e32 v94, v104
	s_waitcnt lgkmcnt(0)
	v_mul_f64 v[89:90], v[101:102], v[109:110]
	v_mov_b32_e32 v95, v105
	v_mov_b32_e32 v96, v106
	v_fma_f64 v[89:90], v[99:100], v[97:98], -v[89:90]
	v_mul_f64 v[99:100], v[99:100], v[109:110]
	v_add_f64 v[81:82], v[81:82], -v[89:90]
	v_fma_f64 v[99:100], v[101:102], v[97:98], v[99:100]
	v_add_f64 v[83:84], v[83:84], -v[99:100]
	ds_read2_b64 v[99:102], v125 offset0:68 offset1:69
	s_waitcnt lgkmcnt(0)
	v_mul_f64 v[89:90], v[101:102], v[109:110]
	v_fma_f64 v[89:90], v[99:100], v[97:98], -v[89:90]
	v_mul_f64 v[99:100], v[99:100], v[109:110]
	v_add_f64 v[77:78], v[77:78], -v[89:90]
	v_fma_f64 v[99:100], v[101:102], v[97:98], v[99:100]
	v_add_f64 v[79:80], v[79:80], -v[99:100]
	ds_read2_b64 v[99:102], v125 offset0:70 offset1:71
	s_waitcnt lgkmcnt(0)
	v_mul_f64 v[89:90], v[101:102], v[109:110]
	v_fma_f64 v[89:90], v[99:100], v[97:98], -v[89:90]
	v_mul_f64 v[99:100], v[99:100], v[109:110]
	v_add_f64 v[73:74], v[73:74], -v[89:90]
	v_fma_f64 v[99:100], v[101:102], v[97:98], v[99:100]
	v_add_f64 v[75:76], v[75:76], -v[99:100]
	ds_read2_b64 v[99:102], v125 offset0:72 offset1:73
	s_waitcnt lgkmcnt(0)
	v_mul_f64 v[89:90], v[101:102], v[109:110]
	v_fma_f64 v[89:90], v[99:100], v[97:98], -v[89:90]
	v_mul_f64 v[99:100], v[99:100], v[109:110]
	v_add_f64 v[69:70], v[69:70], -v[89:90]
	v_fma_f64 v[99:100], v[101:102], v[97:98], v[99:100]
	v_add_f64 v[71:72], v[71:72], -v[99:100]
	ds_read2_b64 v[99:102], v125 offset0:74 offset1:75
	s_waitcnt lgkmcnt(0)
	v_mul_f64 v[89:90], v[101:102], v[109:110]
	v_fma_f64 v[89:90], v[99:100], v[97:98], -v[89:90]
	v_mul_f64 v[99:100], v[99:100], v[109:110]
	v_add_f64 v[65:66], v[65:66], -v[89:90]
	v_fma_f64 v[99:100], v[101:102], v[97:98], v[99:100]
	v_add_f64 v[67:68], v[67:68], -v[99:100]
	ds_read2_b64 v[99:102], v125 offset0:76 offset1:77
	s_waitcnt lgkmcnt(0)
	v_mul_f64 v[89:90], v[101:102], v[109:110]
	v_fma_f64 v[89:90], v[99:100], v[97:98], -v[89:90]
	v_mul_f64 v[99:100], v[99:100], v[109:110]
	v_add_f64 v[61:62], v[61:62], -v[89:90]
	v_fma_f64 v[99:100], v[101:102], v[97:98], v[99:100]
	v_add_f64 v[63:64], v[63:64], -v[99:100]
	ds_read2_b64 v[99:102], v125 offset0:78 offset1:79
	s_waitcnt lgkmcnt(0)
	v_mul_f64 v[89:90], v[101:102], v[109:110]
	v_fma_f64 v[89:90], v[99:100], v[97:98], -v[89:90]
	v_mul_f64 v[99:100], v[99:100], v[109:110]
	v_add_f64 v[57:58], v[57:58], -v[89:90]
	v_fma_f64 v[99:100], v[101:102], v[97:98], v[99:100]
	v_add_f64 v[59:60], v[59:60], -v[99:100]
	ds_read2_b64 v[99:102], v125 offset0:80 offset1:81
	s_waitcnt lgkmcnt(0)
	v_mul_f64 v[89:90], v[101:102], v[109:110]
	v_fma_f64 v[89:90], v[99:100], v[97:98], -v[89:90]
	v_mul_f64 v[99:100], v[99:100], v[109:110]
	v_add_f64 v[53:54], v[53:54], -v[89:90]
	v_fma_f64 v[99:100], v[101:102], v[97:98], v[99:100]
	v_add_f64 v[55:56], v[55:56], -v[99:100]
	ds_read2_b64 v[99:102], v125 offset0:82 offset1:83
	s_waitcnt lgkmcnt(0)
	v_mul_f64 v[89:90], v[101:102], v[109:110]
	v_fma_f64 v[89:90], v[99:100], v[97:98], -v[89:90]
	v_mul_f64 v[99:100], v[99:100], v[109:110]
	v_add_f64 v[49:50], v[49:50], -v[89:90]
	v_fma_f64 v[99:100], v[101:102], v[97:98], v[99:100]
	v_add_f64 v[51:52], v[51:52], -v[99:100]
	ds_read2_b64 v[99:102], v125 offset0:84 offset1:85
	s_waitcnt lgkmcnt(0)
	v_mul_f64 v[89:90], v[101:102], v[109:110]
	v_fma_f64 v[89:90], v[99:100], v[97:98], -v[89:90]
	v_mul_f64 v[99:100], v[99:100], v[109:110]
	v_add_f64 v[45:46], v[45:46], -v[89:90]
	v_fma_f64 v[99:100], v[101:102], v[97:98], v[99:100]
	v_add_f64 v[47:48], v[47:48], -v[99:100]
	ds_read2_b64 v[99:102], v125 offset0:86 offset1:87
	s_waitcnt lgkmcnt(0)
	v_mul_f64 v[89:90], v[101:102], v[109:110]
	v_fma_f64 v[89:90], v[99:100], v[97:98], -v[89:90]
	v_mul_f64 v[99:100], v[99:100], v[109:110]
	v_add_f64 v[41:42], v[41:42], -v[89:90]
	v_fma_f64 v[99:100], v[101:102], v[97:98], v[99:100]
	v_add_f64 v[43:44], v[43:44], -v[99:100]
	ds_read2_b64 v[99:102], v125 offset0:88 offset1:89
	s_waitcnt lgkmcnt(0)
	v_mul_f64 v[89:90], v[101:102], v[109:110]
	v_fma_f64 v[89:90], v[99:100], v[97:98], -v[89:90]
	v_mul_f64 v[99:100], v[99:100], v[109:110]
	v_add_f64 v[37:38], v[37:38], -v[89:90]
	v_fma_f64 v[99:100], v[101:102], v[97:98], v[99:100]
	v_add_f64 v[39:40], v[39:40], -v[99:100]
	ds_read2_b64 v[99:102], v125 offset0:90 offset1:91
	s_waitcnt lgkmcnt(0)
	v_mul_f64 v[89:90], v[101:102], v[109:110]
	v_fma_f64 v[89:90], v[99:100], v[97:98], -v[89:90]
	v_mul_f64 v[99:100], v[99:100], v[109:110]
	v_add_f64 v[33:34], v[33:34], -v[89:90]
	v_fma_f64 v[99:100], v[101:102], v[97:98], v[99:100]
	v_add_f64 v[35:36], v[35:36], -v[99:100]
	ds_read2_b64 v[99:102], v125 offset0:92 offset1:93
	s_waitcnt lgkmcnt(0)
	v_mul_f64 v[89:90], v[101:102], v[109:110]
	v_fma_f64 v[89:90], v[99:100], v[97:98], -v[89:90]
	v_mul_f64 v[99:100], v[99:100], v[109:110]
	v_add_f64 v[29:30], v[29:30], -v[89:90]
	v_fma_f64 v[99:100], v[101:102], v[97:98], v[99:100]
	v_add_f64 v[31:32], v[31:32], -v[99:100]
	ds_read2_b64 v[99:102], v125 offset0:94 offset1:95
	s_waitcnt lgkmcnt(0)
	v_mul_f64 v[89:90], v[101:102], v[109:110]
	v_fma_f64 v[89:90], v[99:100], v[97:98], -v[89:90]
	v_mul_f64 v[99:100], v[99:100], v[109:110]
	v_add_f64 v[25:26], v[25:26], -v[89:90]
	v_fma_f64 v[99:100], v[101:102], v[97:98], v[99:100]
	v_add_f64 v[27:28], v[27:28], -v[99:100]
	ds_read2_b64 v[99:102], v125 offset0:96 offset1:97
	s_waitcnt lgkmcnt(0)
	v_mul_f64 v[89:90], v[101:102], v[109:110]
	v_fma_f64 v[89:90], v[99:100], v[97:98], -v[89:90]
	v_mul_f64 v[99:100], v[99:100], v[109:110]
	v_add_f64 v[21:22], v[21:22], -v[89:90]
	v_fma_f64 v[99:100], v[101:102], v[97:98], v[99:100]
	v_add_f64 v[23:24], v[23:24], -v[99:100]
	ds_read2_b64 v[99:102], v125 offset0:98 offset1:99
	s_waitcnt lgkmcnt(0)
	v_mul_f64 v[89:90], v[101:102], v[109:110]
	v_fma_f64 v[89:90], v[99:100], v[97:98], -v[89:90]
	v_mul_f64 v[99:100], v[99:100], v[109:110]
	v_add_f64 v[17:18], v[17:18], -v[89:90]
	v_fma_f64 v[99:100], v[101:102], v[97:98], v[99:100]
	v_add_f64 v[19:20], v[19:20], -v[99:100]
	ds_read2_b64 v[99:102], v125 offset0:100 offset1:101
	s_waitcnt lgkmcnt(0)
	v_mul_f64 v[89:90], v[101:102], v[109:110]
	v_fma_f64 v[89:90], v[99:100], v[97:98], -v[89:90]
	v_mul_f64 v[99:100], v[99:100], v[109:110]
	v_add_f64 v[13:14], v[13:14], -v[89:90]
	v_fma_f64 v[99:100], v[101:102], v[97:98], v[99:100]
	v_add_f64 v[15:16], v[15:16], -v[99:100]
	ds_read2_b64 v[99:102], v125 offset0:102 offset1:103
	s_waitcnt lgkmcnt(0)
	v_mul_f64 v[89:90], v[101:102], v[109:110]
	v_fma_f64 v[89:90], v[99:100], v[97:98], -v[89:90]
	v_mul_f64 v[99:100], v[99:100], v[109:110]
	v_add_f64 v[9:10], v[9:10], -v[89:90]
	v_fma_f64 v[99:100], v[101:102], v[97:98], v[99:100]
	v_add_f64 v[11:12], v[11:12], -v[99:100]
	ds_read2_b64 v[99:102], v125 offset0:104 offset1:105
	s_waitcnt lgkmcnt(0)
	v_mul_f64 v[89:90], v[101:102], v[109:110]
	v_fma_f64 v[89:90], v[99:100], v[97:98], -v[89:90]
	v_mul_f64 v[99:100], v[99:100], v[109:110]
	v_add_f64 v[5:6], v[5:6], -v[89:90]
	v_fma_f64 v[99:100], v[101:102], v[97:98], v[99:100]
	v_add_f64 v[7:8], v[7:8], -v[99:100]
	ds_read2_b64 v[99:102], v125 offset0:106 offset1:107
	s_waitcnt lgkmcnt(0)
	v_mul_f64 v[89:90], v[101:102], v[109:110]
	v_fma_f64 v[89:90], v[99:100], v[97:98], -v[89:90]
	v_mul_f64 v[99:100], v[99:100], v[109:110]
	v_add_f64 v[1:2], v[1:2], -v[89:90]
	v_fma_f64 v[99:100], v[101:102], v[97:98], v[99:100]
	v_add_f64 v[3:4], v[3:4], -v[99:100]
	ds_read2_b64 v[99:102], v125 offset0:108 offset1:109
	s_waitcnt lgkmcnt(0)
	v_mul_f64 v[89:90], v[101:102], v[109:110]
	v_fma_f64 v[89:90], v[99:100], v[97:98], -v[89:90]
	v_mul_f64 v[99:100], v[99:100], v[109:110]
	buffer_store_dword v107, off, s[20:23], 0 ; 4-byte Folded Spill
	s_nop 0
	buffer_store_dword v108, off, s[20:23], 0 offset:4 ; 4-byte Folded Spill
	buffer_store_dword v109, off, s[20:23], 0 offset:8 ; 4-byte Folded Spill
	;; [unrolled: 1-line block ×3, first 2 shown]
	v_add_f64 v[121:122], v[121:122], -v[89:90]
	v_fma_f64 v[99:100], v[101:102], v[97:98], v[99:100]
	v_add_f64 v[123:124], v[123:124], -v[99:100]
.LBB109_289:
	s_or_b64 exec, exec, s[2:3]
	v_cmp_eq_u32_e32 vcc, 32, v0
	s_waitcnt vmcnt(0)
	s_barrier
	s_and_saveexec_b64 s[4:5], vcc
	s_cbranch_execz .LBB109_296
; %bb.290:
	ds_write2_b64 v127, v[93:94], v[95:96] offset1:1
	ds_write2_b64 v125, v[81:82], v[83:84] offset0:66 offset1:67
	ds_write2_b64 v125, v[77:78], v[79:80] offset0:68 offset1:69
	;; [unrolled: 1-line block ×22, first 2 shown]
	ds_read2_b64 v[97:100], v127 offset1:1
	s_waitcnt lgkmcnt(0)
	v_cmp_neq_f64_e32 vcc, 0, v[97:98]
	v_cmp_neq_f64_e64 s[2:3], 0, v[99:100]
	s_or_b64 s[2:3], vcc, s[2:3]
	s_and_b64 exec, exec, s[2:3]
	s_cbranch_execz .LBB109_296
; %bb.291:
	v_cmp_ngt_f64_e64 s[2:3], |v[97:98]|, |v[99:100]|
                                        ; implicit-def: $vgpr101_vgpr102
	s_and_saveexec_b64 s[6:7], s[2:3]
	s_xor_b64 s[2:3], exec, s[6:7]
                                        ; implicit-def: $vgpr103_vgpr104
	s_cbranch_execz .LBB109_293
; %bb.292:
	v_div_scale_f64 v[101:102], s[6:7], v[99:100], v[99:100], v[97:98]
	v_rcp_f64_e32 v[103:104], v[101:102]
	v_fma_f64 v[105:106], -v[101:102], v[103:104], 1.0
	v_fma_f64 v[103:104], v[103:104], v[105:106], v[103:104]
	v_div_scale_f64 v[105:106], vcc, v[97:98], v[99:100], v[97:98]
	v_fma_f64 v[107:108], -v[101:102], v[103:104], 1.0
	v_fma_f64 v[103:104], v[103:104], v[107:108], v[103:104]
	v_mul_f64 v[107:108], v[105:106], v[103:104]
	v_fma_f64 v[101:102], -v[101:102], v[107:108], v[105:106]
	v_div_fmas_f64 v[101:102], v[101:102], v[103:104], v[107:108]
	v_div_fixup_f64 v[101:102], v[101:102], v[99:100], v[97:98]
	v_fma_f64 v[97:98], v[97:98], v[101:102], v[99:100]
	v_div_scale_f64 v[99:100], s[6:7], v[97:98], v[97:98], 1.0
	v_div_scale_f64 v[107:108], vcc, 1.0, v[97:98], 1.0
	v_rcp_f64_e32 v[103:104], v[99:100]
	v_fma_f64 v[105:106], -v[99:100], v[103:104], 1.0
	v_fma_f64 v[103:104], v[103:104], v[105:106], v[103:104]
	v_fma_f64 v[105:106], -v[99:100], v[103:104], 1.0
	v_fma_f64 v[103:104], v[103:104], v[105:106], v[103:104]
	v_mul_f64 v[105:106], v[107:108], v[103:104]
	v_fma_f64 v[99:100], -v[99:100], v[105:106], v[107:108]
	v_div_fmas_f64 v[99:100], v[99:100], v[103:104], v[105:106]
	v_div_fixup_f64 v[103:104], v[99:100], v[97:98], 1.0
                                        ; implicit-def: $vgpr97_vgpr98
	v_mul_f64 v[101:102], v[101:102], v[103:104]
	v_xor_b32_e32 v104, 0x80000000, v104
.LBB109_293:
	s_andn2_saveexec_b64 s[2:3], s[2:3]
	s_cbranch_execz .LBB109_295
; %bb.294:
	v_div_scale_f64 v[101:102], s[6:7], v[97:98], v[97:98], v[99:100]
	v_rcp_f64_e32 v[103:104], v[101:102]
	v_fma_f64 v[105:106], -v[101:102], v[103:104], 1.0
	v_fma_f64 v[103:104], v[103:104], v[105:106], v[103:104]
	v_div_scale_f64 v[105:106], vcc, v[99:100], v[97:98], v[99:100]
	v_fma_f64 v[107:108], -v[101:102], v[103:104], 1.0
	v_fma_f64 v[103:104], v[103:104], v[107:108], v[103:104]
	v_mul_f64 v[107:108], v[105:106], v[103:104]
	v_fma_f64 v[101:102], -v[101:102], v[107:108], v[105:106]
	v_div_fmas_f64 v[101:102], v[101:102], v[103:104], v[107:108]
	v_div_fixup_f64 v[103:104], v[101:102], v[97:98], v[99:100]
	v_fma_f64 v[97:98], v[99:100], v[103:104], v[97:98]
	v_div_scale_f64 v[99:100], s[6:7], v[97:98], v[97:98], 1.0
	v_div_scale_f64 v[107:108], vcc, 1.0, v[97:98], 1.0
	v_rcp_f64_e32 v[101:102], v[99:100]
	v_fma_f64 v[105:106], -v[99:100], v[101:102], 1.0
	v_fma_f64 v[101:102], v[101:102], v[105:106], v[101:102]
	v_fma_f64 v[105:106], -v[99:100], v[101:102], 1.0
	v_fma_f64 v[101:102], v[101:102], v[105:106], v[101:102]
	v_mul_f64 v[105:106], v[107:108], v[101:102]
	v_fma_f64 v[99:100], -v[99:100], v[105:106], v[107:108]
	v_div_fmas_f64 v[99:100], v[99:100], v[101:102], v[105:106]
	v_div_fixup_f64 v[101:102], v[99:100], v[97:98], 1.0
	v_mul_f64 v[103:104], v[103:104], -v[101:102]
.LBB109_295:
	s_or_b64 exec, exec, s[2:3]
	ds_write2_b64 v127, v[101:102], v[103:104] offset1:1
.LBB109_296:
	s_or_b64 exec, exec, s[4:5]
	s_waitcnt lgkmcnt(0)
	s_barrier
	ds_read2_b64 v[89:92], v127 offset1:1
	v_cmp_lt_u32_e32 vcc, 32, v0
	s_and_saveexec_b64 s[2:3], vcc
	s_cbranch_execz .LBB109_298
; %bb.297:
	v_mov_b32_e32 v104, v96
	v_mov_b32_e32 v103, v95
	s_waitcnt lgkmcnt(0)
	v_mul_f64 v[87:88], v[89:90], v[103:104]
	v_mul_f64 v[97:98], v[91:92], v[95:96]
	v_mov_b32_e32 v102, v94
	v_mov_b32_e32 v101, v93
	v_fma_f64 v[103:104], v[91:92], v[101:102], v[87:88]
	ds_read2_b64 v[99:102], v125 offset0:66 offset1:67
	v_fma_f64 v[97:98], v[89:90], v[93:94], -v[97:98]
	v_mov_b32_e32 v94, v86
	v_mov_b32_e32 v93, v85
	s_waitcnt lgkmcnt(0)
	v_mul_f64 v[85:86], v[101:102], v[103:104]
	v_mov_b32_e32 v95, v103
	v_mov_b32_e32 v96, v104
	v_fma_f64 v[85:86], v[99:100], v[97:98], -v[85:86]
	v_mul_f64 v[99:100], v[99:100], v[103:104]
	v_add_f64 v[81:82], v[81:82], -v[85:86]
	v_fma_f64 v[99:100], v[101:102], v[97:98], v[99:100]
	v_add_f64 v[83:84], v[83:84], -v[99:100]
	ds_read2_b64 v[99:102], v125 offset0:68 offset1:69
	s_waitcnt lgkmcnt(0)
	v_mul_f64 v[85:86], v[101:102], v[103:104]
	v_fma_f64 v[85:86], v[99:100], v[97:98], -v[85:86]
	v_mul_f64 v[99:100], v[99:100], v[103:104]
	v_add_f64 v[77:78], v[77:78], -v[85:86]
	v_fma_f64 v[99:100], v[101:102], v[97:98], v[99:100]
	v_add_f64 v[79:80], v[79:80], -v[99:100]
	ds_read2_b64 v[99:102], v125 offset0:70 offset1:71
	s_waitcnt lgkmcnt(0)
	v_mul_f64 v[85:86], v[101:102], v[103:104]
	;; [unrolled: 8-line block ×21, first 2 shown]
	v_fma_f64 v[85:86], v[99:100], v[97:98], -v[85:86]
	v_mul_f64 v[99:100], v[99:100], v[103:104]
	v_add_f64 v[121:122], v[121:122], -v[85:86]
	v_fma_f64 v[99:100], v[101:102], v[97:98], v[99:100]
	v_mov_b32_e32 v85, v93
	v_mov_b32_e32 v86, v94
	;; [unrolled: 1-line block ×4, first 2 shown]
	v_add_f64 v[123:124], v[123:124], -v[99:100]
.LBB109_298:
	s_or_b64 exec, exec, s[2:3]
	v_cmp_eq_u32_e32 vcc, 33, v0
	s_waitcnt lgkmcnt(0)
	s_barrier
	s_and_saveexec_b64 s[4:5], vcc
	s_cbranch_execz .LBB109_305
; %bb.299:
	ds_write2_b64 v127, v[81:82], v[83:84] offset1:1
	ds_write2_b64 v125, v[77:78], v[79:80] offset0:68 offset1:69
	ds_write2_b64 v125, v[73:74], v[75:76] offset0:70 offset1:71
	;; [unrolled: 1-line block ×21, first 2 shown]
	ds_read2_b64 v[97:100], v127 offset1:1
	s_waitcnt lgkmcnt(0)
	v_cmp_neq_f64_e32 vcc, 0, v[97:98]
	v_cmp_neq_f64_e64 s[2:3], 0, v[99:100]
	s_or_b64 s[2:3], vcc, s[2:3]
	s_and_b64 exec, exec, s[2:3]
	s_cbranch_execz .LBB109_305
; %bb.300:
	v_cmp_ngt_f64_e64 s[2:3], |v[97:98]|, |v[99:100]|
                                        ; implicit-def: $vgpr101_vgpr102
	s_and_saveexec_b64 s[6:7], s[2:3]
	s_xor_b64 s[2:3], exec, s[6:7]
                                        ; implicit-def: $vgpr103_vgpr104
	s_cbranch_execz .LBB109_302
; %bb.301:
	v_div_scale_f64 v[101:102], s[6:7], v[99:100], v[99:100], v[97:98]
	v_rcp_f64_e32 v[103:104], v[101:102]
	v_fma_f64 v[105:106], -v[101:102], v[103:104], 1.0
	v_fma_f64 v[103:104], v[103:104], v[105:106], v[103:104]
	v_div_scale_f64 v[105:106], vcc, v[97:98], v[99:100], v[97:98]
	v_fma_f64 v[107:108], -v[101:102], v[103:104], 1.0
	v_fma_f64 v[103:104], v[103:104], v[107:108], v[103:104]
	v_mul_f64 v[107:108], v[105:106], v[103:104]
	v_fma_f64 v[101:102], -v[101:102], v[107:108], v[105:106]
	v_div_fmas_f64 v[101:102], v[101:102], v[103:104], v[107:108]
	v_div_fixup_f64 v[101:102], v[101:102], v[99:100], v[97:98]
	v_fma_f64 v[97:98], v[97:98], v[101:102], v[99:100]
	v_div_scale_f64 v[99:100], s[6:7], v[97:98], v[97:98], 1.0
	v_div_scale_f64 v[107:108], vcc, 1.0, v[97:98], 1.0
	v_rcp_f64_e32 v[103:104], v[99:100]
	v_fma_f64 v[105:106], -v[99:100], v[103:104], 1.0
	v_fma_f64 v[103:104], v[103:104], v[105:106], v[103:104]
	v_fma_f64 v[105:106], -v[99:100], v[103:104], 1.0
	v_fma_f64 v[103:104], v[103:104], v[105:106], v[103:104]
	v_mul_f64 v[105:106], v[107:108], v[103:104]
	v_fma_f64 v[99:100], -v[99:100], v[105:106], v[107:108]
	v_div_fmas_f64 v[99:100], v[99:100], v[103:104], v[105:106]
	v_div_fixup_f64 v[103:104], v[99:100], v[97:98], 1.0
                                        ; implicit-def: $vgpr97_vgpr98
	v_mul_f64 v[101:102], v[101:102], v[103:104]
	v_xor_b32_e32 v104, 0x80000000, v104
.LBB109_302:
	s_andn2_saveexec_b64 s[2:3], s[2:3]
	s_cbranch_execz .LBB109_304
; %bb.303:
	v_div_scale_f64 v[101:102], s[6:7], v[97:98], v[97:98], v[99:100]
	v_rcp_f64_e32 v[103:104], v[101:102]
	v_fma_f64 v[105:106], -v[101:102], v[103:104], 1.0
	v_fma_f64 v[103:104], v[103:104], v[105:106], v[103:104]
	v_div_scale_f64 v[105:106], vcc, v[99:100], v[97:98], v[99:100]
	v_fma_f64 v[107:108], -v[101:102], v[103:104], 1.0
	v_fma_f64 v[103:104], v[103:104], v[107:108], v[103:104]
	v_mul_f64 v[107:108], v[105:106], v[103:104]
	v_fma_f64 v[101:102], -v[101:102], v[107:108], v[105:106]
	v_div_fmas_f64 v[101:102], v[101:102], v[103:104], v[107:108]
	v_div_fixup_f64 v[103:104], v[101:102], v[97:98], v[99:100]
	v_fma_f64 v[97:98], v[99:100], v[103:104], v[97:98]
	v_div_scale_f64 v[99:100], s[6:7], v[97:98], v[97:98], 1.0
	v_div_scale_f64 v[107:108], vcc, 1.0, v[97:98], 1.0
	v_rcp_f64_e32 v[101:102], v[99:100]
	v_fma_f64 v[105:106], -v[99:100], v[101:102], 1.0
	v_fma_f64 v[101:102], v[101:102], v[105:106], v[101:102]
	v_fma_f64 v[105:106], -v[99:100], v[101:102], 1.0
	v_fma_f64 v[101:102], v[101:102], v[105:106], v[101:102]
	v_mul_f64 v[105:106], v[107:108], v[101:102]
	v_fma_f64 v[99:100], -v[99:100], v[105:106], v[107:108]
	v_div_fmas_f64 v[99:100], v[99:100], v[101:102], v[105:106]
	v_div_fixup_f64 v[101:102], v[99:100], v[97:98], 1.0
	v_mul_f64 v[103:104], v[103:104], -v[101:102]
.LBB109_304:
	s_or_b64 exec, exec, s[2:3]
	ds_write2_b64 v127, v[101:102], v[103:104] offset1:1
.LBB109_305:
	s_or_b64 exec, exec, s[4:5]
	s_waitcnt lgkmcnt(0)
	s_barrier
	ds_read2_b64 v[113:116], v127 offset1:1
	v_cmp_lt_u32_e32 vcc, 33, v0
	s_and_saveexec_b64 s[2:3], vcc
	s_cbranch_execz .LBB109_307
; %bb.306:
	s_waitcnt lgkmcnt(0)
	v_mul_f64 v[97:98], v[115:116], v[83:84]
	v_mul_f64 v[83:84], v[113:114], v[83:84]
	ds_read2_b64 v[99:102], v125 offset0:68 offset1:69
	v_fma_f64 v[97:98], v[113:114], v[81:82], -v[97:98]
	v_fma_f64 v[83:84], v[115:116], v[81:82], v[83:84]
	s_waitcnt lgkmcnt(0)
	v_mul_f64 v[81:82], v[101:102], v[83:84]
	v_fma_f64 v[81:82], v[99:100], v[97:98], -v[81:82]
	v_mul_f64 v[99:100], v[99:100], v[83:84]
	v_add_f64 v[77:78], v[77:78], -v[81:82]
	v_fma_f64 v[99:100], v[101:102], v[97:98], v[99:100]
	v_add_f64 v[79:80], v[79:80], -v[99:100]
	ds_read2_b64 v[99:102], v125 offset0:70 offset1:71
	s_waitcnt lgkmcnt(0)
	v_mul_f64 v[81:82], v[101:102], v[83:84]
	v_fma_f64 v[81:82], v[99:100], v[97:98], -v[81:82]
	v_mul_f64 v[99:100], v[99:100], v[83:84]
	v_add_f64 v[73:74], v[73:74], -v[81:82]
	v_fma_f64 v[99:100], v[101:102], v[97:98], v[99:100]
	v_add_f64 v[75:76], v[75:76], -v[99:100]
	ds_read2_b64 v[99:102], v125 offset0:72 offset1:73
	;; [unrolled: 8-line block ×20, first 2 shown]
	s_waitcnt lgkmcnt(0)
	v_mul_f64 v[81:82], v[101:102], v[83:84]
	v_fma_f64 v[81:82], v[99:100], v[97:98], -v[81:82]
	v_mul_f64 v[99:100], v[99:100], v[83:84]
	v_add_f64 v[121:122], v[121:122], -v[81:82]
	v_fma_f64 v[99:100], v[101:102], v[97:98], v[99:100]
	v_mov_b32_e32 v81, v97
	v_mov_b32_e32 v82, v98
	v_add_f64 v[123:124], v[123:124], -v[99:100]
.LBB109_307:
	s_or_b64 exec, exec, s[2:3]
	v_cmp_eq_u32_e32 vcc, 34, v0
	s_waitcnt lgkmcnt(0)
	s_barrier
	s_and_saveexec_b64 s[4:5], vcc
	s_cbranch_execz .LBB109_314
; %bb.308:
	ds_write2_b64 v127, v[77:78], v[79:80] offset1:1
	ds_write2_b64 v125, v[73:74], v[75:76] offset0:70 offset1:71
	ds_write2_b64 v125, v[69:70], v[71:72] offset0:72 offset1:73
	;; [unrolled: 1-line block ×20, first 2 shown]
	ds_read2_b64 v[97:100], v127 offset1:1
	s_waitcnt lgkmcnt(0)
	v_cmp_neq_f64_e32 vcc, 0, v[97:98]
	v_cmp_neq_f64_e64 s[2:3], 0, v[99:100]
	s_or_b64 s[2:3], vcc, s[2:3]
	s_and_b64 exec, exec, s[2:3]
	s_cbranch_execz .LBB109_314
; %bb.309:
	v_cmp_ngt_f64_e64 s[2:3], |v[97:98]|, |v[99:100]|
                                        ; implicit-def: $vgpr101_vgpr102
	s_and_saveexec_b64 s[6:7], s[2:3]
	s_xor_b64 s[2:3], exec, s[6:7]
                                        ; implicit-def: $vgpr103_vgpr104
	s_cbranch_execz .LBB109_311
; %bb.310:
	v_div_scale_f64 v[101:102], s[6:7], v[99:100], v[99:100], v[97:98]
	v_rcp_f64_e32 v[103:104], v[101:102]
	v_fma_f64 v[105:106], -v[101:102], v[103:104], 1.0
	v_fma_f64 v[103:104], v[103:104], v[105:106], v[103:104]
	v_div_scale_f64 v[105:106], vcc, v[97:98], v[99:100], v[97:98]
	v_fma_f64 v[107:108], -v[101:102], v[103:104], 1.0
	v_fma_f64 v[103:104], v[103:104], v[107:108], v[103:104]
	v_mul_f64 v[107:108], v[105:106], v[103:104]
	v_fma_f64 v[101:102], -v[101:102], v[107:108], v[105:106]
	v_div_fmas_f64 v[101:102], v[101:102], v[103:104], v[107:108]
	v_div_fixup_f64 v[101:102], v[101:102], v[99:100], v[97:98]
	v_fma_f64 v[97:98], v[97:98], v[101:102], v[99:100]
	v_div_scale_f64 v[99:100], s[6:7], v[97:98], v[97:98], 1.0
	v_div_scale_f64 v[107:108], vcc, 1.0, v[97:98], 1.0
	v_rcp_f64_e32 v[103:104], v[99:100]
	v_fma_f64 v[105:106], -v[99:100], v[103:104], 1.0
	v_fma_f64 v[103:104], v[103:104], v[105:106], v[103:104]
	v_fma_f64 v[105:106], -v[99:100], v[103:104], 1.0
	v_fma_f64 v[103:104], v[103:104], v[105:106], v[103:104]
	v_mul_f64 v[105:106], v[107:108], v[103:104]
	v_fma_f64 v[99:100], -v[99:100], v[105:106], v[107:108]
	v_div_fmas_f64 v[99:100], v[99:100], v[103:104], v[105:106]
	v_div_fixup_f64 v[103:104], v[99:100], v[97:98], 1.0
                                        ; implicit-def: $vgpr97_vgpr98
	v_mul_f64 v[101:102], v[101:102], v[103:104]
	v_xor_b32_e32 v104, 0x80000000, v104
.LBB109_311:
	s_andn2_saveexec_b64 s[2:3], s[2:3]
	s_cbranch_execz .LBB109_313
; %bb.312:
	v_div_scale_f64 v[101:102], s[6:7], v[97:98], v[97:98], v[99:100]
	v_rcp_f64_e32 v[103:104], v[101:102]
	v_fma_f64 v[105:106], -v[101:102], v[103:104], 1.0
	v_fma_f64 v[103:104], v[103:104], v[105:106], v[103:104]
	v_div_scale_f64 v[105:106], vcc, v[99:100], v[97:98], v[99:100]
	v_fma_f64 v[107:108], -v[101:102], v[103:104], 1.0
	v_fma_f64 v[103:104], v[103:104], v[107:108], v[103:104]
	v_mul_f64 v[107:108], v[105:106], v[103:104]
	v_fma_f64 v[101:102], -v[101:102], v[107:108], v[105:106]
	v_div_fmas_f64 v[101:102], v[101:102], v[103:104], v[107:108]
	v_div_fixup_f64 v[103:104], v[101:102], v[97:98], v[99:100]
	v_fma_f64 v[97:98], v[99:100], v[103:104], v[97:98]
	v_div_scale_f64 v[99:100], s[6:7], v[97:98], v[97:98], 1.0
	v_div_scale_f64 v[107:108], vcc, 1.0, v[97:98], 1.0
	v_rcp_f64_e32 v[101:102], v[99:100]
	v_fma_f64 v[105:106], -v[99:100], v[101:102], 1.0
	v_fma_f64 v[101:102], v[101:102], v[105:106], v[101:102]
	v_fma_f64 v[105:106], -v[99:100], v[101:102], 1.0
	v_fma_f64 v[101:102], v[101:102], v[105:106], v[101:102]
	v_mul_f64 v[105:106], v[107:108], v[101:102]
	v_fma_f64 v[99:100], -v[99:100], v[105:106], v[107:108]
	v_div_fmas_f64 v[99:100], v[99:100], v[101:102], v[105:106]
	v_div_fixup_f64 v[101:102], v[99:100], v[97:98], 1.0
	v_mul_f64 v[103:104], v[103:104], -v[101:102]
.LBB109_313:
	s_or_b64 exec, exec, s[2:3]
	ds_write2_b64 v127, v[101:102], v[103:104] offset1:1
.LBB109_314:
	s_or_b64 exec, exec, s[4:5]
	s_waitcnt lgkmcnt(0)
	s_barrier
	ds_read2_b64 v[109:112], v127 offset1:1
	v_cmp_lt_u32_e32 vcc, 34, v0
	s_and_saveexec_b64 s[2:3], vcc
	s_cbranch_execz .LBB109_316
; %bb.315:
	s_waitcnt lgkmcnt(0)
	v_mul_f64 v[97:98], v[111:112], v[79:80]
	v_mul_f64 v[79:80], v[109:110], v[79:80]
	ds_read2_b64 v[99:102], v125 offset0:70 offset1:71
	v_fma_f64 v[97:98], v[109:110], v[77:78], -v[97:98]
	v_fma_f64 v[79:80], v[111:112], v[77:78], v[79:80]
	s_waitcnt lgkmcnt(0)
	v_mul_f64 v[77:78], v[101:102], v[79:80]
	v_fma_f64 v[77:78], v[99:100], v[97:98], -v[77:78]
	v_mul_f64 v[99:100], v[99:100], v[79:80]
	v_add_f64 v[73:74], v[73:74], -v[77:78]
	v_fma_f64 v[99:100], v[101:102], v[97:98], v[99:100]
	v_add_f64 v[75:76], v[75:76], -v[99:100]
	ds_read2_b64 v[99:102], v125 offset0:72 offset1:73
	s_waitcnt lgkmcnt(0)
	v_mul_f64 v[77:78], v[101:102], v[79:80]
	v_fma_f64 v[77:78], v[99:100], v[97:98], -v[77:78]
	v_mul_f64 v[99:100], v[99:100], v[79:80]
	v_add_f64 v[69:70], v[69:70], -v[77:78]
	v_fma_f64 v[99:100], v[101:102], v[97:98], v[99:100]
	v_add_f64 v[71:72], v[71:72], -v[99:100]
	ds_read2_b64 v[99:102], v125 offset0:74 offset1:75
	;; [unrolled: 8-line block ×19, first 2 shown]
	s_waitcnt lgkmcnt(0)
	v_mul_f64 v[77:78], v[101:102], v[79:80]
	v_fma_f64 v[77:78], v[99:100], v[97:98], -v[77:78]
	v_mul_f64 v[99:100], v[99:100], v[79:80]
	v_add_f64 v[121:122], v[121:122], -v[77:78]
	v_fma_f64 v[99:100], v[101:102], v[97:98], v[99:100]
	v_mov_b32_e32 v77, v97
	v_mov_b32_e32 v78, v98
	v_add_f64 v[123:124], v[123:124], -v[99:100]
.LBB109_316:
	s_or_b64 exec, exec, s[2:3]
	v_cmp_eq_u32_e32 vcc, 35, v0
	s_waitcnt lgkmcnt(0)
	s_barrier
	s_and_saveexec_b64 s[4:5], vcc
	s_cbranch_execz .LBB109_323
; %bb.317:
	ds_write2_b64 v127, v[73:74], v[75:76] offset1:1
	ds_write2_b64 v125, v[69:70], v[71:72] offset0:72 offset1:73
	ds_write2_b64 v125, v[65:66], v[67:68] offset0:74 offset1:75
	;; [unrolled: 1-line block ×19, first 2 shown]
	ds_read2_b64 v[97:100], v127 offset1:1
	s_waitcnt lgkmcnt(0)
	v_cmp_neq_f64_e32 vcc, 0, v[97:98]
	v_cmp_neq_f64_e64 s[2:3], 0, v[99:100]
	s_or_b64 s[2:3], vcc, s[2:3]
	s_and_b64 exec, exec, s[2:3]
	s_cbranch_execz .LBB109_323
; %bb.318:
	v_cmp_ngt_f64_e64 s[2:3], |v[97:98]|, |v[99:100]|
                                        ; implicit-def: $vgpr101_vgpr102
	s_and_saveexec_b64 s[6:7], s[2:3]
	s_xor_b64 s[2:3], exec, s[6:7]
                                        ; implicit-def: $vgpr103_vgpr104
	s_cbranch_execz .LBB109_320
; %bb.319:
	v_div_scale_f64 v[101:102], s[6:7], v[99:100], v[99:100], v[97:98]
	v_rcp_f64_e32 v[103:104], v[101:102]
	v_fma_f64 v[105:106], -v[101:102], v[103:104], 1.0
	v_fma_f64 v[103:104], v[103:104], v[105:106], v[103:104]
	v_div_scale_f64 v[105:106], vcc, v[97:98], v[99:100], v[97:98]
	v_fma_f64 v[107:108], -v[101:102], v[103:104], 1.0
	v_fma_f64 v[103:104], v[103:104], v[107:108], v[103:104]
	v_mul_f64 v[107:108], v[105:106], v[103:104]
	v_fma_f64 v[101:102], -v[101:102], v[107:108], v[105:106]
	v_div_fmas_f64 v[101:102], v[101:102], v[103:104], v[107:108]
	v_div_fixup_f64 v[101:102], v[101:102], v[99:100], v[97:98]
	v_fma_f64 v[97:98], v[97:98], v[101:102], v[99:100]
	v_div_scale_f64 v[99:100], s[6:7], v[97:98], v[97:98], 1.0
	v_div_scale_f64 v[107:108], vcc, 1.0, v[97:98], 1.0
	v_rcp_f64_e32 v[103:104], v[99:100]
	v_fma_f64 v[105:106], -v[99:100], v[103:104], 1.0
	v_fma_f64 v[103:104], v[103:104], v[105:106], v[103:104]
	v_fma_f64 v[105:106], -v[99:100], v[103:104], 1.0
	v_fma_f64 v[103:104], v[103:104], v[105:106], v[103:104]
	v_mul_f64 v[105:106], v[107:108], v[103:104]
	v_fma_f64 v[99:100], -v[99:100], v[105:106], v[107:108]
	v_div_fmas_f64 v[99:100], v[99:100], v[103:104], v[105:106]
	v_div_fixup_f64 v[103:104], v[99:100], v[97:98], 1.0
                                        ; implicit-def: $vgpr97_vgpr98
	v_mul_f64 v[101:102], v[101:102], v[103:104]
	v_xor_b32_e32 v104, 0x80000000, v104
.LBB109_320:
	s_andn2_saveexec_b64 s[2:3], s[2:3]
	s_cbranch_execz .LBB109_322
; %bb.321:
	v_div_scale_f64 v[101:102], s[6:7], v[97:98], v[97:98], v[99:100]
	v_rcp_f64_e32 v[103:104], v[101:102]
	v_fma_f64 v[105:106], -v[101:102], v[103:104], 1.0
	v_fma_f64 v[103:104], v[103:104], v[105:106], v[103:104]
	v_div_scale_f64 v[105:106], vcc, v[99:100], v[97:98], v[99:100]
	v_fma_f64 v[107:108], -v[101:102], v[103:104], 1.0
	v_fma_f64 v[103:104], v[103:104], v[107:108], v[103:104]
	v_mul_f64 v[107:108], v[105:106], v[103:104]
	v_fma_f64 v[101:102], -v[101:102], v[107:108], v[105:106]
	v_div_fmas_f64 v[101:102], v[101:102], v[103:104], v[107:108]
	v_div_fixup_f64 v[103:104], v[101:102], v[97:98], v[99:100]
	v_fma_f64 v[97:98], v[99:100], v[103:104], v[97:98]
	v_div_scale_f64 v[99:100], s[6:7], v[97:98], v[97:98], 1.0
	v_div_scale_f64 v[107:108], vcc, 1.0, v[97:98], 1.0
	v_rcp_f64_e32 v[101:102], v[99:100]
	v_fma_f64 v[105:106], -v[99:100], v[101:102], 1.0
	v_fma_f64 v[101:102], v[101:102], v[105:106], v[101:102]
	v_fma_f64 v[105:106], -v[99:100], v[101:102], 1.0
	v_fma_f64 v[101:102], v[101:102], v[105:106], v[101:102]
	v_mul_f64 v[105:106], v[107:108], v[101:102]
	v_fma_f64 v[99:100], -v[99:100], v[105:106], v[107:108]
	v_div_fmas_f64 v[99:100], v[99:100], v[101:102], v[105:106]
	v_div_fixup_f64 v[101:102], v[99:100], v[97:98], 1.0
	v_mul_f64 v[103:104], v[103:104], -v[101:102]
.LBB109_322:
	s_or_b64 exec, exec, s[2:3]
	ds_write2_b64 v127, v[101:102], v[103:104] offset1:1
.LBB109_323:
	s_or_b64 exec, exec, s[4:5]
	s_waitcnt lgkmcnt(0)
	s_barrier
	ds_read2_b64 v[97:100], v127 offset1:1
	v_cmp_lt_u32_e32 vcc, 35, v0
	s_waitcnt lgkmcnt(0)
	buffer_store_dword v97, off, s[20:23], 0 offset:1456 ; 4-byte Folded Spill
	s_nop 0
	buffer_store_dword v98, off, s[20:23], 0 offset:1460 ; 4-byte Folded Spill
	buffer_store_dword v99, off, s[20:23], 0 offset:1464 ; 4-byte Folded Spill
	;; [unrolled: 1-line block ×3, first 2 shown]
	s_and_saveexec_b64 s[2:3], vcc
	s_cbranch_execz .LBB109_325
; %bb.324:
	buffer_load_dword v99, off, s[20:23], 0 offset:1456 ; 4-byte Folded Reload
	buffer_load_dword v100, off, s[20:23], 0 offset:1460 ; 4-byte Folded Reload
	;; [unrolled: 1-line block ×4, first 2 shown]
	s_waitcnt vmcnt(0)
	v_mul_f64 v[97:98], v[101:102], v[75:76]
	v_mul_f64 v[75:76], v[99:100], v[75:76]
	v_fma_f64 v[97:98], v[99:100], v[73:74], -v[97:98]
	v_fma_f64 v[75:76], v[101:102], v[73:74], v[75:76]
	ds_read2_b64 v[99:102], v125 offset0:72 offset1:73
	s_waitcnt lgkmcnt(0)
	v_mul_f64 v[73:74], v[101:102], v[75:76]
	v_fma_f64 v[73:74], v[99:100], v[97:98], -v[73:74]
	v_mul_f64 v[99:100], v[99:100], v[75:76]
	v_add_f64 v[69:70], v[69:70], -v[73:74]
	v_fma_f64 v[99:100], v[101:102], v[97:98], v[99:100]
	v_add_f64 v[71:72], v[71:72], -v[99:100]
	ds_read2_b64 v[99:102], v125 offset0:74 offset1:75
	s_waitcnt lgkmcnt(0)
	v_mul_f64 v[73:74], v[101:102], v[75:76]
	v_fma_f64 v[73:74], v[99:100], v[97:98], -v[73:74]
	v_mul_f64 v[99:100], v[99:100], v[75:76]
	v_add_f64 v[65:66], v[65:66], -v[73:74]
	v_fma_f64 v[99:100], v[101:102], v[97:98], v[99:100]
	v_add_f64 v[67:68], v[67:68], -v[99:100]
	;; [unrolled: 8-line block ×18, first 2 shown]
	ds_read2_b64 v[99:102], v125 offset0:108 offset1:109
	s_waitcnt lgkmcnt(0)
	v_mul_f64 v[73:74], v[101:102], v[75:76]
	v_fma_f64 v[73:74], v[99:100], v[97:98], -v[73:74]
	v_mul_f64 v[99:100], v[99:100], v[75:76]
	v_add_f64 v[121:122], v[121:122], -v[73:74]
	v_fma_f64 v[99:100], v[101:102], v[97:98], v[99:100]
	v_mov_b32_e32 v73, v97
	v_mov_b32_e32 v74, v98
	v_add_f64 v[123:124], v[123:124], -v[99:100]
.LBB109_325:
	s_or_b64 exec, exec, s[2:3]
	v_cmp_eq_u32_e32 vcc, 36, v0
	s_waitcnt vmcnt(0)
	s_barrier
	s_and_saveexec_b64 s[4:5], vcc
	s_cbranch_execz .LBB109_332
; %bb.326:
	ds_write2_b64 v127, v[69:70], v[71:72] offset1:1
	ds_write2_b64 v125, v[65:66], v[67:68] offset0:74 offset1:75
	ds_write2_b64 v125, v[61:62], v[63:64] offset0:76 offset1:77
	;; [unrolled: 1-line block ×18, first 2 shown]
	ds_read2_b64 v[97:100], v127 offset1:1
	s_waitcnt lgkmcnt(0)
	v_cmp_neq_f64_e32 vcc, 0, v[97:98]
	v_cmp_neq_f64_e64 s[2:3], 0, v[99:100]
	s_or_b64 s[2:3], vcc, s[2:3]
	s_and_b64 exec, exec, s[2:3]
	s_cbranch_execz .LBB109_332
; %bb.327:
	v_cmp_ngt_f64_e64 s[2:3], |v[97:98]|, |v[99:100]|
                                        ; implicit-def: $vgpr101_vgpr102
	s_and_saveexec_b64 s[6:7], s[2:3]
	s_xor_b64 s[2:3], exec, s[6:7]
                                        ; implicit-def: $vgpr103_vgpr104
	s_cbranch_execz .LBB109_329
; %bb.328:
	v_div_scale_f64 v[101:102], s[6:7], v[99:100], v[99:100], v[97:98]
	v_rcp_f64_e32 v[103:104], v[101:102]
	v_fma_f64 v[105:106], -v[101:102], v[103:104], 1.0
	v_fma_f64 v[103:104], v[103:104], v[105:106], v[103:104]
	v_div_scale_f64 v[105:106], vcc, v[97:98], v[99:100], v[97:98]
	v_fma_f64 v[107:108], -v[101:102], v[103:104], 1.0
	v_fma_f64 v[103:104], v[103:104], v[107:108], v[103:104]
	v_mul_f64 v[107:108], v[105:106], v[103:104]
	v_fma_f64 v[101:102], -v[101:102], v[107:108], v[105:106]
	v_div_fmas_f64 v[101:102], v[101:102], v[103:104], v[107:108]
	v_div_fixup_f64 v[101:102], v[101:102], v[99:100], v[97:98]
	v_fma_f64 v[97:98], v[97:98], v[101:102], v[99:100]
	v_div_scale_f64 v[99:100], s[6:7], v[97:98], v[97:98], 1.0
	v_div_scale_f64 v[107:108], vcc, 1.0, v[97:98], 1.0
	v_rcp_f64_e32 v[103:104], v[99:100]
	v_fma_f64 v[105:106], -v[99:100], v[103:104], 1.0
	v_fma_f64 v[103:104], v[103:104], v[105:106], v[103:104]
	v_fma_f64 v[105:106], -v[99:100], v[103:104], 1.0
	v_fma_f64 v[103:104], v[103:104], v[105:106], v[103:104]
	v_mul_f64 v[105:106], v[107:108], v[103:104]
	v_fma_f64 v[99:100], -v[99:100], v[105:106], v[107:108]
	v_div_fmas_f64 v[99:100], v[99:100], v[103:104], v[105:106]
	v_div_fixup_f64 v[103:104], v[99:100], v[97:98], 1.0
                                        ; implicit-def: $vgpr97_vgpr98
	v_mul_f64 v[101:102], v[101:102], v[103:104]
	v_xor_b32_e32 v104, 0x80000000, v104
.LBB109_329:
	s_andn2_saveexec_b64 s[2:3], s[2:3]
	s_cbranch_execz .LBB109_331
; %bb.330:
	v_div_scale_f64 v[101:102], s[6:7], v[97:98], v[97:98], v[99:100]
	v_rcp_f64_e32 v[103:104], v[101:102]
	v_fma_f64 v[105:106], -v[101:102], v[103:104], 1.0
	v_fma_f64 v[103:104], v[103:104], v[105:106], v[103:104]
	v_div_scale_f64 v[105:106], vcc, v[99:100], v[97:98], v[99:100]
	v_fma_f64 v[107:108], -v[101:102], v[103:104], 1.0
	v_fma_f64 v[103:104], v[103:104], v[107:108], v[103:104]
	v_mul_f64 v[107:108], v[105:106], v[103:104]
	v_fma_f64 v[101:102], -v[101:102], v[107:108], v[105:106]
	v_div_fmas_f64 v[101:102], v[101:102], v[103:104], v[107:108]
	v_div_fixup_f64 v[103:104], v[101:102], v[97:98], v[99:100]
	v_fma_f64 v[97:98], v[99:100], v[103:104], v[97:98]
	v_div_scale_f64 v[99:100], s[6:7], v[97:98], v[97:98], 1.0
	v_div_scale_f64 v[107:108], vcc, 1.0, v[97:98], 1.0
	v_rcp_f64_e32 v[101:102], v[99:100]
	v_fma_f64 v[105:106], -v[99:100], v[101:102], 1.0
	v_fma_f64 v[101:102], v[101:102], v[105:106], v[101:102]
	v_fma_f64 v[105:106], -v[99:100], v[101:102], 1.0
	v_fma_f64 v[101:102], v[101:102], v[105:106], v[101:102]
	v_mul_f64 v[105:106], v[107:108], v[101:102]
	v_fma_f64 v[99:100], -v[99:100], v[105:106], v[107:108]
	v_div_fmas_f64 v[99:100], v[99:100], v[101:102], v[105:106]
	v_div_fixup_f64 v[101:102], v[99:100], v[97:98], 1.0
	v_mul_f64 v[103:104], v[103:104], -v[101:102]
.LBB109_331:
	s_or_b64 exec, exec, s[2:3]
	ds_write2_b64 v127, v[101:102], v[103:104] offset1:1
.LBB109_332:
	s_or_b64 exec, exec, s[4:5]
	s_waitcnt lgkmcnt(0)
	s_barrier
	ds_read2_b64 v[97:100], v127 offset1:1
	v_cmp_lt_u32_e32 vcc, 36, v0
	s_waitcnt lgkmcnt(0)
	buffer_store_dword v97, off, s[20:23], 0 offset:1472 ; 4-byte Folded Spill
	s_nop 0
	buffer_store_dword v98, off, s[20:23], 0 offset:1476 ; 4-byte Folded Spill
	buffer_store_dword v99, off, s[20:23], 0 offset:1480 ; 4-byte Folded Spill
	buffer_store_dword v100, off, s[20:23], 0 offset:1484 ; 4-byte Folded Spill
	s_and_saveexec_b64 s[2:3], vcc
	s_cbranch_execz .LBB109_334
; %bb.333:
	buffer_load_dword v99, off, s[20:23], 0 offset:1472 ; 4-byte Folded Reload
	buffer_load_dword v100, off, s[20:23], 0 offset:1476 ; 4-byte Folded Reload
	;; [unrolled: 1-line block ×4, first 2 shown]
	s_waitcnt vmcnt(0)
	v_mul_f64 v[97:98], v[101:102], v[71:72]
	v_mul_f64 v[71:72], v[99:100], v[71:72]
	v_fma_f64 v[97:98], v[99:100], v[69:70], -v[97:98]
	v_fma_f64 v[71:72], v[101:102], v[69:70], v[71:72]
	ds_read2_b64 v[99:102], v125 offset0:74 offset1:75
	s_waitcnt lgkmcnt(0)
	v_mul_f64 v[69:70], v[101:102], v[71:72]
	v_fma_f64 v[69:70], v[99:100], v[97:98], -v[69:70]
	v_mul_f64 v[99:100], v[99:100], v[71:72]
	v_add_f64 v[65:66], v[65:66], -v[69:70]
	v_fma_f64 v[99:100], v[101:102], v[97:98], v[99:100]
	v_add_f64 v[67:68], v[67:68], -v[99:100]
	ds_read2_b64 v[99:102], v125 offset0:76 offset1:77
	s_waitcnt lgkmcnt(0)
	v_mul_f64 v[69:70], v[101:102], v[71:72]
	v_fma_f64 v[69:70], v[99:100], v[97:98], -v[69:70]
	v_mul_f64 v[99:100], v[99:100], v[71:72]
	v_add_f64 v[61:62], v[61:62], -v[69:70]
	v_fma_f64 v[99:100], v[101:102], v[97:98], v[99:100]
	v_add_f64 v[63:64], v[63:64], -v[99:100]
	;; [unrolled: 8-line block ×17, first 2 shown]
	ds_read2_b64 v[99:102], v125 offset0:108 offset1:109
	s_waitcnt lgkmcnt(0)
	v_mul_f64 v[69:70], v[101:102], v[71:72]
	v_fma_f64 v[69:70], v[99:100], v[97:98], -v[69:70]
	v_mul_f64 v[99:100], v[99:100], v[71:72]
	v_add_f64 v[121:122], v[121:122], -v[69:70]
	v_fma_f64 v[99:100], v[101:102], v[97:98], v[99:100]
	v_mov_b32_e32 v69, v97
	v_mov_b32_e32 v70, v98
	v_add_f64 v[123:124], v[123:124], -v[99:100]
.LBB109_334:
	s_or_b64 exec, exec, s[2:3]
	v_cmp_eq_u32_e32 vcc, 37, v0
	s_waitcnt vmcnt(0)
	s_barrier
	s_and_saveexec_b64 s[4:5], vcc
	s_cbranch_execz .LBB109_341
; %bb.335:
	ds_write2_b64 v127, v[65:66], v[67:68] offset1:1
	ds_write2_b64 v125, v[61:62], v[63:64] offset0:76 offset1:77
	ds_write2_b64 v125, v[57:58], v[59:60] offset0:78 offset1:79
	;; [unrolled: 1-line block ×17, first 2 shown]
	ds_read2_b64 v[97:100], v127 offset1:1
	s_waitcnt lgkmcnt(0)
	v_cmp_neq_f64_e32 vcc, 0, v[97:98]
	v_cmp_neq_f64_e64 s[2:3], 0, v[99:100]
	s_or_b64 s[2:3], vcc, s[2:3]
	s_and_b64 exec, exec, s[2:3]
	s_cbranch_execz .LBB109_341
; %bb.336:
	v_cmp_ngt_f64_e64 s[2:3], |v[97:98]|, |v[99:100]|
                                        ; implicit-def: $vgpr101_vgpr102
	s_and_saveexec_b64 s[6:7], s[2:3]
	s_xor_b64 s[2:3], exec, s[6:7]
                                        ; implicit-def: $vgpr103_vgpr104
	s_cbranch_execz .LBB109_338
; %bb.337:
	v_div_scale_f64 v[101:102], s[6:7], v[99:100], v[99:100], v[97:98]
	v_rcp_f64_e32 v[103:104], v[101:102]
	v_fma_f64 v[105:106], -v[101:102], v[103:104], 1.0
	v_fma_f64 v[103:104], v[103:104], v[105:106], v[103:104]
	v_div_scale_f64 v[105:106], vcc, v[97:98], v[99:100], v[97:98]
	v_fma_f64 v[107:108], -v[101:102], v[103:104], 1.0
	v_fma_f64 v[103:104], v[103:104], v[107:108], v[103:104]
	v_mul_f64 v[107:108], v[105:106], v[103:104]
	v_fma_f64 v[101:102], -v[101:102], v[107:108], v[105:106]
	v_div_fmas_f64 v[101:102], v[101:102], v[103:104], v[107:108]
	v_div_fixup_f64 v[101:102], v[101:102], v[99:100], v[97:98]
	v_fma_f64 v[97:98], v[97:98], v[101:102], v[99:100]
	v_div_scale_f64 v[99:100], s[6:7], v[97:98], v[97:98], 1.0
	v_div_scale_f64 v[107:108], vcc, 1.0, v[97:98], 1.0
	v_rcp_f64_e32 v[103:104], v[99:100]
	v_fma_f64 v[105:106], -v[99:100], v[103:104], 1.0
	v_fma_f64 v[103:104], v[103:104], v[105:106], v[103:104]
	v_fma_f64 v[105:106], -v[99:100], v[103:104], 1.0
	v_fma_f64 v[103:104], v[103:104], v[105:106], v[103:104]
	v_mul_f64 v[105:106], v[107:108], v[103:104]
	v_fma_f64 v[99:100], -v[99:100], v[105:106], v[107:108]
	v_div_fmas_f64 v[99:100], v[99:100], v[103:104], v[105:106]
	v_div_fixup_f64 v[103:104], v[99:100], v[97:98], 1.0
                                        ; implicit-def: $vgpr97_vgpr98
	v_mul_f64 v[101:102], v[101:102], v[103:104]
	v_xor_b32_e32 v104, 0x80000000, v104
.LBB109_338:
	s_andn2_saveexec_b64 s[2:3], s[2:3]
	s_cbranch_execz .LBB109_340
; %bb.339:
	v_div_scale_f64 v[101:102], s[6:7], v[97:98], v[97:98], v[99:100]
	v_rcp_f64_e32 v[103:104], v[101:102]
	v_fma_f64 v[105:106], -v[101:102], v[103:104], 1.0
	v_fma_f64 v[103:104], v[103:104], v[105:106], v[103:104]
	v_div_scale_f64 v[105:106], vcc, v[99:100], v[97:98], v[99:100]
	v_fma_f64 v[107:108], -v[101:102], v[103:104], 1.0
	v_fma_f64 v[103:104], v[103:104], v[107:108], v[103:104]
	v_mul_f64 v[107:108], v[105:106], v[103:104]
	v_fma_f64 v[101:102], -v[101:102], v[107:108], v[105:106]
	v_div_fmas_f64 v[101:102], v[101:102], v[103:104], v[107:108]
	v_div_fixup_f64 v[103:104], v[101:102], v[97:98], v[99:100]
	v_fma_f64 v[97:98], v[99:100], v[103:104], v[97:98]
	v_div_scale_f64 v[99:100], s[6:7], v[97:98], v[97:98], 1.0
	v_div_scale_f64 v[107:108], vcc, 1.0, v[97:98], 1.0
	v_rcp_f64_e32 v[101:102], v[99:100]
	v_fma_f64 v[105:106], -v[99:100], v[101:102], 1.0
	v_fma_f64 v[101:102], v[101:102], v[105:106], v[101:102]
	v_fma_f64 v[105:106], -v[99:100], v[101:102], 1.0
	v_fma_f64 v[101:102], v[101:102], v[105:106], v[101:102]
	v_mul_f64 v[105:106], v[107:108], v[101:102]
	v_fma_f64 v[99:100], -v[99:100], v[105:106], v[107:108]
	v_div_fmas_f64 v[99:100], v[99:100], v[101:102], v[105:106]
	v_div_fixup_f64 v[101:102], v[99:100], v[97:98], 1.0
	v_mul_f64 v[103:104], v[103:104], -v[101:102]
.LBB109_340:
	s_or_b64 exec, exec, s[2:3]
	ds_write2_b64 v127, v[101:102], v[103:104] offset1:1
.LBB109_341:
	s_or_b64 exec, exec, s[4:5]
	s_waitcnt lgkmcnt(0)
	s_barrier
	ds_read2_b64 v[97:100], v127 offset1:1
	v_cmp_lt_u32_e32 vcc, 37, v0
	s_waitcnt lgkmcnt(0)
	buffer_store_dword v97, off, s[20:23], 0 offset:1488 ; 4-byte Folded Spill
	s_nop 0
	buffer_store_dword v98, off, s[20:23], 0 offset:1492 ; 4-byte Folded Spill
	buffer_store_dword v99, off, s[20:23], 0 offset:1496 ; 4-byte Folded Spill
	;; [unrolled: 1-line block ×3, first 2 shown]
	s_and_saveexec_b64 s[2:3], vcc
	s_cbranch_execz .LBB109_343
; %bb.342:
	buffer_load_dword v99, off, s[20:23], 0 offset:1488 ; 4-byte Folded Reload
	buffer_load_dword v100, off, s[20:23], 0 offset:1492 ; 4-byte Folded Reload
	buffer_load_dword v101, off, s[20:23], 0 offset:1496 ; 4-byte Folded Reload
	buffer_load_dword v102, off, s[20:23], 0 offset:1500 ; 4-byte Folded Reload
	s_waitcnt vmcnt(0)
	v_mul_f64 v[97:98], v[101:102], v[67:68]
	v_mul_f64 v[67:68], v[99:100], v[67:68]
	v_fma_f64 v[97:98], v[99:100], v[65:66], -v[97:98]
	v_fma_f64 v[67:68], v[101:102], v[65:66], v[67:68]
	ds_read2_b64 v[99:102], v125 offset0:76 offset1:77
	s_waitcnt lgkmcnt(0)
	v_mul_f64 v[65:66], v[101:102], v[67:68]
	v_fma_f64 v[65:66], v[99:100], v[97:98], -v[65:66]
	v_mul_f64 v[99:100], v[99:100], v[67:68]
	v_add_f64 v[61:62], v[61:62], -v[65:66]
	v_fma_f64 v[99:100], v[101:102], v[97:98], v[99:100]
	v_add_f64 v[63:64], v[63:64], -v[99:100]
	ds_read2_b64 v[99:102], v125 offset0:78 offset1:79
	s_waitcnt lgkmcnt(0)
	v_mul_f64 v[65:66], v[101:102], v[67:68]
	v_fma_f64 v[65:66], v[99:100], v[97:98], -v[65:66]
	v_mul_f64 v[99:100], v[99:100], v[67:68]
	v_add_f64 v[57:58], v[57:58], -v[65:66]
	v_fma_f64 v[99:100], v[101:102], v[97:98], v[99:100]
	v_add_f64 v[59:60], v[59:60], -v[99:100]
	;; [unrolled: 8-line block ×16, first 2 shown]
	ds_read2_b64 v[99:102], v125 offset0:108 offset1:109
	s_waitcnt lgkmcnt(0)
	v_mul_f64 v[65:66], v[101:102], v[67:68]
	v_fma_f64 v[65:66], v[99:100], v[97:98], -v[65:66]
	v_mul_f64 v[99:100], v[99:100], v[67:68]
	v_add_f64 v[121:122], v[121:122], -v[65:66]
	v_fma_f64 v[99:100], v[101:102], v[97:98], v[99:100]
	v_mov_b32_e32 v65, v97
	v_mov_b32_e32 v66, v98
	v_add_f64 v[123:124], v[123:124], -v[99:100]
.LBB109_343:
	s_or_b64 exec, exec, s[2:3]
	v_cmp_eq_u32_e32 vcc, 38, v0
	s_waitcnt vmcnt(0)
	s_barrier
	s_and_saveexec_b64 s[4:5], vcc
	s_cbranch_execz .LBB109_350
; %bb.344:
	ds_write2_b64 v127, v[61:62], v[63:64] offset1:1
	ds_write2_b64 v125, v[57:58], v[59:60] offset0:78 offset1:79
	ds_write2_b64 v125, v[53:54], v[55:56] offset0:80 offset1:81
	;; [unrolled: 1-line block ×16, first 2 shown]
	ds_read2_b64 v[97:100], v127 offset1:1
	s_waitcnt lgkmcnt(0)
	v_cmp_neq_f64_e32 vcc, 0, v[97:98]
	v_cmp_neq_f64_e64 s[2:3], 0, v[99:100]
	s_or_b64 s[2:3], vcc, s[2:3]
	s_and_b64 exec, exec, s[2:3]
	s_cbranch_execz .LBB109_350
; %bb.345:
	v_cmp_ngt_f64_e64 s[2:3], |v[97:98]|, |v[99:100]|
                                        ; implicit-def: $vgpr101_vgpr102
	s_and_saveexec_b64 s[6:7], s[2:3]
	s_xor_b64 s[2:3], exec, s[6:7]
                                        ; implicit-def: $vgpr103_vgpr104
	s_cbranch_execz .LBB109_347
; %bb.346:
	v_div_scale_f64 v[101:102], s[6:7], v[99:100], v[99:100], v[97:98]
	v_rcp_f64_e32 v[103:104], v[101:102]
	v_fma_f64 v[105:106], -v[101:102], v[103:104], 1.0
	v_fma_f64 v[103:104], v[103:104], v[105:106], v[103:104]
	v_div_scale_f64 v[105:106], vcc, v[97:98], v[99:100], v[97:98]
	v_fma_f64 v[107:108], -v[101:102], v[103:104], 1.0
	v_fma_f64 v[103:104], v[103:104], v[107:108], v[103:104]
	v_mul_f64 v[107:108], v[105:106], v[103:104]
	v_fma_f64 v[101:102], -v[101:102], v[107:108], v[105:106]
	v_div_fmas_f64 v[101:102], v[101:102], v[103:104], v[107:108]
	v_div_fixup_f64 v[101:102], v[101:102], v[99:100], v[97:98]
	v_fma_f64 v[97:98], v[97:98], v[101:102], v[99:100]
	v_div_scale_f64 v[99:100], s[6:7], v[97:98], v[97:98], 1.0
	v_div_scale_f64 v[107:108], vcc, 1.0, v[97:98], 1.0
	v_rcp_f64_e32 v[103:104], v[99:100]
	v_fma_f64 v[105:106], -v[99:100], v[103:104], 1.0
	v_fma_f64 v[103:104], v[103:104], v[105:106], v[103:104]
	v_fma_f64 v[105:106], -v[99:100], v[103:104], 1.0
	v_fma_f64 v[103:104], v[103:104], v[105:106], v[103:104]
	v_mul_f64 v[105:106], v[107:108], v[103:104]
	v_fma_f64 v[99:100], -v[99:100], v[105:106], v[107:108]
	v_div_fmas_f64 v[99:100], v[99:100], v[103:104], v[105:106]
	v_div_fixup_f64 v[103:104], v[99:100], v[97:98], 1.0
                                        ; implicit-def: $vgpr97_vgpr98
	v_mul_f64 v[101:102], v[101:102], v[103:104]
	v_xor_b32_e32 v104, 0x80000000, v104
.LBB109_347:
	s_andn2_saveexec_b64 s[2:3], s[2:3]
	s_cbranch_execz .LBB109_349
; %bb.348:
	v_div_scale_f64 v[101:102], s[6:7], v[97:98], v[97:98], v[99:100]
	v_rcp_f64_e32 v[103:104], v[101:102]
	v_fma_f64 v[105:106], -v[101:102], v[103:104], 1.0
	v_fma_f64 v[103:104], v[103:104], v[105:106], v[103:104]
	v_div_scale_f64 v[105:106], vcc, v[99:100], v[97:98], v[99:100]
	v_fma_f64 v[107:108], -v[101:102], v[103:104], 1.0
	v_fma_f64 v[103:104], v[103:104], v[107:108], v[103:104]
	v_mul_f64 v[107:108], v[105:106], v[103:104]
	v_fma_f64 v[101:102], -v[101:102], v[107:108], v[105:106]
	v_div_fmas_f64 v[101:102], v[101:102], v[103:104], v[107:108]
	v_div_fixup_f64 v[103:104], v[101:102], v[97:98], v[99:100]
	v_fma_f64 v[97:98], v[99:100], v[103:104], v[97:98]
	v_div_scale_f64 v[99:100], s[6:7], v[97:98], v[97:98], 1.0
	v_div_scale_f64 v[107:108], vcc, 1.0, v[97:98], 1.0
	v_rcp_f64_e32 v[101:102], v[99:100]
	v_fma_f64 v[105:106], -v[99:100], v[101:102], 1.0
	v_fma_f64 v[101:102], v[101:102], v[105:106], v[101:102]
	v_fma_f64 v[105:106], -v[99:100], v[101:102], 1.0
	v_fma_f64 v[101:102], v[101:102], v[105:106], v[101:102]
	v_mul_f64 v[105:106], v[107:108], v[101:102]
	v_fma_f64 v[99:100], -v[99:100], v[105:106], v[107:108]
	v_div_fmas_f64 v[99:100], v[99:100], v[101:102], v[105:106]
	v_div_fixup_f64 v[101:102], v[99:100], v[97:98], 1.0
	v_mul_f64 v[103:104], v[103:104], -v[101:102]
.LBB109_349:
	s_or_b64 exec, exec, s[2:3]
	ds_write2_b64 v127, v[101:102], v[103:104] offset1:1
.LBB109_350:
	s_or_b64 exec, exec, s[4:5]
	s_waitcnt lgkmcnt(0)
	s_barrier
	ds_read2_b64 v[97:100], v127 offset1:1
	v_cmp_lt_u32_e32 vcc, 38, v0
	s_waitcnt lgkmcnt(0)
	buffer_store_dword v97, off, s[20:23], 0 offset:1504 ; 4-byte Folded Spill
	s_nop 0
	buffer_store_dword v98, off, s[20:23], 0 offset:1508 ; 4-byte Folded Spill
	buffer_store_dword v99, off, s[20:23], 0 offset:1512 ; 4-byte Folded Spill
	;; [unrolled: 1-line block ×3, first 2 shown]
	s_and_saveexec_b64 s[2:3], vcc
	s_cbranch_execz .LBB109_352
; %bb.351:
	buffer_load_dword v99, off, s[20:23], 0 offset:1504 ; 4-byte Folded Reload
	buffer_load_dword v100, off, s[20:23], 0 offset:1508 ; 4-byte Folded Reload
	;; [unrolled: 1-line block ×4, first 2 shown]
	s_waitcnt vmcnt(2)
	v_mul_f64 v[97:98], v[99:100], v[63:64]
	s_waitcnt vmcnt(0)
	v_mul_f64 v[63:64], v[101:102], v[63:64]
	v_fma_f64 v[97:98], v[101:102], v[61:62], v[97:98]
	v_fma_f64 v[61:62], v[99:100], v[61:62], -v[63:64]
	ds_read2_b64 v[99:102], v125 offset0:78 offset1:79
	s_waitcnt lgkmcnt(0)
	v_mul_f64 v[63:64], v[101:102], v[97:98]
	v_fma_f64 v[63:64], v[99:100], v[61:62], -v[63:64]
	v_mul_f64 v[99:100], v[99:100], v[97:98]
	v_add_f64 v[57:58], v[57:58], -v[63:64]
	v_fma_f64 v[99:100], v[101:102], v[61:62], v[99:100]
	v_add_f64 v[59:60], v[59:60], -v[99:100]
	ds_read2_b64 v[99:102], v125 offset0:80 offset1:81
	s_waitcnt lgkmcnt(0)
	v_mul_f64 v[63:64], v[101:102], v[97:98]
	v_fma_f64 v[63:64], v[99:100], v[61:62], -v[63:64]
	v_mul_f64 v[99:100], v[99:100], v[97:98]
	v_add_f64 v[53:54], v[53:54], -v[63:64]
	v_fma_f64 v[99:100], v[101:102], v[61:62], v[99:100]
	v_add_f64 v[55:56], v[55:56], -v[99:100]
	ds_read2_b64 v[99:102], v125 offset0:82 offset1:83
	s_waitcnt lgkmcnt(0)
	v_mul_f64 v[63:64], v[101:102], v[97:98]
	v_fma_f64 v[63:64], v[99:100], v[61:62], -v[63:64]
	v_mul_f64 v[99:100], v[99:100], v[97:98]
	v_add_f64 v[49:50], v[49:50], -v[63:64]
	v_fma_f64 v[99:100], v[101:102], v[61:62], v[99:100]
	v_add_f64 v[51:52], v[51:52], -v[99:100]
	ds_read2_b64 v[99:102], v125 offset0:84 offset1:85
	s_waitcnt lgkmcnt(0)
	v_mul_f64 v[63:64], v[101:102], v[97:98]
	v_fma_f64 v[63:64], v[99:100], v[61:62], -v[63:64]
	v_mul_f64 v[99:100], v[99:100], v[97:98]
	v_add_f64 v[45:46], v[45:46], -v[63:64]
	v_fma_f64 v[99:100], v[101:102], v[61:62], v[99:100]
	v_add_f64 v[47:48], v[47:48], -v[99:100]
	ds_read2_b64 v[99:102], v125 offset0:86 offset1:87
	s_waitcnt lgkmcnt(0)
	v_mul_f64 v[63:64], v[101:102], v[97:98]
	v_fma_f64 v[63:64], v[99:100], v[61:62], -v[63:64]
	v_mul_f64 v[99:100], v[99:100], v[97:98]
	v_add_f64 v[41:42], v[41:42], -v[63:64]
	v_fma_f64 v[99:100], v[101:102], v[61:62], v[99:100]
	v_add_f64 v[43:44], v[43:44], -v[99:100]
	ds_read2_b64 v[99:102], v125 offset0:88 offset1:89
	s_waitcnt lgkmcnt(0)
	v_mul_f64 v[63:64], v[101:102], v[97:98]
	v_fma_f64 v[63:64], v[99:100], v[61:62], -v[63:64]
	v_mul_f64 v[99:100], v[99:100], v[97:98]
	v_add_f64 v[37:38], v[37:38], -v[63:64]
	v_fma_f64 v[99:100], v[101:102], v[61:62], v[99:100]
	v_add_f64 v[39:40], v[39:40], -v[99:100]
	ds_read2_b64 v[99:102], v125 offset0:90 offset1:91
	s_waitcnt lgkmcnt(0)
	v_mul_f64 v[63:64], v[101:102], v[97:98]
	v_fma_f64 v[63:64], v[99:100], v[61:62], -v[63:64]
	v_mul_f64 v[99:100], v[99:100], v[97:98]
	v_add_f64 v[33:34], v[33:34], -v[63:64]
	v_fma_f64 v[99:100], v[101:102], v[61:62], v[99:100]
	v_add_f64 v[35:36], v[35:36], -v[99:100]
	ds_read2_b64 v[99:102], v125 offset0:92 offset1:93
	s_waitcnt lgkmcnt(0)
	v_mul_f64 v[63:64], v[101:102], v[97:98]
	v_fma_f64 v[63:64], v[99:100], v[61:62], -v[63:64]
	v_mul_f64 v[99:100], v[99:100], v[97:98]
	v_add_f64 v[29:30], v[29:30], -v[63:64]
	v_fma_f64 v[99:100], v[101:102], v[61:62], v[99:100]
	v_add_f64 v[31:32], v[31:32], -v[99:100]
	ds_read2_b64 v[99:102], v125 offset0:94 offset1:95
	s_waitcnt lgkmcnt(0)
	v_mul_f64 v[63:64], v[101:102], v[97:98]
	v_fma_f64 v[63:64], v[99:100], v[61:62], -v[63:64]
	v_mul_f64 v[99:100], v[99:100], v[97:98]
	v_add_f64 v[25:26], v[25:26], -v[63:64]
	v_fma_f64 v[99:100], v[101:102], v[61:62], v[99:100]
	v_add_f64 v[27:28], v[27:28], -v[99:100]
	ds_read2_b64 v[99:102], v125 offset0:96 offset1:97
	s_waitcnt lgkmcnt(0)
	v_mul_f64 v[63:64], v[101:102], v[97:98]
	v_fma_f64 v[63:64], v[99:100], v[61:62], -v[63:64]
	v_mul_f64 v[99:100], v[99:100], v[97:98]
	v_add_f64 v[21:22], v[21:22], -v[63:64]
	v_fma_f64 v[99:100], v[101:102], v[61:62], v[99:100]
	v_add_f64 v[23:24], v[23:24], -v[99:100]
	ds_read2_b64 v[99:102], v125 offset0:98 offset1:99
	s_waitcnt lgkmcnt(0)
	v_mul_f64 v[63:64], v[101:102], v[97:98]
	v_fma_f64 v[63:64], v[99:100], v[61:62], -v[63:64]
	v_mul_f64 v[99:100], v[99:100], v[97:98]
	v_add_f64 v[17:18], v[17:18], -v[63:64]
	v_fma_f64 v[99:100], v[101:102], v[61:62], v[99:100]
	v_add_f64 v[19:20], v[19:20], -v[99:100]
	ds_read2_b64 v[99:102], v125 offset0:100 offset1:101
	s_waitcnt lgkmcnt(0)
	v_mul_f64 v[63:64], v[101:102], v[97:98]
	v_fma_f64 v[63:64], v[99:100], v[61:62], -v[63:64]
	v_mul_f64 v[99:100], v[99:100], v[97:98]
	v_add_f64 v[13:14], v[13:14], -v[63:64]
	v_fma_f64 v[99:100], v[101:102], v[61:62], v[99:100]
	v_add_f64 v[15:16], v[15:16], -v[99:100]
	ds_read2_b64 v[99:102], v125 offset0:102 offset1:103
	s_waitcnt lgkmcnt(0)
	v_mul_f64 v[63:64], v[101:102], v[97:98]
	v_fma_f64 v[63:64], v[99:100], v[61:62], -v[63:64]
	v_mul_f64 v[99:100], v[99:100], v[97:98]
	v_add_f64 v[9:10], v[9:10], -v[63:64]
	v_fma_f64 v[99:100], v[101:102], v[61:62], v[99:100]
	v_add_f64 v[11:12], v[11:12], -v[99:100]
	ds_read2_b64 v[99:102], v125 offset0:104 offset1:105
	s_waitcnt lgkmcnt(0)
	v_mul_f64 v[63:64], v[101:102], v[97:98]
	v_fma_f64 v[63:64], v[99:100], v[61:62], -v[63:64]
	v_mul_f64 v[99:100], v[99:100], v[97:98]
	v_add_f64 v[5:6], v[5:6], -v[63:64]
	v_fma_f64 v[99:100], v[101:102], v[61:62], v[99:100]
	v_add_f64 v[7:8], v[7:8], -v[99:100]
	ds_read2_b64 v[99:102], v125 offset0:106 offset1:107
	s_waitcnt lgkmcnt(0)
	v_mul_f64 v[63:64], v[101:102], v[97:98]
	v_fma_f64 v[63:64], v[99:100], v[61:62], -v[63:64]
	v_mul_f64 v[99:100], v[99:100], v[97:98]
	v_add_f64 v[1:2], v[1:2], -v[63:64]
	v_fma_f64 v[99:100], v[101:102], v[61:62], v[99:100]
	v_add_f64 v[3:4], v[3:4], -v[99:100]
	ds_read2_b64 v[99:102], v125 offset0:108 offset1:109
	s_waitcnt lgkmcnt(0)
	v_mul_f64 v[63:64], v[101:102], v[97:98]
	v_fma_f64 v[63:64], v[99:100], v[61:62], -v[63:64]
	v_mul_f64 v[99:100], v[99:100], v[97:98]
	v_add_f64 v[121:122], v[121:122], -v[63:64]
	v_fma_f64 v[99:100], v[101:102], v[61:62], v[99:100]
	v_mov_b32_e32 v63, v97
	v_mov_b32_e32 v64, v98
	v_add_f64 v[123:124], v[123:124], -v[99:100]
.LBB109_352:
	s_or_b64 exec, exec, s[2:3]
	v_cmp_eq_u32_e32 vcc, 39, v0
	s_waitcnt vmcnt(0)
	s_barrier
	s_and_saveexec_b64 s[4:5], vcc
	s_cbranch_execz .LBB109_359
; %bb.353:
	ds_write2_b64 v127, v[57:58], v[59:60] offset1:1
	ds_write2_b64 v125, v[53:54], v[55:56] offset0:80 offset1:81
	ds_write2_b64 v125, v[49:50], v[51:52] offset0:82 offset1:83
	ds_write2_b64 v125, v[45:46], v[47:48] offset0:84 offset1:85
	ds_write2_b64 v125, v[41:42], v[43:44] offset0:86 offset1:87
	ds_write2_b64 v125, v[37:38], v[39:40] offset0:88 offset1:89
	ds_write2_b64 v125, v[33:34], v[35:36] offset0:90 offset1:91
	ds_write2_b64 v125, v[29:30], v[31:32] offset0:92 offset1:93
	ds_write2_b64 v125, v[25:26], v[27:28] offset0:94 offset1:95
	ds_write2_b64 v125, v[21:22], v[23:24] offset0:96 offset1:97
	ds_write2_b64 v125, v[17:18], v[19:20] offset0:98 offset1:99
	ds_write2_b64 v125, v[13:14], v[15:16] offset0:100 offset1:101
	ds_write2_b64 v125, v[9:10], v[11:12] offset0:102 offset1:103
	ds_write2_b64 v125, v[5:6], v[7:8] offset0:104 offset1:105
	ds_write2_b64 v125, v[1:2], v[3:4] offset0:106 offset1:107
	ds_write2_b64 v125, v[121:122], v[123:124] offset0:108 offset1:109
	ds_read2_b64 v[97:100], v127 offset1:1
	s_waitcnt lgkmcnt(0)
	v_cmp_neq_f64_e32 vcc, 0, v[97:98]
	v_cmp_neq_f64_e64 s[2:3], 0, v[99:100]
	s_or_b64 s[2:3], vcc, s[2:3]
	s_and_b64 exec, exec, s[2:3]
	s_cbranch_execz .LBB109_359
; %bb.354:
	v_cmp_ngt_f64_e64 s[2:3], |v[97:98]|, |v[99:100]|
                                        ; implicit-def: $vgpr101_vgpr102
	s_and_saveexec_b64 s[6:7], s[2:3]
	s_xor_b64 s[2:3], exec, s[6:7]
                                        ; implicit-def: $vgpr103_vgpr104
	s_cbranch_execz .LBB109_356
; %bb.355:
	v_div_scale_f64 v[101:102], s[6:7], v[99:100], v[99:100], v[97:98]
	v_rcp_f64_e32 v[103:104], v[101:102]
	v_fma_f64 v[105:106], -v[101:102], v[103:104], 1.0
	v_fma_f64 v[103:104], v[103:104], v[105:106], v[103:104]
	v_div_scale_f64 v[105:106], vcc, v[97:98], v[99:100], v[97:98]
	v_fma_f64 v[107:108], -v[101:102], v[103:104], 1.0
	v_fma_f64 v[103:104], v[103:104], v[107:108], v[103:104]
	v_mul_f64 v[107:108], v[105:106], v[103:104]
	v_fma_f64 v[101:102], -v[101:102], v[107:108], v[105:106]
	v_div_fmas_f64 v[101:102], v[101:102], v[103:104], v[107:108]
	v_div_fixup_f64 v[101:102], v[101:102], v[99:100], v[97:98]
	v_fma_f64 v[97:98], v[97:98], v[101:102], v[99:100]
	v_div_scale_f64 v[99:100], s[6:7], v[97:98], v[97:98], 1.0
	v_div_scale_f64 v[107:108], vcc, 1.0, v[97:98], 1.0
	v_rcp_f64_e32 v[103:104], v[99:100]
	v_fma_f64 v[105:106], -v[99:100], v[103:104], 1.0
	v_fma_f64 v[103:104], v[103:104], v[105:106], v[103:104]
	v_fma_f64 v[105:106], -v[99:100], v[103:104], 1.0
	v_fma_f64 v[103:104], v[103:104], v[105:106], v[103:104]
	v_mul_f64 v[105:106], v[107:108], v[103:104]
	v_fma_f64 v[99:100], -v[99:100], v[105:106], v[107:108]
	v_div_fmas_f64 v[99:100], v[99:100], v[103:104], v[105:106]
	v_div_fixup_f64 v[103:104], v[99:100], v[97:98], 1.0
                                        ; implicit-def: $vgpr97_vgpr98
	v_mul_f64 v[101:102], v[101:102], v[103:104]
	v_xor_b32_e32 v104, 0x80000000, v104
.LBB109_356:
	s_andn2_saveexec_b64 s[2:3], s[2:3]
	s_cbranch_execz .LBB109_358
; %bb.357:
	v_div_scale_f64 v[101:102], s[6:7], v[97:98], v[97:98], v[99:100]
	v_rcp_f64_e32 v[103:104], v[101:102]
	v_fma_f64 v[105:106], -v[101:102], v[103:104], 1.0
	v_fma_f64 v[103:104], v[103:104], v[105:106], v[103:104]
	v_div_scale_f64 v[105:106], vcc, v[99:100], v[97:98], v[99:100]
	v_fma_f64 v[107:108], -v[101:102], v[103:104], 1.0
	v_fma_f64 v[103:104], v[103:104], v[107:108], v[103:104]
	v_mul_f64 v[107:108], v[105:106], v[103:104]
	v_fma_f64 v[101:102], -v[101:102], v[107:108], v[105:106]
	v_div_fmas_f64 v[101:102], v[101:102], v[103:104], v[107:108]
	v_div_fixup_f64 v[103:104], v[101:102], v[97:98], v[99:100]
	v_fma_f64 v[97:98], v[99:100], v[103:104], v[97:98]
	v_div_scale_f64 v[99:100], s[6:7], v[97:98], v[97:98], 1.0
	v_div_scale_f64 v[107:108], vcc, 1.0, v[97:98], 1.0
	v_rcp_f64_e32 v[101:102], v[99:100]
	v_fma_f64 v[105:106], -v[99:100], v[101:102], 1.0
	v_fma_f64 v[101:102], v[101:102], v[105:106], v[101:102]
	v_fma_f64 v[105:106], -v[99:100], v[101:102], 1.0
	v_fma_f64 v[101:102], v[101:102], v[105:106], v[101:102]
	v_mul_f64 v[105:106], v[107:108], v[101:102]
	v_fma_f64 v[99:100], -v[99:100], v[105:106], v[107:108]
	v_div_fmas_f64 v[99:100], v[99:100], v[101:102], v[105:106]
	v_div_fixup_f64 v[101:102], v[99:100], v[97:98], 1.0
	v_mul_f64 v[103:104], v[103:104], -v[101:102]
.LBB109_358:
	s_or_b64 exec, exec, s[2:3]
	ds_write2_b64 v127, v[101:102], v[103:104] offset1:1
.LBB109_359:
	s_or_b64 exec, exec, s[4:5]
	s_waitcnt lgkmcnt(0)
	s_barrier
	ds_read2_b64 v[97:100], v127 offset1:1
	v_cmp_lt_u32_e32 vcc, 39, v0
	s_waitcnt lgkmcnt(0)
	buffer_store_dword v97, off, s[20:23], 0 offset:1520 ; 4-byte Folded Spill
	s_nop 0
	buffer_store_dword v98, off, s[20:23], 0 offset:1524 ; 4-byte Folded Spill
	buffer_store_dword v99, off, s[20:23], 0 offset:1528 ; 4-byte Folded Spill
	;; [unrolled: 1-line block ×3, first 2 shown]
	s_and_saveexec_b64 s[2:3], vcc
	s_cbranch_execz .LBB109_361
; %bb.360:
	buffer_load_dword v99, off, s[20:23], 0 offset:1520 ; 4-byte Folded Reload
	buffer_load_dword v100, off, s[20:23], 0 offset:1524 ; 4-byte Folded Reload
	;; [unrolled: 1-line block ×4, first 2 shown]
	s_waitcnt vmcnt(2)
	v_mul_f64 v[97:98], v[99:100], v[59:60]
	s_waitcnt vmcnt(0)
	v_mul_f64 v[59:60], v[101:102], v[59:60]
	v_fma_f64 v[97:98], v[101:102], v[57:58], v[97:98]
	v_fma_f64 v[57:58], v[99:100], v[57:58], -v[59:60]
	ds_read2_b64 v[99:102], v125 offset0:80 offset1:81
	s_waitcnt lgkmcnt(0)
	v_mul_f64 v[59:60], v[101:102], v[97:98]
	v_fma_f64 v[59:60], v[99:100], v[57:58], -v[59:60]
	v_mul_f64 v[99:100], v[99:100], v[97:98]
	v_add_f64 v[53:54], v[53:54], -v[59:60]
	v_fma_f64 v[99:100], v[101:102], v[57:58], v[99:100]
	v_add_f64 v[55:56], v[55:56], -v[99:100]
	ds_read2_b64 v[99:102], v125 offset0:82 offset1:83
	s_waitcnt lgkmcnt(0)
	v_mul_f64 v[59:60], v[101:102], v[97:98]
	v_fma_f64 v[59:60], v[99:100], v[57:58], -v[59:60]
	v_mul_f64 v[99:100], v[99:100], v[97:98]
	v_add_f64 v[49:50], v[49:50], -v[59:60]
	v_fma_f64 v[99:100], v[101:102], v[57:58], v[99:100]
	v_add_f64 v[51:52], v[51:52], -v[99:100]
	;; [unrolled: 8-line block ×14, first 2 shown]
	ds_read2_b64 v[99:102], v125 offset0:108 offset1:109
	s_waitcnt lgkmcnt(0)
	v_mul_f64 v[59:60], v[101:102], v[97:98]
	v_fma_f64 v[59:60], v[99:100], v[57:58], -v[59:60]
	v_mul_f64 v[99:100], v[99:100], v[97:98]
	v_add_f64 v[121:122], v[121:122], -v[59:60]
	v_fma_f64 v[99:100], v[101:102], v[57:58], v[99:100]
	v_mov_b32_e32 v59, v97
	v_mov_b32_e32 v60, v98
	v_add_f64 v[123:124], v[123:124], -v[99:100]
.LBB109_361:
	s_or_b64 exec, exec, s[2:3]
	v_cmp_eq_u32_e32 vcc, 40, v0
	s_waitcnt vmcnt(0)
	s_barrier
	s_and_saveexec_b64 s[4:5], vcc
	s_cbranch_execz .LBB109_368
; %bb.362:
	ds_write2_b64 v127, v[53:54], v[55:56] offset1:1
	ds_write2_b64 v125, v[49:50], v[51:52] offset0:82 offset1:83
	ds_write2_b64 v125, v[45:46], v[47:48] offset0:84 offset1:85
	;; [unrolled: 1-line block ×14, first 2 shown]
	ds_read2_b64 v[97:100], v127 offset1:1
	s_waitcnt lgkmcnt(0)
	v_cmp_neq_f64_e32 vcc, 0, v[97:98]
	v_cmp_neq_f64_e64 s[2:3], 0, v[99:100]
	s_or_b64 s[2:3], vcc, s[2:3]
	s_and_b64 exec, exec, s[2:3]
	s_cbranch_execz .LBB109_368
; %bb.363:
	v_cmp_ngt_f64_e64 s[2:3], |v[97:98]|, |v[99:100]|
                                        ; implicit-def: $vgpr101_vgpr102
	s_and_saveexec_b64 s[6:7], s[2:3]
	s_xor_b64 s[2:3], exec, s[6:7]
                                        ; implicit-def: $vgpr103_vgpr104
	s_cbranch_execz .LBB109_365
; %bb.364:
	v_div_scale_f64 v[101:102], s[6:7], v[99:100], v[99:100], v[97:98]
	v_rcp_f64_e32 v[103:104], v[101:102]
	v_fma_f64 v[105:106], -v[101:102], v[103:104], 1.0
	v_fma_f64 v[103:104], v[103:104], v[105:106], v[103:104]
	v_div_scale_f64 v[105:106], vcc, v[97:98], v[99:100], v[97:98]
	v_fma_f64 v[107:108], -v[101:102], v[103:104], 1.0
	v_fma_f64 v[103:104], v[103:104], v[107:108], v[103:104]
	v_mul_f64 v[107:108], v[105:106], v[103:104]
	v_fma_f64 v[101:102], -v[101:102], v[107:108], v[105:106]
	v_div_fmas_f64 v[101:102], v[101:102], v[103:104], v[107:108]
	v_div_fixup_f64 v[101:102], v[101:102], v[99:100], v[97:98]
	v_fma_f64 v[97:98], v[97:98], v[101:102], v[99:100]
	v_div_scale_f64 v[99:100], s[6:7], v[97:98], v[97:98], 1.0
	v_div_scale_f64 v[107:108], vcc, 1.0, v[97:98], 1.0
	v_rcp_f64_e32 v[103:104], v[99:100]
	v_fma_f64 v[105:106], -v[99:100], v[103:104], 1.0
	v_fma_f64 v[103:104], v[103:104], v[105:106], v[103:104]
	v_fma_f64 v[105:106], -v[99:100], v[103:104], 1.0
	v_fma_f64 v[103:104], v[103:104], v[105:106], v[103:104]
	v_mul_f64 v[105:106], v[107:108], v[103:104]
	v_fma_f64 v[99:100], -v[99:100], v[105:106], v[107:108]
	v_div_fmas_f64 v[99:100], v[99:100], v[103:104], v[105:106]
	v_div_fixup_f64 v[103:104], v[99:100], v[97:98], 1.0
                                        ; implicit-def: $vgpr97_vgpr98
	v_mul_f64 v[101:102], v[101:102], v[103:104]
	v_xor_b32_e32 v104, 0x80000000, v104
.LBB109_365:
	s_andn2_saveexec_b64 s[2:3], s[2:3]
	s_cbranch_execz .LBB109_367
; %bb.366:
	v_div_scale_f64 v[101:102], s[6:7], v[97:98], v[97:98], v[99:100]
	v_rcp_f64_e32 v[103:104], v[101:102]
	v_fma_f64 v[105:106], -v[101:102], v[103:104], 1.0
	v_fma_f64 v[103:104], v[103:104], v[105:106], v[103:104]
	v_div_scale_f64 v[105:106], vcc, v[99:100], v[97:98], v[99:100]
	v_fma_f64 v[107:108], -v[101:102], v[103:104], 1.0
	v_fma_f64 v[103:104], v[103:104], v[107:108], v[103:104]
	v_mul_f64 v[107:108], v[105:106], v[103:104]
	v_fma_f64 v[101:102], -v[101:102], v[107:108], v[105:106]
	v_div_fmas_f64 v[101:102], v[101:102], v[103:104], v[107:108]
	v_div_fixup_f64 v[103:104], v[101:102], v[97:98], v[99:100]
	v_fma_f64 v[97:98], v[99:100], v[103:104], v[97:98]
	v_div_scale_f64 v[99:100], s[6:7], v[97:98], v[97:98], 1.0
	v_div_scale_f64 v[107:108], vcc, 1.0, v[97:98], 1.0
	v_rcp_f64_e32 v[101:102], v[99:100]
	v_fma_f64 v[105:106], -v[99:100], v[101:102], 1.0
	v_fma_f64 v[101:102], v[101:102], v[105:106], v[101:102]
	v_fma_f64 v[105:106], -v[99:100], v[101:102], 1.0
	v_fma_f64 v[101:102], v[101:102], v[105:106], v[101:102]
	v_mul_f64 v[105:106], v[107:108], v[101:102]
	v_fma_f64 v[99:100], -v[99:100], v[105:106], v[107:108]
	v_div_fmas_f64 v[99:100], v[99:100], v[101:102], v[105:106]
	v_div_fixup_f64 v[101:102], v[99:100], v[97:98], 1.0
	v_mul_f64 v[103:104], v[103:104], -v[101:102]
.LBB109_367:
	s_or_b64 exec, exec, s[2:3]
	ds_write2_b64 v127, v[101:102], v[103:104] offset1:1
.LBB109_368:
	s_or_b64 exec, exec, s[4:5]
	s_waitcnt lgkmcnt(0)
	s_barrier
	ds_read2_b64 v[97:100], v127 offset1:1
	v_cmp_lt_u32_e32 vcc, 40, v0
	s_waitcnt lgkmcnt(0)
	buffer_store_dword v97, off, s[20:23], 0 offset:1536 ; 4-byte Folded Spill
	s_nop 0
	buffer_store_dword v98, off, s[20:23], 0 offset:1540 ; 4-byte Folded Spill
	buffer_store_dword v99, off, s[20:23], 0 offset:1544 ; 4-byte Folded Spill
	;; [unrolled: 1-line block ×3, first 2 shown]
	s_and_saveexec_b64 s[2:3], vcc
	s_cbranch_execz .LBB109_370
; %bb.369:
	buffer_load_dword v99, off, s[20:23], 0 offset:1536 ; 4-byte Folded Reload
	buffer_load_dword v100, off, s[20:23], 0 offset:1540 ; 4-byte Folded Reload
	;; [unrolled: 1-line block ×4, first 2 shown]
	s_waitcnt vmcnt(2)
	v_mul_f64 v[97:98], v[99:100], v[55:56]
	s_waitcnt vmcnt(0)
	v_mul_f64 v[55:56], v[101:102], v[55:56]
	v_fma_f64 v[97:98], v[101:102], v[53:54], v[97:98]
	v_fma_f64 v[53:54], v[99:100], v[53:54], -v[55:56]
	ds_read2_b64 v[99:102], v125 offset0:82 offset1:83
	s_waitcnt lgkmcnt(0)
	v_mul_f64 v[55:56], v[101:102], v[97:98]
	v_fma_f64 v[55:56], v[99:100], v[53:54], -v[55:56]
	v_mul_f64 v[99:100], v[99:100], v[97:98]
	v_add_f64 v[49:50], v[49:50], -v[55:56]
	v_fma_f64 v[99:100], v[101:102], v[53:54], v[99:100]
	v_add_f64 v[51:52], v[51:52], -v[99:100]
	ds_read2_b64 v[99:102], v125 offset0:84 offset1:85
	s_waitcnt lgkmcnt(0)
	v_mul_f64 v[55:56], v[101:102], v[97:98]
	v_fma_f64 v[55:56], v[99:100], v[53:54], -v[55:56]
	v_mul_f64 v[99:100], v[99:100], v[97:98]
	v_add_f64 v[45:46], v[45:46], -v[55:56]
	v_fma_f64 v[99:100], v[101:102], v[53:54], v[99:100]
	v_add_f64 v[47:48], v[47:48], -v[99:100]
	;; [unrolled: 8-line block ×13, first 2 shown]
	ds_read2_b64 v[99:102], v125 offset0:108 offset1:109
	s_waitcnt lgkmcnt(0)
	v_mul_f64 v[55:56], v[101:102], v[97:98]
	v_fma_f64 v[55:56], v[99:100], v[53:54], -v[55:56]
	v_mul_f64 v[99:100], v[99:100], v[97:98]
	v_add_f64 v[121:122], v[121:122], -v[55:56]
	v_fma_f64 v[99:100], v[101:102], v[53:54], v[99:100]
	v_mov_b32_e32 v55, v97
	v_mov_b32_e32 v56, v98
	v_add_f64 v[123:124], v[123:124], -v[99:100]
.LBB109_370:
	s_or_b64 exec, exec, s[2:3]
	v_cmp_eq_u32_e32 vcc, 41, v0
	s_waitcnt vmcnt(0)
	s_barrier
	s_and_saveexec_b64 s[4:5], vcc
	s_cbranch_execz .LBB109_377
; %bb.371:
	ds_write2_b64 v127, v[49:50], v[51:52] offset1:1
	ds_write2_b64 v125, v[45:46], v[47:48] offset0:84 offset1:85
	ds_write2_b64 v125, v[41:42], v[43:44] offset0:86 offset1:87
	;; [unrolled: 1-line block ×13, first 2 shown]
	ds_read2_b64 v[97:100], v127 offset1:1
	s_waitcnt lgkmcnt(0)
	v_cmp_neq_f64_e32 vcc, 0, v[97:98]
	v_cmp_neq_f64_e64 s[2:3], 0, v[99:100]
	s_or_b64 s[2:3], vcc, s[2:3]
	s_and_b64 exec, exec, s[2:3]
	s_cbranch_execz .LBB109_377
; %bb.372:
	v_cmp_ngt_f64_e64 s[2:3], |v[97:98]|, |v[99:100]|
                                        ; implicit-def: $vgpr101_vgpr102
	s_and_saveexec_b64 s[6:7], s[2:3]
	s_xor_b64 s[2:3], exec, s[6:7]
                                        ; implicit-def: $vgpr103_vgpr104
	s_cbranch_execz .LBB109_374
; %bb.373:
	v_div_scale_f64 v[101:102], s[6:7], v[99:100], v[99:100], v[97:98]
	v_rcp_f64_e32 v[103:104], v[101:102]
	v_fma_f64 v[105:106], -v[101:102], v[103:104], 1.0
	v_fma_f64 v[103:104], v[103:104], v[105:106], v[103:104]
	v_div_scale_f64 v[105:106], vcc, v[97:98], v[99:100], v[97:98]
	v_fma_f64 v[107:108], -v[101:102], v[103:104], 1.0
	v_fma_f64 v[103:104], v[103:104], v[107:108], v[103:104]
	v_mul_f64 v[107:108], v[105:106], v[103:104]
	v_fma_f64 v[101:102], -v[101:102], v[107:108], v[105:106]
	v_div_fmas_f64 v[101:102], v[101:102], v[103:104], v[107:108]
	v_div_fixup_f64 v[101:102], v[101:102], v[99:100], v[97:98]
	v_fma_f64 v[97:98], v[97:98], v[101:102], v[99:100]
	v_div_scale_f64 v[99:100], s[6:7], v[97:98], v[97:98], 1.0
	v_div_scale_f64 v[107:108], vcc, 1.0, v[97:98], 1.0
	v_rcp_f64_e32 v[103:104], v[99:100]
	v_fma_f64 v[105:106], -v[99:100], v[103:104], 1.0
	v_fma_f64 v[103:104], v[103:104], v[105:106], v[103:104]
	v_fma_f64 v[105:106], -v[99:100], v[103:104], 1.0
	v_fma_f64 v[103:104], v[103:104], v[105:106], v[103:104]
	v_mul_f64 v[105:106], v[107:108], v[103:104]
	v_fma_f64 v[99:100], -v[99:100], v[105:106], v[107:108]
	v_div_fmas_f64 v[99:100], v[99:100], v[103:104], v[105:106]
	v_div_fixup_f64 v[103:104], v[99:100], v[97:98], 1.0
                                        ; implicit-def: $vgpr97_vgpr98
	v_mul_f64 v[101:102], v[101:102], v[103:104]
	v_xor_b32_e32 v104, 0x80000000, v104
.LBB109_374:
	s_andn2_saveexec_b64 s[2:3], s[2:3]
	s_cbranch_execz .LBB109_376
; %bb.375:
	v_div_scale_f64 v[101:102], s[6:7], v[97:98], v[97:98], v[99:100]
	v_rcp_f64_e32 v[103:104], v[101:102]
	v_fma_f64 v[105:106], -v[101:102], v[103:104], 1.0
	v_fma_f64 v[103:104], v[103:104], v[105:106], v[103:104]
	v_div_scale_f64 v[105:106], vcc, v[99:100], v[97:98], v[99:100]
	v_fma_f64 v[107:108], -v[101:102], v[103:104], 1.0
	v_fma_f64 v[103:104], v[103:104], v[107:108], v[103:104]
	v_mul_f64 v[107:108], v[105:106], v[103:104]
	v_fma_f64 v[101:102], -v[101:102], v[107:108], v[105:106]
	v_div_fmas_f64 v[101:102], v[101:102], v[103:104], v[107:108]
	v_div_fixup_f64 v[103:104], v[101:102], v[97:98], v[99:100]
	v_fma_f64 v[97:98], v[99:100], v[103:104], v[97:98]
	v_div_scale_f64 v[99:100], s[6:7], v[97:98], v[97:98], 1.0
	v_div_scale_f64 v[107:108], vcc, 1.0, v[97:98], 1.0
	v_rcp_f64_e32 v[101:102], v[99:100]
	v_fma_f64 v[105:106], -v[99:100], v[101:102], 1.0
	v_fma_f64 v[101:102], v[101:102], v[105:106], v[101:102]
	v_fma_f64 v[105:106], -v[99:100], v[101:102], 1.0
	v_fma_f64 v[101:102], v[101:102], v[105:106], v[101:102]
	v_mul_f64 v[105:106], v[107:108], v[101:102]
	v_fma_f64 v[99:100], -v[99:100], v[105:106], v[107:108]
	v_div_fmas_f64 v[99:100], v[99:100], v[101:102], v[105:106]
	v_div_fixup_f64 v[101:102], v[99:100], v[97:98], 1.0
	v_mul_f64 v[103:104], v[103:104], -v[101:102]
.LBB109_376:
	s_or_b64 exec, exec, s[2:3]
	ds_write2_b64 v127, v[101:102], v[103:104] offset1:1
.LBB109_377:
	s_or_b64 exec, exec, s[4:5]
	s_waitcnt lgkmcnt(0)
	s_barrier
	ds_read2_b64 v[97:100], v127 offset1:1
	v_cmp_lt_u32_e32 vcc, 41, v0
	s_waitcnt lgkmcnt(0)
	buffer_store_dword v97, off, s[20:23], 0 offset:1552 ; 4-byte Folded Spill
	s_nop 0
	buffer_store_dword v98, off, s[20:23], 0 offset:1556 ; 4-byte Folded Spill
	buffer_store_dword v99, off, s[20:23], 0 offset:1560 ; 4-byte Folded Spill
	;; [unrolled: 1-line block ×3, first 2 shown]
	s_and_saveexec_b64 s[2:3], vcc
	s_cbranch_execz .LBB109_379
; %bb.378:
	buffer_load_dword v99, off, s[20:23], 0 offset:1552 ; 4-byte Folded Reload
	buffer_load_dword v100, off, s[20:23], 0 offset:1556 ; 4-byte Folded Reload
	;; [unrolled: 1-line block ×4, first 2 shown]
	s_waitcnt vmcnt(2)
	v_mul_f64 v[97:98], v[99:100], v[51:52]
	s_waitcnt vmcnt(0)
	v_mul_f64 v[51:52], v[101:102], v[51:52]
	v_fma_f64 v[97:98], v[101:102], v[49:50], v[97:98]
	v_fma_f64 v[49:50], v[99:100], v[49:50], -v[51:52]
	ds_read2_b64 v[99:102], v125 offset0:84 offset1:85
	s_waitcnt lgkmcnt(0)
	v_mul_f64 v[51:52], v[101:102], v[97:98]
	v_fma_f64 v[51:52], v[99:100], v[49:50], -v[51:52]
	v_mul_f64 v[99:100], v[99:100], v[97:98]
	v_add_f64 v[45:46], v[45:46], -v[51:52]
	v_fma_f64 v[99:100], v[101:102], v[49:50], v[99:100]
	v_add_f64 v[47:48], v[47:48], -v[99:100]
	ds_read2_b64 v[99:102], v125 offset0:86 offset1:87
	s_waitcnt lgkmcnt(0)
	v_mul_f64 v[51:52], v[101:102], v[97:98]
	v_fma_f64 v[51:52], v[99:100], v[49:50], -v[51:52]
	v_mul_f64 v[99:100], v[99:100], v[97:98]
	v_add_f64 v[41:42], v[41:42], -v[51:52]
	v_fma_f64 v[99:100], v[101:102], v[49:50], v[99:100]
	v_add_f64 v[43:44], v[43:44], -v[99:100]
	;; [unrolled: 8-line block ×12, first 2 shown]
	ds_read2_b64 v[99:102], v125 offset0:108 offset1:109
	s_waitcnt lgkmcnt(0)
	v_mul_f64 v[51:52], v[101:102], v[97:98]
	v_fma_f64 v[51:52], v[99:100], v[49:50], -v[51:52]
	v_mul_f64 v[99:100], v[99:100], v[97:98]
	v_add_f64 v[121:122], v[121:122], -v[51:52]
	v_fma_f64 v[99:100], v[101:102], v[49:50], v[99:100]
	v_mov_b32_e32 v51, v97
	v_mov_b32_e32 v52, v98
	v_add_f64 v[123:124], v[123:124], -v[99:100]
.LBB109_379:
	s_or_b64 exec, exec, s[2:3]
	v_cmp_eq_u32_e32 vcc, 42, v0
	s_waitcnt vmcnt(0)
	s_barrier
	s_and_saveexec_b64 s[4:5], vcc
	s_cbranch_execz .LBB109_386
; %bb.380:
	ds_write2_b64 v127, v[45:46], v[47:48] offset1:1
	ds_write2_b64 v125, v[41:42], v[43:44] offset0:86 offset1:87
	ds_write2_b64 v125, v[37:38], v[39:40] offset0:88 offset1:89
	;; [unrolled: 1-line block ×12, first 2 shown]
	ds_read2_b64 v[97:100], v127 offset1:1
	s_waitcnt lgkmcnt(0)
	v_cmp_neq_f64_e32 vcc, 0, v[97:98]
	v_cmp_neq_f64_e64 s[2:3], 0, v[99:100]
	s_or_b64 s[2:3], vcc, s[2:3]
	s_and_b64 exec, exec, s[2:3]
	s_cbranch_execz .LBB109_386
; %bb.381:
	v_cmp_ngt_f64_e64 s[2:3], |v[97:98]|, |v[99:100]|
                                        ; implicit-def: $vgpr101_vgpr102
	s_and_saveexec_b64 s[6:7], s[2:3]
	s_xor_b64 s[2:3], exec, s[6:7]
                                        ; implicit-def: $vgpr103_vgpr104
	s_cbranch_execz .LBB109_383
; %bb.382:
	v_div_scale_f64 v[101:102], s[6:7], v[99:100], v[99:100], v[97:98]
	v_rcp_f64_e32 v[103:104], v[101:102]
	v_fma_f64 v[105:106], -v[101:102], v[103:104], 1.0
	v_fma_f64 v[103:104], v[103:104], v[105:106], v[103:104]
	v_div_scale_f64 v[105:106], vcc, v[97:98], v[99:100], v[97:98]
	v_fma_f64 v[107:108], -v[101:102], v[103:104], 1.0
	v_fma_f64 v[103:104], v[103:104], v[107:108], v[103:104]
	v_mul_f64 v[107:108], v[105:106], v[103:104]
	v_fma_f64 v[101:102], -v[101:102], v[107:108], v[105:106]
	v_div_fmas_f64 v[101:102], v[101:102], v[103:104], v[107:108]
	v_div_fixup_f64 v[101:102], v[101:102], v[99:100], v[97:98]
	v_fma_f64 v[97:98], v[97:98], v[101:102], v[99:100]
	v_div_scale_f64 v[99:100], s[6:7], v[97:98], v[97:98], 1.0
	v_div_scale_f64 v[107:108], vcc, 1.0, v[97:98], 1.0
	v_rcp_f64_e32 v[103:104], v[99:100]
	v_fma_f64 v[105:106], -v[99:100], v[103:104], 1.0
	v_fma_f64 v[103:104], v[103:104], v[105:106], v[103:104]
	v_fma_f64 v[105:106], -v[99:100], v[103:104], 1.0
	v_fma_f64 v[103:104], v[103:104], v[105:106], v[103:104]
	v_mul_f64 v[105:106], v[107:108], v[103:104]
	v_fma_f64 v[99:100], -v[99:100], v[105:106], v[107:108]
	v_div_fmas_f64 v[99:100], v[99:100], v[103:104], v[105:106]
	v_div_fixup_f64 v[103:104], v[99:100], v[97:98], 1.0
                                        ; implicit-def: $vgpr97_vgpr98
	v_mul_f64 v[101:102], v[101:102], v[103:104]
	v_xor_b32_e32 v104, 0x80000000, v104
.LBB109_383:
	s_andn2_saveexec_b64 s[2:3], s[2:3]
	s_cbranch_execz .LBB109_385
; %bb.384:
	v_div_scale_f64 v[101:102], s[6:7], v[97:98], v[97:98], v[99:100]
	v_rcp_f64_e32 v[103:104], v[101:102]
	v_fma_f64 v[105:106], -v[101:102], v[103:104], 1.0
	v_fma_f64 v[103:104], v[103:104], v[105:106], v[103:104]
	v_div_scale_f64 v[105:106], vcc, v[99:100], v[97:98], v[99:100]
	v_fma_f64 v[107:108], -v[101:102], v[103:104], 1.0
	v_fma_f64 v[103:104], v[103:104], v[107:108], v[103:104]
	v_mul_f64 v[107:108], v[105:106], v[103:104]
	v_fma_f64 v[101:102], -v[101:102], v[107:108], v[105:106]
	v_div_fmas_f64 v[101:102], v[101:102], v[103:104], v[107:108]
	v_div_fixup_f64 v[103:104], v[101:102], v[97:98], v[99:100]
	v_fma_f64 v[97:98], v[99:100], v[103:104], v[97:98]
	v_div_scale_f64 v[99:100], s[6:7], v[97:98], v[97:98], 1.0
	v_div_scale_f64 v[107:108], vcc, 1.0, v[97:98], 1.0
	v_rcp_f64_e32 v[101:102], v[99:100]
	v_fma_f64 v[105:106], -v[99:100], v[101:102], 1.0
	v_fma_f64 v[101:102], v[101:102], v[105:106], v[101:102]
	v_fma_f64 v[105:106], -v[99:100], v[101:102], 1.0
	v_fma_f64 v[101:102], v[101:102], v[105:106], v[101:102]
	v_mul_f64 v[105:106], v[107:108], v[101:102]
	v_fma_f64 v[99:100], -v[99:100], v[105:106], v[107:108]
	v_div_fmas_f64 v[99:100], v[99:100], v[101:102], v[105:106]
	v_div_fixup_f64 v[101:102], v[99:100], v[97:98], 1.0
	v_mul_f64 v[103:104], v[103:104], -v[101:102]
.LBB109_385:
	s_or_b64 exec, exec, s[2:3]
	ds_write2_b64 v127, v[101:102], v[103:104] offset1:1
.LBB109_386:
	s_or_b64 exec, exec, s[4:5]
	s_waitcnt lgkmcnt(0)
	s_barrier
	ds_read2_b64 v[97:100], v127 offset1:1
	v_cmp_lt_u32_e32 vcc, 42, v0
	s_waitcnt lgkmcnt(0)
	buffer_store_dword v97, off, s[20:23], 0 offset:1568 ; 4-byte Folded Spill
	s_nop 0
	buffer_store_dword v98, off, s[20:23], 0 offset:1572 ; 4-byte Folded Spill
	buffer_store_dword v99, off, s[20:23], 0 offset:1576 ; 4-byte Folded Spill
	;; [unrolled: 1-line block ×3, first 2 shown]
	s_and_saveexec_b64 s[2:3], vcc
	s_cbranch_execz .LBB109_388
; %bb.387:
	buffer_load_dword v99, off, s[20:23], 0 offset:1568 ; 4-byte Folded Reload
	buffer_load_dword v100, off, s[20:23], 0 offset:1572 ; 4-byte Folded Reload
	;; [unrolled: 1-line block ×4, first 2 shown]
	s_waitcnt vmcnt(2)
	v_mul_f64 v[97:98], v[99:100], v[47:48]
	s_waitcnt vmcnt(0)
	v_mul_f64 v[47:48], v[101:102], v[47:48]
	v_fma_f64 v[97:98], v[101:102], v[45:46], v[97:98]
	v_fma_f64 v[45:46], v[99:100], v[45:46], -v[47:48]
	ds_read2_b64 v[99:102], v125 offset0:86 offset1:87
	s_waitcnt lgkmcnt(0)
	v_mul_f64 v[47:48], v[101:102], v[97:98]
	v_fma_f64 v[47:48], v[99:100], v[45:46], -v[47:48]
	v_mul_f64 v[99:100], v[99:100], v[97:98]
	v_add_f64 v[41:42], v[41:42], -v[47:48]
	v_fma_f64 v[99:100], v[101:102], v[45:46], v[99:100]
	v_add_f64 v[43:44], v[43:44], -v[99:100]
	ds_read2_b64 v[99:102], v125 offset0:88 offset1:89
	s_waitcnt lgkmcnt(0)
	v_mul_f64 v[47:48], v[101:102], v[97:98]
	v_fma_f64 v[47:48], v[99:100], v[45:46], -v[47:48]
	v_mul_f64 v[99:100], v[99:100], v[97:98]
	v_add_f64 v[37:38], v[37:38], -v[47:48]
	v_fma_f64 v[99:100], v[101:102], v[45:46], v[99:100]
	v_add_f64 v[39:40], v[39:40], -v[99:100]
	;; [unrolled: 8-line block ×11, first 2 shown]
	ds_read2_b64 v[99:102], v125 offset0:108 offset1:109
	s_waitcnt lgkmcnt(0)
	v_mul_f64 v[47:48], v[101:102], v[97:98]
	v_fma_f64 v[47:48], v[99:100], v[45:46], -v[47:48]
	v_mul_f64 v[99:100], v[99:100], v[97:98]
	v_add_f64 v[121:122], v[121:122], -v[47:48]
	v_fma_f64 v[99:100], v[101:102], v[45:46], v[99:100]
	v_mov_b32_e32 v47, v97
	v_mov_b32_e32 v48, v98
	v_add_f64 v[123:124], v[123:124], -v[99:100]
.LBB109_388:
	s_or_b64 exec, exec, s[2:3]
	v_cmp_eq_u32_e32 vcc, 43, v0
	s_waitcnt vmcnt(0)
	s_barrier
	s_and_saveexec_b64 s[4:5], vcc
	s_cbranch_execz .LBB109_395
; %bb.389:
	ds_write2_b64 v127, v[41:42], v[43:44] offset1:1
	ds_write2_b64 v125, v[37:38], v[39:40] offset0:88 offset1:89
	ds_write2_b64 v125, v[33:34], v[35:36] offset0:90 offset1:91
	;; [unrolled: 1-line block ×11, first 2 shown]
	ds_read2_b64 v[97:100], v127 offset1:1
	s_waitcnt lgkmcnt(0)
	v_cmp_neq_f64_e32 vcc, 0, v[97:98]
	v_cmp_neq_f64_e64 s[2:3], 0, v[99:100]
	s_or_b64 s[2:3], vcc, s[2:3]
	s_and_b64 exec, exec, s[2:3]
	s_cbranch_execz .LBB109_395
; %bb.390:
	v_cmp_ngt_f64_e64 s[2:3], |v[97:98]|, |v[99:100]|
                                        ; implicit-def: $vgpr101_vgpr102
	s_and_saveexec_b64 s[6:7], s[2:3]
	s_xor_b64 s[2:3], exec, s[6:7]
                                        ; implicit-def: $vgpr103_vgpr104
	s_cbranch_execz .LBB109_392
; %bb.391:
	v_div_scale_f64 v[101:102], s[6:7], v[99:100], v[99:100], v[97:98]
	v_rcp_f64_e32 v[103:104], v[101:102]
	v_fma_f64 v[105:106], -v[101:102], v[103:104], 1.0
	v_fma_f64 v[103:104], v[103:104], v[105:106], v[103:104]
	v_div_scale_f64 v[105:106], vcc, v[97:98], v[99:100], v[97:98]
	v_fma_f64 v[107:108], -v[101:102], v[103:104], 1.0
	v_fma_f64 v[103:104], v[103:104], v[107:108], v[103:104]
	v_mul_f64 v[107:108], v[105:106], v[103:104]
	v_fma_f64 v[101:102], -v[101:102], v[107:108], v[105:106]
	v_div_fmas_f64 v[101:102], v[101:102], v[103:104], v[107:108]
	v_div_fixup_f64 v[101:102], v[101:102], v[99:100], v[97:98]
	v_fma_f64 v[97:98], v[97:98], v[101:102], v[99:100]
	v_div_scale_f64 v[99:100], s[6:7], v[97:98], v[97:98], 1.0
	v_div_scale_f64 v[107:108], vcc, 1.0, v[97:98], 1.0
	v_rcp_f64_e32 v[103:104], v[99:100]
	v_fma_f64 v[105:106], -v[99:100], v[103:104], 1.0
	v_fma_f64 v[103:104], v[103:104], v[105:106], v[103:104]
	v_fma_f64 v[105:106], -v[99:100], v[103:104], 1.0
	v_fma_f64 v[103:104], v[103:104], v[105:106], v[103:104]
	v_mul_f64 v[105:106], v[107:108], v[103:104]
	v_fma_f64 v[99:100], -v[99:100], v[105:106], v[107:108]
	v_div_fmas_f64 v[99:100], v[99:100], v[103:104], v[105:106]
	v_div_fixup_f64 v[103:104], v[99:100], v[97:98], 1.0
                                        ; implicit-def: $vgpr97_vgpr98
	v_mul_f64 v[101:102], v[101:102], v[103:104]
	v_xor_b32_e32 v104, 0x80000000, v104
.LBB109_392:
	s_andn2_saveexec_b64 s[2:3], s[2:3]
	s_cbranch_execz .LBB109_394
; %bb.393:
	v_div_scale_f64 v[101:102], s[6:7], v[97:98], v[97:98], v[99:100]
	v_rcp_f64_e32 v[103:104], v[101:102]
	v_fma_f64 v[105:106], -v[101:102], v[103:104], 1.0
	v_fma_f64 v[103:104], v[103:104], v[105:106], v[103:104]
	v_div_scale_f64 v[105:106], vcc, v[99:100], v[97:98], v[99:100]
	v_fma_f64 v[107:108], -v[101:102], v[103:104], 1.0
	v_fma_f64 v[103:104], v[103:104], v[107:108], v[103:104]
	v_mul_f64 v[107:108], v[105:106], v[103:104]
	v_fma_f64 v[101:102], -v[101:102], v[107:108], v[105:106]
	v_div_fmas_f64 v[101:102], v[101:102], v[103:104], v[107:108]
	v_div_fixup_f64 v[103:104], v[101:102], v[97:98], v[99:100]
	v_fma_f64 v[97:98], v[99:100], v[103:104], v[97:98]
	v_div_scale_f64 v[99:100], s[6:7], v[97:98], v[97:98], 1.0
	v_div_scale_f64 v[107:108], vcc, 1.0, v[97:98], 1.0
	v_rcp_f64_e32 v[101:102], v[99:100]
	v_fma_f64 v[105:106], -v[99:100], v[101:102], 1.0
	v_fma_f64 v[101:102], v[101:102], v[105:106], v[101:102]
	v_fma_f64 v[105:106], -v[99:100], v[101:102], 1.0
	v_fma_f64 v[101:102], v[101:102], v[105:106], v[101:102]
	v_mul_f64 v[105:106], v[107:108], v[101:102]
	v_fma_f64 v[99:100], -v[99:100], v[105:106], v[107:108]
	v_div_fmas_f64 v[99:100], v[99:100], v[101:102], v[105:106]
	v_div_fixup_f64 v[101:102], v[99:100], v[97:98], 1.0
	v_mul_f64 v[103:104], v[103:104], -v[101:102]
.LBB109_394:
	s_or_b64 exec, exec, s[2:3]
	ds_write2_b64 v127, v[101:102], v[103:104] offset1:1
.LBB109_395:
	s_or_b64 exec, exec, s[4:5]
	s_waitcnt lgkmcnt(0)
	s_barrier
	ds_read2_b64 v[97:100], v127 offset1:1
	v_cmp_lt_u32_e32 vcc, 43, v0
	s_waitcnt lgkmcnt(0)
	buffer_store_dword v97, off, s[20:23], 0 offset:1584 ; 4-byte Folded Spill
	s_nop 0
	buffer_store_dword v98, off, s[20:23], 0 offset:1588 ; 4-byte Folded Spill
	buffer_store_dword v99, off, s[20:23], 0 offset:1592 ; 4-byte Folded Spill
	;; [unrolled: 1-line block ×3, first 2 shown]
	s_and_saveexec_b64 s[2:3], vcc
	s_cbranch_execz .LBB109_397
; %bb.396:
	buffer_load_dword v99, off, s[20:23], 0 offset:1584 ; 4-byte Folded Reload
	buffer_load_dword v100, off, s[20:23], 0 offset:1588 ; 4-byte Folded Reload
	;; [unrolled: 1-line block ×4, first 2 shown]
	s_waitcnt vmcnt(2)
	v_mul_f64 v[97:98], v[99:100], v[43:44]
	s_waitcnt vmcnt(0)
	v_mul_f64 v[43:44], v[101:102], v[43:44]
	v_fma_f64 v[97:98], v[101:102], v[41:42], v[97:98]
	v_fma_f64 v[41:42], v[99:100], v[41:42], -v[43:44]
	ds_read2_b64 v[99:102], v125 offset0:88 offset1:89
	s_waitcnt lgkmcnt(0)
	v_mul_f64 v[43:44], v[101:102], v[97:98]
	v_fma_f64 v[43:44], v[99:100], v[41:42], -v[43:44]
	v_mul_f64 v[99:100], v[99:100], v[97:98]
	v_add_f64 v[37:38], v[37:38], -v[43:44]
	v_fma_f64 v[99:100], v[101:102], v[41:42], v[99:100]
	v_add_f64 v[39:40], v[39:40], -v[99:100]
	ds_read2_b64 v[99:102], v125 offset0:90 offset1:91
	s_waitcnt lgkmcnt(0)
	v_mul_f64 v[43:44], v[101:102], v[97:98]
	v_fma_f64 v[43:44], v[99:100], v[41:42], -v[43:44]
	v_mul_f64 v[99:100], v[99:100], v[97:98]
	v_add_f64 v[33:34], v[33:34], -v[43:44]
	v_fma_f64 v[99:100], v[101:102], v[41:42], v[99:100]
	v_add_f64 v[35:36], v[35:36], -v[99:100]
	ds_read2_b64 v[99:102], v125 offset0:92 offset1:93
	s_waitcnt lgkmcnt(0)
	v_mul_f64 v[43:44], v[101:102], v[97:98]
	v_fma_f64 v[43:44], v[99:100], v[41:42], -v[43:44]
	v_mul_f64 v[99:100], v[99:100], v[97:98]
	v_add_f64 v[29:30], v[29:30], -v[43:44]
	v_fma_f64 v[99:100], v[101:102], v[41:42], v[99:100]
	v_add_f64 v[31:32], v[31:32], -v[99:100]
	ds_read2_b64 v[99:102], v125 offset0:94 offset1:95
	s_waitcnt lgkmcnt(0)
	v_mul_f64 v[43:44], v[101:102], v[97:98]
	v_fma_f64 v[43:44], v[99:100], v[41:42], -v[43:44]
	v_mul_f64 v[99:100], v[99:100], v[97:98]
	v_add_f64 v[25:26], v[25:26], -v[43:44]
	v_fma_f64 v[99:100], v[101:102], v[41:42], v[99:100]
	v_add_f64 v[27:28], v[27:28], -v[99:100]
	ds_read2_b64 v[99:102], v125 offset0:96 offset1:97
	s_waitcnt lgkmcnt(0)
	v_mul_f64 v[43:44], v[101:102], v[97:98]
	v_fma_f64 v[43:44], v[99:100], v[41:42], -v[43:44]
	v_mul_f64 v[99:100], v[99:100], v[97:98]
	v_add_f64 v[21:22], v[21:22], -v[43:44]
	v_fma_f64 v[99:100], v[101:102], v[41:42], v[99:100]
	v_add_f64 v[23:24], v[23:24], -v[99:100]
	ds_read2_b64 v[99:102], v125 offset0:98 offset1:99
	s_waitcnt lgkmcnt(0)
	v_mul_f64 v[43:44], v[101:102], v[97:98]
	v_fma_f64 v[43:44], v[99:100], v[41:42], -v[43:44]
	v_mul_f64 v[99:100], v[99:100], v[97:98]
	v_add_f64 v[17:18], v[17:18], -v[43:44]
	v_fma_f64 v[99:100], v[101:102], v[41:42], v[99:100]
	v_add_f64 v[19:20], v[19:20], -v[99:100]
	ds_read2_b64 v[99:102], v125 offset0:100 offset1:101
	s_waitcnt lgkmcnt(0)
	v_mul_f64 v[43:44], v[101:102], v[97:98]
	v_fma_f64 v[43:44], v[99:100], v[41:42], -v[43:44]
	v_mul_f64 v[99:100], v[99:100], v[97:98]
	v_add_f64 v[13:14], v[13:14], -v[43:44]
	v_fma_f64 v[99:100], v[101:102], v[41:42], v[99:100]
	v_add_f64 v[15:16], v[15:16], -v[99:100]
	ds_read2_b64 v[99:102], v125 offset0:102 offset1:103
	s_waitcnt lgkmcnt(0)
	v_mul_f64 v[43:44], v[101:102], v[97:98]
	v_fma_f64 v[43:44], v[99:100], v[41:42], -v[43:44]
	v_mul_f64 v[99:100], v[99:100], v[97:98]
	v_add_f64 v[9:10], v[9:10], -v[43:44]
	v_fma_f64 v[99:100], v[101:102], v[41:42], v[99:100]
	v_add_f64 v[11:12], v[11:12], -v[99:100]
	ds_read2_b64 v[99:102], v125 offset0:104 offset1:105
	s_waitcnt lgkmcnt(0)
	v_mul_f64 v[43:44], v[101:102], v[97:98]
	v_fma_f64 v[43:44], v[99:100], v[41:42], -v[43:44]
	v_mul_f64 v[99:100], v[99:100], v[97:98]
	v_add_f64 v[5:6], v[5:6], -v[43:44]
	v_fma_f64 v[99:100], v[101:102], v[41:42], v[99:100]
	v_add_f64 v[7:8], v[7:8], -v[99:100]
	ds_read2_b64 v[99:102], v125 offset0:106 offset1:107
	s_waitcnt lgkmcnt(0)
	v_mul_f64 v[43:44], v[101:102], v[97:98]
	v_fma_f64 v[43:44], v[99:100], v[41:42], -v[43:44]
	v_mul_f64 v[99:100], v[99:100], v[97:98]
	v_add_f64 v[1:2], v[1:2], -v[43:44]
	v_fma_f64 v[99:100], v[101:102], v[41:42], v[99:100]
	v_add_f64 v[3:4], v[3:4], -v[99:100]
	ds_read2_b64 v[99:102], v125 offset0:108 offset1:109
	s_waitcnt lgkmcnt(0)
	v_mul_f64 v[43:44], v[101:102], v[97:98]
	v_fma_f64 v[43:44], v[99:100], v[41:42], -v[43:44]
	v_mul_f64 v[99:100], v[99:100], v[97:98]
	v_add_f64 v[121:122], v[121:122], -v[43:44]
	v_fma_f64 v[99:100], v[101:102], v[41:42], v[99:100]
	v_mov_b32_e32 v43, v97
	v_mov_b32_e32 v44, v98
	v_add_f64 v[123:124], v[123:124], -v[99:100]
.LBB109_397:
	s_or_b64 exec, exec, s[2:3]
	v_cmp_eq_u32_e32 vcc, 44, v0
	s_waitcnt vmcnt(0)
	s_barrier
	s_and_saveexec_b64 s[4:5], vcc
	s_cbranch_execz .LBB109_404
; %bb.398:
	ds_write2_b64 v127, v[37:38], v[39:40] offset1:1
	ds_write2_b64 v125, v[33:34], v[35:36] offset0:90 offset1:91
	ds_write2_b64 v125, v[29:30], v[31:32] offset0:92 offset1:93
	;; [unrolled: 1-line block ×10, first 2 shown]
	ds_read2_b64 v[97:100], v127 offset1:1
	s_waitcnt lgkmcnt(0)
	v_cmp_neq_f64_e32 vcc, 0, v[97:98]
	v_cmp_neq_f64_e64 s[2:3], 0, v[99:100]
	s_or_b64 s[2:3], vcc, s[2:3]
	s_and_b64 exec, exec, s[2:3]
	s_cbranch_execz .LBB109_404
; %bb.399:
	v_cmp_ngt_f64_e64 s[2:3], |v[97:98]|, |v[99:100]|
                                        ; implicit-def: $vgpr101_vgpr102
	s_and_saveexec_b64 s[6:7], s[2:3]
	s_xor_b64 s[2:3], exec, s[6:7]
                                        ; implicit-def: $vgpr103_vgpr104
	s_cbranch_execz .LBB109_401
; %bb.400:
	v_div_scale_f64 v[101:102], s[6:7], v[99:100], v[99:100], v[97:98]
	v_rcp_f64_e32 v[103:104], v[101:102]
	v_fma_f64 v[105:106], -v[101:102], v[103:104], 1.0
	v_fma_f64 v[103:104], v[103:104], v[105:106], v[103:104]
	v_div_scale_f64 v[105:106], vcc, v[97:98], v[99:100], v[97:98]
	v_fma_f64 v[107:108], -v[101:102], v[103:104], 1.0
	v_fma_f64 v[103:104], v[103:104], v[107:108], v[103:104]
	v_mul_f64 v[107:108], v[105:106], v[103:104]
	v_fma_f64 v[101:102], -v[101:102], v[107:108], v[105:106]
	v_div_fmas_f64 v[101:102], v[101:102], v[103:104], v[107:108]
	v_div_fixup_f64 v[101:102], v[101:102], v[99:100], v[97:98]
	v_fma_f64 v[97:98], v[97:98], v[101:102], v[99:100]
	v_div_scale_f64 v[99:100], s[6:7], v[97:98], v[97:98], 1.0
	v_div_scale_f64 v[107:108], vcc, 1.0, v[97:98], 1.0
	v_rcp_f64_e32 v[103:104], v[99:100]
	v_fma_f64 v[105:106], -v[99:100], v[103:104], 1.0
	v_fma_f64 v[103:104], v[103:104], v[105:106], v[103:104]
	v_fma_f64 v[105:106], -v[99:100], v[103:104], 1.0
	v_fma_f64 v[103:104], v[103:104], v[105:106], v[103:104]
	v_mul_f64 v[105:106], v[107:108], v[103:104]
	v_fma_f64 v[99:100], -v[99:100], v[105:106], v[107:108]
	v_div_fmas_f64 v[99:100], v[99:100], v[103:104], v[105:106]
	v_div_fixup_f64 v[103:104], v[99:100], v[97:98], 1.0
                                        ; implicit-def: $vgpr97_vgpr98
	v_mul_f64 v[101:102], v[101:102], v[103:104]
	v_xor_b32_e32 v104, 0x80000000, v104
.LBB109_401:
	s_andn2_saveexec_b64 s[2:3], s[2:3]
	s_cbranch_execz .LBB109_403
; %bb.402:
	v_div_scale_f64 v[101:102], s[6:7], v[97:98], v[97:98], v[99:100]
	v_rcp_f64_e32 v[103:104], v[101:102]
	v_fma_f64 v[105:106], -v[101:102], v[103:104], 1.0
	v_fma_f64 v[103:104], v[103:104], v[105:106], v[103:104]
	v_div_scale_f64 v[105:106], vcc, v[99:100], v[97:98], v[99:100]
	v_fma_f64 v[107:108], -v[101:102], v[103:104], 1.0
	v_fma_f64 v[103:104], v[103:104], v[107:108], v[103:104]
	v_mul_f64 v[107:108], v[105:106], v[103:104]
	v_fma_f64 v[101:102], -v[101:102], v[107:108], v[105:106]
	v_div_fmas_f64 v[101:102], v[101:102], v[103:104], v[107:108]
	v_div_fixup_f64 v[103:104], v[101:102], v[97:98], v[99:100]
	v_fma_f64 v[97:98], v[99:100], v[103:104], v[97:98]
	v_div_scale_f64 v[99:100], s[6:7], v[97:98], v[97:98], 1.0
	v_div_scale_f64 v[107:108], vcc, 1.0, v[97:98], 1.0
	v_rcp_f64_e32 v[101:102], v[99:100]
	v_fma_f64 v[105:106], -v[99:100], v[101:102], 1.0
	v_fma_f64 v[101:102], v[101:102], v[105:106], v[101:102]
	v_fma_f64 v[105:106], -v[99:100], v[101:102], 1.0
	v_fma_f64 v[101:102], v[101:102], v[105:106], v[101:102]
	v_mul_f64 v[105:106], v[107:108], v[101:102]
	v_fma_f64 v[99:100], -v[99:100], v[105:106], v[107:108]
	v_div_fmas_f64 v[99:100], v[99:100], v[101:102], v[105:106]
	v_div_fixup_f64 v[101:102], v[99:100], v[97:98], 1.0
	v_mul_f64 v[103:104], v[103:104], -v[101:102]
.LBB109_403:
	s_or_b64 exec, exec, s[2:3]
	ds_write2_b64 v127, v[101:102], v[103:104] offset1:1
.LBB109_404:
	s_or_b64 exec, exec, s[4:5]
	s_waitcnt lgkmcnt(0)
	s_barrier
	ds_read2_b64 v[97:100], v127 offset1:1
	v_cmp_lt_u32_e32 vcc, 44, v0
	s_waitcnt lgkmcnt(0)
	buffer_store_dword v97, off, s[20:23], 0 offset:1600 ; 4-byte Folded Spill
	s_nop 0
	buffer_store_dword v98, off, s[20:23], 0 offset:1604 ; 4-byte Folded Spill
	buffer_store_dword v99, off, s[20:23], 0 offset:1608 ; 4-byte Folded Spill
	;; [unrolled: 1-line block ×3, first 2 shown]
	s_and_saveexec_b64 s[2:3], vcc
	s_cbranch_execz .LBB109_406
; %bb.405:
	buffer_load_dword v99, off, s[20:23], 0 offset:1600 ; 4-byte Folded Reload
	buffer_load_dword v100, off, s[20:23], 0 offset:1604 ; 4-byte Folded Reload
	;; [unrolled: 1-line block ×4, first 2 shown]
	s_waitcnt vmcnt(2)
	v_mul_f64 v[97:98], v[99:100], v[39:40]
	s_waitcnt vmcnt(0)
	v_mul_f64 v[39:40], v[101:102], v[39:40]
	v_fma_f64 v[97:98], v[101:102], v[37:38], v[97:98]
	v_fma_f64 v[37:38], v[99:100], v[37:38], -v[39:40]
	ds_read2_b64 v[99:102], v125 offset0:90 offset1:91
	s_waitcnt lgkmcnt(0)
	v_mul_f64 v[39:40], v[101:102], v[97:98]
	v_fma_f64 v[39:40], v[99:100], v[37:38], -v[39:40]
	v_mul_f64 v[99:100], v[99:100], v[97:98]
	v_add_f64 v[33:34], v[33:34], -v[39:40]
	v_fma_f64 v[99:100], v[101:102], v[37:38], v[99:100]
	v_add_f64 v[35:36], v[35:36], -v[99:100]
	ds_read2_b64 v[99:102], v125 offset0:92 offset1:93
	s_waitcnt lgkmcnt(0)
	v_mul_f64 v[39:40], v[101:102], v[97:98]
	v_fma_f64 v[39:40], v[99:100], v[37:38], -v[39:40]
	v_mul_f64 v[99:100], v[99:100], v[97:98]
	v_add_f64 v[29:30], v[29:30], -v[39:40]
	v_fma_f64 v[99:100], v[101:102], v[37:38], v[99:100]
	v_add_f64 v[31:32], v[31:32], -v[99:100]
	;; [unrolled: 8-line block ×9, first 2 shown]
	ds_read2_b64 v[99:102], v125 offset0:108 offset1:109
	s_waitcnt lgkmcnt(0)
	v_mul_f64 v[39:40], v[101:102], v[97:98]
	v_fma_f64 v[39:40], v[99:100], v[37:38], -v[39:40]
	v_mul_f64 v[99:100], v[99:100], v[97:98]
	v_add_f64 v[121:122], v[121:122], -v[39:40]
	v_fma_f64 v[99:100], v[101:102], v[37:38], v[99:100]
	v_mov_b32_e32 v39, v97
	v_mov_b32_e32 v40, v98
	v_add_f64 v[123:124], v[123:124], -v[99:100]
.LBB109_406:
	s_or_b64 exec, exec, s[2:3]
	v_cmp_eq_u32_e32 vcc, 45, v0
	s_waitcnt vmcnt(0)
	s_barrier
	s_and_saveexec_b64 s[4:5], vcc
	s_cbranch_execz .LBB109_413
; %bb.407:
	ds_write2_b64 v127, v[33:34], v[35:36] offset1:1
	ds_write2_b64 v125, v[29:30], v[31:32] offset0:92 offset1:93
	ds_write2_b64 v125, v[25:26], v[27:28] offset0:94 offset1:95
	;; [unrolled: 1-line block ×9, first 2 shown]
	ds_read2_b64 v[97:100], v127 offset1:1
	s_waitcnt lgkmcnt(0)
	v_cmp_neq_f64_e32 vcc, 0, v[97:98]
	v_cmp_neq_f64_e64 s[2:3], 0, v[99:100]
	s_or_b64 s[2:3], vcc, s[2:3]
	s_and_b64 exec, exec, s[2:3]
	s_cbranch_execz .LBB109_413
; %bb.408:
	v_cmp_ngt_f64_e64 s[2:3], |v[97:98]|, |v[99:100]|
                                        ; implicit-def: $vgpr101_vgpr102
	s_and_saveexec_b64 s[6:7], s[2:3]
	s_xor_b64 s[2:3], exec, s[6:7]
                                        ; implicit-def: $vgpr103_vgpr104
	s_cbranch_execz .LBB109_410
; %bb.409:
	v_div_scale_f64 v[101:102], s[6:7], v[99:100], v[99:100], v[97:98]
	v_rcp_f64_e32 v[103:104], v[101:102]
	v_fma_f64 v[105:106], -v[101:102], v[103:104], 1.0
	v_fma_f64 v[103:104], v[103:104], v[105:106], v[103:104]
	v_div_scale_f64 v[105:106], vcc, v[97:98], v[99:100], v[97:98]
	v_fma_f64 v[107:108], -v[101:102], v[103:104], 1.0
	v_fma_f64 v[103:104], v[103:104], v[107:108], v[103:104]
	v_mul_f64 v[107:108], v[105:106], v[103:104]
	v_fma_f64 v[101:102], -v[101:102], v[107:108], v[105:106]
	v_div_fmas_f64 v[101:102], v[101:102], v[103:104], v[107:108]
	v_div_fixup_f64 v[101:102], v[101:102], v[99:100], v[97:98]
	v_fma_f64 v[97:98], v[97:98], v[101:102], v[99:100]
	v_div_scale_f64 v[99:100], s[6:7], v[97:98], v[97:98], 1.0
	v_div_scale_f64 v[107:108], vcc, 1.0, v[97:98], 1.0
	v_rcp_f64_e32 v[103:104], v[99:100]
	v_fma_f64 v[105:106], -v[99:100], v[103:104], 1.0
	v_fma_f64 v[103:104], v[103:104], v[105:106], v[103:104]
	v_fma_f64 v[105:106], -v[99:100], v[103:104], 1.0
	v_fma_f64 v[103:104], v[103:104], v[105:106], v[103:104]
	v_mul_f64 v[105:106], v[107:108], v[103:104]
	v_fma_f64 v[99:100], -v[99:100], v[105:106], v[107:108]
	v_div_fmas_f64 v[99:100], v[99:100], v[103:104], v[105:106]
	v_div_fixup_f64 v[103:104], v[99:100], v[97:98], 1.0
                                        ; implicit-def: $vgpr97_vgpr98
	v_mul_f64 v[101:102], v[101:102], v[103:104]
	v_xor_b32_e32 v104, 0x80000000, v104
.LBB109_410:
	s_andn2_saveexec_b64 s[2:3], s[2:3]
	s_cbranch_execz .LBB109_412
; %bb.411:
	v_div_scale_f64 v[101:102], s[6:7], v[97:98], v[97:98], v[99:100]
	v_rcp_f64_e32 v[103:104], v[101:102]
	v_fma_f64 v[105:106], -v[101:102], v[103:104], 1.0
	v_fma_f64 v[103:104], v[103:104], v[105:106], v[103:104]
	v_div_scale_f64 v[105:106], vcc, v[99:100], v[97:98], v[99:100]
	v_fma_f64 v[107:108], -v[101:102], v[103:104], 1.0
	v_fma_f64 v[103:104], v[103:104], v[107:108], v[103:104]
	v_mul_f64 v[107:108], v[105:106], v[103:104]
	v_fma_f64 v[101:102], -v[101:102], v[107:108], v[105:106]
	v_div_fmas_f64 v[101:102], v[101:102], v[103:104], v[107:108]
	v_div_fixup_f64 v[103:104], v[101:102], v[97:98], v[99:100]
	v_fma_f64 v[97:98], v[99:100], v[103:104], v[97:98]
	v_div_scale_f64 v[99:100], s[6:7], v[97:98], v[97:98], 1.0
	v_div_scale_f64 v[107:108], vcc, 1.0, v[97:98], 1.0
	v_rcp_f64_e32 v[101:102], v[99:100]
	v_fma_f64 v[105:106], -v[99:100], v[101:102], 1.0
	v_fma_f64 v[101:102], v[101:102], v[105:106], v[101:102]
	v_fma_f64 v[105:106], -v[99:100], v[101:102], 1.0
	v_fma_f64 v[101:102], v[101:102], v[105:106], v[101:102]
	v_mul_f64 v[105:106], v[107:108], v[101:102]
	v_fma_f64 v[99:100], -v[99:100], v[105:106], v[107:108]
	v_div_fmas_f64 v[99:100], v[99:100], v[101:102], v[105:106]
	v_div_fixup_f64 v[101:102], v[99:100], v[97:98], 1.0
	v_mul_f64 v[103:104], v[103:104], -v[101:102]
.LBB109_412:
	s_or_b64 exec, exec, s[2:3]
	ds_write2_b64 v127, v[101:102], v[103:104] offset1:1
.LBB109_413:
	s_or_b64 exec, exec, s[4:5]
	s_waitcnt lgkmcnt(0)
	s_barrier
	ds_read2_b64 v[97:100], v127 offset1:1
	v_cmp_lt_u32_e32 vcc, 45, v0
	s_waitcnt lgkmcnt(0)
	buffer_store_dword v97, off, s[20:23], 0 offset:1616 ; 4-byte Folded Spill
	s_nop 0
	buffer_store_dword v98, off, s[20:23], 0 offset:1620 ; 4-byte Folded Spill
	buffer_store_dword v99, off, s[20:23], 0 offset:1624 ; 4-byte Folded Spill
	;; [unrolled: 1-line block ×3, first 2 shown]
	s_and_saveexec_b64 s[2:3], vcc
	s_cbranch_execz .LBB109_415
; %bb.414:
	buffer_load_dword v99, off, s[20:23], 0 offset:1616 ; 4-byte Folded Reload
	buffer_load_dword v100, off, s[20:23], 0 offset:1620 ; 4-byte Folded Reload
	;; [unrolled: 1-line block ×4, first 2 shown]
	s_waitcnt vmcnt(2)
	v_mul_f64 v[97:98], v[99:100], v[35:36]
	s_waitcnt vmcnt(0)
	v_mul_f64 v[35:36], v[101:102], v[35:36]
	v_fma_f64 v[97:98], v[101:102], v[33:34], v[97:98]
	v_fma_f64 v[33:34], v[99:100], v[33:34], -v[35:36]
	ds_read2_b64 v[99:102], v125 offset0:92 offset1:93
	s_waitcnt lgkmcnt(0)
	v_mul_f64 v[35:36], v[101:102], v[97:98]
	v_fma_f64 v[35:36], v[99:100], v[33:34], -v[35:36]
	v_mul_f64 v[99:100], v[99:100], v[97:98]
	v_add_f64 v[29:30], v[29:30], -v[35:36]
	v_fma_f64 v[99:100], v[101:102], v[33:34], v[99:100]
	v_add_f64 v[31:32], v[31:32], -v[99:100]
	ds_read2_b64 v[99:102], v125 offset0:94 offset1:95
	s_waitcnt lgkmcnt(0)
	v_mul_f64 v[35:36], v[101:102], v[97:98]
	v_fma_f64 v[35:36], v[99:100], v[33:34], -v[35:36]
	v_mul_f64 v[99:100], v[99:100], v[97:98]
	v_add_f64 v[25:26], v[25:26], -v[35:36]
	v_fma_f64 v[99:100], v[101:102], v[33:34], v[99:100]
	v_add_f64 v[27:28], v[27:28], -v[99:100]
	ds_read2_b64 v[99:102], v125 offset0:96 offset1:97
	s_waitcnt lgkmcnt(0)
	v_mul_f64 v[35:36], v[101:102], v[97:98]
	v_fma_f64 v[35:36], v[99:100], v[33:34], -v[35:36]
	v_mul_f64 v[99:100], v[99:100], v[97:98]
	v_add_f64 v[21:22], v[21:22], -v[35:36]
	v_fma_f64 v[99:100], v[101:102], v[33:34], v[99:100]
	v_add_f64 v[23:24], v[23:24], -v[99:100]
	ds_read2_b64 v[99:102], v125 offset0:98 offset1:99
	s_waitcnt lgkmcnt(0)
	v_mul_f64 v[35:36], v[101:102], v[97:98]
	v_fma_f64 v[35:36], v[99:100], v[33:34], -v[35:36]
	v_mul_f64 v[99:100], v[99:100], v[97:98]
	v_add_f64 v[17:18], v[17:18], -v[35:36]
	v_fma_f64 v[99:100], v[101:102], v[33:34], v[99:100]
	v_add_f64 v[19:20], v[19:20], -v[99:100]
	ds_read2_b64 v[99:102], v125 offset0:100 offset1:101
	s_waitcnt lgkmcnt(0)
	v_mul_f64 v[35:36], v[101:102], v[97:98]
	v_fma_f64 v[35:36], v[99:100], v[33:34], -v[35:36]
	v_mul_f64 v[99:100], v[99:100], v[97:98]
	v_add_f64 v[13:14], v[13:14], -v[35:36]
	v_fma_f64 v[99:100], v[101:102], v[33:34], v[99:100]
	v_add_f64 v[15:16], v[15:16], -v[99:100]
	ds_read2_b64 v[99:102], v125 offset0:102 offset1:103
	s_waitcnt lgkmcnt(0)
	v_mul_f64 v[35:36], v[101:102], v[97:98]
	v_fma_f64 v[35:36], v[99:100], v[33:34], -v[35:36]
	v_mul_f64 v[99:100], v[99:100], v[97:98]
	v_add_f64 v[9:10], v[9:10], -v[35:36]
	v_fma_f64 v[99:100], v[101:102], v[33:34], v[99:100]
	v_add_f64 v[11:12], v[11:12], -v[99:100]
	ds_read2_b64 v[99:102], v125 offset0:104 offset1:105
	s_waitcnt lgkmcnt(0)
	v_mul_f64 v[35:36], v[101:102], v[97:98]
	v_fma_f64 v[35:36], v[99:100], v[33:34], -v[35:36]
	v_mul_f64 v[99:100], v[99:100], v[97:98]
	v_add_f64 v[5:6], v[5:6], -v[35:36]
	v_fma_f64 v[99:100], v[101:102], v[33:34], v[99:100]
	v_add_f64 v[7:8], v[7:8], -v[99:100]
	ds_read2_b64 v[99:102], v125 offset0:106 offset1:107
	s_waitcnt lgkmcnt(0)
	v_mul_f64 v[35:36], v[101:102], v[97:98]
	v_fma_f64 v[35:36], v[99:100], v[33:34], -v[35:36]
	v_mul_f64 v[99:100], v[99:100], v[97:98]
	v_add_f64 v[1:2], v[1:2], -v[35:36]
	v_fma_f64 v[99:100], v[101:102], v[33:34], v[99:100]
	v_add_f64 v[3:4], v[3:4], -v[99:100]
	ds_read2_b64 v[99:102], v125 offset0:108 offset1:109
	s_waitcnt lgkmcnt(0)
	v_mul_f64 v[35:36], v[101:102], v[97:98]
	v_fma_f64 v[35:36], v[99:100], v[33:34], -v[35:36]
	v_mul_f64 v[99:100], v[99:100], v[97:98]
	v_add_f64 v[121:122], v[121:122], -v[35:36]
	v_fma_f64 v[99:100], v[101:102], v[33:34], v[99:100]
	v_mov_b32_e32 v35, v97
	v_mov_b32_e32 v36, v98
	v_add_f64 v[123:124], v[123:124], -v[99:100]
.LBB109_415:
	s_or_b64 exec, exec, s[2:3]
	v_cmp_eq_u32_e32 vcc, 46, v0
	s_waitcnt vmcnt(0)
	s_barrier
	s_and_saveexec_b64 s[4:5], vcc
	s_cbranch_execz .LBB109_422
; %bb.416:
	ds_write2_b64 v127, v[29:30], v[31:32] offset1:1
	ds_write2_b64 v125, v[25:26], v[27:28] offset0:94 offset1:95
	ds_write2_b64 v125, v[21:22], v[23:24] offset0:96 offset1:97
	ds_write2_b64 v125, v[17:18], v[19:20] offset0:98 offset1:99
	ds_write2_b64 v125, v[13:14], v[15:16] offset0:100 offset1:101
	ds_write2_b64 v125, v[9:10], v[11:12] offset0:102 offset1:103
	ds_write2_b64 v125, v[5:6], v[7:8] offset0:104 offset1:105
	ds_write2_b64 v125, v[1:2], v[3:4] offset0:106 offset1:107
	ds_write2_b64 v125, v[121:122], v[123:124] offset0:108 offset1:109
	ds_read2_b64 v[97:100], v127 offset1:1
	s_waitcnt lgkmcnt(0)
	v_cmp_neq_f64_e32 vcc, 0, v[97:98]
	v_cmp_neq_f64_e64 s[2:3], 0, v[99:100]
	s_or_b64 s[2:3], vcc, s[2:3]
	s_and_b64 exec, exec, s[2:3]
	s_cbranch_execz .LBB109_422
; %bb.417:
	v_cmp_ngt_f64_e64 s[2:3], |v[97:98]|, |v[99:100]|
                                        ; implicit-def: $vgpr101_vgpr102
	s_and_saveexec_b64 s[6:7], s[2:3]
	s_xor_b64 s[2:3], exec, s[6:7]
                                        ; implicit-def: $vgpr103_vgpr104
	s_cbranch_execz .LBB109_419
; %bb.418:
	v_div_scale_f64 v[101:102], s[6:7], v[99:100], v[99:100], v[97:98]
	v_rcp_f64_e32 v[103:104], v[101:102]
	v_fma_f64 v[105:106], -v[101:102], v[103:104], 1.0
	v_fma_f64 v[103:104], v[103:104], v[105:106], v[103:104]
	v_div_scale_f64 v[105:106], vcc, v[97:98], v[99:100], v[97:98]
	v_fma_f64 v[107:108], -v[101:102], v[103:104], 1.0
	v_fma_f64 v[103:104], v[103:104], v[107:108], v[103:104]
	v_mul_f64 v[107:108], v[105:106], v[103:104]
	v_fma_f64 v[101:102], -v[101:102], v[107:108], v[105:106]
	v_div_fmas_f64 v[101:102], v[101:102], v[103:104], v[107:108]
	v_div_fixup_f64 v[101:102], v[101:102], v[99:100], v[97:98]
	v_fma_f64 v[97:98], v[97:98], v[101:102], v[99:100]
	v_div_scale_f64 v[99:100], s[6:7], v[97:98], v[97:98], 1.0
	v_div_scale_f64 v[107:108], vcc, 1.0, v[97:98], 1.0
	v_rcp_f64_e32 v[103:104], v[99:100]
	v_fma_f64 v[105:106], -v[99:100], v[103:104], 1.0
	v_fma_f64 v[103:104], v[103:104], v[105:106], v[103:104]
	v_fma_f64 v[105:106], -v[99:100], v[103:104], 1.0
	v_fma_f64 v[103:104], v[103:104], v[105:106], v[103:104]
	v_mul_f64 v[105:106], v[107:108], v[103:104]
	v_fma_f64 v[99:100], -v[99:100], v[105:106], v[107:108]
	v_div_fmas_f64 v[99:100], v[99:100], v[103:104], v[105:106]
	v_div_fixup_f64 v[103:104], v[99:100], v[97:98], 1.0
                                        ; implicit-def: $vgpr97_vgpr98
	v_mul_f64 v[101:102], v[101:102], v[103:104]
	v_xor_b32_e32 v104, 0x80000000, v104
.LBB109_419:
	s_andn2_saveexec_b64 s[2:3], s[2:3]
	s_cbranch_execz .LBB109_421
; %bb.420:
	v_div_scale_f64 v[101:102], s[6:7], v[97:98], v[97:98], v[99:100]
	v_rcp_f64_e32 v[103:104], v[101:102]
	v_fma_f64 v[105:106], -v[101:102], v[103:104], 1.0
	v_fma_f64 v[103:104], v[103:104], v[105:106], v[103:104]
	v_div_scale_f64 v[105:106], vcc, v[99:100], v[97:98], v[99:100]
	v_fma_f64 v[107:108], -v[101:102], v[103:104], 1.0
	v_fma_f64 v[103:104], v[103:104], v[107:108], v[103:104]
	v_mul_f64 v[107:108], v[105:106], v[103:104]
	v_fma_f64 v[101:102], -v[101:102], v[107:108], v[105:106]
	v_div_fmas_f64 v[101:102], v[101:102], v[103:104], v[107:108]
	v_div_fixup_f64 v[103:104], v[101:102], v[97:98], v[99:100]
	v_fma_f64 v[97:98], v[99:100], v[103:104], v[97:98]
	v_div_scale_f64 v[99:100], s[6:7], v[97:98], v[97:98], 1.0
	v_div_scale_f64 v[107:108], vcc, 1.0, v[97:98], 1.0
	v_rcp_f64_e32 v[101:102], v[99:100]
	v_fma_f64 v[105:106], -v[99:100], v[101:102], 1.0
	v_fma_f64 v[101:102], v[101:102], v[105:106], v[101:102]
	v_fma_f64 v[105:106], -v[99:100], v[101:102], 1.0
	v_fma_f64 v[101:102], v[101:102], v[105:106], v[101:102]
	v_mul_f64 v[105:106], v[107:108], v[101:102]
	v_fma_f64 v[99:100], -v[99:100], v[105:106], v[107:108]
	v_div_fmas_f64 v[99:100], v[99:100], v[101:102], v[105:106]
	v_div_fixup_f64 v[101:102], v[99:100], v[97:98], 1.0
	v_mul_f64 v[103:104], v[103:104], -v[101:102]
.LBB109_421:
	s_or_b64 exec, exec, s[2:3]
	ds_write2_b64 v127, v[101:102], v[103:104] offset1:1
.LBB109_422:
	s_or_b64 exec, exec, s[4:5]
	s_waitcnt lgkmcnt(0)
	s_barrier
	ds_read2_b64 v[97:100], v127 offset1:1
	v_cmp_lt_u32_e32 vcc, 46, v0
	s_waitcnt lgkmcnt(0)
	buffer_store_dword v97, off, s[20:23], 0 offset:1632 ; 4-byte Folded Spill
	s_nop 0
	buffer_store_dword v98, off, s[20:23], 0 offset:1636 ; 4-byte Folded Spill
	buffer_store_dword v99, off, s[20:23], 0 offset:1640 ; 4-byte Folded Spill
	;; [unrolled: 1-line block ×3, first 2 shown]
	s_and_saveexec_b64 s[2:3], vcc
	s_cbranch_execz .LBB109_424
; %bb.423:
	buffer_load_dword v99, off, s[20:23], 0 offset:1632 ; 4-byte Folded Reload
	buffer_load_dword v100, off, s[20:23], 0 offset:1636 ; 4-byte Folded Reload
	buffer_load_dword v101, off, s[20:23], 0 offset:1640 ; 4-byte Folded Reload
	buffer_load_dword v102, off, s[20:23], 0 offset:1644 ; 4-byte Folded Reload
	s_waitcnt vmcnt(2)
	v_mul_f64 v[97:98], v[99:100], v[31:32]
	s_waitcnt vmcnt(0)
	v_mul_f64 v[31:32], v[101:102], v[31:32]
	v_fma_f64 v[97:98], v[101:102], v[29:30], v[97:98]
	v_fma_f64 v[29:30], v[99:100], v[29:30], -v[31:32]
	ds_read2_b64 v[99:102], v125 offset0:94 offset1:95
	s_waitcnt lgkmcnt(0)
	v_mul_f64 v[31:32], v[101:102], v[97:98]
	v_fma_f64 v[31:32], v[99:100], v[29:30], -v[31:32]
	v_mul_f64 v[99:100], v[99:100], v[97:98]
	v_add_f64 v[25:26], v[25:26], -v[31:32]
	v_fma_f64 v[99:100], v[101:102], v[29:30], v[99:100]
	v_add_f64 v[27:28], v[27:28], -v[99:100]
	ds_read2_b64 v[99:102], v125 offset0:96 offset1:97
	s_waitcnt lgkmcnt(0)
	v_mul_f64 v[31:32], v[101:102], v[97:98]
	v_fma_f64 v[31:32], v[99:100], v[29:30], -v[31:32]
	v_mul_f64 v[99:100], v[99:100], v[97:98]
	v_add_f64 v[21:22], v[21:22], -v[31:32]
	v_fma_f64 v[99:100], v[101:102], v[29:30], v[99:100]
	v_add_f64 v[23:24], v[23:24], -v[99:100]
	;; [unrolled: 8-line block ×7, first 2 shown]
	ds_read2_b64 v[99:102], v125 offset0:108 offset1:109
	s_waitcnt lgkmcnt(0)
	v_mul_f64 v[31:32], v[101:102], v[97:98]
	v_fma_f64 v[31:32], v[99:100], v[29:30], -v[31:32]
	v_mul_f64 v[99:100], v[99:100], v[97:98]
	v_add_f64 v[121:122], v[121:122], -v[31:32]
	v_fma_f64 v[99:100], v[101:102], v[29:30], v[99:100]
	v_mov_b32_e32 v31, v97
	v_mov_b32_e32 v32, v98
	v_add_f64 v[123:124], v[123:124], -v[99:100]
.LBB109_424:
	s_or_b64 exec, exec, s[2:3]
	v_cmp_eq_u32_e32 vcc, 47, v0
	s_waitcnt vmcnt(0)
	s_barrier
	s_and_saveexec_b64 s[4:5], vcc
	s_cbranch_execz .LBB109_431
; %bb.425:
	ds_write2_b64 v127, v[25:26], v[27:28] offset1:1
	ds_write2_b64 v125, v[21:22], v[23:24] offset0:96 offset1:97
	ds_write2_b64 v125, v[17:18], v[19:20] offset0:98 offset1:99
	;; [unrolled: 1-line block ×7, first 2 shown]
	ds_read2_b64 v[97:100], v127 offset1:1
	s_waitcnt lgkmcnt(0)
	v_cmp_neq_f64_e32 vcc, 0, v[97:98]
	v_cmp_neq_f64_e64 s[2:3], 0, v[99:100]
	s_or_b64 s[2:3], vcc, s[2:3]
	s_and_b64 exec, exec, s[2:3]
	s_cbranch_execz .LBB109_431
; %bb.426:
	v_cmp_ngt_f64_e64 s[2:3], |v[97:98]|, |v[99:100]|
                                        ; implicit-def: $vgpr101_vgpr102
	s_and_saveexec_b64 s[6:7], s[2:3]
	s_xor_b64 s[2:3], exec, s[6:7]
                                        ; implicit-def: $vgpr103_vgpr104
	s_cbranch_execz .LBB109_428
; %bb.427:
	v_div_scale_f64 v[101:102], s[6:7], v[99:100], v[99:100], v[97:98]
	v_rcp_f64_e32 v[103:104], v[101:102]
	v_fma_f64 v[105:106], -v[101:102], v[103:104], 1.0
	v_fma_f64 v[103:104], v[103:104], v[105:106], v[103:104]
	v_div_scale_f64 v[105:106], vcc, v[97:98], v[99:100], v[97:98]
	v_fma_f64 v[107:108], -v[101:102], v[103:104], 1.0
	v_fma_f64 v[103:104], v[103:104], v[107:108], v[103:104]
	v_mul_f64 v[107:108], v[105:106], v[103:104]
	v_fma_f64 v[101:102], -v[101:102], v[107:108], v[105:106]
	v_div_fmas_f64 v[101:102], v[101:102], v[103:104], v[107:108]
	v_div_fixup_f64 v[101:102], v[101:102], v[99:100], v[97:98]
	v_fma_f64 v[97:98], v[97:98], v[101:102], v[99:100]
	v_div_scale_f64 v[99:100], s[6:7], v[97:98], v[97:98], 1.0
	v_div_scale_f64 v[107:108], vcc, 1.0, v[97:98], 1.0
	v_rcp_f64_e32 v[103:104], v[99:100]
	v_fma_f64 v[105:106], -v[99:100], v[103:104], 1.0
	v_fma_f64 v[103:104], v[103:104], v[105:106], v[103:104]
	v_fma_f64 v[105:106], -v[99:100], v[103:104], 1.0
	v_fma_f64 v[103:104], v[103:104], v[105:106], v[103:104]
	v_mul_f64 v[105:106], v[107:108], v[103:104]
	v_fma_f64 v[99:100], -v[99:100], v[105:106], v[107:108]
	v_div_fmas_f64 v[99:100], v[99:100], v[103:104], v[105:106]
	v_div_fixup_f64 v[103:104], v[99:100], v[97:98], 1.0
                                        ; implicit-def: $vgpr97_vgpr98
	v_mul_f64 v[101:102], v[101:102], v[103:104]
	v_xor_b32_e32 v104, 0x80000000, v104
.LBB109_428:
	s_andn2_saveexec_b64 s[2:3], s[2:3]
	s_cbranch_execz .LBB109_430
; %bb.429:
	v_div_scale_f64 v[101:102], s[6:7], v[97:98], v[97:98], v[99:100]
	v_rcp_f64_e32 v[103:104], v[101:102]
	v_fma_f64 v[105:106], -v[101:102], v[103:104], 1.0
	v_fma_f64 v[103:104], v[103:104], v[105:106], v[103:104]
	v_div_scale_f64 v[105:106], vcc, v[99:100], v[97:98], v[99:100]
	v_fma_f64 v[107:108], -v[101:102], v[103:104], 1.0
	v_fma_f64 v[103:104], v[103:104], v[107:108], v[103:104]
	v_mul_f64 v[107:108], v[105:106], v[103:104]
	v_fma_f64 v[101:102], -v[101:102], v[107:108], v[105:106]
	v_div_fmas_f64 v[101:102], v[101:102], v[103:104], v[107:108]
	v_div_fixup_f64 v[103:104], v[101:102], v[97:98], v[99:100]
	v_fma_f64 v[97:98], v[99:100], v[103:104], v[97:98]
	v_div_scale_f64 v[99:100], s[6:7], v[97:98], v[97:98], 1.0
	v_div_scale_f64 v[107:108], vcc, 1.0, v[97:98], 1.0
	v_rcp_f64_e32 v[101:102], v[99:100]
	v_fma_f64 v[105:106], -v[99:100], v[101:102], 1.0
	v_fma_f64 v[101:102], v[101:102], v[105:106], v[101:102]
	v_fma_f64 v[105:106], -v[99:100], v[101:102], 1.0
	v_fma_f64 v[101:102], v[101:102], v[105:106], v[101:102]
	v_mul_f64 v[105:106], v[107:108], v[101:102]
	v_fma_f64 v[99:100], -v[99:100], v[105:106], v[107:108]
	v_div_fmas_f64 v[99:100], v[99:100], v[101:102], v[105:106]
	v_div_fixup_f64 v[101:102], v[99:100], v[97:98], 1.0
	v_mul_f64 v[103:104], v[103:104], -v[101:102]
.LBB109_430:
	s_or_b64 exec, exec, s[2:3]
	ds_write2_b64 v127, v[101:102], v[103:104] offset1:1
.LBB109_431:
	s_or_b64 exec, exec, s[4:5]
	s_waitcnt lgkmcnt(0)
	s_barrier
	ds_read2_b64 v[97:100], v127 offset1:1
	v_cmp_lt_u32_e32 vcc, 47, v0
	s_waitcnt lgkmcnt(0)
	buffer_store_dword v97, off, s[20:23], 0 offset:1648 ; 4-byte Folded Spill
	s_nop 0
	buffer_store_dword v98, off, s[20:23], 0 offset:1652 ; 4-byte Folded Spill
	buffer_store_dword v99, off, s[20:23], 0 offset:1656 ; 4-byte Folded Spill
	;; [unrolled: 1-line block ×3, first 2 shown]
	s_and_saveexec_b64 s[2:3], vcc
	s_cbranch_execz .LBB109_433
; %bb.432:
	buffer_load_dword v99, off, s[20:23], 0 offset:1648 ; 4-byte Folded Reload
	buffer_load_dword v100, off, s[20:23], 0 offset:1652 ; 4-byte Folded Reload
	;; [unrolled: 1-line block ×4, first 2 shown]
	s_waitcnt vmcnt(2)
	v_mul_f64 v[97:98], v[99:100], v[27:28]
	s_waitcnt vmcnt(0)
	v_mul_f64 v[27:28], v[101:102], v[27:28]
	v_fma_f64 v[97:98], v[101:102], v[25:26], v[97:98]
	v_fma_f64 v[25:26], v[99:100], v[25:26], -v[27:28]
	ds_read2_b64 v[99:102], v125 offset0:96 offset1:97
	s_waitcnt lgkmcnt(0)
	v_mul_f64 v[27:28], v[101:102], v[97:98]
	v_fma_f64 v[27:28], v[99:100], v[25:26], -v[27:28]
	v_mul_f64 v[99:100], v[99:100], v[97:98]
	v_add_f64 v[21:22], v[21:22], -v[27:28]
	v_fma_f64 v[99:100], v[101:102], v[25:26], v[99:100]
	v_add_f64 v[23:24], v[23:24], -v[99:100]
	ds_read2_b64 v[99:102], v125 offset0:98 offset1:99
	s_waitcnt lgkmcnt(0)
	v_mul_f64 v[27:28], v[101:102], v[97:98]
	v_fma_f64 v[27:28], v[99:100], v[25:26], -v[27:28]
	v_mul_f64 v[99:100], v[99:100], v[97:98]
	v_add_f64 v[17:18], v[17:18], -v[27:28]
	v_fma_f64 v[99:100], v[101:102], v[25:26], v[99:100]
	v_add_f64 v[19:20], v[19:20], -v[99:100]
	;; [unrolled: 8-line block ×6, first 2 shown]
	ds_read2_b64 v[99:102], v125 offset0:108 offset1:109
	s_waitcnt lgkmcnt(0)
	v_mul_f64 v[27:28], v[101:102], v[97:98]
	v_fma_f64 v[27:28], v[99:100], v[25:26], -v[27:28]
	v_mul_f64 v[99:100], v[99:100], v[97:98]
	v_add_f64 v[121:122], v[121:122], -v[27:28]
	v_fma_f64 v[99:100], v[101:102], v[25:26], v[99:100]
	v_mov_b32_e32 v27, v97
	v_mov_b32_e32 v28, v98
	v_add_f64 v[123:124], v[123:124], -v[99:100]
.LBB109_433:
	s_or_b64 exec, exec, s[2:3]
	v_cmp_eq_u32_e32 vcc, 48, v0
	s_waitcnt vmcnt(0)
	s_barrier
	s_and_saveexec_b64 s[4:5], vcc
	s_cbranch_execz .LBB109_440
; %bb.434:
	ds_write2_b64 v127, v[21:22], v[23:24] offset1:1
	ds_write2_b64 v125, v[17:18], v[19:20] offset0:98 offset1:99
	ds_write2_b64 v125, v[13:14], v[15:16] offset0:100 offset1:101
	;; [unrolled: 1-line block ×6, first 2 shown]
	ds_read2_b64 v[97:100], v127 offset1:1
	s_waitcnt lgkmcnt(0)
	v_cmp_neq_f64_e32 vcc, 0, v[97:98]
	v_cmp_neq_f64_e64 s[2:3], 0, v[99:100]
	s_or_b64 s[2:3], vcc, s[2:3]
	s_and_b64 exec, exec, s[2:3]
	s_cbranch_execz .LBB109_440
; %bb.435:
	v_cmp_ngt_f64_e64 s[2:3], |v[97:98]|, |v[99:100]|
                                        ; implicit-def: $vgpr101_vgpr102
	s_and_saveexec_b64 s[6:7], s[2:3]
	s_xor_b64 s[2:3], exec, s[6:7]
                                        ; implicit-def: $vgpr103_vgpr104
	s_cbranch_execz .LBB109_437
; %bb.436:
	v_div_scale_f64 v[101:102], s[6:7], v[99:100], v[99:100], v[97:98]
	v_rcp_f64_e32 v[103:104], v[101:102]
	v_fma_f64 v[105:106], -v[101:102], v[103:104], 1.0
	v_fma_f64 v[103:104], v[103:104], v[105:106], v[103:104]
	v_div_scale_f64 v[105:106], vcc, v[97:98], v[99:100], v[97:98]
	v_fma_f64 v[107:108], -v[101:102], v[103:104], 1.0
	v_fma_f64 v[103:104], v[103:104], v[107:108], v[103:104]
	v_mul_f64 v[107:108], v[105:106], v[103:104]
	v_fma_f64 v[101:102], -v[101:102], v[107:108], v[105:106]
	v_div_fmas_f64 v[101:102], v[101:102], v[103:104], v[107:108]
	v_div_fixup_f64 v[101:102], v[101:102], v[99:100], v[97:98]
	v_fma_f64 v[97:98], v[97:98], v[101:102], v[99:100]
	v_div_scale_f64 v[99:100], s[6:7], v[97:98], v[97:98], 1.0
	v_div_scale_f64 v[107:108], vcc, 1.0, v[97:98], 1.0
	v_rcp_f64_e32 v[103:104], v[99:100]
	v_fma_f64 v[105:106], -v[99:100], v[103:104], 1.0
	v_fma_f64 v[103:104], v[103:104], v[105:106], v[103:104]
	v_fma_f64 v[105:106], -v[99:100], v[103:104], 1.0
	v_fma_f64 v[103:104], v[103:104], v[105:106], v[103:104]
	v_mul_f64 v[105:106], v[107:108], v[103:104]
	v_fma_f64 v[99:100], -v[99:100], v[105:106], v[107:108]
	v_div_fmas_f64 v[99:100], v[99:100], v[103:104], v[105:106]
	v_div_fixup_f64 v[103:104], v[99:100], v[97:98], 1.0
                                        ; implicit-def: $vgpr97_vgpr98
	v_mul_f64 v[101:102], v[101:102], v[103:104]
	v_xor_b32_e32 v104, 0x80000000, v104
.LBB109_437:
	s_andn2_saveexec_b64 s[2:3], s[2:3]
	s_cbranch_execz .LBB109_439
; %bb.438:
	v_div_scale_f64 v[101:102], s[6:7], v[97:98], v[97:98], v[99:100]
	v_rcp_f64_e32 v[103:104], v[101:102]
	v_fma_f64 v[105:106], -v[101:102], v[103:104], 1.0
	v_fma_f64 v[103:104], v[103:104], v[105:106], v[103:104]
	v_div_scale_f64 v[105:106], vcc, v[99:100], v[97:98], v[99:100]
	v_fma_f64 v[107:108], -v[101:102], v[103:104], 1.0
	v_fma_f64 v[103:104], v[103:104], v[107:108], v[103:104]
	v_mul_f64 v[107:108], v[105:106], v[103:104]
	v_fma_f64 v[101:102], -v[101:102], v[107:108], v[105:106]
	v_div_fmas_f64 v[101:102], v[101:102], v[103:104], v[107:108]
	v_div_fixup_f64 v[103:104], v[101:102], v[97:98], v[99:100]
	v_fma_f64 v[97:98], v[99:100], v[103:104], v[97:98]
	v_div_scale_f64 v[99:100], s[6:7], v[97:98], v[97:98], 1.0
	v_div_scale_f64 v[107:108], vcc, 1.0, v[97:98], 1.0
	v_rcp_f64_e32 v[101:102], v[99:100]
	v_fma_f64 v[105:106], -v[99:100], v[101:102], 1.0
	v_fma_f64 v[101:102], v[101:102], v[105:106], v[101:102]
	v_fma_f64 v[105:106], -v[99:100], v[101:102], 1.0
	v_fma_f64 v[101:102], v[101:102], v[105:106], v[101:102]
	v_mul_f64 v[105:106], v[107:108], v[101:102]
	v_fma_f64 v[99:100], -v[99:100], v[105:106], v[107:108]
	v_div_fmas_f64 v[99:100], v[99:100], v[101:102], v[105:106]
	v_div_fixup_f64 v[101:102], v[99:100], v[97:98], 1.0
	v_mul_f64 v[103:104], v[103:104], -v[101:102]
.LBB109_439:
	s_or_b64 exec, exec, s[2:3]
	ds_write2_b64 v127, v[101:102], v[103:104] offset1:1
.LBB109_440:
	s_or_b64 exec, exec, s[4:5]
	s_waitcnt lgkmcnt(0)
	s_barrier
	ds_read2_b64 v[97:100], v127 offset1:1
	v_cmp_lt_u32_e32 vcc, 48, v0
	s_waitcnt lgkmcnt(0)
	buffer_store_dword v97, off, s[20:23], 0 offset:1664 ; 4-byte Folded Spill
	s_nop 0
	buffer_store_dword v98, off, s[20:23], 0 offset:1668 ; 4-byte Folded Spill
	buffer_store_dword v99, off, s[20:23], 0 offset:1672 ; 4-byte Folded Spill
	;; [unrolled: 1-line block ×3, first 2 shown]
	s_and_saveexec_b64 s[2:3], vcc
	s_cbranch_execz .LBB109_442
; %bb.441:
	buffer_load_dword v99, off, s[20:23], 0 offset:1664 ; 4-byte Folded Reload
	buffer_load_dword v100, off, s[20:23], 0 offset:1668 ; 4-byte Folded Reload
	;; [unrolled: 1-line block ×4, first 2 shown]
	s_waitcnt vmcnt(2)
	v_mul_f64 v[97:98], v[99:100], v[23:24]
	s_waitcnt vmcnt(0)
	v_mul_f64 v[23:24], v[101:102], v[23:24]
	v_fma_f64 v[97:98], v[101:102], v[21:22], v[97:98]
	v_fma_f64 v[21:22], v[99:100], v[21:22], -v[23:24]
	ds_read2_b64 v[99:102], v125 offset0:98 offset1:99
	s_waitcnt lgkmcnt(0)
	v_mul_f64 v[23:24], v[101:102], v[97:98]
	v_fma_f64 v[23:24], v[99:100], v[21:22], -v[23:24]
	v_mul_f64 v[99:100], v[99:100], v[97:98]
	v_add_f64 v[17:18], v[17:18], -v[23:24]
	v_fma_f64 v[99:100], v[101:102], v[21:22], v[99:100]
	v_add_f64 v[19:20], v[19:20], -v[99:100]
	ds_read2_b64 v[99:102], v125 offset0:100 offset1:101
	s_waitcnt lgkmcnt(0)
	v_mul_f64 v[23:24], v[101:102], v[97:98]
	v_fma_f64 v[23:24], v[99:100], v[21:22], -v[23:24]
	v_mul_f64 v[99:100], v[99:100], v[97:98]
	v_add_f64 v[13:14], v[13:14], -v[23:24]
	v_fma_f64 v[99:100], v[101:102], v[21:22], v[99:100]
	v_add_f64 v[15:16], v[15:16], -v[99:100]
	;; [unrolled: 8-line block ×5, first 2 shown]
	ds_read2_b64 v[99:102], v125 offset0:108 offset1:109
	s_waitcnt lgkmcnt(0)
	v_mul_f64 v[23:24], v[101:102], v[97:98]
	v_fma_f64 v[23:24], v[99:100], v[21:22], -v[23:24]
	v_mul_f64 v[99:100], v[99:100], v[97:98]
	v_add_f64 v[121:122], v[121:122], -v[23:24]
	v_fma_f64 v[99:100], v[101:102], v[21:22], v[99:100]
	v_mov_b32_e32 v23, v97
	v_mov_b32_e32 v24, v98
	v_add_f64 v[123:124], v[123:124], -v[99:100]
.LBB109_442:
	s_or_b64 exec, exec, s[2:3]
	v_cmp_eq_u32_e32 vcc, 49, v0
	s_waitcnt vmcnt(0)
	s_barrier
	s_and_saveexec_b64 s[4:5], vcc
	s_cbranch_execz .LBB109_449
; %bb.443:
	ds_write2_b64 v127, v[17:18], v[19:20] offset1:1
	ds_write2_b64 v125, v[13:14], v[15:16] offset0:100 offset1:101
	ds_write2_b64 v125, v[9:10], v[11:12] offset0:102 offset1:103
	;; [unrolled: 1-line block ×5, first 2 shown]
	ds_read2_b64 v[97:100], v127 offset1:1
	s_waitcnt lgkmcnt(0)
	v_cmp_neq_f64_e32 vcc, 0, v[97:98]
	v_cmp_neq_f64_e64 s[2:3], 0, v[99:100]
	s_or_b64 s[2:3], vcc, s[2:3]
	s_and_b64 exec, exec, s[2:3]
	s_cbranch_execz .LBB109_449
; %bb.444:
	v_cmp_ngt_f64_e64 s[2:3], |v[97:98]|, |v[99:100]|
                                        ; implicit-def: $vgpr101_vgpr102
	s_and_saveexec_b64 s[6:7], s[2:3]
	s_xor_b64 s[2:3], exec, s[6:7]
                                        ; implicit-def: $vgpr103_vgpr104
	s_cbranch_execz .LBB109_446
; %bb.445:
	v_div_scale_f64 v[101:102], s[6:7], v[99:100], v[99:100], v[97:98]
	v_rcp_f64_e32 v[103:104], v[101:102]
	v_fma_f64 v[105:106], -v[101:102], v[103:104], 1.0
	v_fma_f64 v[103:104], v[103:104], v[105:106], v[103:104]
	v_div_scale_f64 v[105:106], vcc, v[97:98], v[99:100], v[97:98]
	v_fma_f64 v[107:108], -v[101:102], v[103:104], 1.0
	v_fma_f64 v[103:104], v[103:104], v[107:108], v[103:104]
	v_mul_f64 v[107:108], v[105:106], v[103:104]
	v_fma_f64 v[101:102], -v[101:102], v[107:108], v[105:106]
	v_div_fmas_f64 v[101:102], v[101:102], v[103:104], v[107:108]
	v_div_fixup_f64 v[101:102], v[101:102], v[99:100], v[97:98]
	v_fma_f64 v[97:98], v[97:98], v[101:102], v[99:100]
	v_div_scale_f64 v[99:100], s[6:7], v[97:98], v[97:98], 1.0
	v_div_scale_f64 v[107:108], vcc, 1.0, v[97:98], 1.0
	v_rcp_f64_e32 v[103:104], v[99:100]
	v_fma_f64 v[105:106], -v[99:100], v[103:104], 1.0
	v_fma_f64 v[103:104], v[103:104], v[105:106], v[103:104]
	v_fma_f64 v[105:106], -v[99:100], v[103:104], 1.0
	v_fma_f64 v[103:104], v[103:104], v[105:106], v[103:104]
	v_mul_f64 v[105:106], v[107:108], v[103:104]
	v_fma_f64 v[99:100], -v[99:100], v[105:106], v[107:108]
	v_div_fmas_f64 v[99:100], v[99:100], v[103:104], v[105:106]
	v_div_fixup_f64 v[103:104], v[99:100], v[97:98], 1.0
                                        ; implicit-def: $vgpr97_vgpr98
	v_mul_f64 v[101:102], v[101:102], v[103:104]
	v_xor_b32_e32 v104, 0x80000000, v104
.LBB109_446:
	s_andn2_saveexec_b64 s[2:3], s[2:3]
	s_cbranch_execz .LBB109_448
; %bb.447:
	v_div_scale_f64 v[101:102], s[6:7], v[97:98], v[97:98], v[99:100]
	v_rcp_f64_e32 v[103:104], v[101:102]
	v_fma_f64 v[105:106], -v[101:102], v[103:104], 1.0
	v_fma_f64 v[103:104], v[103:104], v[105:106], v[103:104]
	v_div_scale_f64 v[105:106], vcc, v[99:100], v[97:98], v[99:100]
	v_fma_f64 v[107:108], -v[101:102], v[103:104], 1.0
	v_fma_f64 v[103:104], v[103:104], v[107:108], v[103:104]
	v_mul_f64 v[107:108], v[105:106], v[103:104]
	v_fma_f64 v[101:102], -v[101:102], v[107:108], v[105:106]
	v_div_fmas_f64 v[101:102], v[101:102], v[103:104], v[107:108]
	v_div_fixup_f64 v[103:104], v[101:102], v[97:98], v[99:100]
	v_fma_f64 v[97:98], v[99:100], v[103:104], v[97:98]
	v_div_scale_f64 v[99:100], s[6:7], v[97:98], v[97:98], 1.0
	v_div_scale_f64 v[107:108], vcc, 1.0, v[97:98], 1.0
	v_rcp_f64_e32 v[101:102], v[99:100]
	v_fma_f64 v[105:106], -v[99:100], v[101:102], 1.0
	v_fma_f64 v[101:102], v[101:102], v[105:106], v[101:102]
	v_fma_f64 v[105:106], -v[99:100], v[101:102], 1.0
	v_fma_f64 v[101:102], v[101:102], v[105:106], v[101:102]
	v_mul_f64 v[105:106], v[107:108], v[101:102]
	v_fma_f64 v[99:100], -v[99:100], v[105:106], v[107:108]
	v_div_fmas_f64 v[99:100], v[99:100], v[101:102], v[105:106]
	v_div_fixup_f64 v[101:102], v[99:100], v[97:98], 1.0
	v_mul_f64 v[103:104], v[103:104], -v[101:102]
.LBB109_448:
	s_or_b64 exec, exec, s[2:3]
	ds_write2_b64 v127, v[101:102], v[103:104] offset1:1
.LBB109_449:
	s_or_b64 exec, exec, s[4:5]
	s_waitcnt lgkmcnt(0)
	s_barrier
	ds_read2_b64 v[97:100], v127 offset1:1
	v_cmp_lt_u32_e32 vcc, 49, v0
	s_waitcnt lgkmcnt(0)
	buffer_store_dword v97, off, s[20:23], 0 offset:1680 ; 4-byte Folded Spill
	s_nop 0
	buffer_store_dword v98, off, s[20:23], 0 offset:1684 ; 4-byte Folded Spill
	buffer_store_dword v99, off, s[20:23], 0 offset:1688 ; 4-byte Folded Spill
	;; [unrolled: 1-line block ×3, first 2 shown]
	s_and_saveexec_b64 s[2:3], vcc
	s_cbranch_execz .LBB109_451
; %bb.450:
	buffer_load_dword v103, off, s[20:23], 0 offset:1680 ; 4-byte Folded Reload
	buffer_load_dword v104, off, s[20:23], 0 offset:1684 ; 4-byte Folded Reload
	;; [unrolled: 1-line block ×4, first 2 shown]
	s_waitcnt vmcnt(2)
	v_mul_f64 v[97:98], v[103:104], v[19:20]
	s_waitcnt vmcnt(0)
	v_mul_f64 v[19:20], v[105:106], v[19:20]
	v_fma_f64 v[101:102], v[105:106], v[17:18], v[97:98]
	ds_read2_b64 v[97:100], v125 offset0:100 offset1:101
	v_fma_f64 v[17:18], v[103:104], v[17:18], -v[19:20]
	s_waitcnt lgkmcnt(0)
	v_mul_f64 v[19:20], v[99:100], v[101:102]
	v_fma_f64 v[19:20], v[97:98], v[17:18], -v[19:20]
	v_mul_f64 v[97:98], v[97:98], v[101:102]
	v_add_f64 v[13:14], v[13:14], -v[19:20]
	v_fma_f64 v[97:98], v[99:100], v[17:18], v[97:98]
	v_add_f64 v[15:16], v[15:16], -v[97:98]
	ds_read2_b64 v[97:100], v125 offset0:102 offset1:103
	s_waitcnt lgkmcnt(0)
	v_mul_f64 v[19:20], v[99:100], v[101:102]
	v_fma_f64 v[19:20], v[97:98], v[17:18], -v[19:20]
	v_mul_f64 v[97:98], v[97:98], v[101:102]
	v_add_f64 v[9:10], v[9:10], -v[19:20]
	v_fma_f64 v[97:98], v[99:100], v[17:18], v[97:98]
	v_add_f64 v[11:12], v[11:12], -v[97:98]
	ds_read2_b64 v[97:100], v125 offset0:104 offset1:105
	;; [unrolled: 8-line block ×4, first 2 shown]
	s_waitcnt lgkmcnt(0)
	v_mul_f64 v[19:20], v[99:100], v[101:102]
	v_fma_f64 v[19:20], v[97:98], v[17:18], -v[19:20]
	v_mul_f64 v[97:98], v[97:98], v[101:102]
	v_add_f64 v[121:122], v[121:122], -v[19:20]
	v_fma_f64 v[97:98], v[99:100], v[17:18], v[97:98]
	v_mov_b32_e32 v19, v101
	v_mov_b32_e32 v20, v102
	v_add_f64 v[123:124], v[123:124], -v[97:98]
.LBB109_451:
	s_or_b64 exec, exec, s[2:3]
	v_cmp_eq_u32_e32 vcc, 50, v0
	s_waitcnt vmcnt(0)
	s_barrier
	s_and_saveexec_b64 s[4:5], vcc
	s_cbranch_execz .LBB109_458
; %bb.452:
	ds_write2_b64 v127, v[13:14], v[15:16] offset1:1
	ds_write2_b64 v125, v[9:10], v[11:12] offset0:102 offset1:103
	ds_write2_b64 v125, v[5:6], v[7:8] offset0:104 offset1:105
	;; [unrolled: 1-line block ×4, first 2 shown]
	ds_read2_b64 v[97:100], v127 offset1:1
	s_waitcnt lgkmcnt(0)
	v_cmp_neq_f64_e32 vcc, 0, v[97:98]
	v_cmp_neq_f64_e64 s[2:3], 0, v[99:100]
	s_or_b64 s[2:3], vcc, s[2:3]
	s_and_b64 exec, exec, s[2:3]
	s_cbranch_execz .LBB109_458
; %bb.453:
	v_cmp_ngt_f64_e64 s[2:3], |v[97:98]|, |v[99:100]|
                                        ; implicit-def: $vgpr101_vgpr102
	s_and_saveexec_b64 s[6:7], s[2:3]
	s_xor_b64 s[2:3], exec, s[6:7]
                                        ; implicit-def: $vgpr103_vgpr104
	s_cbranch_execz .LBB109_455
; %bb.454:
	v_div_scale_f64 v[101:102], s[6:7], v[99:100], v[99:100], v[97:98]
	v_rcp_f64_e32 v[103:104], v[101:102]
	v_fma_f64 v[105:106], -v[101:102], v[103:104], 1.0
	v_fma_f64 v[103:104], v[103:104], v[105:106], v[103:104]
	v_div_scale_f64 v[105:106], vcc, v[97:98], v[99:100], v[97:98]
	v_fma_f64 v[107:108], -v[101:102], v[103:104], 1.0
	v_fma_f64 v[103:104], v[103:104], v[107:108], v[103:104]
	v_mul_f64 v[107:108], v[105:106], v[103:104]
	v_fma_f64 v[101:102], -v[101:102], v[107:108], v[105:106]
	v_div_fmas_f64 v[101:102], v[101:102], v[103:104], v[107:108]
	v_div_fixup_f64 v[101:102], v[101:102], v[99:100], v[97:98]
	v_fma_f64 v[97:98], v[97:98], v[101:102], v[99:100]
	v_div_scale_f64 v[99:100], s[6:7], v[97:98], v[97:98], 1.0
	v_div_scale_f64 v[107:108], vcc, 1.0, v[97:98], 1.0
	v_rcp_f64_e32 v[103:104], v[99:100]
	v_fma_f64 v[105:106], -v[99:100], v[103:104], 1.0
	v_fma_f64 v[103:104], v[103:104], v[105:106], v[103:104]
	v_fma_f64 v[105:106], -v[99:100], v[103:104], 1.0
	v_fma_f64 v[103:104], v[103:104], v[105:106], v[103:104]
	v_mul_f64 v[105:106], v[107:108], v[103:104]
	v_fma_f64 v[99:100], -v[99:100], v[105:106], v[107:108]
	v_div_fmas_f64 v[99:100], v[99:100], v[103:104], v[105:106]
	v_div_fixup_f64 v[103:104], v[99:100], v[97:98], 1.0
                                        ; implicit-def: $vgpr97_vgpr98
	v_mul_f64 v[101:102], v[101:102], v[103:104]
	v_xor_b32_e32 v104, 0x80000000, v104
.LBB109_455:
	s_andn2_saveexec_b64 s[2:3], s[2:3]
	s_cbranch_execz .LBB109_457
; %bb.456:
	v_div_scale_f64 v[101:102], s[6:7], v[97:98], v[97:98], v[99:100]
	v_rcp_f64_e32 v[103:104], v[101:102]
	v_fma_f64 v[105:106], -v[101:102], v[103:104], 1.0
	v_fma_f64 v[103:104], v[103:104], v[105:106], v[103:104]
	v_div_scale_f64 v[105:106], vcc, v[99:100], v[97:98], v[99:100]
	v_fma_f64 v[107:108], -v[101:102], v[103:104], 1.0
	v_fma_f64 v[103:104], v[103:104], v[107:108], v[103:104]
	v_mul_f64 v[107:108], v[105:106], v[103:104]
	v_fma_f64 v[101:102], -v[101:102], v[107:108], v[105:106]
	v_div_fmas_f64 v[101:102], v[101:102], v[103:104], v[107:108]
	v_div_fixup_f64 v[103:104], v[101:102], v[97:98], v[99:100]
	v_fma_f64 v[97:98], v[99:100], v[103:104], v[97:98]
	v_div_scale_f64 v[99:100], s[6:7], v[97:98], v[97:98], 1.0
	v_div_scale_f64 v[107:108], vcc, 1.0, v[97:98], 1.0
	v_rcp_f64_e32 v[101:102], v[99:100]
	v_fma_f64 v[105:106], -v[99:100], v[101:102], 1.0
	v_fma_f64 v[101:102], v[101:102], v[105:106], v[101:102]
	v_fma_f64 v[105:106], -v[99:100], v[101:102], 1.0
	v_fma_f64 v[101:102], v[101:102], v[105:106], v[101:102]
	v_mul_f64 v[105:106], v[107:108], v[101:102]
	v_fma_f64 v[99:100], -v[99:100], v[105:106], v[107:108]
	v_div_fmas_f64 v[99:100], v[99:100], v[101:102], v[105:106]
	v_div_fixup_f64 v[101:102], v[99:100], v[97:98], 1.0
	v_mul_f64 v[103:104], v[103:104], -v[101:102]
.LBB109_457:
	s_or_b64 exec, exec, s[2:3]
	ds_write2_b64 v127, v[101:102], v[103:104] offset1:1
.LBB109_458:
	s_or_b64 exec, exec, s[4:5]
	s_waitcnt lgkmcnt(0)
	s_barrier
	ds_read2_b64 v[97:100], v127 offset1:1
	v_cmp_lt_u32_e32 vcc, 50, v0
	s_waitcnt lgkmcnt(0)
	buffer_store_dword v97, off, s[20:23], 0 offset:1696 ; 4-byte Folded Spill
	s_nop 0
	buffer_store_dword v98, off, s[20:23], 0 offset:1700 ; 4-byte Folded Spill
	buffer_store_dword v99, off, s[20:23], 0 offset:1704 ; 4-byte Folded Spill
	;; [unrolled: 1-line block ×3, first 2 shown]
	s_and_saveexec_b64 s[2:3], vcc
	s_cbranch_execz .LBB109_460
; %bb.459:
	buffer_load_dword v103, off, s[20:23], 0 offset:1696 ; 4-byte Folded Reload
	buffer_load_dword v104, off, s[20:23], 0 offset:1700 ; 4-byte Folded Reload
	;; [unrolled: 1-line block ×4, first 2 shown]
	s_waitcnt vmcnt(2)
	v_mul_f64 v[97:98], v[103:104], v[15:16]
	s_waitcnt vmcnt(0)
	v_mul_f64 v[15:16], v[105:106], v[15:16]
	v_fma_f64 v[101:102], v[105:106], v[13:14], v[97:98]
	ds_read2_b64 v[97:100], v125 offset0:102 offset1:103
	v_fma_f64 v[13:14], v[103:104], v[13:14], -v[15:16]
	s_waitcnt lgkmcnt(0)
	v_mul_f64 v[15:16], v[99:100], v[101:102]
	v_fma_f64 v[15:16], v[97:98], v[13:14], -v[15:16]
	v_mul_f64 v[97:98], v[97:98], v[101:102]
	v_add_f64 v[9:10], v[9:10], -v[15:16]
	v_fma_f64 v[97:98], v[99:100], v[13:14], v[97:98]
	v_add_f64 v[11:12], v[11:12], -v[97:98]
	ds_read2_b64 v[97:100], v125 offset0:104 offset1:105
	s_waitcnt lgkmcnt(0)
	v_mul_f64 v[15:16], v[99:100], v[101:102]
	v_fma_f64 v[15:16], v[97:98], v[13:14], -v[15:16]
	v_mul_f64 v[97:98], v[97:98], v[101:102]
	v_add_f64 v[5:6], v[5:6], -v[15:16]
	v_fma_f64 v[97:98], v[99:100], v[13:14], v[97:98]
	v_add_f64 v[7:8], v[7:8], -v[97:98]
	ds_read2_b64 v[97:100], v125 offset0:106 offset1:107
	;; [unrolled: 8-line block ×3, first 2 shown]
	s_waitcnt lgkmcnt(0)
	v_mul_f64 v[15:16], v[99:100], v[101:102]
	v_fma_f64 v[15:16], v[97:98], v[13:14], -v[15:16]
	v_mul_f64 v[97:98], v[97:98], v[101:102]
	v_add_f64 v[121:122], v[121:122], -v[15:16]
	v_fma_f64 v[97:98], v[99:100], v[13:14], v[97:98]
	v_mov_b32_e32 v15, v101
	v_mov_b32_e32 v16, v102
	v_add_f64 v[123:124], v[123:124], -v[97:98]
.LBB109_460:
	s_or_b64 exec, exec, s[2:3]
	v_cmp_eq_u32_e32 vcc, 51, v0
	s_waitcnt vmcnt(0)
	s_barrier
	s_and_saveexec_b64 s[4:5], vcc
	s_cbranch_execz .LBB109_467
; %bb.461:
	ds_write2_b64 v127, v[9:10], v[11:12] offset1:1
	ds_write2_b64 v125, v[5:6], v[7:8] offset0:104 offset1:105
	ds_write2_b64 v125, v[1:2], v[3:4] offset0:106 offset1:107
	;; [unrolled: 1-line block ×3, first 2 shown]
	ds_read2_b64 v[97:100], v127 offset1:1
	s_waitcnt lgkmcnt(0)
	v_cmp_neq_f64_e32 vcc, 0, v[97:98]
	v_cmp_neq_f64_e64 s[2:3], 0, v[99:100]
	s_or_b64 s[2:3], vcc, s[2:3]
	s_and_b64 exec, exec, s[2:3]
	s_cbranch_execz .LBB109_467
; %bb.462:
	v_cmp_ngt_f64_e64 s[2:3], |v[97:98]|, |v[99:100]|
                                        ; implicit-def: $vgpr101_vgpr102
	s_and_saveexec_b64 s[6:7], s[2:3]
	s_xor_b64 s[2:3], exec, s[6:7]
                                        ; implicit-def: $vgpr103_vgpr104
	s_cbranch_execz .LBB109_464
; %bb.463:
	v_div_scale_f64 v[101:102], s[6:7], v[99:100], v[99:100], v[97:98]
	v_rcp_f64_e32 v[103:104], v[101:102]
	v_fma_f64 v[105:106], -v[101:102], v[103:104], 1.0
	v_fma_f64 v[103:104], v[103:104], v[105:106], v[103:104]
	v_div_scale_f64 v[105:106], vcc, v[97:98], v[99:100], v[97:98]
	v_fma_f64 v[107:108], -v[101:102], v[103:104], 1.0
	v_fma_f64 v[103:104], v[103:104], v[107:108], v[103:104]
	v_mul_f64 v[107:108], v[105:106], v[103:104]
	v_fma_f64 v[101:102], -v[101:102], v[107:108], v[105:106]
	v_div_fmas_f64 v[101:102], v[101:102], v[103:104], v[107:108]
	v_div_fixup_f64 v[101:102], v[101:102], v[99:100], v[97:98]
	v_fma_f64 v[97:98], v[97:98], v[101:102], v[99:100]
	v_div_scale_f64 v[99:100], s[6:7], v[97:98], v[97:98], 1.0
	v_div_scale_f64 v[107:108], vcc, 1.0, v[97:98], 1.0
	v_rcp_f64_e32 v[103:104], v[99:100]
	v_fma_f64 v[105:106], -v[99:100], v[103:104], 1.0
	v_fma_f64 v[103:104], v[103:104], v[105:106], v[103:104]
	v_fma_f64 v[105:106], -v[99:100], v[103:104], 1.0
	v_fma_f64 v[103:104], v[103:104], v[105:106], v[103:104]
	v_mul_f64 v[105:106], v[107:108], v[103:104]
	v_fma_f64 v[99:100], -v[99:100], v[105:106], v[107:108]
	v_div_fmas_f64 v[99:100], v[99:100], v[103:104], v[105:106]
	v_div_fixup_f64 v[103:104], v[99:100], v[97:98], 1.0
                                        ; implicit-def: $vgpr97_vgpr98
	v_mul_f64 v[101:102], v[101:102], v[103:104]
	v_xor_b32_e32 v104, 0x80000000, v104
.LBB109_464:
	s_andn2_saveexec_b64 s[2:3], s[2:3]
	s_cbranch_execz .LBB109_466
; %bb.465:
	v_div_scale_f64 v[101:102], s[6:7], v[97:98], v[97:98], v[99:100]
	v_rcp_f64_e32 v[103:104], v[101:102]
	v_fma_f64 v[105:106], -v[101:102], v[103:104], 1.0
	v_fma_f64 v[103:104], v[103:104], v[105:106], v[103:104]
	v_div_scale_f64 v[105:106], vcc, v[99:100], v[97:98], v[99:100]
	v_fma_f64 v[107:108], -v[101:102], v[103:104], 1.0
	v_fma_f64 v[103:104], v[103:104], v[107:108], v[103:104]
	v_mul_f64 v[107:108], v[105:106], v[103:104]
	v_fma_f64 v[101:102], -v[101:102], v[107:108], v[105:106]
	v_div_fmas_f64 v[101:102], v[101:102], v[103:104], v[107:108]
	v_div_fixup_f64 v[103:104], v[101:102], v[97:98], v[99:100]
	v_fma_f64 v[97:98], v[99:100], v[103:104], v[97:98]
	v_div_scale_f64 v[99:100], s[6:7], v[97:98], v[97:98], 1.0
	v_div_scale_f64 v[107:108], vcc, 1.0, v[97:98], 1.0
	v_rcp_f64_e32 v[101:102], v[99:100]
	v_fma_f64 v[105:106], -v[99:100], v[101:102], 1.0
	v_fma_f64 v[101:102], v[101:102], v[105:106], v[101:102]
	v_fma_f64 v[105:106], -v[99:100], v[101:102], 1.0
	v_fma_f64 v[101:102], v[101:102], v[105:106], v[101:102]
	v_mul_f64 v[105:106], v[107:108], v[101:102]
	v_fma_f64 v[99:100], -v[99:100], v[105:106], v[107:108]
	v_div_fmas_f64 v[99:100], v[99:100], v[101:102], v[105:106]
	v_div_fixup_f64 v[101:102], v[99:100], v[97:98], 1.0
	v_mul_f64 v[103:104], v[103:104], -v[101:102]
.LBB109_466:
	s_or_b64 exec, exec, s[2:3]
	ds_write2_b64 v127, v[101:102], v[103:104] offset1:1
.LBB109_467:
	s_or_b64 exec, exec, s[4:5]
	s_waitcnt lgkmcnt(0)
	s_barrier
	ds_read2_b64 v[97:100], v127 offset1:1
	v_cmp_lt_u32_e32 vcc, 51, v0
	s_waitcnt lgkmcnt(0)
	buffer_store_dword v97, off, s[20:23], 0 offset:1712 ; 4-byte Folded Spill
	s_nop 0
	buffer_store_dword v98, off, s[20:23], 0 offset:1716 ; 4-byte Folded Spill
	buffer_store_dword v99, off, s[20:23], 0 offset:1720 ; 4-byte Folded Spill
	;; [unrolled: 1-line block ×3, first 2 shown]
	s_and_saveexec_b64 s[2:3], vcc
	s_cbranch_execz .LBB109_469
; %bb.468:
	buffer_load_dword v103, off, s[20:23], 0 offset:1712 ; 4-byte Folded Reload
	buffer_load_dword v104, off, s[20:23], 0 offset:1716 ; 4-byte Folded Reload
	;; [unrolled: 1-line block ×4, first 2 shown]
	s_waitcnt vmcnt(2)
	v_mul_f64 v[97:98], v[103:104], v[11:12]
	s_waitcnt vmcnt(0)
	v_mul_f64 v[11:12], v[105:106], v[11:12]
	v_fma_f64 v[101:102], v[105:106], v[9:10], v[97:98]
	ds_read2_b64 v[97:100], v125 offset0:104 offset1:105
	v_fma_f64 v[9:10], v[103:104], v[9:10], -v[11:12]
	s_waitcnt lgkmcnt(0)
	v_mul_f64 v[11:12], v[99:100], v[101:102]
	v_fma_f64 v[11:12], v[97:98], v[9:10], -v[11:12]
	v_mul_f64 v[97:98], v[97:98], v[101:102]
	v_add_f64 v[5:6], v[5:6], -v[11:12]
	v_fma_f64 v[97:98], v[99:100], v[9:10], v[97:98]
	v_add_f64 v[7:8], v[7:8], -v[97:98]
	ds_read2_b64 v[97:100], v125 offset0:106 offset1:107
	s_waitcnt lgkmcnt(0)
	v_mul_f64 v[11:12], v[99:100], v[101:102]
	v_fma_f64 v[11:12], v[97:98], v[9:10], -v[11:12]
	v_mul_f64 v[97:98], v[97:98], v[101:102]
	v_add_f64 v[1:2], v[1:2], -v[11:12]
	v_fma_f64 v[97:98], v[99:100], v[9:10], v[97:98]
	v_add_f64 v[3:4], v[3:4], -v[97:98]
	ds_read2_b64 v[97:100], v125 offset0:108 offset1:109
	s_waitcnt lgkmcnt(0)
	v_mul_f64 v[11:12], v[99:100], v[101:102]
	v_fma_f64 v[11:12], v[97:98], v[9:10], -v[11:12]
	v_mul_f64 v[97:98], v[97:98], v[101:102]
	v_add_f64 v[121:122], v[121:122], -v[11:12]
	v_fma_f64 v[97:98], v[99:100], v[9:10], v[97:98]
	v_mov_b32_e32 v11, v101
	v_mov_b32_e32 v12, v102
	v_add_f64 v[123:124], v[123:124], -v[97:98]
.LBB109_469:
	s_or_b64 exec, exec, s[2:3]
	v_cmp_eq_u32_e32 vcc, 52, v0
	s_waitcnt vmcnt(0)
	s_barrier
	s_and_saveexec_b64 s[4:5], vcc
	s_cbranch_execz .LBB109_476
; %bb.470:
	ds_write2_b64 v127, v[5:6], v[7:8] offset1:1
	ds_write2_b64 v125, v[1:2], v[3:4] offset0:106 offset1:107
	ds_write2_b64 v125, v[121:122], v[123:124] offset0:108 offset1:109
	ds_read2_b64 v[97:100], v127 offset1:1
	s_waitcnt lgkmcnt(0)
	v_cmp_neq_f64_e32 vcc, 0, v[97:98]
	v_cmp_neq_f64_e64 s[2:3], 0, v[99:100]
	s_or_b64 s[2:3], vcc, s[2:3]
	s_and_b64 exec, exec, s[2:3]
	s_cbranch_execz .LBB109_476
; %bb.471:
	v_cmp_ngt_f64_e64 s[2:3], |v[97:98]|, |v[99:100]|
                                        ; implicit-def: $vgpr101_vgpr102
	s_and_saveexec_b64 s[6:7], s[2:3]
	s_xor_b64 s[2:3], exec, s[6:7]
                                        ; implicit-def: $vgpr103_vgpr104
	s_cbranch_execz .LBB109_473
; %bb.472:
	v_div_scale_f64 v[101:102], s[6:7], v[99:100], v[99:100], v[97:98]
	v_rcp_f64_e32 v[103:104], v[101:102]
	v_fma_f64 v[105:106], -v[101:102], v[103:104], 1.0
	v_fma_f64 v[103:104], v[103:104], v[105:106], v[103:104]
	v_div_scale_f64 v[105:106], vcc, v[97:98], v[99:100], v[97:98]
	v_fma_f64 v[107:108], -v[101:102], v[103:104], 1.0
	v_fma_f64 v[103:104], v[103:104], v[107:108], v[103:104]
	v_mul_f64 v[107:108], v[105:106], v[103:104]
	v_fma_f64 v[101:102], -v[101:102], v[107:108], v[105:106]
	v_div_fmas_f64 v[101:102], v[101:102], v[103:104], v[107:108]
	v_div_fixup_f64 v[101:102], v[101:102], v[99:100], v[97:98]
	v_fma_f64 v[97:98], v[97:98], v[101:102], v[99:100]
	v_div_scale_f64 v[99:100], s[6:7], v[97:98], v[97:98], 1.0
	v_div_scale_f64 v[107:108], vcc, 1.0, v[97:98], 1.0
	v_rcp_f64_e32 v[103:104], v[99:100]
	v_fma_f64 v[105:106], -v[99:100], v[103:104], 1.0
	v_fma_f64 v[103:104], v[103:104], v[105:106], v[103:104]
	v_fma_f64 v[105:106], -v[99:100], v[103:104], 1.0
	v_fma_f64 v[103:104], v[103:104], v[105:106], v[103:104]
	v_mul_f64 v[105:106], v[107:108], v[103:104]
	v_fma_f64 v[99:100], -v[99:100], v[105:106], v[107:108]
	v_div_fmas_f64 v[99:100], v[99:100], v[103:104], v[105:106]
	v_div_fixup_f64 v[103:104], v[99:100], v[97:98], 1.0
                                        ; implicit-def: $vgpr97_vgpr98
	v_mul_f64 v[101:102], v[101:102], v[103:104]
	v_xor_b32_e32 v104, 0x80000000, v104
.LBB109_473:
	s_andn2_saveexec_b64 s[2:3], s[2:3]
	s_cbranch_execz .LBB109_475
; %bb.474:
	v_div_scale_f64 v[101:102], s[6:7], v[97:98], v[97:98], v[99:100]
	v_rcp_f64_e32 v[103:104], v[101:102]
	v_fma_f64 v[105:106], -v[101:102], v[103:104], 1.0
	v_fma_f64 v[103:104], v[103:104], v[105:106], v[103:104]
	v_div_scale_f64 v[105:106], vcc, v[99:100], v[97:98], v[99:100]
	v_fma_f64 v[107:108], -v[101:102], v[103:104], 1.0
	v_fma_f64 v[103:104], v[103:104], v[107:108], v[103:104]
	v_mul_f64 v[107:108], v[105:106], v[103:104]
	v_fma_f64 v[101:102], -v[101:102], v[107:108], v[105:106]
	v_div_fmas_f64 v[101:102], v[101:102], v[103:104], v[107:108]
	v_div_fixup_f64 v[103:104], v[101:102], v[97:98], v[99:100]
	v_fma_f64 v[97:98], v[99:100], v[103:104], v[97:98]
	v_div_scale_f64 v[99:100], s[6:7], v[97:98], v[97:98], 1.0
	v_div_scale_f64 v[107:108], vcc, 1.0, v[97:98], 1.0
	v_rcp_f64_e32 v[101:102], v[99:100]
	v_fma_f64 v[105:106], -v[99:100], v[101:102], 1.0
	v_fma_f64 v[101:102], v[101:102], v[105:106], v[101:102]
	v_fma_f64 v[105:106], -v[99:100], v[101:102], 1.0
	v_fma_f64 v[101:102], v[101:102], v[105:106], v[101:102]
	v_mul_f64 v[105:106], v[107:108], v[101:102]
	v_fma_f64 v[99:100], -v[99:100], v[105:106], v[107:108]
	v_div_fmas_f64 v[99:100], v[99:100], v[101:102], v[105:106]
	v_div_fixup_f64 v[101:102], v[99:100], v[97:98], 1.0
	v_mul_f64 v[103:104], v[103:104], -v[101:102]
.LBB109_475:
	s_or_b64 exec, exec, s[2:3]
	ds_write2_b64 v127, v[101:102], v[103:104] offset1:1
.LBB109_476:
	s_or_b64 exec, exec, s[4:5]
	s_waitcnt lgkmcnt(0)
	s_barrier
	ds_read2_b64 v[101:104], v127 offset1:1
	v_cmp_lt_u32_e32 vcc, 52, v0
	s_and_saveexec_b64 s[2:3], vcc
	s_cbranch_execz .LBB109_478
; %bb.477:
	s_waitcnt lgkmcnt(0)
	v_mul_f64 v[97:98], v[101:102], v[7:8]
	v_mul_f64 v[7:8], v[103:104], v[7:8]
	v_fma_f64 v[105:106], v[103:104], v[5:6], v[97:98]
	ds_read2_b64 v[97:100], v125 offset0:106 offset1:107
	v_fma_f64 v[5:6], v[101:102], v[5:6], -v[7:8]
	s_waitcnt lgkmcnt(0)
	v_mul_f64 v[7:8], v[99:100], v[105:106]
	v_fma_f64 v[7:8], v[97:98], v[5:6], -v[7:8]
	v_mul_f64 v[97:98], v[97:98], v[105:106]
	v_add_f64 v[1:2], v[1:2], -v[7:8]
	v_fma_f64 v[97:98], v[99:100], v[5:6], v[97:98]
	v_add_f64 v[3:4], v[3:4], -v[97:98]
	ds_read2_b64 v[97:100], v125 offset0:108 offset1:109
	s_waitcnt lgkmcnt(0)
	v_mul_f64 v[7:8], v[99:100], v[105:106]
	v_fma_f64 v[7:8], v[97:98], v[5:6], -v[7:8]
	v_mul_f64 v[97:98], v[97:98], v[105:106]
	v_add_f64 v[121:122], v[121:122], -v[7:8]
	v_fma_f64 v[97:98], v[99:100], v[5:6], v[97:98]
	v_mov_b32_e32 v7, v105
	v_mov_b32_e32 v8, v106
	v_add_f64 v[123:124], v[123:124], -v[97:98]
.LBB109_478:
	s_or_b64 exec, exec, s[2:3]
	s_waitcnt lgkmcnt(0)
	s_barrier
	v_cmp_eq_u32_e32 vcc, 53, v0
	s_mov_b64 s[4:5], exec
	s_and_b64 s[2:3], s[4:5], vcc
	buffer_store_dword v93, off, s[20:23], 0 offset:904 ; 4-byte Folded Spill
	s_nop 0
	buffer_store_dword v94, off, s[20:23], 0 offset:908 ; 4-byte Folded Spill
	buffer_store_dword v95, off, s[20:23], 0 offset:912 ; 4-byte Folded Spill
	;; [unrolled: 1-line block ×3, first 2 shown]
	s_mov_b64 exec, s[2:3]
	s_cbranch_execz .LBB109_485
; %bb.479:
	ds_write2_b64 v127, v[1:2], v[3:4] offset1:1
	ds_write2_b64 v125, v[121:122], v[123:124] offset0:108 offset1:109
	ds_read2_b64 v[97:100], v127 offset1:1
	s_waitcnt lgkmcnt(0)
	v_cmp_neq_f64_e32 vcc, 0, v[97:98]
	v_cmp_neq_f64_e64 s[2:3], 0, v[99:100]
	s_or_b64 s[2:3], vcc, s[2:3]
	s_and_b64 exec, exec, s[2:3]
	s_cbranch_execz .LBB109_485
; %bb.480:
	v_cmp_ngt_f64_e64 s[2:3], |v[97:98]|, |v[99:100]|
                                        ; implicit-def: $vgpr105_vgpr106
	s_and_saveexec_b64 s[6:7], s[2:3]
	s_xor_b64 s[2:3], exec, s[6:7]
                                        ; implicit-def: $vgpr107_vgpr108
	s_cbranch_execz .LBB109_482
; %bb.481:
	v_div_scale_f64 v[105:106], s[6:7], v[99:100], v[99:100], v[97:98]
	v_div_scale_f64 v[95:96], vcc, v[97:98], v[99:100], v[97:98]
	v_rcp_f64_e32 v[107:108], v[105:106]
	v_fma_f64 v[93:94], -v[105:106], v[107:108], 1.0
	v_fma_f64 v[93:94], v[107:108], v[93:94], v[107:108]
	v_fma_f64 v[107:108], -v[105:106], v[93:94], 1.0
	v_fma_f64 v[93:94], v[93:94], v[107:108], v[93:94]
	v_mul_f64 v[107:108], v[95:96], v[93:94]
	v_fma_f64 v[95:96], -v[105:106], v[107:108], v[95:96]
	v_div_fmas_f64 v[93:94], v[95:96], v[93:94], v[107:108]
	v_div_fixup_f64 v[93:94], v[93:94], v[99:100], v[97:98]
	v_fma_f64 v[95:96], v[97:98], v[93:94], v[99:100]
	v_div_scale_f64 v[97:98], s[6:7], v[95:96], v[95:96], 1.0
	v_div_scale_f64 v[107:108], vcc, 1.0, v[95:96], 1.0
	v_rcp_f64_e32 v[99:100], v[97:98]
	v_fma_f64 v[105:106], -v[97:98], v[99:100], 1.0
	v_fma_f64 v[99:100], v[99:100], v[105:106], v[99:100]
	v_fma_f64 v[105:106], -v[97:98], v[99:100], 1.0
	v_fma_f64 v[99:100], v[99:100], v[105:106], v[99:100]
	v_mul_f64 v[105:106], v[107:108], v[99:100]
	v_fma_f64 v[97:98], -v[97:98], v[105:106], v[107:108]
	v_div_fmas_f64 v[97:98], v[97:98], v[99:100], v[105:106]
	v_div_fixup_f64 v[107:108], v[97:98], v[95:96], 1.0
                                        ; implicit-def: $vgpr97_vgpr98
	v_mul_f64 v[105:106], v[93:94], v[107:108]
	v_xor_b32_e32 v108, 0x80000000, v108
.LBB109_482:
	s_andn2_saveexec_b64 s[2:3], s[2:3]
	s_cbranch_execz .LBB109_484
; %bb.483:
	v_div_scale_f64 v[93:94], s[6:7], v[97:98], v[97:98], v[99:100]
	v_rcp_f64_e32 v[95:96], v[93:94]
	v_fma_f64 v[105:106], -v[93:94], v[95:96], 1.0
	v_fma_f64 v[95:96], v[95:96], v[105:106], v[95:96]
	v_div_scale_f64 v[105:106], vcc, v[99:100], v[97:98], v[99:100]
	v_fma_f64 v[107:108], -v[93:94], v[95:96], 1.0
	v_fma_f64 v[95:96], v[95:96], v[107:108], v[95:96]
	v_mul_f64 v[107:108], v[105:106], v[95:96]
	v_fma_f64 v[93:94], -v[93:94], v[107:108], v[105:106]
	v_div_fmas_f64 v[93:94], v[93:94], v[95:96], v[107:108]
	v_div_fixup_f64 v[93:94], v[93:94], v[97:98], v[99:100]
	v_fma_f64 v[95:96], v[99:100], v[93:94], v[97:98]
	v_div_scale_f64 v[97:98], s[6:7], v[95:96], v[95:96], 1.0
	v_div_scale_f64 v[107:108], vcc, 1.0, v[95:96], 1.0
	v_rcp_f64_e32 v[99:100], v[97:98]
	v_fma_f64 v[105:106], -v[97:98], v[99:100], 1.0
	v_fma_f64 v[99:100], v[99:100], v[105:106], v[99:100]
	v_fma_f64 v[105:106], -v[97:98], v[99:100], 1.0
	v_fma_f64 v[99:100], v[99:100], v[105:106], v[99:100]
	v_mul_f64 v[105:106], v[107:108], v[99:100]
	v_fma_f64 v[97:98], -v[97:98], v[105:106], v[107:108]
	v_div_fmas_f64 v[97:98], v[97:98], v[99:100], v[105:106]
	v_div_fixup_f64 v[105:106], v[97:98], v[95:96], 1.0
	v_mul_f64 v[107:108], v[93:94], -v[105:106]
.LBB109_484:
	s_or_b64 exec, exec, s[2:3]
	ds_write2_b64 v127, v[105:106], v[107:108] offset1:1
.LBB109_485:
	s_or_b64 exec, exec, s[4:5]
	s_waitcnt vmcnt(0) lgkmcnt(0)
	s_barrier
	ds_read2_b64 v[97:100], v127 offset1:1
	v_cmp_lt_u32_e32 vcc, 53, v0
	s_and_saveexec_b64 s[2:3], vcc
	s_cbranch_execz .LBB109_487
; %bb.486:
	s_waitcnt lgkmcnt(0)
	v_mul_f64 v[93:94], v[97:98], v[3:4]
	v_mul_f64 v[3:4], v[99:100], v[3:4]
	ds_read2_b64 v[105:108], v125 offset0:108 offset1:109
	v_fma_f64 v[93:94], v[99:100], v[1:2], v[93:94]
	v_fma_f64 v[1:2], v[97:98], v[1:2], -v[3:4]
	s_waitcnt lgkmcnt(0)
	v_mul_f64 v[3:4], v[107:108], v[93:94]
	v_mul_f64 v[95:96], v[105:106], v[93:94]
	v_fma_f64 v[3:4], v[105:106], v[1:2], -v[3:4]
	v_fma_f64 v[95:96], v[107:108], v[1:2], v[95:96]
	v_add_f64 v[121:122], v[121:122], -v[3:4]
	v_add_f64 v[123:124], v[123:124], -v[95:96]
	v_mov_b32_e32 v3, v93
	v_mov_b32_e32 v4, v94
.LBB109_487:
	s_or_b64 exec, exec, s[2:3]
	v_cmp_eq_u32_e32 vcc, 54, v0
	s_waitcnt lgkmcnt(0)
	s_barrier
	s_and_saveexec_b64 s[4:5], vcc
	s_cbranch_execz .LBB109_494
; %bb.488:
	v_cmp_neq_f64_e32 vcc, 0, v[121:122]
	v_cmp_neq_f64_e64 s[2:3], 0, v[123:124]
	ds_write2_b64 v127, v[121:122], v[123:124] offset1:1
	s_or_b64 s[2:3], vcc, s[2:3]
	s_and_b64 exec, exec, s[2:3]
	s_cbranch_execz .LBB109_494
; %bb.489:
	v_cmp_ngt_f64_e64 s[2:3], |v[121:122]|, |v[123:124]|
                                        ; implicit-def: $vgpr105_vgpr106
	s_mov_b64 s[6:7], exec
	s_and_b64 s[8:9], s[6:7], s[2:3]
	s_xor_b64 s[2:3], s[8:9], s[6:7]
                                        ; implicit-def: $vgpr107_vgpr108
	buffer_store_dword v97, off, s[20:23], 0 offset:1736 ; 4-byte Folded Spill
	s_nop 0
	buffer_store_dword v98, off, s[20:23], 0 offset:1740 ; 4-byte Folded Spill
	buffer_store_dword v99, off, s[20:23], 0 offset:1744 ; 4-byte Folded Spill
	;; [unrolled: 1-line block ×3, first 2 shown]
	s_mov_b64 exec, s[8:9]
	s_cbranch_execz .LBB109_491
; %bb.490:
	v_div_scale_f64 v[93:94], s[6:7], v[123:124], v[123:124], v[121:122]
	v_mov_b32_e32 v97, v101
	v_mov_b32_e32 v98, v102
	;; [unrolled: 1-line block ×8, first 2 shown]
	v_rcp_f64_e32 v[95:96], v[93:94]
	v_fma_f64 v[105:106], -v[93:94], v[95:96], 1.0
	v_fma_f64 v[95:96], v[95:96], v[105:106], v[95:96]
	v_div_scale_f64 v[105:106], vcc, v[121:122], v[123:124], v[121:122]
	v_fma_f64 v[107:108], -v[93:94], v[95:96], 1.0
	v_fma_f64 v[95:96], v[95:96], v[107:108], v[95:96]
	v_mul_f64 v[107:108], v[105:106], v[95:96]
	v_fma_f64 v[93:94], -v[93:94], v[107:108], v[105:106]
	v_div_fmas_f64 v[93:94], v[93:94], v[95:96], v[107:108]
	v_div_fixup_f64 v[93:94], v[93:94], v[123:124], v[121:122]
	v_fma_f64 v[95:96], v[121:122], v[93:94], v[123:124]
	v_mov_b32_e32 v124, v112
	v_mov_b32_e32 v123, v111
	;; [unrolled: 1-line block ×7, first 2 shown]
	v_div_scale_f64 v[105:106], s[6:7], v[95:96], v[95:96], 1.0
	v_mov_b32_e32 v109, v1
	v_mov_b32_e32 v1, v5
	;; [unrolled: 1-line block ×14, first 2 shown]
	v_rcp_f64_e32 v[107:108], v[105:106]
	v_mov_b32_e32 v14, v18
	v_mov_b32_e32 v15, v19
	;; [unrolled: 1-line block ×15, first 2 shown]
	v_fma_f64 v[125:126], -v[105:106], v[107:108], 1.0
	v_mov_b32_e32 v29, v33
	v_mov_b32_e32 v30, v34
	;; [unrolled: 1-line block ×29, first 2 shown]
	v_fma_f64 v[107:108], v[107:108], v[125:126], v[107:108]
	v_mov_b32_e32 v54, v58
	v_mov_b32_e32 v55, v59
	;; [unrolled: 1-line block ×32, first 2 shown]
	v_fma_f64 v[125:126], -v[105:106], v[107:108], 1.0
	v_mov_b32_e32 v90, v118
	v_mov_b32_e32 v91, v119
	;; [unrolled: 1-line block ×3, first 2 shown]
	v_div_scale_f64 v[117:118], vcc, 1.0, v[95:96], 1.0
	v_fma_f64 v[107:108], v[107:108], v[125:126], v[107:108]
	v_mul_f64 v[119:120], v[117:118], v[107:108]
	v_fma_f64 v[105:106], -v[105:106], v[119:120], v[117:118]
	s_nop 0
	v_div_fmas_f64 v[105:106], v[105:106], v[107:108], v[119:120]
	v_mov_b32_e32 v120, v92
	v_mov_b32_e32 v119, v91
	;; [unrolled: 1-line block ×108, first 2 shown]
	buffer_load_dword v97, off, s[20:23], 0 offset:1736 ; 4-byte Folded Reload
	buffer_load_dword v98, off, s[20:23], 0 offset:1740 ; 4-byte Folded Reload
	;; [unrolled: 1-line block ×4, first 2 shown]
	v_div_fixup_f64 v[107:108], v[105:106], v[95:96], 1.0
	v_mul_f64 v[105:106], v[93:94], v[107:108]
	v_xor_b32_e32 v108, 0x80000000, v108
.LBB109_491:
	s_andn2_saveexec_b64 s[2:3], s[2:3]
	s_cbranch_execz .LBB109_493
; %bb.492:
	v_div_scale_f64 v[93:94], s[6:7], v[121:122], v[121:122], v[123:124]
	s_waitcnt vmcnt(0)
	v_mov_b32_e32 v97, v101
	v_mov_b32_e32 v98, v102
	;; [unrolled: 1-line block ×8, first 2 shown]
	v_rcp_f64_e32 v[95:96], v[93:94]
	v_fma_f64 v[105:106], -v[93:94], v[95:96], 1.0
	v_fma_f64 v[95:96], v[95:96], v[105:106], v[95:96]
	v_div_scale_f64 v[105:106], vcc, v[123:124], v[121:122], v[123:124]
	v_fma_f64 v[107:108], -v[93:94], v[95:96], 1.0
	v_fma_f64 v[95:96], v[95:96], v[107:108], v[95:96]
	v_mul_f64 v[107:108], v[105:106], v[95:96]
	v_fma_f64 v[93:94], -v[93:94], v[107:108], v[105:106]
	v_div_fmas_f64 v[93:94], v[93:94], v[95:96], v[107:108]
	v_div_fixup_f64 v[93:94], v[93:94], v[121:122], v[123:124]
	v_fma_f64 v[95:96], v[123:124], v[93:94], v[121:122]
	v_mov_b32_e32 v124, v112
	v_mov_b32_e32 v123, v111
	;; [unrolled: 1-line block ×7, first 2 shown]
	v_div_scale_f64 v[105:106], s[6:7], v[95:96], v[95:96], 1.0
	v_mov_b32_e32 v109, v1
	v_mov_b32_e32 v1, v5
	;; [unrolled: 1-line block ×26, first 2 shown]
	v_rcp_f64_e32 v[107:108], v[105:106]
	v_mov_b32_e32 v26, v30
	v_mov_b32_e32 v27, v31
	;; [unrolled: 1-line block ×67, first 2 shown]
	v_fma_f64 v[117:118], -v[105:106], v[107:108], 1.0
	v_div_scale_f64 v[119:120], vcc, 1.0, v[95:96], 1.0
	v_fma_f64 v[107:108], v[107:108], v[117:118], v[107:108]
	v_fma_f64 v[117:118], -v[105:106], v[107:108], 1.0
	v_fma_f64 v[107:108], v[107:108], v[117:118], v[107:108]
	v_mul_f64 v[117:118], v[119:120], v[107:108]
	v_fma_f64 v[105:106], -v[105:106], v[117:118], v[119:120]
	v_div_fmas_f64 v[105:106], v[105:106], v[107:108], v[117:118]
	v_mov_b32_e32 v120, v92
	v_mov_b32_e32 v119, v91
	;; [unrolled: 1-line block ×108, first 2 shown]
	buffer_load_dword v97, off, s[20:23], 0 offset:1736 ; 4-byte Folded Reload
	buffer_load_dword v98, off, s[20:23], 0 offset:1740 ; 4-byte Folded Reload
	;; [unrolled: 1-line block ×4, first 2 shown]
	v_div_fixup_f64 v[105:106], v[105:106], v[95:96], 1.0
	v_mul_f64 v[107:108], v[93:94], -v[105:106]
.LBB109_493:
	s_or_b64 exec, exec, s[2:3]
	ds_write2_b64 v127, v[105:106], v[107:108] offset1:1
.LBB109_494:
	s_or_b64 exec, exec, s[4:5]
	s_waitcnt vmcnt(0) lgkmcnt(0)
	s_barrier
	ds_read2_b64 v[105:108], v127 offset1:1
	s_waitcnt lgkmcnt(0)
	s_barrier
	s_and_saveexec_b64 s[2:3], s[0:1]
	s_cbranch_execz .LBB109_497
; %bb.495:
	buffer_load_dword v93, off, s[20:23], 0 offset:936 ; 4-byte Folded Reload
	buffer_load_dword v94, off, s[20:23], 0 offset:940 ; 4-byte Folded Reload
	;; [unrolled: 1-line block ×4, first 2 shown]
	s_nop 0
	buffer_store_dword v81, off, s[20:23], 0 offset:936 ; 4-byte Folded Spill
	s_nop 0
	buffer_store_dword v82, off, s[20:23], 0 offset:940 ; 4-byte Folded Spill
	buffer_store_dword v83, off, s[20:23], 0 offset:944 ; 4-byte Folded Spill
	;; [unrolled: 1-line block ×3, first 2 shown]
	v_mov_b32_e32 v81, v89
	v_mov_b32_e32 v82, v90
	;; [unrolled: 1-line block ×8, first 2 shown]
	buffer_load_dword v117, off, s[20:23], 0 offset:952 ; 4-byte Folded Reload
	buffer_load_dword v118, off, s[20:23], 0 offset:956 ; 4-byte Folded Reload
	;; [unrolled: 1-line block ×4, first 2 shown]
	s_waitcnt vmcnt(10)
	v_cmp_eq_f64_e32 vcc, 0, v[93:94]
	s_waitcnt vmcnt(8)
	v_cmp_eq_f64_e64 s[0:1], 0, v[95:96]
	s_and_b64 s[4:5], vcc, s[0:1]
	s_waitcnt vmcnt(2)
	v_cmp_neq_f64_e32 vcc, 0, v[117:118]
	s_waitcnt vmcnt(0)
	v_cmp_neq_f64_e64 s[0:1], 0, v[119:120]
	v_cndmask_b32_e64 v93, 0, 1, s[4:5]
	s_or_b64 s[0:1], vcc, s[0:1]
	s_or_b64 vcc, s[0:1], s[4:5]
	v_cndmask_b32_e32 v93, 2, v93, vcc
	v_cmp_eq_f64_e32 vcc, 0, v[87:88]
	v_cmp_eq_f64_e64 s[0:1], 0, v[89:90]
	buffer_load_dword v87, off, s[20:23], 0 offset:992 ; 4-byte Folded Reload
	buffer_load_dword v88, off, s[20:23], 0 offset:996 ; 4-byte Folded Reload
	buffer_load_dword v89, off, s[20:23], 0 offset:1000 ; 4-byte Folded Reload
	buffer_load_dword v90, off, s[20:23], 0 offset:1004 ; 4-byte Folded Reload
	s_and_b64 s[0:1], vcc, s[0:1]
	v_cmp_eq_u32_e32 vcc, 0, v93
	s_and_b64 s[0:1], s[0:1], vcc
	v_cndmask_b32_e64 v93, v93, 3, s[0:1]
	s_waitcnt vmcnt(2)
	v_cmp_eq_f64_e32 vcc, 0, v[87:88]
	s_waitcnt vmcnt(0)
	v_cmp_eq_f64_e64 s[0:1], 0, v[89:90]
	buffer_load_dword v87, off, s[20:23], 0 offset:1008 ; 4-byte Folded Reload
	buffer_load_dword v88, off, s[20:23], 0 offset:1012 ; 4-byte Folded Reload
	buffer_load_dword v89, off, s[20:23], 0 offset:1016 ; 4-byte Folded Reload
	buffer_load_dword v90, off, s[20:23], 0 offset:1020 ; 4-byte Folded Reload
	s_and_b64 s[0:1], vcc, s[0:1]
	v_cmp_eq_u32_e32 vcc, 0, v93
	s_and_b64 s[0:1], s[0:1], vcc
	v_cndmask_b32_e64 v93, v93, 4, s[0:1]
	s_waitcnt vmcnt(2)
	v_cmp_eq_f64_e32 vcc, 0, v[87:88]
	s_waitcnt vmcnt(0)
	;; [unrolled: 12-line block ×29, first 2 shown]
	v_cmp_eq_f64_e64 s[0:1], 0, v[89:90]
	s_and_b64 s[0:1], vcc, s[0:1]
	v_cmp_eq_u32_e32 vcc, 0, v93
	s_and_b64 s[0:1], s[0:1], vcc
	v_cndmask_b32_e64 v93, v93, 32, s[0:1]
	v_cmp_eq_f64_e32 vcc, 0, v[81:82]
	v_cmp_eq_f64_e64 s[0:1], 0, v[83:84]
	buffer_load_dword v81, off, s[20:23], 0 offset:936 ; 4-byte Folded Reload
	buffer_load_dword v82, off, s[20:23], 0 offset:940 ; 4-byte Folded Reload
	;; [unrolled: 1-line block ×8, first 2 shown]
	s_and_b64 s[0:1], vcc, s[0:1]
	v_cmp_eq_u32_e32 vcc, 0, v93
	s_and_b64 s[0:1], s[0:1], vcc
	v_cndmask_b32_e64 v93, v93, 33, s[0:1]
	v_cmp_eq_f64_e32 vcc, 0, v[113:114]
	v_cmp_eq_f64_e64 s[0:1], 0, v[115:116]
	s_and_b64 s[0:1], vcc, s[0:1]
	v_cmp_eq_u32_e32 vcc, 0, v93
	s_and_b64 s[0:1], s[0:1], vcc
	v_cndmask_b32_e64 v93, v93, 34, s[0:1]
	v_cmp_eq_f64_e32 vcc, 0, v[109:110]
	v_cmp_eq_f64_e64 s[0:1], 0, v[111:112]
	s_and_b64 s[0:1], vcc, s[0:1]
	v_cmp_eq_u32_e32 vcc, 0, v93
	s_and_b64 s[0:1], s[0:1], vcc
	v_cndmask_b32_e64 v93, v93, 35, s[0:1]
	s_waitcnt vmcnt(2)
	v_cmp_eq_f64_e32 vcc, 0, v[87:88]
	s_waitcnt vmcnt(0)
	v_cmp_eq_f64_e64 s[0:1], 0, v[89:90]
	buffer_load_dword v87, off, s[20:23], 0 offset:1472 ; 4-byte Folded Reload
	buffer_load_dword v88, off, s[20:23], 0 offset:1476 ; 4-byte Folded Reload
	buffer_load_dword v89, off, s[20:23], 0 offset:1480 ; 4-byte Folded Reload
	buffer_load_dword v90, off, s[20:23], 0 offset:1484 ; 4-byte Folded Reload
	s_and_b64 s[0:1], vcc, s[0:1]
	v_cmp_eq_u32_e32 vcc, 0, v93
	s_and_b64 s[0:1], s[0:1], vcc
	v_cndmask_b32_e64 v93, v93, 36, s[0:1]
	s_waitcnt vmcnt(2)
	v_cmp_eq_f64_e32 vcc, 0, v[87:88]
	s_waitcnt vmcnt(0)
	v_cmp_eq_f64_e64 s[0:1], 0, v[89:90]
	buffer_load_dword v87, off, s[20:23], 0 offset:1488 ; 4-byte Folded Reload
	buffer_load_dword v88, off, s[20:23], 0 offset:1492 ; 4-byte Folded Reload
	buffer_load_dword v89, off, s[20:23], 0 offset:1496 ; 4-byte Folded Reload
	buffer_load_dword v90, off, s[20:23], 0 offset:1500 ; 4-byte Folded Reload
	;; [unrolled: 12-line block ×16, first 2 shown]
	s_and_b64 s[0:1], vcc, s[0:1]
	v_cmp_eq_u32_e32 vcc, 0, v93
	s_and_b64 s[0:1], s[0:1], vcc
	v_cndmask_b32_e64 v93, v93, 51, s[0:1]
	s_waitcnt vmcnt(2)
	v_cmp_eq_f64_e32 vcc, 0, v[87:88]
	buffer_load_dword v87, off, s[20:23], 0 offset:1728 ; 4-byte Folded Reload
	buffer_load_dword v88, off, s[20:23], 0 offset:1732 ; 4-byte Folded Reload
	s_waitcnt vmcnt(2)
	v_cmp_eq_f64_e64 s[0:1], 0, v[89:90]
	s_and_b64 s[0:1], vcc, s[0:1]
	v_cmp_eq_u32_e32 vcc, 0, v93
	s_and_b64 s[0:1], s[0:1], vcc
	v_cndmask_b32_e64 v93, v93, 52, s[0:1]
	v_cmp_eq_f64_e32 vcc, 0, v[101:102]
	v_cmp_eq_f64_e64 s[0:1], 0, v[103:104]
	s_and_b64 s[0:1], vcc, s[0:1]
	v_cmp_eq_u32_e32 vcc, 0, v93
	s_and_b64 s[0:1], s[0:1], vcc
	v_cndmask_b32_e64 v93, v93, 53, s[0:1]
	v_cmp_eq_f64_e32 vcc, 0, v[97:98]
	;; [unrolled: 6-line block ×3, first 2 shown]
	v_cmp_eq_f64_e64 s[0:1], 0, v[107:108]
	s_and_b64 s[0:1], vcc, s[0:1]
	v_cmp_eq_u32_e32 vcc, 0, v93
	s_and_b64 s[0:1], s[0:1], vcc
	v_cndmask_b32_e64 v99, v93, 55, s[0:1]
	v_cmp_ne_u32_e64 s[0:1], 0, v99
	s_waitcnt vmcnt(0)
	v_lshlrev_b64 v[93:94], 2, v[87:88]
	v_add_co_u32_e32 v97, vcc, s10, v93
	v_mov_b32_e32 v93, s11
	v_addc_co_u32_e32 v98, vcc, v93, v94, vcc
	global_load_dword v93, v[97:98], off
	s_waitcnt vmcnt(0)
	v_cmp_eq_u32_e32 vcc, 0, v93
	s_and_b64 s[0:1], vcc, s[0:1]
	s_and_b64 exec, exec, s[0:1]
	s_cbranch_execz .LBB109_497
; %bb.496:
	v_add_u32_e32 v93, s13, v99
	global_store_dword v[97:98], v93, off
.LBB109_497:
	s_or_b64 exec, exec, s[2:3]
	buffer_load_dword v87, off, s[20:23], 0 offset:920 ; 4-byte Folded Reload
	buffer_load_dword v88, off, s[20:23], 0 offset:924 ; 4-byte Folded Reload
	;; [unrolled: 1-line block ×6, first 2 shown]
	v_cmp_lt_u32_e32 vcc, 54, v0
	s_waitcnt vmcnt(0)
	global_store_dwordx4 v[87:88], v[93:96], off
	buffer_load_dword v87, off, s[20:23], 0 offset:928 ; 4-byte Folded Reload
	s_nop 0
	buffer_load_dword v88, off, s[20:23], 0 offset:932 ; 4-byte Folded Reload
	buffer_load_dword v93, off, s[20:23], 0 offset:480 ; 4-byte Folded Reload
	buffer_load_dword v94, off, s[20:23], 0 offset:484 ; 4-byte Folded Reload
	buffer_load_dword v95, off, s[20:23], 0 offset:488 ; 4-byte Folded Reload
	buffer_load_dword v96, off, s[20:23], 0 offset:492 ; 4-byte Folded Reload
	s_waitcnt vmcnt(0)
	global_store_dwordx4 v[87:88], v[93:96], off
	buffer_load_dword v87, off, s[20:23], 0 offset:888 ; 4-byte Folded Reload
	s_nop 0
	buffer_load_dword v88, off, s[20:23], 0 offset:892 ; 4-byte Folded Reload
	buffer_load_dword v93, off, s[20:23], 0 offset:464 ; 4-byte Folded Reload
	buffer_load_dword v94, off, s[20:23], 0 offset:468 ; 4-byte Folded Reload
	buffer_load_dword v95, off, s[20:23], 0 offset:472 ; 4-byte Folded Reload
	buffer_load_dword v96, off, s[20:23], 0 offset:476 ; 4-byte Folded Reload
	;; [unrolled: 9-line block ×5, first 2 shown]
	v_mul_f64 v[95:96], v[107:108], v[123:124]
	v_fma_f64 v[95:96], v[105:106], v[121:122], -v[95:96]
	v_cndmask_b32_e32 v98, v122, v96, vcc
	v_cndmask_b32_e32 v97, v121, v95, vcc
	s_waitcnt vmcnt(0)
	global_store_dwordx4 v[87:88], v[91:94], off
	buffer_load_dword v87, off, s[20:23], 0 offset:512 ; 4-byte Folded Reload
	s_nop 0
	buffer_load_dword v88, off, s[20:23], 0 offset:516 ; 4-byte Folded Reload
	buffer_load_dword v89, off, s[20:23], 0 offset:400 ; 4-byte Folded Reload
	;; [unrolled: 1-line block ×5, first 2 shown]
	v_mul_f64 v[93:94], v[105:106], v[123:124]
	v_fma_f64 v[93:94], v[107:108], v[121:122], v[93:94]
	v_cndmask_b32_e32 v100, v124, v94, vcc
	v_cndmask_b32_e32 v99, v123, v93, vcc
	s_waitcnt vmcnt(0)
	global_store_dwordx4 v[87:88], v[89:92], off
	buffer_load_dword v87, off, s[20:23], 0 offset:384 ; 4-byte Folded Reload
	s_nop 0
	buffer_load_dword v88, off, s[20:23], 0 offset:388 ; 4-byte Folded Reload
	buffer_load_dword v89, off, s[20:23], 0 offset:392 ; 4-byte Folded Reload
	buffer_load_dword v90, off, s[20:23], 0 offset:396 ; 4-byte Folded Reload
	s_waitcnt vmcnt(0)
	global_store_dwordx4 v[85:86], v[87:90], off
	buffer_load_dword v85, off, s[20:23], 0 offset:520 ; 4-byte Folded Reload
	s_nop 0
	buffer_load_dword v86, off, s[20:23], 0 offset:524 ; 4-byte Folded Reload
	buffer_load_dword v87, off, s[20:23], 0 offset:368 ; 4-byte Folded Reload
	buffer_load_dword v88, off, s[20:23], 0 offset:372 ; 4-byte Folded Reload
	buffer_load_dword v89, off, s[20:23], 0 offset:376 ; 4-byte Folded Reload
	buffer_load_dword v90, off, s[20:23], 0 offset:380 ; 4-byte Folded Reload
	s_waitcnt vmcnt(0)
	global_store_dwordx4 v[85:86], v[87:90], off
	buffer_load_dword v85, off, s[20:23], 0 offset:528 ; 4-byte Folded Reload
	s_nop 0
	buffer_load_dword v86, off, s[20:23], 0 offset:532 ; 4-byte Folded Reload
	buffer_load_dword v87, off, s[20:23], 0 offset:352 ; 4-byte Folded Reload
	;; [unrolled: 9-line block ×23, first 2 shown]
	buffer_load_dword v88, off, s[20:23], 0 offset:20 ; 4-byte Folded Reload
	buffer_load_dword v89, off, s[20:23], 0 offset:24 ; 4-byte Folded Reload
	;; [unrolled: 1-line block ×3, first 2 shown]
	s_waitcnt vmcnt(0)
	global_store_dwordx4 v[85:86], v[87:90], off
	buffer_load_dword v85, off, s[20:23], 0 offset:704 ; 4-byte Folded Reload
	s_nop 0
	buffer_load_dword v86, off, s[20:23], 0 offset:708 ; 4-byte Folded Reload
	buffer_load_dword v87, off, s[20:23], 0 ; 4-byte Folded Reload
	buffer_load_dword v88, off, s[20:23], 0 offset:4 ; 4-byte Folded Reload
	buffer_load_dword v89, off, s[20:23], 0 offset:8 ; 4-byte Folded Reload
	;; [unrolled: 1-line block ×3, first 2 shown]
	s_waitcnt vmcnt(0)
	global_store_dwordx4 v[85:86], v[87:90], off
	buffer_load_dword v85, off, s[20:23], 0 offset:712 ; 4-byte Folded Reload
	s_nop 0
	buffer_load_dword v86, off, s[20:23], 0 offset:716 ; 4-byte Folded Reload
	buffer_load_dword v87, off, s[20:23], 0 offset:904 ; 4-byte Folded Reload
	;; [unrolled: 1-line block ×5, first 2 shown]
	s_waitcnt vmcnt(0)
	global_store_dwordx4 v[85:86], v[87:90], off
	buffer_load_dword v85, off, s[20:23], 0 offset:720 ; 4-byte Folded Reload
	s_nop 0
	buffer_load_dword v86, off, s[20:23], 0 offset:724 ; 4-byte Folded Reload
	s_waitcnt vmcnt(0)
	global_store_dwordx4 v[85:86], v[81:84], off
	buffer_load_dword v81, off, s[20:23], 0 offset:728 ; 4-byte Folded Reload
	s_nop 0
	buffer_load_dword v82, off, s[20:23], 0 offset:732 ; 4-byte Folded Reload
	;; [unrolled: 5-line block ×22, first 2 shown]
	s_waitcnt vmcnt(0)
	global_store_dwordx4 v[0:1], v[97:100], off
.LBB109_498:
	s_endpgm
	.section	.rodata,"a",@progbits
	.p2align	6, 0x0
	.amdhsa_kernel _ZN9rocsolver6v33100L23getf2_npvt_small_kernelILi55E19rocblas_complex_numIdEiiPS3_EEvT1_T3_lS5_lPT2_S5_S5_
		.amdhsa_group_segment_fixed_size 0
		.amdhsa_private_segment_fixed_size 1756
		.amdhsa_kernarg_size 312
		.amdhsa_user_sgpr_count 6
		.amdhsa_user_sgpr_private_segment_buffer 1
		.amdhsa_user_sgpr_dispatch_ptr 0
		.amdhsa_user_sgpr_queue_ptr 0
		.amdhsa_user_sgpr_kernarg_segment_ptr 1
		.amdhsa_user_sgpr_dispatch_id 0
		.amdhsa_user_sgpr_flat_scratch_init 0
		.amdhsa_user_sgpr_private_segment_size 0
		.amdhsa_uses_dynamic_stack 0
		.amdhsa_system_sgpr_private_segment_wavefront_offset 1
		.amdhsa_system_sgpr_workgroup_id_x 1
		.amdhsa_system_sgpr_workgroup_id_y 1
		.amdhsa_system_sgpr_workgroup_id_z 0
		.amdhsa_system_sgpr_workgroup_info 0
		.amdhsa_system_vgpr_workitem_id 1
		.amdhsa_next_free_vgpr 128
		.amdhsa_next_free_sgpr 24
		.amdhsa_reserve_vcc 1
		.amdhsa_reserve_flat_scratch 0
		.amdhsa_float_round_mode_32 0
		.amdhsa_float_round_mode_16_64 0
		.amdhsa_float_denorm_mode_32 3
		.amdhsa_float_denorm_mode_16_64 3
		.amdhsa_dx10_clamp 1
		.amdhsa_ieee_mode 1
		.amdhsa_fp16_overflow 0
		.amdhsa_exception_fp_ieee_invalid_op 0
		.amdhsa_exception_fp_denorm_src 0
		.amdhsa_exception_fp_ieee_div_zero 0
		.amdhsa_exception_fp_ieee_overflow 0
		.amdhsa_exception_fp_ieee_underflow 0
		.amdhsa_exception_fp_ieee_inexact 0
		.amdhsa_exception_int_div_zero 0
	.end_amdhsa_kernel
	.section	.text._ZN9rocsolver6v33100L23getf2_npvt_small_kernelILi55E19rocblas_complex_numIdEiiPS3_EEvT1_T3_lS5_lPT2_S5_S5_,"axG",@progbits,_ZN9rocsolver6v33100L23getf2_npvt_small_kernelILi55E19rocblas_complex_numIdEiiPS3_EEvT1_T3_lS5_lPT2_S5_S5_,comdat
.Lfunc_end109:
	.size	_ZN9rocsolver6v33100L23getf2_npvt_small_kernelILi55E19rocblas_complex_numIdEiiPS3_EEvT1_T3_lS5_lPT2_S5_S5_, .Lfunc_end109-_ZN9rocsolver6v33100L23getf2_npvt_small_kernelILi55E19rocblas_complex_numIdEiiPS3_EEvT1_T3_lS5_lPT2_S5_S5_
                                        ; -- End function
	.set _ZN9rocsolver6v33100L23getf2_npvt_small_kernelILi55E19rocblas_complex_numIdEiiPS3_EEvT1_T3_lS5_lPT2_S5_S5_.num_vgpr, 128
	.set _ZN9rocsolver6v33100L23getf2_npvt_small_kernelILi55E19rocblas_complex_numIdEiiPS3_EEvT1_T3_lS5_lPT2_S5_S5_.num_agpr, 0
	.set _ZN9rocsolver6v33100L23getf2_npvt_small_kernelILi55E19rocblas_complex_numIdEiiPS3_EEvT1_T3_lS5_lPT2_S5_S5_.numbered_sgpr, 24
	.set _ZN9rocsolver6v33100L23getf2_npvt_small_kernelILi55E19rocblas_complex_numIdEiiPS3_EEvT1_T3_lS5_lPT2_S5_S5_.num_named_barrier, 0
	.set _ZN9rocsolver6v33100L23getf2_npvt_small_kernelILi55E19rocblas_complex_numIdEiiPS3_EEvT1_T3_lS5_lPT2_S5_S5_.private_seg_size, 1756
	.set _ZN9rocsolver6v33100L23getf2_npvt_small_kernelILi55E19rocblas_complex_numIdEiiPS3_EEvT1_T3_lS5_lPT2_S5_S5_.uses_vcc, 1
	.set _ZN9rocsolver6v33100L23getf2_npvt_small_kernelILi55E19rocblas_complex_numIdEiiPS3_EEvT1_T3_lS5_lPT2_S5_S5_.uses_flat_scratch, 0
	.set _ZN9rocsolver6v33100L23getf2_npvt_small_kernelILi55E19rocblas_complex_numIdEiiPS3_EEvT1_T3_lS5_lPT2_S5_S5_.has_dyn_sized_stack, 0
	.set _ZN9rocsolver6v33100L23getf2_npvt_small_kernelILi55E19rocblas_complex_numIdEiiPS3_EEvT1_T3_lS5_lPT2_S5_S5_.has_recursion, 0
	.set _ZN9rocsolver6v33100L23getf2_npvt_small_kernelILi55E19rocblas_complex_numIdEiiPS3_EEvT1_T3_lS5_lPT2_S5_S5_.has_indirect_call, 0
	.section	.AMDGPU.csdata,"",@progbits
; Kernel info:
; codeLenInByte = 207388
; TotalNumSgprs: 28
; NumVgprs: 128
; ScratchSize: 1756
; MemoryBound: 1
; FloatMode: 240
; IeeeMode: 1
; LDSByteSize: 0 bytes/workgroup (compile time only)
; SGPRBlocks: 3
; VGPRBlocks: 31
; NumSGPRsForWavesPerEU: 28
; NumVGPRsForWavesPerEU: 128
; Occupancy: 2
; WaveLimiterHint : 0
; COMPUTE_PGM_RSRC2:SCRATCH_EN: 1
; COMPUTE_PGM_RSRC2:USER_SGPR: 6
; COMPUTE_PGM_RSRC2:TRAP_HANDLER: 0
; COMPUTE_PGM_RSRC2:TGID_X_EN: 1
; COMPUTE_PGM_RSRC2:TGID_Y_EN: 1
; COMPUTE_PGM_RSRC2:TGID_Z_EN: 0
; COMPUTE_PGM_RSRC2:TIDIG_COMP_CNT: 1
	.section	.text._ZN9rocsolver6v33100L18getf2_small_kernelILi56E19rocblas_complex_numIdEiiPS3_EEvT1_T3_lS5_lPS5_llPT2_S5_S5_S7_l,"axG",@progbits,_ZN9rocsolver6v33100L18getf2_small_kernelILi56E19rocblas_complex_numIdEiiPS3_EEvT1_T3_lS5_lPS5_llPT2_S5_S5_S7_l,comdat
	.globl	_ZN9rocsolver6v33100L18getf2_small_kernelILi56E19rocblas_complex_numIdEiiPS3_EEvT1_T3_lS5_lPS5_llPT2_S5_S5_S7_l ; -- Begin function _ZN9rocsolver6v33100L18getf2_small_kernelILi56E19rocblas_complex_numIdEiiPS3_EEvT1_T3_lS5_lPS5_llPT2_S5_S5_S7_l
	.p2align	8
	.type	_ZN9rocsolver6v33100L18getf2_small_kernelILi56E19rocblas_complex_numIdEiiPS3_EEvT1_T3_lS5_lPS5_llPT2_S5_S5_S7_l,@function
_ZN9rocsolver6v33100L18getf2_small_kernelILi56E19rocblas_complex_numIdEiiPS3_EEvT1_T3_lS5_lPS5_llPT2_S5_S5_S7_l: ; @_ZN9rocsolver6v33100L18getf2_small_kernelILi56E19rocblas_complex_numIdEiiPS3_EEvT1_T3_lS5_lPS5_llPT2_S5_S5_S7_l
; %bb.0:
	s_mov_b64 s[26:27], s[2:3]
	s_mov_b64 s[24:25], s[0:1]
	s_load_dword s0, s[4:5], 0x6c
	s_load_dwordx2 s[16:17], s[4:5], 0x48
	s_add_u32 s24, s24, s8
	s_addc_u32 s25, s25, 0
	s_waitcnt lgkmcnt(0)
	s_lshr_b32 s0, s0, 16
	s_mul_i32 s7, s7, s0
	v_add_u32_e32 v5, s7, v1
	v_cmp_gt_i32_e32 vcc, s16, v5
	s_and_saveexec_b64 s[0:1], vcc
	s_cbranch_execnz .LBB110_1
; %bb.1178:
	s_getpc_b64 s[28:29]
.Lpost_getpc24:
	s_add_u32 s28, s28, (.LBB110_1177-.Lpost_getpc24)&4294967295
	s_addc_u32 s29, s29, (.LBB110_1177-.Lpost_getpc24)>>32
	s_setpc_b64 s[28:29]
.LBB110_1:
	s_load_dwordx4 s[0:3], s[4:5], 0x50
	v_mov_b32_e32 v2, 0
	v_ashrrev_i32_e32 v6, 31, v5
	v_mov_b32_e32 v3, 0
	buffer_store_dword v2, off, s[24:27], 0 offset:448 ; 4-byte Folded Spill
	s_nop 0
	buffer_store_dword v3, off, s[24:27], 0 offset:452 ; 4-byte Folded Spill
	s_waitcnt lgkmcnt(0)
	s_cmp_eq_u64 s[0:1], 0
	s_cselect_b64 s[6:7], -1, 0
	s_and_b64 vcc, exec, s[6:7]
	s_cbranch_vccnz .LBB110_3
; %bb.2:
	v_mul_lo_u32 v7, s3, v5
	v_mul_lo_u32 v4, s2, v6
	v_mad_u64_u32 v[2:3], s[2:3], s2, v5, 0
	v_add3_u32 v3, v3, v4, v7
	v_lshlrev_b64 v[2:3], 2, v[2:3]
	v_mov_b32_e32 v4, s1
	v_add_co_u32_e32 v2, vcc, s0, v2
	v_addc_co_u32_e32 v3, vcc, v4, v3, vcc
	buffer_store_dword v2, off, s[24:27], 0 offset:448 ; 4-byte Folded Spill
	s_nop 0
	buffer_store_dword v3, off, s[24:27], 0 offset:452 ; 4-byte Folded Spill
.LBB110_3:
	s_load_dwordx8 s[8:15], s[4:5], 0x20
	s_load_dwordx4 s[20:23], s[4:5], 0x8
	s_load_dword s2, s[4:5], 0x18
	v_lshlrev_b32_e32 v76, 4, v0
	s_waitcnt lgkmcnt(0)
	v_mul_lo_u32 v7, s9, v5
	v_mul_lo_u32 v4, s8, v6
	buffer_store_dword v5, off, s[24:27], 0 offset:528 ; 4-byte Folded Spill
	s_nop 0
	buffer_store_dword v6, off, s[24:27], 0 offset:532 ; 4-byte Folded Spill
	s_add_i32 s16, s2, s2
	s_ashr_i32 s3, s2, 31
	buffer_store_dword v0, off, s[24:27], 0 offset:536 ; 4-byte Folded Spill
	v_mad_u64_u32 v[2:3], s[0:1], s8, v5, 0
	v_mov_b32_e32 v5, s21
	s_lshl_b64 s[0:1], s[22:23], 4
	v_add3_u32 v3, v3, v4, v7
	v_lshlrev_b64 v[2:3], 4, v[2:3]
	s_lshl_b64 s[8:9], s[2:3], 4
	v_add_co_u32_e32 v4, vcc, s20, v2
	v_addc_co_u32_e32 v2, vcc, v5, v3, vcc
	v_add_co_u32_e32 v85, vcc, s0, v4
	v_add_u32_e32 v4, s16, v0
	v_mov_b32_e32 v3, s1
	v_ashrrev_i32_e32 v5, 31, v4
	v_addc_co_u32_e32 v75, vcc, v2, v3, vcc
	v_lshlrev_b64 v[2:3], 4, v[4:5]
	v_add_u32_e32 v6, s2, v4
	v_ashrrev_i32_e32 v7, 31, v6
	v_add_co_u32_e32 v77, vcc, v85, v2
	v_lshlrev_b64 v[4:5], 4, v[6:7]
	v_add_u32_e32 v8, s2, v6
	v_addc_co_u32_e32 v78, vcc, v75, v3, vcc
	v_ashrrev_i32_e32 v9, 31, v8
	v_add_co_u32_e32 v79, vcc, v85, v4
	v_lshlrev_b64 v[6:7], 4, v[8:9]
	v_add_u32_e32 v10, s2, v8
	v_addc_co_u32_e32 v80, vcc, v75, v5, vcc
	;; [unrolled: 5-line block ×34, first 2 shown]
	v_ashrrev_i32_e32 v73, 31, v72
	v_add_co_u32_e32 v70, vcc, v85, v70
	v_lshlrev_b64 v[73:74], 4, v[72:73]
	v_addc_co_u32_e32 v71, vcc, v75, v71, vcc
	v_add_u32_e32 v72, s2, v72
	v_add_co_u32_e32 v117, vcc, v85, v73
	v_ashrrev_i32_e32 v73, 31, v72
	v_addc_co_u32_e32 v118, vcc, v75, v74, vcc
	v_lshlrev_b64 v[73:74], 4, v[72:73]
	v_add_u32_e32 v72, s2, v72
	v_add_co_u32_e32 v119, vcc, v85, v73
	v_ashrrev_i32_e32 v73, 31, v72
	v_addc_co_u32_e32 v120, vcc, v75, v74, vcc
	v_lshlrev_b64 v[73:74], 4, v[72:73]
	;; [unrolled: 5-line block ×17, first 2 shown]
	v_add_u32_e32 v72, s2, v72
	v_add_co_u32_e32 v89, vcc, v85, v73
	v_ashrrev_i32_e32 v73, 31, v72
	v_lshlrev_b64 v[72:73], 4, v[72:73]
	v_addc_co_u32_e32 v90, vcc, v75, v74, vcc
	v_add_co_u32_e32 v91, vcc, v85, v72
	v_addc_co_u32_e32 v92, vcc, v75, v73, vcc
	v_add_co_u32_e32 v74, vcc, v85, v76
	buffer_store_dword v75, off, s[24:27], 0 offset:524 ; 4-byte Folded Spill
	v_addc_co_u32_e32 v75, vcc, 0, v75, vcc
	v_mov_b32_e32 v0, s9
	v_add_co_u32_e32 v72, vcc, s8, v74
	buffer_store_dword v85, off, s[24:27], 0 offset:520 ; 4-byte Folded Spill
	v_addc_co_u32_e32 v73, vcc, v75, v0, vcc
	global_load_dwordx4 v[85:88], v[74:75], off
	s_nop 0
	global_load_dwordx4 v[72:75], v[72:73], off
	s_waitcnt vmcnt(0)
	buffer_store_dword v72, off, s[24:27], 0 offset:488 ; 4-byte Folded Spill
	s_nop 0
	buffer_store_dword v73, off, s[24:27], 0 offset:492 ; 4-byte Folded Spill
	buffer_store_dword v74, off, s[24:27], 0 offset:496 ; 4-byte Folded Spill
	;; [unrolled: 1-line block ×4, first 2 shown]
	s_nop 0
	buffer_store_dword v86, off, s[24:27], 0 offset:508 ; 4-byte Folded Spill
	buffer_store_dword v87, off, s[24:27], 0 offset:512 ; 4-byte Folded Spill
	;; [unrolled: 1-line block ×3, first 2 shown]
	global_load_dwordx4 v[72:75], v[77:78], off
	s_load_dword s3, s[4:5], 0x0
	s_waitcnt lgkmcnt(0)
	s_max_i32 s0, s3, 56
	v_mul_lo_u32 v127, s0, v1
	s_load_dwordx2 s[4:5], s[4:5], 0x40
	s_cmp_lt_i32 s3, 2
	v_lshl_add_u32 v0, v127, 4, 0
	v_add_u32_e32 v1, v0, v76
	ds_write2_b64 v1, v[85:86], v[87:88] offset1:1
	s_waitcnt vmcnt(0)
	buffer_store_dword v72, off, s[24:27], 0 offset:472 ; 4-byte Folded Spill
	s_nop 0
	buffer_store_dword v73, off, s[24:27], 0 offset:476 ; 4-byte Folded Spill
	buffer_store_dword v74, off, s[24:27], 0 offset:480 ; 4-byte Folded Spill
	buffer_store_dword v75, off, s[24:27], 0 offset:484 ; 4-byte Folded Spill
	global_load_dwordx4 v[72:75], v[79:80], off
	s_waitcnt vmcnt(0)
	buffer_store_dword v72, off, s[24:27], 0 offset:456 ; 4-byte Folded Spill
	s_nop 0
	buffer_store_dword v73, off, s[24:27], 0 offset:460 ; 4-byte Folded Spill
	buffer_store_dword v74, off, s[24:27], 0 offset:464 ; 4-byte Folded Spill
	buffer_store_dword v75, off, s[24:27], 0 offset:468 ; 4-byte Folded Spill
	global_load_dwordx4 v[72:75], v[6:7], off
	;; [unrolled: 7-line block ×29, first 2 shown]
	global_load_dwordx4 v[85:88], v[62:63], off
	global_load_dwordx4 v[109:112], v[64:65], off
	;; [unrolled: 1-line block ×5, first 2 shown]
	s_waitcnt vmcnt(0)
	buffer_store_dword v6, off, s[24:27], 0 ; 4-byte Folded Spill
	s_nop 0
	buffer_store_dword v7, off, s[24:27], 0 offset:4 ; 4-byte Folded Spill
	buffer_store_dword v8, off, s[24:27], 0 offset:8 ; 4-byte Folded Spill
	;; [unrolled: 1-line block ×3, first 2 shown]
	global_load_dwordx4 v[69:72], v[117:118], off
	global_load_dwordx4 v[65:68], v[119:120], off
	;; [unrolled: 1-line block ×19, first 2 shown]
	s_waitcnt vmcnt(0) lgkmcnt(0)
	s_barrier
	ds_read2_b64 v[117:120], v0 offset1:1
	v_lshlrev_b32_e32 v95, 4, v127
	v_mov_b32_e32 v89, 0
	s_cbranch_scc1 .LBB110_6
; %bb.4:
	v_add3_u32 v90, v95, 0, 16
	s_mov_b32 s0, 1
	v_mov_b32_e32 v89, 0
.LBB110_5:                              ; =>This Inner Loop Header: Depth=1
	s_waitcnt lgkmcnt(0)
	v_cmp_gt_f64_e32 vcc, 0, v[117:118]
	v_xor_b32_e32 v96, 0x80000000, v118
	ds_read2_b64 v[91:94], v90 offset1:1
	v_xor_b32_e32 v98, 0x80000000, v120
	v_add_u32_e32 v90, 16, v90
	s_waitcnt lgkmcnt(0)
	v_xor_b32_e32 v100, 0x80000000, v94
	v_cndmask_b32_e32 v97, v118, v96, vcc
	v_cmp_gt_f64_e32 vcc, 0, v[119:120]
	v_mov_b32_e32 v96, v117
	v_cndmask_b32_e32 v99, v120, v98, vcc
	v_cmp_gt_f64_e32 vcc, 0, v[91:92]
	v_mov_b32_e32 v98, v119
	v_add_f64 v[96:97], v[96:97], v[98:99]
	v_xor_b32_e32 v98, 0x80000000, v92
	v_cndmask_b32_e32 v99, v92, v98, vcc
	v_cmp_gt_f64_e32 vcc, 0, v[93:94]
	v_mov_b32_e32 v98, v91
	v_cndmask_b32_e32 v101, v94, v100, vcc
	v_mov_b32_e32 v100, v93
	v_add_f64 v[98:99], v[98:99], v[100:101]
	v_cmp_lt_f64_e32 vcc, v[96:97], v[98:99]
	v_cndmask_b32_e32 v117, v117, v91, vcc
	v_mov_b32_e32 v91, s0
	s_add_i32 s0, s0, 1
	v_cndmask_b32_e32 v118, v118, v92, vcc
	v_cndmask_b32_e32 v120, v120, v94, vcc
	;; [unrolled: 1-line block ×4, first 2 shown]
	s_cmp_eq_u32 s3, s0
	s_cbranch_scc0 .LBB110_5
.LBB110_6:
	buffer_load_dword v127, off, s[24:27], 0 offset:536 ; 4-byte Folded Reload
	s_waitcnt lgkmcnt(0)
	v_cmp_neq_f64_e32 vcc, 0, v[117:118]
	v_cmp_neq_f64_e64 s[0:1], 0, v[119:120]
	v_mov_b32_e32 v84, v76
	v_mov_b32_e32 v83, v75
	;; [unrolled: 1-line block ×6, first 2 shown]
	s_or_b64 s[18:19], vcc, s[0:1]
	s_and_saveexec_b64 s[0:1], s[18:19]
	s_cbranch_execz .LBB110_12
; %bb.7:
	v_cmp_ngt_f64_e64 s[18:19], |v[117:118]|, |v[119:120]|
	s_and_saveexec_b64 s[20:21], s[18:19]
	s_xor_b64 s[18:19], exec, s[20:21]
	s_cbranch_execz .LBB110_9
; %bb.8:
	v_div_scale_f64 v[90:91], s[20:21], v[119:120], v[119:120], v[117:118]
	v_rcp_f64_e32 v[92:93], v[90:91]
	v_fma_f64 v[96:97], -v[90:91], v[92:93], 1.0
	v_fma_f64 v[92:93], v[92:93], v[96:97], v[92:93]
	v_div_scale_f64 v[96:97], vcc, v[117:118], v[119:120], v[117:118]
	v_fma_f64 v[98:99], -v[90:91], v[92:93], 1.0
	v_fma_f64 v[92:93], v[92:93], v[98:99], v[92:93]
	v_mul_f64 v[98:99], v[96:97], v[92:93]
	v_fma_f64 v[90:91], -v[90:91], v[98:99], v[96:97]
	v_div_fmas_f64 v[90:91], v[90:91], v[92:93], v[98:99]
	v_div_fixup_f64 v[90:91], v[90:91], v[119:120], v[117:118]
	v_fma_f64 v[92:93], v[117:118], v[90:91], v[119:120]
	v_div_scale_f64 v[96:97], s[20:21], v[92:93], v[92:93], 1.0
	v_div_scale_f64 v[102:103], vcc, 1.0, v[92:93], 1.0
	v_rcp_f64_e32 v[98:99], v[96:97]
	v_fma_f64 v[100:101], -v[96:97], v[98:99], 1.0
	v_fma_f64 v[98:99], v[98:99], v[100:101], v[98:99]
	v_fma_f64 v[100:101], -v[96:97], v[98:99], 1.0
	v_fma_f64 v[98:99], v[98:99], v[100:101], v[98:99]
	v_mul_f64 v[100:101], v[102:103], v[98:99]
	v_fma_f64 v[96:97], -v[96:97], v[100:101], v[102:103]
	v_div_fmas_f64 v[96:97], v[96:97], v[98:99], v[100:101]
	v_div_fixup_f64 v[119:120], v[96:97], v[92:93], 1.0
	v_mul_f64 v[117:118], v[90:91], v[119:120]
	v_xor_b32_e32 v120, 0x80000000, v120
.LBB110_9:
	s_andn2_saveexec_b64 s[18:19], s[18:19]
	s_cbranch_execz .LBB110_11
; %bb.10:
	v_div_scale_f64 v[90:91], s[20:21], v[117:118], v[117:118], v[119:120]
	v_rcp_f64_e32 v[92:93], v[90:91]
	v_fma_f64 v[96:97], -v[90:91], v[92:93], 1.0
	v_fma_f64 v[92:93], v[92:93], v[96:97], v[92:93]
	v_div_scale_f64 v[96:97], vcc, v[119:120], v[117:118], v[119:120]
	v_fma_f64 v[98:99], -v[90:91], v[92:93], 1.0
	v_fma_f64 v[92:93], v[92:93], v[98:99], v[92:93]
	v_mul_f64 v[98:99], v[96:97], v[92:93]
	v_fma_f64 v[90:91], -v[90:91], v[98:99], v[96:97]
	v_div_fmas_f64 v[90:91], v[90:91], v[92:93], v[98:99]
	v_div_fixup_f64 v[90:91], v[90:91], v[117:118], v[119:120]
	v_fma_f64 v[92:93], v[119:120], v[90:91], v[117:118]
	v_div_scale_f64 v[96:97], s[20:21], v[92:93], v[92:93], 1.0
	v_div_scale_f64 v[102:103], vcc, 1.0, v[92:93], 1.0
	v_rcp_f64_e32 v[98:99], v[96:97]
	v_fma_f64 v[100:101], -v[96:97], v[98:99], 1.0
	v_fma_f64 v[98:99], v[98:99], v[100:101], v[98:99]
	v_fma_f64 v[100:101], -v[96:97], v[98:99], 1.0
	v_fma_f64 v[98:99], v[98:99], v[100:101], v[98:99]
	v_mul_f64 v[100:101], v[102:103], v[98:99]
	v_fma_f64 v[96:97], -v[96:97], v[100:101], v[102:103]
	v_div_fmas_f64 v[96:97], v[96:97], v[98:99], v[100:101]
	v_div_fixup_f64 v[117:118], v[96:97], v[92:93], 1.0
	v_mul_f64 v[119:120], v[90:91], -v[117:118]
.LBB110_11:
	s_or_b64 exec, exec, s[18:19]
	v_mov_b32_e32 v96, 0
	v_mov_b32_e32 v94, 2
.LBB110_12:
	s_or_b64 exec, exec, s[0:1]
	s_waitcnt vmcnt(0)
	v_cmp_ne_u32_e32 vcc, v127, v89
	s_and_saveexec_b64 s[0:1], vcc
	s_xor_b64 s[0:1], exec, s[0:1]
	s_cbranch_execz .LBB110_18
; %bb.13:
	v_cmp_eq_u32_e32 vcc, 0, v127
	s_and_saveexec_b64 s[18:19], vcc
	s_cbranch_execz .LBB110_17
; %bb.14:
	v_cmp_ne_u32_e32 vcc, 0, v89
	s_xor_b64 s[20:21], s[6:7], -1
	s_and_b64 s[22:23], s[20:21], vcc
	s_and_saveexec_b64 s[20:21], s[22:23]
	s_cbranch_execz .LBB110_16
; %bb.15:
	buffer_load_dword v81, off, s[24:27], 0 offset:448 ; 4-byte Folded Reload
	buffer_load_dword v82, off, s[24:27], 0 offset:452 ; 4-byte Folded Reload
	v_ashrrev_i32_e32 v90, 31, v89
	v_lshlrev_b64 v[90:91], 2, v[89:90]
	s_waitcnt vmcnt(1)
	v_add_co_u32_e32 v90, vcc, v81, v90
	s_waitcnt vmcnt(0)
	v_addc_co_u32_e32 v91, vcc, v82, v91, vcc
	global_load_dword v92, v[90:91], off
	global_load_dword v93, v[81:82], off
	s_waitcnt vmcnt(1)
	global_store_dword v[81:82], v92, off
	v_mov_b32_e32 v84, v76
	v_mov_b32_e32 v83, v75
	;; [unrolled: 1-line block ×4, first 2 shown]
	s_waitcnt vmcnt(1)
	global_store_dword v[90:91], v93, off
.LBB110_16:
	s_or_b64 exec, exec, s[20:21]
	v_mov_b32_e32 v127, v89
.LBB110_17:
	s_or_b64 exec, exec, s[18:19]
.LBB110_18:
	s_or_saveexec_b64 s[0:1], s[0:1]
	v_mov_b32_e32 v93, v127
	s_xor_b64 exec, exec, s[0:1]
	s_cbranch_execz .LBB110_20
; %bb.19:
	buffer_load_dword v73, off, s[24:27], 0 offset:488 ; 4-byte Folded Reload
	buffer_load_dword v74, off, s[24:27], 0 offset:492 ; 4-byte Folded Reload
	;; [unrolled: 1-line block ×4, first 2 shown]
	v_mov_b32_e32 v93, 0
	s_waitcnt vmcnt(0)
	ds_write2_b64 v0, v[73:74], v[75:76] offset0:2 offset1:3
	buffer_load_dword v73, off, s[24:27], 0 offset:472 ; 4-byte Folded Reload
	buffer_load_dword v74, off, s[24:27], 0 offset:476 ; 4-byte Folded Reload
	buffer_load_dword v75, off, s[24:27], 0 offset:480 ; 4-byte Folded Reload
	buffer_load_dword v76, off, s[24:27], 0 offset:484 ; 4-byte Folded Reload
	s_waitcnt vmcnt(0)
	ds_write2_b64 v0, v[73:74], v[75:76] offset0:4 offset1:5
	buffer_load_dword v73, off, s[24:27], 0 offset:456 ; 4-byte Folded Reload
	buffer_load_dword v74, off, s[24:27], 0 offset:460 ; 4-byte Folded Reload
	buffer_load_dword v75, off, s[24:27], 0 offset:464 ; 4-byte Folded Reload
	buffer_load_dword v76, off, s[24:27], 0 offset:468 ; 4-byte Folded Reload
	;; [unrolled: 6-line block ×29, first 2 shown]
	s_waitcnt vmcnt(0)
	ds_write2_b64 v0, v[73:74], v[75:76] offset0:60 offset1:61
	ds_write2_b64 v0, v[81:82], v[83:84] offset0:62 offset1:63
	;; [unrolled: 1-line block ×6, first 2 shown]
	buffer_load_dword v73, off, s[24:27], 0 ; 4-byte Folded Reload
	buffer_load_dword v74, off, s[24:27], 0 offset:4 ; 4-byte Folded Reload
	buffer_load_dword v75, off, s[24:27], 0 offset:8 ; 4-byte Folded Reload
	;; [unrolled: 1-line block ×3, first 2 shown]
	s_waitcnt vmcnt(0)
	ds_write2_b64 v0, v[73:74], v[75:76] offset0:72 offset1:73
	ds_write2_b64 v0, v[69:70], v[71:72] offset0:74 offset1:75
	;; [unrolled: 1-line block ×20, first 2 shown]
.LBB110_20:
	s_or_b64 exec, exec, s[0:1]
	v_cmp_lt_i32_e32 vcc, 0, v93
	s_waitcnt vmcnt(0) lgkmcnt(0)
	s_barrier
	s_and_saveexec_b64 s[0:1], vcc
	s_cbranch_execz .LBB110_22
; %bb.21:
	buffer_load_dword v99, off, s[24:27], 0 offset:504 ; 4-byte Folded Reload
	buffer_load_dword v100, off, s[24:27], 0 offset:508 ; 4-byte Folded Reload
	;; [unrolled: 1-line block ×4, first 2 shown]
	s_waitcnt vmcnt(0)
	v_mul_f64 v[89:90], v[119:120], v[101:102]
	v_fma_f64 v[125:126], v[117:118], v[99:100], -v[89:90]
	v_mul_f64 v[89:90], v[117:118], v[101:102]
	v_fma_f64 v[101:102], v[119:120], v[99:100], v[89:90]
	ds_read2_b64 v[89:92], v0 offset0:2 offset1:3
	buffer_load_dword v73, off, s[24:27], 0 offset:488 ; 4-byte Folded Reload
	buffer_load_dword v74, off, s[24:27], 0 offset:492 ; 4-byte Folded Reload
	buffer_load_dword v75, off, s[24:27], 0 offset:496 ; 4-byte Folded Reload
	buffer_load_dword v76, off, s[24:27], 0 offset:500 ; 4-byte Folded Reload
	s_waitcnt lgkmcnt(0)
	v_mul_f64 v[97:98], v[91:92], v[101:102]
	v_fma_f64 v[97:98], v[89:90], v[125:126], -v[97:98]
	v_mul_f64 v[89:90], v[89:90], v[101:102]
	v_fma_f64 v[89:90], v[91:92], v[125:126], v[89:90]
	s_waitcnt vmcnt(2)
	v_add_f64 v[73:74], v[73:74], -v[97:98]
	s_waitcnt vmcnt(0)
	v_add_f64 v[75:76], v[75:76], -v[89:90]
	buffer_store_dword v73, off, s[24:27], 0 offset:488 ; 4-byte Folded Spill
	s_nop 0
	buffer_store_dword v74, off, s[24:27], 0 offset:492 ; 4-byte Folded Spill
	buffer_store_dword v75, off, s[24:27], 0 offset:496 ; 4-byte Folded Spill
	buffer_store_dword v76, off, s[24:27], 0 offset:500 ; 4-byte Folded Spill
	ds_read2_b64 v[89:92], v0 offset0:4 offset1:5
	buffer_load_dword v73, off, s[24:27], 0 offset:472 ; 4-byte Folded Reload
	buffer_load_dword v74, off, s[24:27], 0 offset:476 ; 4-byte Folded Reload
	buffer_load_dword v75, off, s[24:27], 0 offset:480 ; 4-byte Folded Reload
	buffer_load_dword v76, off, s[24:27], 0 offset:484 ; 4-byte Folded Reload
	s_waitcnt lgkmcnt(0)
	v_mul_f64 v[97:98], v[91:92], v[101:102]
	v_fma_f64 v[97:98], v[89:90], v[125:126], -v[97:98]
	v_mul_f64 v[89:90], v[89:90], v[101:102]
	v_fma_f64 v[89:90], v[91:92], v[125:126], v[89:90]
	s_waitcnt vmcnt(2)
	v_add_f64 v[73:74], v[73:74], -v[97:98]
	s_waitcnt vmcnt(0)
	v_add_f64 v[75:76], v[75:76], -v[89:90]
	buffer_store_dword v73, off, s[24:27], 0 offset:472 ; 4-byte Folded Spill
	s_nop 0
	buffer_store_dword v74, off, s[24:27], 0 offset:476 ; 4-byte Folded Spill
	buffer_store_dword v75, off, s[24:27], 0 offset:480 ; 4-byte Folded Spill
	buffer_store_dword v76, off, s[24:27], 0 offset:484 ; 4-byte Folded Spill
	;; [unrolled: 19-line block ×30, first 2 shown]
	ds_read2_b64 v[89:92], v0 offset0:62 offset1:63
	s_waitcnt lgkmcnt(0)
	v_mul_f64 v[97:98], v[91:92], v[101:102]
	v_fma_f64 v[97:98], v[89:90], v[125:126], -v[97:98]
	v_mul_f64 v[89:90], v[89:90], v[101:102]
	v_add_f64 v[81:82], v[81:82], -v[97:98]
	v_fma_f64 v[89:90], v[91:92], v[125:126], v[89:90]
	v_add_f64 v[83:84], v[83:84], -v[89:90]
	ds_read2_b64 v[89:92], v0 offset0:64 offset1:65
	s_waitcnt lgkmcnt(0)
	v_mul_f64 v[97:98], v[91:92], v[101:102]
	v_fma_f64 v[97:98], v[89:90], v[125:126], -v[97:98]
	v_mul_f64 v[89:90], v[89:90], v[101:102]
	v_add_f64 v[85:86], v[85:86], -v[97:98]
	v_fma_f64 v[89:90], v[91:92], v[125:126], v[89:90]
	v_add_f64 v[87:88], v[87:88], -v[89:90]
	;; [unrolled: 8-line block ×5, first 2 shown]
	ds_read2_b64 v[89:92], v0 offset0:72 offset1:73
	buffer_load_dword v73, off, s[24:27], 0 ; 4-byte Folded Reload
	buffer_load_dword v74, off, s[24:27], 0 offset:4 ; 4-byte Folded Reload
	buffer_load_dword v75, off, s[24:27], 0 offset:8 ; 4-byte Folded Reload
	;; [unrolled: 1-line block ×3, first 2 shown]
	s_waitcnt lgkmcnt(0)
	v_mul_f64 v[97:98], v[91:92], v[101:102]
	v_fma_f64 v[97:98], v[89:90], v[125:126], -v[97:98]
	v_mul_f64 v[89:90], v[89:90], v[101:102]
	v_fma_f64 v[89:90], v[91:92], v[125:126], v[89:90]
	s_waitcnt vmcnt(2)
	v_add_f64 v[73:74], v[73:74], -v[97:98]
	s_waitcnt vmcnt(0)
	v_add_f64 v[75:76], v[75:76], -v[89:90]
	buffer_store_dword v73, off, s[24:27], 0 ; 4-byte Folded Spill
	s_nop 0
	buffer_store_dword v74, off, s[24:27], 0 offset:4 ; 4-byte Folded Spill
	buffer_store_dword v75, off, s[24:27], 0 offset:8 ; 4-byte Folded Spill
	;; [unrolled: 1-line block ×3, first 2 shown]
	ds_read2_b64 v[89:92], v0 offset0:74 offset1:75
	s_waitcnt lgkmcnt(0)
	v_mul_f64 v[97:98], v[91:92], v[101:102]
	v_fma_f64 v[97:98], v[89:90], v[125:126], -v[97:98]
	v_mul_f64 v[89:90], v[89:90], v[101:102]
	v_add_f64 v[69:70], v[69:70], -v[97:98]
	v_fma_f64 v[89:90], v[91:92], v[125:126], v[89:90]
	v_add_f64 v[71:72], v[71:72], -v[89:90]
	ds_read2_b64 v[89:92], v0 offset0:76 offset1:77
	s_waitcnt lgkmcnt(0)
	v_mul_f64 v[97:98], v[91:92], v[101:102]
	v_fma_f64 v[97:98], v[89:90], v[125:126], -v[97:98]
	v_mul_f64 v[89:90], v[89:90], v[101:102]
	v_add_f64 v[65:66], v[65:66], -v[97:98]
	v_fma_f64 v[89:90], v[91:92], v[125:126], v[89:90]
	v_add_f64 v[67:68], v[67:68], -v[89:90]
	;; [unrolled: 8-line block ×17, first 2 shown]
	ds_read2_b64 v[89:92], v0 offset0:108 offset1:109
	s_waitcnt lgkmcnt(0)
	v_mul_f64 v[97:98], v[91:92], v[101:102]
	v_fma_f64 v[97:98], v[89:90], v[125:126], -v[97:98]
	v_mul_f64 v[89:90], v[89:90], v[101:102]
	v_add_f64 v[1:2], v[1:2], -v[97:98]
	v_fma_f64 v[89:90], v[91:92], v[125:126], v[89:90]
	ds_read2_b64 v[97:100], v0 offset0:110 offset1:111
	s_waitcnt lgkmcnt(0)
	v_mul_f64 v[91:92], v[97:98], v[101:102]
	v_add_f64 v[3:4], v[3:4], -v[89:90]
	v_mul_f64 v[89:90], v[99:100], v[101:102]
	v_fma_f64 v[91:92], v[99:100], v[125:126], v[91:92]
	v_mov_b32_e32 v99, v125
	v_mov_b32_e32 v100, v126
	v_fma_f64 v[89:90], v[97:98], v[125:126], -v[89:90]
	buffer_store_dword v99, off, s[24:27], 0 offset:504 ; 4-byte Folded Spill
	s_nop 0
	buffer_store_dword v100, off, s[24:27], 0 offset:508 ; 4-byte Folded Spill
	buffer_store_dword v101, off, s[24:27], 0 offset:512 ; 4-byte Folded Spill
	;; [unrolled: 1-line block ×3, first 2 shown]
	v_add_f64 v[123:124], v[123:124], -v[91:92]
	v_add_f64 v[121:122], v[121:122], -v[89:90]
.LBB110_22:
	s_or_b64 exec, exec, s[0:1]
	s_waitcnt vmcnt(0)
	s_barrier
	buffer_load_dword v73, off, s[24:27], 0 offset:488 ; 4-byte Folded Reload
	buffer_load_dword v74, off, s[24:27], 0 offset:492 ; 4-byte Folded Reload
	;; [unrolled: 1-line block ×4, first 2 shown]
	v_lshl_add_u32 v89, v93, 4, v0
	s_cmp_lt_i32 s3, 3
	s_waitcnt vmcnt(0)
	ds_write2_b64 v89, v[73:74], v[75:76] offset1:1
	s_waitcnt lgkmcnt(0)
	s_barrier
	ds_read2_b64 v[117:120], v0 offset0:2 offset1:3
	v_mov_b32_e32 v89, 1
	s_cbranch_scc1 .LBB110_25
; %bb.23:
	v_add3_u32 v90, v95, 0, 32
	s_mov_b32 s0, 2
	v_mov_b32_e32 v89, 1
.LBB110_24:                             ; =>This Inner Loop Header: Depth=1
	s_waitcnt lgkmcnt(0)
	v_cmp_gt_f64_e32 vcc, 0, v[117:118]
	v_xor_b32_e32 v91, 0x80000000, v118
	ds_read2_b64 v[97:100], v90 offset1:1
	v_xor_b32_e32 v101, 0x80000000, v120
	v_add_u32_e32 v90, 16, v90
	s_waitcnt lgkmcnt(0)
	v_xor_b32_e32 v103, 0x80000000, v100
	v_cndmask_b32_e32 v92, v118, v91, vcc
	v_cmp_gt_f64_e32 vcc, 0, v[119:120]
	v_mov_b32_e32 v91, v117
	v_cndmask_b32_e32 v102, v120, v101, vcc
	v_cmp_gt_f64_e32 vcc, 0, v[97:98]
	v_mov_b32_e32 v101, v119
	v_add_f64 v[91:92], v[91:92], v[101:102]
	v_xor_b32_e32 v101, 0x80000000, v98
	v_cndmask_b32_e32 v102, v98, v101, vcc
	v_cmp_gt_f64_e32 vcc, 0, v[99:100]
	v_mov_b32_e32 v101, v97
	v_cndmask_b32_e32 v104, v100, v103, vcc
	v_mov_b32_e32 v103, v99
	v_add_f64 v[101:102], v[101:102], v[103:104]
	v_cmp_lt_f64_e32 vcc, v[91:92], v[101:102]
	v_mov_b32_e32 v91, s0
	s_add_i32 s0, s0, 1
	s_cmp_lg_u32 s3, s0
	v_cndmask_b32_e32 v118, v118, v98, vcc
	v_cndmask_b32_e32 v117, v117, v97, vcc
	;; [unrolled: 1-line block ×5, first 2 shown]
	s_cbranch_scc1 .LBB110_24
.LBB110_25:
	s_waitcnt lgkmcnt(0)
	v_cmp_neq_f64_e32 vcc, 0, v[117:118]
	v_cmp_neq_f64_e64 s[0:1], 0, v[119:120]
	s_or_b64 s[18:19], vcc, s[0:1]
	s_and_saveexec_b64 s[0:1], s[18:19]
	s_cbranch_execz .LBB110_31
; %bb.26:
	v_cmp_ngt_f64_e64 s[18:19], |v[117:118]|, |v[119:120]|
	s_and_saveexec_b64 s[20:21], s[18:19]
	s_xor_b64 s[18:19], exec, s[20:21]
	s_cbranch_execz .LBB110_28
; %bb.27:
	v_div_scale_f64 v[90:91], s[20:21], v[119:120], v[119:120], v[117:118]
	v_rcp_f64_e32 v[97:98], v[90:91]
	v_fma_f64 v[99:100], -v[90:91], v[97:98], 1.0
	v_fma_f64 v[97:98], v[97:98], v[99:100], v[97:98]
	v_div_scale_f64 v[99:100], vcc, v[117:118], v[119:120], v[117:118]
	v_fma_f64 v[101:102], -v[90:91], v[97:98], 1.0
	v_fma_f64 v[97:98], v[97:98], v[101:102], v[97:98]
	v_mul_f64 v[101:102], v[99:100], v[97:98]
	v_fma_f64 v[90:91], -v[90:91], v[101:102], v[99:100]
	v_div_fmas_f64 v[90:91], v[90:91], v[97:98], v[101:102]
	v_div_fixup_f64 v[90:91], v[90:91], v[119:120], v[117:118]
	v_fma_f64 v[97:98], v[117:118], v[90:91], v[119:120]
	v_div_scale_f64 v[99:100], s[20:21], v[97:98], v[97:98], 1.0
	v_div_scale_f64 v[105:106], vcc, 1.0, v[97:98], 1.0
	v_rcp_f64_e32 v[101:102], v[99:100]
	v_fma_f64 v[103:104], -v[99:100], v[101:102], 1.0
	v_fma_f64 v[101:102], v[101:102], v[103:104], v[101:102]
	v_fma_f64 v[103:104], -v[99:100], v[101:102], 1.0
	v_fma_f64 v[101:102], v[101:102], v[103:104], v[101:102]
	v_mul_f64 v[103:104], v[105:106], v[101:102]
	v_fma_f64 v[99:100], -v[99:100], v[103:104], v[105:106]
	v_div_fmas_f64 v[99:100], v[99:100], v[101:102], v[103:104]
	v_div_fixup_f64 v[119:120], v[99:100], v[97:98], 1.0
	v_mul_f64 v[117:118], v[90:91], v[119:120]
	v_xor_b32_e32 v120, 0x80000000, v120
.LBB110_28:
	s_andn2_saveexec_b64 s[18:19], s[18:19]
	s_cbranch_execz .LBB110_30
; %bb.29:
	v_div_scale_f64 v[90:91], s[20:21], v[117:118], v[117:118], v[119:120]
	v_rcp_f64_e32 v[97:98], v[90:91]
	v_fma_f64 v[99:100], -v[90:91], v[97:98], 1.0
	v_fma_f64 v[97:98], v[97:98], v[99:100], v[97:98]
	v_div_scale_f64 v[99:100], vcc, v[119:120], v[117:118], v[119:120]
	v_fma_f64 v[101:102], -v[90:91], v[97:98], 1.0
	v_fma_f64 v[97:98], v[97:98], v[101:102], v[97:98]
	v_mul_f64 v[101:102], v[99:100], v[97:98]
	v_fma_f64 v[90:91], -v[90:91], v[101:102], v[99:100]
	v_div_fmas_f64 v[90:91], v[90:91], v[97:98], v[101:102]
	v_div_fixup_f64 v[90:91], v[90:91], v[117:118], v[119:120]
	v_fma_f64 v[97:98], v[119:120], v[90:91], v[117:118]
	v_div_scale_f64 v[99:100], s[20:21], v[97:98], v[97:98], 1.0
	v_div_scale_f64 v[105:106], vcc, 1.0, v[97:98], 1.0
	v_rcp_f64_e32 v[101:102], v[99:100]
	v_fma_f64 v[103:104], -v[99:100], v[101:102], 1.0
	v_fma_f64 v[101:102], v[101:102], v[103:104], v[101:102]
	v_fma_f64 v[103:104], -v[99:100], v[101:102], 1.0
	v_fma_f64 v[101:102], v[101:102], v[103:104], v[101:102]
	v_mul_f64 v[103:104], v[105:106], v[101:102]
	v_fma_f64 v[99:100], -v[99:100], v[103:104], v[105:106]
	v_div_fmas_f64 v[99:100], v[99:100], v[101:102], v[103:104]
	v_div_fixup_f64 v[117:118], v[99:100], v[97:98], 1.0
	v_mul_f64 v[119:120], v[90:91], -v[117:118]
.LBB110_30:
	s_or_b64 exec, exec, s[18:19]
	v_mov_b32_e32 v94, v96
.LBB110_31:
	s_or_b64 exec, exec, s[0:1]
	v_cmp_ne_u32_e32 vcc, v93, v89
	s_and_saveexec_b64 s[0:1], vcc
	s_xor_b64 s[0:1], exec, s[0:1]
	s_cbranch_execz .LBB110_37
; %bb.32:
	v_cmp_eq_u32_e32 vcc, 1, v93
	s_and_saveexec_b64 s[18:19], vcc
	s_cbranch_execz .LBB110_36
; %bb.33:
	v_cmp_ne_u32_e32 vcc, 1, v89
	s_xor_b64 s[20:21], s[6:7], -1
	s_and_b64 s[22:23], s[20:21], vcc
	s_and_saveexec_b64 s[20:21], s[22:23]
	s_cbranch_execz .LBB110_35
; %bb.34:
	v_mov_b32_e32 v73, v81
	v_mov_b32_e32 v74, v82
	;; [unrolled: 1-line block ×4, first 2 shown]
	buffer_load_dword v81, off, s[24:27], 0 offset:448 ; 4-byte Folded Reload
	buffer_load_dword v82, off, s[24:27], 0 offset:452 ; 4-byte Folded Reload
	v_ashrrev_i32_e32 v90, 31, v89
	v_lshlrev_b64 v[90:91], 2, v[89:90]
	s_waitcnt vmcnt(1)
	v_add_co_u32_e32 v90, vcc, v81, v90
	s_waitcnt vmcnt(0)
	v_addc_co_u32_e32 v91, vcc, v82, v91, vcc
	global_load_dword v92, v[90:91], off
	global_load_dword v93, v[81:82], off offset:4
	s_waitcnt vmcnt(1)
	global_store_dword v[81:82], v92, off offset:4
	v_mov_b32_e32 v84, v76
	v_mov_b32_e32 v83, v75
	v_mov_b32_e32 v82, v74
	v_mov_b32_e32 v81, v73
	s_waitcnt vmcnt(1)
	global_store_dword v[90:91], v93, off
.LBB110_35:
	s_or_b64 exec, exec, s[20:21]
	v_mov_b32_e32 v93, v89
	v_mov_b32_e32 v127, v89
.LBB110_36:
	s_or_b64 exec, exec, s[18:19]
.LBB110_37:
	s_andn2_saveexec_b64 s[0:1], s[0:1]
	s_cbranch_execz .LBB110_39
; %bb.38:
	buffer_load_dword v73, off, s[24:27], 0 offset:472 ; 4-byte Folded Reload
	buffer_load_dword v74, off, s[24:27], 0 offset:476 ; 4-byte Folded Reload
	buffer_load_dword v75, off, s[24:27], 0 offset:480 ; 4-byte Folded Reload
	buffer_load_dword v76, off, s[24:27], 0 offset:484 ; 4-byte Folded Reload
	v_mov_b32_e32 v93, 1
	s_waitcnt vmcnt(0)
	ds_write2_b64 v0, v[73:74], v[75:76] offset0:4 offset1:5
	buffer_load_dword v73, off, s[24:27], 0 offset:456 ; 4-byte Folded Reload
	buffer_load_dword v74, off, s[24:27], 0 offset:460 ; 4-byte Folded Reload
	buffer_load_dword v75, off, s[24:27], 0 offset:464 ; 4-byte Folded Reload
	buffer_load_dword v76, off, s[24:27], 0 offset:468 ; 4-byte Folded Reload
	s_waitcnt vmcnt(0)
	ds_write2_b64 v0, v[73:74], v[75:76] offset0:6 offset1:7
	buffer_load_dword v73, off, s[24:27], 0 offset:432 ; 4-byte Folded Reload
	buffer_load_dword v74, off, s[24:27], 0 offset:436 ; 4-byte Folded Reload
	buffer_load_dword v75, off, s[24:27], 0 offset:440 ; 4-byte Folded Reload
	buffer_load_dword v76, off, s[24:27], 0 offset:444 ; 4-byte Folded Reload
	;; [unrolled: 6-line block ×28, first 2 shown]
	s_waitcnt vmcnt(0)
	ds_write2_b64 v0, v[73:74], v[75:76] offset0:60 offset1:61
	ds_write2_b64 v0, v[81:82], v[83:84] offset0:62 offset1:63
	;; [unrolled: 1-line block ×6, first 2 shown]
	buffer_load_dword v73, off, s[24:27], 0 ; 4-byte Folded Reload
	buffer_load_dword v74, off, s[24:27], 0 offset:4 ; 4-byte Folded Reload
	buffer_load_dword v75, off, s[24:27], 0 offset:8 ; 4-byte Folded Reload
	;; [unrolled: 1-line block ×3, first 2 shown]
	s_waitcnt vmcnt(0)
	ds_write2_b64 v0, v[73:74], v[75:76] offset0:72 offset1:73
	ds_write2_b64 v0, v[69:70], v[71:72] offset0:74 offset1:75
	;; [unrolled: 1-line block ×20, first 2 shown]
.LBB110_39:
	s_or_b64 exec, exec, s[0:1]
	v_cmp_lt_i32_e32 vcc, 1, v93
	s_waitcnt vmcnt(0) lgkmcnt(0)
	s_barrier
	s_and_saveexec_b64 s[0:1], vcc
	s_cbranch_execz .LBB110_41
; %bb.40:
	buffer_load_dword v98, off, s[24:27], 0 offset:488 ; 4-byte Folded Reload
	buffer_load_dword v99, off, s[24:27], 0 offset:492 ; 4-byte Folded Reload
	;; [unrolled: 1-line block ×4, first 2 shown]
	s_waitcnt vmcnt(0)
	v_mul_f64 v[89:90], v[119:120], v[100:101]
	v_fma_f64 v[125:126], v[117:118], v[98:99], -v[89:90]
	v_mul_f64 v[89:90], v[117:118], v[100:101]
	v_fma_f64 v[100:101], v[119:120], v[98:99], v[89:90]
	ds_read2_b64 v[89:92], v0 offset0:4 offset1:5
	buffer_load_dword v73, off, s[24:27], 0 offset:472 ; 4-byte Folded Reload
	buffer_load_dword v74, off, s[24:27], 0 offset:476 ; 4-byte Folded Reload
	buffer_load_dword v75, off, s[24:27], 0 offset:480 ; 4-byte Folded Reload
	buffer_load_dword v76, off, s[24:27], 0 offset:484 ; 4-byte Folded Reload
	s_waitcnt lgkmcnt(0)
	v_mul_f64 v[96:97], v[91:92], v[100:101]
	v_fma_f64 v[96:97], v[89:90], v[125:126], -v[96:97]
	v_mul_f64 v[89:90], v[89:90], v[100:101]
	v_fma_f64 v[89:90], v[91:92], v[125:126], v[89:90]
	s_waitcnt vmcnt(2)
	v_add_f64 v[73:74], v[73:74], -v[96:97]
	s_waitcnt vmcnt(0)
	v_add_f64 v[75:76], v[75:76], -v[89:90]
	buffer_store_dword v73, off, s[24:27], 0 offset:472 ; 4-byte Folded Spill
	s_nop 0
	buffer_store_dword v74, off, s[24:27], 0 offset:476 ; 4-byte Folded Spill
	buffer_store_dword v75, off, s[24:27], 0 offset:480 ; 4-byte Folded Spill
	buffer_store_dword v76, off, s[24:27], 0 offset:484 ; 4-byte Folded Spill
	ds_read2_b64 v[89:92], v0 offset0:6 offset1:7
	buffer_load_dword v73, off, s[24:27], 0 offset:456 ; 4-byte Folded Reload
	buffer_load_dword v74, off, s[24:27], 0 offset:460 ; 4-byte Folded Reload
	buffer_load_dword v75, off, s[24:27], 0 offset:464 ; 4-byte Folded Reload
	buffer_load_dword v76, off, s[24:27], 0 offset:468 ; 4-byte Folded Reload
	s_waitcnt lgkmcnt(0)
	v_mul_f64 v[96:97], v[91:92], v[100:101]
	v_fma_f64 v[96:97], v[89:90], v[125:126], -v[96:97]
	v_mul_f64 v[89:90], v[89:90], v[100:101]
	v_fma_f64 v[89:90], v[91:92], v[125:126], v[89:90]
	s_waitcnt vmcnt(2)
	v_add_f64 v[73:74], v[73:74], -v[96:97]
	s_waitcnt vmcnt(0)
	v_add_f64 v[75:76], v[75:76], -v[89:90]
	buffer_store_dword v73, off, s[24:27], 0 offset:456 ; 4-byte Folded Spill
	s_nop 0
	buffer_store_dword v74, off, s[24:27], 0 offset:460 ; 4-byte Folded Spill
	buffer_store_dword v75, off, s[24:27], 0 offset:464 ; 4-byte Folded Spill
	buffer_store_dword v76, off, s[24:27], 0 offset:468 ; 4-byte Folded Spill
	;; [unrolled: 19-line block ×29, first 2 shown]
	ds_read2_b64 v[89:92], v0 offset0:62 offset1:63
	s_waitcnt lgkmcnt(0)
	v_mul_f64 v[96:97], v[91:92], v[100:101]
	v_fma_f64 v[96:97], v[89:90], v[125:126], -v[96:97]
	v_mul_f64 v[89:90], v[89:90], v[100:101]
	v_add_f64 v[81:82], v[81:82], -v[96:97]
	v_fma_f64 v[89:90], v[91:92], v[125:126], v[89:90]
	v_add_f64 v[83:84], v[83:84], -v[89:90]
	ds_read2_b64 v[89:92], v0 offset0:64 offset1:65
	s_waitcnt lgkmcnt(0)
	v_mul_f64 v[96:97], v[91:92], v[100:101]
	v_fma_f64 v[96:97], v[89:90], v[125:126], -v[96:97]
	v_mul_f64 v[89:90], v[89:90], v[100:101]
	v_add_f64 v[85:86], v[85:86], -v[96:97]
	v_fma_f64 v[89:90], v[91:92], v[125:126], v[89:90]
	v_add_f64 v[87:88], v[87:88], -v[89:90]
	;; [unrolled: 8-line block ×5, first 2 shown]
	ds_read2_b64 v[89:92], v0 offset0:72 offset1:73
	buffer_load_dword v73, off, s[24:27], 0 ; 4-byte Folded Reload
	buffer_load_dword v74, off, s[24:27], 0 offset:4 ; 4-byte Folded Reload
	buffer_load_dword v75, off, s[24:27], 0 offset:8 ; 4-byte Folded Reload
	;; [unrolled: 1-line block ×3, first 2 shown]
	s_waitcnt lgkmcnt(0)
	v_mul_f64 v[96:97], v[91:92], v[100:101]
	v_fma_f64 v[96:97], v[89:90], v[125:126], -v[96:97]
	v_mul_f64 v[89:90], v[89:90], v[100:101]
	v_fma_f64 v[89:90], v[91:92], v[125:126], v[89:90]
	s_waitcnt vmcnt(2)
	v_add_f64 v[73:74], v[73:74], -v[96:97]
	s_waitcnt vmcnt(0)
	v_add_f64 v[75:76], v[75:76], -v[89:90]
	buffer_store_dword v73, off, s[24:27], 0 ; 4-byte Folded Spill
	s_nop 0
	buffer_store_dword v74, off, s[24:27], 0 offset:4 ; 4-byte Folded Spill
	buffer_store_dword v75, off, s[24:27], 0 offset:8 ; 4-byte Folded Spill
	;; [unrolled: 1-line block ×3, first 2 shown]
	ds_read2_b64 v[89:92], v0 offset0:74 offset1:75
	s_waitcnt lgkmcnt(0)
	v_mul_f64 v[96:97], v[91:92], v[100:101]
	v_fma_f64 v[96:97], v[89:90], v[125:126], -v[96:97]
	v_mul_f64 v[89:90], v[89:90], v[100:101]
	v_add_f64 v[69:70], v[69:70], -v[96:97]
	v_fma_f64 v[89:90], v[91:92], v[125:126], v[89:90]
	v_add_f64 v[71:72], v[71:72], -v[89:90]
	ds_read2_b64 v[89:92], v0 offset0:76 offset1:77
	s_waitcnt lgkmcnt(0)
	v_mul_f64 v[96:97], v[91:92], v[100:101]
	v_fma_f64 v[96:97], v[89:90], v[125:126], -v[96:97]
	v_mul_f64 v[89:90], v[89:90], v[100:101]
	v_add_f64 v[65:66], v[65:66], -v[96:97]
	v_fma_f64 v[89:90], v[91:92], v[125:126], v[89:90]
	v_add_f64 v[67:68], v[67:68], -v[89:90]
	;; [unrolled: 8-line block ×17, first 2 shown]
	ds_read2_b64 v[89:92], v0 offset0:108 offset1:109
	s_waitcnt lgkmcnt(0)
	v_mul_f64 v[96:97], v[91:92], v[100:101]
	v_fma_f64 v[96:97], v[89:90], v[125:126], -v[96:97]
	v_mul_f64 v[89:90], v[89:90], v[100:101]
	v_add_f64 v[1:2], v[1:2], -v[96:97]
	v_fma_f64 v[89:90], v[91:92], v[125:126], v[89:90]
	ds_read2_b64 v[96:99], v0 offset0:110 offset1:111
	s_waitcnt lgkmcnt(0)
	v_mul_f64 v[91:92], v[96:97], v[100:101]
	v_add_f64 v[3:4], v[3:4], -v[89:90]
	v_mul_f64 v[89:90], v[98:99], v[100:101]
	v_fma_f64 v[91:92], v[98:99], v[125:126], v[91:92]
	v_mov_b32_e32 v98, v125
	v_mov_b32_e32 v99, v126
	v_fma_f64 v[89:90], v[96:97], v[125:126], -v[89:90]
	buffer_store_dword v98, off, s[24:27], 0 offset:488 ; 4-byte Folded Spill
	s_nop 0
	buffer_store_dword v99, off, s[24:27], 0 offset:492 ; 4-byte Folded Spill
	buffer_store_dword v100, off, s[24:27], 0 offset:496 ; 4-byte Folded Spill
	;; [unrolled: 1-line block ×3, first 2 shown]
	v_add_f64 v[123:124], v[123:124], -v[91:92]
	v_add_f64 v[121:122], v[121:122], -v[89:90]
.LBB110_41:
	s_or_b64 exec, exec, s[0:1]
	s_waitcnt vmcnt(0)
	s_barrier
	buffer_load_dword v73, off, s[24:27], 0 offset:472 ; 4-byte Folded Reload
	buffer_load_dword v74, off, s[24:27], 0 offset:476 ; 4-byte Folded Reload
	buffer_load_dword v75, off, s[24:27], 0 offset:480 ; 4-byte Folded Reload
	buffer_load_dword v76, off, s[24:27], 0 offset:484 ; 4-byte Folded Reload
	v_lshl_add_u32 v89, v93, 4, v0
	s_cmp_lt_i32 s3, 4
	s_waitcnt vmcnt(0)
	ds_write2_b64 v89, v[73:74], v[75:76] offset1:1
	s_waitcnt lgkmcnt(0)
	s_barrier
	ds_read2_b64 v[117:120], v0 offset0:4 offset1:5
	v_mov_b32_e32 v89, 2
	s_cbranch_scc1 .LBB110_44
; %bb.42:
	v_add3_u32 v90, v95, 0, 48
	s_mov_b32 s0, 3
	v_mov_b32_e32 v89, 2
.LBB110_43:                             ; =>This Inner Loop Header: Depth=1
	s_waitcnt lgkmcnt(0)
	v_cmp_gt_f64_e32 vcc, 0, v[117:118]
	v_xor_b32_e32 v91, 0x80000000, v118
	ds_read2_b64 v[96:99], v90 offset1:1
	v_xor_b32_e32 v100, 0x80000000, v120
	v_add_u32_e32 v90, 16, v90
	s_waitcnt lgkmcnt(0)
	v_xor_b32_e32 v102, 0x80000000, v99
	v_cndmask_b32_e32 v92, v118, v91, vcc
	v_cmp_gt_f64_e32 vcc, 0, v[119:120]
	v_mov_b32_e32 v91, v117
	v_cndmask_b32_e32 v101, v120, v100, vcc
	v_cmp_gt_f64_e32 vcc, 0, v[96:97]
	v_mov_b32_e32 v100, v119
	v_add_f64 v[91:92], v[91:92], v[100:101]
	v_xor_b32_e32 v100, 0x80000000, v97
	v_cndmask_b32_e32 v101, v97, v100, vcc
	v_cmp_gt_f64_e32 vcc, 0, v[98:99]
	v_mov_b32_e32 v100, v96
	v_cndmask_b32_e32 v103, v99, v102, vcc
	v_mov_b32_e32 v102, v98
	v_add_f64 v[100:101], v[100:101], v[102:103]
	v_cmp_lt_f64_e32 vcc, v[91:92], v[100:101]
	v_mov_b32_e32 v91, s0
	s_add_i32 s0, s0, 1
	s_cmp_lg_u32 s3, s0
	v_cndmask_b32_e32 v118, v118, v97, vcc
	v_cndmask_b32_e32 v117, v117, v96, vcc
	;; [unrolled: 1-line block ×5, first 2 shown]
	s_cbranch_scc1 .LBB110_43
.LBB110_44:
	s_waitcnt lgkmcnt(0)
	v_cmp_eq_f64_e32 vcc, 0, v[117:118]
	v_cmp_eq_f64_e64 s[0:1], 0, v[119:120]
	s_and_b64 s[0:1], vcc, s[0:1]
	s_and_saveexec_b64 s[18:19], s[0:1]
	s_xor_b64 s[0:1], exec, s[18:19]
; %bb.45:
	v_cmp_ne_u32_e32 vcc, 0, v94
	v_cndmask_b32_e32 v94, 3, v94, vcc
; %bb.46:
	s_andn2_saveexec_b64 s[0:1], s[0:1]
	s_cbranch_execz .LBB110_52
; %bb.47:
	v_cmp_ngt_f64_e64 s[18:19], |v[117:118]|, |v[119:120]|
	s_and_saveexec_b64 s[20:21], s[18:19]
	s_xor_b64 s[18:19], exec, s[20:21]
	s_cbranch_execz .LBB110_49
; %bb.48:
	v_div_scale_f64 v[90:91], s[20:21], v[119:120], v[119:120], v[117:118]
	v_rcp_f64_e32 v[96:97], v[90:91]
	v_fma_f64 v[98:99], -v[90:91], v[96:97], 1.0
	v_fma_f64 v[96:97], v[96:97], v[98:99], v[96:97]
	v_div_scale_f64 v[98:99], vcc, v[117:118], v[119:120], v[117:118]
	v_fma_f64 v[100:101], -v[90:91], v[96:97], 1.0
	v_fma_f64 v[96:97], v[96:97], v[100:101], v[96:97]
	v_mul_f64 v[100:101], v[98:99], v[96:97]
	v_fma_f64 v[90:91], -v[90:91], v[100:101], v[98:99]
	v_div_fmas_f64 v[90:91], v[90:91], v[96:97], v[100:101]
	v_div_fixup_f64 v[90:91], v[90:91], v[119:120], v[117:118]
	v_fma_f64 v[96:97], v[117:118], v[90:91], v[119:120]
	v_div_scale_f64 v[98:99], s[20:21], v[96:97], v[96:97], 1.0
	v_div_scale_f64 v[104:105], vcc, 1.0, v[96:97], 1.0
	v_rcp_f64_e32 v[100:101], v[98:99]
	v_fma_f64 v[102:103], -v[98:99], v[100:101], 1.0
	v_fma_f64 v[100:101], v[100:101], v[102:103], v[100:101]
	v_fma_f64 v[102:103], -v[98:99], v[100:101], 1.0
	v_fma_f64 v[100:101], v[100:101], v[102:103], v[100:101]
	v_mul_f64 v[102:103], v[104:105], v[100:101]
	v_fma_f64 v[98:99], -v[98:99], v[102:103], v[104:105]
	v_div_fmas_f64 v[98:99], v[98:99], v[100:101], v[102:103]
	v_div_fixup_f64 v[119:120], v[98:99], v[96:97], 1.0
	v_mul_f64 v[117:118], v[90:91], v[119:120]
	v_xor_b32_e32 v120, 0x80000000, v120
.LBB110_49:
	s_andn2_saveexec_b64 s[18:19], s[18:19]
	s_cbranch_execz .LBB110_51
; %bb.50:
	v_div_scale_f64 v[90:91], s[20:21], v[117:118], v[117:118], v[119:120]
	v_rcp_f64_e32 v[96:97], v[90:91]
	v_fma_f64 v[98:99], -v[90:91], v[96:97], 1.0
	v_fma_f64 v[96:97], v[96:97], v[98:99], v[96:97]
	v_div_scale_f64 v[98:99], vcc, v[119:120], v[117:118], v[119:120]
	v_fma_f64 v[100:101], -v[90:91], v[96:97], 1.0
	v_fma_f64 v[96:97], v[96:97], v[100:101], v[96:97]
	v_mul_f64 v[100:101], v[98:99], v[96:97]
	v_fma_f64 v[90:91], -v[90:91], v[100:101], v[98:99]
	v_div_fmas_f64 v[90:91], v[90:91], v[96:97], v[100:101]
	v_div_fixup_f64 v[90:91], v[90:91], v[117:118], v[119:120]
	v_fma_f64 v[96:97], v[119:120], v[90:91], v[117:118]
	v_div_scale_f64 v[98:99], s[20:21], v[96:97], v[96:97], 1.0
	v_div_scale_f64 v[104:105], vcc, 1.0, v[96:97], 1.0
	v_rcp_f64_e32 v[100:101], v[98:99]
	v_fma_f64 v[102:103], -v[98:99], v[100:101], 1.0
	v_fma_f64 v[100:101], v[100:101], v[102:103], v[100:101]
	v_fma_f64 v[102:103], -v[98:99], v[100:101], 1.0
	v_fma_f64 v[100:101], v[100:101], v[102:103], v[100:101]
	v_mul_f64 v[102:103], v[104:105], v[100:101]
	v_fma_f64 v[98:99], -v[98:99], v[102:103], v[104:105]
	v_div_fmas_f64 v[98:99], v[98:99], v[100:101], v[102:103]
	v_div_fixup_f64 v[117:118], v[98:99], v[96:97], 1.0
	v_mul_f64 v[119:120], v[90:91], -v[117:118]
.LBB110_51:
	s_or_b64 exec, exec, s[18:19]
.LBB110_52:
	s_or_b64 exec, exec, s[0:1]
	v_cmp_ne_u32_e32 vcc, v93, v89
	s_and_saveexec_b64 s[0:1], vcc
	s_xor_b64 s[0:1], exec, s[0:1]
	s_cbranch_execz .LBB110_58
; %bb.53:
	v_cmp_eq_u32_e32 vcc, 2, v93
	s_and_saveexec_b64 s[18:19], vcc
	s_cbranch_execz .LBB110_57
; %bb.54:
	v_cmp_ne_u32_e32 vcc, 2, v89
	s_xor_b64 s[20:21], s[6:7], -1
	s_and_b64 s[22:23], s[20:21], vcc
	s_and_saveexec_b64 s[20:21], s[22:23]
	s_cbranch_execz .LBB110_56
; %bb.55:
	v_mov_b32_e32 v73, v81
	v_mov_b32_e32 v74, v82
	;; [unrolled: 1-line block ×4, first 2 shown]
	buffer_load_dword v81, off, s[24:27], 0 offset:448 ; 4-byte Folded Reload
	buffer_load_dword v82, off, s[24:27], 0 offset:452 ; 4-byte Folded Reload
	v_ashrrev_i32_e32 v90, 31, v89
	v_lshlrev_b64 v[90:91], 2, v[89:90]
	s_waitcnt vmcnt(1)
	v_add_co_u32_e32 v90, vcc, v81, v90
	s_waitcnt vmcnt(0)
	v_addc_co_u32_e32 v91, vcc, v82, v91, vcc
	global_load_dword v92, v[90:91], off
	global_load_dword v93, v[81:82], off offset:8
	s_waitcnt vmcnt(1)
	global_store_dword v[81:82], v92, off offset:8
	v_mov_b32_e32 v84, v76
	v_mov_b32_e32 v83, v75
	;; [unrolled: 1-line block ×4, first 2 shown]
	s_waitcnt vmcnt(1)
	global_store_dword v[90:91], v93, off
.LBB110_56:
	s_or_b64 exec, exec, s[20:21]
	v_mov_b32_e32 v93, v89
	v_mov_b32_e32 v127, v89
.LBB110_57:
	s_or_b64 exec, exec, s[18:19]
.LBB110_58:
	s_andn2_saveexec_b64 s[0:1], s[0:1]
	s_cbranch_execz .LBB110_60
; %bb.59:
	buffer_load_dword v73, off, s[24:27], 0 offset:456 ; 4-byte Folded Reload
	buffer_load_dword v74, off, s[24:27], 0 offset:460 ; 4-byte Folded Reload
	;; [unrolled: 1-line block ×4, first 2 shown]
	v_mov_b32_e32 v93, 2
	s_waitcnt vmcnt(0)
	ds_write2_b64 v0, v[73:74], v[75:76] offset0:6 offset1:7
	buffer_load_dword v73, off, s[24:27], 0 offset:432 ; 4-byte Folded Reload
	buffer_load_dword v74, off, s[24:27], 0 offset:436 ; 4-byte Folded Reload
	buffer_load_dword v75, off, s[24:27], 0 offset:440 ; 4-byte Folded Reload
	buffer_load_dword v76, off, s[24:27], 0 offset:444 ; 4-byte Folded Reload
	s_waitcnt vmcnt(0)
	ds_write2_b64 v0, v[73:74], v[75:76] offset0:8 offset1:9
	buffer_load_dword v73, off, s[24:27], 0 offset:416 ; 4-byte Folded Reload
	buffer_load_dword v74, off, s[24:27], 0 offset:420 ; 4-byte Folded Reload
	buffer_load_dword v75, off, s[24:27], 0 offset:424 ; 4-byte Folded Reload
	buffer_load_dword v76, off, s[24:27], 0 offset:428 ; 4-byte Folded Reload
	;; [unrolled: 6-line block ×27, first 2 shown]
	s_waitcnt vmcnt(0)
	ds_write2_b64 v0, v[73:74], v[75:76] offset0:60 offset1:61
	ds_write2_b64 v0, v[81:82], v[83:84] offset0:62 offset1:63
	;; [unrolled: 1-line block ×6, first 2 shown]
	buffer_load_dword v73, off, s[24:27], 0 ; 4-byte Folded Reload
	buffer_load_dword v74, off, s[24:27], 0 offset:4 ; 4-byte Folded Reload
	buffer_load_dword v75, off, s[24:27], 0 offset:8 ; 4-byte Folded Reload
	;; [unrolled: 1-line block ×3, first 2 shown]
	s_waitcnt vmcnt(0)
	ds_write2_b64 v0, v[73:74], v[75:76] offset0:72 offset1:73
	ds_write2_b64 v0, v[69:70], v[71:72] offset0:74 offset1:75
	;; [unrolled: 1-line block ×20, first 2 shown]
.LBB110_60:
	s_or_b64 exec, exec, s[0:1]
	v_cmp_lt_i32_e32 vcc, 2, v93
	s_waitcnt vmcnt(0) lgkmcnt(0)
	s_barrier
	s_and_saveexec_b64 s[0:1], vcc
	s_cbranch_execz .LBB110_62
; %bb.61:
	buffer_load_dword v98, off, s[24:27], 0 offset:472 ; 4-byte Folded Reload
	buffer_load_dword v99, off, s[24:27], 0 offset:476 ; 4-byte Folded Reload
	;; [unrolled: 1-line block ×4, first 2 shown]
	s_waitcnt vmcnt(0)
	v_mul_f64 v[89:90], v[119:120], v[100:101]
	v_fma_f64 v[125:126], v[117:118], v[98:99], -v[89:90]
	v_mul_f64 v[89:90], v[117:118], v[100:101]
	v_fma_f64 v[100:101], v[119:120], v[98:99], v[89:90]
	ds_read2_b64 v[89:92], v0 offset0:6 offset1:7
	buffer_load_dword v73, off, s[24:27], 0 offset:456 ; 4-byte Folded Reload
	buffer_load_dword v74, off, s[24:27], 0 offset:460 ; 4-byte Folded Reload
	buffer_load_dword v75, off, s[24:27], 0 offset:464 ; 4-byte Folded Reload
	buffer_load_dword v76, off, s[24:27], 0 offset:468 ; 4-byte Folded Reload
	s_waitcnt lgkmcnt(0)
	v_mul_f64 v[96:97], v[91:92], v[100:101]
	v_fma_f64 v[96:97], v[89:90], v[125:126], -v[96:97]
	v_mul_f64 v[89:90], v[89:90], v[100:101]
	v_fma_f64 v[89:90], v[91:92], v[125:126], v[89:90]
	s_waitcnt vmcnt(2)
	v_add_f64 v[73:74], v[73:74], -v[96:97]
	s_waitcnt vmcnt(0)
	v_add_f64 v[75:76], v[75:76], -v[89:90]
	buffer_store_dword v73, off, s[24:27], 0 offset:456 ; 4-byte Folded Spill
	s_nop 0
	buffer_store_dword v74, off, s[24:27], 0 offset:460 ; 4-byte Folded Spill
	buffer_store_dword v75, off, s[24:27], 0 offset:464 ; 4-byte Folded Spill
	buffer_store_dword v76, off, s[24:27], 0 offset:468 ; 4-byte Folded Spill
	ds_read2_b64 v[89:92], v0 offset0:8 offset1:9
	buffer_load_dword v73, off, s[24:27], 0 offset:432 ; 4-byte Folded Reload
	buffer_load_dword v74, off, s[24:27], 0 offset:436 ; 4-byte Folded Reload
	buffer_load_dword v75, off, s[24:27], 0 offset:440 ; 4-byte Folded Reload
	buffer_load_dword v76, off, s[24:27], 0 offset:444 ; 4-byte Folded Reload
	s_waitcnt lgkmcnt(0)
	v_mul_f64 v[96:97], v[91:92], v[100:101]
	v_fma_f64 v[96:97], v[89:90], v[125:126], -v[96:97]
	v_mul_f64 v[89:90], v[89:90], v[100:101]
	v_fma_f64 v[89:90], v[91:92], v[125:126], v[89:90]
	s_waitcnt vmcnt(2)
	v_add_f64 v[73:74], v[73:74], -v[96:97]
	s_waitcnt vmcnt(0)
	v_add_f64 v[75:76], v[75:76], -v[89:90]
	buffer_store_dword v73, off, s[24:27], 0 offset:432 ; 4-byte Folded Spill
	s_nop 0
	buffer_store_dword v74, off, s[24:27], 0 offset:436 ; 4-byte Folded Spill
	buffer_store_dword v75, off, s[24:27], 0 offset:440 ; 4-byte Folded Spill
	buffer_store_dword v76, off, s[24:27], 0 offset:444 ; 4-byte Folded Spill
	;; [unrolled: 19-line block ×28, first 2 shown]
	ds_read2_b64 v[89:92], v0 offset0:62 offset1:63
	s_waitcnt lgkmcnt(0)
	v_mul_f64 v[96:97], v[91:92], v[100:101]
	v_fma_f64 v[96:97], v[89:90], v[125:126], -v[96:97]
	v_mul_f64 v[89:90], v[89:90], v[100:101]
	v_add_f64 v[81:82], v[81:82], -v[96:97]
	v_fma_f64 v[89:90], v[91:92], v[125:126], v[89:90]
	v_add_f64 v[83:84], v[83:84], -v[89:90]
	ds_read2_b64 v[89:92], v0 offset0:64 offset1:65
	s_waitcnt lgkmcnt(0)
	v_mul_f64 v[96:97], v[91:92], v[100:101]
	v_fma_f64 v[96:97], v[89:90], v[125:126], -v[96:97]
	v_mul_f64 v[89:90], v[89:90], v[100:101]
	v_add_f64 v[85:86], v[85:86], -v[96:97]
	v_fma_f64 v[89:90], v[91:92], v[125:126], v[89:90]
	v_add_f64 v[87:88], v[87:88], -v[89:90]
	ds_read2_b64 v[89:92], v0 offset0:66 offset1:67
	s_waitcnt lgkmcnt(0)
	v_mul_f64 v[96:97], v[91:92], v[100:101]
	v_fma_f64 v[96:97], v[89:90], v[125:126], -v[96:97]
	v_mul_f64 v[89:90], v[89:90], v[100:101]
	v_add_f64 v[109:110], v[109:110], -v[96:97]
	v_fma_f64 v[89:90], v[91:92], v[125:126], v[89:90]
	v_add_f64 v[111:112], v[111:112], -v[89:90]
	ds_read2_b64 v[89:92], v0 offset0:68 offset1:69
	s_waitcnt lgkmcnt(0)
	v_mul_f64 v[96:97], v[91:92], v[100:101]
	v_fma_f64 v[96:97], v[89:90], v[125:126], -v[96:97]
	v_mul_f64 v[89:90], v[89:90], v[100:101]
	v_add_f64 v[113:114], v[113:114], -v[96:97]
	v_fma_f64 v[89:90], v[91:92], v[125:126], v[89:90]
	v_add_f64 v[115:116], v[115:116], -v[89:90]
	ds_read2_b64 v[89:92], v0 offset0:70 offset1:71
	s_waitcnt lgkmcnt(0)
	v_mul_f64 v[96:97], v[91:92], v[100:101]
	v_fma_f64 v[96:97], v[89:90], v[125:126], -v[96:97]
	v_mul_f64 v[89:90], v[89:90], v[100:101]
	v_add_f64 v[77:78], v[77:78], -v[96:97]
	v_fma_f64 v[89:90], v[91:92], v[125:126], v[89:90]
	v_add_f64 v[79:80], v[79:80], -v[89:90]
	ds_read2_b64 v[89:92], v0 offset0:72 offset1:73
	buffer_load_dword v73, off, s[24:27], 0 ; 4-byte Folded Reload
	buffer_load_dword v74, off, s[24:27], 0 offset:4 ; 4-byte Folded Reload
	buffer_load_dword v75, off, s[24:27], 0 offset:8 ; 4-byte Folded Reload
	;; [unrolled: 1-line block ×3, first 2 shown]
	s_waitcnt lgkmcnt(0)
	v_mul_f64 v[96:97], v[91:92], v[100:101]
	v_fma_f64 v[96:97], v[89:90], v[125:126], -v[96:97]
	v_mul_f64 v[89:90], v[89:90], v[100:101]
	v_fma_f64 v[89:90], v[91:92], v[125:126], v[89:90]
	s_waitcnt vmcnt(2)
	v_add_f64 v[73:74], v[73:74], -v[96:97]
	s_waitcnt vmcnt(0)
	v_add_f64 v[75:76], v[75:76], -v[89:90]
	buffer_store_dword v73, off, s[24:27], 0 ; 4-byte Folded Spill
	s_nop 0
	buffer_store_dword v74, off, s[24:27], 0 offset:4 ; 4-byte Folded Spill
	buffer_store_dword v75, off, s[24:27], 0 offset:8 ; 4-byte Folded Spill
	;; [unrolled: 1-line block ×3, first 2 shown]
	ds_read2_b64 v[89:92], v0 offset0:74 offset1:75
	s_waitcnt lgkmcnt(0)
	v_mul_f64 v[96:97], v[91:92], v[100:101]
	v_fma_f64 v[96:97], v[89:90], v[125:126], -v[96:97]
	v_mul_f64 v[89:90], v[89:90], v[100:101]
	v_add_f64 v[69:70], v[69:70], -v[96:97]
	v_fma_f64 v[89:90], v[91:92], v[125:126], v[89:90]
	v_add_f64 v[71:72], v[71:72], -v[89:90]
	ds_read2_b64 v[89:92], v0 offset0:76 offset1:77
	s_waitcnt lgkmcnt(0)
	v_mul_f64 v[96:97], v[91:92], v[100:101]
	v_fma_f64 v[96:97], v[89:90], v[125:126], -v[96:97]
	v_mul_f64 v[89:90], v[89:90], v[100:101]
	v_add_f64 v[65:66], v[65:66], -v[96:97]
	v_fma_f64 v[89:90], v[91:92], v[125:126], v[89:90]
	v_add_f64 v[67:68], v[67:68], -v[89:90]
	;; [unrolled: 8-line block ×17, first 2 shown]
	ds_read2_b64 v[89:92], v0 offset0:108 offset1:109
	s_waitcnt lgkmcnt(0)
	v_mul_f64 v[96:97], v[91:92], v[100:101]
	v_fma_f64 v[96:97], v[89:90], v[125:126], -v[96:97]
	v_mul_f64 v[89:90], v[89:90], v[100:101]
	v_add_f64 v[1:2], v[1:2], -v[96:97]
	v_fma_f64 v[89:90], v[91:92], v[125:126], v[89:90]
	ds_read2_b64 v[96:99], v0 offset0:110 offset1:111
	s_waitcnt lgkmcnt(0)
	v_mul_f64 v[91:92], v[96:97], v[100:101]
	v_add_f64 v[3:4], v[3:4], -v[89:90]
	v_mul_f64 v[89:90], v[98:99], v[100:101]
	v_fma_f64 v[91:92], v[98:99], v[125:126], v[91:92]
	v_mov_b32_e32 v98, v125
	v_mov_b32_e32 v99, v126
	v_fma_f64 v[89:90], v[96:97], v[125:126], -v[89:90]
	buffer_store_dword v98, off, s[24:27], 0 offset:472 ; 4-byte Folded Spill
	s_nop 0
	buffer_store_dword v99, off, s[24:27], 0 offset:476 ; 4-byte Folded Spill
	buffer_store_dword v100, off, s[24:27], 0 offset:480 ; 4-byte Folded Spill
	;; [unrolled: 1-line block ×3, first 2 shown]
	v_add_f64 v[123:124], v[123:124], -v[91:92]
	v_add_f64 v[121:122], v[121:122], -v[89:90]
.LBB110_62:
	s_or_b64 exec, exec, s[0:1]
	s_waitcnt vmcnt(0)
	s_barrier
	buffer_load_dword v73, off, s[24:27], 0 offset:456 ; 4-byte Folded Reload
	buffer_load_dword v74, off, s[24:27], 0 offset:460 ; 4-byte Folded Reload
	;; [unrolled: 1-line block ×4, first 2 shown]
	v_lshl_add_u32 v89, v93, 4, v0
	s_mov_b32 s0, 4
	s_cmp_lt_i32 s3, 5
	s_waitcnt vmcnt(0)
	ds_write2_b64 v89, v[73:74], v[75:76] offset1:1
	s_waitcnt lgkmcnt(0)
	s_barrier
	ds_read2_b64 v[117:120], v0 offset0:6 offset1:7
	v_mov_b32_e32 v89, 3
	s_cbranch_scc1 .LBB110_65
; %bb.63:
	v_add3_u32 v90, v95, 0, 64
	v_mov_b32_e32 v89, 3
.LBB110_64:                             ; =>This Inner Loop Header: Depth=1
	s_waitcnt lgkmcnt(0)
	v_cmp_gt_f64_e32 vcc, 0, v[117:118]
	v_xor_b32_e32 v91, 0x80000000, v118
	ds_read2_b64 v[95:98], v90 offset1:1
	v_xor_b32_e32 v99, 0x80000000, v120
	v_add_u32_e32 v90, 16, v90
	s_waitcnt lgkmcnt(0)
	v_xor_b32_e32 v101, 0x80000000, v98
	v_cndmask_b32_e32 v92, v118, v91, vcc
	v_cmp_gt_f64_e32 vcc, 0, v[119:120]
	v_mov_b32_e32 v91, v117
	v_cndmask_b32_e32 v100, v120, v99, vcc
	v_cmp_gt_f64_e32 vcc, 0, v[95:96]
	v_mov_b32_e32 v99, v119
	v_add_f64 v[91:92], v[91:92], v[99:100]
	v_xor_b32_e32 v99, 0x80000000, v96
	v_cndmask_b32_e32 v100, v96, v99, vcc
	v_cmp_gt_f64_e32 vcc, 0, v[97:98]
	v_mov_b32_e32 v99, v95
	v_cndmask_b32_e32 v102, v98, v101, vcc
	v_mov_b32_e32 v101, v97
	v_add_f64 v[99:100], v[99:100], v[101:102]
	v_cmp_lt_f64_e32 vcc, v[91:92], v[99:100]
	v_mov_b32_e32 v91, s0
	s_add_i32 s0, s0, 1
	s_cmp_lg_u32 s3, s0
	v_cndmask_b32_e32 v118, v118, v96, vcc
	v_cndmask_b32_e32 v117, v117, v95, vcc
	;; [unrolled: 1-line block ×5, first 2 shown]
	s_cbranch_scc1 .LBB110_64
.LBB110_65:
	s_waitcnt lgkmcnt(0)
	v_cmp_eq_f64_e32 vcc, 0, v[117:118]
	v_cmp_eq_f64_e64 s[0:1], 0, v[119:120]
	s_and_b64 s[0:1], vcc, s[0:1]
	s_and_saveexec_b64 s[18:19], s[0:1]
	s_xor_b64 s[0:1], exec, s[18:19]
; %bb.66:
	v_cmp_ne_u32_e32 vcc, 0, v94
	v_cndmask_b32_e32 v94, 4, v94, vcc
; %bb.67:
	s_andn2_saveexec_b64 s[0:1], s[0:1]
	s_cbranch_execz .LBB110_73
; %bb.68:
	v_cmp_ngt_f64_e64 s[18:19], |v[117:118]|, |v[119:120]|
	s_and_saveexec_b64 s[20:21], s[18:19]
	s_xor_b64 s[18:19], exec, s[20:21]
	s_cbranch_execz .LBB110_70
; %bb.69:
	v_div_scale_f64 v[90:91], s[20:21], v[119:120], v[119:120], v[117:118]
	v_rcp_f64_e32 v[95:96], v[90:91]
	v_fma_f64 v[97:98], -v[90:91], v[95:96], 1.0
	v_fma_f64 v[95:96], v[95:96], v[97:98], v[95:96]
	v_div_scale_f64 v[97:98], vcc, v[117:118], v[119:120], v[117:118]
	v_fma_f64 v[99:100], -v[90:91], v[95:96], 1.0
	v_fma_f64 v[95:96], v[95:96], v[99:100], v[95:96]
	v_mul_f64 v[99:100], v[97:98], v[95:96]
	v_fma_f64 v[90:91], -v[90:91], v[99:100], v[97:98]
	v_div_fmas_f64 v[90:91], v[90:91], v[95:96], v[99:100]
	v_div_fixup_f64 v[90:91], v[90:91], v[119:120], v[117:118]
	v_fma_f64 v[95:96], v[117:118], v[90:91], v[119:120]
	v_div_scale_f64 v[97:98], s[20:21], v[95:96], v[95:96], 1.0
	v_div_scale_f64 v[103:104], vcc, 1.0, v[95:96], 1.0
	v_rcp_f64_e32 v[99:100], v[97:98]
	v_fma_f64 v[101:102], -v[97:98], v[99:100], 1.0
	v_fma_f64 v[99:100], v[99:100], v[101:102], v[99:100]
	v_fma_f64 v[101:102], -v[97:98], v[99:100], 1.0
	v_fma_f64 v[99:100], v[99:100], v[101:102], v[99:100]
	v_mul_f64 v[101:102], v[103:104], v[99:100]
	v_fma_f64 v[97:98], -v[97:98], v[101:102], v[103:104]
	v_div_fmas_f64 v[97:98], v[97:98], v[99:100], v[101:102]
	v_div_fixup_f64 v[119:120], v[97:98], v[95:96], 1.0
	v_mul_f64 v[117:118], v[90:91], v[119:120]
	v_xor_b32_e32 v120, 0x80000000, v120
.LBB110_70:
	s_andn2_saveexec_b64 s[18:19], s[18:19]
	s_cbranch_execz .LBB110_72
; %bb.71:
	v_div_scale_f64 v[90:91], s[20:21], v[117:118], v[117:118], v[119:120]
	v_rcp_f64_e32 v[95:96], v[90:91]
	v_fma_f64 v[97:98], -v[90:91], v[95:96], 1.0
	v_fma_f64 v[95:96], v[95:96], v[97:98], v[95:96]
	v_div_scale_f64 v[97:98], vcc, v[119:120], v[117:118], v[119:120]
	v_fma_f64 v[99:100], -v[90:91], v[95:96], 1.0
	v_fma_f64 v[95:96], v[95:96], v[99:100], v[95:96]
	v_mul_f64 v[99:100], v[97:98], v[95:96]
	v_fma_f64 v[90:91], -v[90:91], v[99:100], v[97:98]
	v_div_fmas_f64 v[90:91], v[90:91], v[95:96], v[99:100]
	v_div_fixup_f64 v[90:91], v[90:91], v[117:118], v[119:120]
	v_fma_f64 v[95:96], v[119:120], v[90:91], v[117:118]
	v_div_scale_f64 v[97:98], s[20:21], v[95:96], v[95:96], 1.0
	v_div_scale_f64 v[103:104], vcc, 1.0, v[95:96], 1.0
	v_rcp_f64_e32 v[99:100], v[97:98]
	v_fma_f64 v[101:102], -v[97:98], v[99:100], 1.0
	v_fma_f64 v[99:100], v[99:100], v[101:102], v[99:100]
	v_fma_f64 v[101:102], -v[97:98], v[99:100], 1.0
	v_fma_f64 v[99:100], v[99:100], v[101:102], v[99:100]
	v_mul_f64 v[101:102], v[103:104], v[99:100]
	v_fma_f64 v[97:98], -v[97:98], v[101:102], v[103:104]
	v_div_fmas_f64 v[97:98], v[97:98], v[99:100], v[101:102]
	v_div_fixup_f64 v[117:118], v[97:98], v[95:96], 1.0
	v_mul_f64 v[119:120], v[90:91], -v[117:118]
.LBB110_72:
	s_or_b64 exec, exec, s[18:19]
.LBB110_73:
	s_or_b64 exec, exec, s[0:1]
	v_cmp_ne_u32_e32 vcc, v93, v89
	s_and_saveexec_b64 s[0:1], vcc
	s_xor_b64 s[0:1], exec, s[0:1]
	s_cbranch_execz .LBB110_79
; %bb.74:
	v_cmp_eq_u32_e32 vcc, 3, v93
	s_and_saveexec_b64 s[18:19], vcc
	s_cbranch_execz .LBB110_78
; %bb.75:
	v_cmp_ne_u32_e32 vcc, 3, v89
	s_xor_b64 s[20:21], s[6:7], -1
	s_and_b64 s[22:23], s[20:21], vcc
	s_and_saveexec_b64 s[20:21], s[22:23]
	s_cbranch_execz .LBB110_77
; %bb.76:
	v_mov_b32_e32 v73, v81
	v_mov_b32_e32 v74, v82
	v_mov_b32_e32 v75, v83
	v_mov_b32_e32 v76, v84
	buffer_load_dword v81, off, s[24:27], 0 offset:448 ; 4-byte Folded Reload
	buffer_load_dword v82, off, s[24:27], 0 offset:452 ; 4-byte Folded Reload
	v_ashrrev_i32_e32 v90, 31, v89
	v_lshlrev_b64 v[90:91], 2, v[89:90]
	s_waitcnt vmcnt(1)
	v_add_co_u32_e32 v90, vcc, v81, v90
	s_waitcnt vmcnt(0)
	v_addc_co_u32_e32 v91, vcc, v82, v91, vcc
	global_load_dword v92, v[90:91], off
	global_load_dword v93, v[81:82], off offset:12
	s_waitcnt vmcnt(1)
	global_store_dword v[81:82], v92, off offset:12
	v_mov_b32_e32 v84, v76
	v_mov_b32_e32 v83, v75
	v_mov_b32_e32 v82, v74
	v_mov_b32_e32 v81, v73
	s_waitcnt vmcnt(1)
	global_store_dword v[90:91], v93, off
.LBB110_77:
	s_or_b64 exec, exec, s[20:21]
	v_mov_b32_e32 v93, v89
	v_mov_b32_e32 v127, v89
.LBB110_78:
	s_or_b64 exec, exec, s[18:19]
.LBB110_79:
	s_andn2_saveexec_b64 s[0:1], s[0:1]
	s_cbranch_execz .LBB110_81
; %bb.80:
	buffer_load_dword v73, off, s[24:27], 0 offset:432 ; 4-byte Folded Reload
	buffer_load_dword v74, off, s[24:27], 0 offset:436 ; 4-byte Folded Reload
	;; [unrolled: 1-line block ×4, first 2 shown]
	v_mov_b32_e32 v93, 3
	s_waitcnt vmcnt(0)
	ds_write2_b64 v0, v[73:74], v[75:76] offset0:8 offset1:9
	buffer_load_dword v73, off, s[24:27], 0 offset:416 ; 4-byte Folded Reload
	buffer_load_dword v74, off, s[24:27], 0 offset:420 ; 4-byte Folded Reload
	buffer_load_dword v75, off, s[24:27], 0 offset:424 ; 4-byte Folded Reload
	buffer_load_dword v76, off, s[24:27], 0 offset:428 ; 4-byte Folded Reload
	s_waitcnt vmcnt(0)
	ds_write2_b64 v0, v[73:74], v[75:76] offset0:10 offset1:11
	buffer_load_dword v73, off, s[24:27], 0 offset:400 ; 4-byte Folded Reload
	buffer_load_dword v74, off, s[24:27], 0 offset:404 ; 4-byte Folded Reload
	buffer_load_dword v75, off, s[24:27], 0 offset:408 ; 4-byte Folded Reload
	buffer_load_dword v76, off, s[24:27], 0 offset:412 ; 4-byte Folded Reload
	;; [unrolled: 6-line block ×26, first 2 shown]
	s_waitcnt vmcnt(0)
	ds_write2_b64 v0, v[73:74], v[75:76] offset0:60 offset1:61
	ds_write2_b64 v0, v[81:82], v[83:84] offset0:62 offset1:63
	;; [unrolled: 1-line block ×6, first 2 shown]
	buffer_load_dword v73, off, s[24:27], 0 ; 4-byte Folded Reload
	buffer_load_dword v74, off, s[24:27], 0 offset:4 ; 4-byte Folded Reload
	buffer_load_dword v75, off, s[24:27], 0 offset:8 ; 4-byte Folded Reload
	;; [unrolled: 1-line block ×3, first 2 shown]
	s_waitcnt vmcnt(0)
	ds_write2_b64 v0, v[73:74], v[75:76] offset0:72 offset1:73
	ds_write2_b64 v0, v[69:70], v[71:72] offset0:74 offset1:75
	;; [unrolled: 1-line block ×20, first 2 shown]
.LBB110_81:
	s_or_b64 exec, exec, s[0:1]
	v_cmp_lt_i32_e32 vcc, 3, v93
	s_waitcnt vmcnt(0) lgkmcnt(0)
	s_barrier
	s_and_saveexec_b64 s[0:1], vcc
	s_cbranch_execz .LBB110_83
; %bb.82:
	buffer_load_dword v97, off, s[24:27], 0 offset:456 ; 4-byte Folded Reload
	buffer_load_dword v98, off, s[24:27], 0 offset:460 ; 4-byte Folded Reload
	;; [unrolled: 1-line block ×4, first 2 shown]
	s_waitcnt vmcnt(0)
	v_mul_f64 v[89:90], v[119:120], v[99:100]
	v_fma_f64 v[125:126], v[117:118], v[97:98], -v[89:90]
	v_mul_f64 v[89:90], v[117:118], v[99:100]
	v_fma_f64 v[99:100], v[119:120], v[97:98], v[89:90]
	ds_read2_b64 v[89:92], v0 offset0:8 offset1:9
	buffer_load_dword v73, off, s[24:27], 0 offset:432 ; 4-byte Folded Reload
	buffer_load_dword v74, off, s[24:27], 0 offset:436 ; 4-byte Folded Reload
	buffer_load_dword v75, off, s[24:27], 0 offset:440 ; 4-byte Folded Reload
	buffer_load_dword v76, off, s[24:27], 0 offset:444 ; 4-byte Folded Reload
	s_waitcnt lgkmcnt(0)
	v_mul_f64 v[95:96], v[91:92], v[99:100]
	v_fma_f64 v[95:96], v[89:90], v[125:126], -v[95:96]
	v_mul_f64 v[89:90], v[89:90], v[99:100]
	v_fma_f64 v[89:90], v[91:92], v[125:126], v[89:90]
	s_waitcnt vmcnt(2)
	v_add_f64 v[73:74], v[73:74], -v[95:96]
	s_waitcnt vmcnt(0)
	v_add_f64 v[75:76], v[75:76], -v[89:90]
	buffer_store_dword v73, off, s[24:27], 0 offset:432 ; 4-byte Folded Spill
	s_nop 0
	buffer_store_dword v74, off, s[24:27], 0 offset:436 ; 4-byte Folded Spill
	buffer_store_dword v75, off, s[24:27], 0 offset:440 ; 4-byte Folded Spill
	buffer_store_dword v76, off, s[24:27], 0 offset:444 ; 4-byte Folded Spill
	ds_read2_b64 v[89:92], v0 offset0:10 offset1:11
	buffer_load_dword v73, off, s[24:27], 0 offset:416 ; 4-byte Folded Reload
	buffer_load_dword v74, off, s[24:27], 0 offset:420 ; 4-byte Folded Reload
	buffer_load_dword v75, off, s[24:27], 0 offset:424 ; 4-byte Folded Reload
	buffer_load_dword v76, off, s[24:27], 0 offset:428 ; 4-byte Folded Reload
	s_waitcnt lgkmcnt(0)
	v_mul_f64 v[95:96], v[91:92], v[99:100]
	v_fma_f64 v[95:96], v[89:90], v[125:126], -v[95:96]
	v_mul_f64 v[89:90], v[89:90], v[99:100]
	v_fma_f64 v[89:90], v[91:92], v[125:126], v[89:90]
	s_waitcnt vmcnt(2)
	v_add_f64 v[73:74], v[73:74], -v[95:96]
	s_waitcnt vmcnt(0)
	v_add_f64 v[75:76], v[75:76], -v[89:90]
	buffer_store_dword v73, off, s[24:27], 0 offset:416 ; 4-byte Folded Spill
	s_nop 0
	buffer_store_dword v74, off, s[24:27], 0 offset:420 ; 4-byte Folded Spill
	buffer_store_dword v75, off, s[24:27], 0 offset:424 ; 4-byte Folded Spill
	buffer_store_dword v76, off, s[24:27], 0 offset:428 ; 4-byte Folded Spill
	;; [unrolled: 19-line block ×27, first 2 shown]
	ds_read2_b64 v[89:92], v0 offset0:62 offset1:63
	s_waitcnt lgkmcnt(0)
	v_mul_f64 v[95:96], v[91:92], v[99:100]
	v_fma_f64 v[95:96], v[89:90], v[125:126], -v[95:96]
	v_mul_f64 v[89:90], v[89:90], v[99:100]
	v_add_f64 v[81:82], v[81:82], -v[95:96]
	v_fma_f64 v[89:90], v[91:92], v[125:126], v[89:90]
	v_add_f64 v[83:84], v[83:84], -v[89:90]
	ds_read2_b64 v[89:92], v0 offset0:64 offset1:65
	s_waitcnt lgkmcnt(0)
	v_mul_f64 v[95:96], v[91:92], v[99:100]
	v_fma_f64 v[95:96], v[89:90], v[125:126], -v[95:96]
	v_mul_f64 v[89:90], v[89:90], v[99:100]
	v_add_f64 v[85:86], v[85:86], -v[95:96]
	v_fma_f64 v[89:90], v[91:92], v[125:126], v[89:90]
	v_add_f64 v[87:88], v[87:88], -v[89:90]
	;; [unrolled: 8-line block ×5, first 2 shown]
	ds_read2_b64 v[89:92], v0 offset0:72 offset1:73
	buffer_load_dword v73, off, s[24:27], 0 ; 4-byte Folded Reload
	buffer_load_dword v74, off, s[24:27], 0 offset:4 ; 4-byte Folded Reload
	buffer_load_dword v75, off, s[24:27], 0 offset:8 ; 4-byte Folded Reload
	;; [unrolled: 1-line block ×3, first 2 shown]
	s_waitcnt lgkmcnt(0)
	v_mul_f64 v[95:96], v[91:92], v[99:100]
	v_fma_f64 v[95:96], v[89:90], v[125:126], -v[95:96]
	v_mul_f64 v[89:90], v[89:90], v[99:100]
	v_fma_f64 v[89:90], v[91:92], v[125:126], v[89:90]
	s_waitcnt vmcnt(2)
	v_add_f64 v[73:74], v[73:74], -v[95:96]
	s_waitcnt vmcnt(0)
	v_add_f64 v[75:76], v[75:76], -v[89:90]
	buffer_store_dword v73, off, s[24:27], 0 ; 4-byte Folded Spill
	s_nop 0
	buffer_store_dword v74, off, s[24:27], 0 offset:4 ; 4-byte Folded Spill
	buffer_store_dword v75, off, s[24:27], 0 offset:8 ; 4-byte Folded Spill
	;; [unrolled: 1-line block ×3, first 2 shown]
	ds_read2_b64 v[89:92], v0 offset0:74 offset1:75
	s_waitcnt lgkmcnt(0)
	v_mul_f64 v[95:96], v[91:92], v[99:100]
	v_fma_f64 v[95:96], v[89:90], v[125:126], -v[95:96]
	v_mul_f64 v[89:90], v[89:90], v[99:100]
	v_add_f64 v[69:70], v[69:70], -v[95:96]
	v_fma_f64 v[89:90], v[91:92], v[125:126], v[89:90]
	v_add_f64 v[71:72], v[71:72], -v[89:90]
	ds_read2_b64 v[89:92], v0 offset0:76 offset1:77
	s_waitcnt lgkmcnt(0)
	v_mul_f64 v[95:96], v[91:92], v[99:100]
	v_fma_f64 v[95:96], v[89:90], v[125:126], -v[95:96]
	v_mul_f64 v[89:90], v[89:90], v[99:100]
	v_add_f64 v[65:66], v[65:66], -v[95:96]
	v_fma_f64 v[89:90], v[91:92], v[125:126], v[89:90]
	v_add_f64 v[67:68], v[67:68], -v[89:90]
	ds_read2_b64 v[89:92], v0 offset0:78 offset1:79
	s_waitcnt lgkmcnt(0)
	v_mul_f64 v[95:96], v[91:92], v[99:100]
	v_fma_f64 v[95:96], v[89:90], v[125:126], -v[95:96]
	v_mul_f64 v[89:90], v[89:90], v[99:100]
	v_add_f64 v[61:62], v[61:62], -v[95:96]
	v_fma_f64 v[89:90], v[91:92], v[125:126], v[89:90]
	v_add_f64 v[63:64], v[63:64], -v[89:90]
	ds_read2_b64 v[89:92], v0 offset0:80 offset1:81
	s_waitcnt lgkmcnt(0)
	v_mul_f64 v[95:96], v[91:92], v[99:100]
	v_fma_f64 v[95:96], v[89:90], v[125:126], -v[95:96]
	v_mul_f64 v[89:90], v[89:90], v[99:100]
	v_add_f64 v[57:58], v[57:58], -v[95:96]
	v_fma_f64 v[89:90], v[91:92], v[125:126], v[89:90]
	v_add_f64 v[59:60], v[59:60], -v[89:90]
	ds_read2_b64 v[89:92], v0 offset0:82 offset1:83
	s_waitcnt lgkmcnt(0)
	v_mul_f64 v[95:96], v[91:92], v[99:100]
	v_fma_f64 v[95:96], v[89:90], v[125:126], -v[95:96]
	v_mul_f64 v[89:90], v[89:90], v[99:100]
	v_add_f64 v[53:54], v[53:54], -v[95:96]
	v_fma_f64 v[89:90], v[91:92], v[125:126], v[89:90]
	v_add_f64 v[55:56], v[55:56], -v[89:90]
	ds_read2_b64 v[89:92], v0 offset0:84 offset1:85
	s_waitcnt lgkmcnt(0)
	v_mul_f64 v[95:96], v[91:92], v[99:100]
	v_fma_f64 v[95:96], v[89:90], v[125:126], -v[95:96]
	v_mul_f64 v[89:90], v[89:90], v[99:100]
	v_add_f64 v[49:50], v[49:50], -v[95:96]
	v_fma_f64 v[89:90], v[91:92], v[125:126], v[89:90]
	v_add_f64 v[51:52], v[51:52], -v[89:90]
	ds_read2_b64 v[89:92], v0 offset0:86 offset1:87
	s_waitcnt lgkmcnt(0)
	v_mul_f64 v[95:96], v[91:92], v[99:100]
	v_fma_f64 v[95:96], v[89:90], v[125:126], -v[95:96]
	v_mul_f64 v[89:90], v[89:90], v[99:100]
	v_add_f64 v[45:46], v[45:46], -v[95:96]
	v_fma_f64 v[89:90], v[91:92], v[125:126], v[89:90]
	v_add_f64 v[47:48], v[47:48], -v[89:90]
	ds_read2_b64 v[89:92], v0 offset0:88 offset1:89
	s_waitcnt lgkmcnt(0)
	v_mul_f64 v[95:96], v[91:92], v[99:100]
	v_fma_f64 v[95:96], v[89:90], v[125:126], -v[95:96]
	v_mul_f64 v[89:90], v[89:90], v[99:100]
	v_add_f64 v[41:42], v[41:42], -v[95:96]
	v_fma_f64 v[89:90], v[91:92], v[125:126], v[89:90]
	v_add_f64 v[43:44], v[43:44], -v[89:90]
	ds_read2_b64 v[89:92], v0 offset0:90 offset1:91
	s_waitcnt lgkmcnt(0)
	v_mul_f64 v[95:96], v[91:92], v[99:100]
	v_fma_f64 v[95:96], v[89:90], v[125:126], -v[95:96]
	v_mul_f64 v[89:90], v[89:90], v[99:100]
	v_add_f64 v[37:38], v[37:38], -v[95:96]
	v_fma_f64 v[89:90], v[91:92], v[125:126], v[89:90]
	v_add_f64 v[39:40], v[39:40], -v[89:90]
	ds_read2_b64 v[89:92], v0 offset0:92 offset1:93
	s_waitcnt lgkmcnt(0)
	v_mul_f64 v[95:96], v[91:92], v[99:100]
	v_fma_f64 v[95:96], v[89:90], v[125:126], -v[95:96]
	v_mul_f64 v[89:90], v[89:90], v[99:100]
	v_add_f64 v[33:34], v[33:34], -v[95:96]
	v_fma_f64 v[89:90], v[91:92], v[125:126], v[89:90]
	v_add_f64 v[35:36], v[35:36], -v[89:90]
	ds_read2_b64 v[89:92], v0 offset0:94 offset1:95
	s_waitcnt lgkmcnt(0)
	v_mul_f64 v[95:96], v[91:92], v[99:100]
	v_fma_f64 v[95:96], v[89:90], v[125:126], -v[95:96]
	v_mul_f64 v[89:90], v[89:90], v[99:100]
	v_add_f64 v[29:30], v[29:30], -v[95:96]
	v_fma_f64 v[89:90], v[91:92], v[125:126], v[89:90]
	v_add_f64 v[31:32], v[31:32], -v[89:90]
	ds_read2_b64 v[89:92], v0 offset0:96 offset1:97
	s_waitcnt lgkmcnt(0)
	v_mul_f64 v[95:96], v[91:92], v[99:100]
	v_fma_f64 v[95:96], v[89:90], v[125:126], -v[95:96]
	v_mul_f64 v[89:90], v[89:90], v[99:100]
	v_add_f64 v[25:26], v[25:26], -v[95:96]
	v_fma_f64 v[89:90], v[91:92], v[125:126], v[89:90]
	v_add_f64 v[27:28], v[27:28], -v[89:90]
	ds_read2_b64 v[89:92], v0 offset0:98 offset1:99
	s_waitcnt lgkmcnt(0)
	v_mul_f64 v[95:96], v[91:92], v[99:100]
	v_fma_f64 v[95:96], v[89:90], v[125:126], -v[95:96]
	v_mul_f64 v[89:90], v[89:90], v[99:100]
	v_add_f64 v[21:22], v[21:22], -v[95:96]
	v_fma_f64 v[89:90], v[91:92], v[125:126], v[89:90]
	v_add_f64 v[23:24], v[23:24], -v[89:90]
	ds_read2_b64 v[89:92], v0 offset0:100 offset1:101
	s_waitcnt lgkmcnt(0)
	v_mul_f64 v[95:96], v[91:92], v[99:100]
	v_fma_f64 v[95:96], v[89:90], v[125:126], -v[95:96]
	v_mul_f64 v[89:90], v[89:90], v[99:100]
	v_add_f64 v[17:18], v[17:18], -v[95:96]
	v_fma_f64 v[89:90], v[91:92], v[125:126], v[89:90]
	v_add_f64 v[19:20], v[19:20], -v[89:90]
	ds_read2_b64 v[89:92], v0 offset0:102 offset1:103
	s_waitcnt lgkmcnt(0)
	v_mul_f64 v[95:96], v[91:92], v[99:100]
	v_fma_f64 v[95:96], v[89:90], v[125:126], -v[95:96]
	v_mul_f64 v[89:90], v[89:90], v[99:100]
	v_add_f64 v[13:14], v[13:14], -v[95:96]
	v_fma_f64 v[89:90], v[91:92], v[125:126], v[89:90]
	v_add_f64 v[15:16], v[15:16], -v[89:90]
	ds_read2_b64 v[89:92], v0 offset0:104 offset1:105
	s_waitcnt lgkmcnt(0)
	v_mul_f64 v[95:96], v[91:92], v[99:100]
	v_fma_f64 v[95:96], v[89:90], v[125:126], -v[95:96]
	v_mul_f64 v[89:90], v[89:90], v[99:100]
	v_add_f64 v[9:10], v[9:10], -v[95:96]
	v_fma_f64 v[89:90], v[91:92], v[125:126], v[89:90]
	v_add_f64 v[11:12], v[11:12], -v[89:90]
	ds_read2_b64 v[89:92], v0 offset0:106 offset1:107
	s_waitcnt lgkmcnt(0)
	v_mul_f64 v[95:96], v[91:92], v[99:100]
	v_fma_f64 v[95:96], v[89:90], v[125:126], -v[95:96]
	v_mul_f64 v[89:90], v[89:90], v[99:100]
	v_add_f64 v[5:6], v[5:6], -v[95:96]
	v_fma_f64 v[89:90], v[91:92], v[125:126], v[89:90]
	v_add_f64 v[7:8], v[7:8], -v[89:90]
	ds_read2_b64 v[89:92], v0 offset0:108 offset1:109
	s_waitcnt lgkmcnt(0)
	v_mul_f64 v[95:96], v[91:92], v[99:100]
	v_fma_f64 v[95:96], v[89:90], v[125:126], -v[95:96]
	v_mul_f64 v[89:90], v[89:90], v[99:100]
	v_add_f64 v[1:2], v[1:2], -v[95:96]
	v_fma_f64 v[89:90], v[91:92], v[125:126], v[89:90]
	ds_read2_b64 v[95:98], v0 offset0:110 offset1:111
	s_waitcnt lgkmcnt(0)
	v_mul_f64 v[91:92], v[95:96], v[99:100]
	v_add_f64 v[3:4], v[3:4], -v[89:90]
	v_mul_f64 v[89:90], v[97:98], v[99:100]
	v_fma_f64 v[91:92], v[97:98], v[125:126], v[91:92]
	v_mov_b32_e32 v97, v125
	v_mov_b32_e32 v98, v126
	v_fma_f64 v[89:90], v[95:96], v[125:126], -v[89:90]
	buffer_store_dword v97, off, s[24:27], 0 offset:456 ; 4-byte Folded Spill
	s_nop 0
	buffer_store_dword v98, off, s[24:27], 0 offset:460 ; 4-byte Folded Spill
	buffer_store_dword v99, off, s[24:27], 0 offset:464 ; 4-byte Folded Spill
	;; [unrolled: 1-line block ×3, first 2 shown]
	v_add_f64 v[123:124], v[123:124], -v[91:92]
	v_add_f64 v[121:122], v[121:122], -v[89:90]
.LBB110_83:
	s_or_b64 exec, exec, s[0:1]
	s_waitcnt vmcnt(0)
	s_barrier
	buffer_load_dword v73, off, s[24:27], 0 offset:432 ; 4-byte Folded Reload
	buffer_load_dword v74, off, s[24:27], 0 offset:436 ; 4-byte Folded Reload
	;; [unrolled: 1-line block ×4, first 2 shown]
	v_lshl_add_u32 v89, v93, 4, v0
	s_cmp_lt_i32 s3, 6
	s_waitcnt vmcnt(0)
	ds_write2_b64 v89, v[73:74], v[75:76] offset1:1
	s_waitcnt lgkmcnt(0)
	s_barrier
	ds_read2_b64 v[117:120], v0 offset0:8 offset1:9
	v_mov_b32_e32 v89, 4
	s_cbranch_scc1 .LBB110_86
; %bb.84:
	v_mov_b32_e32 v89, 4
	v_add_u32_e32 v90, 0x50, v0
	s_mov_b32 s0, 5
.LBB110_85:                             ; =>This Inner Loop Header: Depth=1
	s_waitcnt lgkmcnt(0)
	v_cmp_gt_f64_e32 vcc, 0, v[117:118]
	v_xor_b32_e32 v91, 0x80000000, v118
	ds_read2_b64 v[95:98], v90 offset1:1
	v_xor_b32_e32 v99, 0x80000000, v120
	v_add_u32_e32 v90, 16, v90
	s_waitcnt lgkmcnt(0)
	v_xor_b32_e32 v101, 0x80000000, v98
	v_cndmask_b32_e32 v92, v118, v91, vcc
	v_cmp_gt_f64_e32 vcc, 0, v[119:120]
	v_mov_b32_e32 v91, v117
	v_cndmask_b32_e32 v100, v120, v99, vcc
	v_cmp_gt_f64_e32 vcc, 0, v[95:96]
	v_mov_b32_e32 v99, v119
	v_add_f64 v[91:92], v[91:92], v[99:100]
	v_xor_b32_e32 v99, 0x80000000, v96
	v_cndmask_b32_e32 v100, v96, v99, vcc
	v_cmp_gt_f64_e32 vcc, 0, v[97:98]
	v_mov_b32_e32 v99, v95
	v_cndmask_b32_e32 v102, v98, v101, vcc
	v_mov_b32_e32 v101, v97
	v_add_f64 v[99:100], v[99:100], v[101:102]
	v_cmp_lt_f64_e32 vcc, v[91:92], v[99:100]
	v_mov_b32_e32 v91, s0
	s_add_i32 s0, s0, 1
	s_cmp_lg_u32 s3, s0
	v_cndmask_b32_e32 v118, v118, v96, vcc
	v_cndmask_b32_e32 v117, v117, v95, vcc
	;; [unrolled: 1-line block ×5, first 2 shown]
	s_cbranch_scc1 .LBB110_85
.LBB110_86:
	s_waitcnt lgkmcnt(0)
	v_cmp_eq_f64_e32 vcc, 0, v[117:118]
	v_cmp_eq_f64_e64 s[0:1], 0, v[119:120]
	s_and_b64 s[0:1], vcc, s[0:1]
	s_and_saveexec_b64 s[18:19], s[0:1]
	s_xor_b64 s[0:1], exec, s[18:19]
; %bb.87:
	v_cmp_ne_u32_e32 vcc, 0, v94
	v_cndmask_b32_e32 v94, 5, v94, vcc
; %bb.88:
	s_andn2_saveexec_b64 s[0:1], s[0:1]
	s_cbranch_execz .LBB110_94
; %bb.89:
	v_cmp_ngt_f64_e64 s[18:19], |v[117:118]|, |v[119:120]|
	s_and_saveexec_b64 s[20:21], s[18:19]
	s_xor_b64 s[18:19], exec, s[20:21]
	s_cbranch_execz .LBB110_91
; %bb.90:
	v_div_scale_f64 v[90:91], s[20:21], v[119:120], v[119:120], v[117:118]
	v_rcp_f64_e32 v[95:96], v[90:91]
	v_fma_f64 v[97:98], -v[90:91], v[95:96], 1.0
	v_fma_f64 v[95:96], v[95:96], v[97:98], v[95:96]
	v_div_scale_f64 v[97:98], vcc, v[117:118], v[119:120], v[117:118]
	v_fma_f64 v[99:100], -v[90:91], v[95:96], 1.0
	v_fma_f64 v[95:96], v[95:96], v[99:100], v[95:96]
	v_mul_f64 v[99:100], v[97:98], v[95:96]
	v_fma_f64 v[90:91], -v[90:91], v[99:100], v[97:98]
	v_div_fmas_f64 v[90:91], v[90:91], v[95:96], v[99:100]
	v_div_fixup_f64 v[90:91], v[90:91], v[119:120], v[117:118]
	v_fma_f64 v[95:96], v[117:118], v[90:91], v[119:120]
	v_div_scale_f64 v[97:98], s[20:21], v[95:96], v[95:96], 1.0
	v_div_scale_f64 v[103:104], vcc, 1.0, v[95:96], 1.0
	v_rcp_f64_e32 v[99:100], v[97:98]
	v_fma_f64 v[101:102], -v[97:98], v[99:100], 1.0
	v_fma_f64 v[99:100], v[99:100], v[101:102], v[99:100]
	v_fma_f64 v[101:102], -v[97:98], v[99:100], 1.0
	v_fma_f64 v[99:100], v[99:100], v[101:102], v[99:100]
	v_mul_f64 v[101:102], v[103:104], v[99:100]
	v_fma_f64 v[97:98], -v[97:98], v[101:102], v[103:104]
	v_div_fmas_f64 v[97:98], v[97:98], v[99:100], v[101:102]
	v_div_fixup_f64 v[119:120], v[97:98], v[95:96], 1.0
	v_mul_f64 v[117:118], v[90:91], v[119:120]
	v_xor_b32_e32 v120, 0x80000000, v120
.LBB110_91:
	s_andn2_saveexec_b64 s[18:19], s[18:19]
	s_cbranch_execz .LBB110_93
; %bb.92:
	v_div_scale_f64 v[90:91], s[20:21], v[117:118], v[117:118], v[119:120]
	v_rcp_f64_e32 v[95:96], v[90:91]
	v_fma_f64 v[97:98], -v[90:91], v[95:96], 1.0
	v_fma_f64 v[95:96], v[95:96], v[97:98], v[95:96]
	v_div_scale_f64 v[97:98], vcc, v[119:120], v[117:118], v[119:120]
	v_fma_f64 v[99:100], -v[90:91], v[95:96], 1.0
	v_fma_f64 v[95:96], v[95:96], v[99:100], v[95:96]
	v_mul_f64 v[99:100], v[97:98], v[95:96]
	v_fma_f64 v[90:91], -v[90:91], v[99:100], v[97:98]
	v_div_fmas_f64 v[90:91], v[90:91], v[95:96], v[99:100]
	v_div_fixup_f64 v[90:91], v[90:91], v[117:118], v[119:120]
	v_fma_f64 v[95:96], v[119:120], v[90:91], v[117:118]
	v_div_scale_f64 v[97:98], s[20:21], v[95:96], v[95:96], 1.0
	v_div_scale_f64 v[103:104], vcc, 1.0, v[95:96], 1.0
	v_rcp_f64_e32 v[99:100], v[97:98]
	v_fma_f64 v[101:102], -v[97:98], v[99:100], 1.0
	v_fma_f64 v[99:100], v[99:100], v[101:102], v[99:100]
	v_fma_f64 v[101:102], -v[97:98], v[99:100], 1.0
	v_fma_f64 v[99:100], v[99:100], v[101:102], v[99:100]
	v_mul_f64 v[101:102], v[103:104], v[99:100]
	v_fma_f64 v[97:98], -v[97:98], v[101:102], v[103:104]
	v_div_fmas_f64 v[97:98], v[97:98], v[99:100], v[101:102]
	v_div_fixup_f64 v[117:118], v[97:98], v[95:96], 1.0
	v_mul_f64 v[119:120], v[90:91], -v[117:118]
.LBB110_93:
	s_or_b64 exec, exec, s[18:19]
.LBB110_94:
	s_or_b64 exec, exec, s[0:1]
	v_cmp_ne_u32_e32 vcc, v93, v89
	s_and_saveexec_b64 s[0:1], vcc
	s_xor_b64 s[0:1], exec, s[0:1]
	s_cbranch_execz .LBB110_100
; %bb.95:
	v_cmp_eq_u32_e32 vcc, 4, v93
	s_and_saveexec_b64 s[18:19], vcc
	s_cbranch_execz .LBB110_99
; %bb.96:
	v_cmp_ne_u32_e32 vcc, 4, v89
	s_xor_b64 s[20:21], s[6:7], -1
	s_and_b64 s[22:23], s[20:21], vcc
	s_and_saveexec_b64 s[20:21], s[22:23]
	s_cbranch_execz .LBB110_98
; %bb.97:
	v_mov_b32_e32 v73, v81
	v_mov_b32_e32 v74, v82
	v_mov_b32_e32 v75, v83
	v_mov_b32_e32 v76, v84
	buffer_load_dword v81, off, s[24:27], 0 offset:448 ; 4-byte Folded Reload
	buffer_load_dword v82, off, s[24:27], 0 offset:452 ; 4-byte Folded Reload
	v_ashrrev_i32_e32 v90, 31, v89
	v_lshlrev_b64 v[90:91], 2, v[89:90]
	s_waitcnt vmcnt(1)
	v_add_co_u32_e32 v90, vcc, v81, v90
	s_waitcnt vmcnt(0)
	v_addc_co_u32_e32 v91, vcc, v82, v91, vcc
	global_load_dword v92, v[90:91], off
	global_load_dword v93, v[81:82], off offset:16
	s_waitcnt vmcnt(1)
	global_store_dword v[81:82], v92, off offset:16
	v_mov_b32_e32 v84, v76
	v_mov_b32_e32 v83, v75
	;; [unrolled: 1-line block ×4, first 2 shown]
	s_waitcnt vmcnt(1)
	global_store_dword v[90:91], v93, off
.LBB110_98:
	s_or_b64 exec, exec, s[20:21]
	v_mov_b32_e32 v93, v89
	v_mov_b32_e32 v127, v89
.LBB110_99:
	s_or_b64 exec, exec, s[18:19]
.LBB110_100:
	s_andn2_saveexec_b64 s[0:1], s[0:1]
	s_cbranch_execz .LBB110_102
; %bb.101:
	buffer_load_dword v73, off, s[24:27], 0 offset:416 ; 4-byte Folded Reload
	buffer_load_dword v74, off, s[24:27], 0 offset:420 ; 4-byte Folded Reload
	;; [unrolled: 1-line block ×4, first 2 shown]
	v_mov_b32_e32 v93, 4
	s_waitcnt vmcnt(0)
	ds_write2_b64 v0, v[73:74], v[75:76] offset0:10 offset1:11
	buffer_load_dword v73, off, s[24:27], 0 offset:400 ; 4-byte Folded Reload
	buffer_load_dword v74, off, s[24:27], 0 offset:404 ; 4-byte Folded Reload
	buffer_load_dword v75, off, s[24:27], 0 offset:408 ; 4-byte Folded Reload
	buffer_load_dword v76, off, s[24:27], 0 offset:412 ; 4-byte Folded Reload
	s_waitcnt vmcnt(0)
	ds_write2_b64 v0, v[73:74], v[75:76] offset0:12 offset1:13
	buffer_load_dword v73, off, s[24:27], 0 offset:384 ; 4-byte Folded Reload
	buffer_load_dword v74, off, s[24:27], 0 offset:388 ; 4-byte Folded Reload
	buffer_load_dword v75, off, s[24:27], 0 offset:392 ; 4-byte Folded Reload
	buffer_load_dword v76, off, s[24:27], 0 offset:396 ; 4-byte Folded Reload
	;; [unrolled: 6-line block ×25, first 2 shown]
	s_waitcnt vmcnt(0)
	ds_write2_b64 v0, v[73:74], v[75:76] offset0:60 offset1:61
	ds_write2_b64 v0, v[81:82], v[83:84] offset0:62 offset1:63
	;; [unrolled: 1-line block ×6, first 2 shown]
	buffer_load_dword v73, off, s[24:27], 0 ; 4-byte Folded Reload
	buffer_load_dword v74, off, s[24:27], 0 offset:4 ; 4-byte Folded Reload
	buffer_load_dword v75, off, s[24:27], 0 offset:8 ; 4-byte Folded Reload
	;; [unrolled: 1-line block ×3, first 2 shown]
	s_waitcnt vmcnt(0)
	ds_write2_b64 v0, v[73:74], v[75:76] offset0:72 offset1:73
	ds_write2_b64 v0, v[69:70], v[71:72] offset0:74 offset1:75
	;; [unrolled: 1-line block ×20, first 2 shown]
.LBB110_102:
	s_or_b64 exec, exec, s[0:1]
	v_cmp_lt_i32_e32 vcc, 4, v93
	s_waitcnt vmcnt(0) lgkmcnt(0)
	s_barrier
	s_and_saveexec_b64 s[0:1], vcc
	s_cbranch_execz .LBB110_104
; %bb.103:
	buffer_load_dword v97, off, s[24:27], 0 offset:432 ; 4-byte Folded Reload
	buffer_load_dword v98, off, s[24:27], 0 offset:436 ; 4-byte Folded Reload
	;; [unrolled: 1-line block ×4, first 2 shown]
	s_waitcnt vmcnt(0)
	v_mul_f64 v[89:90], v[119:120], v[99:100]
	v_fma_f64 v[125:126], v[117:118], v[97:98], -v[89:90]
	v_mul_f64 v[89:90], v[117:118], v[99:100]
	v_fma_f64 v[99:100], v[119:120], v[97:98], v[89:90]
	ds_read2_b64 v[89:92], v0 offset0:10 offset1:11
	buffer_load_dword v73, off, s[24:27], 0 offset:416 ; 4-byte Folded Reload
	buffer_load_dword v74, off, s[24:27], 0 offset:420 ; 4-byte Folded Reload
	buffer_load_dword v75, off, s[24:27], 0 offset:424 ; 4-byte Folded Reload
	buffer_load_dword v76, off, s[24:27], 0 offset:428 ; 4-byte Folded Reload
	s_waitcnt lgkmcnt(0)
	v_mul_f64 v[95:96], v[91:92], v[99:100]
	v_fma_f64 v[95:96], v[89:90], v[125:126], -v[95:96]
	v_mul_f64 v[89:90], v[89:90], v[99:100]
	v_fma_f64 v[89:90], v[91:92], v[125:126], v[89:90]
	s_waitcnt vmcnt(2)
	v_add_f64 v[73:74], v[73:74], -v[95:96]
	s_waitcnt vmcnt(0)
	v_add_f64 v[75:76], v[75:76], -v[89:90]
	buffer_store_dword v73, off, s[24:27], 0 offset:416 ; 4-byte Folded Spill
	s_nop 0
	buffer_store_dword v74, off, s[24:27], 0 offset:420 ; 4-byte Folded Spill
	buffer_store_dword v75, off, s[24:27], 0 offset:424 ; 4-byte Folded Spill
	buffer_store_dword v76, off, s[24:27], 0 offset:428 ; 4-byte Folded Spill
	ds_read2_b64 v[89:92], v0 offset0:12 offset1:13
	buffer_load_dword v73, off, s[24:27], 0 offset:400 ; 4-byte Folded Reload
	buffer_load_dword v74, off, s[24:27], 0 offset:404 ; 4-byte Folded Reload
	buffer_load_dword v75, off, s[24:27], 0 offset:408 ; 4-byte Folded Reload
	buffer_load_dword v76, off, s[24:27], 0 offset:412 ; 4-byte Folded Reload
	s_waitcnt lgkmcnt(0)
	v_mul_f64 v[95:96], v[91:92], v[99:100]
	v_fma_f64 v[95:96], v[89:90], v[125:126], -v[95:96]
	v_mul_f64 v[89:90], v[89:90], v[99:100]
	v_fma_f64 v[89:90], v[91:92], v[125:126], v[89:90]
	s_waitcnt vmcnt(2)
	v_add_f64 v[73:74], v[73:74], -v[95:96]
	s_waitcnt vmcnt(0)
	v_add_f64 v[75:76], v[75:76], -v[89:90]
	buffer_store_dword v73, off, s[24:27], 0 offset:400 ; 4-byte Folded Spill
	s_nop 0
	buffer_store_dword v74, off, s[24:27], 0 offset:404 ; 4-byte Folded Spill
	buffer_store_dword v75, off, s[24:27], 0 offset:408 ; 4-byte Folded Spill
	buffer_store_dword v76, off, s[24:27], 0 offset:412 ; 4-byte Folded Spill
	ds_read2_b64 v[89:92], v0 offset0:14 offset1:15
	buffer_load_dword v73, off, s[24:27], 0 offset:384 ; 4-byte Folded Reload
	buffer_load_dword v74, off, s[24:27], 0 offset:388 ; 4-byte Folded Reload
	buffer_load_dword v75, off, s[24:27], 0 offset:392 ; 4-byte Folded Reload
	buffer_load_dword v76, off, s[24:27], 0 offset:396 ; 4-byte Folded Reload
	s_waitcnt lgkmcnt(0)
	v_mul_f64 v[95:96], v[91:92], v[99:100]
	v_fma_f64 v[95:96], v[89:90], v[125:126], -v[95:96]
	v_mul_f64 v[89:90], v[89:90], v[99:100]
	v_fma_f64 v[89:90], v[91:92], v[125:126], v[89:90]
	s_waitcnt vmcnt(2)
	v_add_f64 v[73:74], v[73:74], -v[95:96]
	s_waitcnt vmcnt(0)
	v_add_f64 v[75:76], v[75:76], -v[89:90]
	buffer_store_dword v73, off, s[24:27], 0 offset:384 ; 4-byte Folded Spill
	s_nop 0
	buffer_store_dword v74, off, s[24:27], 0 offset:388 ; 4-byte Folded Spill
	buffer_store_dword v75, off, s[24:27], 0 offset:392 ; 4-byte Folded Spill
	buffer_store_dword v76, off, s[24:27], 0 offset:396 ; 4-byte Folded Spill
	ds_read2_b64 v[89:92], v0 offset0:16 offset1:17
	buffer_load_dword v73, off, s[24:27], 0 offset:368 ; 4-byte Folded Reload
	buffer_load_dword v74, off, s[24:27], 0 offset:372 ; 4-byte Folded Reload
	buffer_load_dword v75, off, s[24:27], 0 offset:376 ; 4-byte Folded Reload
	buffer_load_dword v76, off, s[24:27], 0 offset:380 ; 4-byte Folded Reload
	s_waitcnt lgkmcnt(0)
	v_mul_f64 v[95:96], v[91:92], v[99:100]
	v_fma_f64 v[95:96], v[89:90], v[125:126], -v[95:96]
	v_mul_f64 v[89:90], v[89:90], v[99:100]
	v_fma_f64 v[89:90], v[91:92], v[125:126], v[89:90]
	s_waitcnt vmcnt(2)
	v_add_f64 v[73:74], v[73:74], -v[95:96]
	s_waitcnt vmcnt(0)
	v_add_f64 v[75:76], v[75:76], -v[89:90]
	buffer_store_dword v73, off, s[24:27], 0 offset:368 ; 4-byte Folded Spill
	s_nop 0
	buffer_store_dword v74, off, s[24:27], 0 offset:372 ; 4-byte Folded Spill
	buffer_store_dword v75, off, s[24:27], 0 offset:376 ; 4-byte Folded Spill
	buffer_store_dword v76, off, s[24:27], 0 offset:380 ; 4-byte Folded Spill
	ds_read2_b64 v[89:92], v0 offset0:18 offset1:19
	buffer_load_dword v73, off, s[24:27], 0 offset:352 ; 4-byte Folded Reload
	buffer_load_dword v74, off, s[24:27], 0 offset:356 ; 4-byte Folded Reload
	buffer_load_dword v75, off, s[24:27], 0 offset:360 ; 4-byte Folded Reload
	buffer_load_dword v76, off, s[24:27], 0 offset:364 ; 4-byte Folded Reload
	s_waitcnt lgkmcnt(0)
	v_mul_f64 v[95:96], v[91:92], v[99:100]
	v_fma_f64 v[95:96], v[89:90], v[125:126], -v[95:96]
	v_mul_f64 v[89:90], v[89:90], v[99:100]
	v_fma_f64 v[89:90], v[91:92], v[125:126], v[89:90]
	s_waitcnt vmcnt(2)
	v_add_f64 v[73:74], v[73:74], -v[95:96]
	s_waitcnt vmcnt(0)
	v_add_f64 v[75:76], v[75:76], -v[89:90]
	buffer_store_dword v73, off, s[24:27], 0 offset:352 ; 4-byte Folded Spill
	s_nop 0
	buffer_store_dword v74, off, s[24:27], 0 offset:356 ; 4-byte Folded Spill
	buffer_store_dword v75, off, s[24:27], 0 offset:360 ; 4-byte Folded Spill
	buffer_store_dword v76, off, s[24:27], 0 offset:364 ; 4-byte Folded Spill
	ds_read2_b64 v[89:92], v0 offset0:20 offset1:21
	buffer_load_dword v73, off, s[24:27], 0 offset:336 ; 4-byte Folded Reload
	buffer_load_dword v74, off, s[24:27], 0 offset:340 ; 4-byte Folded Reload
	buffer_load_dword v75, off, s[24:27], 0 offset:344 ; 4-byte Folded Reload
	buffer_load_dword v76, off, s[24:27], 0 offset:348 ; 4-byte Folded Reload
	s_waitcnt lgkmcnt(0)
	v_mul_f64 v[95:96], v[91:92], v[99:100]
	v_fma_f64 v[95:96], v[89:90], v[125:126], -v[95:96]
	v_mul_f64 v[89:90], v[89:90], v[99:100]
	v_fma_f64 v[89:90], v[91:92], v[125:126], v[89:90]
	s_waitcnt vmcnt(2)
	v_add_f64 v[73:74], v[73:74], -v[95:96]
	s_waitcnt vmcnt(0)
	v_add_f64 v[75:76], v[75:76], -v[89:90]
	buffer_store_dword v73, off, s[24:27], 0 offset:336 ; 4-byte Folded Spill
	s_nop 0
	buffer_store_dword v74, off, s[24:27], 0 offset:340 ; 4-byte Folded Spill
	buffer_store_dword v75, off, s[24:27], 0 offset:344 ; 4-byte Folded Spill
	buffer_store_dword v76, off, s[24:27], 0 offset:348 ; 4-byte Folded Spill
	ds_read2_b64 v[89:92], v0 offset0:22 offset1:23
	buffer_load_dword v73, off, s[24:27], 0 offset:320 ; 4-byte Folded Reload
	buffer_load_dword v74, off, s[24:27], 0 offset:324 ; 4-byte Folded Reload
	buffer_load_dword v75, off, s[24:27], 0 offset:328 ; 4-byte Folded Reload
	buffer_load_dword v76, off, s[24:27], 0 offset:332 ; 4-byte Folded Reload
	s_waitcnt lgkmcnt(0)
	v_mul_f64 v[95:96], v[91:92], v[99:100]
	v_fma_f64 v[95:96], v[89:90], v[125:126], -v[95:96]
	v_mul_f64 v[89:90], v[89:90], v[99:100]
	v_fma_f64 v[89:90], v[91:92], v[125:126], v[89:90]
	s_waitcnt vmcnt(2)
	v_add_f64 v[73:74], v[73:74], -v[95:96]
	s_waitcnt vmcnt(0)
	v_add_f64 v[75:76], v[75:76], -v[89:90]
	buffer_store_dword v73, off, s[24:27], 0 offset:320 ; 4-byte Folded Spill
	s_nop 0
	buffer_store_dword v74, off, s[24:27], 0 offset:324 ; 4-byte Folded Spill
	buffer_store_dword v75, off, s[24:27], 0 offset:328 ; 4-byte Folded Spill
	buffer_store_dword v76, off, s[24:27], 0 offset:332 ; 4-byte Folded Spill
	ds_read2_b64 v[89:92], v0 offset0:24 offset1:25
	buffer_load_dword v73, off, s[24:27], 0 offset:304 ; 4-byte Folded Reload
	buffer_load_dword v74, off, s[24:27], 0 offset:308 ; 4-byte Folded Reload
	buffer_load_dword v75, off, s[24:27], 0 offset:312 ; 4-byte Folded Reload
	buffer_load_dword v76, off, s[24:27], 0 offset:316 ; 4-byte Folded Reload
	s_waitcnt lgkmcnt(0)
	v_mul_f64 v[95:96], v[91:92], v[99:100]
	v_fma_f64 v[95:96], v[89:90], v[125:126], -v[95:96]
	v_mul_f64 v[89:90], v[89:90], v[99:100]
	v_fma_f64 v[89:90], v[91:92], v[125:126], v[89:90]
	s_waitcnt vmcnt(2)
	v_add_f64 v[73:74], v[73:74], -v[95:96]
	s_waitcnt vmcnt(0)
	v_add_f64 v[75:76], v[75:76], -v[89:90]
	buffer_store_dword v73, off, s[24:27], 0 offset:304 ; 4-byte Folded Spill
	s_nop 0
	buffer_store_dword v74, off, s[24:27], 0 offset:308 ; 4-byte Folded Spill
	buffer_store_dword v75, off, s[24:27], 0 offset:312 ; 4-byte Folded Spill
	buffer_store_dword v76, off, s[24:27], 0 offset:316 ; 4-byte Folded Spill
	ds_read2_b64 v[89:92], v0 offset0:26 offset1:27
	buffer_load_dword v73, off, s[24:27], 0 offset:288 ; 4-byte Folded Reload
	buffer_load_dword v74, off, s[24:27], 0 offset:292 ; 4-byte Folded Reload
	buffer_load_dword v75, off, s[24:27], 0 offset:296 ; 4-byte Folded Reload
	buffer_load_dword v76, off, s[24:27], 0 offset:300 ; 4-byte Folded Reload
	s_waitcnt lgkmcnt(0)
	v_mul_f64 v[95:96], v[91:92], v[99:100]
	v_fma_f64 v[95:96], v[89:90], v[125:126], -v[95:96]
	v_mul_f64 v[89:90], v[89:90], v[99:100]
	v_fma_f64 v[89:90], v[91:92], v[125:126], v[89:90]
	s_waitcnt vmcnt(2)
	v_add_f64 v[73:74], v[73:74], -v[95:96]
	s_waitcnt vmcnt(0)
	v_add_f64 v[75:76], v[75:76], -v[89:90]
	buffer_store_dword v73, off, s[24:27], 0 offset:288 ; 4-byte Folded Spill
	s_nop 0
	buffer_store_dword v74, off, s[24:27], 0 offset:292 ; 4-byte Folded Spill
	buffer_store_dword v75, off, s[24:27], 0 offset:296 ; 4-byte Folded Spill
	buffer_store_dword v76, off, s[24:27], 0 offset:300 ; 4-byte Folded Spill
	ds_read2_b64 v[89:92], v0 offset0:28 offset1:29
	buffer_load_dword v73, off, s[24:27], 0 offset:272 ; 4-byte Folded Reload
	buffer_load_dword v74, off, s[24:27], 0 offset:276 ; 4-byte Folded Reload
	buffer_load_dword v75, off, s[24:27], 0 offset:280 ; 4-byte Folded Reload
	buffer_load_dword v76, off, s[24:27], 0 offset:284 ; 4-byte Folded Reload
	s_waitcnt lgkmcnt(0)
	v_mul_f64 v[95:96], v[91:92], v[99:100]
	v_fma_f64 v[95:96], v[89:90], v[125:126], -v[95:96]
	v_mul_f64 v[89:90], v[89:90], v[99:100]
	v_fma_f64 v[89:90], v[91:92], v[125:126], v[89:90]
	s_waitcnt vmcnt(2)
	v_add_f64 v[73:74], v[73:74], -v[95:96]
	s_waitcnt vmcnt(0)
	v_add_f64 v[75:76], v[75:76], -v[89:90]
	buffer_store_dword v73, off, s[24:27], 0 offset:272 ; 4-byte Folded Spill
	s_nop 0
	buffer_store_dword v74, off, s[24:27], 0 offset:276 ; 4-byte Folded Spill
	buffer_store_dword v75, off, s[24:27], 0 offset:280 ; 4-byte Folded Spill
	buffer_store_dword v76, off, s[24:27], 0 offset:284 ; 4-byte Folded Spill
	ds_read2_b64 v[89:92], v0 offset0:30 offset1:31
	buffer_load_dword v73, off, s[24:27], 0 offset:256 ; 4-byte Folded Reload
	buffer_load_dword v74, off, s[24:27], 0 offset:260 ; 4-byte Folded Reload
	buffer_load_dword v75, off, s[24:27], 0 offset:264 ; 4-byte Folded Reload
	buffer_load_dword v76, off, s[24:27], 0 offset:268 ; 4-byte Folded Reload
	s_waitcnt lgkmcnt(0)
	v_mul_f64 v[95:96], v[91:92], v[99:100]
	v_fma_f64 v[95:96], v[89:90], v[125:126], -v[95:96]
	v_mul_f64 v[89:90], v[89:90], v[99:100]
	v_fma_f64 v[89:90], v[91:92], v[125:126], v[89:90]
	s_waitcnt vmcnt(2)
	v_add_f64 v[73:74], v[73:74], -v[95:96]
	s_waitcnt vmcnt(0)
	v_add_f64 v[75:76], v[75:76], -v[89:90]
	buffer_store_dword v73, off, s[24:27], 0 offset:256 ; 4-byte Folded Spill
	s_nop 0
	buffer_store_dword v74, off, s[24:27], 0 offset:260 ; 4-byte Folded Spill
	buffer_store_dword v75, off, s[24:27], 0 offset:264 ; 4-byte Folded Spill
	buffer_store_dword v76, off, s[24:27], 0 offset:268 ; 4-byte Folded Spill
	ds_read2_b64 v[89:92], v0 offset0:32 offset1:33
	buffer_load_dword v73, off, s[24:27], 0 offset:240 ; 4-byte Folded Reload
	buffer_load_dword v74, off, s[24:27], 0 offset:244 ; 4-byte Folded Reload
	buffer_load_dword v75, off, s[24:27], 0 offset:248 ; 4-byte Folded Reload
	buffer_load_dword v76, off, s[24:27], 0 offset:252 ; 4-byte Folded Reload
	s_waitcnt lgkmcnt(0)
	v_mul_f64 v[95:96], v[91:92], v[99:100]
	v_fma_f64 v[95:96], v[89:90], v[125:126], -v[95:96]
	v_mul_f64 v[89:90], v[89:90], v[99:100]
	v_fma_f64 v[89:90], v[91:92], v[125:126], v[89:90]
	s_waitcnt vmcnt(2)
	v_add_f64 v[73:74], v[73:74], -v[95:96]
	s_waitcnt vmcnt(0)
	v_add_f64 v[75:76], v[75:76], -v[89:90]
	buffer_store_dword v73, off, s[24:27], 0 offset:240 ; 4-byte Folded Spill
	s_nop 0
	buffer_store_dword v74, off, s[24:27], 0 offset:244 ; 4-byte Folded Spill
	buffer_store_dword v75, off, s[24:27], 0 offset:248 ; 4-byte Folded Spill
	buffer_store_dword v76, off, s[24:27], 0 offset:252 ; 4-byte Folded Spill
	ds_read2_b64 v[89:92], v0 offset0:34 offset1:35
	buffer_load_dword v73, off, s[24:27], 0 offset:224 ; 4-byte Folded Reload
	buffer_load_dword v74, off, s[24:27], 0 offset:228 ; 4-byte Folded Reload
	buffer_load_dword v75, off, s[24:27], 0 offset:232 ; 4-byte Folded Reload
	buffer_load_dword v76, off, s[24:27], 0 offset:236 ; 4-byte Folded Reload
	s_waitcnt lgkmcnt(0)
	v_mul_f64 v[95:96], v[91:92], v[99:100]
	v_fma_f64 v[95:96], v[89:90], v[125:126], -v[95:96]
	v_mul_f64 v[89:90], v[89:90], v[99:100]
	v_fma_f64 v[89:90], v[91:92], v[125:126], v[89:90]
	s_waitcnt vmcnt(2)
	v_add_f64 v[73:74], v[73:74], -v[95:96]
	s_waitcnt vmcnt(0)
	v_add_f64 v[75:76], v[75:76], -v[89:90]
	buffer_store_dword v73, off, s[24:27], 0 offset:224 ; 4-byte Folded Spill
	s_nop 0
	buffer_store_dword v74, off, s[24:27], 0 offset:228 ; 4-byte Folded Spill
	buffer_store_dword v75, off, s[24:27], 0 offset:232 ; 4-byte Folded Spill
	buffer_store_dword v76, off, s[24:27], 0 offset:236 ; 4-byte Folded Spill
	ds_read2_b64 v[89:92], v0 offset0:36 offset1:37
	buffer_load_dword v73, off, s[24:27], 0 offset:208 ; 4-byte Folded Reload
	buffer_load_dword v74, off, s[24:27], 0 offset:212 ; 4-byte Folded Reload
	buffer_load_dword v75, off, s[24:27], 0 offset:216 ; 4-byte Folded Reload
	buffer_load_dword v76, off, s[24:27], 0 offset:220 ; 4-byte Folded Reload
	s_waitcnt lgkmcnt(0)
	v_mul_f64 v[95:96], v[91:92], v[99:100]
	v_fma_f64 v[95:96], v[89:90], v[125:126], -v[95:96]
	v_mul_f64 v[89:90], v[89:90], v[99:100]
	v_fma_f64 v[89:90], v[91:92], v[125:126], v[89:90]
	s_waitcnt vmcnt(2)
	v_add_f64 v[73:74], v[73:74], -v[95:96]
	s_waitcnt vmcnt(0)
	v_add_f64 v[75:76], v[75:76], -v[89:90]
	buffer_store_dword v73, off, s[24:27], 0 offset:208 ; 4-byte Folded Spill
	s_nop 0
	buffer_store_dword v74, off, s[24:27], 0 offset:212 ; 4-byte Folded Spill
	buffer_store_dword v75, off, s[24:27], 0 offset:216 ; 4-byte Folded Spill
	buffer_store_dword v76, off, s[24:27], 0 offset:220 ; 4-byte Folded Spill
	ds_read2_b64 v[89:92], v0 offset0:38 offset1:39
	buffer_load_dword v73, off, s[24:27], 0 offset:192 ; 4-byte Folded Reload
	buffer_load_dword v74, off, s[24:27], 0 offset:196 ; 4-byte Folded Reload
	buffer_load_dword v75, off, s[24:27], 0 offset:200 ; 4-byte Folded Reload
	buffer_load_dword v76, off, s[24:27], 0 offset:204 ; 4-byte Folded Reload
	s_waitcnt lgkmcnt(0)
	v_mul_f64 v[95:96], v[91:92], v[99:100]
	v_fma_f64 v[95:96], v[89:90], v[125:126], -v[95:96]
	v_mul_f64 v[89:90], v[89:90], v[99:100]
	v_fma_f64 v[89:90], v[91:92], v[125:126], v[89:90]
	s_waitcnt vmcnt(2)
	v_add_f64 v[73:74], v[73:74], -v[95:96]
	s_waitcnt vmcnt(0)
	v_add_f64 v[75:76], v[75:76], -v[89:90]
	buffer_store_dword v73, off, s[24:27], 0 offset:192 ; 4-byte Folded Spill
	s_nop 0
	buffer_store_dword v74, off, s[24:27], 0 offset:196 ; 4-byte Folded Spill
	buffer_store_dword v75, off, s[24:27], 0 offset:200 ; 4-byte Folded Spill
	buffer_store_dword v76, off, s[24:27], 0 offset:204 ; 4-byte Folded Spill
	ds_read2_b64 v[89:92], v0 offset0:40 offset1:41
	buffer_load_dword v73, off, s[24:27], 0 offset:176 ; 4-byte Folded Reload
	buffer_load_dword v74, off, s[24:27], 0 offset:180 ; 4-byte Folded Reload
	buffer_load_dword v75, off, s[24:27], 0 offset:184 ; 4-byte Folded Reload
	buffer_load_dword v76, off, s[24:27], 0 offset:188 ; 4-byte Folded Reload
	s_waitcnt lgkmcnt(0)
	v_mul_f64 v[95:96], v[91:92], v[99:100]
	v_fma_f64 v[95:96], v[89:90], v[125:126], -v[95:96]
	v_mul_f64 v[89:90], v[89:90], v[99:100]
	v_fma_f64 v[89:90], v[91:92], v[125:126], v[89:90]
	s_waitcnt vmcnt(2)
	v_add_f64 v[73:74], v[73:74], -v[95:96]
	s_waitcnt vmcnt(0)
	v_add_f64 v[75:76], v[75:76], -v[89:90]
	buffer_store_dword v73, off, s[24:27], 0 offset:176 ; 4-byte Folded Spill
	s_nop 0
	buffer_store_dword v74, off, s[24:27], 0 offset:180 ; 4-byte Folded Spill
	buffer_store_dword v75, off, s[24:27], 0 offset:184 ; 4-byte Folded Spill
	buffer_store_dword v76, off, s[24:27], 0 offset:188 ; 4-byte Folded Spill
	ds_read2_b64 v[89:92], v0 offset0:42 offset1:43
	buffer_load_dword v73, off, s[24:27], 0 offset:160 ; 4-byte Folded Reload
	buffer_load_dword v74, off, s[24:27], 0 offset:164 ; 4-byte Folded Reload
	buffer_load_dword v75, off, s[24:27], 0 offset:168 ; 4-byte Folded Reload
	buffer_load_dword v76, off, s[24:27], 0 offset:172 ; 4-byte Folded Reload
	s_waitcnt lgkmcnt(0)
	v_mul_f64 v[95:96], v[91:92], v[99:100]
	v_fma_f64 v[95:96], v[89:90], v[125:126], -v[95:96]
	v_mul_f64 v[89:90], v[89:90], v[99:100]
	v_fma_f64 v[89:90], v[91:92], v[125:126], v[89:90]
	s_waitcnt vmcnt(2)
	v_add_f64 v[73:74], v[73:74], -v[95:96]
	s_waitcnt vmcnt(0)
	v_add_f64 v[75:76], v[75:76], -v[89:90]
	buffer_store_dword v73, off, s[24:27], 0 offset:160 ; 4-byte Folded Spill
	s_nop 0
	buffer_store_dword v74, off, s[24:27], 0 offset:164 ; 4-byte Folded Spill
	buffer_store_dword v75, off, s[24:27], 0 offset:168 ; 4-byte Folded Spill
	buffer_store_dword v76, off, s[24:27], 0 offset:172 ; 4-byte Folded Spill
	ds_read2_b64 v[89:92], v0 offset0:44 offset1:45
	buffer_load_dword v73, off, s[24:27], 0 offset:144 ; 4-byte Folded Reload
	buffer_load_dword v74, off, s[24:27], 0 offset:148 ; 4-byte Folded Reload
	buffer_load_dword v75, off, s[24:27], 0 offset:152 ; 4-byte Folded Reload
	buffer_load_dword v76, off, s[24:27], 0 offset:156 ; 4-byte Folded Reload
	s_waitcnt lgkmcnt(0)
	v_mul_f64 v[95:96], v[91:92], v[99:100]
	v_fma_f64 v[95:96], v[89:90], v[125:126], -v[95:96]
	v_mul_f64 v[89:90], v[89:90], v[99:100]
	v_fma_f64 v[89:90], v[91:92], v[125:126], v[89:90]
	s_waitcnt vmcnt(2)
	v_add_f64 v[73:74], v[73:74], -v[95:96]
	s_waitcnt vmcnt(0)
	v_add_f64 v[75:76], v[75:76], -v[89:90]
	buffer_store_dword v73, off, s[24:27], 0 offset:144 ; 4-byte Folded Spill
	s_nop 0
	buffer_store_dword v74, off, s[24:27], 0 offset:148 ; 4-byte Folded Spill
	buffer_store_dword v75, off, s[24:27], 0 offset:152 ; 4-byte Folded Spill
	buffer_store_dword v76, off, s[24:27], 0 offset:156 ; 4-byte Folded Spill
	ds_read2_b64 v[89:92], v0 offset0:46 offset1:47
	buffer_load_dword v73, off, s[24:27], 0 offset:128 ; 4-byte Folded Reload
	buffer_load_dword v74, off, s[24:27], 0 offset:132 ; 4-byte Folded Reload
	buffer_load_dword v75, off, s[24:27], 0 offset:136 ; 4-byte Folded Reload
	buffer_load_dword v76, off, s[24:27], 0 offset:140 ; 4-byte Folded Reload
	s_waitcnt lgkmcnt(0)
	v_mul_f64 v[95:96], v[91:92], v[99:100]
	v_fma_f64 v[95:96], v[89:90], v[125:126], -v[95:96]
	v_mul_f64 v[89:90], v[89:90], v[99:100]
	v_fma_f64 v[89:90], v[91:92], v[125:126], v[89:90]
	s_waitcnt vmcnt(2)
	v_add_f64 v[73:74], v[73:74], -v[95:96]
	s_waitcnt vmcnt(0)
	v_add_f64 v[75:76], v[75:76], -v[89:90]
	buffer_store_dword v73, off, s[24:27], 0 offset:128 ; 4-byte Folded Spill
	s_nop 0
	buffer_store_dword v74, off, s[24:27], 0 offset:132 ; 4-byte Folded Spill
	buffer_store_dword v75, off, s[24:27], 0 offset:136 ; 4-byte Folded Spill
	buffer_store_dword v76, off, s[24:27], 0 offset:140 ; 4-byte Folded Spill
	ds_read2_b64 v[89:92], v0 offset0:48 offset1:49
	buffer_load_dword v73, off, s[24:27], 0 offset:112 ; 4-byte Folded Reload
	buffer_load_dword v74, off, s[24:27], 0 offset:116 ; 4-byte Folded Reload
	buffer_load_dword v75, off, s[24:27], 0 offset:120 ; 4-byte Folded Reload
	buffer_load_dword v76, off, s[24:27], 0 offset:124 ; 4-byte Folded Reload
	s_waitcnt lgkmcnt(0)
	v_mul_f64 v[95:96], v[91:92], v[99:100]
	v_fma_f64 v[95:96], v[89:90], v[125:126], -v[95:96]
	v_mul_f64 v[89:90], v[89:90], v[99:100]
	v_fma_f64 v[89:90], v[91:92], v[125:126], v[89:90]
	s_waitcnt vmcnt(2)
	v_add_f64 v[73:74], v[73:74], -v[95:96]
	s_waitcnt vmcnt(0)
	v_add_f64 v[75:76], v[75:76], -v[89:90]
	buffer_store_dword v73, off, s[24:27], 0 offset:112 ; 4-byte Folded Spill
	s_nop 0
	buffer_store_dword v74, off, s[24:27], 0 offset:116 ; 4-byte Folded Spill
	buffer_store_dword v75, off, s[24:27], 0 offset:120 ; 4-byte Folded Spill
	buffer_store_dword v76, off, s[24:27], 0 offset:124 ; 4-byte Folded Spill
	ds_read2_b64 v[89:92], v0 offset0:50 offset1:51
	buffer_load_dword v73, off, s[24:27], 0 offset:96 ; 4-byte Folded Reload
	buffer_load_dword v74, off, s[24:27], 0 offset:100 ; 4-byte Folded Reload
	buffer_load_dword v75, off, s[24:27], 0 offset:104 ; 4-byte Folded Reload
	buffer_load_dword v76, off, s[24:27], 0 offset:108 ; 4-byte Folded Reload
	s_waitcnt lgkmcnt(0)
	v_mul_f64 v[95:96], v[91:92], v[99:100]
	v_fma_f64 v[95:96], v[89:90], v[125:126], -v[95:96]
	v_mul_f64 v[89:90], v[89:90], v[99:100]
	v_fma_f64 v[89:90], v[91:92], v[125:126], v[89:90]
	s_waitcnt vmcnt(2)
	v_add_f64 v[73:74], v[73:74], -v[95:96]
	s_waitcnt vmcnt(0)
	v_add_f64 v[75:76], v[75:76], -v[89:90]
	buffer_store_dword v73, off, s[24:27], 0 offset:96 ; 4-byte Folded Spill
	s_nop 0
	buffer_store_dword v74, off, s[24:27], 0 offset:100 ; 4-byte Folded Spill
	buffer_store_dword v75, off, s[24:27], 0 offset:104 ; 4-byte Folded Spill
	buffer_store_dword v76, off, s[24:27], 0 offset:108 ; 4-byte Folded Spill
	ds_read2_b64 v[89:92], v0 offset0:52 offset1:53
	buffer_load_dword v73, off, s[24:27], 0 offset:80 ; 4-byte Folded Reload
	buffer_load_dword v74, off, s[24:27], 0 offset:84 ; 4-byte Folded Reload
	buffer_load_dword v75, off, s[24:27], 0 offset:88 ; 4-byte Folded Reload
	buffer_load_dword v76, off, s[24:27], 0 offset:92 ; 4-byte Folded Reload
	s_waitcnt lgkmcnt(0)
	v_mul_f64 v[95:96], v[91:92], v[99:100]
	v_fma_f64 v[95:96], v[89:90], v[125:126], -v[95:96]
	v_mul_f64 v[89:90], v[89:90], v[99:100]
	v_fma_f64 v[89:90], v[91:92], v[125:126], v[89:90]
	s_waitcnt vmcnt(2)
	v_add_f64 v[73:74], v[73:74], -v[95:96]
	s_waitcnt vmcnt(0)
	v_add_f64 v[75:76], v[75:76], -v[89:90]
	buffer_store_dword v73, off, s[24:27], 0 offset:80 ; 4-byte Folded Spill
	s_nop 0
	buffer_store_dword v74, off, s[24:27], 0 offset:84 ; 4-byte Folded Spill
	buffer_store_dword v75, off, s[24:27], 0 offset:88 ; 4-byte Folded Spill
	buffer_store_dword v76, off, s[24:27], 0 offset:92 ; 4-byte Folded Spill
	ds_read2_b64 v[89:92], v0 offset0:54 offset1:55
	buffer_load_dword v73, off, s[24:27], 0 offset:64 ; 4-byte Folded Reload
	buffer_load_dword v74, off, s[24:27], 0 offset:68 ; 4-byte Folded Reload
	buffer_load_dword v75, off, s[24:27], 0 offset:72 ; 4-byte Folded Reload
	buffer_load_dword v76, off, s[24:27], 0 offset:76 ; 4-byte Folded Reload
	s_waitcnt lgkmcnt(0)
	v_mul_f64 v[95:96], v[91:92], v[99:100]
	v_fma_f64 v[95:96], v[89:90], v[125:126], -v[95:96]
	v_mul_f64 v[89:90], v[89:90], v[99:100]
	v_fma_f64 v[89:90], v[91:92], v[125:126], v[89:90]
	s_waitcnt vmcnt(2)
	v_add_f64 v[73:74], v[73:74], -v[95:96]
	s_waitcnt vmcnt(0)
	v_add_f64 v[75:76], v[75:76], -v[89:90]
	buffer_store_dword v73, off, s[24:27], 0 offset:64 ; 4-byte Folded Spill
	s_nop 0
	buffer_store_dword v74, off, s[24:27], 0 offset:68 ; 4-byte Folded Spill
	buffer_store_dword v75, off, s[24:27], 0 offset:72 ; 4-byte Folded Spill
	buffer_store_dword v76, off, s[24:27], 0 offset:76 ; 4-byte Folded Spill
	ds_read2_b64 v[89:92], v0 offset0:56 offset1:57
	buffer_load_dword v73, off, s[24:27], 0 offset:48 ; 4-byte Folded Reload
	buffer_load_dword v74, off, s[24:27], 0 offset:52 ; 4-byte Folded Reload
	buffer_load_dword v75, off, s[24:27], 0 offset:56 ; 4-byte Folded Reload
	buffer_load_dword v76, off, s[24:27], 0 offset:60 ; 4-byte Folded Reload
	s_waitcnt lgkmcnt(0)
	v_mul_f64 v[95:96], v[91:92], v[99:100]
	v_fma_f64 v[95:96], v[89:90], v[125:126], -v[95:96]
	v_mul_f64 v[89:90], v[89:90], v[99:100]
	v_fma_f64 v[89:90], v[91:92], v[125:126], v[89:90]
	s_waitcnt vmcnt(2)
	v_add_f64 v[73:74], v[73:74], -v[95:96]
	s_waitcnt vmcnt(0)
	v_add_f64 v[75:76], v[75:76], -v[89:90]
	buffer_store_dword v73, off, s[24:27], 0 offset:48 ; 4-byte Folded Spill
	s_nop 0
	buffer_store_dword v74, off, s[24:27], 0 offset:52 ; 4-byte Folded Spill
	buffer_store_dword v75, off, s[24:27], 0 offset:56 ; 4-byte Folded Spill
	buffer_store_dword v76, off, s[24:27], 0 offset:60 ; 4-byte Folded Spill
	ds_read2_b64 v[89:92], v0 offset0:58 offset1:59
	buffer_load_dword v73, off, s[24:27], 0 offset:32 ; 4-byte Folded Reload
	buffer_load_dword v74, off, s[24:27], 0 offset:36 ; 4-byte Folded Reload
	buffer_load_dword v75, off, s[24:27], 0 offset:40 ; 4-byte Folded Reload
	buffer_load_dword v76, off, s[24:27], 0 offset:44 ; 4-byte Folded Reload
	s_waitcnt lgkmcnt(0)
	v_mul_f64 v[95:96], v[91:92], v[99:100]
	v_fma_f64 v[95:96], v[89:90], v[125:126], -v[95:96]
	v_mul_f64 v[89:90], v[89:90], v[99:100]
	v_fma_f64 v[89:90], v[91:92], v[125:126], v[89:90]
	s_waitcnt vmcnt(2)
	v_add_f64 v[73:74], v[73:74], -v[95:96]
	s_waitcnt vmcnt(0)
	v_add_f64 v[75:76], v[75:76], -v[89:90]
	buffer_store_dword v73, off, s[24:27], 0 offset:32 ; 4-byte Folded Spill
	s_nop 0
	buffer_store_dword v74, off, s[24:27], 0 offset:36 ; 4-byte Folded Spill
	buffer_store_dword v75, off, s[24:27], 0 offset:40 ; 4-byte Folded Spill
	buffer_store_dword v76, off, s[24:27], 0 offset:44 ; 4-byte Folded Spill
	ds_read2_b64 v[89:92], v0 offset0:60 offset1:61
	buffer_load_dword v73, off, s[24:27], 0 offset:16 ; 4-byte Folded Reload
	buffer_load_dword v74, off, s[24:27], 0 offset:20 ; 4-byte Folded Reload
	buffer_load_dword v75, off, s[24:27], 0 offset:24 ; 4-byte Folded Reload
	buffer_load_dword v76, off, s[24:27], 0 offset:28 ; 4-byte Folded Reload
	s_waitcnt lgkmcnt(0)
	v_mul_f64 v[95:96], v[91:92], v[99:100]
	v_fma_f64 v[95:96], v[89:90], v[125:126], -v[95:96]
	v_mul_f64 v[89:90], v[89:90], v[99:100]
	v_fma_f64 v[89:90], v[91:92], v[125:126], v[89:90]
	s_waitcnt vmcnt(2)
	v_add_f64 v[73:74], v[73:74], -v[95:96]
	s_waitcnt vmcnt(0)
	v_add_f64 v[75:76], v[75:76], -v[89:90]
	buffer_store_dword v73, off, s[24:27], 0 offset:16 ; 4-byte Folded Spill
	s_nop 0
	buffer_store_dword v74, off, s[24:27], 0 offset:20 ; 4-byte Folded Spill
	buffer_store_dword v75, off, s[24:27], 0 offset:24 ; 4-byte Folded Spill
	buffer_store_dword v76, off, s[24:27], 0 offset:28 ; 4-byte Folded Spill
	ds_read2_b64 v[89:92], v0 offset0:62 offset1:63
	s_waitcnt lgkmcnt(0)
	v_mul_f64 v[95:96], v[91:92], v[99:100]
	v_fma_f64 v[95:96], v[89:90], v[125:126], -v[95:96]
	v_mul_f64 v[89:90], v[89:90], v[99:100]
	v_add_f64 v[81:82], v[81:82], -v[95:96]
	v_fma_f64 v[89:90], v[91:92], v[125:126], v[89:90]
	v_add_f64 v[83:84], v[83:84], -v[89:90]
	ds_read2_b64 v[89:92], v0 offset0:64 offset1:65
	s_waitcnt lgkmcnt(0)
	v_mul_f64 v[95:96], v[91:92], v[99:100]
	v_fma_f64 v[95:96], v[89:90], v[125:126], -v[95:96]
	v_mul_f64 v[89:90], v[89:90], v[99:100]
	v_add_f64 v[85:86], v[85:86], -v[95:96]
	v_fma_f64 v[89:90], v[91:92], v[125:126], v[89:90]
	v_add_f64 v[87:88], v[87:88], -v[89:90]
	;; [unrolled: 8-line block ×5, first 2 shown]
	ds_read2_b64 v[89:92], v0 offset0:72 offset1:73
	buffer_load_dword v73, off, s[24:27], 0 ; 4-byte Folded Reload
	buffer_load_dword v74, off, s[24:27], 0 offset:4 ; 4-byte Folded Reload
	buffer_load_dword v75, off, s[24:27], 0 offset:8 ; 4-byte Folded Reload
	;; [unrolled: 1-line block ×3, first 2 shown]
	s_waitcnt lgkmcnt(0)
	v_mul_f64 v[95:96], v[91:92], v[99:100]
	v_fma_f64 v[95:96], v[89:90], v[125:126], -v[95:96]
	v_mul_f64 v[89:90], v[89:90], v[99:100]
	v_fma_f64 v[89:90], v[91:92], v[125:126], v[89:90]
	s_waitcnt vmcnt(2)
	v_add_f64 v[73:74], v[73:74], -v[95:96]
	s_waitcnt vmcnt(0)
	v_add_f64 v[75:76], v[75:76], -v[89:90]
	buffer_store_dword v73, off, s[24:27], 0 ; 4-byte Folded Spill
	s_nop 0
	buffer_store_dword v74, off, s[24:27], 0 offset:4 ; 4-byte Folded Spill
	buffer_store_dword v75, off, s[24:27], 0 offset:8 ; 4-byte Folded Spill
	;; [unrolled: 1-line block ×3, first 2 shown]
	ds_read2_b64 v[89:92], v0 offset0:74 offset1:75
	s_waitcnt lgkmcnt(0)
	v_mul_f64 v[95:96], v[91:92], v[99:100]
	v_fma_f64 v[95:96], v[89:90], v[125:126], -v[95:96]
	v_mul_f64 v[89:90], v[89:90], v[99:100]
	v_add_f64 v[69:70], v[69:70], -v[95:96]
	v_fma_f64 v[89:90], v[91:92], v[125:126], v[89:90]
	v_add_f64 v[71:72], v[71:72], -v[89:90]
	ds_read2_b64 v[89:92], v0 offset0:76 offset1:77
	s_waitcnt lgkmcnt(0)
	v_mul_f64 v[95:96], v[91:92], v[99:100]
	v_fma_f64 v[95:96], v[89:90], v[125:126], -v[95:96]
	v_mul_f64 v[89:90], v[89:90], v[99:100]
	v_add_f64 v[65:66], v[65:66], -v[95:96]
	v_fma_f64 v[89:90], v[91:92], v[125:126], v[89:90]
	v_add_f64 v[67:68], v[67:68], -v[89:90]
	;; [unrolled: 8-line block ×17, first 2 shown]
	ds_read2_b64 v[89:92], v0 offset0:108 offset1:109
	s_waitcnt lgkmcnt(0)
	v_mul_f64 v[95:96], v[91:92], v[99:100]
	v_fma_f64 v[95:96], v[89:90], v[125:126], -v[95:96]
	v_mul_f64 v[89:90], v[89:90], v[99:100]
	v_add_f64 v[1:2], v[1:2], -v[95:96]
	v_fma_f64 v[89:90], v[91:92], v[125:126], v[89:90]
	ds_read2_b64 v[95:98], v0 offset0:110 offset1:111
	s_waitcnt lgkmcnt(0)
	v_mul_f64 v[91:92], v[95:96], v[99:100]
	v_add_f64 v[3:4], v[3:4], -v[89:90]
	v_mul_f64 v[89:90], v[97:98], v[99:100]
	v_fma_f64 v[91:92], v[97:98], v[125:126], v[91:92]
	v_mov_b32_e32 v97, v125
	v_mov_b32_e32 v98, v126
	v_fma_f64 v[89:90], v[95:96], v[125:126], -v[89:90]
	buffer_store_dword v97, off, s[24:27], 0 offset:432 ; 4-byte Folded Spill
	s_nop 0
	buffer_store_dword v98, off, s[24:27], 0 offset:436 ; 4-byte Folded Spill
	buffer_store_dword v99, off, s[24:27], 0 offset:440 ; 4-byte Folded Spill
	;; [unrolled: 1-line block ×3, first 2 shown]
	v_add_f64 v[123:124], v[123:124], -v[91:92]
	v_add_f64 v[121:122], v[121:122], -v[89:90]
.LBB110_104:
	s_or_b64 exec, exec, s[0:1]
	s_waitcnt vmcnt(0)
	s_barrier
	buffer_load_dword v73, off, s[24:27], 0 offset:416 ; 4-byte Folded Reload
	buffer_load_dword v74, off, s[24:27], 0 offset:420 ; 4-byte Folded Reload
	;; [unrolled: 1-line block ×4, first 2 shown]
	v_lshl_add_u32 v89, v93, 4, v0
	s_cmp_lt_i32 s3, 7
	s_waitcnt vmcnt(0)
	ds_write2_b64 v89, v[73:74], v[75:76] offset1:1
	s_waitcnt lgkmcnt(0)
	s_barrier
	ds_read2_b64 v[117:120], v0 offset0:10 offset1:11
	v_mov_b32_e32 v89, 5
	s_cbranch_scc1 .LBB110_107
; %bb.105:
	v_add_u32_e32 v90, 0x60, v0
	s_mov_b32 s0, 6
	v_mov_b32_e32 v89, 5
.LBB110_106:                            ; =>This Inner Loop Header: Depth=1
	s_waitcnt lgkmcnt(0)
	v_cmp_gt_f64_e32 vcc, 0, v[117:118]
	v_xor_b32_e32 v91, 0x80000000, v118
	ds_read2_b64 v[95:98], v90 offset1:1
	v_xor_b32_e32 v99, 0x80000000, v120
	v_add_u32_e32 v90, 16, v90
	s_waitcnt lgkmcnt(0)
	v_xor_b32_e32 v101, 0x80000000, v98
	v_cndmask_b32_e32 v92, v118, v91, vcc
	v_cmp_gt_f64_e32 vcc, 0, v[119:120]
	v_mov_b32_e32 v91, v117
	v_cndmask_b32_e32 v100, v120, v99, vcc
	v_cmp_gt_f64_e32 vcc, 0, v[95:96]
	v_mov_b32_e32 v99, v119
	v_add_f64 v[91:92], v[91:92], v[99:100]
	v_xor_b32_e32 v99, 0x80000000, v96
	v_cndmask_b32_e32 v100, v96, v99, vcc
	v_cmp_gt_f64_e32 vcc, 0, v[97:98]
	v_mov_b32_e32 v99, v95
	v_cndmask_b32_e32 v102, v98, v101, vcc
	v_mov_b32_e32 v101, v97
	v_add_f64 v[99:100], v[99:100], v[101:102]
	v_cmp_lt_f64_e32 vcc, v[91:92], v[99:100]
	v_mov_b32_e32 v91, s0
	s_add_i32 s0, s0, 1
	s_cmp_lg_u32 s3, s0
	v_cndmask_b32_e32 v118, v118, v96, vcc
	v_cndmask_b32_e32 v117, v117, v95, vcc
	;; [unrolled: 1-line block ×5, first 2 shown]
	s_cbranch_scc1 .LBB110_106
.LBB110_107:
	s_waitcnt lgkmcnt(0)
	v_cmp_eq_f64_e32 vcc, 0, v[117:118]
	v_cmp_eq_f64_e64 s[0:1], 0, v[119:120]
	s_and_b64 s[0:1], vcc, s[0:1]
	s_and_saveexec_b64 s[18:19], s[0:1]
	s_xor_b64 s[0:1], exec, s[18:19]
; %bb.108:
	v_cmp_ne_u32_e32 vcc, 0, v94
	v_cndmask_b32_e32 v94, 6, v94, vcc
; %bb.109:
	s_andn2_saveexec_b64 s[0:1], s[0:1]
	s_cbranch_execz .LBB110_115
; %bb.110:
	v_cmp_ngt_f64_e64 s[18:19], |v[117:118]|, |v[119:120]|
	s_and_saveexec_b64 s[20:21], s[18:19]
	s_xor_b64 s[18:19], exec, s[20:21]
	s_cbranch_execz .LBB110_112
; %bb.111:
	v_div_scale_f64 v[90:91], s[20:21], v[119:120], v[119:120], v[117:118]
	v_rcp_f64_e32 v[95:96], v[90:91]
	v_fma_f64 v[97:98], -v[90:91], v[95:96], 1.0
	v_fma_f64 v[95:96], v[95:96], v[97:98], v[95:96]
	v_div_scale_f64 v[97:98], vcc, v[117:118], v[119:120], v[117:118]
	v_fma_f64 v[99:100], -v[90:91], v[95:96], 1.0
	v_fma_f64 v[95:96], v[95:96], v[99:100], v[95:96]
	v_mul_f64 v[99:100], v[97:98], v[95:96]
	v_fma_f64 v[90:91], -v[90:91], v[99:100], v[97:98]
	v_div_fmas_f64 v[90:91], v[90:91], v[95:96], v[99:100]
	v_div_fixup_f64 v[90:91], v[90:91], v[119:120], v[117:118]
	v_fma_f64 v[95:96], v[117:118], v[90:91], v[119:120]
	v_div_scale_f64 v[97:98], s[20:21], v[95:96], v[95:96], 1.0
	v_div_scale_f64 v[103:104], vcc, 1.0, v[95:96], 1.0
	v_rcp_f64_e32 v[99:100], v[97:98]
	v_fma_f64 v[101:102], -v[97:98], v[99:100], 1.0
	v_fma_f64 v[99:100], v[99:100], v[101:102], v[99:100]
	v_fma_f64 v[101:102], -v[97:98], v[99:100], 1.0
	v_fma_f64 v[99:100], v[99:100], v[101:102], v[99:100]
	v_mul_f64 v[101:102], v[103:104], v[99:100]
	v_fma_f64 v[97:98], -v[97:98], v[101:102], v[103:104]
	v_div_fmas_f64 v[97:98], v[97:98], v[99:100], v[101:102]
	v_div_fixup_f64 v[119:120], v[97:98], v[95:96], 1.0
	v_mul_f64 v[117:118], v[90:91], v[119:120]
	v_xor_b32_e32 v120, 0x80000000, v120
.LBB110_112:
	s_andn2_saveexec_b64 s[18:19], s[18:19]
	s_cbranch_execz .LBB110_114
; %bb.113:
	v_div_scale_f64 v[90:91], s[20:21], v[117:118], v[117:118], v[119:120]
	v_rcp_f64_e32 v[95:96], v[90:91]
	v_fma_f64 v[97:98], -v[90:91], v[95:96], 1.0
	v_fma_f64 v[95:96], v[95:96], v[97:98], v[95:96]
	v_div_scale_f64 v[97:98], vcc, v[119:120], v[117:118], v[119:120]
	v_fma_f64 v[99:100], -v[90:91], v[95:96], 1.0
	v_fma_f64 v[95:96], v[95:96], v[99:100], v[95:96]
	v_mul_f64 v[99:100], v[97:98], v[95:96]
	v_fma_f64 v[90:91], -v[90:91], v[99:100], v[97:98]
	v_div_fmas_f64 v[90:91], v[90:91], v[95:96], v[99:100]
	v_div_fixup_f64 v[90:91], v[90:91], v[117:118], v[119:120]
	v_fma_f64 v[95:96], v[119:120], v[90:91], v[117:118]
	v_div_scale_f64 v[97:98], s[20:21], v[95:96], v[95:96], 1.0
	v_div_scale_f64 v[103:104], vcc, 1.0, v[95:96], 1.0
	v_rcp_f64_e32 v[99:100], v[97:98]
	v_fma_f64 v[101:102], -v[97:98], v[99:100], 1.0
	v_fma_f64 v[99:100], v[99:100], v[101:102], v[99:100]
	v_fma_f64 v[101:102], -v[97:98], v[99:100], 1.0
	v_fma_f64 v[99:100], v[99:100], v[101:102], v[99:100]
	v_mul_f64 v[101:102], v[103:104], v[99:100]
	v_fma_f64 v[97:98], -v[97:98], v[101:102], v[103:104]
	v_div_fmas_f64 v[97:98], v[97:98], v[99:100], v[101:102]
	v_div_fixup_f64 v[117:118], v[97:98], v[95:96], 1.0
	v_mul_f64 v[119:120], v[90:91], -v[117:118]
.LBB110_114:
	s_or_b64 exec, exec, s[18:19]
.LBB110_115:
	s_or_b64 exec, exec, s[0:1]
	v_cmp_ne_u32_e32 vcc, v93, v89
	s_and_saveexec_b64 s[0:1], vcc
	s_xor_b64 s[0:1], exec, s[0:1]
	s_cbranch_execz .LBB110_121
; %bb.116:
	v_cmp_eq_u32_e32 vcc, 5, v93
	s_and_saveexec_b64 s[18:19], vcc
	s_cbranch_execz .LBB110_120
; %bb.117:
	v_cmp_ne_u32_e32 vcc, 5, v89
	s_xor_b64 s[20:21], s[6:7], -1
	s_and_b64 s[22:23], s[20:21], vcc
	s_and_saveexec_b64 s[20:21], s[22:23]
	s_cbranch_execz .LBB110_119
; %bb.118:
	v_mov_b32_e32 v73, v81
	v_mov_b32_e32 v74, v82
	;; [unrolled: 1-line block ×4, first 2 shown]
	buffer_load_dword v81, off, s[24:27], 0 offset:448 ; 4-byte Folded Reload
	buffer_load_dword v82, off, s[24:27], 0 offset:452 ; 4-byte Folded Reload
	v_ashrrev_i32_e32 v90, 31, v89
	v_lshlrev_b64 v[90:91], 2, v[89:90]
	s_waitcnt vmcnt(1)
	v_add_co_u32_e32 v90, vcc, v81, v90
	s_waitcnt vmcnt(0)
	v_addc_co_u32_e32 v91, vcc, v82, v91, vcc
	global_load_dword v92, v[90:91], off
	global_load_dword v93, v[81:82], off offset:20
	s_waitcnt vmcnt(1)
	global_store_dword v[81:82], v92, off offset:20
	v_mov_b32_e32 v84, v76
	v_mov_b32_e32 v83, v75
	;; [unrolled: 1-line block ×4, first 2 shown]
	s_waitcnt vmcnt(1)
	global_store_dword v[90:91], v93, off
.LBB110_119:
	s_or_b64 exec, exec, s[20:21]
	v_mov_b32_e32 v93, v89
	v_mov_b32_e32 v127, v89
.LBB110_120:
	s_or_b64 exec, exec, s[18:19]
.LBB110_121:
	s_andn2_saveexec_b64 s[0:1], s[0:1]
	s_cbranch_execz .LBB110_123
; %bb.122:
	buffer_load_dword v73, off, s[24:27], 0 offset:400 ; 4-byte Folded Reload
	buffer_load_dword v74, off, s[24:27], 0 offset:404 ; 4-byte Folded Reload
	;; [unrolled: 1-line block ×4, first 2 shown]
	v_mov_b32_e32 v93, 5
	s_waitcnt vmcnt(0)
	ds_write2_b64 v0, v[73:74], v[75:76] offset0:12 offset1:13
	buffer_load_dword v73, off, s[24:27], 0 offset:384 ; 4-byte Folded Reload
	buffer_load_dword v74, off, s[24:27], 0 offset:388 ; 4-byte Folded Reload
	buffer_load_dword v75, off, s[24:27], 0 offset:392 ; 4-byte Folded Reload
	buffer_load_dword v76, off, s[24:27], 0 offset:396 ; 4-byte Folded Reload
	s_waitcnt vmcnt(0)
	ds_write2_b64 v0, v[73:74], v[75:76] offset0:14 offset1:15
	buffer_load_dword v73, off, s[24:27], 0 offset:368 ; 4-byte Folded Reload
	buffer_load_dword v74, off, s[24:27], 0 offset:372 ; 4-byte Folded Reload
	buffer_load_dword v75, off, s[24:27], 0 offset:376 ; 4-byte Folded Reload
	buffer_load_dword v76, off, s[24:27], 0 offset:380 ; 4-byte Folded Reload
	;; [unrolled: 6-line block ×24, first 2 shown]
	s_waitcnt vmcnt(0)
	ds_write2_b64 v0, v[73:74], v[75:76] offset0:60 offset1:61
	ds_write2_b64 v0, v[81:82], v[83:84] offset0:62 offset1:63
	;; [unrolled: 1-line block ×6, first 2 shown]
	buffer_load_dword v73, off, s[24:27], 0 ; 4-byte Folded Reload
	buffer_load_dword v74, off, s[24:27], 0 offset:4 ; 4-byte Folded Reload
	buffer_load_dword v75, off, s[24:27], 0 offset:8 ; 4-byte Folded Reload
	;; [unrolled: 1-line block ×3, first 2 shown]
	s_waitcnt vmcnt(0)
	ds_write2_b64 v0, v[73:74], v[75:76] offset0:72 offset1:73
	ds_write2_b64 v0, v[69:70], v[71:72] offset0:74 offset1:75
	;; [unrolled: 1-line block ×20, first 2 shown]
.LBB110_123:
	s_or_b64 exec, exec, s[0:1]
	v_cmp_lt_i32_e32 vcc, 5, v93
	s_waitcnt vmcnt(0) lgkmcnt(0)
	s_barrier
	s_and_saveexec_b64 s[0:1], vcc
	s_cbranch_execz .LBB110_125
; %bb.124:
	buffer_load_dword v97, off, s[24:27], 0 offset:416 ; 4-byte Folded Reload
	buffer_load_dword v98, off, s[24:27], 0 offset:420 ; 4-byte Folded Reload
	;; [unrolled: 1-line block ×4, first 2 shown]
	s_waitcnt vmcnt(0)
	v_mul_f64 v[89:90], v[119:120], v[99:100]
	v_fma_f64 v[125:126], v[117:118], v[97:98], -v[89:90]
	v_mul_f64 v[89:90], v[117:118], v[99:100]
	v_fma_f64 v[99:100], v[119:120], v[97:98], v[89:90]
	ds_read2_b64 v[89:92], v0 offset0:12 offset1:13
	buffer_load_dword v73, off, s[24:27], 0 offset:400 ; 4-byte Folded Reload
	buffer_load_dword v74, off, s[24:27], 0 offset:404 ; 4-byte Folded Reload
	buffer_load_dword v75, off, s[24:27], 0 offset:408 ; 4-byte Folded Reload
	buffer_load_dword v76, off, s[24:27], 0 offset:412 ; 4-byte Folded Reload
	s_waitcnt lgkmcnt(0)
	v_mul_f64 v[95:96], v[91:92], v[99:100]
	v_fma_f64 v[95:96], v[89:90], v[125:126], -v[95:96]
	v_mul_f64 v[89:90], v[89:90], v[99:100]
	v_fma_f64 v[89:90], v[91:92], v[125:126], v[89:90]
	s_waitcnt vmcnt(2)
	v_add_f64 v[73:74], v[73:74], -v[95:96]
	s_waitcnt vmcnt(0)
	v_add_f64 v[75:76], v[75:76], -v[89:90]
	buffer_store_dword v73, off, s[24:27], 0 offset:400 ; 4-byte Folded Spill
	s_nop 0
	buffer_store_dword v74, off, s[24:27], 0 offset:404 ; 4-byte Folded Spill
	buffer_store_dword v75, off, s[24:27], 0 offset:408 ; 4-byte Folded Spill
	buffer_store_dword v76, off, s[24:27], 0 offset:412 ; 4-byte Folded Spill
	ds_read2_b64 v[89:92], v0 offset0:14 offset1:15
	buffer_load_dword v73, off, s[24:27], 0 offset:384 ; 4-byte Folded Reload
	buffer_load_dword v74, off, s[24:27], 0 offset:388 ; 4-byte Folded Reload
	buffer_load_dword v75, off, s[24:27], 0 offset:392 ; 4-byte Folded Reload
	buffer_load_dword v76, off, s[24:27], 0 offset:396 ; 4-byte Folded Reload
	s_waitcnt lgkmcnt(0)
	v_mul_f64 v[95:96], v[91:92], v[99:100]
	v_fma_f64 v[95:96], v[89:90], v[125:126], -v[95:96]
	v_mul_f64 v[89:90], v[89:90], v[99:100]
	v_fma_f64 v[89:90], v[91:92], v[125:126], v[89:90]
	s_waitcnt vmcnt(2)
	v_add_f64 v[73:74], v[73:74], -v[95:96]
	s_waitcnt vmcnt(0)
	v_add_f64 v[75:76], v[75:76], -v[89:90]
	buffer_store_dword v73, off, s[24:27], 0 offset:384 ; 4-byte Folded Spill
	s_nop 0
	buffer_store_dword v74, off, s[24:27], 0 offset:388 ; 4-byte Folded Spill
	buffer_store_dword v75, off, s[24:27], 0 offset:392 ; 4-byte Folded Spill
	buffer_store_dword v76, off, s[24:27], 0 offset:396 ; 4-byte Folded Spill
	;; [unrolled: 19-line block ×25, first 2 shown]
	ds_read2_b64 v[89:92], v0 offset0:62 offset1:63
	s_waitcnt lgkmcnt(0)
	v_mul_f64 v[95:96], v[91:92], v[99:100]
	v_fma_f64 v[95:96], v[89:90], v[125:126], -v[95:96]
	v_mul_f64 v[89:90], v[89:90], v[99:100]
	v_add_f64 v[81:82], v[81:82], -v[95:96]
	v_fma_f64 v[89:90], v[91:92], v[125:126], v[89:90]
	v_add_f64 v[83:84], v[83:84], -v[89:90]
	ds_read2_b64 v[89:92], v0 offset0:64 offset1:65
	s_waitcnt lgkmcnt(0)
	v_mul_f64 v[95:96], v[91:92], v[99:100]
	v_fma_f64 v[95:96], v[89:90], v[125:126], -v[95:96]
	v_mul_f64 v[89:90], v[89:90], v[99:100]
	v_add_f64 v[85:86], v[85:86], -v[95:96]
	v_fma_f64 v[89:90], v[91:92], v[125:126], v[89:90]
	v_add_f64 v[87:88], v[87:88], -v[89:90]
	;; [unrolled: 8-line block ×5, first 2 shown]
	ds_read2_b64 v[89:92], v0 offset0:72 offset1:73
	buffer_load_dword v73, off, s[24:27], 0 ; 4-byte Folded Reload
	buffer_load_dword v74, off, s[24:27], 0 offset:4 ; 4-byte Folded Reload
	buffer_load_dword v75, off, s[24:27], 0 offset:8 ; 4-byte Folded Reload
	buffer_load_dword v76, off, s[24:27], 0 offset:12 ; 4-byte Folded Reload
	s_waitcnt lgkmcnt(0)
	v_mul_f64 v[95:96], v[91:92], v[99:100]
	v_fma_f64 v[95:96], v[89:90], v[125:126], -v[95:96]
	v_mul_f64 v[89:90], v[89:90], v[99:100]
	v_fma_f64 v[89:90], v[91:92], v[125:126], v[89:90]
	s_waitcnt vmcnt(2)
	v_add_f64 v[73:74], v[73:74], -v[95:96]
	s_waitcnt vmcnt(0)
	v_add_f64 v[75:76], v[75:76], -v[89:90]
	buffer_store_dword v73, off, s[24:27], 0 ; 4-byte Folded Spill
	s_nop 0
	buffer_store_dword v74, off, s[24:27], 0 offset:4 ; 4-byte Folded Spill
	buffer_store_dword v75, off, s[24:27], 0 offset:8 ; 4-byte Folded Spill
	buffer_store_dword v76, off, s[24:27], 0 offset:12 ; 4-byte Folded Spill
	ds_read2_b64 v[89:92], v0 offset0:74 offset1:75
	s_waitcnt lgkmcnt(0)
	v_mul_f64 v[95:96], v[91:92], v[99:100]
	v_fma_f64 v[95:96], v[89:90], v[125:126], -v[95:96]
	v_mul_f64 v[89:90], v[89:90], v[99:100]
	v_add_f64 v[69:70], v[69:70], -v[95:96]
	v_fma_f64 v[89:90], v[91:92], v[125:126], v[89:90]
	v_add_f64 v[71:72], v[71:72], -v[89:90]
	ds_read2_b64 v[89:92], v0 offset0:76 offset1:77
	s_waitcnt lgkmcnt(0)
	v_mul_f64 v[95:96], v[91:92], v[99:100]
	v_fma_f64 v[95:96], v[89:90], v[125:126], -v[95:96]
	v_mul_f64 v[89:90], v[89:90], v[99:100]
	v_add_f64 v[65:66], v[65:66], -v[95:96]
	v_fma_f64 v[89:90], v[91:92], v[125:126], v[89:90]
	v_add_f64 v[67:68], v[67:68], -v[89:90]
	;; [unrolled: 8-line block ×17, first 2 shown]
	ds_read2_b64 v[89:92], v0 offset0:108 offset1:109
	s_waitcnt lgkmcnt(0)
	v_mul_f64 v[95:96], v[91:92], v[99:100]
	v_fma_f64 v[95:96], v[89:90], v[125:126], -v[95:96]
	v_mul_f64 v[89:90], v[89:90], v[99:100]
	v_add_f64 v[1:2], v[1:2], -v[95:96]
	v_fma_f64 v[89:90], v[91:92], v[125:126], v[89:90]
	ds_read2_b64 v[95:98], v0 offset0:110 offset1:111
	s_waitcnt lgkmcnt(0)
	v_mul_f64 v[91:92], v[95:96], v[99:100]
	v_add_f64 v[3:4], v[3:4], -v[89:90]
	v_mul_f64 v[89:90], v[97:98], v[99:100]
	v_fma_f64 v[91:92], v[97:98], v[125:126], v[91:92]
	v_mov_b32_e32 v97, v125
	v_mov_b32_e32 v98, v126
	v_fma_f64 v[89:90], v[95:96], v[125:126], -v[89:90]
	buffer_store_dword v97, off, s[24:27], 0 offset:416 ; 4-byte Folded Spill
	s_nop 0
	buffer_store_dword v98, off, s[24:27], 0 offset:420 ; 4-byte Folded Spill
	buffer_store_dword v99, off, s[24:27], 0 offset:424 ; 4-byte Folded Spill
	buffer_store_dword v100, off, s[24:27], 0 offset:428 ; 4-byte Folded Spill
	v_add_f64 v[123:124], v[123:124], -v[91:92]
	v_add_f64 v[121:122], v[121:122], -v[89:90]
.LBB110_125:
	s_or_b64 exec, exec, s[0:1]
	s_waitcnt vmcnt(0)
	s_barrier
	buffer_load_dword v73, off, s[24:27], 0 offset:400 ; 4-byte Folded Reload
	buffer_load_dword v74, off, s[24:27], 0 offset:404 ; 4-byte Folded Reload
	;; [unrolled: 1-line block ×4, first 2 shown]
	v_lshl_add_u32 v89, v93, 4, v0
	s_cmp_lt_i32 s3, 8
	s_waitcnt vmcnt(0)
	ds_write2_b64 v89, v[73:74], v[75:76] offset1:1
	s_waitcnt lgkmcnt(0)
	s_barrier
	ds_read2_b64 v[117:120], v0 offset0:12 offset1:13
	v_mov_b32_e32 v89, 6
	s_cbranch_scc1 .LBB110_128
; %bb.126:
	v_add_u32_e32 v90, 0x70, v0
	s_mov_b32 s0, 7
	v_mov_b32_e32 v89, 6
.LBB110_127:                            ; =>This Inner Loop Header: Depth=1
	s_waitcnt lgkmcnt(0)
	v_cmp_gt_f64_e32 vcc, 0, v[117:118]
	v_xor_b32_e32 v91, 0x80000000, v118
	ds_read2_b64 v[95:98], v90 offset1:1
	v_xor_b32_e32 v99, 0x80000000, v120
	v_add_u32_e32 v90, 16, v90
	s_waitcnt lgkmcnt(0)
	v_xor_b32_e32 v101, 0x80000000, v98
	v_cndmask_b32_e32 v92, v118, v91, vcc
	v_cmp_gt_f64_e32 vcc, 0, v[119:120]
	v_mov_b32_e32 v91, v117
	v_cndmask_b32_e32 v100, v120, v99, vcc
	v_cmp_gt_f64_e32 vcc, 0, v[95:96]
	v_mov_b32_e32 v99, v119
	v_add_f64 v[91:92], v[91:92], v[99:100]
	v_xor_b32_e32 v99, 0x80000000, v96
	v_cndmask_b32_e32 v100, v96, v99, vcc
	v_cmp_gt_f64_e32 vcc, 0, v[97:98]
	v_mov_b32_e32 v99, v95
	v_cndmask_b32_e32 v102, v98, v101, vcc
	v_mov_b32_e32 v101, v97
	v_add_f64 v[99:100], v[99:100], v[101:102]
	v_cmp_lt_f64_e32 vcc, v[91:92], v[99:100]
	v_mov_b32_e32 v91, s0
	s_add_i32 s0, s0, 1
	s_cmp_lg_u32 s3, s0
	v_cndmask_b32_e32 v118, v118, v96, vcc
	v_cndmask_b32_e32 v117, v117, v95, vcc
	;; [unrolled: 1-line block ×5, first 2 shown]
	s_cbranch_scc1 .LBB110_127
.LBB110_128:
	s_waitcnt lgkmcnt(0)
	v_cmp_eq_f64_e32 vcc, 0, v[117:118]
	v_cmp_eq_f64_e64 s[0:1], 0, v[119:120]
	s_and_b64 s[0:1], vcc, s[0:1]
	s_and_saveexec_b64 s[18:19], s[0:1]
	s_xor_b64 s[0:1], exec, s[18:19]
; %bb.129:
	v_cmp_ne_u32_e32 vcc, 0, v94
	v_cndmask_b32_e32 v94, 7, v94, vcc
; %bb.130:
	s_andn2_saveexec_b64 s[0:1], s[0:1]
	s_cbranch_execz .LBB110_136
; %bb.131:
	v_cmp_ngt_f64_e64 s[18:19], |v[117:118]|, |v[119:120]|
	s_and_saveexec_b64 s[20:21], s[18:19]
	s_xor_b64 s[18:19], exec, s[20:21]
	s_cbranch_execz .LBB110_133
; %bb.132:
	v_div_scale_f64 v[90:91], s[20:21], v[119:120], v[119:120], v[117:118]
	v_rcp_f64_e32 v[95:96], v[90:91]
	v_fma_f64 v[97:98], -v[90:91], v[95:96], 1.0
	v_fma_f64 v[95:96], v[95:96], v[97:98], v[95:96]
	v_div_scale_f64 v[97:98], vcc, v[117:118], v[119:120], v[117:118]
	v_fma_f64 v[99:100], -v[90:91], v[95:96], 1.0
	v_fma_f64 v[95:96], v[95:96], v[99:100], v[95:96]
	v_mul_f64 v[99:100], v[97:98], v[95:96]
	v_fma_f64 v[90:91], -v[90:91], v[99:100], v[97:98]
	v_div_fmas_f64 v[90:91], v[90:91], v[95:96], v[99:100]
	v_div_fixup_f64 v[90:91], v[90:91], v[119:120], v[117:118]
	v_fma_f64 v[95:96], v[117:118], v[90:91], v[119:120]
	v_div_scale_f64 v[97:98], s[20:21], v[95:96], v[95:96], 1.0
	v_div_scale_f64 v[103:104], vcc, 1.0, v[95:96], 1.0
	v_rcp_f64_e32 v[99:100], v[97:98]
	v_fma_f64 v[101:102], -v[97:98], v[99:100], 1.0
	v_fma_f64 v[99:100], v[99:100], v[101:102], v[99:100]
	v_fma_f64 v[101:102], -v[97:98], v[99:100], 1.0
	v_fma_f64 v[99:100], v[99:100], v[101:102], v[99:100]
	v_mul_f64 v[101:102], v[103:104], v[99:100]
	v_fma_f64 v[97:98], -v[97:98], v[101:102], v[103:104]
	v_div_fmas_f64 v[97:98], v[97:98], v[99:100], v[101:102]
	v_div_fixup_f64 v[119:120], v[97:98], v[95:96], 1.0
	v_mul_f64 v[117:118], v[90:91], v[119:120]
	v_xor_b32_e32 v120, 0x80000000, v120
.LBB110_133:
	s_andn2_saveexec_b64 s[18:19], s[18:19]
	s_cbranch_execz .LBB110_135
; %bb.134:
	v_div_scale_f64 v[90:91], s[20:21], v[117:118], v[117:118], v[119:120]
	v_rcp_f64_e32 v[95:96], v[90:91]
	v_fma_f64 v[97:98], -v[90:91], v[95:96], 1.0
	v_fma_f64 v[95:96], v[95:96], v[97:98], v[95:96]
	v_div_scale_f64 v[97:98], vcc, v[119:120], v[117:118], v[119:120]
	v_fma_f64 v[99:100], -v[90:91], v[95:96], 1.0
	v_fma_f64 v[95:96], v[95:96], v[99:100], v[95:96]
	v_mul_f64 v[99:100], v[97:98], v[95:96]
	v_fma_f64 v[90:91], -v[90:91], v[99:100], v[97:98]
	v_div_fmas_f64 v[90:91], v[90:91], v[95:96], v[99:100]
	v_div_fixup_f64 v[90:91], v[90:91], v[117:118], v[119:120]
	v_fma_f64 v[95:96], v[119:120], v[90:91], v[117:118]
	v_div_scale_f64 v[97:98], s[20:21], v[95:96], v[95:96], 1.0
	v_div_scale_f64 v[103:104], vcc, 1.0, v[95:96], 1.0
	v_rcp_f64_e32 v[99:100], v[97:98]
	v_fma_f64 v[101:102], -v[97:98], v[99:100], 1.0
	v_fma_f64 v[99:100], v[99:100], v[101:102], v[99:100]
	v_fma_f64 v[101:102], -v[97:98], v[99:100], 1.0
	v_fma_f64 v[99:100], v[99:100], v[101:102], v[99:100]
	v_mul_f64 v[101:102], v[103:104], v[99:100]
	v_fma_f64 v[97:98], -v[97:98], v[101:102], v[103:104]
	v_div_fmas_f64 v[97:98], v[97:98], v[99:100], v[101:102]
	v_div_fixup_f64 v[117:118], v[97:98], v[95:96], 1.0
	v_mul_f64 v[119:120], v[90:91], -v[117:118]
.LBB110_135:
	s_or_b64 exec, exec, s[18:19]
.LBB110_136:
	s_or_b64 exec, exec, s[0:1]
	v_cmp_ne_u32_e32 vcc, v93, v89
	s_and_saveexec_b64 s[0:1], vcc
	s_xor_b64 s[0:1], exec, s[0:1]
	s_cbranch_execz .LBB110_142
; %bb.137:
	v_cmp_eq_u32_e32 vcc, 6, v93
	s_and_saveexec_b64 s[18:19], vcc
	s_cbranch_execz .LBB110_141
; %bb.138:
	v_cmp_ne_u32_e32 vcc, 6, v89
	s_xor_b64 s[20:21], s[6:7], -1
	s_and_b64 s[22:23], s[20:21], vcc
	s_and_saveexec_b64 s[20:21], s[22:23]
	s_cbranch_execz .LBB110_140
; %bb.139:
	v_mov_b32_e32 v73, v81
	v_mov_b32_e32 v74, v82
	;; [unrolled: 1-line block ×4, first 2 shown]
	buffer_load_dword v81, off, s[24:27], 0 offset:448 ; 4-byte Folded Reload
	buffer_load_dword v82, off, s[24:27], 0 offset:452 ; 4-byte Folded Reload
	v_ashrrev_i32_e32 v90, 31, v89
	v_lshlrev_b64 v[90:91], 2, v[89:90]
	s_waitcnt vmcnt(1)
	v_add_co_u32_e32 v90, vcc, v81, v90
	s_waitcnt vmcnt(0)
	v_addc_co_u32_e32 v91, vcc, v82, v91, vcc
	global_load_dword v92, v[90:91], off
	global_load_dword v93, v[81:82], off offset:24
	s_waitcnt vmcnt(1)
	global_store_dword v[81:82], v92, off offset:24
	v_mov_b32_e32 v84, v76
	v_mov_b32_e32 v83, v75
	;; [unrolled: 1-line block ×4, first 2 shown]
	s_waitcnt vmcnt(1)
	global_store_dword v[90:91], v93, off
.LBB110_140:
	s_or_b64 exec, exec, s[20:21]
	v_mov_b32_e32 v93, v89
	v_mov_b32_e32 v127, v89
.LBB110_141:
	s_or_b64 exec, exec, s[18:19]
.LBB110_142:
	s_andn2_saveexec_b64 s[0:1], s[0:1]
	s_cbranch_execz .LBB110_144
; %bb.143:
	buffer_load_dword v73, off, s[24:27], 0 offset:384 ; 4-byte Folded Reload
	buffer_load_dword v74, off, s[24:27], 0 offset:388 ; 4-byte Folded Reload
	;; [unrolled: 1-line block ×4, first 2 shown]
	v_mov_b32_e32 v93, 6
	s_waitcnt vmcnt(0)
	ds_write2_b64 v0, v[73:74], v[75:76] offset0:14 offset1:15
	buffer_load_dword v73, off, s[24:27], 0 offset:368 ; 4-byte Folded Reload
	buffer_load_dword v74, off, s[24:27], 0 offset:372 ; 4-byte Folded Reload
	buffer_load_dword v75, off, s[24:27], 0 offset:376 ; 4-byte Folded Reload
	buffer_load_dword v76, off, s[24:27], 0 offset:380 ; 4-byte Folded Reload
	s_waitcnt vmcnt(0)
	ds_write2_b64 v0, v[73:74], v[75:76] offset0:16 offset1:17
	buffer_load_dword v73, off, s[24:27], 0 offset:352 ; 4-byte Folded Reload
	buffer_load_dword v74, off, s[24:27], 0 offset:356 ; 4-byte Folded Reload
	buffer_load_dword v75, off, s[24:27], 0 offset:360 ; 4-byte Folded Reload
	buffer_load_dword v76, off, s[24:27], 0 offset:364 ; 4-byte Folded Reload
	;; [unrolled: 6-line block ×23, first 2 shown]
	s_waitcnt vmcnt(0)
	ds_write2_b64 v0, v[73:74], v[75:76] offset0:60 offset1:61
	ds_write2_b64 v0, v[81:82], v[83:84] offset0:62 offset1:63
	;; [unrolled: 1-line block ×6, first 2 shown]
	buffer_load_dword v73, off, s[24:27], 0 ; 4-byte Folded Reload
	buffer_load_dword v74, off, s[24:27], 0 offset:4 ; 4-byte Folded Reload
	buffer_load_dword v75, off, s[24:27], 0 offset:8 ; 4-byte Folded Reload
	;; [unrolled: 1-line block ×3, first 2 shown]
	s_waitcnt vmcnt(0)
	ds_write2_b64 v0, v[73:74], v[75:76] offset0:72 offset1:73
	ds_write2_b64 v0, v[69:70], v[71:72] offset0:74 offset1:75
	;; [unrolled: 1-line block ×20, first 2 shown]
.LBB110_144:
	s_or_b64 exec, exec, s[0:1]
	v_cmp_lt_i32_e32 vcc, 6, v93
	s_waitcnt vmcnt(0) lgkmcnt(0)
	s_barrier
	s_and_saveexec_b64 s[0:1], vcc
	s_cbranch_execz .LBB110_146
; %bb.145:
	buffer_load_dword v97, off, s[24:27], 0 offset:400 ; 4-byte Folded Reload
	buffer_load_dword v98, off, s[24:27], 0 offset:404 ; 4-byte Folded Reload
	;; [unrolled: 1-line block ×4, first 2 shown]
	s_waitcnt vmcnt(0)
	v_mul_f64 v[89:90], v[119:120], v[99:100]
	v_fma_f64 v[125:126], v[117:118], v[97:98], -v[89:90]
	v_mul_f64 v[89:90], v[117:118], v[99:100]
	v_fma_f64 v[99:100], v[119:120], v[97:98], v[89:90]
	ds_read2_b64 v[89:92], v0 offset0:14 offset1:15
	buffer_load_dword v73, off, s[24:27], 0 offset:384 ; 4-byte Folded Reload
	buffer_load_dword v74, off, s[24:27], 0 offset:388 ; 4-byte Folded Reload
	buffer_load_dword v75, off, s[24:27], 0 offset:392 ; 4-byte Folded Reload
	buffer_load_dword v76, off, s[24:27], 0 offset:396 ; 4-byte Folded Reload
	s_waitcnt lgkmcnt(0)
	v_mul_f64 v[95:96], v[91:92], v[99:100]
	v_fma_f64 v[95:96], v[89:90], v[125:126], -v[95:96]
	v_mul_f64 v[89:90], v[89:90], v[99:100]
	v_fma_f64 v[89:90], v[91:92], v[125:126], v[89:90]
	s_waitcnt vmcnt(2)
	v_add_f64 v[73:74], v[73:74], -v[95:96]
	s_waitcnt vmcnt(0)
	v_add_f64 v[75:76], v[75:76], -v[89:90]
	buffer_store_dword v73, off, s[24:27], 0 offset:384 ; 4-byte Folded Spill
	s_nop 0
	buffer_store_dword v74, off, s[24:27], 0 offset:388 ; 4-byte Folded Spill
	buffer_store_dword v75, off, s[24:27], 0 offset:392 ; 4-byte Folded Spill
	buffer_store_dword v76, off, s[24:27], 0 offset:396 ; 4-byte Folded Spill
	ds_read2_b64 v[89:92], v0 offset0:16 offset1:17
	buffer_load_dword v73, off, s[24:27], 0 offset:368 ; 4-byte Folded Reload
	buffer_load_dword v74, off, s[24:27], 0 offset:372 ; 4-byte Folded Reload
	buffer_load_dword v75, off, s[24:27], 0 offset:376 ; 4-byte Folded Reload
	buffer_load_dword v76, off, s[24:27], 0 offset:380 ; 4-byte Folded Reload
	s_waitcnt lgkmcnt(0)
	v_mul_f64 v[95:96], v[91:92], v[99:100]
	v_fma_f64 v[95:96], v[89:90], v[125:126], -v[95:96]
	v_mul_f64 v[89:90], v[89:90], v[99:100]
	v_fma_f64 v[89:90], v[91:92], v[125:126], v[89:90]
	s_waitcnt vmcnt(2)
	v_add_f64 v[73:74], v[73:74], -v[95:96]
	s_waitcnt vmcnt(0)
	v_add_f64 v[75:76], v[75:76], -v[89:90]
	buffer_store_dword v73, off, s[24:27], 0 offset:368 ; 4-byte Folded Spill
	s_nop 0
	buffer_store_dword v74, off, s[24:27], 0 offset:372 ; 4-byte Folded Spill
	buffer_store_dword v75, off, s[24:27], 0 offset:376 ; 4-byte Folded Spill
	buffer_store_dword v76, off, s[24:27], 0 offset:380 ; 4-byte Folded Spill
	;; [unrolled: 19-line block ×24, first 2 shown]
	ds_read2_b64 v[89:92], v0 offset0:62 offset1:63
	s_waitcnt lgkmcnt(0)
	v_mul_f64 v[95:96], v[91:92], v[99:100]
	v_fma_f64 v[95:96], v[89:90], v[125:126], -v[95:96]
	v_mul_f64 v[89:90], v[89:90], v[99:100]
	v_add_f64 v[81:82], v[81:82], -v[95:96]
	v_fma_f64 v[89:90], v[91:92], v[125:126], v[89:90]
	v_add_f64 v[83:84], v[83:84], -v[89:90]
	ds_read2_b64 v[89:92], v0 offset0:64 offset1:65
	s_waitcnt lgkmcnt(0)
	v_mul_f64 v[95:96], v[91:92], v[99:100]
	v_fma_f64 v[95:96], v[89:90], v[125:126], -v[95:96]
	v_mul_f64 v[89:90], v[89:90], v[99:100]
	v_add_f64 v[85:86], v[85:86], -v[95:96]
	v_fma_f64 v[89:90], v[91:92], v[125:126], v[89:90]
	v_add_f64 v[87:88], v[87:88], -v[89:90]
	;; [unrolled: 8-line block ×5, first 2 shown]
	ds_read2_b64 v[89:92], v0 offset0:72 offset1:73
	buffer_load_dword v73, off, s[24:27], 0 ; 4-byte Folded Reload
	buffer_load_dword v74, off, s[24:27], 0 offset:4 ; 4-byte Folded Reload
	buffer_load_dword v75, off, s[24:27], 0 offset:8 ; 4-byte Folded Reload
	;; [unrolled: 1-line block ×3, first 2 shown]
	s_waitcnt lgkmcnt(0)
	v_mul_f64 v[95:96], v[91:92], v[99:100]
	v_fma_f64 v[95:96], v[89:90], v[125:126], -v[95:96]
	v_mul_f64 v[89:90], v[89:90], v[99:100]
	v_fma_f64 v[89:90], v[91:92], v[125:126], v[89:90]
	s_waitcnt vmcnt(2)
	v_add_f64 v[73:74], v[73:74], -v[95:96]
	s_waitcnt vmcnt(0)
	v_add_f64 v[75:76], v[75:76], -v[89:90]
	buffer_store_dword v73, off, s[24:27], 0 ; 4-byte Folded Spill
	s_nop 0
	buffer_store_dword v74, off, s[24:27], 0 offset:4 ; 4-byte Folded Spill
	buffer_store_dword v75, off, s[24:27], 0 offset:8 ; 4-byte Folded Spill
	;; [unrolled: 1-line block ×3, first 2 shown]
	ds_read2_b64 v[89:92], v0 offset0:74 offset1:75
	s_waitcnt lgkmcnt(0)
	v_mul_f64 v[95:96], v[91:92], v[99:100]
	v_fma_f64 v[95:96], v[89:90], v[125:126], -v[95:96]
	v_mul_f64 v[89:90], v[89:90], v[99:100]
	v_add_f64 v[69:70], v[69:70], -v[95:96]
	v_fma_f64 v[89:90], v[91:92], v[125:126], v[89:90]
	v_add_f64 v[71:72], v[71:72], -v[89:90]
	ds_read2_b64 v[89:92], v0 offset0:76 offset1:77
	s_waitcnt lgkmcnt(0)
	v_mul_f64 v[95:96], v[91:92], v[99:100]
	v_fma_f64 v[95:96], v[89:90], v[125:126], -v[95:96]
	v_mul_f64 v[89:90], v[89:90], v[99:100]
	v_add_f64 v[65:66], v[65:66], -v[95:96]
	v_fma_f64 v[89:90], v[91:92], v[125:126], v[89:90]
	v_add_f64 v[67:68], v[67:68], -v[89:90]
	;; [unrolled: 8-line block ×17, first 2 shown]
	ds_read2_b64 v[89:92], v0 offset0:108 offset1:109
	s_waitcnt lgkmcnt(0)
	v_mul_f64 v[95:96], v[91:92], v[99:100]
	v_fma_f64 v[95:96], v[89:90], v[125:126], -v[95:96]
	v_mul_f64 v[89:90], v[89:90], v[99:100]
	v_add_f64 v[1:2], v[1:2], -v[95:96]
	v_fma_f64 v[89:90], v[91:92], v[125:126], v[89:90]
	ds_read2_b64 v[95:98], v0 offset0:110 offset1:111
	s_waitcnt lgkmcnt(0)
	v_mul_f64 v[91:92], v[95:96], v[99:100]
	v_add_f64 v[3:4], v[3:4], -v[89:90]
	v_mul_f64 v[89:90], v[97:98], v[99:100]
	v_fma_f64 v[91:92], v[97:98], v[125:126], v[91:92]
	v_mov_b32_e32 v97, v125
	v_mov_b32_e32 v98, v126
	v_fma_f64 v[89:90], v[95:96], v[125:126], -v[89:90]
	buffer_store_dword v97, off, s[24:27], 0 offset:400 ; 4-byte Folded Spill
	s_nop 0
	buffer_store_dword v98, off, s[24:27], 0 offset:404 ; 4-byte Folded Spill
	buffer_store_dword v99, off, s[24:27], 0 offset:408 ; 4-byte Folded Spill
	;; [unrolled: 1-line block ×3, first 2 shown]
	v_add_f64 v[123:124], v[123:124], -v[91:92]
	v_add_f64 v[121:122], v[121:122], -v[89:90]
.LBB110_146:
	s_or_b64 exec, exec, s[0:1]
	s_waitcnt vmcnt(0)
	s_barrier
	buffer_load_dword v73, off, s[24:27], 0 offset:384 ; 4-byte Folded Reload
	buffer_load_dword v74, off, s[24:27], 0 offset:388 ; 4-byte Folded Reload
	;; [unrolled: 1-line block ×4, first 2 shown]
	v_lshl_add_u32 v89, v93, 4, v0
	s_cmp_lt_i32 s3, 9
	s_waitcnt vmcnt(0)
	ds_write2_b64 v89, v[73:74], v[75:76] offset1:1
	s_waitcnt lgkmcnt(0)
	s_barrier
	ds_read2_b64 v[117:120], v0 offset0:14 offset1:15
	v_mov_b32_e32 v89, 7
	s_cbranch_scc1 .LBB110_149
; %bb.147:
	v_add_u32_e32 v90, 0x80, v0
	s_mov_b32 s0, 8
	v_mov_b32_e32 v89, 7
.LBB110_148:                            ; =>This Inner Loop Header: Depth=1
	s_waitcnt lgkmcnt(0)
	v_cmp_gt_f64_e32 vcc, 0, v[117:118]
	v_xor_b32_e32 v91, 0x80000000, v118
	ds_read2_b64 v[95:98], v90 offset1:1
	v_xor_b32_e32 v99, 0x80000000, v120
	v_add_u32_e32 v90, 16, v90
	s_waitcnt lgkmcnt(0)
	v_xor_b32_e32 v101, 0x80000000, v98
	v_cndmask_b32_e32 v92, v118, v91, vcc
	v_cmp_gt_f64_e32 vcc, 0, v[119:120]
	v_mov_b32_e32 v91, v117
	v_cndmask_b32_e32 v100, v120, v99, vcc
	v_cmp_gt_f64_e32 vcc, 0, v[95:96]
	v_mov_b32_e32 v99, v119
	v_add_f64 v[91:92], v[91:92], v[99:100]
	v_xor_b32_e32 v99, 0x80000000, v96
	v_cndmask_b32_e32 v100, v96, v99, vcc
	v_cmp_gt_f64_e32 vcc, 0, v[97:98]
	v_mov_b32_e32 v99, v95
	v_cndmask_b32_e32 v102, v98, v101, vcc
	v_mov_b32_e32 v101, v97
	v_add_f64 v[99:100], v[99:100], v[101:102]
	v_cmp_lt_f64_e32 vcc, v[91:92], v[99:100]
	v_mov_b32_e32 v91, s0
	s_add_i32 s0, s0, 1
	s_cmp_lg_u32 s3, s0
	v_cndmask_b32_e32 v118, v118, v96, vcc
	v_cndmask_b32_e32 v117, v117, v95, vcc
	;; [unrolled: 1-line block ×5, first 2 shown]
	s_cbranch_scc1 .LBB110_148
.LBB110_149:
	s_waitcnt lgkmcnt(0)
	v_cmp_eq_f64_e32 vcc, 0, v[117:118]
	v_cmp_eq_f64_e64 s[0:1], 0, v[119:120]
	s_and_b64 s[0:1], vcc, s[0:1]
	s_and_saveexec_b64 s[18:19], s[0:1]
	s_xor_b64 s[0:1], exec, s[18:19]
; %bb.150:
	v_cmp_ne_u32_e32 vcc, 0, v94
	v_cndmask_b32_e32 v94, 8, v94, vcc
; %bb.151:
	s_andn2_saveexec_b64 s[0:1], s[0:1]
	s_cbranch_execz .LBB110_157
; %bb.152:
	v_cmp_ngt_f64_e64 s[18:19], |v[117:118]|, |v[119:120]|
	s_and_saveexec_b64 s[20:21], s[18:19]
	s_xor_b64 s[18:19], exec, s[20:21]
	s_cbranch_execz .LBB110_154
; %bb.153:
	v_div_scale_f64 v[90:91], s[20:21], v[119:120], v[119:120], v[117:118]
	v_rcp_f64_e32 v[95:96], v[90:91]
	v_fma_f64 v[97:98], -v[90:91], v[95:96], 1.0
	v_fma_f64 v[95:96], v[95:96], v[97:98], v[95:96]
	v_div_scale_f64 v[97:98], vcc, v[117:118], v[119:120], v[117:118]
	v_fma_f64 v[99:100], -v[90:91], v[95:96], 1.0
	v_fma_f64 v[95:96], v[95:96], v[99:100], v[95:96]
	v_mul_f64 v[99:100], v[97:98], v[95:96]
	v_fma_f64 v[90:91], -v[90:91], v[99:100], v[97:98]
	v_div_fmas_f64 v[90:91], v[90:91], v[95:96], v[99:100]
	v_div_fixup_f64 v[90:91], v[90:91], v[119:120], v[117:118]
	v_fma_f64 v[95:96], v[117:118], v[90:91], v[119:120]
	v_div_scale_f64 v[97:98], s[20:21], v[95:96], v[95:96], 1.0
	v_div_scale_f64 v[103:104], vcc, 1.0, v[95:96], 1.0
	v_rcp_f64_e32 v[99:100], v[97:98]
	v_fma_f64 v[101:102], -v[97:98], v[99:100], 1.0
	v_fma_f64 v[99:100], v[99:100], v[101:102], v[99:100]
	v_fma_f64 v[101:102], -v[97:98], v[99:100], 1.0
	v_fma_f64 v[99:100], v[99:100], v[101:102], v[99:100]
	v_mul_f64 v[101:102], v[103:104], v[99:100]
	v_fma_f64 v[97:98], -v[97:98], v[101:102], v[103:104]
	v_div_fmas_f64 v[97:98], v[97:98], v[99:100], v[101:102]
	v_div_fixup_f64 v[119:120], v[97:98], v[95:96], 1.0
	v_mul_f64 v[117:118], v[90:91], v[119:120]
	v_xor_b32_e32 v120, 0x80000000, v120
.LBB110_154:
	s_andn2_saveexec_b64 s[18:19], s[18:19]
	s_cbranch_execz .LBB110_156
; %bb.155:
	v_div_scale_f64 v[90:91], s[20:21], v[117:118], v[117:118], v[119:120]
	v_rcp_f64_e32 v[95:96], v[90:91]
	v_fma_f64 v[97:98], -v[90:91], v[95:96], 1.0
	v_fma_f64 v[95:96], v[95:96], v[97:98], v[95:96]
	v_div_scale_f64 v[97:98], vcc, v[119:120], v[117:118], v[119:120]
	v_fma_f64 v[99:100], -v[90:91], v[95:96], 1.0
	v_fma_f64 v[95:96], v[95:96], v[99:100], v[95:96]
	v_mul_f64 v[99:100], v[97:98], v[95:96]
	v_fma_f64 v[90:91], -v[90:91], v[99:100], v[97:98]
	v_div_fmas_f64 v[90:91], v[90:91], v[95:96], v[99:100]
	v_div_fixup_f64 v[90:91], v[90:91], v[117:118], v[119:120]
	v_fma_f64 v[95:96], v[119:120], v[90:91], v[117:118]
	v_div_scale_f64 v[97:98], s[20:21], v[95:96], v[95:96], 1.0
	v_div_scale_f64 v[103:104], vcc, 1.0, v[95:96], 1.0
	v_rcp_f64_e32 v[99:100], v[97:98]
	v_fma_f64 v[101:102], -v[97:98], v[99:100], 1.0
	v_fma_f64 v[99:100], v[99:100], v[101:102], v[99:100]
	v_fma_f64 v[101:102], -v[97:98], v[99:100], 1.0
	v_fma_f64 v[99:100], v[99:100], v[101:102], v[99:100]
	v_mul_f64 v[101:102], v[103:104], v[99:100]
	v_fma_f64 v[97:98], -v[97:98], v[101:102], v[103:104]
	v_div_fmas_f64 v[97:98], v[97:98], v[99:100], v[101:102]
	v_div_fixup_f64 v[117:118], v[97:98], v[95:96], 1.0
	v_mul_f64 v[119:120], v[90:91], -v[117:118]
.LBB110_156:
	s_or_b64 exec, exec, s[18:19]
.LBB110_157:
	s_or_b64 exec, exec, s[0:1]
	v_cmp_ne_u32_e32 vcc, v93, v89
	s_and_saveexec_b64 s[0:1], vcc
	s_xor_b64 s[0:1], exec, s[0:1]
	s_cbranch_execz .LBB110_163
; %bb.158:
	v_cmp_eq_u32_e32 vcc, 7, v93
	s_and_saveexec_b64 s[18:19], vcc
	s_cbranch_execz .LBB110_162
; %bb.159:
	v_cmp_ne_u32_e32 vcc, 7, v89
	s_xor_b64 s[20:21], s[6:7], -1
	s_and_b64 s[22:23], s[20:21], vcc
	s_and_saveexec_b64 s[20:21], s[22:23]
	s_cbranch_execz .LBB110_161
; %bb.160:
	v_mov_b32_e32 v73, v81
	v_mov_b32_e32 v74, v82
	;; [unrolled: 1-line block ×4, first 2 shown]
	buffer_load_dword v81, off, s[24:27], 0 offset:448 ; 4-byte Folded Reload
	buffer_load_dword v82, off, s[24:27], 0 offset:452 ; 4-byte Folded Reload
	v_ashrrev_i32_e32 v90, 31, v89
	v_lshlrev_b64 v[90:91], 2, v[89:90]
	s_waitcnt vmcnt(1)
	v_add_co_u32_e32 v90, vcc, v81, v90
	s_waitcnt vmcnt(0)
	v_addc_co_u32_e32 v91, vcc, v82, v91, vcc
	global_load_dword v92, v[90:91], off
	global_load_dword v93, v[81:82], off offset:28
	s_waitcnt vmcnt(1)
	global_store_dword v[81:82], v92, off offset:28
	v_mov_b32_e32 v84, v76
	v_mov_b32_e32 v83, v75
	;; [unrolled: 1-line block ×4, first 2 shown]
	s_waitcnt vmcnt(1)
	global_store_dword v[90:91], v93, off
.LBB110_161:
	s_or_b64 exec, exec, s[20:21]
	v_mov_b32_e32 v93, v89
	v_mov_b32_e32 v127, v89
.LBB110_162:
	s_or_b64 exec, exec, s[18:19]
.LBB110_163:
	s_andn2_saveexec_b64 s[0:1], s[0:1]
	s_cbranch_execz .LBB110_165
; %bb.164:
	buffer_load_dword v73, off, s[24:27], 0 offset:368 ; 4-byte Folded Reload
	buffer_load_dword v74, off, s[24:27], 0 offset:372 ; 4-byte Folded Reload
	;; [unrolled: 1-line block ×4, first 2 shown]
	v_mov_b32_e32 v93, 7
	s_waitcnt vmcnt(0)
	ds_write2_b64 v0, v[73:74], v[75:76] offset0:16 offset1:17
	buffer_load_dword v73, off, s[24:27], 0 offset:352 ; 4-byte Folded Reload
	buffer_load_dword v74, off, s[24:27], 0 offset:356 ; 4-byte Folded Reload
	buffer_load_dword v75, off, s[24:27], 0 offset:360 ; 4-byte Folded Reload
	buffer_load_dword v76, off, s[24:27], 0 offset:364 ; 4-byte Folded Reload
	s_waitcnt vmcnt(0)
	ds_write2_b64 v0, v[73:74], v[75:76] offset0:18 offset1:19
	buffer_load_dword v73, off, s[24:27], 0 offset:336 ; 4-byte Folded Reload
	buffer_load_dword v74, off, s[24:27], 0 offset:340 ; 4-byte Folded Reload
	buffer_load_dword v75, off, s[24:27], 0 offset:344 ; 4-byte Folded Reload
	buffer_load_dword v76, off, s[24:27], 0 offset:348 ; 4-byte Folded Reload
	;; [unrolled: 6-line block ×22, first 2 shown]
	s_waitcnt vmcnt(0)
	ds_write2_b64 v0, v[73:74], v[75:76] offset0:60 offset1:61
	ds_write2_b64 v0, v[81:82], v[83:84] offset0:62 offset1:63
	;; [unrolled: 1-line block ×6, first 2 shown]
	buffer_load_dword v73, off, s[24:27], 0 ; 4-byte Folded Reload
	buffer_load_dword v74, off, s[24:27], 0 offset:4 ; 4-byte Folded Reload
	buffer_load_dword v75, off, s[24:27], 0 offset:8 ; 4-byte Folded Reload
	;; [unrolled: 1-line block ×3, first 2 shown]
	s_waitcnt vmcnt(0)
	ds_write2_b64 v0, v[73:74], v[75:76] offset0:72 offset1:73
	ds_write2_b64 v0, v[69:70], v[71:72] offset0:74 offset1:75
	;; [unrolled: 1-line block ×20, first 2 shown]
.LBB110_165:
	s_or_b64 exec, exec, s[0:1]
	v_cmp_lt_i32_e32 vcc, 7, v93
	s_waitcnt vmcnt(0) lgkmcnt(0)
	s_barrier
	s_and_saveexec_b64 s[0:1], vcc
	s_cbranch_execz .LBB110_167
; %bb.166:
	buffer_load_dword v97, off, s[24:27], 0 offset:384 ; 4-byte Folded Reload
	buffer_load_dword v98, off, s[24:27], 0 offset:388 ; 4-byte Folded Reload
	;; [unrolled: 1-line block ×4, first 2 shown]
	s_waitcnt vmcnt(0)
	v_mul_f64 v[89:90], v[119:120], v[99:100]
	v_fma_f64 v[125:126], v[117:118], v[97:98], -v[89:90]
	v_mul_f64 v[89:90], v[117:118], v[99:100]
	v_fma_f64 v[99:100], v[119:120], v[97:98], v[89:90]
	ds_read2_b64 v[89:92], v0 offset0:16 offset1:17
	buffer_load_dword v73, off, s[24:27], 0 offset:368 ; 4-byte Folded Reload
	buffer_load_dword v74, off, s[24:27], 0 offset:372 ; 4-byte Folded Reload
	buffer_load_dword v75, off, s[24:27], 0 offset:376 ; 4-byte Folded Reload
	buffer_load_dword v76, off, s[24:27], 0 offset:380 ; 4-byte Folded Reload
	s_waitcnt lgkmcnt(0)
	v_mul_f64 v[95:96], v[91:92], v[99:100]
	v_fma_f64 v[95:96], v[89:90], v[125:126], -v[95:96]
	v_mul_f64 v[89:90], v[89:90], v[99:100]
	v_fma_f64 v[89:90], v[91:92], v[125:126], v[89:90]
	s_waitcnt vmcnt(2)
	v_add_f64 v[73:74], v[73:74], -v[95:96]
	s_waitcnt vmcnt(0)
	v_add_f64 v[75:76], v[75:76], -v[89:90]
	buffer_store_dword v73, off, s[24:27], 0 offset:368 ; 4-byte Folded Spill
	s_nop 0
	buffer_store_dword v74, off, s[24:27], 0 offset:372 ; 4-byte Folded Spill
	buffer_store_dword v75, off, s[24:27], 0 offset:376 ; 4-byte Folded Spill
	buffer_store_dword v76, off, s[24:27], 0 offset:380 ; 4-byte Folded Spill
	ds_read2_b64 v[89:92], v0 offset0:18 offset1:19
	buffer_load_dword v73, off, s[24:27], 0 offset:352 ; 4-byte Folded Reload
	buffer_load_dword v74, off, s[24:27], 0 offset:356 ; 4-byte Folded Reload
	buffer_load_dword v75, off, s[24:27], 0 offset:360 ; 4-byte Folded Reload
	buffer_load_dword v76, off, s[24:27], 0 offset:364 ; 4-byte Folded Reload
	s_waitcnt lgkmcnt(0)
	v_mul_f64 v[95:96], v[91:92], v[99:100]
	v_fma_f64 v[95:96], v[89:90], v[125:126], -v[95:96]
	v_mul_f64 v[89:90], v[89:90], v[99:100]
	v_fma_f64 v[89:90], v[91:92], v[125:126], v[89:90]
	s_waitcnt vmcnt(2)
	v_add_f64 v[73:74], v[73:74], -v[95:96]
	s_waitcnt vmcnt(0)
	v_add_f64 v[75:76], v[75:76], -v[89:90]
	buffer_store_dword v73, off, s[24:27], 0 offset:352 ; 4-byte Folded Spill
	s_nop 0
	buffer_store_dword v74, off, s[24:27], 0 offset:356 ; 4-byte Folded Spill
	buffer_store_dword v75, off, s[24:27], 0 offset:360 ; 4-byte Folded Spill
	buffer_store_dword v76, off, s[24:27], 0 offset:364 ; 4-byte Folded Spill
	;; [unrolled: 19-line block ×23, first 2 shown]
	ds_read2_b64 v[89:92], v0 offset0:62 offset1:63
	s_waitcnt lgkmcnt(0)
	v_mul_f64 v[95:96], v[91:92], v[99:100]
	v_fma_f64 v[95:96], v[89:90], v[125:126], -v[95:96]
	v_mul_f64 v[89:90], v[89:90], v[99:100]
	v_add_f64 v[81:82], v[81:82], -v[95:96]
	v_fma_f64 v[89:90], v[91:92], v[125:126], v[89:90]
	v_add_f64 v[83:84], v[83:84], -v[89:90]
	ds_read2_b64 v[89:92], v0 offset0:64 offset1:65
	s_waitcnt lgkmcnt(0)
	v_mul_f64 v[95:96], v[91:92], v[99:100]
	v_fma_f64 v[95:96], v[89:90], v[125:126], -v[95:96]
	v_mul_f64 v[89:90], v[89:90], v[99:100]
	v_add_f64 v[85:86], v[85:86], -v[95:96]
	v_fma_f64 v[89:90], v[91:92], v[125:126], v[89:90]
	v_add_f64 v[87:88], v[87:88], -v[89:90]
	ds_read2_b64 v[89:92], v0 offset0:66 offset1:67
	s_waitcnt lgkmcnt(0)
	v_mul_f64 v[95:96], v[91:92], v[99:100]
	v_fma_f64 v[95:96], v[89:90], v[125:126], -v[95:96]
	v_mul_f64 v[89:90], v[89:90], v[99:100]
	v_add_f64 v[109:110], v[109:110], -v[95:96]
	v_fma_f64 v[89:90], v[91:92], v[125:126], v[89:90]
	v_add_f64 v[111:112], v[111:112], -v[89:90]
	ds_read2_b64 v[89:92], v0 offset0:68 offset1:69
	s_waitcnt lgkmcnt(0)
	v_mul_f64 v[95:96], v[91:92], v[99:100]
	v_fma_f64 v[95:96], v[89:90], v[125:126], -v[95:96]
	v_mul_f64 v[89:90], v[89:90], v[99:100]
	v_add_f64 v[113:114], v[113:114], -v[95:96]
	v_fma_f64 v[89:90], v[91:92], v[125:126], v[89:90]
	v_add_f64 v[115:116], v[115:116], -v[89:90]
	ds_read2_b64 v[89:92], v0 offset0:70 offset1:71
	s_waitcnt lgkmcnt(0)
	v_mul_f64 v[95:96], v[91:92], v[99:100]
	v_fma_f64 v[95:96], v[89:90], v[125:126], -v[95:96]
	v_mul_f64 v[89:90], v[89:90], v[99:100]
	v_add_f64 v[77:78], v[77:78], -v[95:96]
	v_fma_f64 v[89:90], v[91:92], v[125:126], v[89:90]
	v_add_f64 v[79:80], v[79:80], -v[89:90]
	ds_read2_b64 v[89:92], v0 offset0:72 offset1:73
	buffer_load_dword v73, off, s[24:27], 0 ; 4-byte Folded Reload
	buffer_load_dword v74, off, s[24:27], 0 offset:4 ; 4-byte Folded Reload
	buffer_load_dword v75, off, s[24:27], 0 offset:8 ; 4-byte Folded Reload
	;; [unrolled: 1-line block ×3, first 2 shown]
	s_waitcnt lgkmcnt(0)
	v_mul_f64 v[95:96], v[91:92], v[99:100]
	v_fma_f64 v[95:96], v[89:90], v[125:126], -v[95:96]
	v_mul_f64 v[89:90], v[89:90], v[99:100]
	v_fma_f64 v[89:90], v[91:92], v[125:126], v[89:90]
	s_waitcnt vmcnt(2)
	v_add_f64 v[73:74], v[73:74], -v[95:96]
	s_waitcnt vmcnt(0)
	v_add_f64 v[75:76], v[75:76], -v[89:90]
	buffer_store_dword v73, off, s[24:27], 0 ; 4-byte Folded Spill
	s_nop 0
	buffer_store_dword v74, off, s[24:27], 0 offset:4 ; 4-byte Folded Spill
	buffer_store_dword v75, off, s[24:27], 0 offset:8 ; 4-byte Folded Spill
	;; [unrolled: 1-line block ×3, first 2 shown]
	ds_read2_b64 v[89:92], v0 offset0:74 offset1:75
	s_waitcnt lgkmcnt(0)
	v_mul_f64 v[95:96], v[91:92], v[99:100]
	v_fma_f64 v[95:96], v[89:90], v[125:126], -v[95:96]
	v_mul_f64 v[89:90], v[89:90], v[99:100]
	v_add_f64 v[69:70], v[69:70], -v[95:96]
	v_fma_f64 v[89:90], v[91:92], v[125:126], v[89:90]
	v_add_f64 v[71:72], v[71:72], -v[89:90]
	ds_read2_b64 v[89:92], v0 offset0:76 offset1:77
	s_waitcnt lgkmcnt(0)
	v_mul_f64 v[95:96], v[91:92], v[99:100]
	v_fma_f64 v[95:96], v[89:90], v[125:126], -v[95:96]
	v_mul_f64 v[89:90], v[89:90], v[99:100]
	v_add_f64 v[65:66], v[65:66], -v[95:96]
	v_fma_f64 v[89:90], v[91:92], v[125:126], v[89:90]
	v_add_f64 v[67:68], v[67:68], -v[89:90]
	;; [unrolled: 8-line block ×17, first 2 shown]
	ds_read2_b64 v[89:92], v0 offset0:108 offset1:109
	s_waitcnt lgkmcnt(0)
	v_mul_f64 v[95:96], v[91:92], v[99:100]
	v_fma_f64 v[95:96], v[89:90], v[125:126], -v[95:96]
	v_mul_f64 v[89:90], v[89:90], v[99:100]
	v_add_f64 v[1:2], v[1:2], -v[95:96]
	v_fma_f64 v[89:90], v[91:92], v[125:126], v[89:90]
	ds_read2_b64 v[95:98], v0 offset0:110 offset1:111
	s_waitcnt lgkmcnt(0)
	v_mul_f64 v[91:92], v[95:96], v[99:100]
	v_add_f64 v[3:4], v[3:4], -v[89:90]
	v_mul_f64 v[89:90], v[97:98], v[99:100]
	v_fma_f64 v[91:92], v[97:98], v[125:126], v[91:92]
	v_mov_b32_e32 v97, v125
	v_mov_b32_e32 v98, v126
	v_fma_f64 v[89:90], v[95:96], v[125:126], -v[89:90]
	buffer_store_dword v97, off, s[24:27], 0 offset:384 ; 4-byte Folded Spill
	s_nop 0
	buffer_store_dword v98, off, s[24:27], 0 offset:388 ; 4-byte Folded Spill
	buffer_store_dword v99, off, s[24:27], 0 offset:392 ; 4-byte Folded Spill
	;; [unrolled: 1-line block ×3, first 2 shown]
	v_add_f64 v[123:124], v[123:124], -v[91:92]
	v_add_f64 v[121:122], v[121:122], -v[89:90]
.LBB110_167:
	s_or_b64 exec, exec, s[0:1]
	s_waitcnt vmcnt(0)
	s_barrier
	buffer_load_dword v73, off, s[24:27], 0 offset:368 ; 4-byte Folded Reload
	buffer_load_dword v74, off, s[24:27], 0 offset:372 ; 4-byte Folded Reload
	;; [unrolled: 1-line block ×4, first 2 shown]
	v_lshl_add_u32 v89, v93, 4, v0
	s_cmp_lt_i32 s3, 10
	s_waitcnt vmcnt(0)
	ds_write2_b64 v89, v[73:74], v[75:76] offset1:1
	s_waitcnt lgkmcnt(0)
	s_barrier
	ds_read2_b64 v[117:120], v0 offset0:16 offset1:17
	v_mov_b32_e32 v89, 8
	s_cbranch_scc1 .LBB110_170
; %bb.168:
	v_add_u32_e32 v90, 0x90, v0
	s_mov_b32 s0, 9
	v_mov_b32_e32 v89, 8
.LBB110_169:                            ; =>This Inner Loop Header: Depth=1
	s_waitcnt lgkmcnt(0)
	v_cmp_gt_f64_e32 vcc, 0, v[117:118]
	v_xor_b32_e32 v91, 0x80000000, v118
	ds_read2_b64 v[95:98], v90 offset1:1
	v_xor_b32_e32 v99, 0x80000000, v120
	v_add_u32_e32 v90, 16, v90
	s_waitcnt lgkmcnt(0)
	v_xor_b32_e32 v101, 0x80000000, v98
	v_cndmask_b32_e32 v92, v118, v91, vcc
	v_cmp_gt_f64_e32 vcc, 0, v[119:120]
	v_mov_b32_e32 v91, v117
	v_cndmask_b32_e32 v100, v120, v99, vcc
	v_cmp_gt_f64_e32 vcc, 0, v[95:96]
	v_mov_b32_e32 v99, v119
	v_add_f64 v[91:92], v[91:92], v[99:100]
	v_xor_b32_e32 v99, 0x80000000, v96
	v_cndmask_b32_e32 v100, v96, v99, vcc
	v_cmp_gt_f64_e32 vcc, 0, v[97:98]
	v_mov_b32_e32 v99, v95
	v_cndmask_b32_e32 v102, v98, v101, vcc
	v_mov_b32_e32 v101, v97
	v_add_f64 v[99:100], v[99:100], v[101:102]
	v_cmp_lt_f64_e32 vcc, v[91:92], v[99:100]
	v_mov_b32_e32 v91, s0
	s_add_i32 s0, s0, 1
	s_cmp_lg_u32 s3, s0
	v_cndmask_b32_e32 v118, v118, v96, vcc
	v_cndmask_b32_e32 v117, v117, v95, vcc
	;; [unrolled: 1-line block ×5, first 2 shown]
	s_cbranch_scc1 .LBB110_169
.LBB110_170:
	s_waitcnt lgkmcnt(0)
	v_cmp_eq_f64_e32 vcc, 0, v[117:118]
	v_cmp_eq_f64_e64 s[0:1], 0, v[119:120]
	s_and_b64 s[0:1], vcc, s[0:1]
	s_and_saveexec_b64 s[18:19], s[0:1]
	s_xor_b64 s[0:1], exec, s[18:19]
; %bb.171:
	v_cmp_ne_u32_e32 vcc, 0, v94
	v_cndmask_b32_e32 v94, 9, v94, vcc
; %bb.172:
	s_andn2_saveexec_b64 s[0:1], s[0:1]
	s_cbranch_execz .LBB110_178
; %bb.173:
	v_cmp_ngt_f64_e64 s[18:19], |v[117:118]|, |v[119:120]|
	s_and_saveexec_b64 s[20:21], s[18:19]
	s_xor_b64 s[18:19], exec, s[20:21]
	s_cbranch_execz .LBB110_175
; %bb.174:
	v_div_scale_f64 v[90:91], s[20:21], v[119:120], v[119:120], v[117:118]
	v_rcp_f64_e32 v[95:96], v[90:91]
	v_fma_f64 v[97:98], -v[90:91], v[95:96], 1.0
	v_fma_f64 v[95:96], v[95:96], v[97:98], v[95:96]
	v_div_scale_f64 v[97:98], vcc, v[117:118], v[119:120], v[117:118]
	v_fma_f64 v[99:100], -v[90:91], v[95:96], 1.0
	v_fma_f64 v[95:96], v[95:96], v[99:100], v[95:96]
	v_mul_f64 v[99:100], v[97:98], v[95:96]
	v_fma_f64 v[90:91], -v[90:91], v[99:100], v[97:98]
	v_div_fmas_f64 v[90:91], v[90:91], v[95:96], v[99:100]
	v_div_fixup_f64 v[90:91], v[90:91], v[119:120], v[117:118]
	v_fma_f64 v[95:96], v[117:118], v[90:91], v[119:120]
	v_div_scale_f64 v[97:98], s[20:21], v[95:96], v[95:96], 1.0
	v_div_scale_f64 v[103:104], vcc, 1.0, v[95:96], 1.0
	v_rcp_f64_e32 v[99:100], v[97:98]
	v_fma_f64 v[101:102], -v[97:98], v[99:100], 1.0
	v_fma_f64 v[99:100], v[99:100], v[101:102], v[99:100]
	v_fma_f64 v[101:102], -v[97:98], v[99:100], 1.0
	v_fma_f64 v[99:100], v[99:100], v[101:102], v[99:100]
	v_mul_f64 v[101:102], v[103:104], v[99:100]
	v_fma_f64 v[97:98], -v[97:98], v[101:102], v[103:104]
	v_div_fmas_f64 v[97:98], v[97:98], v[99:100], v[101:102]
	v_div_fixup_f64 v[119:120], v[97:98], v[95:96], 1.0
	v_mul_f64 v[117:118], v[90:91], v[119:120]
	v_xor_b32_e32 v120, 0x80000000, v120
.LBB110_175:
	s_andn2_saveexec_b64 s[18:19], s[18:19]
	s_cbranch_execz .LBB110_177
; %bb.176:
	v_div_scale_f64 v[90:91], s[20:21], v[117:118], v[117:118], v[119:120]
	v_rcp_f64_e32 v[95:96], v[90:91]
	v_fma_f64 v[97:98], -v[90:91], v[95:96], 1.0
	v_fma_f64 v[95:96], v[95:96], v[97:98], v[95:96]
	v_div_scale_f64 v[97:98], vcc, v[119:120], v[117:118], v[119:120]
	v_fma_f64 v[99:100], -v[90:91], v[95:96], 1.0
	v_fma_f64 v[95:96], v[95:96], v[99:100], v[95:96]
	v_mul_f64 v[99:100], v[97:98], v[95:96]
	v_fma_f64 v[90:91], -v[90:91], v[99:100], v[97:98]
	v_div_fmas_f64 v[90:91], v[90:91], v[95:96], v[99:100]
	v_div_fixup_f64 v[90:91], v[90:91], v[117:118], v[119:120]
	v_fma_f64 v[95:96], v[119:120], v[90:91], v[117:118]
	v_div_scale_f64 v[97:98], s[20:21], v[95:96], v[95:96], 1.0
	v_div_scale_f64 v[103:104], vcc, 1.0, v[95:96], 1.0
	v_rcp_f64_e32 v[99:100], v[97:98]
	v_fma_f64 v[101:102], -v[97:98], v[99:100], 1.0
	v_fma_f64 v[99:100], v[99:100], v[101:102], v[99:100]
	v_fma_f64 v[101:102], -v[97:98], v[99:100], 1.0
	v_fma_f64 v[99:100], v[99:100], v[101:102], v[99:100]
	v_mul_f64 v[101:102], v[103:104], v[99:100]
	v_fma_f64 v[97:98], -v[97:98], v[101:102], v[103:104]
	v_div_fmas_f64 v[97:98], v[97:98], v[99:100], v[101:102]
	v_div_fixup_f64 v[117:118], v[97:98], v[95:96], 1.0
	v_mul_f64 v[119:120], v[90:91], -v[117:118]
.LBB110_177:
	s_or_b64 exec, exec, s[18:19]
.LBB110_178:
	s_or_b64 exec, exec, s[0:1]
	v_cmp_ne_u32_e32 vcc, v93, v89
	s_and_saveexec_b64 s[0:1], vcc
	s_xor_b64 s[0:1], exec, s[0:1]
	s_cbranch_execz .LBB110_184
; %bb.179:
	v_cmp_eq_u32_e32 vcc, 8, v93
	s_and_saveexec_b64 s[18:19], vcc
	s_cbranch_execz .LBB110_183
; %bb.180:
	v_cmp_ne_u32_e32 vcc, 8, v89
	s_xor_b64 s[20:21], s[6:7], -1
	s_and_b64 s[22:23], s[20:21], vcc
	s_and_saveexec_b64 s[20:21], s[22:23]
	s_cbranch_execz .LBB110_182
; %bb.181:
	v_mov_b32_e32 v73, v81
	v_mov_b32_e32 v74, v82
	;; [unrolled: 1-line block ×4, first 2 shown]
	buffer_load_dword v81, off, s[24:27], 0 offset:448 ; 4-byte Folded Reload
	buffer_load_dword v82, off, s[24:27], 0 offset:452 ; 4-byte Folded Reload
	v_ashrrev_i32_e32 v90, 31, v89
	v_lshlrev_b64 v[90:91], 2, v[89:90]
	s_waitcnt vmcnt(1)
	v_add_co_u32_e32 v90, vcc, v81, v90
	s_waitcnt vmcnt(0)
	v_addc_co_u32_e32 v91, vcc, v82, v91, vcc
	global_load_dword v92, v[90:91], off
	global_load_dword v93, v[81:82], off offset:32
	s_waitcnt vmcnt(1)
	global_store_dword v[81:82], v92, off offset:32
	v_mov_b32_e32 v84, v76
	v_mov_b32_e32 v83, v75
	;; [unrolled: 1-line block ×4, first 2 shown]
	s_waitcnt vmcnt(1)
	global_store_dword v[90:91], v93, off
.LBB110_182:
	s_or_b64 exec, exec, s[20:21]
	v_mov_b32_e32 v93, v89
	v_mov_b32_e32 v127, v89
.LBB110_183:
	s_or_b64 exec, exec, s[18:19]
.LBB110_184:
	s_andn2_saveexec_b64 s[0:1], s[0:1]
	s_cbranch_execz .LBB110_186
; %bb.185:
	buffer_load_dword v73, off, s[24:27], 0 offset:352 ; 4-byte Folded Reload
	buffer_load_dword v74, off, s[24:27], 0 offset:356 ; 4-byte Folded Reload
	;; [unrolled: 1-line block ×4, first 2 shown]
	v_mov_b32_e32 v93, 8
	s_waitcnt vmcnt(0)
	ds_write2_b64 v0, v[73:74], v[75:76] offset0:18 offset1:19
	buffer_load_dword v73, off, s[24:27], 0 offset:336 ; 4-byte Folded Reload
	buffer_load_dword v74, off, s[24:27], 0 offset:340 ; 4-byte Folded Reload
	buffer_load_dword v75, off, s[24:27], 0 offset:344 ; 4-byte Folded Reload
	buffer_load_dword v76, off, s[24:27], 0 offset:348 ; 4-byte Folded Reload
	s_waitcnt vmcnt(0)
	ds_write2_b64 v0, v[73:74], v[75:76] offset0:20 offset1:21
	buffer_load_dword v73, off, s[24:27], 0 offset:320 ; 4-byte Folded Reload
	buffer_load_dword v74, off, s[24:27], 0 offset:324 ; 4-byte Folded Reload
	buffer_load_dword v75, off, s[24:27], 0 offset:328 ; 4-byte Folded Reload
	buffer_load_dword v76, off, s[24:27], 0 offset:332 ; 4-byte Folded Reload
	;; [unrolled: 6-line block ×21, first 2 shown]
	s_waitcnt vmcnt(0)
	ds_write2_b64 v0, v[73:74], v[75:76] offset0:60 offset1:61
	ds_write2_b64 v0, v[81:82], v[83:84] offset0:62 offset1:63
	;; [unrolled: 1-line block ×6, first 2 shown]
	buffer_load_dword v73, off, s[24:27], 0 ; 4-byte Folded Reload
	buffer_load_dword v74, off, s[24:27], 0 offset:4 ; 4-byte Folded Reload
	buffer_load_dword v75, off, s[24:27], 0 offset:8 ; 4-byte Folded Reload
	;; [unrolled: 1-line block ×3, first 2 shown]
	s_waitcnt vmcnt(0)
	ds_write2_b64 v0, v[73:74], v[75:76] offset0:72 offset1:73
	ds_write2_b64 v0, v[69:70], v[71:72] offset0:74 offset1:75
	;; [unrolled: 1-line block ×20, first 2 shown]
.LBB110_186:
	s_or_b64 exec, exec, s[0:1]
	v_cmp_lt_i32_e32 vcc, 8, v93
	s_waitcnt vmcnt(0) lgkmcnt(0)
	s_barrier
	s_and_saveexec_b64 s[0:1], vcc
	s_cbranch_execz .LBB110_188
; %bb.187:
	buffer_load_dword v97, off, s[24:27], 0 offset:368 ; 4-byte Folded Reload
	buffer_load_dword v98, off, s[24:27], 0 offset:372 ; 4-byte Folded Reload
	;; [unrolled: 1-line block ×4, first 2 shown]
	s_waitcnt vmcnt(0)
	v_mul_f64 v[89:90], v[119:120], v[99:100]
	v_fma_f64 v[125:126], v[117:118], v[97:98], -v[89:90]
	v_mul_f64 v[89:90], v[117:118], v[99:100]
	v_fma_f64 v[99:100], v[119:120], v[97:98], v[89:90]
	ds_read2_b64 v[89:92], v0 offset0:18 offset1:19
	buffer_load_dword v73, off, s[24:27], 0 offset:352 ; 4-byte Folded Reload
	buffer_load_dword v74, off, s[24:27], 0 offset:356 ; 4-byte Folded Reload
	buffer_load_dword v75, off, s[24:27], 0 offset:360 ; 4-byte Folded Reload
	buffer_load_dword v76, off, s[24:27], 0 offset:364 ; 4-byte Folded Reload
	s_waitcnt lgkmcnt(0)
	v_mul_f64 v[95:96], v[91:92], v[99:100]
	v_fma_f64 v[95:96], v[89:90], v[125:126], -v[95:96]
	v_mul_f64 v[89:90], v[89:90], v[99:100]
	v_fma_f64 v[89:90], v[91:92], v[125:126], v[89:90]
	s_waitcnt vmcnt(2)
	v_add_f64 v[73:74], v[73:74], -v[95:96]
	s_waitcnt vmcnt(0)
	v_add_f64 v[75:76], v[75:76], -v[89:90]
	buffer_store_dword v73, off, s[24:27], 0 offset:352 ; 4-byte Folded Spill
	s_nop 0
	buffer_store_dword v74, off, s[24:27], 0 offset:356 ; 4-byte Folded Spill
	buffer_store_dword v75, off, s[24:27], 0 offset:360 ; 4-byte Folded Spill
	buffer_store_dword v76, off, s[24:27], 0 offset:364 ; 4-byte Folded Spill
	ds_read2_b64 v[89:92], v0 offset0:20 offset1:21
	buffer_load_dword v73, off, s[24:27], 0 offset:336 ; 4-byte Folded Reload
	buffer_load_dword v74, off, s[24:27], 0 offset:340 ; 4-byte Folded Reload
	buffer_load_dword v75, off, s[24:27], 0 offset:344 ; 4-byte Folded Reload
	buffer_load_dword v76, off, s[24:27], 0 offset:348 ; 4-byte Folded Reload
	s_waitcnt lgkmcnt(0)
	v_mul_f64 v[95:96], v[91:92], v[99:100]
	v_fma_f64 v[95:96], v[89:90], v[125:126], -v[95:96]
	v_mul_f64 v[89:90], v[89:90], v[99:100]
	v_fma_f64 v[89:90], v[91:92], v[125:126], v[89:90]
	s_waitcnt vmcnt(2)
	v_add_f64 v[73:74], v[73:74], -v[95:96]
	s_waitcnt vmcnt(0)
	v_add_f64 v[75:76], v[75:76], -v[89:90]
	buffer_store_dword v73, off, s[24:27], 0 offset:336 ; 4-byte Folded Spill
	s_nop 0
	buffer_store_dword v74, off, s[24:27], 0 offset:340 ; 4-byte Folded Spill
	buffer_store_dword v75, off, s[24:27], 0 offset:344 ; 4-byte Folded Spill
	buffer_store_dword v76, off, s[24:27], 0 offset:348 ; 4-byte Folded Spill
	ds_read2_b64 v[89:92], v0 offset0:22 offset1:23
	buffer_load_dword v73, off, s[24:27], 0 offset:320 ; 4-byte Folded Reload
	buffer_load_dword v74, off, s[24:27], 0 offset:324 ; 4-byte Folded Reload
	buffer_load_dword v75, off, s[24:27], 0 offset:328 ; 4-byte Folded Reload
	buffer_load_dword v76, off, s[24:27], 0 offset:332 ; 4-byte Folded Reload
	s_waitcnt lgkmcnt(0)
	v_mul_f64 v[95:96], v[91:92], v[99:100]
	v_fma_f64 v[95:96], v[89:90], v[125:126], -v[95:96]
	v_mul_f64 v[89:90], v[89:90], v[99:100]
	v_fma_f64 v[89:90], v[91:92], v[125:126], v[89:90]
	s_waitcnt vmcnt(2)
	v_add_f64 v[73:74], v[73:74], -v[95:96]
	s_waitcnt vmcnt(0)
	v_add_f64 v[75:76], v[75:76], -v[89:90]
	buffer_store_dword v73, off, s[24:27], 0 offset:320 ; 4-byte Folded Spill
	s_nop 0
	buffer_store_dword v74, off, s[24:27], 0 offset:324 ; 4-byte Folded Spill
	buffer_store_dword v75, off, s[24:27], 0 offset:328 ; 4-byte Folded Spill
	buffer_store_dword v76, off, s[24:27], 0 offset:332 ; 4-byte Folded Spill
	ds_read2_b64 v[89:92], v0 offset0:24 offset1:25
	buffer_load_dword v73, off, s[24:27], 0 offset:304 ; 4-byte Folded Reload
	buffer_load_dword v74, off, s[24:27], 0 offset:308 ; 4-byte Folded Reload
	buffer_load_dword v75, off, s[24:27], 0 offset:312 ; 4-byte Folded Reload
	buffer_load_dword v76, off, s[24:27], 0 offset:316 ; 4-byte Folded Reload
	s_waitcnt lgkmcnt(0)
	v_mul_f64 v[95:96], v[91:92], v[99:100]
	v_fma_f64 v[95:96], v[89:90], v[125:126], -v[95:96]
	v_mul_f64 v[89:90], v[89:90], v[99:100]
	v_fma_f64 v[89:90], v[91:92], v[125:126], v[89:90]
	s_waitcnt vmcnt(2)
	v_add_f64 v[73:74], v[73:74], -v[95:96]
	s_waitcnt vmcnt(0)
	v_add_f64 v[75:76], v[75:76], -v[89:90]
	buffer_store_dword v73, off, s[24:27], 0 offset:304 ; 4-byte Folded Spill
	s_nop 0
	buffer_store_dword v74, off, s[24:27], 0 offset:308 ; 4-byte Folded Spill
	buffer_store_dword v75, off, s[24:27], 0 offset:312 ; 4-byte Folded Spill
	buffer_store_dword v76, off, s[24:27], 0 offset:316 ; 4-byte Folded Spill
	ds_read2_b64 v[89:92], v0 offset0:26 offset1:27
	buffer_load_dword v73, off, s[24:27], 0 offset:288 ; 4-byte Folded Reload
	buffer_load_dword v74, off, s[24:27], 0 offset:292 ; 4-byte Folded Reload
	buffer_load_dword v75, off, s[24:27], 0 offset:296 ; 4-byte Folded Reload
	buffer_load_dword v76, off, s[24:27], 0 offset:300 ; 4-byte Folded Reload
	s_waitcnt lgkmcnt(0)
	v_mul_f64 v[95:96], v[91:92], v[99:100]
	v_fma_f64 v[95:96], v[89:90], v[125:126], -v[95:96]
	v_mul_f64 v[89:90], v[89:90], v[99:100]
	v_fma_f64 v[89:90], v[91:92], v[125:126], v[89:90]
	s_waitcnt vmcnt(2)
	v_add_f64 v[73:74], v[73:74], -v[95:96]
	s_waitcnt vmcnt(0)
	v_add_f64 v[75:76], v[75:76], -v[89:90]
	buffer_store_dword v73, off, s[24:27], 0 offset:288 ; 4-byte Folded Spill
	s_nop 0
	buffer_store_dword v74, off, s[24:27], 0 offset:292 ; 4-byte Folded Spill
	buffer_store_dword v75, off, s[24:27], 0 offset:296 ; 4-byte Folded Spill
	buffer_store_dword v76, off, s[24:27], 0 offset:300 ; 4-byte Folded Spill
	ds_read2_b64 v[89:92], v0 offset0:28 offset1:29
	buffer_load_dword v73, off, s[24:27], 0 offset:272 ; 4-byte Folded Reload
	buffer_load_dword v74, off, s[24:27], 0 offset:276 ; 4-byte Folded Reload
	buffer_load_dword v75, off, s[24:27], 0 offset:280 ; 4-byte Folded Reload
	buffer_load_dword v76, off, s[24:27], 0 offset:284 ; 4-byte Folded Reload
	s_waitcnt lgkmcnt(0)
	v_mul_f64 v[95:96], v[91:92], v[99:100]
	v_fma_f64 v[95:96], v[89:90], v[125:126], -v[95:96]
	v_mul_f64 v[89:90], v[89:90], v[99:100]
	v_fma_f64 v[89:90], v[91:92], v[125:126], v[89:90]
	s_waitcnt vmcnt(2)
	v_add_f64 v[73:74], v[73:74], -v[95:96]
	s_waitcnt vmcnt(0)
	v_add_f64 v[75:76], v[75:76], -v[89:90]
	buffer_store_dword v73, off, s[24:27], 0 offset:272 ; 4-byte Folded Spill
	s_nop 0
	buffer_store_dword v74, off, s[24:27], 0 offset:276 ; 4-byte Folded Spill
	buffer_store_dword v75, off, s[24:27], 0 offset:280 ; 4-byte Folded Spill
	buffer_store_dword v76, off, s[24:27], 0 offset:284 ; 4-byte Folded Spill
	ds_read2_b64 v[89:92], v0 offset0:30 offset1:31
	buffer_load_dword v73, off, s[24:27], 0 offset:256 ; 4-byte Folded Reload
	buffer_load_dword v74, off, s[24:27], 0 offset:260 ; 4-byte Folded Reload
	buffer_load_dword v75, off, s[24:27], 0 offset:264 ; 4-byte Folded Reload
	buffer_load_dword v76, off, s[24:27], 0 offset:268 ; 4-byte Folded Reload
	s_waitcnt lgkmcnt(0)
	v_mul_f64 v[95:96], v[91:92], v[99:100]
	v_fma_f64 v[95:96], v[89:90], v[125:126], -v[95:96]
	v_mul_f64 v[89:90], v[89:90], v[99:100]
	v_fma_f64 v[89:90], v[91:92], v[125:126], v[89:90]
	s_waitcnt vmcnt(2)
	v_add_f64 v[73:74], v[73:74], -v[95:96]
	s_waitcnt vmcnt(0)
	v_add_f64 v[75:76], v[75:76], -v[89:90]
	buffer_store_dword v73, off, s[24:27], 0 offset:256 ; 4-byte Folded Spill
	s_nop 0
	buffer_store_dword v74, off, s[24:27], 0 offset:260 ; 4-byte Folded Spill
	buffer_store_dword v75, off, s[24:27], 0 offset:264 ; 4-byte Folded Spill
	buffer_store_dword v76, off, s[24:27], 0 offset:268 ; 4-byte Folded Spill
	ds_read2_b64 v[89:92], v0 offset0:32 offset1:33
	buffer_load_dword v73, off, s[24:27], 0 offset:240 ; 4-byte Folded Reload
	buffer_load_dword v74, off, s[24:27], 0 offset:244 ; 4-byte Folded Reload
	buffer_load_dword v75, off, s[24:27], 0 offset:248 ; 4-byte Folded Reload
	buffer_load_dword v76, off, s[24:27], 0 offset:252 ; 4-byte Folded Reload
	s_waitcnt lgkmcnt(0)
	v_mul_f64 v[95:96], v[91:92], v[99:100]
	v_fma_f64 v[95:96], v[89:90], v[125:126], -v[95:96]
	v_mul_f64 v[89:90], v[89:90], v[99:100]
	v_fma_f64 v[89:90], v[91:92], v[125:126], v[89:90]
	s_waitcnt vmcnt(2)
	v_add_f64 v[73:74], v[73:74], -v[95:96]
	s_waitcnt vmcnt(0)
	v_add_f64 v[75:76], v[75:76], -v[89:90]
	buffer_store_dword v73, off, s[24:27], 0 offset:240 ; 4-byte Folded Spill
	s_nop 0
	buffer_store_dword v74, off, s[24:27], 0 offset:244 ; 4-byte Folded Spill
	buffer_store_dword v75, off, s[24:27], 0 offset:248 ; 4-byte Folded Spill
	buffer_store_dword v76, off, s[24:27], 0 offset:252 ; 4-byte Folded Spill
	ds_read2_b64 v[89:92], v0 offset0:34 offset1:35
	buffer_load_dword v73, off, s[24:27], 0 offset:224 ; 4-byte Folded Reload
	buffer_load_dword v74, off, s[24:27], 0 offset:228 ; 4-byte Folded Reload
	buffer_load_dword v75, off, s[24:27], 0 offset:232 ; 4-byte Folded Reload
	buffer_load_dword v76, off, s[24:27], 0 offset:236 ; 4-byte Folded Reload
	s_waitcnt lgkmcnt(0)
	v_mul_f64 v[95:96], v[91:92], v[99:100]
	v_fma_f64 v[95:96], v[89:90], v[125:126], -v[95:96]
	v_mul_f64 v[89:90], v[89:90], v[99:100]
	v_fma_f64 v[89:90], v[91:92], v[125:126], v[89:90]
	s_waitcnt vmcnt(2)
	v_add_f64 v[73:74], v[73:74], -v[95:96]
	s_waitcnt vmcnt(0)
	v_add_f64 v[75:76], v[75:76], -v[89:90]
	buffer_store_dword v73, off, s[24:27], 0 offset:224 ; 4-byte Folded Spill
	s_nop 0
	buffer_store_dword v74, off, s[24:27], 0 offset:228 ; 4-byte Folded Spill
	buffer_store_dword v75, off, s[24:27], 0 offset:232 ; 4-byte Folded Spill
	buffer_store_dword v76, off, s[24:27], 0 offset:236 ; 4-byte Folded Spill
	ds_read2_b64 v[89:92], v0 offset0:36 offset1:37
	buffer_load_dword v73, off, s[24:27], 0 offset:208 ; 4-byte Folded Reload
	buffer_load_dword v74, off, s[24:27], 0 offset:212 ; 4-byte Folded Reload
	buffer_load_dword v75, off, s[24:27], 0 offset:216 ; 4-byte Folded Reload
	buffer_load_dword v76, off, s[24:27], 0 offset:220 ; 4-byte Folded Reload
	s_waitcnt lgkmcnt(0)
	v_mul_f64 v[95:96], v[91:92], v[99:100]
	v_fma_f64 v[95:96], v[89:90], v[125:126], -v[95:96]
	v_mul_f64 v[89:90], v[89:90], v[99:100]
	v_fma_f64 v[89:90], v[91:92], v[125:126], v[89:90]
	s_waitcnt vmcnt(2)
	v_add_f64 v[73:74], v[73:74], -v[95:96]
	s_waitcnt vmcnt(0)
	v_add_f64 v[75:76], v[75:76], -v[89:90]
	buffer_store_dword v73, off, s[24:27], 0 offset:208 ; 4-byte Folded Spill
	s_nop 0
	buffer_store_dword v74, off, s[24:27], 0 offset:212 ; 4-byte Folded Spill
	buffer_store_dword v75, off, s[24:27], 0 offset:216 ; 4-byte Folded Spill
	buffer_store_dword v76, off, s[24:27], 0 offset:220 ; 4-byte Folded Spill
	ds_read2_b64 v[89:92], v0 offset0:38 offset1:39
	buffer_load_dword v73, off, s[24:27], 0 offset:192 ; 4-byte Folded Reload
	buffer_load_dword v74, off, s[24:27], 0 offset:196 ; 4-byte Folded Reload
	buffer_load_dword v75, off, s[24:27], 0 offset:200 ; 4-byte Folded Reload
	buffer_load_dword v76, off, s[24:27], 0 offset:204 ; 4-byte Folded Reload
	s_waitcnt lgkmcnt(0)
	v_mul_f64 v[95:96], v[91:92], v[99:100]
	v_fma_f64 v[95:96], v[89:90], v[125:126], -v[95:96]
	v_mul_f64 v[89:90], v[89:90], v[99:100]
	v_fma_f64 v[89:90], v[91:92], v[125:126], v[89:90]
	s_waitcnt vmcnt(2)
	v_add_f64 v[73:74], v[73:74], -v[95:96]
	s_waitcnt vmcnt(0)
	v_add_f64 v[75:76], v[75:76], -v[89:90]
	buffer_store_dword v73, off, s[24:27], 0 offset:192 ; 4-byte Folded Spill
	s_nop 0
	buffer_store_dword v74, off, s[24:27], 0 offset:196 ; 4-byte Folded Spill
	buffer_store_dword v75, off, s[24:27], 0 offset:200 ; 4-byte Folded Spill
	buffer_store_dword v76, off, s[24:27], 0 offset:204 ; 4-byte Folded Spill
	ds_read2_b64 v[89:92], v0 offset0:40 offset1:41
	buffer_load_dword v73, off, s[24:27], 0 offset:176 ; 4-byte Folded Reload
	buffer_load_dword v74, off, s[24:27], 0 offset:180 ; 4-byte Folded Reload
	buffer_load_dword v75, off, s[24:27], 0 offset:184 ; 4-byte Folded Reload
	buffer_load_dword v76, off, s[24:27], 0 offset:188 ; 4-byte Folded Reload
	s_waitcnt lgkmcnt(0)
	v_mul_f64 v[95:96], v[91:92], v[99:100]
	v_fma_f64 v[95:96], v[89:90], v[125:126], -v[95:96]
	v_mul_f64 v[89:90], v[89:90], v[99:100]
	v_fma_f64 v[89:90], v[91:92], v[125:126], v[89:90]
	s_waitcnt vmcnt(2)
	v_add_f64 v[73:74], v[73:74], -v[95:96]
	s_waitcnt vmcnt(0)
	v_add_f64 v[75:76], v[75:76], -v[89:90]
	buffer_store_dword v73, off, s[24:27], 0 offset:176 ; 4-byte Folded Spill
	s_nop 0
	buffer_store_dword v74, off, s[24:27], 0 offset:180 ; 4-byte Folded Spill
	buffer_store_dword v75, off, s[24:27], 0 offset:184 ; 4-byte Folded Spill
	buffer_store_dword v76, off, s[24:27], 0 offset:188 ; 4-byte Folded Spill
	ds_read2_b64 v[89:92], v0 offset0:42 offset1:43
	buffer_load_dword v73, off, s[24:27], 0 offset:160 ; 4-byte Folded Reload
	buffer_load_dword v74, off, s[24:27], 0 offset:164 ; 4-byte Folded Reload
	buffer_load_dword v75, off, s[24:27], 0 offset:168 ; 4-byte Folded Reload
	buffer_load_dword v76, off, s[24:27], 0 offset:172 ; 4-byte Folded Reload
	s_waitcnt lgkmcnt(0)
	v_mul_f64 v[95:96], v[91:92], v[99:100]
	v_fma_f64 v[95:96], v[89:90], v[125:126], -v[95:96]
	v_mul_f64 v[89:90], v[89:90], v[99:100]
	v_fma_f64 v[89:90], v[91:92], v[125:126], v[89:90]
	s_waitcnt vmcnt(2)
	v_add_f64 v[73:74], v[73:74], -v[95:96]
	s_waitcnt vmcnt(0)
	v_add_f64 v[75:76], v[75:76], -v[89:90]
	buffer_store_dword v73, off, s[24:27], 0 offset:160 ; 4-byte Folded Spill
	s_nop 0
	buffer_store_dword v74, off, s[24:27], 0 offset:164 ; 4-byte Folded Spill
	buffer_store_dword v75, off, s[24:27], 0 offset:168 ; 4-byte Folded Spill
	buffer_store_dword v76, off, s[24:27], 0 offset:172 ; 4-byte Folded Spill
	ds_read2_b64 v[89:92], v0 offset0:44 offset1:45
	buffer_load_dword v73, off, s[24:27], 0 offset:144 ; 4-byte Folded Reload
	buffer_load_dword v74, off, s[24:27], 0 offset:148 ; 4-byte Folded Reload
	buffer_load_dword v75, off, s[24:27], 0 offset:152 ; 4-byte Folded Reload
	buffer_load_dword v76, off, s[24:27], 0 offset:156 ; 4-byte Folded Reload
	s_waitcnt lgkmcnt(0)
	v_mul_f64 v[95:96], v[91:92], v[99:100]
	v_fma_f64 v[95:96], v[89:90], v[125:126], -v[95:96]
	v_mul_f64 v[89:90], v[89:90], v[99:100]
	v_fma_f64 v[89:90], v[91:92], v[125:126], v[89:90]
	s_waitcnt vmcnt(2)
	v_add_f64 v[73:74], v[73:74], -v[95:96]
	s_waitcnt vmcnt(0)
	v_add_f64 v[75:76], v[75:76], -v[89:90]
	buffer_store_dword v73, off, s[24:27], 0 offset:144 ; 4-byte Folded Spill
	s_nop 0
	buffer_store_dword v74, off, s[24:27], 0 offset:148 ; 4-byte Folded Spill
	buffer_store_dword v75, off, s[24:27], 0 offset:152 ; 4-byte Folded Spill
	buffer_store_dword v76, off, s[24:27], 0 offset:156 ; 4-byte Folded Spill
	ds_read2_b64 v[89:92], v0 offset0:46 offset1:47
	buffer_load_dword v73, off, s[24:27], 0 offset:128 ; 4-byte Folded Reload
	buffer_load_dword v74, off, s[24:27], 0 offset:132 ; 4-byte Folded Reload
	buffer_load_dword v75, off, s[24:27], 0 offset:136 ; 4-byte Folded Reload
	buffer_load_dword v76, off, s[24:27], 0 offset:140 ; 4-byte Folded Reload
	s_waitcnt lgkmcnt(0)
	v_mul_f64 v[95:96], v[91:92], v[99:100]
	v_fma_f64 v[95:96], v[89:90], v[125:126], -v[95:96]
	v_mul_f64 v[89:90], v[89:90], v[99:100]
	v_fma_f64 v[89:90], v[91:92], v[125:126], v[89:90]
	s_waitcnt vmcnt(2)
	v_add_f64 v[73:74], v[73:74], -v[95:96]
	s_waitcnt vmcnt(0)
	v_add_f64 v[75:76], v[75:76], -v[89:90]
	buffer_store_dword v73, off, s[24:27], 0 offset:128 ; 4-byte Folded Spill
	s_nop 0
	buffer_store_dword v74, off, s[24:27], 0 offset:132 ; 4-byte Folded Spill
	buffer_store_dword v75, off, s[24:27], 0 offset:136 ; 4-byte Folded Spill
	buffer_store_dword v76, off, s[24:27], 0 offset:140 ; 4-byte Folded Spill
	ds_read2_b64 v[89:92], v0 offset0:48 offset1:49
	buffer_load_dword v73, off, s[24:27], 0 offset:112 ; 4-byte Folded Reload
	buffer_load_dword v74, off, s[24:27], 0 offset:116 ; 4-byte Folded Reload
	buffer_load_dword v75, off, s[24:27], 0 offset:120 ; 4-byte Folded Reload
	buffer_load_dword v76, off, s[24:27], 0 offset:124 ; 4-byte Folded Reload
	s_waitcnt lgkmcnt(0)
	v_mul_f64 v[95:96], v[91:92], v[99:100]
	v_fma_f64 v[95:96], v[89:90], v[125:126], -v[95:96]
	v_mul_f64 v[89:90], v[89:90], v[99:100]
	v_fma_f64 v[89:90], v[91:92], v[125:126], v[89:90]
	s_waitcnt vmcnt(2)
	v_add_f64 v[73:74], v[73:74], -v[95:96]
	s_waitcnt vmcnt(0)
	v_add_f64 v[75:76], v[75:76], -v[89:90]
	buffer_store_dword v73, off, s[24:27], 0 offset:112 ; 4-byte Folded Spill
	s_nop 0
	buffer_store_dword v74, off, s[24:27], 0 offset:116 ; 4-byte Folded Spill
	buffer_store_dword v75, off, s[24:27], 0 offset:120 ; 4-byte Folded Spill
	buffer_store_dword v76, off, s[24:27], 0 offset:124 ; 4-byte Folded Spill
	ds_read2_b64 v[89:92], v0 offset0:50 offset1:51
	buffer_load_dword v73, off, s[24:27], 0 offset:96 ; 4-byte Folded Reload
	buffer_load_dword v74, off, s[24:27], 0 offset:100 ; 4-byte Folded Reload
	buffer_load_dword v75, off, s[24:27], 0 offset:104 ; 4-byte Folded Reload
	buffer_load_dword v76, off, s[24:27], 0 offset:108 ; 4-byte Folded Reload
	s_waitcnt lgkmcnt(0)
	v_mul_f64 v[95:96], v[91:92], v[99:100]
	v_fma_f64 v[95:96], v[89:90], v[125:126], -v[95:96]
	v_mul_f64 v[89:90], v[89:90], v[99:100]
	v_fma_f64 v[89:90], v[91:92], v[125:126], v[89:90]
	s_waitcnt vmcnt(2)
	v_add_f64 v[73:74], v[73:74], -v[95:96]
	s_waitcnt vmcnt(0)
	v_add_f64 v[75:76], v[75:76], -v[89:90]
	buffer_store_dword v73, off, s[24:27], 0 offset:96 ; 4-byte Folded Spill
	s_nop 0
	buffer_store_dword v74, off, s[24:27], 0 offset:100 ; 4-byte Folded Spill
	buffer_store_dword v75, off, s[24:27], 0 offset:104 ; 4-byte Folded Spill
	buffer_store_dword v76, off, s[24:27], 0 offset:108 ; 4-byte Folded Spill
	ds_read2_b64 v[89:92], v0 offset0:52 offset1:53
	buffer_load_dword v73, off, s[24:27], 0 offset:80 ; 4-byte Folded Reload
	buffer_load_dword v74, off, s[24:27], 0 offset:84 ; 4-byte Folded Reload
	buffer_load_dword v75, off, s[24:27], 0 offset:88 ; 4-byte Folded Reload
	buffer_load_dword v76, off, s[24:27], 0 offset:92 ; 4-byte Folded Reload
	s_waitcnt lgkmcnt(0)
	v_mul_f64 v[95:96], v[91:92], v[99:100]
	v_fma_f64 v[95:96], v[89:90], v[125:126], -v[95:96]
	v_mul_f64 v[89:90], v[89:90], v[99:100]
	v_fma_f64 v[89:90], v[91:92], v[125:126], v[89:90]
	s_waitcnt vmcnt(2)
	v_add_f64 v[73:74], v[73:74], -v[95:96]
	s_waitcnt vmcnt(0)
	v_add_f64 v[75:76], v[75:76], -v[89:90]
	buffer_store_dword v73, off, s[24:27], 0 offset:80 ; 4-byte Folded Spill
	s_nop 0
	buffer_store_dword v74, off, s[24:27], 0 offset:84 ; 4-byte Folded Spill
	buffer_store_dword v75, off, s[24:27], 0 offset:88 ; 4-byte Folded Spill
	buffer_store_dword v76, off, s[24:27], 0 offset:92 ; 4-byte Folded Spill
	ds_read2_b64 v[89:92], v0 offset0:54 offset1:55
	buffer_load_dword v73, off, s[24:27], 0 offset:64 ; 4-byte Folded Reload
	buffer_load_dword v74, off, s[24:27], 0 offset:68 ; 4-byte Folded Reload
	buffer_load_dword v75, off, s[24:27], 0 offset:72 ; 4-byte Folded Reload
	buffer_load_dword v76, off, s[24:27], 0 offset:76 ; 4-byte Folded Reload
	s_waitcnt lgkmcnt(0)
	v_mul_f64 v[95:96], v[91:92], v[99:100]
	v_fma_f64 v[95:96], v[89:90], v[125:126], -v[95:96]
	v_mul_f64 v[89:90], v[89:90], v[99:100]
	v_fma_f64 v[89:90], v[91:92], v[125:126], v[89:90]
	s_waitcnt vmcnt(2)
	v_add_f64 v[73:74], v[73:74], -v[95:96]
	s_waitcnt vmcnt(0)
	v_add_f64 v[75:76], v[75:76], -v[89:90]
	buffer_store_dword v73, off, s[24:27], 0 offset:64 ; 4-byte Folded Spill
	s_nop 0
	buffer_store_dword v74, off, s[24:27], 0 offset:68 ; 4-byte Folded Spill
	buffer_store_dword v75, off, s[24:27], 0 offset:72 ; 4-byte Folded Spill
	buffer_store_dword v76, off, s[24:27], 0 offset:76 ; 4-byte Folded Spill
	ds_read2_b64 v[89:92], v0 offset0:56 offset1:57
	buffer_load_dword v73, off, s[24:27], 0 offset:48 ; 4-byte Folded Reload
	buffer_load_dword v74, off, s[24:27], 0 offset:52 ; 4-byte Folded Reload
	buffer_load_dword v75, off, s[24:27], 0 offset:56 ; 4-byte Folded Reload
	buffer_load_dword v76, off, s[24:27], 0 offset:60 ; 4-byte Folded Reload
	s_waitcnt lgkmcnt(0)
	v_mul_f64 v[95:96], v[91:92], v[99:100]
	v_fma_f64 v[95:96], v[89:90], v[125:126], -v[95:96]
	v_mul_f64 v[89:90], v[89:90], v[99:100]
	v_fma_f64 v[89:90], v[91:92], v[125:126], v[89:90]
	s_waitcnt vmcnt(2)
	v_add_f64 v[73:74], v[73:74], -v[95:96]
	s_waitcnt vmcnt(0)
	v_add_f64 v[75:76], v[75:76], -v[89:90]
	buffer_store_dword v73, off, s[24:27], 0 offset:48 ; 4-byte Folded Spill
	s_nop 0
	buffer_store_dword v74, off, s[24:27], 0 offset:52 ; 4-byte Folded Spill
	buffer_store_dword v75, off, s[24:27], 0 offset:56 ; 4-byte Folded Spill
	buffer_store_dword v76, off, s[24:27], 0 offset:60 ; 4-byte Folded Spill
	ds_read2_b64 v[89:92], v0 offset0:58 offset1:59
	buffer_load_dword v73, off, s[24:27], 0 offset:32 ; 4-byte Folded Reload
	buffer_load_dword v74, off, s[24:27], 0 offset:36 ; 4-byte Folded Reload
	buffer_load_dword v75, off, s[24:27], 0 offset:40 ; 4-byte Folded Reload
	buffer_load_dword v76, off, s[24:27], 0 offset:44 ; 4-byte Folded Reload
	s_waitcnt lgkmcnt(0)
	v_mul_f64 v[95:96], v[91:92], v[99:100]
	v_fma_f64 v[95:96], v[89:90], v[125:126], -v[95:96]
	v_mul_f64 v[89:90], v[89:90], v[99:100]
	v_fma_f64 v[89:90], v[91:92], v[125:126], v[89:90]
	s_waitcnt vmcnt(2)
	v_add_f64 v[73:74], v[73:74], -v[95:96]
	s_waitcnt vmcnt(0)
	v_add_f64 v[75:76], v[75:76], -v[89:90]
	buffer_store_dword v73, off, s[24:27], 0 offset:32 ; 4-byte Folded Spill
	s_nop 0
	buffer_store_dword v74, off, s[24:27], 0 offset:36 ; 4-byte Folded Spill
	buffer_store_dword v75, off, s[24:27], 0 offset:40 ; 4-byte Folded Spill
	buffer_store_dword v76, off, s[24:27], 0 offset:44 ; 4-byte Folded Spill
	ds_read2_b64 v[89:92], v0 offset0:60 offset1:61
	buffer_load_dword v73, off, s[24:27], 0 offset:16 ; 4-byte Folded Reload
	buffer_load_dword v74, off, s[24:27], 0 offset:20 ; 4-byte Folded Reload
	buffer_load_dword v75, off, s[24:27], 0 offset:24 ; 4-byte Folded Reload
	buffer_load_dword v76, off, s[24:27], 0 offset:28 ; 4-byte Folded Reload
	s_waitcnt lgkmcnt(0)
	v_mul_f64 v[95:96], v[91:92], v[99:100]
	v_fma_f64 v[95:96], v[89:90], v[125:126], -v[95:96]
	v_mul_f64 v[89:90], v[89:90], v[99:100]
	v_fma_f64 v[89:90], v[91:92], v[125:126], v[89:90]
	s_waitcnt vmcnt(2)
	v_add_f64 v[73:74], v[73:74], -v[95:96]
	s_waitcnt vmcnt(0)
	v_add_f64 v[75:76], v[75:76], -v[89:90]
	buffer_store_dword v73, off, s[24:27], 0 offset:16 ; 4-byte Folded Spill
	s_nop 0
	buffer_store_dword v74, off, s[24:27], 0 offset:20 ; 4-byte Folded Spill
	buffer_store_dword v75, off, s[24:27], 0 offset:24 ; 4-byte Folded Spill
	buffer_store_dword v76, off, s[24:27], 0 offset:28 ; 4-byte Folded Spill
	ds_read2_b64 v[89:92], v0 offset0:62 offset1:63
	s_waitcnt lgkmcnt(0)
	v_mul_f64 v[95:96], v[91:92], v[99:100]
	v_fma_f64 v[95:96], v[89:90], v[125:126], -v[95:96]
	v_mul_f64 v[89:90], v[89:90], v[99:100]
	v_add_f64 v[81:82], v[81:82], -v[95:96]
	v_fma_f64 v[89:90], v[91:92], v[125:126], v[89:90]
	v_add_f64 v[83:84], v[83:84], -v[89:90]
	ds_read2_b64 v[89:92], v0 offset0:64 offset1:65
	s_waitcnt lgkmcnt(0)
	v_mul_f64 v[95:96], v[91:92], v[99:100]
	v_fma_f64 v[95:96], v[89:90], v[125:126], -v[95:96]
	v_mul_f64 v[89:90], v[89:90], v[99:100]
	v_add_f64 v[85:86], v[85:86], -v[95:96]
	v_fma_f64 v[89:90], v[91:92], v[125:126], v[89:90]
	v_add_f64 v[87:88], v[87:88], -v[89:90]
	ds_read2_b64 v[89:92], v0 offset0:66 offset1:67
	s_waitcnt lgkmcnt(0)
	v_mul_f64 v[95:96], v[91:92], v[99:100]
	v_fma_f64 v[95:96], v[89:90], v[125:126], -v[95:96]
	v_mul_f64 v[89:90], v[89:90], v[99:100]
	v_add_f64 v[109:110], v[109:110], -v[95:96]
	v_fma_f64 v[89:90], v[91:92], v[125:126], v[89:90]
	v_add_f64 v[111:112], v[111:112], -v[89:90]
	ds_read2_b64 v[89:92], v0 offset0:68 offset1:69
	s_waitcnt lgkmcnt(0)
	v_mul_f64 v[95:96], v[91:92], v[99:100]
	v_fma_f64 v[95:96], v[89:90], v[125:126], -v[95:96]
	v_mul_f64 v[89:90], v[89:90], v[99:100]
	v_add_f64 v[113:114], v[113:114], -v[95:96]
	v_fma_f64 v[89:90], v[91:92], v[125:126], v[89:90]
	v_add_f64 v[115:116], v[115:116], -v[89:90]
	ds_read2_b64 v[89:92], v0 offset0:70 offset1:71
	s_waitcnt lgkmcnt(0)
	v_mul_f64 v[95:96], v[91:92], v[99:100]
	v_fma_f64 v[95:96], v[89:90], v[125:126], -v[95:96]
	v_mul_f64 v[89:90], v[89:90], v[99:100]
	v_add_f64 v[77:78], v[77:78], -v[95:96]
	v_fma_f64 v[89:90], v[91:92], v[125:126], v[89:90]
	v_add_f64 v[79:80], v[79:80], -v[89:90]
	ds_read2_b64 v[89:92], v0 offset0:72 offset1:73
	buffer_load_dword v73, off, s[24:27], 0 ; 4-byte Folded Reload
	buffer_load_dword v74, off, s[24:27], 0 offset:4 ; 4-byte Folded Reload
	buffer_load_dword v75, off, s[24:27], 0 offset:8 ; 4-byte Folded Reload
	;; [unrolled: 1-line block ×3, first 2 shown]
	s_waitcnt lgkmcnt(0)
	v_mul_f64 v[95:96], v[91:92], v[99:100]
	v_fma_f64 v[95:96], v[89:90], v[125:126], -v[95:96]
	v_mul_f64 v[89:90], v[89:90], v[99:100]
	v_fma_f64 v[89:90], v[91:92], v[125:126], v[89:90]
	s_waitcnt vmcnt(2)
	v_add_f64 v[73:74], v[73:74], -v[95:96]
	s_waitcnt vmcnt(0)
	v_add_f64 v[75:76], v[75:76], -v[89:90]
	buffer_store_dword v73, off, s[24:27], 0 ; 4-byte Folded Spill
	s_nop 0
	buffer_store_dword v74, off, s[24:27], 0 offset:4 ; 4-byte Folded Spill
	buffer_store_dword v75, off, s[24:27], 0 offset:8 ; 4-byte Folded Spill
	;; [unrolled: 1-line block ×3, first 2 shown]
	ds_read2_b64 v[89:92], v0 offset0:74 offset1:75
	s_waitcnt lgkmcnt(0)
	v_mul_f64 v[95:96], v[91:92], v[99:100]
	v_fma_f64 v[95:96], v[89:90], v[125:126], -v[95:96]
	v_mul_f64 v[89:90], v[89:90], v[99:100]
	v_add_f64 v[69:70], v[69:70], -v[95:96]
	v_fma_f64 v[89:90], v[91:92], v[125:126], v[89:90]
	v_add_f64 v[71:72], v[71:72], -v[89:90]
	ds_read2_b64 v[89:92], v0 offset0:76 offset1:77
	s_waitcnt lgkmcnt(0)
	v_mul_f64 v[95:96], v[91:92], v[99:100]
	v_fma_f64 v[95:96], v[89:90], v[125:126], -v[95:96]
	v_mul_f64 v[89:90], v[89:90], v[99:100]
	v_add_f64 v[65:66], v[65:66], -v[95:96]
	v_fma_f64 v[89:90], v[91:92], v[125:126], v[89:90]
	v_add_f64 v[67:68], v[67:68], -v[89:90]
	;; [unrolled: 8-line block ×17, first 2 shown]
	ds_read2_b64 v[89:92], v0 offset0:108 offset1:109
	s_waitcnt lgkmcnt(0)
	v_mul_f64 v[95:96], v[91:92], v[99:100]
	v_fma_f64 v[95:96], v[89:90], v[125:126], -v[95:96]
	v_mul_f64 v[89:90], v[89:90], v[99:100]
	v_add_f64 v[1:2], v[1:2], -v[95:96]
	v_fma_f64 v[89:90], v[91:92], v[125:126], v[89:90]
	ds_read2_b64 v[95:98], v0 offset0:110 offset1:111
	s_waitcnt lgkmcnt(0)
	v_mul_f64 v[91:92], v[95:96], v[99:100]
	v_add_f64 v[3:4], v[3:4], -v[89:90]
	v_mul_f64 v[89:90], v[97:98], v[99:100]
	v_fma_f64 v[91:92], v[97:98], v[125:126], v[91:92]
	v_mov_b32_e32 v97, v125
	v_mov_b32_e32 v98, v126
	v_fma_f64 v[89:90], v[95:96], v[125:126], -v[89:90]
	buffer_store_dword v97, off, s[24:27], 0 offset:368 ; 4-byte Folded Spill
	s_nop 0
	buffer_store_dword v98, off, s[24:27], 0 offset:372 ; 4-byte Folded Spill
	buffer_store_dword v99, off, s[24:27], 0 offset:376 ; 4-byte Folded Spill
	buffer_store_dword v100, off, s[24:27], 0 offset:380 ; 4-byte Folded Spill
	v_add_f64 v[123:124], v[123:124], -v[91:92]
	v_add_f64 v[121:122], v[121:122], -v[89:90]
.LBB110_188:
	s_or_b64 exec, exec, s[0:1]
	s_waitcnt vmcnt(0)
	s_barrier
	buffer_load_dword v73, off, s[24:27], 0 offset:352 ; 4-byte Folded Reload
	buffer_load_dword v74, off, s[24:27], 0 offset:356 ; 4-byte Folded Reload
	;; [unrolled: 1-line block ×4, first 2 shown]
	v_lshl_add_u32 v89, v93, 4, v0
	s_cmp_lt_i32 s3, 11
	s_waitcnt vmcnt(0)
	ds_write2_b64 v89, v[73:74], v[75:76] offset1:1
	s_waitcnt lgkmcnt(0)
	s_barrier
	ds_read2_b64 v[117:120], v0 offset0:18 offset1:19
	v_mov_b32_e32 v89, 9
	s_cbranch_scc1 .LBB110_191
; %bb.189:
	v_add_u32_e32 v90, 0xa0, v0
	s_mov_b32 s0, 10
	v_mov_b32_e32 v89, 9
.LBB110_190:                            ; =>This Inner Loop Header: Depth=1
	s_waitcnt lgkmcnt(0)
	v_cmp_gt_f64_e32 vcc, 0, v[117:118]
	v_xor_b32_e32 v91, 0x80000000, v118
	ds_read2_b64 v[95:98], v90 offset1:1
	v_xor_b32_e32 v99, 0x80000000, v120
	v_add_u32_e32 v90, 16, v90
	s_waitcnt lgkmcnt(0)
	v_xor_b32_e32 v101, 0x80000000, v98
	v_cndmask_b32_e32 v92, v118, v91, vcc
	v_cmp_gt_f64_e32 vcc, 0, v[119:120]
	v_mov_b32_e32 v91, v117
	v_cndmask_b32_e32 v100, v120, v99, vcc
	v_cmp_gt_f64_e32 vcc, 0, v[95:96]
	v_mov_b32_e32 v99, v119
	v_add_f64 v[91:92], v[91:92], v[99:100]
	v_xor_b32_e32 v99, 0x80000000, v96
	v_cndmask_b32_e32 v100, v96, v99, vcc
	v_cmp_gt_f64_e32 vcc, 0, v[97:98]
	v_mov_b32_e32 v99, v95
	v_cndmask_b32_e32 v102, v98, v101, vcc
	v_mov_b32_e32 v101, v97
	v_add_f64 v[99:100], v[99:100], v[101:102]
	v_cmp_lt_f64_e32 vcc, v[91:92], v[99:100]
	v_mov_b32_e32 v91, s0
	s_add_i32 s0, s0, 1
	s_cmp_lg_u32 s3, s0
	v_cndmask_b32_e32 v118, v118, v96, vcc
	v_cndmask_b32_e32 v117, v117, v95, vcc
	;; [unrolled: 1-line block ×5, first 2 shown]
	s_cbranch_scc1 .LBB110_190
.LBB110_191:
	s_waitcnt lgkmcnt(0)
	v_cmp_eq_f64_e32 vcc, 0, v[117:118]
	v_cmp_eq_f64_e64 s[0:1], 0, v[119:120]
	s_and_b64 s[0:1], vcc, s[0:1]
	s_and_saveexec_b64 s[18:19], s[0:1]
	s_xor_b64 s[0:1], exec, s[18:19]
; %bb.192:
	v_cmp_ne_u32_e32 vcc, 0, v94
	v_cndmask_b32_e32 v94, 10, v94, vcc
; %bb.193:
	s_andn2_saveexec_b64 s[0:1], s[0:1]
	s_cbranch_execz .LBB110_199
; %bb.194:
	v_cmp_ngt_f64_e64 s[18:19], |v[117:118]|, |v[119:120]|
	s_and_saveexec_b64 s[20:21], s[18:19]
	s_xor_b64 s[18:19], exec, s[20:21]
	s_cbranch_execz .LBB110_196
; %bb.195:
	v_div_scale_f64 v[90:91], s[20:21], v[119:120], v[119:120], v[117:118]
	v_rcp_f64_e32 v[95:96], v[90:91]
	v_fma_f64 v[97:98], -v[90:91], v[95:96], 1.0
	v_fma_f64 v[95:96], v[95:96], v[97:98], v[95:96]
	v_div_scale_f64 v[97:98], vcc, v[117:118], v[119:120], v[117:118]
	v_fma_f64 v[99:100], -v[90:91], v[95:96], 1.0
	v_fma_f64 v[95:96], v[95:96], v[99:100], v[95:96]
	v_mul_f64 v[99:100], v[97:98], v[95:96]
	v_fma_f64 v[90:91], -v[90:91], v[99:100], v[97:98]
	v_div_fmas_f64 v[90:91], v[90:91], v[95:96], v[99:100]
	v_div_fixup_f64 v[90:91], v[90:91], v[119:120], v[117:118]
	v_fma_f64 v[95:96], v[117:118], v[90:91], v[119:120]
	v_div_scale_f64 v[97:98], s[20:21], v[95:96], v[95:96], 1.0
	v_div_scale_f64 v[103:104], vcc, 1.0, v[95:96], 1.0
	v_rcp_f64_e32 v[99:100], v[97:98]
	v_fma_f64 v[101:102], -v[97:98], v[99:100], 1.0
	v_fma_f64 v[99:100], v[99:100], v[101:102], v[99:100]
	v_fma_f64 v[101:102], -v[97:98], v[99:100], 1.0
	v_fma_f64 v[99:100], v[99:100], v[101:102], v[99:100]
	v_mul_f64 v[101:102], v[103:104], v[99:100]
	v_fma_f64 v[97:98], -v[97:98], v[101:102], v[103:104]
	v_div_fmas_f64 v[97:98], v[97:98], v[99:100], v[101:102]
	v_div_fixup_f64 v[119:120], v[97:98], v[95:96], 1.0
	v_mul_f64 v[117:118], v[90:91], v[119:120]
	v_xor_b32_e32 v120, 0x80000000, v120
.LBB110_196:
	s_andn2_saveexec_b64 s[18:19], s[18:19]
	s_cbranch_execz .LBB110_198
; %bb.197:
	v_div_scale_f64 v[90:91], s[20:21], v[117:118], v[117:118], v[119:120]
	v_rcp_f64_e32 v[95:96], v[90:91]
	v_fma_f64 v[97:98], -v[90:91], v[95:96], 1.0
	v_fma_f64 v[95:96], v[95:96], v[97:98], v[95:96]
	v_div_scale_f64 v[97:98], vcc, v[119:120], v[117:118], v[119:120]
	v_fma_f64 v[99:100], -v[90:91], v[95:96], 1.0
	v_fma_f64 v[95:96], v[95:96], v[99:100], v[95:96]
	v_mul_f64 v[99:100], v[97:98], v[95:96]
	v_fma_f64 v[90:91], -v[90:91], v[99:100], v[97:98]
	v_div_fmas_f64 v[90:91], v[90:91], v[95:96], v[99:100]
	v_div_fixup_f64 v[90:91], v[90:91], v[117:118], v[119:120]
	v_fma_f64 v[95:96], v[119:120], v[90:91], v[117:118]
	v_div_scale_f64 v[97:98], s[20:21], v[95:96], v[95:96], 1.0
	v_div_scale_f64 v[103:104], vcc, 1.0, v[95:96], 1.0
	v_rcp_f64_e32 v[99:100], v[97:98]
	v_fma_f64 v[101:102], -v[97:98], v[99:100], 1.0
	v_fma_f64 v[99:100], v[99:100], v[101:102], v[99:100]
	v_fma_f64 v[101:102], -v[97:98], v[99:100], 1.0
	v_fma_f64 v[99:100], v[99:100], v[101:102], v[99:100]
	v_mul_f64 v[101:102], v[103:104], v[99:100]
	v_fma_f64 v[97:98], -v[97:98], v[101:102], v[103:104]
	v_div_fmas_f64 v[97:98], v[97:98], v[99:100], v[101:102]
	v_div_fixup_f64 v[117:118], v[97:98], v[95:96], 1.0
	v_mul_f64 v[119:120], v[90:91], -v[117:118]
.LBB110_198:
	s_or_b64 exec, exec, s[18:19]
.LBB110_199:
	s_or_b64 exec, exec, s[0:1]
	v_cmp_ne_u32_e32 vcc, v93, v89
	s_and_saveexec_b64 s[0:1], vcc
	s_xor_b64 s[0:1], exec, s[0:1]
	s_cbranch_execz .LBB110_205
; %bb.200:
	v_cmp_eq_u32_e32 vcc, 9, v93
	s_and_saveexec_b64 s[18:19], vcc
	s_cbranch_execz .LBB110_204
; %bb.201:
	v_cmp_ne_u32_e32 vcc, 9, v89
	s_xor_b64 s[20:21], s[6:7], -1
	s_and_b64 s[22:23], s[20:21], vcc
	s_and_saveexec_b64 s[20:21], s[22:23]
	s_cbranch_execz .LBB110_203
; %bb.202:
	v_mov_b32_e32 v73, v81
	v_mov_b32_e32 v74, v82
	;; [unrolled: 1-line block ×4, first 2 shown]
	buffer_load_dword v81, off, s[24:27], 0 offset:448 ; 4-byte Folded Reload
	buffer_load_dword v82, off, s[24:27], 0 offset:452 ; 4-byte Folded Reload
	v_ashrrev_i32_e32 v90, 31, v89
	v_lshlrev_b64 v[90:91], 2, v[89:90]
	s_waitcnt vmcnt(1)
	v_add_co_u32_e32 v90, vcc, v81, v90
	s_waitcnt vmcnt(0)
	v_addc_co_u32_e32 v91, vcc, v82, v91, vcc
	global_load_dword v92, v[90:91], off
	global_load_dword v93, v[81:82], off offset:36
	s_waitcnt vmcnt(1)
	global_store_dword v[81:82], v92, off offset:36
	v_mov_b32_e32 v84, v76
	v_mov_b32_e32 v83, v75
	;; [unrolled: 1-line block ×4, first 2 shown]
	s_waitcnt vmcnt(1)
	global_store_dword v[90:91], v93, off
.LBB110_203:
	s_or_b64 exec, exec, s[20:21]
	v_mov_b32_e32 v93, v89
	v_mov_b32_e32 v127, v89
.LBB110_204:
	s_or_b64 exec, exec, s[18:19]
.LBB110_205:
	s_andn2_saveexec_b64 s[0:1], s[0:1]
	s_cbranch_execz .LBB110_207
; %bb.206:
	buffer_load_dword v73, off, s[24:27], 0 offset:336 ; 4-byte Folded Reload
	buffer_load_dword v74, off, s[24:27], 0 offset:340 ; 4-byte Folded Reload
	;; [unrolled: 1-line block ×4, first 2 shown]
	v_mov_b32_e32 v93, 9
	s_waitcnt vmcnt(0)
	ds_write2_b64 v0, v[73:74], v[75:76] offset0:20 offset1:21
	buffer_load_dword v73, off, s[24:27], 0 offset:320 ; 4-byte Folded Reload
	buffer_load_dword v74, off, s[24:27], 0 offset:324 ; 4-byte Folded Reload
	buffer_load_dword v75, off, s[24:27], 0 offset:328 ; 4-byte Folded Reload
	buffer_load_dword v76, off, s[24:27], 0 offset:332 ; 4-byte Folded Reload
	s_waitcnt vmcnt(0)
	ds_write2_b64 v0, v[73:74], v[75:76] offset0:22 offset1:23
	buffer_load_dword v73, off, s[24:27], 0 offset:304 ; 4-byte Folded Reload
	buffer_load_dword v74, off, s[24:27], 0 offset:308 ; 4-byte Folded Reload
	buffer_load_dword v75, off, s[24:27], 0 offset:312 ; 4-byte Folded Reload
	buffer_load_dword v76, off, s[24:27], 0 offset:316 ; 4-byte Folded Reload
	;; [unrolled: 6-line block ×20, first 2 shown]
	s_waitcnt vmcnt(0)
	ds_write2_b64 v0, v[73:74], v[75:76] offset0:60 offset1:61
	ds_write2_b64 v0, v[81:82], v[83:84] offset0:62 offset1:63
	;; [unrolled: 1-line block ×6, first 2 shown]
	buffer_load_dword v73, off, s[24:27], 0 ; 4-byte Folded Reload
	buffer_load_dword v74, off, s[24:27], 0 offset:4 ; 4-byte Folded Reload
	buffer_load_dword v75, off, s[24:27], 0 offset:8 ; 4-byte Folded Reload
	;; [unrolled: 1-line block ×3, first 2 shown]
	s_waitcnt vmcnt(0)
	ds_write2_b64 v0, v[73:74], v[75:76] offset0:72 offset1:73
	ds_write2_b64 v0, v[69:70], v[71:72] offset0:74 offset1:75
	;; [unrolled: 1-line block ×20, first 2 shown]
.LBB110_207:
	s_or_b64 exec, exec, s[0:1]
	v_cmp_lt_i32_e32 vcc, 9, v93
	s_waitcnt vmcnt(0) lgkmcnt(0)
	s_barrier
	s_and_saveexec_b64 s[0:1], vcc
	s_cbranch_execz .LBB110_209
; %bb.208:
	buffer_load_dword v97, off, s[24:27], 0 offset:352 ; 4-byte Folded Reload
	buffer_load_dword v98, off, s[24:27], 0 offset:356 ; 4-byte Folded Reload
	;; [unrolled: 1-line block ×4, first 2 shown]
	s_waitcnt vmcnt(0)
	v_mul_f64 v[89:90], v[119:120], v[99:100]
	v_fma_f64 v[125:126], v[117:118], v[97:98], -v[89:90]
	v_mul_f64 v[89:90], v[117:118], v[99:100]
	v_fma_f64 v[99:100], v[119:120], v[97:98], v[89:90]
	ds_read2_b64 v[89:92], v0 offset0:20 offset1:21
	buffer_load_dword v73, off, s[24:27], 0 offset:336 ; 4-byte Folded Reload
	buffer_load_dword v74, off, s[24:27], 0 offset:340 ; 4-byte Folded Reload
	buffer_load_dword v75, off, s[24:27], 0 offset:344 ; 4-byte Folded Reload
	buffer_load_dword v76, off, s[24:27], 0 offset:348 ; 4-byte Folded Reload
	s_waitcnt lgkmcnt(0)
	v_mul_f64 v[95:96], v[91:92], v[99:100]
	v_fma_f64 v[95:96], v[89:90], v[125:126], -v[95:96]
	v_mul_f64 v[89:90], v[89:90], v[99:100]
	v_fma_f64 v[89:90], v[91:92], v[125:126], v[89:90]
	s_waitcnt vmcnt(2)
	v_add_f64 v[73:74], v[73:74], -v[95:96]
	s_waitcnt vmcnt(0)
	v_add_f64 v[75:76], v[75:76], -v[89:90]
	buffer_store_dword v73, off, s[24:27], 0 offset:336 ; 4-byte Folded Spill
	s_nop 0
	buffer_store_dword v74, off, s[24:27], 0 offset:340 ; 4-byte Folded Spill
	buffer_store_dword v75, off, s[24:27], 0 offset:344 ; 4-byte Folded Spill
	buffer_store_dword v76, off, s[24:27], 0 offset:348 ; 4-byte Folded Spill
	ds_read2_b64 v[89:92], v0 offset0:22 offset1:23
	buffer_load_dword v73, off, s[24:27], 0 offset:320 ; 4-byte Folded Reload
	buffer_load_dword v74, off, s[24:27], 0 offset:324 ; 4-byte Folded Reload
	buffer_load_dword v75, off, s[24:27], 0 offset:328 ; 4-byte Folded Reload
	buffer_load_dword v76, off, s[24:27], 0 offset:332 ; 4-byte Folded Reload
	s_waitcnt lgkmcnt(0)
	v_mul_f64 v[95:96], v[91:92], v[99:100]
	v_fma_f64 v[95:96], v[89:90], v[125:126], -v[95:96]
	v_mul_f64 v[89:90], v[89:90], v[99:100]
	v_fma_f64 v[89:90], v[91:92], v[125:126], v[89:90]
	s_waitcnt vmcnt(2)
	v_add_f64 v[73:74], v[73:74], -v[95:96]
	s_waitcnt vmcnt(0)
	v_add_f64 v[75:76], v[75:76], -v[89:90]
	buffer_store_dword v73, off, s[24:27], 0 offset:320 ; 4-byte Folded Spill
	s_nop 0
	buffer_store_dword v74, off, s[24:27], 0 offset:324 ; 4-byte Folded Spill
	buffer_store_dword v75, off, s[24:27], 0 offset:328 ; 4-byte Folded Spill
	buffer_store_dword v76, off, s[24:27], 0 offset:332 ; 4-byte Folded Spill
	;; [unrolled: 19-line block ×21, first 2 shown]
	ds_read2_b64 v[89:92], v0 offset0:62 offset1:63
	s_waitcnt lgkmcnt(0)
	v_mul_f64 v[95:96], v[91:92], v[99:100]
	v_fma_f64 v[95:96], v[89:90], v[125:126], -v[95:96]
	v_mul_f64 v[89:90], v[89:90], v[99:100]
	v_add_f64 v[81:82], v[81:82], -v[95:96]
	v_fma_f64 v[89:90], v[91:92], v[125:126], v[89:90]
	v_add_f64 v[83:84], v[83:84], -v[89:90]
	ds_read2_b64 v[89:92], v0 offset0:64 offset1:65
	s_waitcnt lgkmcnt(0)
	v_mul_f64 v[95:96], v[91:92], v[99:100]
	v_fma_f64 v[95:96], v[89:90], v[125:126], -v[95:96]
	v_mul_f64 v[89:90], v[89:90], v[99:100]
	v_add_f64 v[85:86], v[85:86], -v[95:96]
	v_fma_f64 v[89:90], v[91:92], v[125:126], v[89:90]
	v_add_f64 v[87:88], v[87:88], -v[89:90]
	ds_read2_b64 v[89:92], v0 offset0:66 offset1:67
	s_waitcnt lgkmcnt(0)
	v_mul_f64 v[95:96], v[91:92], v[99:100]
	v_fma_f64 v[95:96], v[89:90], v[125:126], -v[95:96]
	v_mul_f64 v[89:90], v[89:90], v[99:100]
	v_add_f64 v[109:110], v[109:110], -v[95:96]
	v_fma_f64 v[89:90], v[91:92], v[125:126], v[89:90]
	v_add_f64 v[111:112], v[111:112], -v[89:90]
	ds_read2_b64 v[89:92], v0 offset0:68 offset1:69
	s_waitcnt lgkmcnt(0)
	v_mul_f64 v[95:96], v[91:92], v[99:100]
	v_fma_f64 v[95:96], v[89:90], v[125:126], -v[95:96]
	v_mul_f64 v[89:90], v[89:90], v[99:100]
	v_add_f64 v[113:114], v[113:114], -v[95:96]
	v_fma_f64 v[89:90], v[91:92], v[125:126], v[89:90]
	v_add_f64 v[115:116], v[115:116], -v[89:90]
	ds_read2_b64 v[89:92], v0 offset0:70 offset1:71
	s_waitcnt lgkmcnt(0)
	v_mul_f64 v[95:96], v[91:92], v[99:100]
	v_fma_f64 v[95:96], v[89:90], v[125:126], -v[95:96]
	v_mul_f64 v[89:90], v[89:90], v[99:100]
	v_add_f64 v[77:78], v[77:78], -v[95:96]
	v_fma_f64 v[89:90], v[91:92], v[125:126], v[89:90]
	v_add_f64 v[79:80], v[79:80], -v[89:90]
	ds_read2_b64 v[89:92], v0 offset0:72 offset1:73
	buffer_load_dword v73, off, s[24:27], 0 ; 4-byte Folded Reload
	buffer_load_dword v74, off, s[24:27], 0 offset:4 ; 4-byte Folded Reload
	buffer_load_dword v75, off, s[24:27], 0 offset:8 ; 4-byte Folded Reload
	buffer_load_dword v76, off, s[24:27], 0 offset:12 ; 4-byte Folded Reload
	s_waitcnt lgkmcnt(0)
	v_mul_f64 v[95:96], v[91:92], v[99:100]
	v_fma_f64 v[95:96], v[89:90], v[125:126], -v[95:96]
	v_mul_f64 v[89:90], v[89:90], v[99:100]
	v_fma_f64 v[89:90], v[91:92], v[125:126], v[89:90]
	s_waitcnt vmcnt(2)
	v_add_f64 v[73:74], v[73:74], -v[95:96]
	s_waitcnt vmcnt(0)
	v_add_f64 v[75:76], v[75:76], -v[89:90]
	buffer_store_dword v73, off, s[24:27], 0 ; 4-byte Folded Spill
	s_nop 0
	buffer_store_dword v74, off, s[24:27], 0 offset:4 ; 4-byte Folded Spill
	buffer_store_dword v75, off, s[24:27], 0 offset:8 ; 4-byte Folded Spill
	buffer_store_dword v76, off, s[24:27], 0 offset:12 ; 4-byte Folded Spill
	ds_read2_b64 v[89:92], v0 offset0:74 offset1:75
	s_waitcnt lgkmcnt(0)
	v_mul_f64 v[95:96], v[91:92], v[99:100]
	v_fma_f64 v[95:96], v[89:90], v[125:126], -v[95:96]
	v_mul_f64 v[89:90], v[89:90], v[99:100]
	v_add_f64 v[69:70], v[69:70], -v[95:96]
	v_fma_f64 v[89:90], v[91:92], v[125:126], v[89:90]
	v_add_f64 v[71:72], v[71:72], -v[89:90]
	ds_read2_b64 v[89:92], v0 offset0:76 offset1:77
	s_waitcnt lgkmcnt(0)
	v_mul_f64 v[95:96], v[91:92], v[99:100]
	v_fma_f64 v[95:96], v[89:90], v[125:126], -v[95:96]
	v_mul_f64 v[89:90], v[89:90], v[99:100]
	v_add_f64 v[65:66], v[65:66], -v[95:96]
	v_fma_f64 v[89:90], v[91:92], v[125:126], v[89:90]
	v_add_f64 v[67:68], v[67:68], -v[89:90]
	;; [unrolled: 8-line block ×17, first 2 shown]
	ds_read2_b64 v[89:92], v0 offset0:108 offset1:109
	s_waitcnt lgkmcnt(0)
	v_mul_f64 v[95:96], v[91:92], v[99:100]
	v_fma_f64 v[95:96], v[89:90], v[125:126], -v[95:96]
	v_mul_f64 v[89:90], v[89:90], v[99:100]
	v_add_f64 v[1:2], v[1:2], -v[95:96]
	v_fma_f64 v[89:90], v[91:92], v[125:126], v[89:90]
	ds_read2_b64 v[95:98], v0 offset0:110 offset1:111
	s_waitcnt lgkmcnt(0)
	v_mul_f64 v[91:92], v[95:96], v[99:100]
	v_add_f64 v[3:4], v[3:4], -v[89:90]
	v_mul_f64 v[89:90], v[97:98], v[99:100]
	v_fma_f64 v[91:92], v[97:98], v[125:126], v[91:92]
	v_mov_b32_e32 v97, v125
	v_mov_b32_e32 v98, v126
	v_fma_f64 v[89:90], v[95:96], v[125:126], -v[89:90]
	buffer_store_dword v97, off, s[24:27], 0 offset:352 ; 4-byte Folded Spill
	s_nop 0
	buffer_store_dword v98, off, s[24:27], 0 offset:356 ; 4-byte Folded Spill
	buffer_store_dword v99, off, s[24:27], 0 offset:360 ; 4-byte Folded Spill
	;; [unrolled: 1-line block ×3, first 2 shown]
	v_add_f64 v[123:124], v[123:124], -v[91:92]
	v_add_f64 v[121:122], v[121:122], -v[89:90]
.LBB110_209:
	s_or_b64 exec, exec, s[0:1]
	s_waitcnt vmcnt(0)
	s_barrier
	buffer_load_dword v73, off, s[24:27], 0 offset:336 ; 4-byte Folded Reload
	buffer_load_dword v74, off, s[24:27], 0 offset:340 ; 4-byte Folded Reload
	;; [unrolled: 1-line block ×4, first 2 shown]
	v_lshl_add_u32 v89, v93, 4, v0
	s_cmp_lt_i32 s3, 12
	s_waitcnt vmcnt(0)
	ds_write2_b64 v89, v[73:74], v[75:76] offset1:1
	s_waitcnt lgkmcnt(0)
	s_barrier
	ds_read2_b64 v[117:120], v0 offset0:20 offset1:21
	v_mov_b32_e32 v89, 10
	s_cbranch_scc1 .LBB110_212
; %bb.210:
	v_add_u32_e32 v90, 0xb0, v0
	s_mov_b32 s0, 11
	v_mov_b32_e32 v89, 10
.LBB110_211:                            ; =>This Inner Loop Header: Depth=1
	s_waitcnt lgkmcnt(0)
	v_cmp_gt_f64_e32 vcc, 0, v[117:118]
	v_xor_b32_e32 v91, 0x80000000, v118
	ds_read2_b64 v[95:98], v90 offset1:1
	v_xor_b32_e32 v99, 0x80000000, v120
	v_add_u32_e32 v90, 16, v90
	s_waitcnt lgkmcnt(0)
	v_xor_b32_e32 v101, 0x80000000, v98
	v_cndmask_b32_e32 v92, v118, v91, vcc
	v_cmp_gt_f64_e32 vcc, 0, v[119:120]
	v_mov_b32_e32 v91, v117
	v_cndmask_b32_e32 v100, v120, v99, vcc
	v_cmp_gt_f64_e32 vcc, 0, v[95:96]
	v_mov_b32_e32 v99, v119
	v_add_f64 v[91:92], v[91:92], v[99:100]
	v_xor_b32_e32 v99, 0x80000000, v96
	v_cndmask_b32_e32 v100, v96, v99, vcc
	v_cmp_gt_f64_e32 vcc, 0, v[97:98]
	v_mov_b32_e32 v99, v95
	v_cndmask_b32_e32 v102, v98, v101, vcc
	v_mov_b32_e32 v101, v97
	v_add_f64 v[99:100], v[99:100], v[101:102]
	v_cmp_lt_f64_e32 vcc, v[91:92], v[99:100]
	v_mov_b32_e32 v91, s0
	s_add_i32 s0, s0, 1
	s_cmp_lg_u32 s3, s0
	v_cndmask_b32_e32 v118, v118, v96, vcc
	v_cndmask_b32_e32 v117, v117, v95, vcc
	;; [unrolled: 1-line block ×5, first 2 shown]
	s_cbranch_scc1 .LBB110_211
.LBB110_212:
	s_waitcnt lgkmcnt(0)
	v_cmp_eq_f64_e32 vcc, 0, v[117:118]
	v_cmp_eq_f64_e64 s[0:1], 0, v[119:120]
	s_and_b64 s[0:1], vcc, s[0:1]
	s_and_saveexec_b64 s[18:19], s[0:1]
	s_xor_b64 s[0:1], exec, s[18:19]
; %bb.213:
	v_cmp_ne_u32_e32 vcc, 0, v94
	v_cndmask_b32_e32 v94, 11, v94, vcc
; %bb.214:
	s_andn2_saveexec_b64 s[0:1], s[0:1]
	s_cbranch_execz .LBB110_220
; %bb.215:
	v_cmp_ngt_f64_e64 s[18:19], |v[117:118]|, |v[119:120]|
	s_and_saveexec_b64 s[20:21], s[18:19]
	s_xor_b64 s[18:19], exec, s[20:21]
	s_cbranch_execz .LBB110_217
; %bb.216:
	v_div_scale_f64 v[90:91], s[20:21], v[119:120], v[119:120], v[117:118]
	v_rcp_f64_e32 v[95:96], v[90:91]
	v_fma_f64 v[97:98], -v[90:91], v[95:96], 1.0
	v_fma_f64 v[95:96], v[95:96], v[97:98], v[95:96]
	v_div_scale_f64 v[97:98], vcc, v[117:118], v[119:120], v[117:118]
	v_fma_f64 v[99:100], -v[90:91], v[95:96], 1.0
	v_fma_f64 v[95:96], v[95:96], v[99:100], v[95:96]
	v_mul_f64 v[99:100], v[97:98], v[95:96]
	v_fma_f64 v[90:91], -v[90:91], v[99:100], v[97:98]
	v_div_fmas_f64 v[90:91], v[90:91], v[95:96], v[99:100]
	v_div_fixup_f64 v[90:91], v[90:91], v[119:120], v[117:118]
	v_fma_f64 v[95:96], v[117:118], v[90:91], v[119:120]
	v_div_scale_f64 v[97:98], s[20:21], v[95:96], v[95:96], 1.0
	v_div_scale_f64 v[103:104], vcc, 1.0, v[95:96], 1.0
	v_rcp_f64_e32 v[99:100], v[97:98]
	v_fma_f64 v[101:102], -v[97:98], v[99:100], 1.0
	v_fma_f64 v[99:100], v[99:100], v[101:102], v[99:100]
	v_fma_f64 v[101:102], -v[97:98], v[99:100], 1.0
	v_fma_f64 v[99:100], v[99:100], v[101:102], v[99:100]
	v_mul_f64 v[101:102], v[103:104], v[99:100]
	v_fma_f64 v[97:98], -v[97:98], v[101:102], v[103:104]
	v_div_fmas_f64 v[97:98], v[97:98], v[99:100], v[101:102]
	v_div_fixup_f64 v[119:120], v[97:98], v[95:96], 1.0
	v_mul_f64 v[117:118], v[90:91], v[119:120]
	v_xor_b32_e32 v120, 0x80000000, v120
.LBB110_217:
	s_andn2_saveexec_b64 s[18:19], s[18:19]
	s_cbranch_execz .LBB110_219
; %bb.218:
	v_div_scale_f64 v[90:91], s[20:21], v[117:118], v[117:118], v[119:120]
	v_rcp_f64_e32 v[95:96], v[90:91]
	v_fma_f64 v[97:98], -v[90:91], v[95:96], 1.0
	v_fma_f64 v[95:96], v[95:96], v[97:98], v[95:96]
	v_div_scale_f64 v[97:98], vcc, v[119:120], v[117:118], v[119:120]
	v_fma_f64 v[99:100], -v[90:91], v[95:96], 1.0
	v_fma_f64 v[95:96], v[95:96], v[99:100], v[95:96]
	v_mul_f64 v[99:100], v[97:98], v[95:96]
	v_fma_f64 v[90:91], -v[90:91], v[99:100], v[97:98]
	v_div_fmas_f64 v[90:91], v[90:91], v[95:96], v[99:100]
	v_div_fixup_f64 v[90:91], v[90:91], v[117:118], v[119:120]
	v_fma_f64 v[95:96], v[119:120], v[90:91], v[117:118]
	v_div_scale_f64 v[97:98], s[20:21], v[95:96], v[95:96], 1.0
	v_div_scale_f64 v[103:104], vcc, 1.0, v[95:96], 1.0
	v_rcp_f64_e32 v[99:100], v[97:98]
	v_fma_f64 v[101:102], -v[97:98], v[99:100], 1.0
	v_fma_f64 v[99:100], v[99:100], v[101:102], v[99:100]
	v_fma_f64 v[101:102], -v[97:98], v[99:100], 1.0
	v_fma_f64 v[99:100], v[99:100], v[101:102], v[99:100]
	v_mul_f64 v[101:102], v[103:104], v[99:100]
	v_fma_f64 v[97:98], -v[97:98], v[101:102], v[103:104]
	v_div_fmas_f64 v[97:98], v[97:98], v[99:100], v[101:102]
	v_div_fixup_f64 v[117:118], v[97:98], v[95:96], 1.0
	v_mul_f64 v[119:120], v[90:91], -v[117:118]
.LBB110_219:
	s_or_b64 exec, exec, s[18:19]
.LBB110_220:
	s_or_b64 exec, exec, s[0:1]
	v_cmp_ne_u32_e32 vcc, v93, v89
	s_and_saveexec_b64 s[0:1], vcc
	s_xor_b64 s[0:1], exec, s[0:1]
	s_cbranch_execz .LBB110_226
; %bb.221:
	v_cmp_eq_u32_e32 vcc, 10, v93
	s_and_saveexec_b64 s[18:19], vcc
	s_cbranch_execz .LBB110_225
; %bb.222:
	v_cmp_ne_u32_e32 vcc, 10, v89
	s_xor_b64 s[20:21], s[6:7], -1
	s_and_b64 s[22:23], s[20:21], vcc
	s_and_saveexec_b64 s[20:21], s[22:23]
	s_cbranch_execz .LBB110_224
; %bb.223:
	v_mov_b32_e32 v73, v81
	v_mov_b32_e32 v74, v82
	;; [unrolled: 1-line block ×4, first 2 shown]
	buffer_load_dword v81, off, s[24:27], 0 offset:448 ; 4-byte Folded Reload
	buffer_load_dword v82, off, s[24:27], 0 offset:452 ; 4-byte Folded Reload
	v_ashrrev_i32_e32 v90, 31, v89
	v_lshlrev_b64 v[90:91], 2, v[89:90]
	s_waitcnt vmcnt(1)
	v_add_co_u32_e32 v90, vcc, v81, v90
	s_waitcnt vmcnt(0)
	v_addc_co_u32_e32 v91, vcc, v82, v91, vcc
	global_load_dword v92, v[90:91], off
	global_load_dword v93, v[81:82], off offset:40
	s_waitcnt vmcnt(1)
	global_store_dword v[81:82], v92, off offset:40
	v_mov_b32_e32 v84, v76
	v_mov_b32_e32 v83, v75
	;; [unrolled: 1-line block ×4, first 2 shown]
	s_waitcnt vmcnt(1)
	global_store_dword v[90:91], v93, off
.LBB110_224:
	s_or_b64 exec, exec, s[20:21]
	v_mov_b32_e32 v93, v89
	v_mov_b32_e32 v127, v89
.LBB110_225:
	s_or_b64 exec, exec, s[18:19]
.LBB110_226:
	s_andn2_saveexec_b64 s[0:1], s[0:1]
	s_cbranch_execz .LBB110_228
; %bb.227:
	buffer_load_dword v73, off, s[24:27], 0 offset:320 ; 4-byte Folded Reload
	buffer_load_dword v74, off, s[24:27], 0 offset:324 ; 4-byte Folded Reload
	;; [unrolled: 1-line block ×4, first 2 shown]
	v_mov_b32_e32 v93, 10
	s_waitcnt vmcnt(0)
	ds_write2_b64 v0, v[73:74], v[75:76] offset0:22 offset1:23
	buffer_load_dword v73, off, s[24:27], 0 offset:304 ; 4-byte Folded Reload
	buffer_load_dword v74, off, s[24:27], 0 offset:308 ; 4-byte Folded Reload
	buffer_load_dword v75, off, s[24:27], 0 offset:312 ; 4-byte Folded Reload
	buffer_load_dword v76, off, s[24:27], 0 offset:316 ; 4-byte Folded Reload
	s_waitcnt vmcnt(0)
	ds_write2_b64 v0, v[73:74], v[75:76] offset0:24 offset1:25
	buffer_load_dword v73, off, s[24:27], 0 offset:288 ; 4-byte Folded Reload
	buffer_load_dword v74, off, s[24:27], 0 offset:292 ; 4-byte Folded Reload
	buffer_load_dword v75, off, s[24:27], 0 offset:296 ; 4-byte Folded Reload
	buffer_load_dword v76, off, s[24:27], 0 offset:300 ; 4-byte Folded Reload
	;; [unrolled: 6-line block ×19, first 2 shown]
	s_waitcnt vmcnt(0)
	ds_write2_b64 v0, v[73:74], v[75:76] offset0:60 offset1:61
	ds_write2_b64 v0, v[81:82], v[83:84] offset0:62 offset1:63
	;; [unrolled: 1-line block ×6, first 2 shown]
	buffer_load_dword v73, off, s[24:27], 0 ; 4-byte Folded Reload
	buffer_load_dword v74, off, s[24:27], 0 offset:4 ; 4-byte Folded Reload
	buffer_load_dword v75, off, s[24:27], 0 offset:8 ; 4-byte Folded Reload
	;; [unrolled: 1-line block ×3, first 2 shown]
	s_waitcnt vmcnt(0)
	ds_write2_b64 v0, v[73:74], v[75:76] offset0:72 offset1:73
	ds_write2_b64 v0, v[69:70], v[71:72] offset0:74 offset1:75
	;; [unrolled: 1-line block ×20, first 2 shown]
.LBB110_228:
	s_or_b64 exec, exec, s[0:1]
	v_cmp_lt_i32_e32 vcc, 10, v93
	s_waitcnt vmcnt(0) lgkmcnt(0)
	s_barrier
	s_and_saveexec_b64 s[0:1], vcc
	s_cbranch_execz .LBB110_230
; %bb.229:
	buffer_load_dword v97, off, s[24:27], 0 offset:336 ; 4-byte Folded Reload
	buffer_load_dword v98, off, s[24:27], 0 offset:340 ; 4-byte Folded Reload
	;; [unrolled: 1-line block ×4, first 2 shown]
	s_waitcnt vmcnt(0)
	v_mul_f64 v[89:90], v[119:120], v[99:100]
	v_fma_f64 v[125:126], v[117:118], v[97:98], -v[89:90]
	v_mul_f64 v[89:90], v[117:118], v[99:100]
	v_fma_f64 v[99:100], v[119:120], v[97:98], v[89:90]
	ds_read2_b64 v[89:92], v0 offset0:22 offset1:23
	buffer_load_dword v73, off, s[24:27], 0 offset:320 ; 4-byte Folded Reload
	buffer_load_dword v74, off, s[24:27], 0 offset:324 ; 4-byte Folded Reload
	buffer_load_dword v75, off, s[24:27], 0 offset:328 ; 4-byte Folded Reload
	buffer_load_dword v76, off, s[24:27], 0 offset:332 ; 4-byte Folded Reload
	s_waitcnt lgkmcnt(0)
	v_mul_f64 v[95:96], v[91:92], v[99:100]
	v_fma_f64 v[95:96], v[89:90], v[125:126], -v[95:96]
	v_mul_f64 v[89:90], v[89:90], v[99:100]
	v_fma_f64 v[89:90], v[91:92], v[125:126], v[89:90]
	s_waitcnt vmcnt(2)
	v_add_f64 v[73:74], v[73:74], -v[95:96]
	s_waitcnt vmcnt(0)
	v_add_f64 v[75:76], v[75:76], -v[89:90]
	buffer_store_dword v73, off, s[24:27], 0 offset:320 ; 4-byte Folded Spill
	s_nop 0
	buffer_store_dword v74, off, s[24:27], 0 offset:324 ; 4-byte Folded Spill
	buffer_store_dword v75, off, s[24:27], 0 offset:328 ; 4-byte Folded Spill
	buffer_store_dword v76, off, s[24:27], 0 offset:332 ; 4-byte Folded Spill
	ds_read2_b64 v[89:92], v0 offset0:24 offset1:25
	buffer_load_dword v73, off, s[24:27], 0 offset:304 ; 4-byte Folded Reload
	buffer_load_dword v74, off, s[24:27], 0 offset:308 ; 4-byte Folded Reload
	buffer_load_dword v75, off, s[24:27], 0 offset:312 ; 4-byte Folded Reload
	buffer_load_dword v76, off, s[24:27], 0 offset:316 ; 4-byte Folded Reload
	s_waitcnt lgkmcnt(0)
	v_mul_f64 v[95:96], v[91:92], v[99:100]
	v_fma_f64 v[95:96], v[89:90], v[125:126], -v[95:96]
	v_mul_f64 v[89:90], v[89:90], v[99:100]
	v_fma_f64 v[89:90], v[91:92], v[125:126], v[89:90]
	s_waitcnt vmcnt(2)
	v_add_f64 v[73:74], v[73:74], -v[95:96]
	s_waitcnt vmcnt(0)
	v_add_f64 v[75:76], v[75:76], -v[89:90]
	buffer_store_dword v73, off, s[24:27], 0 offset:304 ; 4-byte Folded Spill
	s_nop 0
	buffer_store_dword v74, off, s[24:27], 0 offset:308 ; 4-byte Folded Spill
	buffer_store_dword v75, off, s[24:27], 0 offset:312 ; 4-byte Folded Spill
	buffer_store_dword v76, off, s[24:27], 0 offset:316 ; 4-byte Folded Spill
	;; [unrolled: 19-line block ×20, first 2 shown]
	ds_read2_b64 v[89:92], v0 offset0:62 offset1:63
	s_waitcnt lgkmcnt(0)
	v_mul_f64 v[95:96], v[91:92], v[99:100]
	v_fma_f64 v[95:96], v[89:90], v[125:126], -v[95:96]
	v_mul_f64 v[89:90], v[89:90], v[99:100]
	v_add_f64 v[81:82], v[81:82], -v[95:96]
	v_fma_f64 v[89:90], v[91:92], v[125:126], v[89:90]
	v_add_f64 v[83:84], v[83:84], -v[89:90]
	ds_read2_b64 v[89:92], v0 offset0:64 offset1:65
	s_waitcnt lgkmcnt(0)
	v_mul_f64 v[95:96], v[91:92], v[99:100]
	v_fma_f64 v[95:96], v[89:90], v[125:126], -v[95:96]
	v_mul_f64 v[89:90], v[89:90], v[99:100]
	v_add_f64 v[85:86], v[85:86], -v[95:96]
	v_fma_f64 v[89:90], v[91:92], v[125:126], v[89:90]
	v_add_f64 v[87:88], v[87:88], -v[89:90]
	;; [unrolled: 8-line block ×5, first 2 shown]
	ds_read2_b64 v[89:92], v0 offset0:72 offset1:73
	buffer_load_dword v73, off, s[24:27], 0 ; 4-byte Folded Reload
	buffer_load_dword v74, off, s[24:27], 0 offset:4 ; 4-byte Folded Reload
	buffer_load_dword v75, off, s[24:27], 0 offset:8 ; 4-byte Folded Reload
	buffer_load_dword v76, off, s[24:27], 0 offset:12 ; 4-byte Folded Reload
	s_waitcnt lgkmcnt(0)
	v_mul_f64 v[95:96], v[91:92], v[99:100]
	v_fma_f64 v[95:96], v[89:90], v[125:126], -v[95:96]
	v_mul_f64 v[89:90], v[89:90], v[99:100]
	v_fma_f64 v[89:90], v[91:92], v[125:126], v[89:90]
	s_waitcnt vmcnt(2)
	v_add_f64 v[73:74], v[73:74], -v[95:96]
	s_waitcnt vmcnt(0)
	v_add_f64 v[75:76], v[75:76], -v[89:90]
	buffer_store_dword v73, off, s[24:27], 0 ; 4-byte Folded Spill
	s_nop 0
	buffer_store_dword v74, off, s[24:27], 0 offset:4 ; 4-byte Folded Spill
	buffer_store_dword v75, off, s[24:27], 0 offset:8 ; 4-byte Folded Spill
	;; [unrolled: 1-line block ×3, first 2 shown]
	ds_read2_b64 v[89:92], v0 offset0:74 offset1:75
	s_waitcnt lgkmcnt(0)
	v_mul_f64 v[95:96], v[91:92], v[99:100]
	v_fma_f64 v[95:96], v[89:90], v[125:126], -v[95:96]
	v_mul_f64 v[89:90], v[89:90], v[99:100]
	v_add_f64 v[69:70], v[69:70], -v[95:96]
	v_fma_f64 v[89:90], v[91:92], v[125:126], v[89:90]
	v_add_f64 v[71:72], v[71:72], -v[89:90]
	ds_read2_b64 v[89:92], v0 offset0:76 offset1:77
	s_waitcnt lgkmcnt(0)
	v_mul_f64 v[95:96], v[91:92], v[99:100]
	v_fma_f64 v[95:96], v[89:90], v[125:126], -v[95:96]
	v_mul_f64 v[89:90], v[89:90], v[99:100]
	v_add_f64 v[65:66], v[65:66], -v[95:96]
	v_fma_f64 v[89:90], v[91:92], v[125:126], v[89:90]
	v_add_f64 v[67:68], v[67:68], -v[89:90]
	;; [unrolled: 8-line block ×17, first 2 shown]
	ds_read2_b64 v[89:92], v0 offset0:108 offset1:109
	s_waitcnt lgkmcnt(0)
	v_mul_f64 v[95:96], v[91:92], v[99:100]
	v_fma_f64 v[95:96], v[89:90], v[125:126], -v[95:96]
	v_mul_f64 v[89:90], v[89:90], v[99:100]
	v_add_f64 v[1:2], v[1:2], -v[95:96]
	v_fma_f64 v[89:90], v[91:92], v[125:126], v[89:90]
	ds_read2_b64 v[95:98], v0 offset0:110 offset1:111
	s_waitcnt lgkmcnt(0)
	v_mul_f64 v[91:92], v[95:96], v[99:100]
	v_add_f64 v[3:4], v[3:4], -v[89:90]
	v_mul_f64 v[89:90], v[97:98], v[99:100]
	v_fma_f64 v[91:92], v[97:98], v[125:126], v[91:92]
	v_mov_b32_e32 v97, v125
	v_mov_b32_e32 v98, v126
	v_fma_f64 v[89:90], v[95:96], v[125:126], -v[89:90]
	buffer_store_dword v97, off, s[24:27], 0 offset:336 ; 4-byte Folded Spill
	s_nop 0
	buffer_store_dword v98, off, s[24:27], 0 offset:340 ; 4-byte Folded Spill
	buffer_store_dword v99, off, s[24:27], 0 offset:344 ; 4-byte Folded Spill
	;; [unrolled: 1-line block ×3, first 2 shown]
	v_add_f64 v[123:124], v[123:124], -v[91:92]
	v_add_f64 v[121:122], v[121:122], -v[89:90]
.LBB110_230:
	s_or_b64 exec, exec, s[0:1]
	s_waitcnt vmcnt(0)
	s_barrier
	buffer_load_dword v73, off, s[24:27], 0 offset:320 ; 4-byte Folded Reload
	buffer_load_dword v74, off, s[24:27], 0 offset:324 ; 4-byte Folded Reload
	;; [unrolled: 1-line block ×4, first 2 shown]
	v_lshl_add_u32 v89, v93, 4, v0
	s_cmp_lt_i32 s3, 13
	s_waitcnt vmcnt(0)
	ds_write2_b64 v89, v[73:74], v[75:76] offset1:1
	s_waitcnt lgkmcnt(0)
	s_barrier
	ds_read2_b64 v[117:120], v0 offset0:22 offset1:23
	v_mov_b32_e32 v89, 11
	s_cbranch_scc1 .LBB110_233
; %bb.231:
	v_add_u32_e32 v90, 0xc0, v0
	s_mov_b32 s0, 12
	v_mov_b32_e32 v89, 11
.LBB110_232:                            ; =>This Inner Loop Header: Depth=1
	s_waitcnt lgkmcnt(0)
	v_cmp_gt_f64_e32 vcc, 0, v[117:118]
	v_xor_b32_e32 v91, 0x80000000, v118
	ds_read2_b64 v[95:98], v90 offset1:1
	v_xor_b32_e32 v99, 0x80000000, v120
	v_add_u32_e32 v90, 16, v90
	s_waitcnt lgkmcnt(0)
	v_xor_b32_e32 v101, 0x80000000, v98
	v_cndmask_b32_e32 v92, v118, v91, vcc
	v_cmp_gt_f64_e32 vcc, 0, v[119:120]
	v_mov_b32_e32 v91, v117
	v_cndmask_b32_e32 v100, v120, v99, vcc
	v_cmp_gt_f64_e32 vcc, 0, v[95:96]
	v_mov_b32_e32 v99, v119
	v_add_f64 v[91:92], v[91:92], v[99:100]
	v_xor_b32_e32 v99, 0x80000000, v96
	v_cndmask_b32_e32 v100, v96, v99, vcc
	v_cmp_gt_f64_e32 vcc, 0, v[97:98]
	v_mov_b32_e32 v99, v95
	v_cndmask_b32_e32 v102, v98, v101, vcc
	v_mov_b32_e32 v101, v97
	v_add_f64 v[99:100], v[99:100], v[101:102]
	v_cmp_lt_f64_e32 vcc, v[91:92], v[99:100]
	v_mov_b32_e32 v91, s0
	s_add_i32 s0, s0, 1
	s_cmp_lg_u32 s3, s0
	v_cndmask_b32_e32 v118, v118, v96, vcc
	v_cndmask_b32_e32 v117, v117, v95, vcc
	;; [unrolled: 1-line block ×5, first 2 shown]
	s_cbranch_scc1 .LBB110_232
.LBB110_233:
	s_waitcnt lgkmcnt(0)
	v_cmp_eq_f64_e32 vcc, 0, v[117:118]
	v_cmp_eq_f64_e64 s[0:1], 0, v[119:120]
	s_and_b64 s[0:1], vcc, s[0:1]
	s_and_saveexec_b64 s[18:19], s[0:1]
	s_xor_b64 s[0:1], exec, s[18:19]
; %bb.234:
	v_cmp_ne_u32_e32 vcc, 0, v94
	v_cndmask_b32_e32 v94, 12, v94, vcc
; %bb.235:
	s_andn2_saveexec_b64 s[0:1], s[0:1]
	s_cbranch_execz .LBB110_241
; %bb.236:
	v_cmp_ngt_f64_e64 s[18:19], |v[117:118]|, |v[119:120]|
	s_and_saveexec_b64 s[20:21], s[18:19]
	s_xor_b64 s[18:19], exec, s[20:21]
	s_cbranch_execz .LBB110_238
; %bb.237:
	v_div_scale_f64 v[90:91], s[20:21], v[119:120], v[119:120], v[117:118]
	v_rcp_f64_e32 v[95:96], v[90:91]
	v_fma_f64 v[97:98], -v[90:91], v[95:96], 1.0
	v_fma_f64 v[95:96], v[95:96], v[97:98], v[95:96]
	v_div_scale_f64 v[97:98], vcc, v[117:118], v[119:120], v[117:118]
	v_fma_f64 v[99:100], -v[90:91], v[95:96], 1.0
	v_fma_f64 v[95:96], v[95:96], v[99:100], v[95:96]
	v_mul_f64 v[99:100], v[97:98], v[95:96]
	v_fma_f64 v[90:91], -v[90:91], v[99:100], v[97:98]
	v_div_fmas_f64 v[90:91], v[90:91], v[95:96], v[99:100]
	v_div_fixup_f64 v[90:91], v[90:91], v[119:120], v[117:118]
	v_fma_f64 v[95:96], v[117:118], v[90:91], v[119:120]
	v_div_scale_f64 v[97:98], s[20:21], v[95:96], v[95:96], 1.0
	v_div_scale_f64 v[103:104], vcc, 1.0, v[95:96], 1.0
	v_rcp_f64_e32 v[99:100], v[97:98]
	v_fma_f64 v[101:102], -v[97:98], v[99:100], 1.0
	v_fma_f64 v[99:100], v[99:100], v[101:102], v[99:100]
	v_fma_f64 v[101:102], -v[97:98], v[99:100], 1.0
	v_fma_f64 v[99:100], v[99:100], v[101:102], v[99:100]
	v_mul_f64 v[101:102], v[103:104], v[99:100]
	v_fma_f64 v[97:98], -v[97:98], v[101:102], v[103:104]
	v_div_fmas_f64 v[97:98], v[97:98], v[99:100], v[101:102]
	v_div_fixup_f64 v[119:120], v[97:98], v[95:96], 1.0
	v_mul_f64 v[117:118], v[90:91], v[119:120]
	v_xor_b32_e32 v120, 0x80000000, v120
.LBB110_238:
	s_andn2_saveexec_b64 s[18:19], s[18:19]
	s_cbranch_execz .LBB110_240
; %bb.239:
	v_div_scale_f64 v[90:91], s[20:21], v[117:118], v[117:118], v[119:120]
	v_rcp_f64_e32 v[95:96], v[90:91]
	v_fma_f64 v[97:98], -v[90:91], v[95:96], 1.0
	v_fma_f64 v[95:96], v[95:96], v[97:98], v[95:96]
	v_div_scale_f64 v[97:98], vcc, v[119:120], v[117:118], v[119:120]
	v_fma_f64 v[99:100], -v[90:91], v[95:96], 1.0
	v_fma_f64 v[95:96], v[95:96], v[99:100], v[95:96]
	v_mul_f64 v[99:100], v[97:98], v[95:96]
	v_fma_f64 v[90:91], -v[90:91], v[99:100], v[97:98]
	v_div_fmas_f64 v[90:91], v[90:91], v[95:96], v[99:100]
	v_div_fixup_f64 v[90:91], v[90:91], v[117:118], v[119:120]
	v_fma_f64 v[95:96], v[119:120], v[90:91], v[117:118]
	v_div_scale_f64 v[97:98], s[20:21], v[95:96], v[95:96], 1.0
	v_div_scale_f64 v[103:104], vcc, 1.0, v[95:96], 1.0
	v_rcp_f64_e32 v[99:100], v[97:98]
	v_fma_f64 v[101:102], -v[97:98], v[99:100], 1.0
	v_fma_f64 v[99:100], v[99:100], v[101:102], v[99:100]
	v_fma_f64 v[101:102], -v[97:98], v[99:100], 1.0
	v_fma_f64 v[99:100], v[99:100], v[101:102], v[99:100]
	v_mul_f64 v[101:102], v[103:104], v[99:100]
	v_fma_f64 v[97:98], -v[97:98], v[101:102], v[103:104]
	v_div_fmas_f64 v[97:98], v[97:98], v[99:100], v[101:102]
	v_div_fixup_f64 v[117:118], v[97:98], v[95:96], 1.0
	v_mul_f64 v[119:120], v[90:91], -v[117:118]
.LBB110_240:
	s_or_b64 exec, exec, s[18:19]
.LBB110_241:
	s_or_b64 exec, exec, s[0:1]
	v_cmp_ne_u32_e32 vcc, v93, v89
	s_and_saveexec_b64 s[0:1], vcc
	s_xor_b64 s[0:1], exec, s[0:1]
	s_cbranch_execz .LBB110_247
; %bb.242:
	v_cmp_eq_u32_e32 vcc, 11, v93
	s_and_saveexec_b64 s[18:19], vcc
	s_cbranch_execz .LBB110_246
; %bb.243:
	v_cmp_ne_u32_e32 vcc, 11, v89
	s_xor_b64 s[20:21], s[6:7], -1
	s_and_b64 s[22:23], s[20:21], vcc
	s_and_saveexec_b64 s[20:21], s[22:23]
	s_cbranch_execz .LBB110_245
; %bb.244:
	v_mov_b32_e32 v73, v81
	v_mov_b32_e32 v74, v82
	;; [unrolled: 1-line block ×4, first 2 shown]
	buffer_load_dword v81, off, s[24:27], 0 offset:448 ; 4-byte Folded Reload
	buffer_load_dword v82, off, s[24:27], 0 offset:452 ; 4-byte Folded Reload
	v_ashrrev_i32_e32 v90, 31, v89
	v_lshlrev_b64 v[90:91], 2, v[89:90]
	s_waitcnt vmcnt(1)
	v_add_co_u32_e32 v90, vcc, v81, v90
	s_waitcnt vmcnt(0)
	v_addc_co_u32_e32 v91, vcc, v82, v91, vcc
	global_load_dword v92, v[90:91], off
	global_load_dword v93, v[81:82], off offset:44
	s_waitcnt vmcnt(1)
	global_store_dword v[81:82], v92, off offset:44
	v_mov_b32_e32 v84, v76
	v_mov_b32_e32 v83, v75
	;; [unrolled: 1-line block ×4, first 2 shown]
	s_waitcnt vmcnt(1)
	global_store_dword v[90:91], v93, off
.LBB110_245:
	s_or_b64 exec, exec, s[20:21]
	v_mov_b32_e32 v93, v89
	v_mov_b32_e32 v127, v89
.LBB110_246:
	s_or_b64 exec, exec, s[18:19]
.LBB110_247:
	s_andn2_saveexec_b64 s[0:1], s[0:1]
	s_cbranch_execz .LBB110_249
; %bb.248:
	buffer_load_dword v73, off, s[24:27], 0 offset:304 ; 4-byte Folded Reload
	buffer_load_dword v74, off, s[24:27], 0 offset:308 ; 4-byte Folded Reload
	;; [unrolled: 1-line block ×4, first 2 shown]
	v_mov_b32_e32 v93, 11
	s_waitcnt vmcnt(0)
	ds_write2_b64 v0, v[73:74], v[75:76] offset0:24 offset1:25
	buffer_load_dword v73, off, s[24:27], 0 offset:288 ; 4-byte Folded Reload
	buffer_load_dword v74, off, s[24:27], 0 offset:292 ; 4-byte Folded Reload
	buffer_load_dword v75, off, s[24:27], 0 offset:296 ; 4-byte Folded Reload
	buffer_load_dword v76, off, s[24:27], 0 offset:300 ; 4-byte Folded Reload
	s_waitcnt vmcnt(0)
	ds_write2_b64 v0, v[73:74], v[75:76] offset0:26 offset1:27
	buffer_load_dword v73, off, s[24:27], 0 offset:272 ; 4-byte Folded Reload
	buffer_load_dword v74, off, s[24:27], 0 offset:276 ; 4-byte Folded Reload
	buffer_load_dword v75, off, s[24:27], 0 offset:280 ; 4-byte Folded Reload
	buffer_load_dword v76, off, s[24:27], 0 offset:284 ; 4-byte Folded Reload
	;; [unrolled: 6-line block ×18, first 2 shown]
	s_waitcnt vmcnt(0)
	ds_write2_b64 v0, v[73:74], v[75:76] offset0:60 offset1:61
	ds_write2_b64 v0, v[81:82], v[83:84] offset0:62 offset1:63
	;; [unrolled: 1-line block ×6, first 2 shown]
	buffer_load_dword v73, off, s[24:27], 0 ; 4-byte Folded Reload
	buffer_load_dword v74, off, s[24:27], 0 offset:4 ; 4-byte Folded Reload
	buffer_load_dword v75, off, s[24:27], 0 offset:8 ; 4-byte Folded Reload
	;; [unrolled: 1-line block ×3, first 2 shown]
	s_waitcnt vmcnt(0)
	ds_write2_b64 v0, v[73:74], v[75:76] offset0:72 offset1:73
	ds_write2_b64 v0, v[69:70], v[71:72] offset0:74 offset1:75
	;; [unrolled: 1-line block ×20, first 2 shown]
.LBB110_249:
	s_or_b64 exec, exec, s[0:1]
	v_cmp_lt_i32_e32 vcc, 11, v93
	s_waitcnt vmcnt(0) lgkmcnt(0)
	s_barrier
	s_and_saveexec_b64 s[0:1], vcc
	s_cbranch_execz .LBB110_251
; %bb.250:
	buffer_load_dword v97, off, s[24:27], 0 offset:320 ; 4-byte Folded Reload
	buffer_load_dword v98, off, s[24:27], 0 offset:324 ; 4-byte Folded Reload
	;; [unrolled: 1-line block ×4, first 2 shown]
	s_waitcnt vmcnt(0)
	v_mul_f64 v[89:90], v[119:120], v[99:100]
	v_fma_f64 v[125:126], v[117:118], v[97:98], -v[89:90]
	v_mul_f64 v[89:90], v[117:118], v[99:100]
	v_fma_f64 v[99:100], v[119:120], v[97:98], v[89:90]
	ds_read2_b64 v[89:92], v0 offset0:24 offset1:25
	buffer_load_dword v73, off, s[24:27], 0 offset:304 ; 4-byte Folded Reload
	buffer_load_dword v74, off, s[24:27], 0 offset:308 ; 4-byte Folded Reload
	buffer_load_dword v75, off, s[24:27], 0 offset:312 ; 4-byte Folded Reload
	buffer_load_dword v76, off, s[24:27], 0 offset:316 ; 4-byte Folded Reload
	s_waitcnt lgkmcnt(0)
	v_mul_f64 v[95:96], v[91:92], v[99:100]
	v_fma_f64 v[95:96], v[89:90], v[125:126], -v[95:96]
	v_mul_f64 v[89:90], v[89:90], v[99:100]
	v_fma_f64 v[89:90], v[91:92], v[125:126], v[89:90]
	s_waitcnt vmcnt(2)
	v_add_f64 v[73:74], v[73:74], -v[95:96]
	s_waitcnt vmcnt(0)
	v_add_f64 v[75:76], v[75:76], -v[89:90]
	buffer_store_dword v73, off, s[24:27], 0 offset:304 ; 4-byte Folded Spill
	s_nop 0
	buffer_store_dword v74, off, s[24:27], 0 offset:308 ; 4-byte Folded Spill
	buffer_store_dword v75, off, s[24:27], 0 offset:312 ; 4-byte Folded Spill
	buffer_store_dword v76, off, s[24:27], 0 offset:316 ; 4-byte Folded Spill
	ds_read2_b64 v[89:92], v0 offset0:26 offset1:27
	buffer_load_dword v73, off, s[24:27], 0 offset:288 ; 4-byte Folded Reload
	buffer_load_dword v74, off, s[24:27], 0 offset:292 ; 4-byte Folded Reload
	buffer_load_dword v75, off, s[24:27], 0 offset:296 ; 4-byte Folded Reload
	buffer_load_dword v76, off, s[24:27], 0 offset:300 ; 4-byte Folded Reload
	s_waitcnt lgkmcnt(0)
	v_mul_f64 v[95:96], v[91:92], v[99:100]
	v_fma_f64 v[95:96], v[89:90], v[125:126], -v[95:96]
	v_mul_f64 v[89:90], v[89:90], v[99:100]
	v_fma_f64 v[89:90], v[91:92], v[125:126], v[89:90]
	s_waitcnt vmcnt(2)
	v_add_f64 v[73:74], v[73:74], -v[95:96]
	s_waitcnt vmcnt(0)
	v_add_f64 v[75:76], v[75:76], -v[89:90]
	buffer_store_dword v73, off, s[24:27], 0 offset:288 ; 4-byte Folded Spill
	s_nop 0
	buffer_store_dword v74, off, s[24:27], 0 offset:292 ; 4-byte Folded Spill
	buffer_store_dword v75, off, s[24:27], 0 offset:296 ; 4-byte Folded Spill
	buffer_store_dword v76, off, s[24:27], 0 offset:300 ; 4-byte Folded Spill
	ds_read2_b64 v[89:92], v0 offset0:28 offset1:29
	buffer_load_dword v73, off, s[24:27], 0 offset:272 ; 4-byte Folded Reload
	buffer_load_dword v74, off, s[24:27], 0 offset:276 ; 4-byte Folded Reload
	buffer_load_dword v75, off, s[24:27], 0 offset:280 ; 4-byte Folded Reload
	buffer_load_dword v76, off, s[24:27], 0 offset:284 ; 4-byte Folded Reload
	s_waitcnt lgkmcnt(0)
	v_mul_f64 v[95:96], v[91:92], v[99:100]
	v_fma_f64 v[95:96], v[89:90], v[125:126], -v[95:96]
	v_mul_f64 v[89:90], v[89:90], v[99:100]
	v_fma_f64 v[89:90], v[91:92], v[125:126], v[89:90]
	s_waitcnt vmcnt(2)
	v_add_f64 v[73:74], v[73:74], -v[95:96]
	s_waitcnt vmcnt(0)
	v_add_f64 v[75:76], v[75:76], -v[89:90]
	buffer_store_dword v73, off, s[24:27], 0 offset:272 ; 4-byte Folded Spill
	s_nop 0
	buffer_store_dword v74, off, s[24:27], 0 offset:276 ; 4-byte Folded Spill
	buffer_store_dword v75, off, s[24:27], 0 offset:280 ; 4-byte Folded Spill
	buffer_store_dword v76, off, s[24:27], 0 offset:284 ; 4-byte Folded Spill
	ds_read2_b64 v[89:92], v0 offset0:30 offset1:31
	buffer_load_dword v73, off, s[24:27], 0 offset:256 ; 4-byte Folded Reload
	buffer_load_dword v74, off, s[24:27], 0 offset:260 ; 4-byte Folded Reload
	buffer_load_dword v75, off, s[24:27], 0 offset:264 ; 4-byte Folded Reload
	buffer_load_dword v76, off, s[24:27], 0 offset:268 ; 4-byte Folded Reload
	s_waitcnt lgkmcnt(0)
	v_mul_f64 v[95:96], v[91:92], v[99:100]
	v_fma_f64 v[95:96], v[89:90], v[125:126], -v[95:96]
	v_mul_f64 v[89:90], v[89:90], v[99:100]
	v_fma_f64 v[89:90], v[91:92], v[125:126], v[89:90]
	s_waitcnt vmcnt(2)
	v_add_f64 v[73:74], v[73:74], -v[95:96]
	s_waitcnt vmcnt(0)
	v_add_f64 v[75:76], v[75:76], -v[89:90]
	buffer_store_dword v73, off, s[24:27], 0 offset:256 ; 4-byte Folded Spill
	s_nop 0
	buffer_store_dword v74, off, s[24:27], 0 offset:260 ; 4-byte Folded Spill
	buffer_store_dword v75, off, s[24:27], 0 offset:264 ; 4-byte Folded Spill
	buffer_store_dword v76, off, s[24:27], 0 offset:268 ; 4-byte Folded Spill
	ds_read2_b64 v[89:92], v0 offset0:32 offset1:33
	buffer_load_dword v73, off, s[24:27], 0 offset:240 ; 4-byte Folded Reload
	buffer_load_dword v74, off, s[24:27], 0 offset:244 ; 4-byte Folded Reload
	buffer_load_dword v75, off, s[24:27], 0 offset:248 ; 4-byte Folded Reload
	buffer_load_dword v76, off, s[24:27], 0 offset:252 ; 4-byte Folded Reload
	s_waitcnt lgkmcnt(0)
	v_mul_f64 v[95:96], v[91:92], v[99:100]
	v_fma_f64 v[95:96], v[89:90], v[125:126], -v[95:96]
	v_mul_f64 v[89:90], v[89:90], v[99:100]
	v_fma_f64 v[89:90], v[91:92], v[125:126], v[89:90]
	s_waitcnt vmcnt(2)
	v_add_f64 v[73:74], v[73:74], -v[95:96]
	s_waitcnt vmcnt(0)
	v_add_f64 v[75:76], v[75:76], -v[89:90]
	buffer_store_dword v73, off, s[24:27], 0 offset:240 ; 4-byte Folded Spill
	s_nop 0
	buffer_store_dword v74, off, s[24:27], 0 offset:244 ; 4-byte Folded Spill
	buffer_store_dword v75, off, s[24:27], 0 offset:248 ; 4-byte Folded Spill
	buffer_store_dword v76, off, s[24:27], 0 offset:252 ; 4-byte Folded Spill
	ds_read2_b64 v[89:92], v0 offset0:34 offset1:35
	buffer_load_dword v73, off, s[24:27], 0 offset:224 ; 4-byte Folded Reload
	buffer_load_dword v74, off, s[24:27], 0 offset:228 ; 4-byte Folded Reload
	buffer_load_dword v75, off, s[24:27], 0 offset:232 ; 4-byte Folded Reload
	buffer_load_dword v76, off, s[24:27], 0 offset:236 ; 4-byte Folded Reload
	s_waitcnt lgkmcnt(0)
	v_mul_f64 v[95:96], v[91:92], v[99:100]
	v_fma_f64 v[95:96], v[89:90], v[125:126], -v[95:96]
	v_mul_f64 v[89:90], v[89:90], v[99:100]
	v_fma_f64 v[89:90], v[91:92], v[125:126], v[89:90]
	s_waitcnt vmcnt(2)
	v_add_f64 v[73:74], v[73:74], -v[95:96]
	s_waitcnt vmcnt(0)
	v_add_f64 v[75:76], v[75:76], -v[89:90]
	buffer_store_dword v73, off, s[24:27], 0 offset:224 ; 4-byte Folded Spill
	s_nop 0
	buffer_store_dword v74, off, s[24:27], 0 offset:228 ; 4-byte Folded Spill
	buffer_store_dword v75, off, s[24:27], 0 offset:232 ; 4-byte Folded Spill
	buffer_store_dword v76, off, s[24:27], 0 offset:236 ; 4-byte Folded Spill
	ds_read2_b64 v[89:92], v0 offset0:36 offset1:37
	buffer_load_dword v73, off, s[24:27], 0 offset:208 ; 4-byte Folded Reload
	buffer_load_dword v74, off, s[24:27], 0 offset:212 ; 4-byte Folded Reload
	buffer_load_dword v75, off, s[24:27], 0 offset:216 ; 4-byte Folded Reload
	buffer_load_dword v76, off, s[24:27], 0 offset:220 ; 4-byte Folded Reload
	s_waitcnt lgkmcnt(0)
	v_mul_f64 v[95:96], v[91:92], v[99:100]
	v_fma_f64 v[95:96], v[89:90], v[125:126], -v[95:96]
	v_mul_f64 v[89:90], v[89:90], v[99:100]
	v_fma_f64 v[89:90], v[91:92], v[125:126], v[89:90]
	s_waitcnt vmcnt(2)
	v_add_f64 v[73:74], v[73:74], -v[95:96]
	s_waitcnt vmcnt(0)
	v_add_f64 v[75:76], v[75:76], -v[89:90]
	buffer_store_dword v73, off, s[24:27], 0 offset:208 ; 4-byte Folded Spill
	s_nop 0
	buffer_store_dword v74, off, s[24:27], 0 offset:212 ; 4-byte Folded Spill
	buffer_store_dword v75, off, s[24:27], 0 offset:216 ; 4-byte Folded Spill
	buffer_store_dword v76, off, s[24:27], 0 offset:220 ; 4-byte Folded Spill
	ds_read2_b64 v[89:92], v0 offset0:38 offset1:39
	buffer_load_dword v73, off, s[24:27], 0 offset:192 ; 4-byte Folded Reload
	buffer_load_dword v74, off, s[24:27], 0 offset:196 ; 4-byte Folded Reload
	buffer_load_dword v75, off, s[24:27], 0 offset:200 ; 4-byte Folded Reload
	buffer_load_dword v76, off, s[24:27], 0 offset:204 ; 4-byte Folded Reload
	s_waitcnt lgkmcnt(0)
	v_mul_f64 v[95:96], v[91:92], v[99:100]
	v_fma_f64 v[95:96], v[89:90], v[125:126], -v[95:96]
	v_mul_f64 v[89:90], v[89:90], v[99:100]
	v_fma_f64 v[89:90], v[91:92], v[125:126], v[89:90]
	s_waitcnt vmcnt(2)
	v_add_f64 v[73:74], v[73:74], -v[95:96]
	s_waitcnt vmcnt(0)
	v_add_f64 v[75:76], v[75:76], -v[89:90]
	buffer_store_dword v73, off, s[24:27], 0 offset:192 ; 4-byte Folded Spill
	s_nop 0
	buffer_store_dword v74, off, s[24:27], 0 offset:196 ; 4-byte Folded Spill
	buffer_store_dword v75, off, s[24:27], 0 offset:200 ; 4-byte Folded Spill
	buffer_store_dword v76, off, s[24:27], 0 offset:204 ; 4-byte Folded Spill
	ds_read2_b64 v[89:92], v0 offset0:40 offset1:41
	buffer_load_dword v73, off, s[24:27], 0 offset:176 ; 4-byte Folded Reload
	buffer_load_dword v74, off, s[24:27], 0 offset:180 ; 4-byte Folded Reload
	buffer_load_dword v75, off, s[24:27], 0 offset:184 ; 4-byte Folded Reload
	buffer_load_dword v76, off, s[24:27], 0 offset:188 ; 4-byte Folded Reload
	s_waitcnt lgkmcnt(0)
	v_mul_f64 v[95:96], v[91:92], v[99:100]
	v_fma_f64 v[95:96], v[89:90], v[125:126], -v[95:96]
	v_mul_f64 v[89:90], v[89:90], v[99:100]
	v_fma_f64 v[89:90], v[91:92], v[125:126], v[89:90]
	s_waitcnt vmcnt(2)
	v_add_f64 v[73:74], v[73:74], -v[95:96]
	s_waitcnt vmcnt(0)
	v_add_f64 v[75:76], v[75:76], -v[89:90]
	buffer_store_dword v73, off, s[24:27], 0 offset:176 ; 4-byte Folded Spill
	s_nop 0
	buffer_store_dword v74, off, s[24:27], 0 offset:180 ; 4-byte Folded Spill
	buffer_store_dword v75, off, s[24:27], 0 offset:184 ; 4-byte Folded Spill
	buffer_store_dword v76, off, s[24:27], 0 offset:188 ; 4-byte Folded Spill
	ds_read2_b64 v[89:92], v0 offset0:42 offset1:43
	buffer_load_dword v73, off, s[24:27], 0 offset:160 ; 4-byte Folded Reload
	buffer_load_dword v74, off, s[24:27], 0 offset:164 ; 4-byte Folded Reload
	buffer_load_dword v75, off, s[24:27], 0 offset:168 ; 4-byte Folded Reload
	buffer_load_dword v76, off, s[24:27], 0 offset:172 ; 4-byte Folded Reload
	s_waitcnt lgkmcnt(0)
	v_mul_f64 v[95:96], v[91:92], v[99:100]
	v_fma_f64 v[95:96], v[89:90], v[125:126], -v[95:96]
	v_mul_f64 v[89:90], v[89:90], v[99:100]
	v_fma_f64 v[89:90], v[91:92], v[125:126], v[89:90]
	s_waitcnt vmcnt(2)
	v_add_f64 v[73:74], v[73:74], -v[95:96]
	s_waitcnt vmcnt(0)
	v_add_f64 v[75:76], v[75:76], -v[89:90]
	buffer_store_dword v73, off, s[24:27], 0 offset:160 ; 4-byte Folded Spill
	s_nop 0
	buffer_store_dword v74, off, s[24:27], 0 offset:164 ; 4-byte Folded Spill
	buffer_store_dword v75, off, s[24:27], 0 offset:168 ; 4-byte Folded Spill
	buffer_store_dword v76, off, s[24:27], 0 offset:172 ; 4-byte Folded Spill
	ds_read2_b64 v[89:92], v0 offset0:44 offset1:45
	buffer_load_dword v73, off, s[24:27], 0 offset:144 ; 4-byte Folded Reload
	buffer_load_dword v74, off, s[24:27], 0 offset:148 ; 4-byte Folded Reload
	buffer_load_dword v75, off, s[24:27], 0 offset:152 ; 4-byte Folded Reload
	buffer_load_dword v76, off, s[24:27], 0 offset:156 ; 4-byte Folded Reload
	s_waitcnt lgkmcnt(0)
	v_mul_f64 v[95:96], v[91:92], v[99:100]
	v_fma_f64 v[95:96], v[89:90], v[125:126], -v[95:96]
	v_mul_f64 v[89:90], v[89:90], v[99:100]
	v_fma_f64 v[89:90], v[91:92], v[125:126], v[89:90]
	s_waitcnt vmcnt(2)
	v_add_f64 v[73:74], v[73:74], -v[95:96]
	s_waitcnt vmcnt(0)
	v_add_f64 v[75:76], v[75:76], -v[89:90]
	buffer_store_dword v73, off, s[24:27], 0 offset:144 ; 4-byte Folded Spill
	s_nop 0
	buffer_store_dword v74, off, s[24:27], 0 offset:148 ; 4-byte Folded Spill
	buffer_store_dword v75, off, s[24:27], 0 offset:152 ; 4-byte Folded Spill
	buffer_store_dword v76, off, s[24:27], 0 offset:156 ; 4-byte Folded Spill
	ds_read2_b64 v[89:92], v0 offset0:46 offset1:47
	buffer_load_dword v73, off, s[24:27], 0 offset:128 ; 4-byte Folded Reload
	buffer_load_dword v74, off, s[24:27], 0 offset:132 ; 4-byte Folded Reload
	buffer_load_dword v75, off, s[24:27], 0 offset:136 ; 4-byte Folded Reload
	buffer_load_dword v76, off, s[24:27], 0 offset:140 ; 4-byte Folded Reload
	s_waitcnt lgkmcnt(0)
	v_mul_f64 v[95:96], v[91:92], v[99:100]
	v_fma_f64 v[95:96], v[89:90], v[125:126], -v[95:96]
	v_mul_f64 v[89:90], v[89:90], v[99:100]
	v_fma_f64 v[89:90], v[91:92], v[125:126], v[89:90]
	s_waitcnt vmcnt(2)
	v_add_f64 v[73:74], v[73:74], -v[95:96]
	s_waitcnt vmcnt(0)
	v_add_f64 v[75:76], v[75:76], -v[89:90]
	buffer_store_dword v73, off, s[24:27], 0 offset:128 ; 4-byte Folded Spill
	s_nop 0
	buffer_store_dword v74, off, s[24:27], 0 offset:132 ; 4-byte Folded Spill
	buffer_store_dword v75, off, s[24:27], 0 offset:136 ; 4-byte Folded Spill
	buffer_store_dword v76, off, s[24:27], 0 offset:140 ; 4-byte Folded Spill
	ds_read2_b64 v[89:92], v0 offset0:48 offset1:49
	buffer_load_dword v73, off, s[24:27], 0 offset:112 ; 4-byte Folded Reload
	buffer_load_dword v74, off, s[24:27], 0 offset:116 ; 4-byte Folded Reload
	buffer_load_dword v75, off, s[24:27], 0 offset:120 ; 4-byte Folded Reload
	buffer_load_dword v76, off, s[24:27], 0 offset:124 ; 4-byte Folded Reload
	s_waitcnt lgkmcnt(0)
	v_mul_f64 v[95:96], v[91:92], v[99:100]
	v_fma_f64 v[95:96], v[89:90], v[125:126], -v[95:96]
	v_mul_f64 v[89:90], v[89:90], v[99:100]
	v_fma_f64 v[89:90], v[91:92], v[125:126], v[89:90]
	s_waitcnt vmcnt(2)
	v_add_f64 v[73:74], v[73:74], -v[95:96]
	s_waitcnt vmcnt(0)
	v_add_f64 v[75:76], v[75:76], -v[89:90]
	buffer_store_dword v73, off, s[24:27], 0 offset:112 ; 4-byte Folded Spill
	s_nop 0
	buffer_store_dword v74, off, s[24:27], 0 offset:116 ; 4-byte Folded Spill
	buffer_store_dword v75, off, s[24:27], 0 offset:120 ; 4-byte Folded Spill
	buffer_store_dword v76, off, s[24:27], 0 offset:124 ; 4-byte Folded Spill
	ds_read2_b64 v[89:92], v0 offset0:50 offset1:51
	buffer_load_dword v73, off, s[24:27], 0 offset:96 ; 4-byte Folded Reload
	buffer_load_dword v74, off, s[24:27], 0 offset:100 ; 4-byte Folded Reload
	buffer_load_dword v75, off, s[24:27], 0 offset:104 ; 4-byte Folded Reload
	buffer_load_dword v76, off, s[24:27], 0 offset:108 ; 4-byte Folded Reload
	s_waitcnt lgkmcnt(0)
	v_mul_f64 v[95:96], v[91:92], v[99:100]
	v_fma_f64 v[95:96], v[89:90], v[125:126], -v[95:96]
	v_mul_f64 v[89:90], v[89:90], v[99:100]
	v_fma_f64 v[89:90], v[91:92], v[125:126], v[89:90]
	s_waitcnt vmcnt(2)
	v_add_f64 v[73:74], v[73:74], -v[95:96]
	s_waitcnt vmcnt(0)
	v_add_f64 v[75:76], v[75:76], -v[89:90]
	buffer_store_dword v73, off, s[24:27], 0 offset:96 ; 4-byte Folded Spill
	s_nop 0
	buffer_store_dword v74, off, s[24:27], 0 offset:100 ; 4-byte Folded Spill
	buffer_store_dword v75, off, s[24:27], 0 offset:104 ; 4-byte Folded Spill
	buffer_store_dword v76, off, s[24:27], 0 offset:108 ; 4-byte Folded Spill
	ds_read2_b64 v[89:92], v0 offset0:52 offset1:53
	buffer_load_dword v73, off, s[24:27], 0 offset:80 ; 4-byte Folded Reload
	buffer_load_dword v74, off, s[24:27], 0 offset:84 ; 4-byte Folded Reload
	buffer_load_dword v75, off, s[24:27], 0 offset:88 ; 4-byte Folded Reload
	buffer_load_dword v76, off, s[24:27], 0 offset:92 ; 4-byte Folded Reload
	s_waitcnt lgkmcnt(0)
	v_mul_f64 v[95:96], v[91:92], v[99:100]
	v_fma_f64 v[95:96], v[89:90], v[125:126], -v[95:96]
	v_mul_f64 v[89:90], v[89:90], v[99:100]
	v_fma_f64 v[89:90], v[91:92], v[125:126], v[89:90]
	s_waitcnt vmcnt(2)
	v_add_f64 v[73:74], v[73:74], -v[95:96]
	s_waitcnt vmcnt(0)
	v_add_f64 v[75:76], v[75:76], -v[89:90]
	buffer_store_dword v73, off, s[24:27], 0 offset:80 ; 4-byte Folded Spill
	s_nop 0
	buffer_store_dword v74, off, s[24:27], 0 offset:84 ; 4-byte Folded Spill
	buffer_store_dword v75, off, s[24:27], 0 offset:88 ; 4-byte Folded Spill
	buffer_store_dword v76, off, s[24:27], 0 offset:92 ; 4-byte Folded Spill
	ds_read2_b64 v[89:92], v0 offset0:54 offset1:55
	buffer_load_dword v73, off, s[24:27], 0 offset:64 ; 4-byte Folded Reload
	buffer_load_dword v74, off, s[24:27], 0 offset:68 ; 4-byte Folded Reload
	buffer_load_dword v75, off, s[24:27], 0 offset:72 ; 4-byte Folded Reload
	buffer_load_dword v76, off, s[24:27], 0 offset:76 ; 4-byte Folded Reload
	s_waitcnt lgkmcnt(0)
	v_mul_f64 v[95:96], v[91:92], v[99:100]
	v_fma_f64 v[95:96], v[89:90], v[125:126], -v[95:96]
	v_mul_f64 v[89:90], v[89:90], v[99:100]
	v_fma_f64 v[89:90], v[91:92], v[125:126], v[89:90]
	s_waitcnt vmcnt(2)
	v_add_f64 v[73:74], v[73:74], -v[95:96]
	s_waitcnt vmcnt(0)
	v_add_f64 v[75:76], v[75:76], -v[89:90]
	buffer_store_dword v73, off, s[24:27], 0 offset:64 ; 4-byte Folded Spill
	s_nop 0
	buffer_store_dword v74, off, s[24:27], 0 offset:68 ; 4-byte Folded Spill
	buffer_store_dword v75, off, s[24:27], 0 offset:72 ; 4-byte Folded Spill
	buffer_store_dword v76, off, s[24:27], 0 offset:76 ; 4-byte Folded Spill
	ds_read2_b64 v[89:92], v0 offset0:56 offset1:57
	buffer_load_dword v73, off, s[24:27], 0 offset:48 ; 4-byte Folded Reload
	buffer_load_dword v74, off, s[24:27], 0 offset:52 ; 4-byte Folded Reload
	buffer_load_dword v75, off, s[24:27], 0 offset:56 ; 4-byte Folded Reload
	buffer_load_dword v76, off, s[24:27], 0 offset:60 ; 4-byte Folded Reload
	s_waitcnt lgkmcnt(0)
	v_mul_f64 v[95:96], v[91:92], v[99:100]
	v_fma_f64 v[95:96], v[89:90], v[125:126], -v[95:96]
	v_mul_f64 v[89:90], v[89:90], v[99:100]
	v_fma_f64 v[89:90], v[91:92], v[125:126], v[89:90]
	s_waitcnt vmcnt(2)
	v_add_f64 v[73:74], v[73:74], -v[95:96]
	s_waitcnt vmcnt(0)
	v_add_f64 v[75:76], v[75:76], -v[89:90]
	buffer_store_dword v73, off, s[24:27], 0 offset:48 ; 4-byte Folded Spill
	s_nop 0
	buffer_store_dword v74, off, s[24:27], 0 offset:52 ; 4-byte Folded Spill
	buffer_store_dword v75, off, s[24:27], 0 offset:56 ; 4-byte Folded Spill
	buffer_store_dword v76, off, s[24:27], 0 offset:60 ; 4-byte Folded Spill
	ds_read2_b64 v[89:92], v0 offset0:58 offset1:59
	buffer_load_dword v73, off, s[24:27], 0 offset:32 ; 4-byte Folded Reload
	buffer_load_dword v74, off, s[24:27], 0 offset:36 ; 4-byte Folded Reload
	buffer_load_dword v75, off, s[24:27], 0 offset:40 ; 4-byte Folded Reload
	buffer_load_dword v76, off, s[24:27], 0 offset:44 ; 4-byte Folded Reload
	s_waitcnt lgkmcnt(0)
	v_mul_f64 v[95:96], v[91:92], v[99:100]
	v_fma_f64 v[95:96], v[89:90], v[125:126], -v[95:96]
	v_mul_f64 v[89:90], v[89:90], v[99:100]
	v_fma_f64 v[89:90], v[91:92], v[125:126], v[89:90]
	s_waitcnt vmcnt(2)
	v_add_f64 v[73:74], v[73:74], -v[95:96]
	s_waitcnt vmcnt(0)
	v_add_f64 v[75:76], v[75:76], -v[89:90]
	buffer_store_dword v73, off, s[24:27], 0 offset:32 ; 4-byte Folded Spill
	s_nop 0
	buffer_store_dword v74, off, s[24:27], 0 offset:36 ; 4-byte Folded Spill
	buffer_store_dword v75, off, s[24:27], 0 offset:40 ; 4-byte Folded Spill
	buffer_store_dword v76, off, s[24:27], 0 offset:44 ; 4-byte Folded Spill
	ds_read2_b64 v[89:92], v0 offset0:60 offset1:61
	buffer_load_dword v73, off, s[24:27], 0 offset:16 ; 4-byte Folded Reload
	buffer_load_dword v74, off, s[24:27], 0 offset:20 ; 4-byte Folded Reload
	buffer_load_dword v75, off, s[24:27], 0 offset:24 ; 4-byte Folded Reload
	buffer_load_dword v76, off, s[24:27], 0 offset:28 ; 4-byte Folded Reload
	s_waitcnt lgkmcnt(0)
	v_mul_f64 v[95:96], v[91:92], v[99:100]
	v_fma_f64 v[95:96], v[89:90], v[125:126], -v[95:96]
	v_mul_f64 v[89:90], v[89:90], v[99:100]
	v_fma_f64 v[89:90], v[91:92], v[125:126], v[89:90]
	s_waitcnt vmcnt(2)
	v_add_f64 v[73:74], v[73:74], -v[95:96]
	s_waitcnt vmcnt(0)
	v_add_f64 v[75:76], v[75:76], -v[89:90]
	buffer_store_dword v73, off, s[24:27], 0 offset:16 ; 4-byte Folded Spill
	s_nop 0
	buffer_store_dword v74, off, s[24:27], 0 offset:20 ; 4-byte Folded Spill
	buffer_store_dword v75, off, s[24:27], 0 offset:24 ; 4-byte Folded Spill
	buffer_store_dword v76, off, s[24:27], 0 offset:28 ; 4-byte Folded Spill
	ds_read2_b64 v[89:92], v0 offset0:62 offset1:63
	s_waitcnt lgkmcnt(0)
	v_mul_f64 v[95:96], v[91:92], v[99:100]
	v_fma_f64 v[95:96], v[89:90], v[125:126], -v[95:96]
	v_mul_f64 v[89:90], v[89:90], v[99:100]
	v_add_f64 v[81:82], v[81:82], -v[95:96]
	v_fma_f64 v[89:90], v[91:92], v[125:126], v[89:90]
	v_add_f64 v[83:84], v[83:84], -v[89:90]
	ds_read2_b64 v[89:92], v0 offset0:64 offset1:65
	s_waitcnt lgkmcnt(0)
	v_mul_f64 v[95:96], v[91:92], v[99:100]
	v_fma_f64 v[95:96], v[89:90], v[125:126], -v[95:96]
	v_mul_f64 v[89:90], v[89:90], v[99:100]
	v_add_f64 v[85:86], v[85:86], -v[95:96]
	v_fma_f64 v[89:90], v[91:92], v[125:126], v[89:90]
	v_add_f64 v[87:88], v[87:88], -v[89:90]
	;; [unrolled: 8-line block ×5, first 2 shown]
	ds_read2_b64 v[89:92], v0 offset0:72 offset1:73
	buffer_load_dword v73, off, s[24:27], 0 ; 4-byte Folded Reload
	buffer_load_dword v74, off, s[24:27], 0 offset:4 ; 4-byte Folded Reload
	buffer_load_dword v75, off, s[24:27], 0 offset:8 ; 4-byte Folded Reload
	;; [unrolled: 1-line block ×3, first 2 shown]
	s_waitcnt lgkmcnt(0)
	v_mul_f64 v[95:96], v[91:92], v[99:100]
	v_fma_f64 v[95:96], v[89:90], v[125:126], -v[95:96]
	v_mul_f64 v[89:90], v[89:90], v[99:100]
	v_fma_f64 v[89:90], v[91:92], v[125:126], v[89:90]
	s_waitcnt vmcnt(2)
	v_add_f64 v[73:74], v[73:74], -v[95:96]
	s_waitcnt vmcnt(0)
	v_add_f64 v[75:76], v[75:76], -v[89:90]
	buffer_store_dword v73, off, s[24:27], 0 ; 4-byte Folded Spill
	s_nop 0
	buffer_store_dword v74, off, s[24:27], 0 offset:4 ; 4-byte Folded Spill
	buffer_store_dword v75, off, s[24:27], 0 offset:8 ; 4-byte Folded Spill
	;; [unrolled: 1-line block ×3, first 2 shown]
	ds_read2_b64 v[89:92], v0 offset0:74 offset1:75
	s_waitcnt lgkmcnt(0)
	v_mul_f64 v[95:96], v[91:92], v[99:100]
	v_fma_f64 v[95:96], v[89:90], v[125:126], -v[95:96]
	v_mul_f64 v[89:90], v[89:90], v[99:100]
	v_add_f64 v[69:70], v[69:70], -v[95:96]
	v_fma_f64 v[89:90], v[91:92], v[125:126], v[89:90]
	v_add_f64 v[71:72], v[71:72], -v[89:90]
	ds_read2_b64 v[89:92], v0 offset0:76 offset1:77
	s_waitcnt lgkmcnt(0)
	v_mul_f64 v[95:96], v[91:92], v[99:100]
	v_fma_f64 v[95:96], v[89:90], v[125:126], -v[95:96]
	v_mul_f64 v[89:90], v[89:90], v[99:100]
	v_add_f64 v[65:66], v[65:66], -v[95:96]
	v_fma_f64 v[89:90], v[91:92], v[125:126], v[89:90]
	v_add_f64 v[67:68], v[67:68], -v[89:90]
	;; [unrolled: 8-line block ×17, first 2 shown]
	ds_read2_b64 v[89:92], v0 offset0:108 offset1:109
	s_waitcnt lgkmcnt(0)
	v_mul_f64 v[95:96], v[91:92], v[99:100]
	v_fma_f64 v[95:96], v[89:90], v[125:126], -v[95:96]
	v_mul_f64 v[89:90], v[89:90], v[99:100]
	v_add_f64 v[1:2], v[1:2], -v[95:96]
	v_fma_f64 v[89:90], v[91:92], v[125:126], v[89:90]
	ds_read2_b64 v[95:98], v0 offset0:110 offset1:111
	s_waitcnt lgkmcnt(0)
	v_mul_f64 v[91:92], v[95:96], v[99:100]
	v_add_f64 v[3:4], v[3:4], -v[89:90]
	v_mul_f64 v[89:90], v[97:98], v[99:100]
	v_fma_f64 v[91:92], v[97:98], v[125:126], v[91:92]
	v_mov_b32_e32 v97, v125
	v_mov_b32_e32 v98, v126
	v_fma_f64 v[89:90], v[95:96], v[125:126], -v[89:90]
	buffer_store_dword v97, off, s[24:27], 0 offset:320 ; 4-byte Folded Spill
	s_nop 0
	buffer_store_dword v98, off, s[24:27], 0 offset:324 ; 4-byte Folded Spill
	buffer_store_dword v99, off, s[24:27], 0 offset:328 ; 4-byte Folded Spill
	;; [unrolled: 1-line block ×3, first 2 shown]
	v_add_f64 v[123:124], v[123:124], -v[91:92]
	v_add_f64 v[121:122], v[121:122], -v[89:90]
.LBB110_251:
	s_or_b64 exec, exec, s[0:1]
	s_waitcnt vmcnt(0)
	s_barrier
	buffer_load_dword v73, off, s[24:27], 0 offset:304 ; 4-byte Folded Reload
	buffer_load_dword v74, off, s[24:27], 0 offset:308 ; 4-byte Folded Reload
	buffer_load_dword v75, off, s[24:27], 0 offset:312 ; 4-byte Folded Reload
	buffer_load_dword v76, off, s[24:27], 0 offset:316 ; 4-byte Folded Reload
	v_lshl_add_u32 v89, v93, 4, v0
	s_cmp_lt_i32 s3, 14
	s_waitcnt vmcnt(0)
	ds_write2_b64 v89, v[73:74], v[75:76] offset1:1
	s_waitcnt lgkmcnt(0)
	s_barrier
	ds_read2_b64 v[117:120], v0 offset0:24 offset1:25
	v_mov_b32_e32 v89, 12
	s_cbranch_scc1 .LBB110_254
; %bb.252:
	v_add_u32_e32 v90, 0xd0, v0
	s_mov_b32 s0, 13
	v_mov_b32_e32 v89, 12
.LBB110_253:                            ; =>This Inner Loop Header: Depth=1
	s_waitcnt lgkmcnt(0)
	v_cmp_gt_f64_e32 vcc, 0, v[117:118]
	v_xor_b32_e32 v91, 0x80000000, v118
	ds_read2_b64 v[95:98], v90 offset1:1
	v_xor_b32_e32 v99, 0x80000000, v120
	v_add_u32_e32 v90, 16, v90
	s_waitcnt lgkmcnt(0)
	v_xor_b32_e32 v101, 0x80000000, v98
	v_cndmask_b32_e32 v92, v118, v91, vcc
	v_cmp_gt_f64_e32 vcc, 0, v[119:120]
	v_mov_b32_e32 v91, v117
	v_cndmask_b32_e32 v100, v120, v99, vcc
	v_cmp_gt_f64_e32 vcc, 0, v[95:96]
	v_mov_b32_e32 v99, v119
	v_add_f64 v[91:92], v[91:92], v[99:100]
	v_xor_b32_e32 v99, 0x80000000, v96
	v_cndmask_b32_e32 v100, v96, v99, vcc
	v_cmp_gt_f64_e32 vcc, 0, v[97:98]
	v_mov_b32_e32 v99, v95
	v_cndmask_b32_e32 v102, v98, v101, vcc
	v_mov_b32_e32 v101, v97
	v_add_f64 v[99:100], v[99:100], v[101:102]
	v_cmp_lt_f64_e32 vcc, v[91:92], v[99:100]
	v_mov_b32_e32 v91, s0
	s_add_i32 s0, s0, 1
	s_cmp_lg_u32 s3, s0
	v_cndmask_b32_e32 v118, v118, v96, vcc
	v_cndmask_b32_e32 v117, v117, v95, vcc
	v_cndmask_b32_e32 v120, v120, v98, vcc
	v_cndmask_b32_e32 v119, v119, v97, vcc
	v_cndmask_b32_e32 v89, v89, v91, vcc
	s_cbranch_scc1 .LBB110_253
.LBB110_254:
	s_waitcnt lgkmcnt(0)
	v_cmp_eq_f64_e32 vcc, 0, v[117:118]
	v_cmp_eq_f64_e64 s[0:1], 0, v[119:120]
	s_and_b64 s[0:1], vcc, s[0:1]
	s_and_saveexec_b64 s[18:19], s[0:1]
	s_xor_b64 s[0:1], exec, s[18:19]
; %bb.255:
	v_cmp_ne_u32_e32 vcc, 0, v94
	v_cndmask_b32_e32 v94, 13, v94, vcc
; %bb.256:
	s_andn2_saveexec_b64 s[0:1], s[0:1]
	s_cbranch_execz .LBB110_262
; %bb.257:
	v_cmp_ngt_f64_e64 s[18:19], |v[117:118]|, |v[119:120]|
	s_and_saveexec_b64 s[20:21], s[18:19]
	s_xor_b64 s[18:19], exec, s[20:21]
	s_cbranch_execz .LBB110_259
; %bb.258:
	v_div_scale_f64 v[90:91], s[20:21], v[119:120], v[119:120], v[117:118]
	v_rcp_f64_e32 v[95:96], v[90:91]
	v_fma_f64 v[97:98], -v[90:91], v[95:96], 1.0
	v_fma_f64 v[95:96], v[95:96], v[97:98], v[95:96]
	v_div_scale_f64 v[97:98], vcc, v[117:118], v[119:120], v[117:118]
	v_fma_f64 v[99:100], -v[90:91], v[95:96], 1.0
	v_fma_f64 v[95:96], v[95:96], v[99:100], v[95:96]
	v_mul_f64 v[99:100], v[97:98], v[95:96]
	v_fma_f64 v[90:91], -v[90:91], v[99:100], v[97:98]
	v_div_fmas_f64 v[90:91], v[90:91], v[95:96], v[99:100]
	v_div_fixup_f64 v[90:91], v[90:91], v[119:120], v[117:118]
	v_fma_f64 v[95:96], v[117:118], v[90:91], v[119:120]
	v_div_scale_f64 v[97:98], s[20:21], v[95:96], v[95:96], 1.0
	v_div_scale_f64 v[103:104], vcc, 1.0, v[95:96], 1.0
	v_rcp_f64_e32 v[99:100], v[97:98]
	v_fma_f64 v[101:102], -v[97:98], v[99:100], 1.0
	v_fma_f64 v[99:100], v[99:100], v[101:102], v[99:100]
	v_fma_f64 v[101:102], -v[97:98], v[99:100], 1.0
	v_fma_f64 v[99:100], v[99:100], v[101:102], v[99:100]
	v_mul_f64 v[101:102], v[103:104], v[99:100]
	v_fma_f64 v[97:98], -v[97:98], v[101:102], v[103:104]
	v_div_fmas_f64 v[97:98], v[97:98], v[99:100], v[101:102]
	v_div_fixup_f64 v[119:120], v[97:98], v[95:96], 1.0
	v_mul_f64 v[117:118], v[90:91], v[119:120]
	v_xor_b32_e32 v120, 0x80000000, v120
.LBB110_259:
	s_andn2_saveexec_b64 s[18:19], s[18:19]
	s_cbranch_execz .LBB110_261
; %bb.260:
	v_div_scale_f64 v[90:91], s[20:21], v[117:118], v[117:118], v[119:120]
	v_rcp_f64_e32 v[95:96], v[90:91]
	v_fma_f64 v[97:98], -v[90:91], v[95:96], 1.0
	v_fma_f64 v[95:96], v[95:96], v[97:98], v[95:96]
	v_div_scale_f64 v[97:98], vcc, v[119:120], v[117:118], v[119:120]
	v_fma_f64 v[99:100], -v[90:91], v[95:96], 1.0
	v_fma_f64 v[95:96], v[95:96], v[99:100], v[95:96]
	v_mul_f64 v[99:100], v[97:98], v[95:96]
	v_fma_f64 v[90:91], -v[90:91], v[99:100], v[97:98]
	v_div_fmas_f64 v[90:91], v[90:91], v[95:96], v[99:100]
	v_div_fixup_f64 v[90:91], v[90:91], v[117:118], v[119:120]
	v_fma_f64 v[95:96], v[119:120], v[90:91], v[117:118]
	v_div_scale_f64 v[97:98], s[20:21], v[95:96], v[95:96], 1.0
	v_div_scale_f64 v[103:104], vcc, 1.0, v[95:96], 1.0
	v_rcp_f64_e32 v[99:100], v[97:98]
	v_fma_f64 v[101:102], -v[97:98], v[99:100], 1.0
	v_fma_f64 v[99:100], v[99:100], v[101:102], v[99:100]
	v_fma_f64 v[101:102], -v[97:98], v[99:100], 1.0
	v_fma_f64 v[99:100], v[99:100], v[101:102], v[99:100]
	v_mul_f64 v[101:102], v[103:104], v[99:100]
	v_fma_f64 v[97:98], -v[97:98], v[101:102], v[103:104]
	v_div_fmas_f64 v[97:98], v[97:98], v[99:100], v[101:102]
	v_div_fixup_f64 v[117:118], v[97:98], v[95:96], 1.0
	v_mul_f64 v[119:120], v[90:91], -v[117:118]
.LBB110_261:
	s_or_b64 exec, exec, s[18:19]
.LBB110_262:
	s_or_b64 exec, exec, s[0:1]
	v_cmp_ne_u32_e32 vcc, v93, v89
	s_and_saveexec_b64 s[0:1], vcc
	s_xor_b64 s[0:1], exec, s[0:1]
	s_cbranch_execz .LBB110_268
; %bb.263:
	v_cmp_eq_u32_e32 vcc, 12, v93
	s_and_saveexec_b64 s[18:19], vcc
	s_cbranch_execz .LBB110_267
; %bb.264:
	v_cmp_ne_u32_e32 vcc, 12, v89
	s_xor_b64 s[20:21], s[6:7], -1
	s_and_b64 s[22:23], s[20:21], vcc
	s_and_saveexec_b64 s[20:21], s[22:23]
	s_cbranch_execz .LBB110_266
; %bb.265:
	v_mov_b32_e32 v73, v81
	v_mov_b32_e32 v74, v82
	;; [unrolled: 1-line block ×4, first 2 shown]
	buffer_load_dword v81, off, s[24:27], 0 offset:448 ; 4-byte Folded Reload
	buffer_load_dword v82, off, s[24:27], 0 offset:452 ; 4-byte Folded Reload
	v_ashrrev_i32_e32 v90, 31, v89
	v_lshlrev_b64 v[90:91], 2, v[89:90]
	s_waitcnt vmcnt(1)
	v_add_co_u32_e32 v90, vcc, v81, v90
	s_waitcnt vmcnt(0)
	v_addc_co_u32_e32 v91, vcc, v82, v91, vcc
	global_load_dword v92, v[90:91], off
	global_load_dword v93, v[81:82], off offset:48
	s_waitcnt vmcnt(1)
	global_store_dword v[81:82], v92, off offset:48
	v_mov_b32_e32 v84, v76
	v_mov_b32_e32 v83, v75
	v_mov_b32_e32 v82, v74
	v_mov_b32_e32 v81, v73
	s_waitcnt vmcnt(1)
	global_store_dword v[90:91], v93, off
.LBB110_266:
	s_or_b64 exec, exec, s[20:21]
	v_mov_b32_e32 v93, v89
	v_mov_b32_e32 v127, v89
.LBB110_267:
	s_or_b64 exec, exec, s[18:19]
.LBB110_268:
	s_andn2_saveexec_b64 s[0:1], s[0:1]
	s_cbranch_execz .LBB110_270
; %bb.269:
	buffer_load_dword v73, off, s[24:27], 0 offset:288 ; 4-byte Folded Reload
	buffer_load_dword v74, off, s[24:27], 0 offset:292 ; 4-byte Folded Reload
	;; [unrolled: 1-line block ×4, first 2 shown]
	v_mov_b32_e32 v93, 12
	s_waitcnt vmcnt(0)
	ds_write2_b64 v0, v[73:74], v[75:76] offset0:26 offset1:27
	buffer_load_dword v73, off, s[24:27], 0 offset:272 ; 4-byte Folded Reload
	buffer_load_dword v74, off, s[24:27], 0 offset:276 ; 4-byte Folded Reload
	buffer_load_dword v75, off, s[24:27], 0 offset:280 ; 4-byte Folded Reload
	buffer_load_dword v76, off, s[24:27], 0 offset:284 ; 4-byte Folded Reload
	s_waitcnt vmcnt(0)
	ds_write2_b64 v0, v[73:74], v[75:76] offset0:28 offset1:29
	buffer_load_dword v73, off, s[24:27], 0 offset:256 ; 4-byte Folded Reload
	buffer_load_dword v74, off, s[24:27], 0 offset:260 ; 4-byte Folded Reload
	buffer_load_dword v75, off, s[24:27], 0 offset:264 ; 4-byte Folded Reload
	buffer_load_dword v76, off, s[24:27], 0 offset:268 ; 4-byte Folded Reload
	;; [unrolled: 6-line block ×17, first 2 shown]
	s_waitcnt vmcnt(0)
	ds_write2_b64 v0, v[73:74], v[75:76] offset0:60 offset1:61
	ds_write2_b64 v0, v[81:82], v[83:84] offset0:62 offset1:63
	;; [unrolled: 1-line block ×6, first 2 shown]
	buffer_load_dword v73, off, s[24:27], 0 ; 4-byte Folded Reload
	buffer_load_dword v74, off, s[24:27], 0 offset:4 ; 4-byte Folded Reload
	buffer_load_dword v75, off, s[24:27], 0 offset:8 ; 4-byte Folded Reload
	;; [unrolled: 1-line block ×3, first 2 shown]
	s_waitcnt vmcnt(0)
	ds_write2_b64 v0, v[73:74], v[75:76] offset0:72 offset1:73
	ds_write2_b64 v0, v[69:70], v[71:72] offset0:74 offset1:75
	;; [unrolled: 1-line block ×20, first 2 shown]
.LBB110_270:
	s_or_b64 exec, exec, s[0:1]
	v_cmp_lt_i32_e32 vcc, 12, v93
	s_waitcnt vmcnt(0) lgkmcnt(0)
	s_barrier
	s_and_saveexec_b64 s[0:1], vcc
	s_cbranch_execz .LBB110_272
; %bb.271:
	buffer_load_dword v97, off, s[24:27], 0 offset:304 ; 4-byte Folded Reload
	buffer_load_dword v98, off, s[24:27], 0 offset:308 ; 4-byte Folded Reload
	;; [unrolled: 1-line block ×4, first 2 shown]
	s_waitcnt vmcnt(0)
	v_mul_f64 v[89:90], v[119:120], v[99:100]
	v_fma_f64 v[125:126], v[117:118], v[97:98], -v[89:90]
	v_mul_f64 v[89:90], v[117:118], v[99:100]
	v_fma_f64 v[99:100], v[119:120], v[97:98], v[89:90]
	ds_read2_b64 v[89:92], v0 offset0:26 offset1:27
	buffer_load_dword v73, off, s[24:27], 0 offset:288 ; 4-byte Folded Reload
	buffer_load_dword v74, off, s[24:27], 0 offset:292 ; 4-byte Folded Reload
	buffer_load_dword v75, off, s[24:27], 0 offset:296 ; 4-byte Folded Reload
	buffer_load_dword v76, off, s[24:27], 0 offset:300 ; 4-byte Folded Reload
	s_waitcnt lgkmcnt(0)
	v_mul_f64 v[95:96], v[91:92], v[99:100]
	v_fma_f64 v[95:96], v[89:90], v[125:126], -v[95:96]
	v_mul_f64 v[89:90], v[89:90], v[99:100]
	v_fma_f64 v[89:90], v[91:92], v[125:126], v[89:90]
	s_waitcnt vmcnt(2)
	v_add_f64 v[73:74], v[73:74], -v[95:96]
	s_waitcnt vmcnt(0)
	v_add_f64 v[75:76], v[75:76], -v[89:90]
	buffer_store_dword v73, off, s[24:27], 0 offset:288 ; 4-byte Folded Spill
	s_nop 0
	buffer_store_dword v74, off, s[24:27], 0 offset:292 ; 4-byte Folded Spill
	buffer_store_dword v75, off, s[24:27], 0 offset:296 ; 4-byte Folded Spill
	buffer_store_dword v76, off, s[24:27], 0 offset:300 ; 4-byte Folded Spill
	ds_read2_b64 v[89:92], v0 offset0:28 offset1:29
	buffer_load_dword v73, off, s[24:27], 0 offset:272 ; 4-byte Folded Reload
	buffer_load_dword v74, off, s[24:27], 0 offset:276 ; 4-byte Folded Reload
	buffer_load_dword v75, off, s[24:27], 0 offset:280 ; 4-byte Folded Reload
	buffer_load_dword v76, off, s[24:27], 0 offset:284 ; 4-byte Folded Reload
	s_waitcnt lgkmcnt(0)
	v_mul_f64 v[95:96], v[91:92], v[99:100]
	v_fma_f64 v[95:96], v[89:90], v[125:126], -v[95:96]
	v_mul_f64 v[89:90], v[89:90], v[99:100]
	v_fma_f64 v[89:90], v[91:92], v[125:126], v[89:90]
	s_waitcnt vmcnt(2)
	v_add_f64 v[73:74], v[73:74], -v[95:96]
	s_waitcnt vmcnt(0)
	v_add_f64 v[75:76], v[75:76], -v[89:90]
	buffer_store_dword v73, off, s[24:27], 0 offset:272 ; 4-byte Folded Spill
	s_nop 0
	buffer_store_dword v74, off, s[24:27], 0 offset:276 ; 4-byte Folded Spill
	buffer_store_dword v75, off, s[24:27], 0 offset:280 ; 4-byte Folded Spill
	buffer_store_dword v76, off, s[24:27], 0 offset:284 ; 4-byte Folded Spill
	;; [unrolled: 19-line block ×18, first 2 shown]
	ds_read2_b64 v[89:92], v0 offset0:62 offset1:63
	s_waitcnt lgkmcnt(0)
	v_mul_f64 v[95:96], v[91:92], v[99:100]
	v_fma_f64 v[95:96], v[89:90], v[125:126], -v[95:96]
	v_mul_f64 v[89:90], v[89:90], v[99:100]
	v_add_f64 v[81:82], v[81:82], -v[95:96]
	v_fma_f64 v[89:90], v[91:92], v[125:126], v[89:90]
	v_add_f64 v[83:84], v[83:84], -v[89:90]
	ds_read2_b64 v[89:92], v0 offset0:64 offset1:65
	s_waitcnt lgkmcnt(0)
	v_mul_f64 v[95:96], v[91:92], v[99:100]
	v_fma_f64 v[95:96], v[89:90], v[125:126], -v[95:96]
	v_mul_f64 v[89:90], v[89:90], v[99:100]
	v_add_f64 v[85:86], v[85:86], -v[95:96]
	v_fma_f64 v[89:90], v[91:92], v[125:126], v[89:90]
	v_add_f64 v[87:88], v[87:88], -v[89:90]
	;; [unrolled: 8-line block ×5, first 2 shown]
	ds_read2_b64 v[89:92], v0 offset0:72 offset1:73
	buffer_load_dword v73, off, s[24:27], 0 ; 4-byte Folded Reload
	buffer_load_dword v74, off, s[24:27], 0 offset:4 ; 4-byte Folded Reload
	buffer_load_dword v75, off, s[24:27], 0 offset:8 ; 4-byte Folded Reload
	buffer_load_dword v76, off, s[24:27], 0 offset:12 ; 4-byte Folded Reload
	s_waitcnt lgkmcnt(0)
	v_mul_f64 v[95:96], v[91:92], v[99:100]
	v_fma_f64 v[95:96], v[89:90], v[125:126], -v[95:96]
	v_mul_f64 v[89:90], v[89:90], v[99:100]
	v_fma_f64 v[89:90], v[91:92], v[125:126], v[89:90]
	s_waitcnt vmcnt(2)
	v_add_f64 v[73:74], v[73:74], -v[95:96]
	s_waitcnt vmcnt(0)
	v_add_f64 v[75:76], v[75:76], -v[89:90]
	buffer_store_dword v73, off, s[24:27], 0 ; 4-byte Folded Spill
	s_nop 0
	buffer_store_dword v74, off, s[24:27], 0 offset:4 ; 4-byte Folded Spill
	buffer_store_dword v75, off, s[24:27], 0 offset:8 ; 4-byte Folded Spill
	;; [unrolled: 1-line block ×3, first 2 shown]
	ds_read2_b64 v[89:92], v0 offset0:74 offset1:75
	s_waitcnt lgkmcnt(0)
	v_mul_f64 v[95:96], v[91:92], v[99:100]
	v_fma_f64 v[95:96], v[89:90], v[125:126], -v[95:96]
	v_mul_f64 v[89:90], v[89:90], v[99:100]
	v_add_f64 v[69:70], v[69:70], -v[95:96]
	v_fma_f64 v[89:90], v[91:92], v[125:126], v[89:90]
	v_add_f64 v[71:72], v[71:72], -v[89:90]
	ds_read2_b64 v[89:92], v0 offset0:76 offset1:77
	s_waitcnt lgkmcnt(0)
	v_mul_f64 v[95:96], v[91:92], v[99:100]
	v_fma_f64 v[95:96], v[89:90], v[125:126], -v[95:96]
	v_mul_f64 v[89:90], v[89:90], v[99:100]
	v_add_f64 v[65:66], v[65:66], -v[95:96]
	v_fma_f64 v[89:90], v[91:92], v[125:126], v[89:90]
	v_add_f64 v[67:68], v[67:68], -v[89:90]
	;; [unrolled: 8-line block ×17, first 2 shown]
	ds_read2_b64 v[89:92], v0 offset0:108 offset1:109
	s_waitcnt lgkmcnt(0)
	v_mul_f64 v[95:96], v[91:92], v[99:100]
	v_fma_f64 v[95:96], v[89:90], v[125:126], -v[95:96]
	v_mul_f64 v[89:90], v[89:90], v[99:100]
	v_add_f64 v[1:2], v[1:2], -v[95:96]
	v_fma_f64 v[89:90], v[91:92], v[125:126], v[89:90]
	ds_read2_b64 v[95:98], v0 offset0:110 offset1:111
	s_waitcnt lgkmcnt(0)
	v_mul_f64 v[91:92], v[95:96], v[99:100]
	v_add_f64 v[3:4], v[3:4], -v[89:90]
	v_mul_f64 v[89:90], v[97:98], v[99:100]
	v_fma_f64 v[91:92], v[97:98], v[125:126], v[91:92]
	v_mov_b32_e32 v97, v125
	v_mov_b32_e32 v98, v126
	v_fma_f64 v[89:90], v[95:96], v[125:126], -v[89:90]
	buffer_store_dword v97, off, s[24:27], 0 offset:304 ; 4-byte Folded Spill
	s_nop 0
	buffer_store_dword v98, off, s[24:27], 0 offset:308 ; 4-byte Folded Spill
	buffer_store_dword v99, off, s[24:27], 0 offset:312 ; 4-byte Folded Spill
	;; [unrolled: 1-line block ×3, first 2 shown]
	v_add_f64 v[123:124], v[123:124], -v[91:92]
	v_add_f64 v[121:122], v[121:122], -v[89:90]
.LBB110_272:
	s_or_b64 exec, exec, s[0:1]
	s_waitcnt vmcnt(0)
	s_barrier
	buffer_load_dword v73, off, s[24:27], 0 offset:288 ; 4-byte Folded Reload
	buffer_load_dword v74, off, s[24:27], 0 offset:292 ; 4-byte Folded Reload
	buffer_load_dword v75, off, s[24:27], 0 offset:296 ; 4-byte Folded Reload
	buffer_load_dword v76, off, s[24:27], 0 offset:300 ; 4-byte Folded Reload
	v_lshl_add_u32 v89, v93, 4, v0
	s_cmp_lt_i32 s3, 15
	s_waitcnt vmcnt(0)
	ds_write2_b64 v89, v[73:74], v[75:76] offset1:1
	s_waitcnt lgkmcnt(0)
	s_barrier
	ds_read2_b64 v[117:120], v0 offset0:26 offset1:27
	v_mov_b32_e32 v89, 13
	s_cbranch_scc1 .LBB110_275
; %bb.273:
	v_add_u32_e32 v90, 0xe0, v0
	s_mov_b32 s0, 14
	v_mov_b32_e32 v89, 13
.LBB110_274:                            ; =>This Inner Loop Header: Depth=1
	s_waitcnt lgkmcnt(0)
	v_cmp_gt_f64_e32 vcc, 0, v[117:118]
	v_xor_b32_e32 v91, 0x80000000, v118
	ds_read2_b64 v[95:98], v90 offset1:1
	v_xor_b32_e32 v99, 0x80000000, v120
	v_add_u32_e32 v90, 16, v90
	s_waitcnt lgkmcnt(0)
	v_xor_b32_e32 v101, 0x80000000, v98
	v_cndmask_b32_e32 v92, v118, v91, vcc
	v_cmp_gt_f64_e32 vcc, 0, v[119:120]
	v_mov_b32_e32 v91, v117
	v_cndmask_b32_e32 v100, v120, v99, vcc
	v_cmp_gt_f64_e32 vcc, 0, v[95:96]
	v_mov_b32_e32 v99, v119
	v_add_f64 v[91:92], v[91:92], v[99:100]
	v_xor_b32_e32 v99, 0x80000000, v96
	v_cndmask_b32_e32 v100, v96, v99, vcc
	v_cmp_gt_f64_e32 vcc, 0, v[97:98]
	v_mov_b32_e32 v99, v95
	v_cndmask_b32_e32 v102, v98, v101, vcc
	v_mov_b32_e32 v101, v97
	v_add_f64 v[99:100], v[99:100], v[101:102]
	v_cmp_lt_f64_e32 vcc, v[91:92], v[99:100]
	v_mov_b32_e32 v91, s0
	s_add_i32 s0, s0, 1
	s_cmp_lg_u32 s3, s0
	v_cndmask_b32_e32 v118, v118, v96, vcc
	v_cndmask_b32_e32 v117, v117, v95, vcc
	;; [unrolled: 1-line block ×5, first 2 shown]
	s_cbranch_scc1 .LBB110_274
.LBB110_275:
	s_waitcnt lgkmcnt(0)
	v_cmp_eq_f64_e32 vcc, 0, v[117:118]
	v_cmp_eq_f64_e64 s[0:1], 0, v[119:120]
	s_and_b64 s[0:1], vcc, s[0:1]
	s_and_saveexec_b64 s[18:19], s[0:1]
	s_xor_b64 s[0:1], exec, s[18:19]
; %bb.276:
	v_cmp_ne_u32_e32 vcc, 0, v94
	v_cndmask_b32_e32 v94, 14, v94, vcc
; %bb.277:
	s_andn2_saveexec_b64 s[0:1], s[0:1]
	s_cbranch_execz .LBB110_283
; %bb.278:
	v_cmp_ngt_f64_e64 s[18:19], |v[117:118]|, |v[119:120]|
	s_and_saveexec_b64 s[20:21], s[18:19]
	s_xor_b64 s[18:19], exec, s[20:21]
	s_cbranch_execz .LBB110_280
; %bb.279:
	v_div_scale_f64 v[90:91], s[20:21], v[119:120], v[119:120], v[117:118]
	v_rcp_f64_e32 v[95:96], v[90:91]
	v_fma_f64 v[97:98], -v[90:91], v[95:96], 1.0
	v_fma_f64 v[95:96], v[95:96], v[97:98], v[95:96]
	v_div_scale_f64 v[97:98], vcc, v[117:118], v[119:120], v[117:118]
	v_fma_f64 v[99:100], -v[90:91], v[95:96], 1.0
	v_fma_f64 v[95:96], v[95:96], v[99:100], v[95:96]
	v_mul_f64 v[99:100], v[97:98], v[95:96]
	v_fma_f64 v[90:91], -v[90:91], v[99:100], v[97:98]
	v_div_fmas_f64 v[90:91], v[90:91], v[95:96], v[99:100]
	v_div_fixup_f64 v[90:91], v[90:91], v[119:120], v[117:118]
	v_fma_f64 v[95:96], v[117:118], v[90:91], v[119:120]
	v_div_scale_f64 v[97:98], s[20:21], v[95:96], v[95:96], 1.0
	v_div_scale_f64 v[103:104], vcc, 1.0, v[95:96], 1.0
	v_rcp_f64_e32 v[99:100], v[97:98]
	v_fma_f64 v[101:102], -v[97:98], v[99:100], 1.0
	v_fma_f64 v[99:100], v[99:100], v[101:102], v[99:100]
	v_fma_f64 v[101:102], -v[97:98], v[99:100], 1.0
	v_fma_f64 v[99:100], v[99:100], v[101:102], v[99:100]
	v_mul_f64 v[101:102], v[103:104], v[99:100]
	v_fma_f64 v[97:98], -v[97:98], v[101:102], v[103:104]
	v_div_fmas_f64 v[97:98], v[97:98], v[99:100], v[101:102]
	v_div_fixup_f64 v[119:120], v[97:98], v[95:96], 1.0
	v_mul_f64 v[117:118], v[90:91], v[119:120]
	v_xor_b32_e32 v120, 0x80000000, v120
.LBB110_280:
	s_andn2_saveexec_b64 s[18:19], s[18:19]
	s_cbranch_execz .LBB110_282
; %bb.281:
	v_div_scale_f64 v[90:91], s[20:21], v[117:118], v[117:118], v[119:120]
	v_rcp_f64_e32 v[95:96], v[90:91]
	v_fma_f64 v[97:98], -v[90:91], v[95:96], 1.0
	v_fma_f64 v[95:96], v[95:96], v[97:98], v[95:96]
	v_div_scale_f64 v[97:98], vcc, v[119:120], v[117:118], v[119:120]
	v_fma_f64 v[99:100], -v[90:91], v[95:96], 1.0
	v_fma_f64 v[95:96], v[95:96], v[99:100], v[95:96]
	v_mul_f64 v[99:100], v[97:98], v[95:96]
	v_fma_f64 v[90:91], -v[90:91], v[99:100], v[97:98]
	v_div_fmas_f64 v[90:91], v[90:91], v[95:96], v[99:100]
	v_div_fixup_f64 v[90:91], v[90:91], v[117:118], v[119:120]
	v_fma_f64 v[95:96], v[119:120], v[90:91], v[117:118]
	v_div_scale_f64 v[97:98], s[20:21], v[95:96], v[95:96], 1.0
	v_div_scale_f64 v[103:104], vcc, 1.0, v[95:96], 1.0
	v_rcp_f64_e32 v[99:100], v[97:98]
	v_fma_f64 v[101:102], -v[97:98], v[99:100], 1.0
	v_fma_f64 v[99:100], v[99:100], v[101:102], v[99:100]
	v_fma_f64 v[101:102], -v[97:98], v[99:100], 1.0
	v_fma_f64 v[99:100], v[99:100], v[101:102], v[99:100]
	v_mul_f64 v[101:102], v[103:104], v[99:100]
	v_fma_f64 v[97:98], -v[97:98], v[101:102], v[103:104]
	v_div_fmas_f64 v[97:98], v[97:98], v[99:100], v[101:102]
	v_div_fixup_f64 v[117:118], v[97:98], v[95:96], 1.0
	v_mul_f64 v[119:120], v[90:91], -v[117:118]
.LBB110_282:
	s_or_b64 exec, exec, s[18:19]
.LBB110_283:
	s_or_b64 exec, exec, s[0:1]
	v_cmp_ne_u32_e32 vcc, v93, v89
	s_and_saveexec_b64 s[0:1], vcc
	s_xor_b64 s[0:1], exec, s[0:1]
	s_cbranch_execz .LBB110_289
; %bb.284:
	v_cmp_eq_u32_e32 vcc, 13, v93
	s_and_saveexec_b64 s[18:19], vcc
	s_cbranch_execz .LBB110_288
; %bb.285:
	v_cmp_ne_u32_e32 vcc, 13, v89
	s_xor_b64 s[20:21], s[6:7], -1
	s_and_b64 s[22:23], s[20:21], vcc
	s_and_saveexec_b64 s[20:21], s[22:23]
	s_cbranch_execz .LBB110_287
; %bb.286:
	v_mov_b32_e32 v73, v81
	v_mov_b32_e32 v74, v82
	;; [unrolled: 1-line block ×4, first 2 shown]
	buffer_load_dword v81, off, s[24:27], 0 offset:448 ; 4-byte Folded Reload
	buffer_load_dword v82, off, s[24:27], 0 offset:452 ; 4-byte Folded Reload
	v_ashrrev_i32_e32 v90, 31, v89
	v_lshlrev_b64 v[90:91], 2, v[89:90]
	s_waitcnt vmcnt(1)
	v_add_co_u32_e32 v90, vcc, v81, v90
	s_waitcnt vmcnt(0)
	v_addc_co_u32_e32 v91, vcc, v82, v91, vcc
	global_load_dword v92, v[90:91], off
	global_load_dword v93, v[81:82], off offset:52
	s_waitcnt vmcnt(1)
	global_store_dword v[81:82], v92, off offset:52
	v_mov_b32_e32 v84, v76
	v_mov_b32_e32 v83, v75
	v_mov_b32_e32 v82, v74
	v_mov_b32_e32 v81, v73
	s_waitcnt vmcnt(1)
	global_store_dword v[90:91], v93, off
.LBB110_287:
	s_or_b64 exec, exec, s[20:21]
	v_mov_b32_e32 v93, v89
	v_mov_b32_e32 v127, v89
.LBB110_288:
	s_or_b64 exec, exec, s[18:19]
.LBB110_289:
	s_andn2_saveexec_b64 s[0:1], s[0:1]
	s_cbranch_execz .LBB110_291
; %bb.290:
	buffer_load_dword v73, off, s[24:27], 0 offset:272 ; 4-byte Folded Reload
	buffer_load_dword v74, off, s[24:27], 0 offset:276 ; 4-byte Folded Reload
	;; [unrolled: 1-line block ×4, first 2 shown]
	v_mov_b32_e32 v93, 13
	s_waitcnt vmcnt(0)
	ds_write2_b64 v0, v[73:74], v[75:76] offset0:28 offset1:29
	buffer_load_dword v73, off, s[24:27], 0 offset:256 ; 4-byte Folded Reload
	buffer_load_dword v74, off, s[24:27], 0 offset:260 ; 4-byte Folded Reload
	buffer_load_dword v75, off, s[24:27], 0 offset:264 ; 4-byte Folded Reload
	buffer_load_dword v76, off, s[24:27], 0 offset:268 ; 4-byte Folded Reload
	s_waitcnt vmcnt(0)
	ds_write2_b64 v0, v[73:74], v[75:76] offset0:30 offset1:31
	buffer_load_dword v73, off, s[24:27], 0 offset:240 ; 4-byte Folded Reload
	buffer_load_dword v74, off, s[24:27], 0 offset:244 ; 4-byte Folded Reload
	buffer_load_dword v75, off, s[24:27], 0 offset:248 ; 4-byte Folded Reload
	buffer_load_dword v76, off, s[24:27], 0 offset:252 ; 4-byte Folded Reload
	;; [unrolled: 6-line block ×16, first 2 shown]
	s_waitcnt vmcnt(0)
	ds_write2_b64 v0, v[73:74], v[75:76] offset0:60 offset1:61
	ds_write2_b64 v0, v[81:82], v[83:84] offset0:62 offset1:63
	;; [unrolled: 1-line block ×6, first 2 shown]
	buffer_load_dword v73, off, s[24:27], 0 ; 4-byte Folded Reload
	buffer_load_dword v74, off, s[24:27], 0 offset:4 ; 4-byte Folded Reload
	buffer_load_dword v75, off, s[24:27], 0 offset:8 ; 4-byte Folded Reload
	;; [unrolled: 1-line block ×3, first 2 shown]
	s_waitcnt vmcnt(0)
	ds_write2_b64 v0, v[73:74], v[75:76] offset0:72 offset1:73
	ds_write2_b64 v0, v[69:70], v[71:72] offset0:74 offset1:75
	;; [unrolled: 1-line block ×20, first 2 shown]
.LBB110_291:
	s_or_b64 exec, exec, s[0:1]
	v_cmp_lt_i32_e32 vcc, 13, v93
	s_waitcnt vmcnt(0) lgkmcnt(0)
	s_barrier
	s_and_saveexec_b64 s[0:1], vcc
	s_cbranch_execz .LBB110_293
; %bb.292:
	buffer_load_dword v95, off, s[24:27], 0 offset:288 ; 4-byte Folded Reload
	buffer_load_dword v96, off, s[24:27], 0 offset:292 ; 4-byte Folded Reload
	;; [unrolled: 1-line block ×4, first 2 shown]
	s_waitcnt vmcnt(0)
	v_mul_f64 v[89:90], v[119:120], v[97:98]
	v_fma_f64 v[125:126], v[117:118], v[95:96], -v[89:90]
	v_mul_f64 v[89:90], v[117:118], v[97:98]
	v_fma_f64 v[97:98], v[119:120], v[95:96], v[89:90]
	ds_read2_b64 v[89:92], v0 offset0:28 offset1:29
	buffer_load_dword v73, off, s[24:27], 0 offset:272 ; 4-byte Folded Reload
	buffer_load_dword v74, off, s[24:27], 0 offset:276 ; 4-byte Folded Reload
	buffer_load_dword v75, off, s[24:27], 0 offset:280 ; 4-byte Folded Reload
	buffer_load_dword v76, off, s[24:27], 0 offset:284 ; 4-byte Folded Reload
	s_waitcnt lgkmcnt(0)
	v_mul_f64 v[95:96], v[91:92], v[97:98]
	v_fma_f64 v[95:96], v[89:90], v[125:126], -v[95:96]
	v_mul_f64 v[89:90], v[89:90], v[97:98]
	v_fma_f64 v[89:90], v[91:92], v[125:126], v[89:90]
	s_waitcnt vmcnt(2)
	v_add_f64 v[73:74], v[73:74], -v[95:96]
	s_waitcnt vmcnt(0)
	v_add_f64 v[75:76], v[75:76], -v[89:90]
	buffer_store_dword v73, off, s[24:27], 0 offset:272 ; 4-byte Folded Spill
	s_nop 0
	buffer_store_dword v74, off, s[24:27], 0 offset:276 ; 4-byte Folded Spill
	buffer_store_dword v75, off, s[24:27], 0 offset:280 ; 4-byte Folded Spill
	buffer_store_dword v76, off, s[24:27], 0 offset:284 ; 4-byte Folded Spill
	ds_read2_b64 v[89:92], v0 offset0:30 offset1:31
	buffer_load_dword v73, off, s[24:27], 0 offset:256 ; 4-byte Folded Reload
	buffer_load_dword v74, off, s[24:27], 0 offset:260 ; 4-byte Folded Reload
	buffer_load_dword v75, off, s[24:27], 0 offset:264 ; 4-byte Folded Reload
	buffer_load_dword v76, off, s[24:27], 0 offset:268 ; 4-byte Folded Reload
	s_waitcnt lgkmcnt(0)
	v_mul_f64 v[95:96], v[91:92], v[97:98]
	v_fma_f64 v[95:96], v[89:90], v[125:126], -v[95:96]
	v_mul_f64 v[89:90], v[89:90], v[97:98]
	v_fma_f64 v[89:90], v[91:92], v[125:126], v[89:90]
	s_waitcnt vmcnt(2)
	v_add_f64 v[73:74], v[73:74], -v[95:96]
	s_waitcnt vmcnt(0)
	v_add_f64 v[75:76], v[75:76], -v[89:90]
	buffer_store_dword v73, off, s[24:27], 0 offset:256 ; 4-byte Folded Spill
	s_nop 0
	buffer_store_dword v74, off, s[24:27], 0 offset:260 ; 4-byte Folded Spill
	buffer_store_dword v75, off, s[24:27], 0 offset:264 ; 4-byte Folded Spill
	buffer_store_dword v76, off, s[24:27], 0 offset:268 ; 4-byte Folded Spill
	;; [unrolled: 19-line block ×17, first 2 shown]
	ds_read2_b64 v[89:92], v0 offset0:62 offset1:63
	s_waitcnt lgkmcnt(0)
	v_mul_f64 v[95:96], v[91:92], v[97:98]
	v_fma_f64 v[95:96], v[89:90], v[125:126], -v[95:96]
	v_mul_f64 v[89:90], v[89:90], v[97:98]
	v_add_f64 v[81:82], v[81:82], -v[95:96]
	v_fma_f64 v[89:90], v[91:92], v[125:126], v[89:90]
	v_add_f64 v[83:84], v[83:84], -v[89:90]
	ds_read2_b64 v[89:92], v0 offset0:64 offset1:65
	s_waitcnt lgkmcnt(0)
	v_mul_f64 v[95:96], v[91:92], v[97:98]
	v_fma_f64 v[95:96], v[89:90], v[125:126], -v[95:96]
	v_mul_f64 v[89:90], v[89:90], v[97:98]
	v_add_f64 v[85:86], v[85:86], -v[95:96]
	v_fma_f64 v[89:90], v[91:92], v[125:126], v[89:90]
	v_add_f64 v[87:88], v[87:88], -v[89:90]
	;; [unrolled: 8-line block ×5, first 2 shown]
	ds_read2_b64 v[89:92], v0 offset0:72 offset1:73
	buffer_load_dword v73, off, s[24:27], 0 ; 4-byte Folded Reload
	buffer_load_dword v74, off, s[24:27], 0 offset:4 ; 4-byte Folded Reload
	buffer_load_dword v75, off, s[24:27], 0 offset:8 ; 4-byte Folded Reload
	;; [unrolled: 1-line block ×3, first 2 shown]
	s_waitcnt lgkmcnt(0)
	v_mul_f64 v[95:96], v[91:92], v[97:98]
	v_fma_f64 v[95:96], v[89:90], v[125:126], -v[95:96]
	v_mul_f64 v[89:90], v[89:90], v[97:98]
	v_fma_f64 v[89:90], v[91:92], v[125:126], v[89:90]
	s_waitcnt vmcnt(2)
	v_add_f64 v[73:74], v[73:74], -v[95:96]
	s_waitcnt vmcnt(0)
	v_add_f64 v[75:76], v[75:76], -v[89:90]
	buffer_store_dword v73, off, s[24:27], 0 ; 4-byte Folded Spill
	s_nop 0
	buffer_store_dword v74, off, s[24:27], 0 offset:4 ; 4-byte Folded Spill
	buffer_store_dword v75, off, s[24:27], 0 offset:8 ; 4-byte Folded Spill
	buffer_store_dword v76, off, s[24:27], 0 offset:12 ; 4-byte Folded Spill
	ds_read2_b64 v[89:92], v0 offset0:74 offset1:75
	s_waitcnt lgkmcnt(0)
	v_mul_f64 v[95:96], v[91:92], v[97:98]
	v_fma_f64 v[95:96], v[89:90], v[125:126], -v[95:96]
	v_mul_f64 v[89:90], v[89:90], v[97:98]
	v_add_f64 v[69:70], v[69:70], -v[95:96]
	v_fma_f64 v[89:90], v[91:92], v[125:126], v[89:90]
	v_add_f64 v[71:72], v[71:72], -v[89:90]
	ds_read2_b64 v[89:92], v0 offset0:76 offset1:77
	s_waitcnt lgkmcnt(0)
	v_mul_f64 v[95:96], v[91:92], v[97:98]
	v_fma_f64 v[95:96], v[89:90], v[125:126], -v[95:96]
	v_mul_f64 v[89:90], v[89:90], v[97:98]
	v_add_f64 v[65:66], v[65:66], -v[95:96]
	v_fma_f64 v[89:90], v[91:92], v[125:126], v[89:90]
	v_add_f64 v[67:68], v[67:68], -v[89:90]
	;; [unrolled: 8-line block ×18, first 2 shown]
	ds_read2_b64 v[89:92], v0 offset0:110 offset1:111
	s_waitcnt lgkmcnt(0)
	v_mul_f64 v[95:96], v[91:92], v[97:98]
	v_fma_f64 v[95:96], v[89:90], v[125:126], -v[95:96]
	v_mul_f64 v[89:90], v[89:90], v[97:98]
	v_add_f64 v[121:122], v[121:122], -v[95:96]
	v_fma_f64 v[89:90], v[91:92], v[125:126], v[89:90]
	v_mov_b32_e32 v95, v125
	v_mov_b32_e32 v96, v126
	buffer_store_dword v95, off, s[24:27], 0 offset:288 ; 4-byte Folded Spill
	s_nop 0
	buffer_store_dword v96, off, s[24:27], 0 offset:292 ; 4-byte Folded Spill
	buffer_store_dword v97, off, s[24:27], 0 offset:296 ; 4-byte Folded Spill
	;; [unrolled: 1-line block ×3, first 2 shown]
	v_add_f64 v[123:124], v[123:124], -v[89:90]
.LBB110_293:
	s_or_b64 exec, exec, s[0:1]
	s_waitcnt vmcnt(0)
	s_barrier
	buffer_load_dword v73, off, s[24:27], 0 offset:272 ; 4-byte Folded Reload
	buffer_load_dword v74, off, s[24:27], 0 offset:276 ; 4-byte Folded Reload
	;; [unrolled: 1-line block ×4, first 2 shown]
	v_lshl_add_u32 v89, v93, 4, v0
	s_cmp_lt_i32 s3, 16
	s_waitcnt vmcnt(0)
	ds_write2_b64 v89, v[73:74], v[75:76] offset1:1
	s_waitcnt lgkmcnt(0)
	s_barrier
	ds_read2_b64 v[117:120], v0 offset0:28 offset1:29
	v_mov_b32_e32 v89, 14
	s_cbranch_scc1 .LBB110_296
; %bb.294:
	v_add_u32_e32 v90, 0xf0, v0
	s_mov_b32 s0, 15
	v_mov_b32_e32 v89, 14
.LBB110_295:                            ; =>This Inner Loop Header: Depth=1
	s_waitcnt lgkmcnt(0)
	v_cmp_gt_f64_e32 vcc, 0, v[117:118]
	v_xor_b32_e32 v91, 0x80000000, v118
	ds_read2_b64 v[95:98], v90 offset1:1
	v_xor_b32_e32 v99, 0x80000000, v120
	v_add_u32_e32 v90, 16, v90
	s_waitcnt lgkmcnt(0)
	v_xor_b32_e32 v101, 0x80000000, v98
	v_cndmask_b32_e32 v92, v118, v91, vcc
	v_cmp_gt_f64_e32 vcc, 0, v[119:120]
	v_mov_b32_e32 v91, v117
	v_cndmask_b32_e32 v100, v120, v99, vcc
	v_cmp_gt_f64_e32 vcc, 0, v[95:96]
	v_mov_b32_e32 v99, v119
	v_add_f64 v[91:92], v[91:92], v[99:100]
	v_xor_b32_e32 v99, 0x80000000, v96
	v_cndmask_b32_e32 v100, v96, v99, vcc
	v_cmp_gt_f64_e32 vcc, 0, v[97:98]
	v_mov_b32_e32 v99, v95
	v_cndmask_b32_e32 v102, v98, v101, vcc
	v_mov_b32_e32 v101, v97
	v_add_f64 v[99:100], v[99:100], v[101:102]
	v_cmp_lt_f64_e32 vcc, v[91:92], v[99:100]
	v_mov_b32_e32 v91, s0
	s_add_i32 s0, s0, 1
	s_cmp_lg_u32 s3, s0
	v_cndmask_b32_e32 v118, v118, v96, vcc
	v_cndmask_b32_e32 v117, v117, v95, vcc
	;; [unrolled: 1-line block ×5, first 2 shown]
	s_cbranch_scc1 .LBB110_295
.LBB110_296:
	s_waitcnt lgkmcnt(0)
	v_cmp_eq_f64_e32 vcc, 0, v[117:118]
	v_cmp_eq_f64_e64 s[0:1], 0, v[119:120]
	s_and_b64 s[0:1], vcc, s[0:1]
	s_and_saveexec_b64 s[18:19], s[0:1]
	s_xor_b64 s[0:1], exec, s[18:19]
; %bb.297:
	v_cmp_ne_u32_e32 vcc, 0, v94
	v_cndmask_b32_e32 v94, 15, v94, vcc
; %bb.298:
	s_andn2_saveexec_b64 s[0:1], s[0:1]
	s_cbranch_execz .LBB110_304
; %bb.299:
	v_cmp_ngt_f64_e64 s[18:19], |v[117:118]|, |v[119:120]|
	s_and_saveexec_b64 s[20:21], s[18:19]
	s_xor_b64 s[18:19], exec, s[20:21]
	s_cbranch_execz .LBB110_301
; %bb.300:
	v_div_scale_f64 v[90:91], s[20:21], v[119:120], v[119:120], v[117:118]
	v_rcp_f64_e32 v[95:96], v[90:91]
	v_fma_f64 v[97:98], -v[90:91], v[95:96], 1.0
	v_fma_f64 v[95:96], v[95:96], v[97:98], v[95:96]
	v_div_scale_f64 v[97:98], vcc, v[117:118], v[119:120], v[117:118]
	v_fma_f64 v[99:100], -v[90:91], v[95:96], 1.0
	v_fma_f64 v[95:96], v[95:96], v[99:100], v[95:96]
	v_mul_f64 v[99:100], v[97:98], v[95:96]
	v_fma_f64 v[90:91], -v[90:91], v[99:100], v[97:98]
	v_div_fmas_f64 v[90:91], v[90:91], v[95:96], v[99:100]
	v_div_fixup_f64 v[90:91], v[90:91], v[119:120], v[117:118]
	v_fma_f64 v[95:96], v[117:118], v[90:91], v[119:120]
	v_div_scale_f64 v[97:98], s[20:21], v[95:96], v[95:96], 1.0
	v_div_scale_f64 v[103:104], vcc, 1.0, v[95:96], 1.0
	v_rcp_f64_e32 v[99:100], v[97:98]
	v_fma_f64 v[101:102], -v[97:98], v[99:100], 1.0
	v_fma_f64 v[99:100], v[99:100], v[101:102], v[99:100]
	v_fma_f64 v[101:102], -v[97:98], v[99:100], 1.0
	v_fma_f64 v[99:100], v[99:100], v[101:102], v[99:100]
	v_mul_f64 v[101:102], v[103:104], v[99:100]
	v_fma_f64 v[97:98], -v[97:98], v[101:102], v[103:104]
	v_div_fmas_f64 v[97:98], v[97:98], v[99:100], v[101:102]
	v_div_fixup_f64 v[119:120], v[97:98], v[95:96], 1.0
	v_mul_f64 v[117:118], v[90:91], v[119:120]
	v_xor_b32_e32 v120, 0x80000000, v120
.LBB110_301:
	s_andn2_saveexec_b64 s[18:19], s[18:19]
	s_cbranch_execz .LBB110_303
; %bb.302:
	v_div_scale_f64 v[90:91], s[20:21], v[117:118], v[117:118], v[119:120]
	v_rcp_f64_e32 v[95:96], v[90:91]
	v_fma_f64 v[97:98], -v[90:91], v[95:96], 1.0
	v_fma_f64 v[95:96], v[95:96], v[97:98], v[95:96]
	v_div_scale_f64 v[97:98], vcc, v[119:120], v[117:118], v[119:120]
	v_fma_f64 v[99:100], -v[90:91], v[95:96], 1.0
	v_fma_f64 v[95:96], v[95:96], v[99:100], v[95:96]
	v_mul_f64 v[99:100], v[97:98], v[95:96]
	v_fma_f64 v[90:91], -v[90:91], v[99:100], v[97:98]
	v_div_fmas_f64 v[90:91], v[90:91], v[95:96], v[99:100]
	v_div_fixup_f64 v[90:91], v[90:91], v[117:118], v[119:120]
	v_fma_f64 v[95:96], v[119:120], v[90:91], v[117:118]
	v_div_scale_f64 v[97:98], s[20:21], v[95:96], v[95:96], 1.0
	v_div_scale_f64 v[103:104], vcc, 1.0, v[95:96], 1.0
	v_rcp_f64_e32 v[99:100], v[97:98]
	v_fma_f64 v[101:102], -v[97:98], v[99:100], 1.0
	v_fma_f64 v[99:100], v[99:100], v[101:102], v[99:100]
	v_fma_f64 v[101:102], -v[97:98], v[99:100], 1.0
	v_fma_f64 v[99:100], v[99:100], v[101:102], v[99:100]
	v_mul_f64 v[101:102], v[103:104], v[99:100]
	v_fma_f64 v[97:98], -v[97:98], v[101:102], v[103:104]
	v_div_fmas_f64 v[97:98], v[97:98], v[99:100], v[101:102]
	v_div_fixup_f64 v[117:118], v[97:98], v[95:96], 1.0
	v_mul_f64 v[119:120], v[90:91], -v[117:118]
.LBB110_303:
	s_or_b64 exec, exec, s[18:19]
.LBB110_304:
	s_or_b64 exec, exec, s[0:1]
	v_cmp_ne_u32_e32 vcc, v93, v89
	s_and_saveexec_b64 s[0:1], vcc
	s_xor_b64 s[0:1], exec, s[0:1]
	s_cbranch_execz .LBB110_310
; %bb.305:
	v_cmp_eq_u32_e32 vcc, 14, v93
	s_and_saveexec_b64 s[18:19], vcc
	s_cbranch_execz .LBB110_309
; %bb.306:
	v_cmp_ne_u32_e32 vcc, 14, v89
	s_xor_b64 s[20:21], s[6:7], -1
	s_and_b64 s[22:23], s[20:21], vcc
	s_and_saveexec_b64 s[20:21], s[22:23]
	s_cbranch_execz .LBB110_308
; %bb.307:
	v_mov_b32_e32 v73, v81
	v_mov_b32_e32 v74, v82
	;; [unrolled: 1-line block ×4, first 2 shown]
	buffer_load_dword v81, off, s[24:27], 0 offset:448 ; 4-byte Folded Reload
	buffer_load_dword v82, off, s[24:27], 0 offset:452 ; 4-byte Folded Reload
	v_ashrrev_i32_e32 v90, 31, v89
	v_lshlrev_b64 v[90:91], 2, v[89:90]
	s_waitcnt vmcnt(1)
	v_add_co_u32_e32 v90, vcc, v81, v90
	s_waitcnt vmcnt(0)
	v_addc_co_u32_e32 v91, vcc, v82, v91, vcc
	global_load_dword v92, v[90:91], off
	global_load_dword v93, v[81:82], off offset:56
	s_waitcnt vmcnt(1)
	global_store_dword v[81:82], v92, off offset:56
	v_mov_b32_e32 v84, v76
	v_mov_b32_e32 v83, v75
	;; [unrolled: 1-line block ×4, first 2 shown]
	s_waitcnt vmcnt(1)
	global_store_dword v[90:91], v93, off
.LBB110_308:
	s_or_b64 exec, exec, s[20:21]
	v_mov_b32_e32 v93, v89
	v_mov_b32_e32 v127, v89
.LBB110_309:
	s_or_b64 exec, exec, s[18:19]
.LBB110_310:
	s_andn2_saveexec_b64 s[0:1], s[0:1]
	s_cbranch_execz .LBB110_312
; %bb.311:
	buffer_load_dword v73, off, s[24:27], 0 offset:256 ; 4-byte Folded Reload
	buffer_load_dword v74, off, s[24:27], 0 offset:260 ; 4-byte Folded Reload
	;; [unrolled: 1-line block ×4, first 2 shown]
	v_mov_b32_e32 v93, 14
	s_waitcnt vmcnt(0)
	ds_write2_b64 v0, v[73:74], v[75:76] offset0:30 offset1:31
	buffer_load_dword v73, off, s[24:27], 0 offset:240 ; 4-byte Folded Reload
	buffer_load_dword v74, off, s[24:27], 0 offset:244 ; 4-byte Folded Reload
	buffer_load_dword v75, off, s[24:27], 0 offset:248 ; 4-byte Folded Reload
	buffer_load_dword v76, off, s[24:27], 0 offset:252 ; 4-byte Folded Reload
	s_waitcnt vmcnt(0)
	ds_write2_b64 v0, v[73:74], v[75:76] offset0:32 offset1:33
	buffer_load_dword v73, off, s[24:27], 0 offset:224 ; 4-byte Folded Reload
	buffer_load_dword v74, off, s[24:27], 0 offset:228 ; 4-byte Folded Reload
	buffer_load_dword v75, off, s[24:27], 0 offset:232 ; 4-byte Folded Reload
	buffer_load_dword v76, off, s[24:27], 0 offset:236 ; 4-byte Folded Reload
	;; [unrolled: 6-line block ×15, first 2 shown]
	s_waitcnt vmcnt(0)
	ds_write2_b64 v0, v[73:74], v[75:76] offset0:60 offset1:61
	ds_write2_b64 v0, v[81:82], v[83:84] offset0:62 offset1:63
	;; [unrolled: 1-line block ×6, first 2 shown]
	buffer_load_dword v73, off, s[24:27], 0 ; 4-byte Folded Reload
	buffer_load_dword v74, off, s[24:27], 0 offset:4 ; 4-byte Folded Reload
	buffer_load_dword v75, off, s[24:27], 0 offset:8 ; 4-byte Folded Reload
	;; [unrolled: 1-line block ×3, first 2 shown]
	s_waitcnt vmcnt(0)
	ds_write2_b64 v0, v[73:74], v[75:76] offset0:72 offset1:73
	ds_write2_b64 v0, v[69:70], v[71:72] offset0:74 offset1:75
	;; [unrolled: 1-line block ×20, first 2 shown]
.LBB110_312:
	s_or_b64 exec, exec, s[0:1]
	v_cmp_lt_i32_e32 vcc, 14, v93
	s_waitcnt vmcnt(0) lgkmcnt(0)
	s_barrier
	s_and_saveexec_b64 s[0:1], vcc
	s_cbranch_execz .LBB110_314
; %bb.313:
	buffer_load_dword v95, off, s[24:27], 0 offset:272 ; 4-byte Folded Reload
	buffer_load_dword v96, off, s[24:27], 0 offset:276 ; 4-byte Folded Reload
	buffer_load_dword v97, off, s[24:27], 0 offset:280 ; 4-byte Folded Reload
	buffer_load_dword v98, off, s[24:27], 0 offset:284 ; 4-byte Folded Reload
	s_waitcnt vmcnt(0)
	v_mul_f64 v[89:90], v[119:120], v[97:98]
	v_fma_f64 v[125:126], v[117:118], v[95:96], -v[89:90]
	v_mul_f64 v[89:90], v[117:118], v[97:98]
	v_fma_f64 v[97:98], v[119:120], v[95:96], v[89:90]
	ds_read2_b64 v[89:92], v0 offset0:30 offset1:31
	buffer_load_dword v73, off, s[24:27], 0 offset:256 ; 4-byte Folded Reload
	buffer_load_dword v74, off, s[24:27], 0 offset:260 ; 4-byte Folded Reload
	buffer_load_dword v75, off, s[24:27], 0 offset:264 ; 4-byte Folded Reload
	buffer_load_dword v76, off, s[24:27], 0 offset:268 ; 4-byte Folded Reload
	s_waitcnt lgkmcnt(0)
	v_mul_f64 v[95:96], v[91:92], v[97:98]
	v_fma_f64 v[95:96], v[89:90], v[125:126], -v[95:96]
	v_mul_f64 v[89:90], v[89:90], v[97:98]
	v_fma_f64 v[89:90], v[91:92], v[125:126], v[89:90]
	s_waitcnt vmcnt(2)
	v_add_f64 v[73:74], v[73:74], -v[95:96]
	s_waitcnt vmcnt(0)
	v_add_f64 v[75:76], v[75:76], -v[89:90]
	buffer_store_dword v73, off, s[24:27], 0 offset:256 ; 4-byte Folded Spill
	s_nop 0
	buffer_store_dword v74, off, s[24:27], 0 offset:260 ; 4-byte Folded Spill
	buffer_store_dword v75, off, s[24:27], 0 offset:264 ; 4-byte Folded Spill
	buffer_store_dword v76, off, s[24:27], 0 offset:268 ; 4-byte Folded Spill
	ds_read2_b64 v[89:92], v0 offset0:32 offset1:33
	buffer_load_dword v73, off, s[24:27], 0 offset:240 ; 4-byte Folded Reload
	buffer_load_dword v74, off, s[24:27], 0 offset:244 ; 4-byte Folded Reload
	buffer_load_dword v75, off, s[24:27], 0 offset:248 ; 4-byte Folded Reload
	buffer_load_dword v76, off, s[24:27], 0 offset:252 ; 4-byte Folded Reload
	s_waitcnt lgkmcnt(0)
	v_mul_f64 v[95:96], v[91:92], v[97:98]
	v_fma_f64 v[95:96], v[89:90], v[125:126], -v[95:96]
	v_mul_f64 v[89:90], v[89:90], v[97:98]
	v_fma_f64 v[89:90], v[91:92], v[125:126], v[89:90]
	s_waitcnt vmcnt(2)
	v_add_f64 v[73:74], v[73:74], -v[95:96]
	s_waitcnt vmcnt(0)
	v_add_f64 v[75:76], v[75:76], -v[89:90]
	buffer_store_dword v73, off, s[24:27], 0 offset:240 ; 4-byte Folded Spill
	s_nop 0
	buffer_store_dword v74, off, s[24:27], 0 offset:244 ; 4-byte Folded Spill
	buffer_store_dword v75, off, s[24:27], 0 offset:248 ; 4-byte Folded Spill
	buffer_store_dword v76, off, s[24:27], 0 offset:252 ; 4-byte Folded Spill
	;; [unrolled: 19-line block ×16, first 2 shown]
	ds_read2_b64 v[89:92], v0 offset0:62 offset1:63
	s_waitcnt lgkmcnt(0)
	v_mul_f64 v[95:96], v[91:92], v[97:98]
	v_fma_f64 v[95:96], v[89:90], v[125:126], -v[95:96]
	v_mul_f64 v[89:90], v[89:90], v[97:98]
	v_add_f64 v[81:82], v[81:82], -v[95:96]
	v_fma_f64 v[89:90], v[91:92], v[125:126], v[89:90]
	v_add_f64 v[83:84], v[83:84], -v[89:90]
	ds_read2_b64 v[89:92], v0 offset0:64 offset1:65
	s_waitcnt lgkmcnt(0)
	v_mul_f64 v[95:96], v[91:92], v[97:98]
	v_fma_f64 v[95:96], v[89:90], v[125:126], -v[95:96]
	v_mul_f64 v[89:90], v[89:90], v[97:98]
	v_add_f64 v[85:86], v[85:86], -v[95:96]
	v_fma_f64 v[89:90], v[91:92], v[125:126], v[89:90]
	v_add_f64 v[87:88], v[87:88], -v[89:90]
	;; [unrolled: 8-line block ×5, first 2 shown]
	ds_read2_b64 v[89:92], v0 offset0:72 offset1:73
	buffer_load_dword v73, off, s[24:27], 0 ; 4-byte Folded Reload
	buffer_load_dword v74, off, s[24:27], 0 offset:4 ; 4-byte Folded Reload
	buffer_load_dword v75, off, s[24:27], 0 offset:8 ; 4-byte Folded Reload
	;; [unrolled: 1-line block ×3, first 2 shown]
	s_waitcnt lgkmcnt(0)
	v_mul_f64 v[95:96], v[91:92], v[97:98]
	v_fma_f64 v[95:96], v[89:90], v[125:126], -v[95:96]
	v_mul_f64 v[89:90], v[89:90], v[97:98]
	v_fma_f64 v[89:90], v[91:92], v[125:126], v[89:90]
	s_waitcnt vmcnt(2)
	v_add_f64 v[73:74], v[73:74], -v[95:96]
	s_waitcnt vmcnt(0)
	v_add_f64 v[75:76], v[75:76], -v[89:90]
	buffer_store_dword v73, off, s[24:27], 0 ; 4-byte Folded Spill
	s_nop 0
	buffer_store_dword v74, off, s[24:27], 0 offset:4 ; 4-byte Folded Spill
	buffer_store_dword v75, off, s[24:27], 0 offset:8 ; 4-byte Folded Spill
	buffer_store_dword v76, off, s[24:27], 0 offset:12 ; 4-byte Folded Spill
	ds_read2_b64 v[89:92], v0 offset0:74 offset1:75
	s_waitcnt lgkmcnt(0)
	v_mul_f64 v[95:96], v[91:92], v[97:98]
	v_fma_f64 v[95:96], v[89:90], v[125:126], -v[95:96]
	v_mul_f64 v[89:90], v[89:90], v[97:98]
	v_add_f64 v[69:70], v[69:70], -v[95:96]
	v_fma_f64 v[89:90], v[91:92], v[125:126], v[89:90]
	v_add_f64 v[71:72], v[71:72], -v[89:90]
	ds_read2_b64 v[89:92], v0 offset0:76 offset1:77
	s_waitcnt lgkmcnt(0)
	v_mul_f64 v[95:96], v[91:92], v[97:98]
	v_fma_f64 v[95:96], v[89:90], v[125:126], -v[95:96]
	v_mul_f64 v[89:90], v[89:90], v[97:98]
	v_add_f64 v[65:66], v[65:66], -v[95:96]
	v_fma_f64 v[89:90], v[91:92], v[125:126], v[89:90]
	v_add_f64 v[67:68], v[67:68], -v[89:90]
	;; [unrolled: 8-line block ×18, first 2 shown]
	ds_read2_b64 v[89:92], v0 offset0:110 offset1:111
	s_waitcnt lgkmcnt(0)
	v_mul_f64 v[95:96], v[91:92], v[97:98]
	v_fma_f64 v[95:96], v[89:90], v[125:126], -v[95:96]
	v_mul_f64 v[89:90], v[89:90], v[97:98]
	v_add_f64 v[121:122], v[121:122], -v[95:96]
	v_fma_f64 v[89:90], v[91:92], v[125:126], v[89:90]
	v_mov_b32_e32 v95, v125
	v_mov_b32_e32 v96, v126
	buffer_store_dword v95, off, s[24:27], 0 offset:272 ; 4-byte Folded Spill
	s_nop 0
	buffer_store_dword v96, off, s[24:27], 0 offset:276 ; 4-byte Folded Spill
	buffer_store_dword v97, off, s[24:27], 0 offset:280 ; 4-byte Folded Spill
	;; [unrolled: 1-line block ×3, first 2 shown]
	v_add_f64 v[123:124], v[123:124], -v[89:90]
.LBB110_314:
	s_or_b64 exec, exec, s[0:1]
	s_waitcnt vmcnt(0)
	s_barrier
	buffer_load_dword v73, off, s[24:27], 0 offset:256 ; 4-byte Folded Reload
	buffer_load_dword v74, off, s[24:27], 0 offset:260 ; 4-byte Folded Reload
	;; [unrolled: 1-line block ×4, first 2 shown]
	v_lshl_add_u32 v89, v93, 4, v0
	s_cmp_lt_i32 s3, 17
	s_waitcnt vmcnt(0)
	ds_write2_b64 v89, v[73:74], v[75:76] offset1:1
	s_waitcnt lgkmcnt(0)
	s_barrier
	ds_read2_b64 v[117:120], v0 offset0:30 offset1:31
	v_mov_b32_e32 v89, 15
	s_cbranch_scc1 .LBB110_317
; %bb.315:
	v_add_u32_e32 v90, 0x100, v0
	s_mov_b32 s0, 16
	v_mov_b32_e32 v89, 15
.LBB110_316:                            ; =>This Inner Loop Header: Depth=1
	s_waitcnt lgkmcnt(0)
	v_cmp_gt_f64_e32 vcc, 0, v[117:118]
	v_xor_b32_e32 v91, 0x80000000, v118
	ds_read2_b64 v[95:98], v90 offset1:1
	v_xor_b32_e32 v99, 0x80000000, v120
	v_add_u32_e32 v90, 16, v90
	s_waitcnt lgkmcnt(0)
	v_xor_b32_e32 v101, 0x80000000, v98
	v_cndmask_b32_e32 v92, v118, v91, vcc
	v_cmp_gt_f64_e32 vcc, 0, v[119:120]
	v_mov_b32_e32 v91, v117
	v_cndmask_b32_e32 v100, v120, v99, vcc
	v_cmp_gt_f64_e32 vcc, 0, v[95:96]
	v_mov_b32_e32 v99, v119
	v_add_f64 v[91:92], v[91:92], v[99:100]
	v_xor_b32_e32 v99, 0x80000000, v96
	v_cndmask_b32_e32 v100, v96, v99, vcc
	v_cmp_gt_f64_e32 vcc, 0, v[97:98]
	v_mov_b32_e32 v99, v95
	v_cndmask_b32_e32 v102, v98, v101, vcc
	v_mov_b32_e32 v101, v97
	v_add_f64 v[99:100], v[99:100], v[101:102]
	v_cmp_lt_f64_e32 vcc, v[91:92], v[99:100]
	v_mov_b32_e32 v91, s0
	s_add_i32 s0, s0, 1
	s_cmp_lg_u32 s3, s0
	v_cndmask_b32_e32 v118, v118, v96, vcc
	v_cndmask_b32_e32 v117, v117, v95, vcc
	;; [unrolled: 1-line block ×5, first 2 shown]
	s_cbranch_scc1 .LBB110_316
.LBB110_317:
	s_waitcnt lgkmcnt(0)
	v_cmp_eq_f64_e32 vcc, 0, v[117:118]
	v_cmp_eq_f64_e64 s[0:1], 0, v[119:120]
	s_and_b64 s[0:1], vcc, s[0:1]
	s_and_saveexec_b64 s[18:19], s[0:1]
	s_xor_b64 s[0:1], exec, s[18:19]
; %bb.318:
	v_cmp_ne_u32_e32 vcc, 0, v94
	v_cndmask_b32_e32 v94, 16, v94, vcc
; %bb.319:
	s_andn2_saveexec_b64 s[0:1], s[0:1]
	s_cbranch_execz .LBB110_325
; %bb.320:
	v_cmp_ngt_f64_e64 s[18:19], |v[117:118]|, |v[119:120]|
	s_and_saveexec_b64 s[20:21], s[18:19]
	s_xor_b64 s[18:19], exec, s[20:21]
	s_cbranch_execz .LBB110_322
; %bb.321:
	v_div_scale_f64 v[90:91], s[20:21], v[119:120], v[119:120], v[117:118]
	v_rcp_f64_e32 v[95:96], v[90:91]
	v_fma_f64 v[97:98], -v[90:91], v[95:96], 1.0
	v_fma_f64 v[95:96], v[95:96], v[97:98], v[95:96]
	v_div_scale_f64 v[97:98], vcc, v[117:118], v[119:120], v[117:118]
	v_fma_f64 v[99:100], -v[90:91], v[95:96], 1.0
	v_fma_f64 v[95:96], v[95:96], v[99:100], v[95:96]
	v_mul_f64 v[99:100], v[97:98], v[95:96]
	v_fma_f64 v[90:91], -v[90:91], v[99:100], v[97:98]
	v_div_fmas_f64 v[90:91], v[90:91], v[95:96], v[99:100]
	v_div_fixup_f64 v[90:91], v[90:91], v[119:120], v[117:118]
	v_fma_f64 v[95:96], v[117:118], v[90:91], v[119:120]
	v_div_scale_f64 v[97:98], s[20:21], v[95:96], v[95:96], 1.0
	v_div_scale_f64 v[103:104], vcc, 1.0, v[95:96], 1.0
	v_rcp_f64_e32 v[99:100], v[97:98]
	v_fma_f64 v[101:102], -v[97:98], v[99:100], 1.0
	v_fma_f64 v[99:100], v[99:100], v[101:102], v[99:100]
	v_fma_f64 v[101:102], -v[97:98], v[99:100], 1.0
	v_fma_f64 v[99:100], v[99:100], v[101:102], v[99:100]
	v_mul_f64 v[101:102], v[103:104], v[99:100]
	v_fma_f64 v[97:98], -v[97:98], v[101:102], v[103:104]
	v_div_fmas_f64 v[97:98], v[97:98], v[99:100], v[101:102]
	v_div_fixup_f64 v[119:120], v[97:98], v[95:96], 1.0
	v_mul_f64 v[117:118], v[90:91], v[119:120]
	v_xor_b32_e32 v120, 0x80000000, v120
.LBB110_322:
	s_andn2_saveexec_b64 s[18:19], s[18:19]
	s_cbranch_execz .LBB110_324
; %bb.323:
	v_div_scale_f64 v[90:91], s[20:21], v[117:118], v[117:118], v[119:120]
	v_rcp_f64_e32 v[95:96], v[90:91]
	v_fma_f64 v[97:98], -v[90:91], v[95:96], 1.0
	v_fma_f64 v[95:96], v[95:96], v[97:98], v[95:96]
	v_div_scale_f64 v[97:98], vcc, v[119:120], v[117:118], v[119:120]
	v_fma_f64 v[99:100], -v[90:91], v[95:96], 1.0
	v_fma_f64 v[95:96], v[95:96], v[99:100], v[95:96]
	v_mul_f64 v[99:100], v[97:98], v[95:96]
	v_fma_f64 v[90:91], -v[90:91], v[99:100], v[97:98]
	v_div_fmas_f64 v[90:91], v[90:91], v[95:96], v[99:100]
	v_div_fixup_f64 v[90:91], v[90:91], v[117:118], v[119:120]
	v_fma_f64 v[95:96], v[119:120], v[90:91], v[117:118]
	v_div_scale_f64 v[97:98], s[20:21], v[95:96], v[95:96], 1.0
	v_div_scale_f64 v[103:104], vcc, 1.0, v[95:96], 1.0
	v_rcp_f64_e32 v[99:100], v[97:98]
	v_fma_f64 v[101:102], -v[97:98], v[99:100], 1.0
	v_fma_f64 v[99:100], v[99:100], v[101:102], v[99:100]
	v_fma_f64 v[101:102], -v[97:98], v[99:100], 1.0
	v_fma_f64 v[99:100], v[99:100], v[101:102], v[99:100]
	v_mul_f64 v[101:102], v[103:104], v[99:100]
	v_fma_f64 v[97:98], -v[97:98], v[101:102], v[103:104]
	v_div_fmas_f64 v[97:98], v[97:98], v[99:100], v[101:102]
	v_div_fixup_f64 v[117:118], v[97:98], v[95:96], 1.0
	v_mul_f64 v[119:120], v[90:91], -v[117:118]
.LBB110_324:
	s_or_b64 exec, exec, s[18:19]
.LBB110_325:
	s_or_b64 exec, exec, s[0:1]
	v_cmp_ne_u32_e32 vcc, v93, v89
	s_and_saveexec_b64 s[0:1], vcc
	s_xor_b64 s[0:1], exec, s[0:1]
	s_cbranch_execz .LBB110_331
; %bb.326:
	v_cmp_eq_u32_e32 vcc, 15, v93
	s_and_saveexec_b64 s[18:19], vcc
	s_cbranch_execz .LBB110_330
; %bb.327:
	v_cmp_ne_u32_e32 vcc, 15, v89
	s_xor_b64 s[20:21], s[6:7], -1
	s_and_b64 s[22:23], s[20:21], vcc
	s_and_saveexec_b64 s[20:21], s[22:23]
	s_cbranch_execz .LBB110_329
; %bb.328:
	v_mov_b32_e32 v73, v81
	v_mov_b32_e32 v74, v82
	;; [unrolled: 1-line block ×4, first 2 shown]
	buffer_load_dword v81, off, s[24:27], 0 offset:448 ; 4-byte Folded Reload
	buffer_load_dword v82, off, s[24:27], 0 offset:452 ; 4-byte Folded Reload
	v_ashrrev_i32_e32 v90, 31, v89
	v_lshlrev_b64 v[90:91], 2, v[89:90]
	s_waitcnt vmcnt(1)
	v_add_co_u32_e32 v90, vcc, v81, v90
	s_waitcnt vmcnt(0)
	v_addc_co_u32_e32 v91, vcc, v82, v91, vcc
	global_load_dword v92, v[90:91], off
	global_load_dword v93, v[81:82], off offset:60
	s_waitcnt vmcnt(1)
	global_store_dword v[81:82], v92, off offset:60
	v_mov_b32_e32 v84, v76
	v_mov_b32_e32 v83, v75
	;; [unrolled: 1-line block ×4, first 2 shown]
	s_waitcnt vmcnt(1)
	global_store_dword v[90:91], v93, off
.LBB110_329:
	s_or_b64 exec, exec, s[20:21]
	v_mov_b32_e32 v93, v89
	v_mov_b32_e32 v127, v89
.LBB110_330:
	s_or_b64 exec, exec, s[18:19]
.LBB110_331:
	s_andn2_saveexec_b64 s[0:1], s[0:1]
	s_cbranch_execz .LBB110_333
; %bb.332:
	buffer_load_dword v73, off, s[24:27], 0 offset:240 ; 4-byte Folded Reload
	buffer_load_dword v74, off, s[24:27], 0 offset:244 ; 4-byte Folded Reload
	;; [unrolled: 1-line block ×4, first 2 shown]
	v_mov_b32_e32 v93, 15
	s_waitcnt vmcnt(0)
	ds_write2_b64 v0, v[73:74], v[75:76] offset0:32 offset1:33
	buffer_load_dword v73, off, s[24:27], 0 offset:224 ; 4-byte Folded Reload
	buffer_load_dword v74, off, s[24:27], 0 offset:228 ; 4-byte Folded Reload
	buffer_load_dword v75, off, s[24:27], 0 offset:232 ; 4-byte Folded Reload
	buffer_load_dword v76, off, s[24:27], 0 offset:236 ; 4-byte Folded Reload
	s_waitcnt vmcnt(0)
	ds_write2_b64 v0, v[73:74], v[75:76] offset0:34 offset1:35
	buffer_load_dword v73, off, s[24:27], 0 offset:208 ; 4-byte Folded Reload
	buffer_load_dword v74, off, s[24:27], 0 offset:212 ; 4-byte Folded Reload
	buffer_load_dword v75, off, s[24:27], 0 offset:216 ; 4-byte Folded Reload
	buffer_load_dword v76, off, s[24:27], 0 offset:220 ; 4-byte Folded Reload
	;; [unrolled: 6-line block ×14, first 2 shown]
	s_waitcnt vmcnt(0)
	ds_write2_b64 v0, v[73:74], v[75:76] offset0:60 offset1:61
	ds_write2_b64 v0, v[81:82], v[83:84] offset0:62 offset1:63
	;; [unrolled: 1-line block ×6, first 2 shown]
	buffer_load_dword v73, off, s[24:27], 0 ; 4-byte Folded Reload
	buffer_load_dword v74, off, s[24:27], 0 offset:4 ; 4-byte Folded Reload
	buffer_load_dword v75, off, s[24:27], 0 offset:8 ; 4-byte Folded Reload
	buffer_load_dword v76, off, s[24:27], 0 offset:12 ; 4-byte Folded Reload
	s_waitcnt vmcnt(0)
	ds_write2_b64 v0, v[73:74], v[75:76] offset0:72 offset1:73
	ds_write2_b64 v0, v[69:70], v[71:72] offset0:74 offset1:75
	;; [unrolled: 1-line block ×20, first 2 shown]
.LBB110_333:
	s_or_b64 exec, exec, s[0:1]
	v_cmp_lt_i32_e32 vcc, 15, v93
	s_waitcnt vmcnt(0) lgkmcnt(0)
	s_barrier
	s_and_saveexec_b64 s[0:1], vcc
	s_cbranch_execz .LBB110_335
; %bb.334:
	buffer_load_dword v95, off, s[24:27], 0 offset:256 ; 4-byte Folded Reload
	buffer_load_dword v96, off, s[24:27], 0 offset:260 ; 4-byte Folded Reload
	;; [unrolled: 1-line block ×4, first 2 shown]
	s_waitcnt vmcnt(0)
	v_mul_f64 v[89:90], v[119:120], v[97:98]
	v_fma_f64 v[125:126], v[117:118], v[95:96], -v[89:90]
	v_mul_f64 v[89:90], v[117:118], v[97:98]
	v_fma_f64 v[97:98], v[119:120], v[95:96], v[89:90]
	ds_read2_b64 v[89:92], v0 offset0:32 offset1:33
	buffer_load_dword v73, off, s[24:27], 0 offset:240 ; 4-byte Folded Reload
	buffer_load_dword v74, off, s[24:27], 0 offset:244 ; 4-byte Folded Reload
	buffer_load_dword v75, off, s[24:27], 0 offset:248 ; 4-byte Folded Reload
	buffer_load_dword v76, off, s[24:27], 0 offset:252 ; 4-byte Folded Reload
	s_waitcnt lgkmcnt(0)
	v_mul_f64 v[95:96], v[91:92], v[97:98]
	v_fma_f64 v[95:96], v[89:90], v[125:126], -v[95:96]
	v_mul_f64 v[89:90], v[89:90], v[97:98]
	v_fma_f64 v[89:90], v[91:92], v[125:126], v[89:90]
	s_waitcnt vmcnt(2)
	v_add_f64 v[73:74], v[73:74], -v[95:96]
	s_waitcnt vmcnt(0)
	v_add_f64 v[75:76], v[75:76], -v[89:90]
	buffer_store_dword v73, off, s[24:27], 0 offset:240 ; 4-byte Folded Spill
	s_nop 0
	buffer_store_dword v74, off, s[24:27], 0 offset:244 ; 4-byte Folded Spill
	buffer_store_dword v75, off, s[24:27], 0 offset:248 ; 4-byte Folded Spill
	buffer_store_dword v76, off, s[24:27], 0 offset:252 ; 4-byte Folded Spill
	ds_read2_b64 v[89:92], v0 offset0:34 offset1:35
	buffer_load_dword v73, off, s[24:27], 0 offset:224 ; 4-byte Folded Reload
	buffer_load_dword v74, off, s[24:27], 0 offset:228 ; 4-byte Folded Reload
	buffer_load_dword v75, off, s[24:27], 0 offset:232 ; 4-byte Folded Reload
	buffer_load_dword v76, off, s[24:27], 0 offset:236 ; 4-byte Folded Reload
	s_waitcnt lgkmcnt(0)
	v_mul_f64 v[95:96], v[91:92], v[97:98]
	v_fma_f64 v[95:96], v[89:90], v[125:126], -v[95:96]
	v_mul_f64 v[89:90], v[89:90], v[97:98]
	v_fma_f64 v[89:90], v[91:92], v[125:126], v[89:90]
	s_waitcnt vmcnt(2)
	v_add_f64 v[73:74], v[73:74], -v[95:96]
	s_waitcnt vmcnt(0)
	v_add_f64 v[75:76], v[75:76], -v[89:90]
	buffer_store_dword v73, off, s[24:27], 0 offset:224 ; 4-byte Folded Spill
	s_nop 0
	buffer_store_dword v74, off, s[24:27], 0 offset:228 ; 4-byte Folded Spill
	buffer_store_dword v75, off, s[24:27], 0 offset:232 ; 4-byte Folded Spill
	buffer_store_dword v76, off, s[24:27], 0 offset:236 ; 4-byte Folded Spill
	;; [unrolled: 19-line block ×15, first 2 shown]
	ds_read2_b64 v[89:92], v0 offset0:62 offset1:63
	s_waitcnt lgkmcnt(0)
	v_mul_f64 v[95:96], v[91:92], v[97:98]
	v_fma_f64 v[95:96], v[89:90], v[125:126], -v[95:96]
	v_mul_f64 v[89:90], v[89:90], v[97:98]
	v_add_f64 v[81:82], v[81:82], -v[95:96]
	v_fma_f64 v[89:90], v[91:92], v[125:126], v[89:90]
	v_add_f64 v[83:84], v[83:84], -v[89:90]
	ds_read2_b64 v[89:92], v0 offset0:64 offset1:65
	s_waitcnt lgkmcnt(0)
	v_mul_f64 v[95:96], v[91:92], v[97:98]
	v_fma_f64 v[95:96], v[89:90], v[125:126], -v[95:96]
	v_mul_f64 v[89:90], v[89:90], v[97:98]
	v_add_f64 v[85:86], v[85:86], -v[95:96]
	v_fma_f64 v[89:90], v[91:92], v[125:126], v[89:90]
	v_add_f64 v[87:88], v[87:88], -v[89:90]
	;; [unrolled: 8-line block ×5, first 2 shown]
	ds_read2_b64 v[89:92], v0 offset0:72 offset1:73
	buffer_load_dword v73, off, s[24:27], 0 ; 4-byte Folded Reload
	buffer_load_dword v74, off, s[24:27], 0 offset:4 ; 4-byte Folded Reload
	buffer_load_dword v75, off, s[24:27], 0 offset:8 ; 4-byte Folded Reload
	;; [unrolled: 1-line block ×3, first 2 shown]
	s_waitcnt lgkmcnt(0)
	v_mul_f64 v[95:96], v[91:92], v[97:98]
	v_fma_f64 v[95:96], v[89:90], v[125:126], -v[95:96]
	v_mul_f64 v[89:90], v[89:90], v[97:98]
	v_fma_f64 v[89:90], v[91:92], v[125:126], v[89:90]
	s_waitcnt vmcnt(2)
	v_add_f64 v[73:74], v[73:74], -v[95:96]
	s_waitcnt vmcnt(0)
	v_add_f64 v[75:76], v[75:76], -v[89:90]
	buffer_store_dword v73, off, s[24:27], 0 ; 4-byte Folded Spill
	s_nop 0
	buffer_store_dword v74, off, s[24:27], 0 offset:4 ; 4-byte Folded Spill
	buffer_store_dword v75, off, s[24:27], 0 offset:8 ; 4-byte Folded Spill
	;; [unrolled: 1-line block ×3, first 2 shown]
	ds_read2_b64 v[89:92], v0 offset0:74 offset1:75
	s_waitcnt lgkmcnt(0)
	v_mul_f64 v[95:96], v[91:92], v[97:98]
	v_fma_f64 v[95:96], v[89:90], v[125:126], -v[95:96]
	v_mul_f64 v[89:90], v[89:90], v[97:98]
	v_add_f64 v[69:70], v[69:70], -v[95:96]
	v_fma_f64 v[89:90], v[91:92], v[125:126], v[89:90]
	v_add_f64 v[71:72], v[71:72], -v[89:90]
	ds_read2_b64 v[89:92], v0 offset0:76 offset1:77
	s_waitcnt lgkmcnt(0)
	v_mul_f64 v[95:96], v[91:92], v[97:98]
	v_fma_f64 v[95:96], v[89:90], v[125:126], -v[95:96]
	v_mul_f64 v[89:90], v[89:90], v[97:98]
	v_add_f64 v[65:66], v[65:66], -v[95:96]
	v_fma_f64 v[89:90], v[91:92], v[125:126], v[89:90]
	v_add_f64 v[67:68], v[67:68], -v[89:90]
	;; [unrolled: 8-line block ×18, first 2 shown]
	ds_read2_b64 v[89:92], v0 offset0:110 offset1:111
	s_waitcnt lgkmcnt(0)
	v_mul_f64 v[95:96], v[91:92], v[97:98]
	v_fma_f64 v[95:96], v[89:90], v[125:126], -v[95:96]
	v_mul_f64 v[89:90], v[89:90], v[97:98]
	v_add_f64 v[121:122], v[121:122], -v[95:96]
	v_fma_f64 v[89:90], v[91:92], v[125:126], v[89:90]
	v_mov_b32_e32 v95, v125
	v_mov_b32_e32 v96, v126
	buffer_store_dword v95, off, s[24:27], 0 offset:256 ; 4-byte Folded Spill
	s_nop 0
	buffer_store_dword v96, off, s[24:27], 0 offset:260 ; 4-byte Folded Spill
	buffer_store_dword v97, off, s[24:27], 0 offset:264 ; 4-byte Folded Spill
	;; [unrolled: 1-line block ×3, first 2 shown]
	v_add_f64 v[123:124], v[123:124], -v[89:90]
.LBB110_335:
	s_or_b64 exec, exec, s[0:1]
	s_waitcnt vmcnt(0)
	s_barrier
	buffer_load_dword v73, off, s[24:27], 0 offset:240 ; 4-byte Folded Reload
	buffer_load_dword v74, off, s[24:27], 0 offset:244 ; 4-byte Folded Reload
	;; [unrolled: 1-line block ×4, first 2 shown]
	v_lshl_add_u32 v89, v93, 4, v0
	s_cmp_lt_i32 s3, 18
	s_waitcnt vmcnt(0)
	ds_write2_b64 v89, v[73:74], v[75:76] offset1:1
	s_waitcnt lgkmcnt(0)
	s_barrier
	ds_read2_b64 v[117:120], v0 offset0:32 offset1:33
	v_mov_b32_e32 v89, 16
	s_cbranch_scc1 .LBB110_338
; %bb.336:
	v_add_u32_e32 v90, 0x110, v0
	s_mov_b32 s0, 17
	v_mov_b32_e32 v89, 16
.LBB110_337:                            ; =>This Inner Loop Header: Depth=1
	s_waitcnt lgkmcnt(0)
	v_cmp_gt_f64_e32 vcc, 0, v[117:118]
	v_xor_b32_e32 v91, 0x80000000, v118
	ds_read2_b64 v[95:98], v90 offset1:1
	v_xor_b32_e32 v99, 0x80000000, v120
	v_add_u32_e32 v90, 16, v90
	s_waitcnt lgkmcnt(0)
	v_xor_b32_e32 v101, 0x80000000, v98
	v_cndmask_b32_e32 v92, v118, v91, vcc
	v_cmp_gt_f64_e32 vcc, 0, v[119:120]
	v_mov_b32_e32 v91, v117
	v_cndmask_b32_e32 v100, v120, v99, vcc
	v_cmp_gt_f64_e32 vcc, 0, v[95:96]
	v_mov_b32_e32 v99, v119
	v_add_f64 v[91:92], v[91:92], v[99:100]
	v_xor_b32_e32 v99, 0x80000000, v96
	v_cndmask_b32_e32 v100, v96, v99, vcc
	v_cmp_gt_f64_e32 vcc, 0, v[97:98]
	v_mov_b32_e32 v99, v95
	v_cndmask_b32_e32 v102, v98, v101, vcc
	v_mov_b32_e32 v101, v97
	v_add_f64 v[99:100], v[99:100], v[101:102]
	v_cmp_lt_f64_e32 vcc, v[91:92], v[99:100]
	v_mov_b32_e32 v91, s0
	s_add_i32 s0, s0, 1
	s_cmp_lg_u32 s3, s0
	v_cndmask_b32_e32 v118, v118, v96, vcc
	v_cndmask_b32_e32 v117, v117, v95, vcc
	;; [unrolled: 1-line block ×5, first 2 shown]
	s_cbranch_scc1 .LBB110_337
.LBB110_338:
	s_waitcnt lgkmcnt(0)
	v_cmp_eq_f64_e32 vcc, 0, v[117:118]
	v_cmp_eq_f64_e64 s[0:1], 0, v[119:120]
	s_and_b64 s[0:1], vcc, s[0:1]
	s_and_saveexec_b64 s[18:19], s[0:1]
	s_xor_b64 s[0:1], exec, s[18:19]
; %bb.339:
	v_cmp_ne_u32_e32 vcc, 0, v94
	v_cndmask_b32_e32 v94, 17, v94, vcc
; %bb.340:
	s_andn2_saveexec_b64 s[0:1], s[0:1]
	s_cbranch_execz .LBB110_346
; %bb.341:
	v_cmp_ngt_f64_e64 s[18:19], |v[117:118]|, |v[119:120]|
	s_and_saveexec_b64 s[20:21], s[18:19]
	s_xor_b64 s[18:19], exec, s[20:21]
	s_cbranch_execz .LBB110_343
; %bb.342:
	v_div_scale_f64 v[90:91], s[20:21], v[119:120], v[119:120], v[117:118]
	v_rcp_f64_e32 v[95:96], v[90:91]
	v_fma_f64 v[97:98], -v[90:91], v[95:96], 1.0
	v_fma_f64 v[95:96], v[95:96], v[97:98], v[95:96]
	v_div_scale_f64 v[97:98], vcc, v[117:118], v[119:120], v[117:118]
	v_fma_f64 v[99:100], -v[90:91], v[95:96], 1.0
	v_fma_f64 v[95:96], v[95:96], v[99:100], v[95:96]
	v_mul_f64 v[99:100], v[97:98], v[95:96]
	v_fma_f64 v[90:91], -v[90:91], v[99:100], v[97:98]
	v_div_fmas_f64 v[90:91], v[90:91], v[95:96], v[99:100]
	v_div_fixup_f64 v[90:91], v[90:91], v[119:120], v[117:118]
	v_fma_f64 v[95:96], v[117:118], v[90:91], v[119:120]
	v_div_scale_f64 v[97:98], s[20:21], v[95:96], v[95:96], 1.0
	v_div_scale_f64 v[103:104], vcc, 1.0, v[95:96], 1.0
	v_rcp_f64_e32 v[99:100], v[97:98]
	v_fma_f64 v[101:102], -v[97:98], v[99:100], 1.0
	v_fma_f64 v[99:100], v[99:100], v[101:102], v[99:100]
	v_fma_f64 v[101:102], -v[97:98], v[99:100], 1.0
	v_fma_f64 v[99:100], v[99:100], v[101:102], v[99:100]
	v_mul_f64 v[101:102], v[103:104], v[99:100]
	v_fma_f64 v[97:98], -v[97:98], v[101:102], v[103:104]
	v_div_fmas_f64 v[97:98], v[97:98], v[99:100], v[101:102]
	v_div_fixup_f64 v[119:120], v[97:98], v[95:96], 1.0
	v_mul_f64 v[117:118], v[90:91], v[119:120]
	v_xor_b32_e32 v120, 0x80000000, v120
.LBB110_343:
	s_andn2_saveexec_b64 s[18:19], s[18:19]
	s_cbranch_execz .LBB110_345
; %bb.344:
	v_div_scale_f64 v[90:91], s[20:21], v[117:118], v[117:118], v[119:120]
	v_rcp_f64_e32 v[95:96], v[90:91]
	v_fma_f64 v[97:98], -v[90:91], v[95:96], 1.0
	v_fma_f64 v[95:96], v[95:96], v[97:98], v[95:96]
	v_div_scale_f64 v[97:98], vcc, v[119:120], v[117:118], v[119:120]
	v_fma_f64 v[99:100], -v[90:91], v[95:96], 1.0
	v_fma_f64 v[95:96], v[95:96], v[99:100], v[95:96]
	v_mul_f64 v[99:100], v[97:98], v[95:96]
	v_fma_f64 v[90:91], -v[90:91], v[99:100], v[97:98]
	v_div_fmas_f64 v[90:91], v[90:91], v[95:96], v[99:100]
	v_div_fixup_f64 v[90:91], v[90:91], v[117:118], v[119:120]
	v_fma_f64 v[95:96], v[119:120], v[90:91], v[117:118]
	v_div_scale_f64 v[97:98], s[20:21], v[95:96], v[95:96], 1.0
	v_div_scale_f64 v[103:104], vcc, 1.0, v[95:96], 1.0
	v_rcp_f64_e32 v[99:100], v[97:98]
	v_fma_f64 v[101:102], -v[97:98], v[99:100], 1.0
	v_fma_f64 v[99:100], v[99:100], v[101:102], v[99:100]
	v_fma_f64 v[101:102], -v[97:98], v[99:100], 1.0
	v_fma_f64 v[99:100], v[99:100], v[101:102], v[99:100]
	v_mul_f64 v[101:102], v[103:104], v[99:100]
	v_fma_f64 v[97:98], -v[97:98], v[101:102], v[103:104]
	v_div_fmas_f64 v[97:98], v[97:98], v[99:100], v[101:102]
	v_div_fixup_f64 v[117:118], v[97:98], v[95:96], 1.0
	v_mul_f64 v[119:120], v[90:91], -v[117:118]
.LBB110_345:
	s_or_b64 exec, exec, s[18:19]
.LBB110_346:
	s_or_b64 exec, exec, s[0:1]
	v_cmp_ne_u32_e32 vcc, v93, v89
	s_and_saveexec_b64 s[0:1], vcc
	s_xor_b64 s[0:1], exec, s[0:1]
	s_cbranch_execz .LBB110_352
; %bb.347:
	v_cmp_eq_u32_e32 vcc, 16, v93
	s_and_saveexec_b64 s[18:19], vcc
	s_cbranch_execz .LBB110_351
; %bb.348:
	v_cmp_ne_u32_e32 vcc, 16, v89
	s_xor_b64 s[20:21], s[6:7], -1
	s_and_b64 s[22:23], s[20:21], vcc
	s_and_saveexec_b64 s[20:21], s[22:23]
	s_cbranch_execz .LBB110_350
; %bb.349:
	v_mov_b32_e32 v73, v81
	v_mov_b32_e32 v74, v82
	;; [unrolled: 1-line block ×4, first 2 shown]
	buffer_load_dword v81, off, s[24:27], 0 offset:448 ; 4-byte Folded Reload
	buffer_load_dword v82, off, s[24:27], 0 offset:452 ; 4-byte Folded Reload
	v_ashrrev_i32_e32 v90, 31, v89
	v_lshlrev_b64 v[90:91], 2, v[89:90]
	s_waitcnt vmcnt(1)
	v_add_co_u32_e32 v90, vcc, v81, v90
	s_waitcnt vmcnt(0)
	v_addc_co_u32_e32 v91, vcc, v82, v91, vcc
	global_load_dword v92, v[90:91], off
	global_load_dword v93, v[81:82], off offset:64
	s_waitcnt vmcnt(1)
	global_store_dword v[81:82], v92, off offset:64
	v_mov_b32_e32 v84, v76
	v_mov_b32_e32 v83, v75
	;; [unrolled: 1-line block ×4, first 2 shown]
	s_waitcnt vmcnt(1)
	global_store_dword v[90:91], v93, off
.LBB110_350:
	s_or_b64 exec, exec, s[20:21]
	v_mov_b32_e32 v93, v89
	v_mov_b32_e32 v127, v89
.LBB110_351:
	s_or_b64 exec, exec, s[18:19]
.LBB110_352:
	s_andn2_saveexec_b64 s[0:1], s[0:1]
	s_cbranch_execz .LBB110_354
; %bb.353:
	buffer_load_dword v73, off, s[24:27], 0 offset:224 ; 4-byte Folded Reload
	buffer_load_dword v74, off, s[24:27], 0 offset:228 ; 4-byte Folded Reload
	;; [unrolled: 1-line block ×4, first 2 shown]
	v_mov_b32_e32 v93, 16
	s_waitcnt vmcnt(0)
	ds_write2_b64 v0, v[73:74], v[75:76] offset0:34 offset1:35
	buffer_load_dword v73, off, s[24:27], 0 offset:208 ; 4-byte Folded Reload
	buffer_load_dword v74, off, s[24:27], 0 offset:212 ; 4-byte Folded Reload
	buffer_load_dword v75, off, s[24:27], 0 offset:216 ; 4-byte Folded Reload
	buffer_load_dword v76, off, s[24:27], 0 offset:220 ; 4-byte Folded Reload
	s_waitcnt vmcnt(0)
	ds_write2_b64 v0, v[73:74], v[75:76] offset0:36 offset1:37
	buffer_load_dword v73, off, s[24:27], 0 offset:192 ; 4-byte Folded Reload
	buffer_load_dword v74, off, s[24:27], 0 offset:196 ; 4-byte Folded Reload
	buffer_load_dword v75, off, s[24:27], 0 offset:200 ; 4-byte Folded Reload
	buffer_load_dword v76, off, s[24:27], 0 offset:204 ; 4-byte Folded Reload
	;; [unrolled: 6-line block ×13, first 2 shown]
	s_waitcnt vmcnt(0)
	ds_write2_b64 v0, v[73:74], v[75:76] offset0:60 offset1:61
	ds_write2_b64 v0, v[81:82], v[83:84] offset0:62 offset1:63
	;; [unrolled: 1-line block ×6, first 2 shown]
	buffer_load_dword v73, off, s[24:27], 0 ; 4-byte Folded Reload
	buffer_load_dword v74, off, s[24:27], 0 offset:4 ; 4-byte Folded Reload
	buffer_load_dword v75, off, s[24:27], 0 offset:8 ; 4-byte Folded Reload
	buffer_load_dword v76, off, s[24:27], 0 offset:12 ; 4-byte Folded Reload
	s_waitcnt vmcnt(0)
	ds_write2_b64 v0, v[73:74], v[75:76] offset0:72 offset1:73
	ds_write2_b64 v0, v[69:70], v[71:72] offset0:74 offset1:75
	;; [unrolled: 1-line block ×20, first 2 shown]
.LBB110_354:
	s_or_b64 exec, exec, s[0:1]
	v_cmp_lt_i32_e32 vcc, 16, v93
	s_waitcnt vmcnt(0) lgkmcnt(0)
	s_barrier
	s_and_saveexec_b64 s[0:1], vcc
	s_cbranch_execz .LBB110_356
; %bb.355:
	buffer_load_dword v95, off, s[24:27], 0 offset:240 ; 4-byte Folded Reload
	buffer_load_dword v96, off, s[24:27], 0 offset:244 ; 4-byte Folded Reload
	;; [unrolled: 1-line block ×4, first 2 shown]
	s_waitcnt vmcnt(0)
	v_mul_f64 v[89:90], v[119:120], v[97:98]
	v_fma_f64 v[125:126], v[117:118], v[95:96], -v[89:90]
	v_mul_f64 v[89:90], v[117:118], v[97:98]
	v_fma_f64 v[97:98], v[119:120], v[95:96], v[89:90]
	ds_read2_b64 v[89:92], v0 offset0:34 offset1:35
	buffer_load_dword v73, off, s[24:27], 0 offset:224 ; 4-byte Folded Reload
	buffer_load_dword v74, off, s[24:27], 0 offset:228 ; 4-byte Folded Reload
	buffer_load_dword v75, off, s[24:27], 0 offset:232 ; 4-byte Folded Reload
	buffer_load_dword v76, off, s[24:27], 0 offset:236 ; 4-byte Folded Reload
	s_waitcnt lgkmcnt(0)
	v_mul_f64 v[95:96], v[91:92], v[97:98]
	v_fma_f64 v[95:96], v[89:90], v[125:126], -v[95:96]
	v_mul_f64 v[89:90], v[89:90], v[97:98]
	v_fma_f64 v[89:90], v[91:92], v[125:126], v[89:90]
	s_waitcnt vmcnt(2)
	v_add_f64 v[73:74], v[73:74], -v[95:96]
	s_waitcnt vmcnt(0)
	v_add_f64 v[75:76], v[75:76], -v[89:90]
	buffer_store_dword v73, off, s[24:27], 0 offset:224 ; 4-byte Folded Spill
	s_nop 0
	buffer_store_dword v74, off, s[24:27], 0 offset:228 ; 4-byte Folded Spill
	buffer_store_dword v75, off, s[24:27], 0 offset:232 ; 4-byte Folded Spill
	buffer_store_dword v76, off, s[24:27], 0 offset:236 ; 4-byte Folded Spill
	ds_read2_b64 v[89:92], v0 offset0:36 offset1:37
	buffer_load_dword v73, off, s[24:27], 0 offset:208 ; 4-byte Folded Reload
	buffer_load_dword v74, off, s[24:27], 0 offset:212 ; 4-byte Folded Reload
	buffer_load_dword v75, off, s[24:27], 0 offset:216 ; 4-byte Folded Reload
	buffer_load_dword v76, off, s[24:27], 0 offset:220 ; 4-byte Folded Reload
	s_waitcnt lgkmcnt(0)
	v_mul_f64 v[95:96], v[91:92], v[97:98]
	v_fma_f64 v[95:96], v[89:90], v[125:126], -v[95:96]
	v_mul_f64 v[89:90], v[89:90], v[97:98]
	v_fma_f64 v[89:90], v[91:92], v[125:126], v[89:90]
	s_waitcnt vmcnt(2)
	v_add_f64 v[73:74], v[73:74], -v[95:96]
	s_waitcnt vmcnt(0)
	v_add_f64 v[75:76], v[75:76], -v[89:90]
	buffer_store_dword v73, off, s[24:27], 0 offset:208 ; 4-byte Folded Spill
	s_nop 0
	buffer_store_dword v74, off, s[24:27], 0 offset:212 ; 4-byte Folded Spill
	buffer_store_dword v75, off, s[24:27], 0 offset:216 ; 4-byte Folded Spill
	buffer_store_dword v76, off, s[24:27], 0 offset:220 ; 4-byte Folded Spill
	;; [unrolled: 19-line block ×14, first 2 shown]
	ds_read2_b64 v[89:92], v0 offset0:62 offset1:63
	s_waitcnt lgkmcnt(0)
	v_mul_f64 v[95:96], v[91:92], v[97:98]
	v_fma_f64 v[95:96], v[89:90], v[125:126], -v[95:96]
	v_mul_f64 v[89:90], v[89:90], v[97:98]
	v_add_f64 v[81:82], v[81:82], -v[95:96]
	v_fma_f64 v[89:90], v[91:92], v[125:126], v[89:90]
	v_add_f64 v[83:84], v[83:84], -v[89:90]
	ds_read2_b64 v[89:92], v0 offset0:64 offset1:65
	s_waitcnt lgkmcnt(0)
	v_mul_f64 v[95:96], v[91:92], v[97:98]
	v_fma_f64 v[95:96], v[89:90], v[125:126], -v[95:96]
	v_mul_f64 v[89:90], v[89:90], v[97:98]
	v_add_f64 v[85:86], v[85:86], -v[95:96]
	v_fma_f64 v[89:90], v[91:92], v[125:126], v[89:90]
	v_add_f64 v[87:88], v[87:88], -v[89:90]
	;; [unrolled: 8-line block ×5, first 2 shown]
	ds_read2_b64 v[89:92], v0 offset0:72 offset1:73
	buffer_load_dword v73, off, s[24:27], 0 ; 4-byte Folded Reload
	buffer_load_dword v74, off, s[24:27], 0 offset:4 ; 4-byte Folded Reload
	buffer_load_dword v75, off, s[24:27], 0 offset:8 ; 4-byte Folded Reload
	buffer_load_dword v76, off, s[24:27], 0 offset:12 ; 4-byte Folded Reload
	s_waitcnt lgkmcnt(0)
	v_mul_f64 v[95:96], v[91:92], v[97:98]
	v_fma_f64 v[95:96], v[89:90], v[125:126], -v[95:96]
	v_mul_f64 v[89:90], v[89:90], v[97:98]
	v_fma_f64 v[89:90], v[91:92], v[125:126], v[89:90]
	s_waitcnt vmcnt(2)
	v_add_f64 v[73:74], v[73:74], -v[95:96]
	s_waitcnt vmcnt(0)
	v_add_f64 v[75:76], v[75:76], -v[89:90]
	buffer_store_dword v73, off, s[24:27], 0 ; 4-byte Folded Spill
	s_nop 0
	buffer_store_dword v74, off, s[24:27], 0 offset:4 ; 4-byte Folded Spill
	buffer_store_dword v75, off, s[24:27], 0 offset:8 ; 4-byte Folded Spill
	;; [unrolled: 1-line block ×3, first 2 shown]
	ds_read2_b64 v[89:92], v0 offset0:74 offset1:75
	s_waitcnt lgkmcnt(0)
	v_mul_f64 v[95:96], v[91:92], v[97:98]
	v_fma_f64 v[95:96], v[89:90], v[125:126], -v[95:96]
	v_mul_f64 v[89:90], v[89:90], v[97:98]
	v_add_f64 v[69:70], v[69:70], -v[95:96]
	v_fma_f64 v[89:90], v[91:92], v[125:126], v[89:90]
	v_add_f64 v[71:72], v[71:72], -v[89:90]
	ds_read2_b64 v[89:92], v0 offset0:76 offset1:77
	s_waitcnt lgkmcnt(0)
	v_mul_f64 v[95:96], v[91:92], v[97:98]
	v_fma_f64 v[95:96], v[89:90], v[125:126], -v[95:96]
	v_mul_f64 v[89:90], v[89:90], v[97:98]
	v_add_f64 v[65:66], v[65:66], -v[95:96]
	v_fma_f64 v[89:90], v[91:92], v[125:126], v[89:90]
	v_add_f64 v[67:68], v[67:68], -v[89:90]
	;; [unrolled: 8-line block ×18, first 2 shown]
	ds_read2_b64 v[89:92], v0 offset0:110 offset1:111
	s_waitcnt lgkmcnt(0)
	v_mul_f64 v[95:96], v[91:92], v[97:98]
	v_fma_f64 v[95:96], v[89:90], v[125:126], -v[95:96]
	v_mul_f64 v[89:90], v[89:90], v[97:98]
	v_add_f64 v[121:122], v[121:122], -v[95:96]
	v_fma_f64 v[89:90], v[91:92], v[125:126], v[89:90]
	v_mov_b32_e32 v95, v125
	v_mov_b32_e32 v96, v126
	buffer_store_dword v95, off, s[24:27], 0 offset:240 ; 4-byte Folded Spill
	s_nop 0
	buffer_store_dword v96, off, s[24:27], 0 offset:244 ; 4-byte Folded Spill
	buffer_store_dword v97, off, s[24:27], 0 offset:248 ; 4-byte Folded Spill
	;; [unrolled: 1-line block ×3, first 2 shown]
	v_add_f64 v[123:124], v[123:124], -v[89:90]
.LBB110_356:
	s_or_b64 exec, exec, s[0:1]
	s_waitcnt vmcnt(0)
	s_barrier
	buffer_load_dword v73, off, s[24:27], 0 offset:224 ; 4-byte Folded Reload
	buffer_load_dword v74, off, s[24:27], 0 offset:228 ; 4-byte Folded Reload
	;; [unrolled: 1-line block ×4, first 2 shown]
	v_lshl_add_u32 v89, v93, 4, v0
	s_cmp_lt_i32 s3, 19
	s_waitcnt vmcnt(0)
	ds_write2_b64 v89, v[73:74], v[75:76] offset1:1
	s_waitcnt lgkmcnt(0)
	s_barrier
	ds_read2_b64 v[117:120], v0 offset0:34 offset1:35
	v_mov_b32_e32 v89, 17
	s_cbranch_scc1 .LBB110_359
; %bb.357:
	v_add_u32_e32 v90, 0x120, v0
	s_mov_b32 s0, 18
	v_mov_b32_e32 v89, 17
.LBB110_358:                            ; =>This Inner Loop Header: Depth=1
	s_waitcnt lgkmcnt(0)
	v_cmp_gt_f64_e32 vcc, 0, v[117:118]
	v_xor_b32_e32 v91, 0x80000000, v118
	ds_read2_b64 v[95:98], v90 offset1:1
	v_xor_b32_e32 v99, 0x80000000, v120
	v_add_u32_e32 v90, 16, v90
	s_waitcnt lgkmcnt(0)
	v_xor_b32_e32 v101, 0x80000000, v98
	v_cndmask_b32_e32 v92, v118, v91, vcc
	v_cmp_gt_f64_e32 vcc, 0, v[119:120]
	v_mov_b32_e32 v91, v117
	v_cndmask_b32_e32 v100, v120, v99, vcc
	v_cmp_gt_f64_e32 vcc, 0, v[95:96]
	v_mov_b32_e32 v99, v119
	v_add_f64 v[91:92], v[91:92], v[99:100]
	v_xor_b32_e32 v99, 0x80000000, v96
	v_cndmask_b32_e32 v100, v96, v99, vcc
	v_cmp_gt_f64_e32 vcc, 0, v[97:98]
	v_mov_b32_e32 v99, v95
	v_cndmask_b32_e32 v102, v98, v101, vcc
	v_mov_b32_e32 v101, v97
	v_add_f64 v[99:100], v[99:100], v[101:102]
	v_cmp_lt_f64_e32 vcc, v[91:92], v[99:100]
	v_mov_b32_e32 v91, s0
	s_add_i32 s0, s0, 1
	s_cmp_lg_u32 s3, s0
	v_cndmask_b32_e32 v118, v118, v96, vcc
	v_cndmask_b32_e32 v117, v117, v95, vcc
	;; [unrolled: 1-line block ×5, first 2 shown]
	s_cbranch_scc1 .LBB110_358
.LBB110_359:
	s_waitcnt lgkmcnt(0)
	v_cmp_eq_f64_e32 vcc, 0, v[117:118]
	v_cmp_eq_f64_e64 s[0:1], 0, v[119:120]
	s_and_b64 s[0:1], vcc, s[0:1]
	s_and_saveexec_b64 s[18:19], s[0:1]
	s_xor_b64 s[0:1], exec, s[18:19]
; %bb.360:
	v_cmp_ne_u32_e32 vcc, 0, v94
	v_cndmask_b32_e32 v94, 18, v94, vcc
; %bb.361:
	s_andn2_saveexec_b64 s[0:1], s[0:1]
	s_cbranch_execz .LBB110_367
; %bb.362:
	v_cmp_ngt_f64_e64 s[18:19], |v[117:118]|, |v[119:120]|
	s_and_saveexec_b64 s[20:21], s[18:19]
	s_xor_b64 s[18:19], exec, s[20:21]
	s_cbranch_execz .LBB110_364
; %bb.363:
	v_div_scale_f64 v[90:91], s[20:21], v[119:120], v[119:120], v[117:118]
	v_rcp_f64_e32 v[95:96], v[90:91]
	v_fma_f64 v[97:98], -v[90:91], v[95:96], 1.0
	v_fma_f64 v[95:96], v[95:96], v[97:98], v[95:96]
	v_div_scale_f64 v[97:98], vcc, v[117:118], v[119:120], v[117:118]
	v_fma_f64 v[99:100], -v[90:91], v[95:96], 1.0
	v_fma_f64 v[95:96], v[95:96], v[99:100], v[95:96]
	v_mul_f64 v[99:100], v[97:98], v[95:96]
	v_fma_f64 v[90:91], -v[90:91], v[99:100], v[97:98]
	v_div_fmas_f64 v[90:91], v[90:91], v[95:96], v[99:100]
	v_div_fixup_f64 v[90:91], v[90:91], v[119:120], v[117:118]
	v_fma_f64 v[95:96], v[117:118], v[90:91], v[119:120]
	v_div_scale_f64 v[97:98], s[20:21], v[95:96], v[95:96], 1.0
	v_div_scale_f64 v[103:104], vcc, 1.0, v[95:96], 1.0
	v_rcp_f64_e32 v[99:100], v[97:98]
	v_fma_f64 v[101:102], -v[97:98], v[99:100], 1.0
	v_fma_f64 v[99:100], v[99:100], v[101:102], v[99:100]
	v_fma_f64 v[101:102], -v[97:98], v[99:100], 1.0
	v_fma_f64 v[99:100], v[99:100], v[101:102], v[99:100]
	v_mul_f64 v[101:102], v[103:104], v[99:100]
	v_fma_f64 v[97:98], -v[97:98], v[101:102], v[103:104]
	v_div_fmas_f64 v[97:98], v[97:98], v[99:100], v[101:102]
	v_div_fixup_f64 v[119:120], v[97:98], v[95:96], 1.0
	v_mul_f64 v[117:118], v[90:91], v[119:120]
	v_xor_b32_e32 v120, 0x80000000, v120
.LBB110_364:
	s_andn2_saveexec_b64 s[18:19], s[18:19]
	s_cbranch_execz .LBB110_366
; %bb.365:
	v_div_scale_f64 v[90:91], s[20:21], v[117:118], v[117:118], v[119:120]
	v_rcp_f64_e32 v[95:96], v[90:91]
	v_fma_f64 v[97:98], -v[90:91], v[95:96], 1.0
	v_fma_f64 v[95:96], v[95:96], v[97:98], v[95:96]
	v_div_scale_f64 v[97:98], vcc, v[119:120], v[117:118], v[119:120]
	v_fma_f64 v[99:100], -v[90:91], v[95:96], 1.0
	v_fma_f64 v[95:96], v[95:96], v[99:100], v[95:96]
	v_mul_f64 v[99:100], v[97:98], v[95:96]
	v_fma_f64 v[90:91], -v[90:91], v[99:100], v[97:98]
	v_div_fmas_f64 v[90:91], v[90:91], v[95:96], v[99:100]
	v_div_fixup_f64 v[90:91], v[90:91], v[117:118], v[119:120]
	v_fma_f64 v[95:96], v[119:120], v[90:91], v[117:118]
	v_div_scale_f64 v[97:98], s[20:21], v[95:96], v[95:96], 1.0
	v_div_scale_f64 v[103:104], vcc, 1.0, v[95:96], 1.0
	v_rcp_f64_e32 v[99:100], v[97:98]
	v_fma_f64 v[101:102], -v[97:98], v[99:100], 1.0
	v_fma_f64 v[99:100], v[99:100], v[101:102], v[99:100]
	v_fma_f64 v[101:102], -v[97:98], v[99:100], 1.0
	v_fma_f64 v[99:100], v[99:100], v[101:102], v[99:100]
	v_mul_f64 v[101:102], v[103:104], v[99:100]
	v_fma_f64 v[97:98], -v[97:98], v[101:102], v[103:104]
	v_div_fmas_f64 v[97:98], v[97:98], v[99:100], v[101:102]
	v_div_fixup_f64 v[117:118], v[97:98], v[95:96], 1.0
	v_mul_f64 v[119:120], v[90:91], -v[117:118]
.LBB110_366:
	s_or_b64 exec, exec, s[18:19]
.LBB110_367:
	s_or_b64 exec, exec, s[0:1]
	v_cmp_ne_u32_e32 vcc, v93, v89
	s_and_saveexec_b64 s[0:1], vcc
	s_xor_b64 s[0:1], exec, s[0:1]
	s_cbranch_execz .LBB110_373
; %bb.368:
	v_cmp_eq_u32_e32 vcc, 17, v93
	s_and_saveexec_b64 s[18:19], vcc
	s_cbranch_execz .LBB110_372
; %bb.369:
	v_cmp_ne_u32_e32 vcc, 17, v89
	s_xor_b64 s[20:21], s[6:7], -1
	s_and_b64 s[22:23], s[20:21], vcc
	s_and_saveexec_b64 s[20:21], s[22:23]
	s_cbranch_execz .LBB110_371
; %bb.370:
	v_mov_b32_e32 v73, v81
	v_mov_b32_e32 v74, v82
	;; [unrolled: 1-line block ×4, first 2 shown]
	buffer_load_dword v81, off, s[24:27], 0 offset:448 ; 4-byte Folded Reload
	buffer_load_dword v82, off, s[24:27], 0 offset:452 ; 4-byte Folded Reload
	v_ashrrev_i32_e32 v90, 31, v89
	v_lshlrev_b64 v[90:91], 2, v[89:90]
	s_waitcnt vmcnt(1)
	v_add_co_u32_e32 v90, vcc, v81, v90
	s_waitcnt vmcnt(0)
	v_addc_co_u32_e32 v91, vcc, v82, v91, vcc
	global_load_dword v92, v[90:91], off
	global_load_dword v93, v[81:82], off offset:68
	s_waitcnt vmcnt(1)
	global_store_dword v[81:82], v92, off offset:68
	v_mov_b32_e32 v84, v76
	v_mov_b32_e32 v83, v75
	;; [unrolled: 1-line block ×4, first 2 shown]
	s_waitcnt vmcnt(1)
	global_store_dword v[90:91], v93, off
.LBB110_371:
	s_or_b64 exec, exec, s[20:21]
	v_mov_b32_e32 v93, v89
	v_mov_b32_e32 v127, v89
.LBB110_372:
	s_or_b64 exec, exec, s[18:19]
.LBB110_373:
	s_andn2_saveexec_b64 s[0:1], s[0:1]
	s_cbranch_execz .LBB110_375
; %bb.374:
	buffer_load_dword v73, off, s[24:27], 0 offset:208 ; 4-byte Folded Reload
	buffer_load_dword v74, off, s[24:27], 0 offset:212 ; 4-byte Folded Reload
	;; [unrolled: 1-line block ×4, first 2 shown]
	v_mov_b32_e32 v93, 17
	s_waitcnt vmcnt(0)
	ds_write2_b64 v0, v[73:74], v[75:76] offset0:36 offset1:37
	buffer_load_dword v73, off, s[24:27], 0 offset:192 ; 4-byte Folded Reload
	buffer_load_dword v74, off, s[24:27], 0 offset:196 ; 4-byte Folded Reload
	buffer_load_dword v75, off, s[24:27], 0 offset:200 ; 4-byte Folded Reload
	buffer_load_dword v76, off, s[24:27], 0 offset:204 ; 4-byte Folded Reload
	s_waitcnt vmcnt(0)
	ds_write2_b64 v0, v[73:74], v[75:76] offset0:38 offset1:39
	buffer_load_dword v73, off, s[24:27], 0 offset:176 ; 4-byte Folded Reload
	buffer_load_dword v74, off, s[24:27], 0 offset:180 ; 4-byte Folded Reload
	buffer_load_dword v75, off, s[24:27], 0 offset:184 ; 4-byte Folded Reload
	buffer_load_dword v76, off, s[24:27], 0 offset:188 ; 4-byte Folded Reload
	s_waitcnt vmcnt(0)
	ds_write2_b64 v0, v[73:74], v[75:76] offset0:40 offset1:41
	buffer_load_dword v73, off, s[24:27], 0 offset:160 ; 4-byte Folded Reload
	buffer_load_dword v74, off, s[24:27], 0 offset:164 ; 4-byte Folded Reload
	buffer_load_dword v75, off, s[24:27], 0 offset:168 ; 4-byte Folded Reload
	buffer_load_dword v76, off, s[24:27], 0 offset:172 ; 4-byte Folded Reload
	s_waitcnt vmcnt(0)
	ds_write2_b64 v0, v[73:74], v[75:76] offset0:42 offset1:43
	buffer_load_dword v73, off, s[24:27], 0 offset:144 ; 4-byte Folded Reload
	buffer_load_dword v74, off, s[24:27], 0 offset:148 ; 4-byte Folded Reload
	buffer_load_dword v75, off, s[24:27], 0 offset:152 ; 4-byte Folded Reload
	buffer_load_dword v76, off, s[24:27], 0 offset:156 ; 4-byte Folded Reload
	s_waitcnt vmcnt(0)
	ds_write2_b64 v0, v[73:74], v[75:76] offset0:44 offset1:45
	buffer_load_dword v73, off, s[24:27], 0 offset:128 ; 4-byte Folded Reload
	buffer_load_dword v74, off, s[24:27], 0 offset:132 ; 4-byte Folded Reload
	buffer_load_dword v75, off, s[24:27], 0 offset:136 ; 4-byte Folded Reload
	buffer_load_dword v76, off, s[24:27], 0 offset:140 ; 4-byte Folded Reload
	s_waitcnt vmcnt(0)
	ds_write2_b64 v0, v[73:74], v[75:76] offset0:46 offset1:47
	buffer_load_dword v73, off, s[24:27], 0 offset:112 ; 4-byte Folded Reload
	buffer_load_dword v74, off, s[24:27], 0 offset:116 ; 4-byte Folded Reload
	buffer_load_dword v75, off, s[24:27], 0 offset:120 ; 4-byte Folded Reload
	buffer_load_dword v76, off, s[24:27], 0 offset:124 ; 4-byte Folded Reload
	s_waitcnt vmcnt(0)
	ds_write2_b64 v0, v[73:74], v[75:76] offset0:48 offset1:49
	buffer_load_dword v73, off, s[24:27], 0 offset:96 ; 4-byte Folded Reload
	buffer_load_dword v74, off, s[24:27], 0 offset:100 ; 4-byte Folded Reload
	buffer_load_dword v75, off, s[24:27], 0 offset:104 ; 4-byte Folded Reload
	buffer_load_dword v76, off, s[24:27], 0 offset:108 ; 4-byte Folded Reload
	s_waitcnt vmcnt(0)
	ds_write2_b64 v0, v[73:74], v[75:76] offset0:50 offset1:51
	buffer_load_dword v73, off, s[24:27], 0 offset:80 ; 4-byte Folded Reload
	buffer_load_dword v74, off, s[24:27], 0 offset:84 ; 4-byte Folded Reload
	buffer_load_dword v75, off, s[24:27], 0 offset:88 ; 4-byte Folded Reload
	buffer_load_dword v76, off, s[24:27], 0 offset:92 ; 4-byte Folded Reload
	s_waitcnt vmcnt(0)
	ds_write2_b64 v0, v[73:74], v[75:76] offset0:52 offset1:53
	buffer_load_dword v73, off, s[24:27], 0 offset:64 ; 4-byte Folded Reload
	buffer_load_dword v74, off, s[24:27], 0 offset:68 ; 4-byte Folded Reload
	buffer_load_dword v75, off, s[24:27], 0 offset:72 ; 4-byte Folded Reload
	buffer_load_dword v76, off, s[24:27], 0 offset:76 ; 4-byte Folded Reload
	s_waitcnt vmcnt(0)
	ds_write2_b64 v0, v[73:74], v[75:76] offset0:54 offset1:55
	buffer_load_dword v73, off, s[24:27], 0 offset:48 ; 4-byte Folded Reload
	buffer_load_dword v74, off, s[24:27], 0 offset:52 ; 4-byte Folded Reload
	buffer_load_dword v75, off, s[24:27], 0 offset:56 ; 4-byte Folded Reload
	buffer_load_dword v76, off, s[24:27], 0 offset:60 ; 4-byte Folded Reload
	s_waitcnt vmcnt(0)
	ds_write2_b64 v0, v[73:74], v[75:76] offset0:56 offset1:57
	buffer_load_dword v73, off, s[24:27], 0 offset:32 ; 4-byte Folded Reload
	buffer_load_dword v74, off, s[24:27], 0 offset:36 ; 4-byte Folded Reload
	buffer_load_dword v75, off, s[24:27], 0 offset:40 ; 4-byte Folded Reload
	buffer_load_dword v76, off, s[24:27], 0 offset:44 ; 4-byte Folded Reload
	s_waitcnt vmcnt(0)
	ds_write2_b64 v0, v[73:74], v[75:76] offset0:58 offset1:59
	buffer_load_dword v73, off, s[24:27], 0 offset:16 ; 4-byte Folded Reload
	buffer_load_dword v74, off, s[24:27], 0 offset:20 ; 4-byte Folded Reload
	buffer_load_dword v75, off, s[24:27], 0 offset:24 ; 4-byte Folded Reload
	buffer_load_dword v76, off, s[24:27], 0 offset:28 ; 4-byte Folded Reload
	s_waitcnt vmcnt(0)
	ds_write2_b64 v0, v[73:74], v[75:76] offset0:60 offset1:61
	ds_write2_b64 v0, v[81:82], v[83:84] offset0:62 offset1:63
	ds_write2_b64 v0, v[85:86], v[87:88] offset0:64 offset1:65
	ds_write2_b64 v0, v[109:110], v[111:112] offset0:66 offset1:67
	ds_write2_b64 v0, v[113:114], v[115:116] offset0:68 offset1:69
	ds_write2_b64 v0, v[77:78], v[79:80] offset0:70 offset1:71
	buffer_load_dword v73, off, s[24:27], 0 ; 4-byte Folded Reload
	buffer_load_dword v74, off, s[24:27], 0 offset:4 ; 4-byte Folded Reload
	buffer_load_dword v75, off, s[24:27], 0 offset:8 ; 4-byte Folded Reload
	;; [unrolled: 1-line block ×3, first 2 shown]
	s_waitcnt vmcnt(0)
	ds_write2_b64 v0, v[73:74], v[75:76] offset0:72 offset1:73
	ds_write2_b64 v0, v[69:70], v[71:72] offset0:74 offset1:75
	ds_write2_b64 v0, v[65:66], v[67:68] offset0:76 offset1:77
	ds_write2_b64 v0, v[61:62], v[63:64] offset0:78 offset1:79
	ds_write2_b64 v0, v[57:58], v[59:60] offset0:80 offset1:81
	ds_write2_b64 v0, v[53:54], v[55:56] offset0:82 offset1:83
	ds_write2_b64 v0, v[49:50], v[51:52] offset0:84 offset1:85
	ds_write2_b64 v0, v[45:46], v[47:48] offset0:86 offset1:87
	ds_write2_b64 v0, v[41:42], v[43:44] offset0:88 offset1:89
	ds_write2_b64 v0, v[37:38], v[39:40] offset0:90 offset1:91
	ds_write2_b64 v0, v[33:34], v[35:36] offset0:92 offset1:93
	ds_write2_b64 v0, v[29:30], v[31:32] offset0:94 offset1:95
	ds_write2_b64 v0, v[25:26], v[27:28] offset0:96 offset1:97
	ds_write2_b64 v0, v[21:22], v[23:24] offset0:98 offset1:99
	ds_write2_b64 v0, v[17:18], v[19:20] offset0:100 offset1:101
	ds_write2_b64 v0, v[13:14], v[15:16] offset0:102 offset1:103
	ds_write2_b64 v0, v[9:10], v[11:12] offset0:104 offset1:105
	ds_write2_b64 v0, v[5:6], v[7:8] offset0:106 offset1:107
	ds_write2_b64 v0, v[1:2], v[3:4] offset0:108 offset1:109
	ds_write2_b64 v0, v[121:122], v[123:124] offset0:110 offset1:111
.LBB110_375:
	s_or_b64 exec, exec, s[0:1]
	v_cmp_lt_i32_e32 vcc, 17, v93
	s_waitcnt vmcnt(0) lgkmcnt(0)
	s_barrier
	s_and_saveexec_b64 s[0:1], vcc
	s_cbranch_execz .LBB110_377
; %bb.376:
	buffer_load_dword v95, off, s[24:27], 0 offset:224 ; 4-byte Folded Reload
	buffer_load_dword v96, off, s[24:27], 0 offset:228 ; 4-byte Folded Reload
	;; [unrolled: 1-line block ×4, first 2 shown]
	s_waitcnt vmcnt(0)
	v_mul_f64 v[89:90], v[119:120], v[97:98]
	v_fma_f64 v[125:126], v[117:118], v[95:96], -v[89:90]
	v_mul_f64 v[89:90], v[117:118], v[97:98]
	v_fma_f64 v[97:98], v[119:120], v[95:96], v[89:90]
	ds_read2_b64 v[89:92], v0 offset0:36 offset1:37
	buffer_load_dword v73, off, s[24:27], 0 offset:208 ; 4-byte Folded Reload
	buffer_load_dword v74, off, s[24:27], 0 offset:212 ; 4-byte Folded Reload
	buffer_load_dword v75, off, s[24:27], 0 offset:216 ; 4-byte Folded Reload
	buffer_load_dword v76, off, s[24:27], 0 offset:220 ; 4-byte Folded Reload
	s_waitcnt lgkmcnt(0)
	v_mul_f64 v[95:96], v[91:92], v[97:98]
	v_fma_f64 v[95:96], v[89:90], v[125:126], -v[95:96]
	v_mul_f64 v[89:90], v[89:90], v[97:98]
	v_fma_f64 v[89:90], v[91:92], v[125:126], v[89:90]
	s_waitcnt vmcnt(2)
	v_add_f64 v[73:74], v[73:74], -v[95:96]
	s_waitcnt vmcnt(0)
	v_add_f64 v[75:76], v[75:76], -v[89:90]
	buffer_store_dword v73, off, s[24:27], 0 offset:208 ; 4-byte Folded Spill
	s_nop 0
	buffer_store_dword v74, off, s[24:27], 0 offset:212 ; 4-byte Folded Spill
	buffer_store_dword v75, off, s[24:27], 0 offset:216 ; 4-byte Folded Spill
	buffer_store_dword v76, off, s[24:27], 0 offset:220 ; 4-byte Folded Spill
	ds_read2_b64 v[89:92], v0 offset0:38 offset1:39
	buffer_load_dword v73, off, s[24:27], 0 offset:192 ; 4-byte Folded Reload
	buffer_load_dword v74, off, s[24:27], 0 offset:196 ; 4-byte Folded Reload
	buffer_load_dword v75, off, s[24:27], 0 offset:200 ; 4-byte Folded Reload
	buffer_load_dword v76, off, s[24:27], 0 offset:204 ; 4-byte Folded Reload
	s_waitcnt lgkmcnt(0)
	v_mul_f64 v[95:96], v[91:92], v[97:98]
	v_fma_f64 v[95:96], v[89:90], v[125:126], -v[95:96]
	v_mul_f64 v[89:90], v[89:90], v[97:98]
	v_fma_f64 v[89:90], v[91:92], v[125:126], v[89:90]
	s_waitcnt vmcnt(2)
	v_add_f64 v[73:74], v[73:74], -v[95:96]
	s_waitcnt vmcnt(0)
	v_add_f64 v[75:76], v[75:76], -v[89:90]
	buffer_store_dword v73, off, s[24:27], 0 offset:192 ; 4-byte Folded Spill
	s_nop 0
	buffer_store_dword v74, off, s[24:27], 0 offset:196 ; 4-byte Folded Spill
	buffer_store_dword v75, off, s[24:27], 0 offset:200 ; 4-byte Folded Spill
	buffer_store_dword v76, off, s[24:27], 0 offset:204 ; 4-byte Folded Spill
	;; [unrolled: 19-line block ×13, first 2 shown]
	ds_read2_b64 v[89:92], v0 offset0:62 offset1:63
	s_waitcnt lgkmcnt(0)
	v_mul_f64 v[95:96], v[91:92], v[97:98]
	v_fma_f64 v[95:96], v[89:90], v[125:126], -v[95:96]
	v_mul_f64 v[89:90], v[89:90], v[97:98]
	v_add_f64 v[81:82], v[81:82], -v[95:96]
	v_fma_f64 v[89:90], v[91:92], v[125:126], v[89:90]
	v_add_f64 v[83:84], v[83:84], -v[89:90]
	ds_read2_b64 v[89:92], v0 offset0:64 offset1:65
	s_waitcnt lgkmcnt(0)
	v_mul_f64 v[95:96], v[91:92], v[97:98]
	v_fma_f64 v[95:96], v[89:90], v[125:126], -v[95:96]
	v_mul_f64 v[89:90], v[89:90], v[97:98]
	v_add_f64 v[85:86], v[85:86], -v[95:96]
	v_fma_f64 v[89:90], v[91:92], v[125:126], v[89:90]
	v_add_f64 v[87:88], v[87:88], -v[89:90]
	;; [unrolled: 8-line block ×5, first 2 shown]
	ds_read2_b64 v[89:92], v0 offset0:72 offset1:73
	buffer_load_dword v73, off, s[24:27], 0 ; 4-byte Folded Reload
	buffer_load_dword v74, off, s[24:27], 0 offset:4 ; 4-byte Folded Reload
	buffer_load_dword v75, off, s[24:27], 0 offset:8 ; 4-byte Folded Reload
	;; [unrolled: 1-line block ×3, first 2 shown]
	s_waitcnt lgkmcnt(0)
	v_mul_f64 v[95:96], v[91:92], v[97:98]
	v_fma_f64 v[95:96], v[89:90], v[125:126], -v[95:96]
	v_mul_f64 v[89:90], v[89:90], v[97:98]
	v_fma_f64 v[89:90], v[91:92], v[125:126], v[89:90]
	s_waitcnt vmcnt(2)
	v_add_f64 v[73:74], v[73:74], -v[95:96]
	s_waitcnt vmcnt(0)
	v_add_f64 v[75:76], v[75:76], -v[89:90]
	buffer_store_dword v73, off, s[24:27], 0 ; 4-byte Folded Spill
	s_nop 0
	buffer_store_dword v74, off, s[24:27], 0 offset:4 ; 4-byte Folded Spill
	buffer_store_dword v75, off, s[24:27], 0 offset:8 ; 4-byte Folded Spill
	;; [unrolled: 1-line block ×3, first 2 shown]
	ds_read2_b64 v[89:92], v0 offset0:74 offset1:75
	s_waitcnt lgkmcnt(0)
	v_mul_f64 v[95:96], v[91:92], v[97:98]
	v_fma_f64 v[95:96], v[89:90], v[125:126], -v[95:96]
	v_mul_f64 v[89:90], v[89:90], v[97:98]
	v_add_f64 v[69:70], v[69:70], -v[95:96]
	v_fma_f64 v[89:90], v[91:92], v[125:126], v[89:90]
	v_add_f64 v[71:72], v[71:72], -v[89:90]
	ds_read2_b64 v[89:92], v0 offset0:76 offset1:77
	s_waitcnt lgkmcnt(0)
	v_mul_f64 v[95:96], v[91:92], v[97:98]
	v_fma_f64 v[95:96], v[89:90], v[125:126], -v[95:96]
	v_mul_f64 v[89:90], v[89:90], v[97:98]
	v_add_f64 v[65:66], v[65:66], -v[95:96]
	v_fma_f64 v[89:90], v[91:92], v[125:126], v[89:90]
	v_add_f64 v[67:68], v[67:68], -v[89:90]
	;; [unrolled: 8-line block ×18, first 2 shown]
	ds_read2_b64 v[89:92], v0 offset0:110 offset1:111
	s_waitcnt lgkmcnt(0)
	v_mul_f64 v[95:96], v[91:92], v[97:98]
	v_fma_f64 v[95:96], v[89:90], v[125:126], -v[95:96]
	v_mul_f64 v[89:90], v[89:90], v[97:98]
	v_add_f64 v[121:122], v[121:122], -v[95:96]
	v_fma_f64 v[89:90], v[91:92], v[125:126], v[89:90]
	v_mov_b32_e32 v95, v125
	v_mov_b32_e32 v96, v126
	buffer_store_dword v95, off, s[24:27], 0 offset:224 ; 4-byte Folded Spill
	s_nop 0
	buffer_store_dword v96, off, s[24:27], 0 offset:228 ; 4-byte Folded Spill
	buffer_store_dword v97, off, s[24:27], 0 offset:232 ; 4-byte Folded Spill
	buffer_store_dword v98, off, s[24:27], 0 offset:236 ; 4-byte Folded Spill
	v_add_f64 v[123:124], v[123:124], -v[89:90]
.LBB110_377:
	s_or_b64 exec, exec, s[0:1]
	s_waitcnt vmcnt(0)
	s_barrier
	buffer_load_dword v73, off, s[24:27], 0 offset:208 ; 4-byte Folded Reload
	buffer_load_dword v74, off, s[24:27], 0 offset:212 ; 4-byte Folded Reload
	;; [unrolled: 1-line block ×4, first 2 shown]
	v_lshl_add_u32 v89, v93, 4, v0
	s_cmp_lt_i32 s3, 20
	s_waitcnt vmcnt(0)
	ds_write2_b64 v89, v[73:74], v[75:76] offset1:1
	s_waitcnt lgkmcnt(0)
	s_barrier
	ds_read2_b64 v[117:120], v0 offset0:36 offset1:37
	v_mov_b32_e32 v89, 18
	s_cbranch_scc1 .LBB110_380
; %bb.378:
	v_add_u32_e32 v90, 0x130, v0
	s_mov_b32 s0, 19
	v_mov_b32_e32 v89, 18
.LBB110_379:                            ; =>This Inner Loop Header: Depth=1
	s_waitcnt lgkmcnt(0)
	v_cmp_gt_f64_e32 vcc, 0, v[117:118]
	v_xor_b32_e32 v91, 0x80000000, v118
	ds_read2_b64 v[95:98], v90 offset1:1
	v_xor_b32_e32 v99, 0x80000000, v120
	v_add_u32_e32 v90, 16, v90
	s_waitcnt lgkmcnt(0)
	v_xor_b32_e32 v101, 0x80000000, v98
	v_cndmask_b32_e32 v92, v118, v91, vcc
	v_cmp_gt_f64_e32 vcc, 0, v[119:120]
	v_mov_b32_e32 v91, v117
	v_cndmask_b32_e32 v100, v120, v99, vcc
	v_cmp_gt_f64_e32 vcc, 0, v[95:96]
	v_mov_b32_e32 v99, v119
	v_add_f64 v[91:92], v[91:92], v[99:100]
	v_xor_b32_e32 v99, 0x80000000, v96
	v_cndmask_b32_e32 v100, v96, v99, vcc
	v_cmp_gt_f64_e32 vcc, 0, v[97:98]
	v_mov_b32_e32 v99, v95
	v_cndmask_b32_e32 v102, v98, v101, vcc
	v_mov_b32_e32 v101, v97
	v_add_f64 v[99:100], v[99:100], v[101:102]
	v_cmp_lt_f64_e32 vcc, v[91:92], v[99:100]
	v_mov_b32_e32 v91, s0
	s_add_i32 s0, s0, 1
	s_cmp_lg_u32 s3, s0
	v_cndmask_b32_e32 v118, v118, v96, vcc
	v_cndmask_b32_e32 v117, v117, v95, vcc
	;; [unrolled: 1-line block ×5, first 2 shown]
	s_cbranch_scc1 .LBB110_379
.LBB110_380:
	s_waitcnt lgkmcnt(0)
	v_cmp_eq_f64_e32 vcc, 0, v[117:118]
	v_cmp_eq_f64_e64 s[0:1], 0, v[119:120]
	s_and_b64 s[0:1], vcc, s[0:1]
	s_and_saveexec_b64 s[18:19], s[0:1]
	s_xor_b64 s[0:1], exec, s[18:19]
; %bb.381:
	v_cmp_ne_u32_e32 vcc, 0, v94
	v_cndmask_b32_e32 v94, 19, v94, vcc
; %bb.382:
	s_andn2_saveexec_b64 s[0:1], s[0:1]
	s_cbranch_execz .LBB110_388
; %bb.383:
	v_cmp_ngt_f64_e64 s[18:19], |v[117:118]|, |v[119:120]|
	s_and_saveexec_b64 s[20:21], s[18:19]
	s_xor_b64 s[18:19], exec, s[20:21]
	s_cbranch_execz .LBB110_385
; %bb.384:
	v_div_scale_f64 v[90:91], s[20:21], v[119:120], v[119:120], v[117:118]
	v_rcp_f64_e32 v[95:96], v[90:91]
	v_fma_f64 v[97:98], -v[90:91], v[95:96], 1.0
	v_fma_f64 v[95:96], v[95:96], v[97:98], v[95:96]
	v_div_scale_f64 v[97:98], vcc, v[117:118], v[119:120], v[117:118]
	v_fma_f64 v[99:100], -v[90:91], v[95:96], 1.0
	v_fma_f64 v[95:96], v[95:96], v[99:100], v[95:96]
	v_mul_f64 v[99:100], v[97:98], v[95:96]
	v_fma_f64 v[90:91], -v[90:91], v[99:100], v[97:98]
	v_div_fmas_f64 v[90:91], v[90:91], v[95:96], v[99:100]
	v_div_fixup_f64 v[90:91], v[90:91], v[119:120], v[117:118]
	v_fma_f64 v[95:96], v[117:118], v[90:91], v[119:120]
	v_div_scale_f64 v[97:98], s[20:21], v[95:96], v[95:96], 1.0
	v_div_scale_f64 v[103:104], vcc, 1.0, v[95:96], 1.0
	v_rcp_f64_e32 v[99:100], v[97:98]
	v_fma_f64 v[101:102], -v[97:98], v[99:100], 1.0
	v_fma_f64 v[99:100], v[99:100], v[101:102], v[99:100]
	v_fma_f64 v[101:102], -v[97:98], v[99:100], 1.0
	v_fma_f64 v[99:100], v[99:100], v[101:102], v[99:100]
	v_mul_f64 v[101:102], v[103:104], v[99:100]
	v_fma_f64 v[97:98], -v[97:98], v[101:102], v[103:104]
	v_div_fmas_f64 v[97:98], v[97:98], v[99:100], v[101:102]
	v_div_fixup_f64 v[119:120], v[97:98], v[95:96], 1.0
	v_mul_f64 v[117:118], v[90:91], v[119:120]
	v_xor_b32_e32 v120, 0x80000000, v120
.LBB110_385:
	s_andn2_saveexec_b64 s[18:19], s[18:19]
	s_cbranch_execz .LBB110_387
; %bb.386:
	v_div_scale_f64 v[90:91], s[20:21], v[117:118], v[117:118], v[119:120]
	v_rcp_f64_e32 v[95:96], v[90:91]
	v_fma_f64 v[97:98], -v[90:91], v[95:96], 1.0
	v_fma_f64 v[95:96], v[95:96], v[97:98], v[95:96]
	v_div_scale_f64 v[97:98], vcc, v[119:120], v[117:118], v[119:120]
	v_fma_f64 v[99:100], -v[90:91], v[95:96], 1.0
	v_fma_f64 v[95:96], v[95:96], v[99:100], v[95:96]
	v_mul_f64 v[99:100], v[97:98], v[95:96]
	v_fma_f64 v[90:91], -v[90:91], v[99:100], v[97:98]
	v_div_fmas_f64 v[90:91], v[90:91], v[95:96], v[99:100]
	v_div_fixup_f64 v[90:91], v[90:91], v[117:118], v[119:120]
	v_fma_f64 v[95:96], v[119:120], v[90:91], v[117:118]
	v_div_scale_f64 v[97:98], s[20:21], v[95:96], v[95:96], 1.0
	v_div_scale_f64 v[103:104], vcc, 1.0, v[95:96], 1.0
	v_rcp_f64_e32 v[99:100], v[97:98]
	v_fma_f64 v[101:102], -v[97:98], v[99:100], 1.0
	v_fma_f64 v[99:100], v[99:100], v[101:102], v[99:100]
	v_fma_f64 v[101:102], -v[97:98], v[99:100], 1.0
	v_fma_f64 v[99:100], v[99:100], v[101:102], v[99:100]
	v_mul_f64 v[101:102], v[103:104], v[99:100]
	v_fma_f64 v[97:98], -v[97:98], v[101:102], v[103:104]
	v_div_fmas_f64 v[97:98], v[97:98], v[99:100], v[101:102]
	v_div_fixup_f64 v[117:118], v[97:98], v[95:96], 1.0
	v_mul_f64 v[119:120], v[90:91], -v[117:118]
.LBB110_387:
	s_or_b64 exec, exec, s[18:19]
.LBB110_388:
	s_or_b64 exec, exec, s[0:1]
	v_cmp_ne_u32_e32 vcc, v93, v89
	s_and_saveexec_b64 s[0:1], vcc
	s_xor_b64 s[0:1], exec, s[0:1]
	s_cbranch_execz .LBB110_394
; %bb.389:
	v_cmp_eq_u32_e32 vcc, 18, v93
	s_and_saveexec_b64 s[18:19], vcc
	s_cbranch_execz .LBB110_393
; %bb.390:
	v_cmp_ne_u32_e32 vcc, 18, v89
	s_xor_b64 s[20:21], s[6:7], -1
	s_and_b64 s[22:23], s[20:21], vcc
	s_and_saveexec_b64 s[20:21], s[22:23]
	s_cbranch_execz .LBB110_392
; %bb.391:
	v_mov_b32_e32 v73, v81
	v_mov_b32_e32 v74, v82
	;; [unrolled: 1-line block ×4, first 2 shown]
	buffer_load_dword v81, off, s[24:27], 0 offset:448 ; 4-byte Folded Reload
	buffer_load_dword v82, off, s[24:27], 0 offset:452 ; 4-byte Folded Reload
	v_ashrrev_i32_e32 v90, 31, v89
	v_lshlrev_b64 v[90:91], 2, v[89:90]
	s_waitcnt vmcnt(1)
	v_add_co_u32_e32 v90, vcc, v81, v90
	s_waitcnt vmcnt(0)
	v_addc_co_u32_e32 v91, vcc, v82, v91, vcc
	global_load_dword v92, v[90:91], off
	global_load_dword v93, v[81:82], off offset:72
	s_waitcnt vmcnt(1)
	global_store_dword v[81:82], v92, off offset:72
	v_mov_b32_e32 v84, v76
	v_mov_b32_e32 v83, v75
	;; [unrolled: 1-line block ×4, first 2 shown]
	s_waitcnt vmcnt(1)
	global_store_dword v[90:91], v93, off
.LBB110_392:
	s_or_b64 exec, exec, s[20:21]
	v_mov_b32_e32 v93, v89
	v_mov_b32_e32 v127, v89
.LBB110_393:
	s_or_b64 exec, exec, s[18:19]
.LBB110_394:
	s_andn2_saveexec_b64 s[0:1], s[0:1]
	s_cbranch_execz .LBB110_396
; %bb.395:
	buffer_load_dword v73, off, s[24:27], 0 offset:192 ; 4-byte Folded Reload
	buffer_load_dword v74, off, s[24:27], 0 offset:196 ; 4-byte Folded Reload
	buffer_load_dword v75, off, s[24:27], 0 offset:200 ; 4-byte Folded Reload
	buffer_load_dword v76, off, s[24:27], 0 offset:204 ; 4-byte Folded Reload
	v_mov_b32_e32 v93, 18
	s_waitcnt vmcnt(0)
	ds_write2_b64 v0, v[73:74], v[75:76] offset0:38 offset1:39
	buffer_load_dword v73, off, s[24:27], 0 offset:176 ; 4-byte Folded Reload
	buffer_load_dword v74, off, s[24:27], 0 offset:180 ; 4-byte Folded Reload
	buffer_load_dword v75, off, s[24:27], 0 offset:184 ; 4-byte Folded Reload
	buffer_load_dword v76, off, s[24:27], 0 offset:188 ; 4-byte Folded Reload
	s_waitcnt vmcnt(0)
	ds_write2_b64 v0, v[73:74], v[75:76] offset0:40 offset1:41
	buffer_load_dword v73, off, s[24:27], 0 offset:160 ; 4-byte Folded Reload
	buffer_load_dword v74, off, s[24:27], 0 offset:164 ; 4-byte Folded Reload
	buffer_load_dword v75, off, s[24:27], 0 offset:168 ; 4-byte Folded Reload
	buffer_load_dword v76, off, s[24:27], 0 offset:172 ; 4-byte Folded Reload
	;; [unrolled: 6-line block ×11, first 2 shown]
	s_waitcnt vmcnt(0)
	ds_write2_b64 v0, v[73:74], v[75:76] offset0:60 offset1:61
	ds_write2_b64 v0, v[81:82], v[83:84] offset0:62 offset1:63
	;; [unrolled: 1-line block ×6, first 2 shown]
	buffer_load_dword v73, off, s[24:27], 0 ; 4-byte Folded Reload
	buffer_load_dword v74, off, s[24:27], 0 offset:4 ; 4-byte Folded Reload
	buffer_load_dword v75, off, s[24:27], 0 offset:8 ; 4-byte Folded Reload
	;; [unrolled: 1-line block ×3, first 2 shown]
	s_waitcnt vmcnt(0)
	ds_write2_b64 v0, v[73:74], v[75:76] offset0:72 offset1:73
	ds_write2_b64 v0, v[69:70], v[71:72] offset0:74 offset1:75
	;; [unrolled: 1-line block ×20, first 2 shown]
.LBB110_396:
	s_or_b64 exec, exec, s[0:1]
	v_cmp_lt_i32_e32 vcc, 18, v93
	s_waitcnt vmcnt(0) lgkmcnt(0)
	s_barrier
	s_and_saveexec_b64 s[0:1], vcc
	s_cbranch_execz .LBB110_398
; %bb.397:
	buffer_load_dword v95, off, s[24:27], 0 offset:208 ; 4-byte Folded Reload
	buffer_load_dword v96, off, s[24:27], 0 offset:212 ; 4-byte Folded Reload
	;; [unrolled: 1-line block ×4, first 2 shown]
	s_waitcnt vmcnt(0)
	v_mul_f64 v[89:90], v[119:120], v[97:98]
	v_fma_f64 v[125:126], v[117:118], v[95:96], -v[89:90]
	v_mul_f64 v[89:90], v[117:118], v[97:98]
	v_fma_f64 v[97:98], v[119:120], v[95:96], v[89:90]
	ds_read2_b64 v[89:92], v0 offset0:38 offset1:39
	buffer_load_dword v73, off, s[24:27], 0 offset:192 ; 4-byte Folded Reload
	buffer_load_dword v74, off, s[24:27], 0 offset:196 ; 4-byte Folded Reload
	buffer_load_dword v75, off, s[24:27], 0 offset:200 ; 4-byte Folded Reload
	buffer_load_dword v76, off, s[24:27], 0 offset:204 ; 4-byte Folded Reload
	s_waitcnt lgkmcnt(0)
	v_mul_f64 v[95:96], v[91:92], v[97:98]
	v_fma_f64 v[95:96], v[89:90], v[125:126], -v[95:96]
	v_mul_f64 v[89:90], v[89:90], v[97:98]
	v_fma_f64 v[89:90], v[91:92], v[125:126], v[89:90]
	s_waitcnt vmcnt(2)
	v_add_f64 v[73:74], v[73:74], -v[95:96]
	s_waitcnt vmcnt(0)
	v_add_f64 v[75:76], v[75:76], -v[89:90]
	buffer_store_dword v73, off, s[24:27], 0 offset:192 ; 4-byte Folded Spill
	s_nop 0
	buffer_store_dword v74, off, s[24:27], 0 offset:196 ; 4-byte Folded Spill
	buffer_store_dword v75, off, s[24:27], 0 offset:200 ; 4-byte Folded Spill
	buffer_store_dword v76, off, s[24:27], 0 offset:204 ; 4-byte Folded Spill
	ds_read2_b64 v[89:92], v0 offset0:40 offset1:41
	buffer_load_dword v73, off, s[24:27], 0 offset:176 ; 4-byte Folded Reload
	buffer_load_dword v74, off, s[24:27], 0 offset:180 ; 4-byte Folded Reload
	buffer_load_dword v75, off, s[24:27], 0 offset:184 ; 4-byte Folded Reload
	buffer_load_dword v76, off, s[24:27], 0 offset:188 ; 4-byte Folded Reload
	s_waitcnt lgkmcnt(0)
	v_mul_f64 v[95:96], v[91:92], v[97:98]
	v_fma_f64 v[95:96], v[89:90], v[125:126], -v[95:96]
	v_mul_f64 v[89:90], v[89:90], v[97:98]
	v_fma_f64 v[89:90], v[91:92], v[125:126], v[89:90]
	s_waitcnt vmcnt(2)
	v_add_f64 v[73:74], v[73:74], -v[95:96]
	s_waitcnt vmcnt(0)
	v_add_f64 v[75:76], v[75:76], -v[89:90]
	buffer_store_dword v73, off, s[24:27], 0 offset:176 ; 4-byte Folded Spill
	s_nop 0
	buffer_store_dword v74, off, s[24:27], 0 offset:180 ; 4-byte Folded Spill
	buffer_store_dword v75, off, s[24:27], 0 offset:184 ; 4-byte Folded Spill
	buffer_store_dword v76, off, s[24:27], 0 offset:188 ; 4-byte Folded Spill
	;; [unrolled: 19-line block ×12, first 2 shown]
	ds_read2_b64 v[89:92], v0 offset0:62 offset1:63
	s_waitcnt lgkmcnt(0)
	v_mul_f64 v[95:96], v[91:92], v[97:98]
	v_fma_f64 v[95:96], v[89:90], v[125:126], -v[95:96]
	v_mul_f64 v[89:90], v[89:90], v[97:98]
	v_add_f64 v[81:82], v[81:82], -v[95:96]
	v_fma_f64 v[89:90], v[91:92], v[125:126], v[89:90]
	v_add_f64 v[83:84], v[83:84], -v[89:90]
	ds_read2_b64 v[89:92], v0 offset0:64 offset1:65
	s_waitcnt lgkmcnt(0)
	v_mul_f64 v[95:96], v[91:92], v[97:98]
	v_fma_f64 v[95:96], v[89:90], v[125:126], -v[95:96]
	v_mul_f64 v[89:90], v[89:90], v[97:98]
	v_add_f64 v[85:86], v[85:86], -v[95:96]
	v_fma_f64 v[89:90], v[91:92], v[125:126], v[89:90]
	v_add_f64 v[87:88], v[87:88], -v[89:90]
	;; [unrolled: 8-line block ×5, first 2 shown]
	ds_read2_b64 v[89:92], v0 offset0:72 offset1:73
	buffer_load_dword v73, off, s[24:27], 0 ; 4-byte Folded Reload
	buffer_load_dword v74, off, s[24:27], 0 offset:4 ; 4-byte Folded Reload
	buffer_load_dword v75, off, s[24:27], 0 offset:8 ; 4-byte Folded Reload
	;; [unrolled: 1-line block ×3, first 2 shown]
	s_waitcnt lgkmcnt(0)
	v_mul_f64 v[95:96], v[91:92], v[97:98]
	v_fma_f64 v[95:96], v[89:90], v[125:126], -v[95:96]
	v_mul_f64 v[89:90], v[89:90], v[97:98]
	v_fma_f64 v[89:90], v[91:92], v[125:126], v[89:90]
	s_waitcnt vmcnt(2)
	v_add_f64 v[73:74], v[73:74], -v[95:96]
	s_waitcnt vmcnt(0)
	v_add_f64 v[75:76], v[75:76], -v[89:90]
	buffer_store_dword v73, off, s[24:27], 0 ; 4-byte Folded Spill
	s_nop 0
	buffer_store_dword v74, off, s[24:27], 0 offset:4 ; 4-byte Folded Spill
	buffer_store_dword v75, off, s[24:27], 0 offset:8 ; 4-byte Folded Spill
	;; [unrolled: 1-line block ×3, first 2 shown]
	ds_read2_b64 v[89:92], v0 offset0:74 offset1:75
	s_waitcnt lgkmcnt(0)
	v_mul_f64 v[95:96], v[91:92], v[97:98]
	v_fma_f64 v[95:96], v[89:90], v[125:126], -v[95:96]
	v_mul_f64 v[89:90], v[89:90], v[97:98]
	v_add_f64 v[69:70], v[69:70], -v[95:96]
	v_fma_f64 v[89:90], v[91:92], v[125:126], v[89:90]
	v_add_f64 v[71:72], v[71:72], -v[89:90]
	ds_read2_b64 v[89:92], v0 offset0:76 offset1:77
	s_waitcnt lgkmcnt(0)
	v_mul_f64 v[95:96], v[91:92], v[97:98]
	v_fma_f64 v[95:96], v[89:90], v[125:126], -v[95:96]
	v_mul_f64 v[89:90], v[89:90], v[97:98]
	v_add_f64 v[65:66], v[65:66], -v[95:96]
	v_fma_f64 v[89:90], v[91:92], v[125:126], v[89:90]
	v_add_f64 v[67:68], v[67:68], -v[89:90]
	;; [unrolled: 8-line block ×18, first 2 shown]
	ds_read2_b64 v[89:92], v0 offset0:110 offset1:111
	s_waitcnt lgkmcnt(0)
	v_mul_f64 v[95:96], v[91:92], v[97:98]
	v_fma_f64 v[95:96], v[89:90], v[125:126], -v[95:96]
	v_mul_f64 v[89:90], v[89:90], v[97:98]
	v_add_f64 v[121:122], v[121:122], -v[95:96]
	v_fma_f64 v[89:90], v[91:92], v[125:126], v[89:90]
	v_mov_b32_e32 v95, v125
	v_mov_b32_e32 v96, v126
	buffer_store_dword v95, off, s[24:27], 0 offset:208 ; 4-byte Folded Spill
	s_nop 0
	buffer_store_dword v96, off, s[24:27], 0 offset:212 ; 4-byte Folded Spill
	buffer_store_dword v97, off, s[24:27], 0 offset:216 ; 4-byte Folded Spill
	;; [unrolled: 1-line block ×3, first 2 shown]
	v_add_f64 v[123:124], v[123:124], -v[89:90]
.LBB110_398:
	s_or_b64 exec, exec, s[0:1]
	s_waitcnt vmcnt(0)
	s_barrier
	buffer_load_dword v73, off, s[24:27], 0 offset:192 ; 4-byte Folded Reload
	buffer_load_dword v74, off, s[24:27], 0 offset:196 ; 4-byte Folded Reload
	buffer_load_dword v75, off, s[24:27], 0 offset:200 ; 4-byte Folded Reload
	buffer_load_dword v76, off, s[24:27], 0 offset:204 ; 4-byte Folded Reload
	v_lshl_add_u32 v89, v93, 4, v0
	s_cmp_lt_i32 s3, 21
	s_waitcnt vmcnt(0)
	ds_write2_b64 v89, v[73:74], v[75:76] offset1:1
	s_waitcnt lgkmcnt(0)
	s_barrier
	ds_read2_b64 v[117:120], v0 offset0:38 offset1:39
	v_mov_b32_e32 v89, 19
	s_cbranch_scc1 .LBB110_401
; %bb.399:
	v_add_u32_e32 v90, 0x140, v0
	s_mov_b32 s0, 20
	v_mov_b32_e32 v89, 19
.LBB110_400:                            ; =>This Inner Loop Header: Depth=1
	s_waitcnt lgkmcnt(0)
	v_cmp_gt_f64_e32 vcc, 0, v[117:118]
	v_xor_b32_e32 v91, 0x80000000, v118
	ds_read2_b64 v[95:98], v90 offset1:1
	v_xor_b32_e32 v99, 0x80000000, v120
	v_add_u32_e32 v90, 16, v90
	s_waitcnt lgkmcnt(0)
	v_xor_b32_e32 v101, 0x80000000, v98
	v_cndmask_b32_e32 v92, v118, v91, vcc
	v_cmp_gt_f64_e32 vcc, 0, v[119:120]
	v_mov_b32_e32 v91, v117
	v_cndmask_b32_e32 v100, v120, v99, vcc
	v_cmp_gt_f64_e32 vcc, 0, v[95:96]
	v_mov_b32_e32 v99, v119
	v_add_f64 v[91:92], v[91:92], v[99:100]
	v_xor_b32_e32 v99, 0x80000000, v96
	v_cndmask_b32_e32 v100, v96, v99, vcc
	v_cmp_gt_f64_e32 vcc, 0, v[97:98]
	v_mov_b32_e32 v99, v95
	v_cndmask_b32_e32 v102, v98, v101, vcc
	v_mov_b32_e32 v101, v97
	v_add_f64 v[99:100], v[99:100], v[101:102]
	v_cmp_lt_f64_e32 vcc, v[91:92], v[99:100]
	v_mov_b32_e32 v91, s0
	s_add_i32 s0, s0, 1
	s_cmp_lg_u32 s3, s0
	v_cndmask_b32_e32 v118, v118, v96, vcc
	v_cndmask_b32_e32 v117, v117, v95, vcc
	;; [unrolled: 1-line block ×5, first 2 shown]
	s_cbranch_scc1 .LBB110_400
.LBB110_401:
	s_waitcnt lgkmcnt(0)
	v_cmp_eq_f64_e32 vcc, 0, v[117:118]
	v_cmp_eq_f64_e64 s[0:1], 0, v[119:120]
	s_and_b64 s[0:1], vcc, s[0:1]
	s_and_saveexec_b64 s[18:19], s[0:1]
	s_xor_b64 s[0:1], exec, s[18:19]
; %bb.402:
	v_cmp_ne_u32_e32 vcc, 0, v94
	v_cndmask_b32_e32 v94, 20, v94, vcc
; %bb.403:
	s_andn2_saveexec_b64 s[0:1], s[0:1]
	s_cbranch_execz .LBB110_409
; %bb.404:
	v_cmp_ngt_f64_e64 s[18:19], |v[117:118]|, |v[119:120]|
	s_and_saveexec_b64 s[20:21], s[18:19]
	s_xor_b64 s[18:19], exec, s[20:21]
	s_cbranch_execz .LBB110_406
; %bb.405:
	v_div_scale_f64 v[90:91], s[20:21], v[119:120], v[119:120], v[117:118]
	v_rcp_f64_e32 v[95:96], v[90:91]
	v_fma_f64 v[97:98], -v[90:91], v[95:96], 1.0
	v_fma_f64 v[95:96], v[95:96], v[97:98], v[95:96]
	v_div_scale_f64 v[97:98], vcc, v[117:118], v[119:120], v[117:118]
	v_fma_f64 v[99:100], -v[90:91], v[95:96], 1.0
	v_fma_f64 v[95:96], v[95:96], v[99:100], v[95:96]
	v_mul_f64 v[99:100], v[97:98], v[95:96]
	v_fma_f64 v[90:91], -v[90:91], v[99:100], v[97:98]
	v_div_fmas_f64 v[90:91], v[90:91], v[95:96], v[99:100]
	v_div_fixup_f64 v[90:91], v[90:91], v[119:120], v[117:118]
	v_fma_f64 v[95:96], v[117:118], v[90:91], v[119:120]
	v_div_scale_f64 v[97:98], s[20:21], v[95:96], v[95:96], 1.0
	v_div_scale_f64 v[103:104], vcc, 1.0, v[95:96], 1.0
	v_rcp_f64_e32 v[99:100], v[97:98]
	v_fma_f64 v[101:102], -v[97:98], v[99:100], 1.0
	v_fma_f64 v[99:100], v[99:100], v[101:102], v[99:100]
	v_fma_f64 v[101:102], -v[97:98], v[99:100], 1.0
	v_fma_f64 v[99:100], v[99:100], v[101:102], v[99:100]
	v_mul_f64 v[101:102], v[103:104], v[99:100]
	v_fma_f64 v[97:98], -v[97:98], v[101:102], v[103:104]
	v_div_fmas_f64 v[97:98], v[97:98], v[99:100], v[101:102]
	v_div_fixup_f64 v[119:120], v[97:98], v[95:96], 1.0
	v_mul_f64 v[117:118], v[90:91], v[119:120]
	v_xor_b32_e32 v120, 0x80000000, v120
.LBB110_406:
	s_andn2_saveexec_b64 s[18:19], s[18:19]
	s_cbranch_execz .LBB110_408
; %bb.407:
	v_div_scale_f64 v[90:91], s[20:21], v[117:118], v[117:118], v[119:120]
	v_rcp_f64_e32 v[95:96], v[90:91]
	v_fma_f64 v[97:98], -v[90:91], v[95:96], 1.0
	v_fma_f64 v[95:96], v[95:96], v[97:98], v[95:96]
	v_div_scale_f64 v[97:98], vcc, v[119:120], v[117:118], v[119:120]
	v_fma_f64 v[99:100], -v[90:91], v[95:96], 1.0
	v_fma_f64 v[95:96], v[95:96], v[99:100], v[95:96]
	v_mul_f64 v[99:100], v[97:98], v[95:96]
	v_fma_f64 v[90:91], -v[90:91], v[99:100], v[97:98]
	v_div_fmas_f64 v[90:91], v[90:91], v[95:96], v[99:100]
	v_div_fixup_f64 v[90:91], v[90:91], v[117:118], v[119:120]
	v_fma_f64 v[95:96], v[119:120], v[90:91], v[117:118]
	v_div_scale_f64 v[97:98], s[20:21], v[95:96], v[95:96], 1.0
	v_div_scale_f64 v[103:104], vcc, 1.0, v[95:96], 1.0
	v_rcp_f64_e32 v[99:100], v[97:98]
	v_fma_f64 v[101:102], -v[97:98], v[99:100], 1.0
	v_fma_f64 v[99:100], v[99:100], v[101:102], v[99:100]
	v_fma_f64 v[101:102], -v[97:98], v[99:100], 1.0
	v_fma_f64 v[99:100], v[99:100], v[101:102], v[99:100]
	v_mul_f64 v[101:102], v[103:104], v[99:100]
	v_fma_f64 v[97:98], -v[97:98], v[101:102], v[103:104]
	v_div_fmas_f64 v[97:98], v[97:98], v[99:100], v[101:102]
	v_div_fixup_f64 v[117:118], v[97:98], v[95:96], 1.0
	v_mul_f64 v[119:120], v[90:91], -v[117:118]
.LBB110_408:
	s_or_b64 exec, exec, s[18:19]
.LBB110_409:
	s_or_b64 exec, exec, s[0:1]
	v_cmp_ne_u32_e32 vcc, v93, v89
	s_and_saveexec_b64 s[0:1], vcc
	s_xor_b64 s[0:1], exec, s[0:1]
	s_cbranch_execz .LBB110_415
; %bb.410:
	v_cmp_eq_u32_e32 vcc, 19, v93
	s_and_saveexec_b64 s[18:19], vcc
	s_cbranch_execz .LBB110_414
; %bb.411:
	v_cmp_ne_u32_e32 vcc, 19, v89
	s_xor_b64 s[20:21], s[6:7], -1
	s_and_b64 s[22:23], s[20:21], vcc
	s_and_saveexec_b64 s[20:21], s[22:23]
	s_cbranch_execz .LBB110_413
; %bb.412:
	v_mov_b32_e32 v73, v81
	v_mov_b32_e32 v74, v82
	;; [unrolled: 1-line block ×4, first 2 shown]
	buffer_load_dword v81, off, s[24:27], 0 offset:448 ; 4-byte Folded Reload
	buffer_load_dword v82, off, s[24:27], 0 offset:452 ; 4-byte Folded Reload
	v_ashrrev_i32_e32 v90, 31, v89
	v_lshlrev_b64 v[90:91], 2, v[89:90]
	s_waitcnt vmcnt(1)
	v_add_co_u32_e32 v90, vcc, v81, v90
	s_waitcnt vmcnt(0)
	v_addc_co_u32_e32 v91, vcc, v82, v91, vcc
	global_load_dword v92, v[90:91], off
	global_load_dword v93, v[81:82], off offset:76
	s_waitcnt vmcnt(1)
	global_store_dword v[81:82], v92, off offset:76
	v_mov_b32_e32 v84, v76
	v_mov_b32_e32 v83, v75
	;; [unrolled: 1-line block ×4, first 2 shown]
	s_waitcnt vmcnt(1)
	global_store_dword v[90:91], v93, off
.LBB110_413:
	s_or_b64 exec, exec, s[20:21]
	v_mov_b32_e32 v93, v89
	v_mov_b32_e32 v127, v89
.LBB110_414:
	s_or_b64 exec, exec, s[18:19]
.LBB110_415:
	s_andn2_saveexec_b64 s[0:1], s[0:1]
	s_cbranch_execz .LBB110_417
; %bb.416:
	buffer_load_dword v73, off, s[24:27], 0 offset:176 ; 4-byte Folded Reload
	buffer_load_dword v74, off, s[24:27], 0 offset:180 ; 4-byte Folded Reload
	;; [unrolled: 1-line block ×4, first 2 shown]
	v_mov_b32_e32 v93, 19
	s_waitcnt vmcnt(0)
	ds_write2_b64 v0, v[73:74], v[75:76] offset0:40 offset1:41
	buffer_load_dword v73, off, s[24:27], 0 offset:160 ; 4-byte Folded Reload
	buffer_load_dword v74, off, s[24:27], 0 offset:164 ; 4-byte Folded Reload
	buffer_load_dword v75, off, s[24:27], 0 offset:168 ; 4-byte Folded Reload
	buffer_load_dword v76, off, s[24:27], 0 offset:172 ; 4-byte Folded Reload
	s_waitcnt vmcnt(0)
	ds_write2_b64 v0, v[73:74], v[75:76] offset0:42 offset1:43
	buffer_load_dword v73, off, s[24:27], 0 offset:144 ; 4-byte Folded Reload
	buffer_load_dword v74, off, s[24:27], 0 offset:148 ; 4-byte Folded Reload
	buffer_load_dword v75, off, s[24:27], 0 offset:152 ; 4-byte Folded Reload
	buffer_load_dword v76, off, s[24:27], 0 offset:156 ; 4-byte Folded Reload
	;; [unrolled: 6-line block ×10, first 2 shown]
	s_waitcnt vmcnt(0)
	ds_write2_b64 v0, v[73:74], v[75:76] offset0:60 offset1:61
	ds_write2_b64 v0, v[81:82], v[83:84] offset0:62 offset1:63
	;; [unrolled: 1-line block ×6, first 2 shown]
	buffer_load_dword v73, off, s[24:27], 0 ; 4-byte Folded Reload
	buffer_load_dword v74, off, s[24:27], 0 offset:4 ; 4-byte Folded Reload
	buffer_load_dword v75, off, s[24:27], 0 offset:8 ; 4-byte Folded Reload
	;; [unrolled: 1-line block ×3, first 2 shown]
	s_waitcnt vmcnt(0)
	ds_write2_b64 v0, v[73:74], v[75:76] offset0:72 offset1:73
	ds_write2_b64 v0, v[69:70], v[71:72] offset0:74 offset1:75
	;; [unrolled: 1-line block ×20, first 2 shown]
.LBB110_417:
	s_or_b64 exec, exec, s[0:1]
	v_cmp_lt_i32_e32 vcc, 19, v93
	s_waitcnt vmcnt(0) lgkmcnt(0)
	s_barrier
	s_and_saveexec_b64 s[0:1], vcc
	s_cbranch_execz .LBB110_419
; %bb.418:
	buffer_load_dword v95, off, s[24:27], 0 offset:192 ; 4-byte Folded Reload
	buffer_load_dword v96, off, s[24:27], 0 offset:196 ; 4-byte Folded Reload
	buffer_load_dword v97, off, s[24:27], 0 offset:200 ; 4-byte Folded Reload
	buffer_load_dword v98, off, s[24:27], 0 offset:204 ; 4-byte Folded Reload
	s_waitcnt vmcnt(0)
	v_mul_f64 v[89:90], v[119:120], v[97:98]
	v_fma_f64 v[125:126], v[117:118], v[95:96], -v[89:90]
	v_mul_f64 v[89:90], v[117:118], v[97:98]
	v_fma_f64 v[97:98], v[119:120], v[95:96], v[89:90]
	ds_read2_b64 v[89:92], v0 offset0:40 offset1:41
	buffer_load_dword v73, off, s[24:27], 0 offset:176 ; 4-byte Folded Reload
	buffer_load_dword v74, off, s[24:27], 0 offset:180 ; 4-byte Folded Reload
	buffer_load_dword v75, off, s[24:27], 0 offset:184 ; 4-byte Folded Reload
	buffer_load_dword v76, off, s[24:27], 0 offset:188 ; 4-byte Folded Reload
	s_waitcnt lgkmcnt(0)
	v_mul_f64 v[95:96], v[91:92], v[97:98]
	v_fma_f64 v[95:96], v[89:90], v[125:126], -v[95:96]
	v_mul_f64 v[89:90], v[89:90], v[97:98]
	v_fma_f64 v[89:90], v[91:92], v[125:126], v[89:90]
	s_waitcnt vmcnt(2)
	v_add_f64 v[73:74], v[73:74], -v[95:96]
	s_waitcnt vmcnt(0)
	v_add_f64 v[75:76], v[75:76], -v[89:90]
	buffer_store_dword v73, off, s[24:27], 0 offset:176 ; 4-byte Folded Spill
	s_nop 0
	buffer_store_dword v74, off, s[24:27], 0 offset:180 ; 4-byte Folded Spill
	buffer_store_dword v75, off, s[24:27], 0 offset:184 ; 4-byte Folded Spill
	buffer_store_dword v76, off, s[24:27], 0 offset:188 ; 4-byte Folded Spill
	ds_read2_b64 v[89:92], v0 offset0:42 offset1:43
	buffer_load_dword v73, off, s[24:27], 0 offset:160 ; 4-byte Folded Reload
	buffer_load_dword v74, off, s[24:27], 0 offset:164 ; 4-byte Folded Reload
	buffer_load_dword v75, off, s[24:27], 0 offset:168 ; 4-byte Folded Reload
	buffer_load_dword v76, off, s[24:27], 0 offset:172 ; 4-byte Folded Reload
	s_waitcnt lgkmcnt(0)
	v_mul_f64 v[95:96], v[91:92], v[97:98]
	v_fma_f64 v[95:96], v[89:90], v[125:126], -v[95:96]
	v_mul_f64 v[89:90], v[89:90], v[97:98]
	v_fma_f64 v[89:90], v[91:92], v[125:126], v[89:90]
	s_waitcnt vmcnt(2)
	v_add_f64 v[73:74], v[73:74], -v[95:96]
	s_waitcnt vmcnt(0)
	v_add_f64 v[75:76], v[75:76], -v[89:90]
	buffer_store_dword v73, off, s[24:27], 0 offset:160 ; 4-byte Folded Spill
	s_nop 0
	buffer_store_dword v74, off, s[24:27], 0 offset:164 ; 4-byte Folded Spill
	buffer_store_dword v75, off, s[24:27], 0 offset:168 ; 4-byte Folded Spill
	buffer_store_dword v76, off, s[24:27], 0 offset:172 ; 4-byte Folded Spill
	;; [unrolled: 19-line block ×11, first 2 shown]
	ds_read2_b64 v[89:92], v0 offset0:62 offset1:63
	s_waitcnt lgkmcnt(0)
	v_mul_f64 v[95:96], v[91:92], v[97:98]
	v_fma_f64 v[95:96], v[89:90], v[125:126], -v[95:96]
	v_mul_f64 v[89:90], v[89:90], v[97:98]
	v_add_f64 v[81:82], v[81:82], -v[95:96]
	v_fma_f64 v[89:90], v[91:92], v[125:126], v[89:90]
	v_add_f64 v[83:84], v[83:84], -v[89:90]
	ds_read2_b64 v[89:92], v0 offset0:64 offset1:65
	s_waitcnt lgkmcnt(0)
	v_mul_f64 v[95:96], v[91:92], v[97:98]
	v_fma_f64 v[95:96], v[89:90], v[125:126], -v[95:96]
	v_mul_f64 v[89:90], v[89:90], v[97:98]
	v_add_f64 v[85:86], v[85:86], -v[95:96]
	v_fma_f64 v[89:90], v[91:92], v[125:126], v[89:90]
	v_add_f64 v[87:88], v[87:88], -v[89:90]
	;; [unrolled: 8-line block ×5, first 2 shown]
	ds_read2_b64 v[89:92], v0 offset0:72 offset1:73
	buffer_load_dword v73, off, s[24:27], 0 ; 4-byte Folded Reload
	buffer_load_dword v74, off, s[24:27], 0 offset:4 ; 4-byte Folded Reload
	buffer_load_dword v75, off, s[24:27], 0 offset:8 ; 4-byte Folded Reload
	;; [unrolled: 1-line block ×3, first 2 shown]
	s_waitcnt lgkmcnt(0)
	v_mul_f64 v[95:96], v[91:92], v[97:98]
	v_fma_f64 v[95:96], v[89:90], v[125:126], -v[95:96]
	v_mul_f64 v[89:90], v[89:90], v[97:98]
	v_fma_f64 v[89:90], v[91:92], v[125:126], v[89:90]
	s_waitcnt vmcnt(2)
	v_add_f64 v[73:74], v[73:74], -v[95:96]
	s_waitcnt vmcnt(0)
	v_add_f64 v[75:76], v[75:76], -v[89:90]
	buffer_store_dword v73, off, s[24:27], 0 ; 4-byte Folded Spill
	s_nop 0
	buffer_store_dword v74, off, s[24:27], 0 offset:4 ; 4-byte Folded Spill
	buffer_store_dword v75, off, s[24:27], 0 offset:8 ; 4-byte Folded Spill
	;; [unrolled: 1-line block ×3, first 2 shown]
	ds_read2_b64 v[89:92], v0 offset0:74 offset1:75
	s_waitcnt lgkmcnt(0)
	v_mul_f64 v[95:96], v[91:92], v[97:98]
	v_fma_f64 v[95:96], v[89:90], v[125:126], -v[95:96]
	v_mul_f64 v[89:90], v[89:90], v[97:98]
	v_add_f64 v[69:70], v[69:70], -v[95:96]
	v_fma_f64 v[89:90], v[91:92], v[125:126], v[89:90]
	v_add_f64 v[71:72], v[71:72], -v[89:90]
	ds_read2_b64 v[89:92], v0 offset0:76 offset1:77
	s_waitcnt lgkmcnt(0)
	v_mul_f64 v[95:96], v[91:92], v[97:98]
	v_fma_f64 v[95:96], v[89:90], v[125:126], -v[95:96]
	v_mul_f64 v[89:90], v[89:90], v[97:98]
	v_add_f64 v[65:66], v[65:66], -v[95:96]
	v_fma_f64 v[89:90], v[91:92], v[125:126], v[89:90]
	v_add_f64 v[67:68], v[67:68], -v[89:90]
	;; [unrolled: 8-line block ×18, first 2 shown]
	ds_read2_b64 v[89:92], v0 offset0:110 offset1:111
	s_waitcnt lgkmcnt(0)
	v_mul_f64 v[95:96], v[91:92], v[97:98]
	v_fma_f64 v[95:96], v[89:90], v[125:126], -v[95:96]
	v_mul_f64 v[89:90], v[89:90], v[97:98]
	v_add_f64 v[121:122], v[121:122], -v[95:96]
	v_fma_f64 v[89:90], v[91:92], v[125:126], v[89:90]
	v_mov_b32_e32 v95, v125
	v_mov_b32_e32 v96, v126
	buffer_store_dword v95, off, s[24:27], 0 offset:192 ; 4-byte Folded Spill
	s_nop 0
	buffer_store_dword v96, off, s[24:27], 0 offset:196 ; 4-byte Folded Spill
	buffer_store_dword v97, off, s[24:27], 0 offset:200 ; 4-byte Folded Spill
	;; [unrolled: 1-line block ×3, first 2 shown]
	v_add_f64 v[123:124], v[123:124], -v[89:90]
.LBB110_419:
	s_or_b64 exec, exec, s[0:1]
	s_waitcnt vmcnt(0)
	s_barrier
	buffer_load_dword v73, off, s[24:27], 0 offset:176 ; 4-byte Folded Reload
	buffer_load_dword v74, off, s[24:27], 0 offset:180 ; 4-byte Folded Reload
	buffer_load_dword v75, off, s[24:27], 0 offset:184 ; 4-byte Folded Reload
	buffer_load_dword v76, off, s[24:27], 0 offset:188 ; 4-byte Folded Reload
	v_lshl_add_u32 v89, v93, 4, v0
	s_cmp_lt_i32 s3, 22
	s_waitcnt vmcnt(0)
	ds_write2_b64 v89, v[73:74], v[75:76] offset1:1
	s_waitcnt lgkmcnt(0)
	s_barrier
	ds_read2_b64 v[117:120], v0 offset0:40 offset1:41
	v_mov_b32_e32 v89, 20
	s_cbranch_scc1 .LBB110_422
; %bb.420:
	v_add_u32_e32 v90, 0x150, v0
	s_mov_b32 s0, 21
	v_mov_b32_e32 v89, 20
.LBB110_421:                            ; =>This Inner Loop Header: Depth=1
	s_waitcnt lgkmcnt(0)
	v_cmp_gt_f64_e32 vcc, 0, v[117:118]
	v_xor_b32_e32 v91, 0x80000000, v118
	ds_read2_b64 v[95:98], v90 offset1:1
	v_xor_b32_e32 v99, 0x80000000, v120
	v_add_u32_e32 v90, 16, v90
	s_waitcnt lgkmcnt(0)
	v_xor_b32_e32 v101, 0x80000000, v98
	v_cndmask_b32_e32 v92, v118, v91, vcc
	v_cmp_gt_f64_e32 vcc, 0, v[119:120]
	v_mov_b32_e32 v91, v117
	v_cndmask_b32_e32 v100, v120, v99, vcc
	v_cmp_gt_f64_e32 vcc, 0, v[95:96]
	v_mov_b32_e32 v99, v119
	v_add_f64 v[91:92], v[91:92], v[99:100]
	v_xor_b32_e32 v99, 0x80000000, v96
	v_cndmask_b32_e32 v100, v96, v99, vcc
	v_cmp_gt_f64_e32 vcc, 0, v[97:98]
	v_mov_b32_e32 v99, v95
	v_cndmask_b32_e32 v102, v98, v101, vcc
	v_mov_b32_e32 v101, v97
	v_add_f64 v[99:100], v[99:100], v[101:102]
	v_cmp_lt_f64_e32 vcc, v[91:92], v[99:100]
	v_mov_b32_e32 v91, s0
	s_add_i32 s0, s0, 1
	s_cmp_lg_u32 s3, s0
	v_cndmask_b32_e32 v118, v118, v96, vcc
	v_cndmask_b32_e32 v117, v117, v95, vcc
	;; [unrolled: 1-line block ×5, first 2 shown]
	s_cbranch_scc1 .LBB110_421
.LBB110_422:
	s_waitcnt lgkmcnt(0)
	v_cmp_eq_f64_e32 vcc, 0, v[117:118]
	v_cmp_eq_f64_e64 s[0:1], 0, v[119:120]
	s_and_b64 s[0:1], vcc, s[0:1]
	s_and_saveexec_b64 s[18:19], s[0:1]
	s_xor_b64 s[0:1], exec, s[18:19]
; %bb.423:
	v_cmp_ne_u32_e32 vcc, 0, v94
	v_cndmask_b32_e32 v94, 21, v94, vcc
; %bb.424:
	s_andn2_saveexec_b64 s[0:1], s[0:1]
	s_cbranch_execz .LBB110_430
; %bb.425:
	v_cmp_ngt_f64_e64 s[18:19], |v[117:118]|, |v[119:120]|
	s_and_saveexec_b64 s[20:21], s[18:19]
	s_xor_b64 s[18:19], exec, s[20:21]
	s_cbranch_execz .LBB110_427
; %bb.426:
	v_div_scale_f64 v[90:91], s[20:21], v[119:120], v[119:120], v[117:118]
	v_rcp_f64_e32 v[95:96], v[90:91]
	v_fma_f64 v[97:98], -v[90:91], v[95:96], 1.0
	v_fma_f64 v[95:96], v[95:96], v[97:98], v[95:96]
	v_div_scale_f64 v[97:98], vcc, v[117:118], v[119:120], v[117:118]
	v_fma_f64 v[99:100], -v[90:91], v[95:96], 1.0
	v_fma_f64 v[95:96], v[95:96], v[99:100], v[95:96]
	v_mul_f64 v[99:100], v[97:98], v[95:96]
	v_fma_f64 v[90:91], -v[90:91], v[99:100], v[97:98]
	v_div_fmas_f64 v[90:91], v[90:91], v[95:96], v[99:100]
	v_div_fixup_f64 v[90:91], v[90:91], v[119:120], v[117:118]
	v_fma_f64 v[95:96], v[117:118], v[90:91], v[119:120]
	v_div_scale_f64 v[97:98], s[20:21], v[95:96], v[95:96], 1.0
	v_div_scale_f64 v[103:104], vcc, 1.0, v[95:96], 1.0
	v_rcp_f64_e32 v[99:100], v[97:98]
	v_fma_f64 v[101:102], -v[97:98], v[99:100], 1.0
	v_fma_f64 v[99:100], v[99:100], v[101:102], v[99:100]
	v_fma_f64 v[101:102], -v[97:98], v[99:100], 1.0
	v_fma_f64 v[99:100], v[99:100], v[101:102], v[99:100]
	v_mul_f64 v[101:102], v[103:104], v[99:100]
	v_fma_f64 v[97:98], -v[97:98], v[101:102], v[103:104]
	v_div_fmas_f64 v[97:98], v[97:98], v[99:100], v[101:102]
	v_div_fixup_f64 v[119:120], v[97:98], v[95:96], 1.0
	v_mul_f64 v[117:118], v[90:91], v[119:120]
	v_xor_b32_e32 v120, 0x80000000, v120
.LBB110_427:
	s_andn2_saveexec_b64 s[18:19], s[18:19]
	s_cbranch_execz .LBB110_429
; %bb.428:
	v_div_scale_f64 v[90:91], s[20:21], v[117:118], v[117:118], v[119:120]
	v_rcp_f64_e32 v[95:96], v[90:91]
	v_fma_f64 v[97:98], -v[90:91], v[95:96], 1.0
	v_fma_f64 v[95:96], v[95:96], v[97:98], v[95:96]
	v_div_scale_f64 v[97:98], vcc, v[119:120], v[117:118], v[119:120]
	v_fma_f64 v[99:100], -v[90:91], v[95:96], 1.0
	v_fma_f64 v[95:96], v[95:96], v[99:100], v[95:96]
	v_mul_f64 v[99:100], v[97:98], v[95:96]
	v_fma_f64 v[90:91], -v[90:91], v[99:100], v[97:98]
	v_div_fmas_f64 v[90:91], v[90:91], v[95:96], v[99:100]
	v_div_fixup_f64 v[90:91], v[90:91], v[117:118], v[119:120]
	v_fma_f64 v[95:96], v[119:120], v[90:91], v[117:118]
	v_div_scale_f64 v[97:98], s[20:21], v[95:96], v[95:96], 1.0
	v_div_scale_f64 v[103:104], vcc, 1.0, v[95:96], 1.0
	v_rcp_f64_e32 v[99:100], v[97:98]
	v_fma_f64 v[101:102], -v[97:98], v[99:100], 1.0
	v_fma_f64 v[99:100], v[99:100], v[101:102], v[99:100]
	v_fma_f64 v[101:102], -v[97:98], v[99:100], 1.0
	v_fma_f64 v[99:100], v[99:100], v[101:102], v[99:100]
	v_mul_f64 v[101:102], v[103:104], v[99:100]
	v_fma_f64 v[97:98], -v[97:98], v[101:102], v[103:104]
	v_div_fmas_f64 v[97:98], v[97:98], v[99:100], v[101:102]
	v_div_fixup_f64 v[117:118], v[97:98], v[95:96], 1.0
	v_mul_f64 v[119:120], v[90:91], -v[117:118]
.LBB110_429:
	s_or_b64 exec, exec, s[18:19]
.LBB110_430:
	s_or_b64 exec, exec, s[0:1]
	v_cmp_ne_u32_e32 vcc, v93, v89
	s_and_saveexec_b64 s[0:1], vcc
	s_xor_b64 s[0:1], exec, s[0:1]
	s_cbranch_execz .LBB110_436
; %bb.431:
	v_cmp_eq_u32_e32 vcc, 20, v93
	s_and_saveexec_b64 s[18:19], vcc
	s_cbranch_execz .LBB110_435
; %bb.432:
	v_cmp_ne_u32_e32 vcc, 20, v89
	s_xor_b64 s[20:21], s[6:7], -1
	s_and_b64 s[22:23], s[20:21], vcc
	s_and_saveexec_b64 s[20:21], s[22:23]
	s_cbranch_execz .LBB110_434
; %bb.433:
	v_mov_b32_e32 v73, v81
	v_mov_b32_e32 v74, v82
	v_mov_b32_e32 v75, v83
	v_mov_b32_e32 v76, v84
	buffer_load_dword v81, off, s[24:27], 0 offset:448 ; 4-byte Folded Reload
	buffer_load_dword v82, off, s[24:27], 0 offset:452 ; 4-byte Folded Reload
	v_ashrrev_i32_e32 v90, 31, v89
	v_lshlrev_b64 v[90:91], 2, v[89:90]
	s_waitcnt vmcnt(1)
	v_add_co_u32_e32 v90, vcc, v81, v90
	s_waitcnt vmcnt(0)
	v_addc_co_u32_e32 v91, vcc, v82, v91, vcc
	global_load_dword v92, v[90:91], off
	global_load_dword v93, v[81:82], off offset:80
	s_waitcnt vmcnt(1)
	global_store_dword v[81:82], v92, off offset:80
	v_mov_b32_e32 v84, v76
	v_mov_b32_e32 v83, v75
	;; [unrolled: 1-line block ×4, first 2 shown]
	s_waitcnt vmcnt(1)
	global_store_dword v[90:91], v93, off
.LBB110_434:
	s_or_b64 exec, exec, s[20:21]
	v_mov_b32_e32 v93, v89
	v_mov_b32_e32 v127, v89
.LBB110_435:
	s_or_b64 exec, exec, s[18:19]
.LBB110_436:
	s_andn2_saveexec_b64 s[0:1], s[0:1]
	s_cbranch_execz .LBB110_438
; %bb.437:
	buffer_load_dword v73, off, s[24:27], 0 offset:160 ; 4-byte Folded Reload
	buffer_load_dword v74, off, s[24:27], 0 offset:164 ; 4-byte Folded Reload
	;; [unrolled: 1-line block ×4, first 2 shown]
	v_mov_b32_e32 v93, 20
	s_waitcnt vmcnt(0)
	ds_write2_b64 v0, v[73:74], v[75:76] offset0:42 offset1:43
	buffer_load_dword v73, off, s[24:27], 0 offset:144 ; 4-byte Folded Reload
	buffer_load_dword v74, off, s[24:27], 0 offset:148 ; 4-byte Folded Reload
	buffer_load_dword v75, off, s[24:27], 0 offset:152 ; 4-byte Folded Reload
	buffer_load_dword v76, off, s[24:27], 0 offset:156 ; 4-byte Folded Reload
	s_waitcnt vmcnt(0)
	ds_write2_b64 v0, v[73:74], v[75:76] offset0:44 offset1:45
	buffer_load_dword v73, off, s[24:27], 0 offset:128 ; 4-byte Folded Reload
	buffer_load_dword v74, off, s[24:27], 0 offset:132 ; 4-byte Folded Reload
	buffer_load_dword v75, off, s[24:27], 0 offset:136 ; 4-byte Folded Reload
	buffer_load_dword v76, off, s[24:27], 0 offset:140 ; 4-byte Folded Reload
	;; [unrolled: 6-line block ×9, first 2 shown]
	s_waitcnt vmcnt(0)
	ds_write2_b64 v0, v[73:74], v[75:76] offset0:60 offset1:61
	ds_write2_b64 v0, v[81:82], v[83:84] offset0:62 offset1:63
	;; [unrolled: 1-line block ×6, first 2 shown]
	buffer_load_dword v73, off, s[24:27], 0 ; 4-byte Folded Reload
	buffer_load_dword v74, off, s[24:27], 0 offset:4 ; 4-byte Folded Reload
	buffer_load_dword v75, off, s[24:27], 0 offset:8 ; 4-byte Folded Reload
	;; [unrolled: 1-line block ×3, first 2 shown]
	s_waitcnt vmcnt(0)
	ds_write2_b64 v0, v[73:74], v[75:76] offset0:72 offset1:73
	ds_write2_b64 v0, v[69:70], v[71:72] offset0:74 offset1:75
	ds_write2_b64 v0, v[65:66], v[67:68] offset0:76 offset1:77
	ds_write2_b64 v0, v[61:62], v[63:64] offset0:78 offset1:79
	ds_write2_b64 v0, v[57:58], v[59:60] offset0:80 offset1:81
	ds_write2_b64 v0, v[53:54], v[55:56] offset0:82 offset1:83
	ds_write2_b64 v0, v[49:50], v[51:52] offset0:84 offset1:85
	ds_write2_b64 v0, v[45:46], v[47:48] offset0:86 offset1:87
	ds_write2_b64 v0, v[41:42], v[43:44] offset0:88 offset1:89
	ds_write2_b64 v0, v[37:38], v[39:40] offset0:90 offset1:91
	ds_write2_b64 v0, v[33:34], v[35:36] offset0:92 offset1:93
	ds_write2_b64 v0, v[29:30], v[31:32] offset0:94 offset1:95
	ds_write2_b64 v0, v[25:26], v[27:28] offset0:96 offset1:97
	ds_write2_b64 v0, v[21:22], v[23:24] offset0:98 offset1:99
	ds_write2_b64 v0, v[17:18], v[19:20] offset0:100 offset1:101
	ds_write2_b64 v0, v[13:14], v[15:16] offset0:102 offset1:103
	ds_write2_b64 v0, v[9:10], v[11:12] offset0:104 offset1:105
	ds_write2_b64 v0, v[5:6], v[7:8] offset0:106 offset1:107
	ds_write2_b64 v0, v[1:2], v[3:4] offset0:108 offset1:109
	ds_write2_b64 v0, v[121:122], v[123:124] offset0:110 offset1:111
.LBB110_438:
	s_or_b64 exec, exec, s[0:1]
	v_cmp_lt_i32_e32 vcc, 20, v93
	s_waitcnt vmcnt(0) lgkmcnt(0)
	s_barrier
	s_and_saveexec_b64 s[0:1], vcc
	s_cbranch_execz .LBB110_440
; %bb.439:
	buffer_load_dword v95, off, s[24:27], 0 offset:176 ; 4-byte Folded Reload
	buffer_load_dword v96, off, s[24:27], 0 offset:180 ; 4-byte Folded Reload
	;; [unrolled: 1-line block ×4, first 2 shown]
	s_waitcnt vmcnt(0)
	v_mul_f64 v[89:90], v[119:120], v[97:98]
	v_fma_f64 v[125:126], v[117:118], v[95:96], -v[89:90]
	v_mul_f64 v[89:90], v[117:118], v[97:98]
	v_fma_f64 v[97:98], v[119:120], v[95:96], v[89:90]
	ds_read2_b64 v[89:92], v0 offset0:42 offset1:43
	buffer_load_dword v73, off, s[24:27], 0 offset:160 ; 4-byte Folded Reload
	buffer_load_dword v74, off, s[24:27], 0 offset:164 ; 4-byte Folded Reload
	buffer_load_dword v75, off, s[24:27], 0 offset:168 ; 4-byte Folded Reload
	buffer_load_dword v76, off, s[24:27], 0 offset:172 ; 4-byte Folded Reload
	s_waitcnt lgkmcnt(0)
	v_mul_f64 v[95:96], v[91:92], v[97:98]
	v_fma_f64 v[95:96], v[89:90], v[125:126], -v[95:96]
	v_mul_f64 v[89:90], v[89:90], v[97:98]
	v_fma_f64 v[89:90], v[91:92], v[125:126], v[89:90]
	s_waitcnt vmcnt(2)
	v_add_f64 v[73:74], v[73:74], -v[95:96]
	s_waitcnt vmcnt(0)
	v_add_f64 v[75:76], v[75:76], -v[89:90]
	buffer_store_dword v73, off, s[24:27], 0 offset:160 ; 4-byte Folded Spill
	s_nop 0
	buffer_store_dword v74, off, s[24:27], 0 offset:164 ; 4-byte Folded Spill
	buffer_store_dword v75, off, s[24:27], 0 offset:168 ; 4-byte Folded Spill
	buffer_store_dword v76, off, s[24:27], 0 offset:172 ; 4-byte Folded Spill
	ds_read2_b64 v[89:92], v0 offset0:44 offset1:45
	buffer_load_dword v73, off, s[24:27], 0 offset:144 ; 4-byte Folded Reload
	buffer_load_dword v74, off, s[24:27], 0 offset:148 ; 4-byte Folded Reload
	buffer_load_dword v75, off, s[24:27], 0 offset:152 ; 4-byte Folded Reload
	buffer_load_dword v76, off, s[24:27], 0 offset:156 ; 4-byte Folded Reload
	s_waitcnt lgkmcnt(0)
	v_mul_f64 v[95:96], v[91:92], v[97:98]
	v_fma_f64 v[95:96], v[89:90], v[125:126], -v[95:96]
	v_mul_f64 v[89:90], v[89:90], v[97:98]
	v_fma_f64 v[89:90], v[91:92], v[125:126], v[89:90]
	s_waitcnt vmcnt(2)
	v_add_f64 v[73:74], v[73:74], -v[95:96]
	s_waitcnt vmcnt(0)
	v_add_f64 v[75:76], v[75:76], -v[89:90]
	buffer_store_dword v73, off, s[24:27], 0 offset:144 ; 4-byte Folded Spill
	s_nop 0
	buffer_store_dword v74, off, s[24:27], 0 offset:148 ; 4-byte Folded Spill
	buffer_store_dword v75, off, s[24:27], 0 offset:152 ; 4-byte Folded Spill
	buffer_store_dword v76, off, s[24:27], 0 offset:156 ; 4-byte Folded Spill
	;; [unrolled: 19-line block ×10, first 2 shown]
	ds_read2_b64 v[89:92], v0 offset0:62 offset1:63
	s_waitcnt lgkmcnt(0)
	v_mul_f64 v[95:96], v[91:92], v[97:98]
	v_fma_f64 v[95:96], v[89:90], v[125:126], -v[95:96]
	v_mul_f64 v[89:90], v[89:90], v[97:98]
	v_add_f64 v[81:82], v[81:82], -v[95:96]
	v_fma_f64 v[89:90], v[91:92], v[125:126], v[89:90]
	v_add_f64 v[83:84], v[83:84], -v[89:90]
	ds_read2_b64 v[89:92], v0 offset0:64 offset1:65
	s_waitcnt lgkmcnt(0)
	v_mul_f64 v[95:96], v[91:92], v[97:98]
	v_fma_f64 v[95:96], v[89:90], v[125:126], -v[95:96]
	v_mul_f64 v[89:90], v[89:90], v[97:98]
	v_add_f64 v[85:86], v[85:86], -v[95:96]
	v_fma_f64 v[89:90], v[91:92], v[125:126], v[89:90]
	v_add_f64 v[87:88], v[87:88], -v[89:90]
	;; [unrolled: 8-line block ×5, first 2 shown]
	ds_read2_b64 v[89:92], v0 offset0:72 offset1:73
	buffer_load_dword v73, off, s[24:27], 0 ; 4-byte Folded Reload
	buffer_load_dword v74, off, s[24:27], 0 offset:4 ; 4-byte Folded Reload
	buffer_load_dword v75, off, s[24:27], 0 offset:8 ; 4-byte Folded Reload
	;; [unrolled: 1-line block ×3, first 2 shown]
	s_waitcnt lgkmcnt(0)
	v_mul_f64 v[95:96], v[91:92], v[97:98]
	v_fma_f64 v[95:96], v[89:90], v[125:126], -v[95:96]
	v_mul_f64 v[89:90], v[89:90], v[97:98]
	v_fma_f64 v[89:90], v[91:92], v[125:126], v[89:90]
	s_waitcnt vmcnt(2)
	v_add_f64 v[73:74], v[73:74], -v[95:96]
	s_waitcnt vmcnt(0)
	v_add_f64 v[75:76], v[75:76], -v[89:90]
	buffer_store_dword v73, off, s[24:27], 0 ; 4-byte Folded Spill
	s_nop 0
	buffer_store_dword v74, off, s[24:27], 0 offset:4 ; 4-byte Folded Spill
	buffer_store_dword v75, off, s[24:27], 0 offset:8 ; 4-byte Folded Spill
	;; [unrolled: 1-line block ×3, first 2 shown]
	ds_read2_b64 v[89:92], v0 offset0:74 offset1:75
	s_waitcnt lgkmcnt(0)
	v_mul_f64 v[95:96], v[91:92], v[97:98]
	v_fma_f64 v[95:96], v[89:90], v[125:126], -v[95:96]
	v_mul_f64 v[89:90], v[89:90], v[97:98]
	v_add_f64 v[69:70], v[69:70], -v[95:96]
	v_fma_f64 v[89:90], v[91:92], v[125:126], v[89:90]
	v_add_f64 v[71:72], v[71:72], -v[89:90]
	ds_read2_b64 v[89:92], v0 offset0:76 offset1:77
	s_waitcnt lgkmcnt(0)
	v_mul_f64 v[95:96], v[91:92], v[97:98]
	v_fma_f64 v[95:96], v[89:90], v[125:126], -v[95:96]
	v_mul_f64 v[89:90], v[89:90], v[97:98]
	v_add_f64 v[65:66], v[65:66], -v[95:96]
	v_fma_f64 v[89:90], v[91:92], v[125:126], v[89:90]
	v_add_f64 v[67:68], v[67:68], -v[89:90]
	;; [unrolled: 8-line block ×18, first 2 shown]
	ds_read2_b64 v[89:92], v0 offset0:110 offset1:111
	s_waitcnt lgkmcnt(0)
	v_mul_f64 v[95:96], v[91:92], v[97:98]
	v_fma_f64 v[95:96], v[89:90], v[125:126], -v[95:96]
	v_mul_f64 v[89:90], v[89:90], v[97:98]
	v_add_f64 v[121:122], v[121:122], -v[95:96]
	v_fma_f64 v[89:90], v[91:92], v[125:126], v[89:90]
	v_mov_b32_e32 v95, v125
	v_mov_b32_e32 v96, v126
	buffer_store_dword v95, off, s[24:27], 0 offset:176 ; 4-byte Folded Spill
	s_nop 0
	buffer_store_dword v96, off, s[24:27], 0 offset:180 ; 4-byte Folded Spill
	buffer_store_dword v97, off, s[24:27], 0 offset:184 ; 4-byte Folded Spill
	;; [unrolled: 1-line block ×3, first 2 shown]
	v_add_f64 v[123:124], v[123:124], -v[89:90]
.LBB110_440:
	s_or_b64 exec, exec, s[0:1]
	s_waitcnt vmcnt(0)
	s_barrier
	buffer_load_dword v73, off, s[24:27], 0 offset:160 ; 4-byte Folded Reload
	buffer_load_dword v74, off, s[24:27], 0 offset:164 ; 4-byte Folded Reload
	;; [unrolled: 1-line block ×4, first 2 shown]
	v_lshl_add_u32 v89, v93, 4, v0
	s_cmp_lt_i32 s3, 23
	s_waitcnt vmcnt(0)
	ds_write2_b64 v89, v[73:74], v[75:76] offset1:1
	s_waitcnt lgkmcnt(0)
	s_barrier
	ds_read2_b64 v[117:120], v0 offset0:42 offset1:43
	v_mov_b32_e32 v89, 21
	s_cbranch_scc1 .LBB110_443
; %bb.441:
	v_add_u32_e32 v90, 0x160, v0
	s_mov_b32 s0, 22
	v_mov_b32_e32 v89, 21
.LBB110_442:                            ; =>This Inner Loop Header: Depth=1
	s_waitcnt lgkmcnt(0)
	v_cmp_gt_f64_e32 vcc, 0, v[117:118]
	v_xor_b32_e32 v91, 0x80000000, v118
	ds_read2_b64 v[95:98], v90 offset1:1
	v_xor_b32_e32 v99, 0x80000000, v120
	v_add_u32_e32 v90, 16, v90
	s_waitcnt lgkmcnt(0)
	v_xor_b32_e32 v101, 0x80000000, v98
	v_cndmask_b32_e32 v92, v118, v91, vcc
	v_cmp_gt_f64_e32 vcc, 0, v[119:120]
	v_mov_b32_e32 v91, v117
	v_cndmask_b32_e32 v100, v120, v99, vcc
	v_cmp_gt_f64_e32 vcc, 0, v[95:96]
	v_mov_b32_e32 v99, v119
	v_add_f64 v[91:92], v[91:92], v[99:100]
	v_xor_b32_e32 v99, 0x80000000, v96
	v_cndmask_b32_e32 v100, v96, v99, vcc
	v_cmp_gt_f64_e32 vcc, 0, v[97:98]
	v_mov_b32_e32 v99, v95
	v_cndmask_b32_e32 v102, v98, v101, vcc
	v_mov_b32_e32 v101, v97
	v_add_f64 v[99:100], v[99:100], v[101:102]
	v_cmp_lt_f64_e32 vcc, v[91:92], v[99:100]
	v_mov_b32_e32 v91, s0
	s_add_i32 s0, s0, 1
	s_cmp_lg_u32 s3, s0
	v_cndmask_b32_e32 v118, v118, v96, vcc
	v_cndmask_b32_e32 v117, v117, v95, vcc
	;; [unrolled: 1-line block ×5, first 2 shown]
	s_cbranch_scc1 .LBB110_442
.LBB110_443:
	s_waitcnt lgkmcnt(0)
	v_cmp_eq_f64_e32 vcc, 0, v[117:118]
	v_cmp_eq_f64_e64 s[0:1], 0, v[119:120]
	s_and_b64 s[0:1], vcc, s[0:1]
	s_and_saveexec_b64 s[18:19], s[0:1]
	s_xor_b64 s[0:1], exec, s[18:19]
; %bb.444:
	v_cmp_ne_u32_e32 vcc, 0, v94
	v_cndmask_b32_e32 v94, 22, v94, vcc
; %bb.445:
	s_andn2_saveexec_b64 s[0:1], s[0:1]
	s_cbranch_execz .LBB110_451
; %bb.446:
	v_cmp_ngt_f64_e64 s[18:19], |v[117:118]|, |v[119:120]|
	s_and_saveexec_b64 s[20:21], s[18:19]
	s_xor_b64 s[18:19], exec, s[20:21]
	s_cbranch_execz .LBB110_448
; %bb.447:
	v_div_scale_f64 v[90:91], s[20:21], v[119:120], v[119:120], v[117:118]
	v_rcp_f64_e32 v[95:96], v[90:91]
	v_fma_f64 v[97:98], -v[90:91], v[95:96], 1.0
	v_fma_f64 v[95:96], v[95:96], v[97:98], v[95:96]
	v_div_scale_f64 v[97:98], vcc, v[117:118], v[119:120], v[117:118]
	v_fma_f64 v[99:100], -v[90:91], v[95:96], 1.0
	v_fma_f64 v[95:96], v[95:96], v[99:100], v[95:96]
	v_mul_f64 v[99:100], v[97:98], v[95:96]
	v_fma_f64 v[90:91], -v[90:91], v[99:100], v[97:98]
	v_div_fmas_f64 v[90:91], v[90:91], v[95:96], v[99:100]
	v_div_fixup_f64 v[90:91], v[90:91], v[119:120], v[117:118]
	v_fma_f64 v[95:96], v[117:118], v[90:91], v[119:120]
	v_div_scale_f64 v[97:98], s[20:21], v[95:96], v[95:96], 1.0
	v_div_scale_f64 v[103:104], vcc, 1.0, v[95:96], 1.0
	v_rcp_f64_e32 v[99:100], v[97:98]
	v_fma_f64 v[101:102], -v[97:98], v[99:100], 1.0
	v_fma_f64 v[99:100], v[99:100], v[101:102], v[99:100]
	v_fma_f64 v[101:102], -v[97:98], v[99:100], 1.0
	v_fma_f64 v[99:100], v[99:100], v[101:102], v[99:100]
	v_mul_f64 v[101:102], v[103:104], v[99:100]
	v_fma_f64 v[97:98], -v[97:98], v[101:102], v[103:104]
	v_div_fmas_f64 v[97:98], v[97:98], v[99:100], v[101:102]
	v_div_fixup_f64 v[119:120], v[97:98], v[95:96], 1.0
	v_mul_f64 v[117:118], v[90:91], v[119:120]
	v_xor_b32_e32 v120, 0x80000000, v120
.LBB110_448:
	s_andn2_saveexec_b64 s[18:19], s[18:19]
	s_cbranch_execz .LBB110_450
; %bb.449:
	v_div_scale_f64 v[90:91], s[20:21], v[117:118], v[117:118], v[119:120]
	v_rcp_f64_e32 v[95:96], v[90:91]
	v_fma_f64 v[97:98], -v[90:91], v[95:96], 1.0
	v_fma_f64 v[95:96], v[95:96], v[97:98], v[95:96]
	v_div_scale_f64 v[97:98], vcc, v[119:120], v[117:118], v[119:120]
	v_fma_f64 v[99:100], -v[90:91], v[95:96], 1.0
	v_fma_f64 v[95:96], v[95:96], v[99:100], v[95:96]
	v_mul_f64 v[99:100], v[97:98], v[95:96]
	v_fma_f64 v[90:91], -v[90:91], v[99:100], v[97:98]
	v_div_fmas_f64 v[90:91], v[90:91], v[95:96], v[99:100]
	v_div_fixup_f64 v[90:91], v[90:91], v[117:118], v[119:120]
	v_fma_f64 v[95:96], v[119:120], v[90:91], v[117:118]
	v_div_scale_f64 v[97:98], s[20:21], v[95:96], v[95:96], 1.0
	v_div_scale_f64 v[103:104], vcc, 1.0, v[95:96], 1.0
	v_rcp_f64_e32 v[99:100], v[97:98]
	v_fma_f64 v[101:102], -v[97:98], v[99:100], 1.0
	v_fma_f64 v[99:100], v[99:100], v[101:102], v[99:100]
	v_fma_f64 v[101:102], -v[97:98], v[99:100], 1.0
	v_fma_f64 v[99:100], v[99:100], v[101:102], v[99:100]
	v_mul_f64 v[101:102], v[103:104], v[99:100]
	v_fma_f64 v[97:98], -v[97:98], v[101:102], v[103:104]
	v_div_fmas_f64 v[97:98], v[97:98], v[99:100], v[101:102]
	v_div_fixup_f64 v[117:118], v[97:98], v[95:96], 1.0
	v_mul_f64 v[119:120], v[90:91], -v[117:118]
.LBB110_450:
	s_or_b64 exec, exec, s[18:19]
.LBB110_451:
	s_or_b64 exec, exec, s[0:1]
	v_cmp_ne_u32_e32 vcc, v93, v89
	s_and_saveexec_b64 s[0:1], vcc
	s_xor_b64 s[0:1], exec, s[0:1]
	s_cbranch_execz .LBB110_457
; %bb.452:
	v_cmp_eq_u32_e32 vcc, 21, v93
	s_and_saveexec_b64 s[18:19], vcc
	s_cbranch_execz .LBB110_456
; %bb.453:
	v_cmp_ne_u32_e32 vcc, 21, v89
	s_xor_b64 s[20:21], s[6:7], -1
	s_and_b64 s[22:23], s[20:21], vcc
	s_and_saveexec_b64 s[20:21], s[22:23]
	s_cbranch_execz .LBB110_455
; %bb.454:
	v_mov_b32_e32 v73, v81
	v_mov_b32_e32 v74, v82
	;; [unrolled: 1-line block ×4, first 2 shown]
	buffer_load_dword v81, off, s[24:27], 0 offset:448 ; 4-byte Folded Reload
	buffer_load_dword v82, off, s[24:27], 0 offset:452 ; 4-byte Folded Reload
	v_ashrrev_i32_e32 v90, 31, v89
	v_lshlrev_b64 v[90:91], 2, v[89:90]
	s_waitcnt vmcnt(1)
	v_add_co_u32_e32 v90, vcc, v81, v90
	s_waitcnt vmcnt(0)
	v_addc_co_u32_e32 v91, vcc, v82, v91, vcc
	global_load_dword v92, v[90:91], off
	global_load_dword v93, v[81:82], off offset:84
	s_waitcnt vmcnt(1)
	global_store_dword v[81:82], v92, off offset:84
	v_mov_b32_e32 v84, v76
	v_mov_b32_e32 v83, v75
	;; [unrolled: 1-line block ×4, first 2 shown]
	s_waitcnt vmcnt(1)
	global_store_dword v[90:91], v93, off
.LBB110_455:
	s_or_b64 exec, exec, s[20:21]
	v_mov_b32_e32 v93, v89
	v_mov_b32_e32 v127, v89
.LBB110_456:
	s_or_b64 exec, exec, s[18:19]
.LBB110_457:
	s_andn2_saveexec_b64 s[0:1], s[0:1]
	s_cbranch_execz .LBB110_459
; %bb.458:
	buffer_load_dword v73, off, s[24:27], 0 offset:144 ; 4-byte Folded Reload
	buffer_load_dword v74, off, s[24:27], 0 offset:148 ; 4-byte Folded Reload
	;; [unrolled: 1-line block ×4, first 2 shown]
	v_mov_b32_e32 v93, 21
	s_waitcnt vmcnt(0)
	ds_write2_b64 v0, v[73:74], v[75:76] offset0:44 offset1:45
	buffer_load_dword v73, off, s[24:27], 0 offset:128 ; 4-byte Folded Reload
	buffer_load_dword v74, off, s[24:27], 0 offset:132 ; 4-byte Folded Reload
	buffer_load_dword v75, off, s[24:27], 0 offset:136 ; 4-byte Folded Reload
	buffer_load_dword v76, off, s[24:27], 0 offset:140 ; 4-byte Folded Reload
	s_waitcnt vmcnt(0)
	ds_write2_b64 v0, v[73:74], v[75:76] offset0:46 offset1:47
	buffer_load_dword v73, off, s[24:27], 0 offset:112 ; 4-byte Folded Reload
	buffer_load_dword v74, off, s[24:27], 0 offset:116 ; 4-byte Folded Reload
	buffer_load_dword v75, off, s[24:27], 0 offset:120 ; 4-byte Folded Reload
	buffer_load_dword v76, off, s[24:27], 0 offset:124 ; 4-byte Folded Reload
	;; [unrolled: 6-line block ×8, first 2 shown]
	s_waitcnt vmcnt(0)
	ds_write2_b64 v0, v[73:74], v[75:76] offset0:60 offset1:61
	ds_write2_b64 v0, v[81:82], v[83:84] offset0:62 offset1:63
	ds_write2_b64 v0, v[85:86], v[87:88] offset0:64 offset1:65
	ds_write2_b64 v0, v[109:110], v[111:112] offset0:66 offset1:67
	ds_write2_b64 v0, v[113:114], v[115:116] offset0:68 offset1:69
	ds_write2_b64 v0, v[77:78], v[79:80] offset0:70 offset1:71
	buffer_load_dword v73, off, s[24:27], 0 ; 4-byte Folded Reload
	buffer_load_dword v74, off, s[24:27], 0 offset:4 ; 4-byte Folded Reload
	buffer_load_dword v75, off, s[24:27], 0 offset:8 ; 4-byte Folded Reload
	;; [unrolled: 1-line block ×3, first 2 shown]
	s_waitcnt vmcnt(0)
	ds_write2_b64 v0, v[73:74], v[75:76] offset0:72 offset1:73
	ds_write2_b64 v0, v[69:70], v[71:72] offset0:74 offset1:75
	;; [unrolled: 1-line block ×20, first 2 shown]
.LBB110_459:
	s_or_b64 exec, exec, s[0:1]
	v_cmp_lt_i32_e32 vcc, 21, v93
	s_waitcnt vmcnt(0) lgkmcnt(0)
	s_barrier
	s_and_saveexec_b64 s[0:1], vcc
	s_cbranch_execz .LBB110_461
; %bb.460:
	buffer_load_dword v95, off, s[24:27], 0 offset:160 ; 4-byte Folded Reload
	buffer_load_dword v96, off, s[24:27], 0 offset:164 ; 4-byte Folded Reload
	;; [unrolled: 1-line block ×4, first 2 shown]
	s_waitcnt vmcnt(0)
	v_mul_f64 v[89:90], v[119:120], v[97:98]
	v_fma_f64 v[125:126], v[117:118], v[95:96], -v[89:90]
	v_mul_f64 v[89:90], v[117:118], v[97:98]
	v_fma_f64 v[97:98], v[119:120], v[95:96], v[89:90]
	ds_read2_b64 v[89:92], v0 offset0:44 offset1:45
	buffer_load_dword v73, off, s[24:27], 0 offset:144 ; 4-byte Folded Reload
	buffer_load_dword v74, off, s[24:27], 0 offset:148 ; 4-byte Folded Reload
	buffer_load_dword v75, off, s[24:27], 0 offset:152 ; 4-byte Folded Reload
	buffer_load_dword v76, off, s[24:27], 0 offset:156 ; 4-byte Folded Reload
	s_waitcnt lgkmcnt(0)
	v_mul_f64 v[95:96], v[91:92], v[97:98]
	v_fma_f64 v[95:96], v[89:90], v[125:126], -v[95:96]
	v_mul_f64 v[89:90], v[89:90], v[97:98]
	v_fma_f64 v[89:90], v[91:92], v[125:126], v[89:90]
	s_waitcnt vmcnt(2)
	v_add_f64 v[73:74], v[73:74], -v[95:96]
	s_waitcnt vmcnt(0)
	v_add_f64 v[75:76], v[75:76], -v[89:90]
	buffer_store_dword v73, off, s[24:27], 0 offset:144 ; 4-byte Folded Spill
	s_nop 0
	buffer_store_dword v74, off, s[24:27], 0 offset:148 ; 4-byte Folded Spill
	buffer_store_dword v75, off, s[24:27], 0 offset:152 ; 4-byte Folded Spill
	buffer_store_dword v76, off, s[24:27], 0 offset:156 ; 4-byte Folded Spill
	ds_read2_b64 v[89:92], v0 offset0:46 offset1:47
	buffer_load_dword v73, off, s[24:27], 0 offset:128 ; 4-byte Folded Reload
	buffer_load_dword v74, off, s[24:27], 0 offset:132 ; 4-byte Folded Reload
	buffer_load_dword v75, off, s[24:27], 0 offset:136 ; 4-byte Folded Reload
	buffer_load_dword v76, off, s[24:27], 0 offset:140 ; 4-byte Folded Reload
	s_waitcnt lgkmcnt(0)
	v_mul_f64 v[95:96], v[91:92], v[97:98]
	v_fma_f64 v[95:96], v[89:90], v[125:126], -v[95:96]
	v_mul_f64 v[89:90], v[89:90], v[97:98]
	v_fma_f64 v[89:90], v[91:92], v[125:126], v[89:90]
	s_waitcnt vmcnt(2)
	v_add_f64 v[73:74], v[73:74], -v[95:96]
	s_waitcnt vmcnt(0)
	v_add_f64 v[75:76], v[75:76], -v[89:90]
	buffer_store_dword v73, off, s[24:27], 0 offset:128 ; 4-byte Folded Spill
	s_nop 0
	buffer_store_dword v74, off, s[24:27], 0 offset:132 ; 4-byte Folded Spill
	buffer_store_dword v75, off, s[24:27], 0 offset:136 ; 4-byte Folded Spill
	buffer_store_dword v76, off, s[24:27], 0 offset:140 ; 4-byte Folded Spill
	;; [unrolled: 19-line block ×9, first 2 shown]
	ds_read2_b64 v[89:92], v0 offset0:62 offset1:63
	s_waitcnt lgkmcnt(0)
	v_mul_f64 v[95:96], v[91:92], v[97:98]
	v_fma_f64 v[95:96], v[89:90], v[125:126], -v[95:96]
	v_mul_f64 v[89:90], v[89:90], v[97:98]
	v_add_f64 v[81:82], v[81:82], -v[95:96]
	v_fma_f64 v[89:90], v[91:92], v[125:126], v[89:90]
	v_add_f64 v[83:84], v[83:84], -v[89:90]
	ds_read2_b64 v[89:92], v0 offset0:64 offset1:65
	s_waitcnt lgkmcnt(0)
	v_mul_f64 v[95:96], v[91:92], v[97:98]
	v_fma_f64 v[95:96], v[89:90], v[125:126], -v[95:96]
	v_mul_f64 v[89:90], v[89:90], v[97:98]
	v_add_f64 v[85:86], v[85:86], -v[95:96]
	v_fma_f64 v[89:90], v[91:92], v[125:126], v[89:90]
	v_add_f64 v[87:88], v[87:88], -v[89:90]
	;; [unrolled: 8-line block ×5, first 2 shown]
	ds_read2_b64 v[89:92], v0 offset0:72 offset1:73
	buffer_load_dword v73, off, s[24:27], 0 ; 4-byte Folded Reload
	buffer_load_dword v74, off, s[24:27], 0 offset:4 ; 4-byte Folded Reload
	buffer_load_dword v75, off, s[24:27], 0 offset:8 ; 4-byte Folded Reload
	;; [unrolled: 1-line block ×3, first 2 shown]
	s_waitcnt lgkmcnt(0)
	v_mul_f64 v[95:96], v[91:92], v[97:98]
	v_fma_f64 v[95:96], v[89:90], v[125:126], -v[95:96]
	v_mul_f64 v[89:90], v[89:90], v[97:98]
	v_fma_f64 v[89:90], v[91:92], v[125:126], v[89:90]
	s_waitcnt vmcnt(2)
	v_add_f64 v[73:74], v[73:74], -v[95:96]
	s_waitcnt vmcnt(0)
	v_add_f64 v[75:76], v[75:76], -v[89:90]
	buffer_store_dword v73, off, s[24:27], 0 ; 4-byte Folded Spill
	s_nop 0
	buffer_store_dword v74, off, s[24:27], 0 offset:4 ; 4-byte Folded Spill
	buffer_store_dword v75, off, s[24:27], 0 offset:8 ; 4-byte Folded Spill
	;; [unrolled: 1-line block ×3, first 2 shown]
	ds_read2_b64 v[89:92], v0 offset0:74 offset1:75
	s_waitcnt lgkmcnt(0)
	v_mul_f64 v[95:96], v[91:92], v[97:98]
	v_fma_f64 v[95:96], v[89:90], v[125:126], -v[95:96]
	v_mul_f64 v[89:90], v[89:90], v[97:98]
	v_add_f64 v[69:70], v[69:70], -v[95:96]
	v_fma_f64 v[89:90], v[91:92], v[125:126], v[89:90]
	v_add_f64 v[71:72], v[71:72], -v[89:90]
	ds_read2_b64 v[89:92], v0 offset0:76 offset1:77
	s_waitcnt lgkmcnt(0)
	v_mul_f64 v[95:96], v[91:92], v[97:98]
	v_fma_f64 v[95:96], v[89:90], v[125:126], -v[95:96]
	v_mul_f64 v[89:90], v[89:90], v[97:98]
	v_add_f64 v[65:66], v[65:66], -v[95:96]
	v_fma_f64 v[89:90], v[91:92], v[125:126], v[89:90]
	v_add_f64 v[67:68], v[67:68], -v[89:90]
	;; [unrolled: 8-line block ×18, first 2 shown]
	ds_read2_b64 v[89:92], v0 offset0:110 offset1:111
	s_waitcnt lgkmcnt(0)
	v_mul_f64 v[95:96], v[91:92], v[97:98]
	v_fma_f64 v[95:96], v[89:90], v[125:126], -v[95:96]
	v_mul_f64 v[89:90], v[89:90], v[97:98]
	v_add_f64 v[121:122], v[121:122], -v[95:96]
	v_fma_f64 v[89:90], v[91:92], v[125:126], v[89:90]
	v_mov_b32_e32 v95, v125
	v_mov_b32_e32 v96, v126
	buffer_store_dword v95, off, s[24:27], 0 offset:160 ; 4-byte Folded Spill
	s_nop 0
	buffer_store_dword v96, off, s[24:27], 0 offset:164 ; 4-byte Folded Spill
	buffer_store_dword v97, off, s[24:27], 0 offset:168 ; 4-byte Folded Spill
	buffer_store_dword v98, off, s[24:27], 0 offset:172 ; 4-byte Folded Spill
	v_add_f64 v[123:124], v[123:124], -v[89:90]
.LBB110_461:
	s_or_b64 exec, exec, s[0:1]
	s_waitcnt vmcnt(0)
	s_barrier
	buffer_load_dword v73, off, s[24:27], 0 offset:144 ; 4-byte Folded Reload
	buffer_load_dword v74, off, s[24:27], 0 offset:148 ; 4-byte Folded Reload
	buffer_load_dword v75, off, s[24:27], 0 offset:152 ; 4-byte Folded Reload
	buffer_load_dword v76, off, s[24:27], 0 offset:156 ; 4-byte Folded Reload
	v_lshl_add_u32 v89, v93, 4, v0
	s_cmp_lt_i32 s3, 24
	s_waitcnt vmcnt(0)
	ds_write2_b64 v89, v[73:74], v[75:76] offset1:1
	s_waitcnt lgkmcnt(0)
	s_barrier
	ds_read2_b64 v[117:120], v0 offset0:44 offset1:45
	v_mov_b32_e32 v89, 22
	s_cbranch_scc1 .LBB110_464
; %bb.462:
	v_add_u32_e32 v90, 0x170, v0
	s_mov_b32 s0, 23
	v_mov_b32_e32 v89, 22
.LBB110_463:                            ; =>This Inner Loop Header: Depth=1
	s_waitcnt lgkmcnt(0)
	v_cmp_gt_f64_e32 vcc, 0, v[117:118]
	v_xor_b32_e32 v91, 0x80000000, v118
	ds_read2_b64 v[95:98], v90 offset1:1
	v_xor_b32_e32 v99, 0x80000000, v120
	v_add_u32_e32 v90, 16, v90
	s_waitcnt lgkmcnt(0)
	v_xor_b32_e32 v101, 0x80000000, v98
	v_cndmask_b32_e32 v92, v118, v91, vcc
	v_cmp_gt_f64_e32 vcc, 0, v[119:120]
	v_mov_b32_e32 v91, v117
	v_cndmask_b32_e32 v100, v120, v99, vcc
	v_cmp_gt_f64_e32 vcc, 0, v[95:96]
	v_mov_b32_e32 v99, v119
	v_add_f64 v[91:92], v[91:92], v[99:100]
	v_xor_b32_e32 v99, 0x80000000, v96
	v_cndmask_b32_e32 v100, v96, v99, vcc
	v_cmp_gt_f64_e32 vcc, 0, v[97:98]
	v_mov_b32_e32 v99, v95
	v_cndmask_b32_e32 v102, v98, v101, vcc
	v_mov_b32_e32 v101, v97
	v_add_f64 v[99:100], v[99:100], v[101:102]
	v_cmp_lt_f64_e32 vcc, v[91:92], v[99:100]
	v_mov_b32_e32 v91, s0
	s_add_i32 s0, s0, 1
	s_cmp_lg_u32 s3, s0
	v_cndmask_b32_e32 v118, v118, v96, vcc
	v_cndmask_b32_e32 v117, v117, v95, vcc
	;; [unrolled: 1-line block ×5, first 2 shown]
	s_cbranch_scc1 .LBB110_463
.LBB110_464:
	s_waitcnt lgkmcnt(0)
	v_cmp_eq_f64_e32 vcc, 0, v[117:118]
	v_cmp_eq_f64_e64 s[0:1], 0, v[119:120]
	s_and_b64 s[0:1], vcc, s[0:1]
	s_and_saveexec_b64 s[18:19], s[0:1]
	s_xor_b64 s[0:1], exec, s[18:19]
; %bb.465:
	v_cmp_ne_u32_e32 vcc, 0, v94
	v_cndmask_b32_e32 v94, 23, v94, vcc
; %bb.466:
	s_andn2_saveexec_b64 s[0:1], s[0:1]
	s_cbranch_execz .LBB110_472
; %bb.467:
	v_cmp_ngt_f64_e64 s[18:19], |v[117:118]|, |v[119:120]|
	s_and_saveexec_b64 s[20:21], s[18:19]
	s_xor_b64 s[18:19], exec, s[20:21]
	s_cbranch_execz .LBB110_469
; %bb.468:
	v_div_scale_f64 v[90:91], s[20:21], v[119:120], v[119:120], v[117:118]
	v_rcp_f64_e32 v[95:96], v[90:91]
	v_fma_f64 v[97:98], -v[90:91], v[95:96], 1.0
	v_fma_f64 v[95:96], v[95:96], v[97:98], v[95:96]
	v_div_scale_f64 v[97:98], vcc, v[117:118], v[119:120], v[117:118]
	v_fma_f64 v[99:100], -v[90:91], v[95:96], 1.0
	v_fma_f64 v[95:96], v[95:96], v[99:100], v[95:96]
	v_mul_f64 v[99:100], v[97:98], v[95:96]
	v_fma_f64 v[90:91], -v[90:91], v[99:100], v[97:98]
	v_div_fmas_f64 v[90:91], v[90:91], v[95:96], v[99:100]
	v_div_fixup_f64 v[90:91], v[90:91], v[119:120], v[117:118]
	v_fma_f64 v[95:96], v[117:118], v[90:91], v[119:120]
	v_div_scale_f64 v[97:98], s[20:21], v[95:96], v[95:96], 1.0
	v_div_scale_f64 v[103:104], vcc, 1.0, v[95:96], 1.0
	v_rcp_f64_e32 v[99:100], v[97:98]
	v_fma_f64 v[101:102], -v[97:98], v[99:100], 1.0
	v_fma_f64 v[99:100], v[99:100], v[101:102], v[99:100]
	v_fma_f64 v[101:102], -v[97:98], v[99:100], 1.0
	v_fma_f64 v[99:100], v[99:100], v[101:102], v[99:100]
	v_mul_f64 v[101:102], v[103:104], v[99:100]
	v_fma_f64 v[97:98], -v[97:98], v[101:102], v[103:104]
	v_div_fmas_f64 v[97:98], v[97:98], v[99:100], v[101:102]
	v_div_fixup_f64 v[119:120], v[97:98], v[95:96], 1.0
	v_mul_f64 v[117:118], v[90:91], v[119:120]
	v_xor_b32_e32 v120, 0x80000000, v120
.LBB110_469:
	s_andn2_saveexec_b64 s[18:19], s[18:19]
	s_cbranch_execz .LBB110_471
; %bb.470:
	v_div_scale_f64 v[90:91], s[20:21], v[117:118], v[117:118], v[119:120]
	v_rcp_f64_e32 v[95:96], v[90:91]
	v_fma_f64 v[97:98], -v[90:91], v[95:96], 1.0
	v_fma_f64 v[95:96], v[95:96], v[97:98], v[95:96]
	v_div_scale_f64 v[97:98], vcc, v[119:120], v[117:118], v[119:120]
	v_fma_f64 v[99:100], -v[90:91], v[95:96], 1.0
	v_fma_f64 v[95:96], v[95:96], v[99:100], v[95:96]
	v_mul_f64 v[99:100], v[97:98], v[95:96]
	v_fma_f64 v[90:91], -v[90:91], v[99:100], v[97:98]
	v_div_fmas_f64 v[90:91], v[90:91], v[95:96], v[99:100]
	v_div_fixup_f64 v[90:91], v[90:91], v[117:118], v[119:120]
	v_fma_f64 v[95:96], v[119:120], v[90:91], v[117:118]
	v_div_scale_f64 v[97:98], s[20:21], v[95:96], v[95:96], 1.0
	v_div_scale_f64 v[103:104], vcc, 1.0, v[95:96], 1.0
	v_rcp_f64_e32 v[99:100], v[97:98]
	v_fma_f64 v[101:102], -v[97:98], v[99:100], 1.0
	v_fma_f64 v[99:100], v[99:100], v[101:102], v[99:100]
	v_fma_f64 v[101:102], -v[97:98], v[99:100], 1.0
	v_fma_f64 v[99:100], v[99:100], v[101:102], v[99:100]
	v_mul_f64 v[101:102], v[103:104], v[99:100]
	v_fma_f64 v[97:98], -v[97:98], v[101:102], v[103:104]
	v_div_fmas_f64 v[97:98], v[97:98], v[99:100], v[101:102]
	v_div_fixup_f64 v[117:118], v[97:98], v[95:96], 1.0
	v_mul_f64 v[119:120], v[90:91], -v[117:118]
.LBB110_471:
	s_or_b64 exec, exec, s[18:19]
.LBB110_472:
	s_or_b64 exec, exec, s[0:1]
	v_cmp_ne_u32_e32 vcc, v93, v89
	s_and_saveexec_b64 s[0:1], vcc
	s_xor_b64 s[0:1], exec, s[0:1]
	s_cbranch_execz .LBB110_478
; %bb.473:
	v_cmp_eq_u32_e32 vcc, 22, v93
	s_and_saveexec_b64 s[18:19], vcc
	s_cbranch_execz .LBB110_477
; %bb.474:
	v_cmp_ne_u32_e32 vcc, 22, v89
	s_xor_b64 s[20:21], s[6:7], -1
	s_and_b64 s[22:23], s[20:21], vcc
	s_and_saveexec_b64 s[20:21], s[22:23]
	s_cbranch_execz .LBB110_476
; %bb.475:
	v_mov_b32_e32 v73, v81
	v_mov_b32_e32 v74, v82
	;; [unrolled: 1-line block ×4, first 2 shown]
	buffer_load_dword v81, off, s[24:27], 0 offset:448 ; 4-byte Folded Reload
	buffer_load_dword v82, off, s[24:27], 0 offset:452 ; 4-byte Folded Reload
	v_ashrrev_i32_e32 v90, 31, v89
	v_lshlrev_b64 v[90:91], 2, v[89:90]
	s_waitcnt vmcnt(1)
	v_add_co_u32_e32 v90, vcc, v81, v90
	s_waitcnt vmcnt(0)
	v_addc_co_u32_e32 v91, vcc, v82, v91, vcc
	global_load_dword v92, v[90:91], off
	global_load_dword v93, v[81:82], off offset:88
	s_waitcnt vmcnt(1)
	global_store_dword v[81:82], v92, off offset:88
	v_mov_b32_e32 v84, v76
	v_mov_b32_e32 v83, v75
	;; [unrolled: 1-line block ×4, first 2 shown]
	s_waitcnt vmcnt(1)
	global_store_dword v[90:91], v93, off
.LBB110_476:
	s_or_b64 exec, exec, s[20:21]
	v_mov_b32_e32 v93, v89
	v_mov_b32_e32 v127, v89
.LBB110_477:
	s_or_b64 exec, exec, s[18:19]
.LBB110_478:
	s_andn2_saveexec_b64 s[0:1], s[0:1]
	s_cbranch_execz .LBB110_480
; %bb.479:
	buffer_load_dword v73, off, s[24:27], 0 offset:128 ; 4-byte Folded Reload
	buffer_load_dword v74, off, s[24:27], 0 offset:132 ; 4-byte Folded Reload
	;; [unrolled: 1-line block ×4, first 2 shown]
	v_mov_b32_e32 v93, 22
	s_waitcnt vmcnt(0)
	ds_write2_b64 v0, v[73:74], v[75:76] offset0:46 offset1:47
	buffer_load_dword v73, off, s[24:27], 0 offset:112 ; 4-byte Folded Reload
	buffer_load_dword v74, off, s[24:27], 0 offset:116 ; 4-byte Folded Reload
	buffer_load_dword v75, off, s[24:27], 0 offset:120 ; 4-byte Folded Reload
	buffer_load_dword v76, off, s[24:27], 0 offset:124 ; 4-byte Folded Reload
	s_waitcnt vmcnt(0)
	ds_write2_b64 v0, v[73:74], v[75:76] offset0:48 offset1:49
	buffer_load_dword v73, off, s[24:27], 0 offset:96 ; 4-byte Folded Reload
	buffer_load_dword v74, off, s[24:27], 0 offset:100 ; 4-byte Folded Reload
	buffer_load_dword v75, off, s[24:27], 0 offset:104 ; 4-byte Folded Reload
	buffer_load_dword v76, off, s[24:27], 0 offset:108 ; 4-byte Folded Reload
	;; [unrolled: 6-line block ×7, first 2 shown]
	s_waitcnt vmcnt(0)
	ds_write2_b64 v0, v[73:74], v[75:76] offset0:60 offset1:61
	ds_write2_b64 v0, v[81:82], v[83:84] offset0:62 offset1:63
	;; [unrolled: 1-line block ×6, first 2 shown]
	buffer_load_dword v73, off, s[24:27], 0 ; 4-byte Folded Reload
	buffer_load_dword v74, off, s[24:27], 0 offset:4 ; 4-byte Folded Reload
	buffer_load_dword v75, off, s[24:27], 0 offset:8 ; 4-byte Folded Reload
	buffer_load_dword v76, off, s[24:27], 0 offset:12 ; 4-byte Folded Reload
	s_waitcnt vmcnt(0)
	ds_write2_b64 v0, v[73:74], v[75:76] offset0:72 offset1:73
	ds_write2_b64 v0, v[69:70], v[71:72] offset0:74 offset1:75
	;; [unrolled: 1-line block ×20, first 2 shown]
.LBB110_480:
	s_or_b64 exec, exec, s[0:1]
	v_cmp_lt_i32_e32 vcc, 22, v93
	s_waitcnt vmcnt(0) lgkmcnt(0)
	s_barrier
	s_and_saveexec_b64 s[0:1], vcc
	s_cbranch_execz .LBB110_482
; %bb.481:
	buffer_load_dword v95, off, s[24:27], 0 offset:144 ; 4-byte Folded Reload
	buffer_load_dword v96, off, s[24:27], 0 offset:148 ; 4-byte Folded Reload
	;; [unrolled: 1-line block ×4, first 2 shown]
	s_waitcnt vmcnt(0)
	v_mul_f64 v[89:90], v[119:120], v[97:98]
	v_fma_f64 v[125:126], v[117:118], v[95:96], -v[89:90]
	v_mul_f64 v[89:90], v[117:118], v[97:98]
	v_fma_f64 v[97:98], v[119:120], v[95:96], v[89:90]
	ds_read2_b64 v[89:92], v0 offset0:46 offset1:47
	buffer_load_dword v73, off, s[24:27], 0 offset:128 ; 4-byte Folded Reload
	buffer_load_dword v74, off, s[24:27], 0 offset:132 ; 4-byte Folded Reload
	buffer_load_dword v75, off, s[24:27], 0 offset:136 ; 4-byte Folded Reload
	buffer_load_dword v76, off, s[24:27], 0 offset:140 ; 4-byte Folded Reload
	s_waitcnt lgkmcnt(0)
	v_mul_f64 v[95:96], v[91:92], v[97:98]
	v_fma_f64 v[95:96], v[89:90], v[125:126], -v[95:96]
	v_mul_f64 v[89:90], v[89:90], v[97:98]
	v_fma_f64 v[89:90], v[91:92], v[125:126], v[89:90]
	s_waitcnt vmcnt(2)
	v_add_f64 v[73:74], v[73:74], -v[95:96]
	s_waitcnt vmcnt(0)
	v_add_f64 v[75:76], v[75:76], -v[89:90]
	buffer_store_dword v73, off, s[24:27], 0 offset:128 ; 4-byte Folded Spill
	s_nop 0
	buffer_store_dword v74, off, s[24:27], 0 offset:132 ; 4-byte Folded Spill
	buffer_store_dword v75, off, s[24:27], 0 offset:136 ; 4-byte Folded Spill
	buffer_store_dword v76, off, s[24:27], 0 offset:140 ; 4-byte Folded Spill
	ds_read2_b64 v[89:92], v0 offset0:48 offset1:49
	buffer_load_dword v73, off, s[24:27], 0 offset:112 ; 4-byte Folded Reload
	buffer_load_dword v74, off, s[24:27], 0 offset:116 ; 4-byte Folded Reload
	buffer_load_dword v75, off, s[24:27], 0 offset:120 ; 4-byte Folded Reload
	buffer_load_dword v76, off, s[24:27], 0 offset:124 ; 4-byte Folded Reload
	s_waitcnt lgkmcnt(0)
	v_mul_f64 v[95:96], v[91:92], v[97:98]
	v_fma_f64 v[95:96], v[89:90], v[125:126], -v[95:96]
	v_mul_f64 v[89:90], v[89:90], v[97:98]
	v_fma_f64 v[89:90], v[91:92], v[125:126], v[89:90]
	s_waitcnt vmcnt(2)
	v_add_f64 v[73:74], v[73:74], -v[95:96]
	s_waitcnt vmcnt(0)
	v_add_f64 v[75:76], v[75:76], -v[89:90]
	buffer_store_dword v73, off, s[24:27], 0 offset:112 ; 4-byte Folded Spill
	s_nop 0
	buffer_store_dword v74, off, s[24:27], 0 offset:116 ; 4-byte Folded Spill
	buffer_store_dword v75, off, s[24:27], 0 offset:120 ; 4-byte Folded Spill
	buffer_store_dword v76, off, s[24:27], 0 offset:124 ; 4-byte Folded Spill
	;; [unrolled: 19-line block ×8, first 2 shown]
	ds_read2_b64 v[89:92], v0 offset0:62 offset1:63
	s_waitcnt lgkmcnt(0)
	v_mul_f64 v[95:96], v[91:92], v[97:98]
	v_fma_f64 v[95:96], v[89:90], v[125:126], -v[95:96]
	v_mul_f64 v[89:90], v[89:90], v[97:98]
	v_add_f64 v[81:82], v[81:82], -v[95:96]
	v_fma_f64 v[89:90], v[91:92], v[125:126], v[89:90]
	v_add_f64 v[83:84], v[83:84], -v[89:90]
	ds_read2_b64 v[89:92], v0 offset0:64 offset1:65
	s_waitcnt lgkmcnt(0)
	v_mul_f64 v[95:96], v[91:92], v[97:98]
	v_fma_f64 v[95:96], v[89:90], v[125:126], -v[95:96]
	v_mul_f64 v[89:90], v[89:90], v[97:98]
	v_add_f64 v[85:86], v[85:86], -v[95:96]
	v_fma_f64 v[89:90], v[91:92], v[125:126], v[89:90]
	v_add_f64 v[87:88], v[87:88], -v[89:90]
	ds_read2_b64 v[89:92], v0 offset0:66 offset1:67
	s_waitcnt lgkmcnt(0)
	v_mul_f64 v[95:96], v[91:92], v[97:98]
	v_fma_f64 v[95:96], v[89:90], v[125:126], -v[95:96]
	v_mul_f64 v[89:90], v[89:90], v[97:98]
	v_add_f64 v[109:110], v[109:110], -v[95:96]
	v_fma_f64 v[89:90], v[91:92], v[125:126], v[89:90]
	v_add_f64 v[111:112], v[111:112], -v[89:90]
	ds_read2_b64 v[89:92], v0 offset0:68 offset1:69
	s_waitcnt lgkmcnt(0)
	v_mul_f64 v[95:96], v[91:92], v[97:98]
	v_fma_f64 v[95:96], v[89:90], v[125:126], -v[95:96]
	v_mul_f64 v[89:90], v[89:90], v[97:98]
	v_add_f64 v[113:114], v[113:114], -v[95:96]
	v_fma_f64 v[89:90], v[91:92], v[125:126], v[89:90]
	v_add_f64 v[115:116], v[115:116], -v[89:90]
	ds_read2_b64 v[89:92], v0 offset0:70 offset1:71
	s_waitcnt lgkmcnt(0)
	v_mul_f64 v[95:96], v[91:92], v[97:98]
	v_fma_f64 v[95:96], v[89:90], v[125:126], -v[95:96]
	v_mul_f64 v[89:90], v[89:90], v[97:98]
	v_add_f64 v[77:78], v[77:78], -v[95:96]
	v_fma_f64 v[89:90], v[91:92], v[125:126], v[89:90]
	v_add_f64 v[79:80], v[79:80], -v[89:90]
	ds_read2_b64 v[89:92], v0 offset0:72 offset1:73
	buffer_load_dword v73, off, s[24:27], 0 ; 4-byte Folded Reload
	buffer_load_dword v74, off, s[24:27], 0 offset:4 ; 4-byte Folded Reload
	buffer_load_dword v75, off, s[24:27], 0 offset:8 ; 4-byte Folded Reload
	;; [unrolled: 1-line block ×3, first 2 shown]
	s_waitcnt lgkmcnt(0)
	v_mul_f64 v[95:96], v[91:92], v[97:98]
	v_fma_f64 v[95:96], v[89:90], v[125:126], -v[95:96]
	v_mul_f64 v[89:90], v[89:90], v[97:98]
	v_fma_f64 v[89:90], v[91:92], v[125:126], v[89:90]
	s_waitcnt vmcnt(2)
	v_add_f64 v[73:74], v[73:74], -v[95:96]
	s_waitcnt vmcnt(0)
	v_add_f64 v[75:76], v[75:76], -v[89:90]
	buffer_store_dword v73, off, s[24:27], 0 ; 4-byte Folded Spill
	s_nop 0
	buffer_store_dword v74, off, s[24:27], 0 offset:4 ; 4-byte Folded Spill
	buffer_store_dword v75, off, s[24:27], 0 offset:8 ; 4-byte Folded Spill
	;; [unrolled: 1-line block ×3, first 2 shown]
	ds_read2_b64 v[89:92], v0 offset0:74 offset1:75
	s_waitcnt lgkmcnt(0)
	v_mul_f64 v[95:96], v[91:92], v[97:98]
	v_fma_f64 v[95:96], v[89:90], v[125:126], -v[95:96]
	v_mul_f64 v[89:90], v[89:90], v[97:98]
	v_add_f64 v[69:70], v[69:70], -v[95:96]
	v_fma_f64 v[89:90], v[91:92], v[125:126], v[89:90]
	v_add_f64 v[71:72], v[71:72], -v[89:90]
	ds_read2_b64 v[89:92], v0 offset0:76 offset1:77
	s_waitcnt lgkmcnt(0)
	v_mul_f64 v[95:96], v[91:92], v[97:98]
	v_fma_f64 v[95:96], v[89:90], v[125:126], -v[95:96]
	v_mul_f64 v[89:90], v[89:90], v[97:98]
	v_add_f64 v[65:66], v[65:66], -v[95:96]
	v_fma_f64 v[89:90], v[91:92], v[125:126], v[89:90]
	v_add_f64 v[67:68], v[67:68], -v[89:90]
	ds_read2_b64 v[89:92], v0 offset0:78 offset1:79
	s_waitcnt lgkmcnt(0)
	v_mul_f64 v[95:96], v[91:92], v[97:98]
	v_fma_f64 v[95:96], v[89:90], v[125:126], -v[95:96]
	v_mul_f64 v[89:90], v[89:90], v[97:98]
	v_add_f64 v[61:62], v[61:62], -v[95:96]
	v_fma_f64 v[89:90], v[91:92], v[125:126], v[89:90]
	v_add_f64 v[63:64], v[63:64], -v[89:90]
	ds_read2_b64 v[89:92], v0 offset0:80 offset1:81
	s_waitcnt lgkmcnt(0)
	v_mul_f64 v[95:96], v[91:92], v[97:98]
	v_fma_f64 v[95:96], v[89:90], v[125:126], -v[95:96]
	v_mul_f64 v[89:90], v[89:90], v[97:98]
	v_add_f64 v[57:58], v[57:58], -v[95:96]
	v_fma_f64 v[89:90], v[91:92], v[125:126], v[89:90]
	v_add_f64 v[59:60], v[59:60], -v[89:90]
	ds_read2_b64 v[89:92], v0 offset0:82 offset1:83
	s_waitcnt lgkmcnt(0)
	v_mul_f64 v[95:96], v[91:92], v[97:98]
	v_fma_f64 v[95:96], v[89:90], v[125:126], -v[95:96]
	v_mul_f64 v[89:90], v[89:90], v[97:98]
	v_add_f64 v[53:54], v[53:54], -v[95:96]
	v_fma_f64 v[89:90], v[91:92], v[125:126], v[89:90]
	v_add_f64 v[55:56], v[55:56], -v[89:90]
	ds_read2_b64 v[89:92], v0 offset0:84 offset1:85
	s_waitcnt lgkmcnt(0)
	v_mul_f64 v[95:96], v[91:92], v[97:98]
	v_fma_f64 v[95:96], v[89:90], v[125:126], -v[95:96]
	v_mul_f64 v[89:90], v[89:90], v[97:98]
	v_add_f64 v[49:50], v[49:50], -v[95:96]
	v_fma_f64 v[89:90], v[91:92], v[125:126], v[89:90]
	v_add_f64 v[51:52], v[51:52], -v[89:90]
	ds_read2_b64 v[89:92], v0 offset0:86 offset1:87
	s_waitcnt lgkmcnt(0)
	v_mul_f64 v[95:96], v[91:92], v[97:98]
	v_fma_f64 v[95:96], v[89:90], v[125:126], -v[95:96]
	v_mul_f64 v[89:90], v[89:90], v[97:98]
	v_add_f64 v[45:46], v[45:46], -v[95:96]
	v_fma_f64 v[89:90], v[91:92], v[125:126], v[89:90]
	v_add_f64 v[47:48], v[47:48], -v[89:90]
	ds_read2_b64 v[89:92], v0 offset0:88 offset1:89
	s_waitcnt lgkmcnt(0)
	v_mul_f64 v[95:96], v[91:92], v[97:98]
	v_fma_f64 v[95:96], v[89:90], v[125:126], -v[95:96]
	v_mul_f64 v[89:90], v[89:90], v[97:98]
	v_add_f64 v[41:42], v[41:42], -v[95:96]
	v_fma_f64 v[89:90], v[91:92], v[125:126], v[89:90]
	v_add_f64 v[43:44], v[43:44], -v[89:90]
	ds_read2_b64 v[89:92], v0 offset0:90 offset1:91
	s_waitcnt lgkmcnt(0)
	v_mul_f64 v[95:96], v[91:92], v[97:98]
	v_fma_f64 v[95:96], v[89:90], v[125:126], -v[95:96]
	v_mul_f64 v[89:90], v[89:90], v[97:98]
	v_add_f64 v[37:38], v[37:38], -v[95:96]
	v_fma_f64 v[89:90], v[91:92], v[125:126], v[89:90]
	v_add_f64 v[39:40], v[39:40], -v[89:90]
	ds_read2_b64 v[89:92], v0 offset0:92 offset1:93
	s_waitcnt lgkmcnt(0)
	v_mul_f64 v[95:96], v[91:92], v[97:98]
	v_fma_f64 v[95:96], v[89:90], v[125:126], -v[95:96]
	v_mul_f64 v[89:90], v[89:90], v[97:98]
	v_add_f64 v[33:34], v[33:34], -v[95:96]
	v_fma_f64 v[89:90], v[91:92], v[125:126], v[89:90]
	v_add_f64 v[35:36], v[35:36], -v[89:90]
	ds_read2_b64 v[89:92], v0 offset0:94 offset1:95
	s_waitcnt lgkmcnt(0)
	v_mul_f64 v[95:96], v[91:92], v[97:98]
	v_fma_f64 v[95:96], v[89:90], v[125:126], -v[95:96]
	v_mul_f64 v[89:90], v[89:90], v[97:98]
	v_add_f64 v[29:30], v[29:30], -v[95:96]
	v_fma_f64 v[89:90], v[91:92], v[125:126], v[89:90]
	v_add_f64 v[31:32], v[31:32], -v[89:90]
	ds_read2_b64 v[89:92], v0 offset0:96 offset1:97
	s_waitcnt lgkmcnt(0)
	v_mul_f64 v[95:96], v[91:92], v[97:98]
	v_fma_f64 v[95:96], v[89:90], v[125:126], -v[95:96]
	v_mul_f64 v[89:90], v[89:90], v[97:98]
	v_add_f64 v[25:26], v[25:26], -v[95:96]
	v_fma_f64 v[89:90], v[91:92], v[125:126], v[89:90]
	v_add_f64 v[27:28], v[27:28], -v[89:90]
	ds_read2_b64 v[89:92], v0 offset0:98 offset1:99
	s_waitcnt lgkmcnt(0)
	v_mul_f64 v[95:96], v[91:92], v[97:98]
	v_fma_f64 v[95:96], v[89:90], v[125:126], -v[95:96]
	v_mul_f64 v[89:90], v[89:90], v[97:98]
	v_add_f64 v[21:22], v[21:22], -v[95:96]
	v_fma_f64 v[89:90], v[91:92], v[125:126], v[89:90]
	v_add_f64 v[23:24], v[23:24], -v[89:90]
	ds_read2_b64 v[89:92], v0 offset0:100 offset1:101
	s_waitcnt lgkmcnt(0)
	v_mul_f64 v[95:96], v[91:92], v[97:98]
	v_fma_f64 v[95:96], v[89:90], v[125:126], -v[95:96]
	v_mul_f64 v[89:90], v[89:90], v[97:98]
	v_add_f64 v[17:18], v[17:18], -v[95:96]
	v_fma_f64 v[89:90], v[91:92], v[125:126], v[89:90]
	v_add_f64 v[19:20], v[19:20], -v[89:90]
	ds_read2_b64 v[89:92], v0 offset0:102 offset1:103
	s_waitcnt lgkmcnt(0)
	v_mul_f64 v[95:96], v[91:92], v[97:98]
	v_fma_f64 v[95:96], v[89:90], v[125:126], -v[95:96]
	v_mul_f64 v[89:90], v[89:90], v[97:98]
	v_add_f64 v[13:14], v[13:14], -v[95:96]
	v_fma_f64 v[89:90], v[91:92], v[125:126], v[89:90]
	v_add_f64 v[15:16], v[15:16], -v[89:90]
	ds_read2_b64 v[89:92], v0 offset0:104 offset1:105
	s_waitcnt lgkmcnt(0)
	v_mul_f64 v[95:96], v[91:92], v[97:98]
	v_fma_f64 v[95:96], v[89:90], v[125:126], -v[95:96]
	v_mul_f64 v[89:90], v[89:90], v[97:98]
	v_add_f64 v[9:10], v[9:10], -v[95:96]
	v_fma_f64 v[89:90], v[91:92], v[125:126], v[89:90]
	v_add_f64 v[11:12], v[11:12], -v[89:90]
	ds_read2_b64 v[89:92], v0 offset0:106 offset1:107
	s_waitcnt lgkmcnt(0)
	v_mul_f64 v[95:96], v[91:92], v[97:98]
	v_fma_f64 v[95:96], v[89:90], v[125:126], -v[95:96]
	v_mul_f64 v[89:90], v[89:90], v[97:98]
	v_add_f64 v[5:6], v[5:6], -v[95:96]
	v_fma_f64 v[89:90], v[91:92], v[125:126], v[89:90]
	v_add_f64 v[7:8], v[7:8], -v[89:90]
	ds_read2_b64 v[89:92], v0 offset0:108 offset1:109
	s_waitcnt lgkmcnt(0)
	v_mul_f64 v[95:96], v[91:92], v[97:98]
	v_fma_f64 v[95:96], v[89:90], v[125:126], -v[95:96]
	v_mul_f64 v[89:90], v[89:90], v[97:98]
	v_add_f64 v[1:2], v[1:2], -v[95:96]
	v_fma_f64 v[89:90], v[91:92], v[125:126], v[89:90]
	v_add_f64 v[3:4], v[3:4], -v[89:90]
	ds_read2_b64 v[89:92], v0 offset0:110 offset1:111
	s_waitcnt lgkmcnt(0)
	v_mul_f64 v[95:96], v[91:92], v[97:98]
	v_fma_f64 v[95:96], v[89:90], v[125:126], -v[95:96]
	v_mul_f64 v[89:90], v[89:90], v[97:98]
	v_add_f64 v[121:122], v[121:122], -v[95:96]
	v_fma_f64 v[89:90], v[91:92], v[125:126], v[89:90]
	v_mov_b32_e32 v95, v125
	v_mov_b32_e32 v96, v126
	buffer_store_dword v95, off, s[24:27], 0 offset:144 ; 4-byte Folded Spill
	s_nop 0
	buffer_store_dword v96, off, s[24:27], 0 offset:148 ; 4-byte Folded Spill
	buffer_store_dword v97, off, s[24:27], 0 offset:152 ; 4-byte Folded Spill
	;; [unrolled: 1-line block ×3, first 2 shown]
	v_add_f64 v[123:124], v[123:124], -v[89:90]
.LBB110_482:
	s_or_b64 exec, exec, s[0:1]
	s_waitcnt vmcnt(0)
	s_barrier
	buffer_load_dword v73, off, s[24:27], 0 offset:128 ; 4-byte Folded Reload
	buffer_load_dword v74, off, s[24:27], 0 offset:132 ; 4-byte Folded Reload
	;; [unrolled: 1-line block ×4, first 2 shown]
	v_lshl_add_u32 v89, v93, 4, v0
	s_cmp_lt_i32 s3, 25
	s_waitcnt vmcnt(0)
	ds_write2_b64 v89, v[73:74], v[75:76] offset1:1
	s_waitcnt lgkmcnt(0)
	s_barrier
	ds_read2_b64 v[117:120], v0 offset0:46 offset1:47
	v_mov_b32_e32 v89, 23
	s_cbranch_scc1 .LBB110_485
; %bb.483:
	v_add_u32_e32 v90, 0x180, v0
	s_mov_b32 s0, 24
	v_mov_b32_e32 v89, 23
.LBB110_484:                            ; =>This Inner Loop Header: Depth=1
	s_waitcnt lgkmcnt(0)
	v_cmp_gt_f64_e32 vcc, 0, v[117:118]
	v_xor_b32_e32 v91, 0x80000000, v118
	ds_read2_b64 v[95:98], v90 offset1:1
	v_xor_b32_e32 v99, 0x80000000, v120
	v_add_u32_e32 v90, 16, v90
	s_waitcnt lgkmcnt(0)
	v_xor_b32_e32 v101, 0x80000000, v98
	v_cndmask_b32_e32 v92, v118, v91, vcc
	v_cmp_gt_f64_e32 vcc, 0, v[119:120]
	v_mov_b32_e32 v91, v117
	v_cndmask_b32_e32 v100, v120, v99, vcc
	v_cmp_gt_f64_e32 vcc, 0, v[95:96]
	v_mov_b32_e32 v99, v119
	v_add_f64 v[91:92], v[91:92], v[99:100]
	v_xor_b32_e32 v99, 0x80000000, v96
	v_cndmask_b32_e32 v100, v96, v99, vcc
	v_cmp_gt_f64_e32 vcc, 0, v[97:98]
	v_mov_b32_e32 v99, v95
	v_cndmask_b32_e32 v102, v98, v101, vcc
	v_mov_b32_e32 v101, v97
	v_add_f64 v[99:100], v[99:100], v[101:102]
	v_cmp_lt_f64_e32 vcc, v[91:92], v[99:100]
	v_mov_b32_e32 v91, s0
	s_add_i32 s0, s0, 1
	s_cmp_lg_u32 s3, s0
	v_cndmask_b32_e32 v118, v118, v96, vcc
	v_cndmask_b32_e32 v117, v117, v95, vcc
	;; [unrolled: 1-line block ×5, first 2 shown]
	s_cbranch_scc1 .LBB110_484
.LBB110_485:
	s_waitcnt lgkmcnt(0)
	v_cmp_eq_f64_e32 vcc, 0, v[117:118]
	v_cmp_eq_f64_e64 s[0:1], 0, v[119:120]
	s_and_b64 s[0:1], vcc, s[0:1]
	s_and_saveexec_b64 s[18:19], s[0:1]
	s_xor_b64 s[0:1], exec, s[18:19]
; %bb.486:
	v_cmp_ne_u32_e32 vcc, 0, v94
	v_cndmask_b32_e32 v94, 24, v94, vcc
; %bb.487:
	s_andn2_saveexec_b64 s[0:1], s[0:1]
	s_cbranch_execz .LBB110_493
; %bb.488:
	v_cmp_ngt_f64_e64 s[18:19], |v[117:118]|, |v[119:120]|
	s_and_saveexec_b64 s[20:21], s[18:19]
	s_xor_b64 s[18:19], exec, s[20:21]
	s_cbranch_execz .LBB110_490
; %bb.489:
	v_div_scale_f64 v[90:91], s[20:21], v[119:120], v[119:120], v[117:118]
	v_rcp_f64_e32 v[95:96], v[90:91]
	v_fma_f64 v[97:98], -v[90:91], v[95:96], 1.0
	v_fma_f64 v[95:96], v[95:96], v[97:98], v[95:96]
	v_div_scale_f64 v[97:98], vcc, v[117:118], v[119:120], v[117:118]
	v_fma_f64 v[99:100], -v[90:91], v[95:96], 1.0
	v_fma_f64 v[95:96], v[95:96], v[99:100], v[95:96]
	v_mul_f64 v[99:100], v[97:98], v[95:96]
	v_fma_f64 v[90:91], -v[90:91], v[99:100], v[97:98]
	v_div_fmas_f64 v[90:91], v[90:91], v[95:96], v[99:100]
	v_div_fixup_f64 v[90:91], v[90:91], v[119:120], v[117:118]
	v_fma_f64 v[95:96], v[117:118], v[90:91], v[119:120]
	v_div_scale_f64 v[97:98], s[20:21], v[95:96], v[95:96], 1.0
	v_div_scale_f64 v[103:104], vcc, 1.0, v[95:96], 1.0
	v_rcp_f64_e32 v[99:100], v[97:98]
	v_fma_f64 v[101:102], -v[97:98], v[99:100], 1.0
	v_fma_f64 v[99:100], v[99:100], v[101:102], v[99:100]
	v_fma_f64 v[101:102], -v[97:98], v[99:100], 1.0
	v_fma_f64 v[99:100], v[99:100], v[101:102], v[99:100]
	v_mul_f64 v[101:102], v[103:104], v[99:100]
	v_fma_f64 v[97:98], -v[97:98], v[101:102], v[103:104]
	v_div_fmas_f64 v[97:98], v[97:98], v[99:100], v[101:102]
	v_div_fixup_f64 v[119:120], v[97:98], v[95:96], 1.0
	v_mul_f64 v[117:118], v[90:91], v[119:120]
	v_xor_b32_e32 v120, 0x80000000, v120
.LBB110_490:
	s_andn2_saveexec_b64 s[18:19], s[18:19]
	s_cbranch_execz .LBB110_492
; %bb.491:
	v_div_scale_f64 v[90:91], s[20:21], v[117:118], v[117:118], v[119:120]
	v_rcp_f64_e32 v[95:96], v[90:91]
	v_fma_f64 v[97:98], -v[90:91], v[95:96], 1.0
	v_fma_f64 v[95:96], v[95:96], v[97:98], v[95:96]
	v_div_scale_f64 v[97:98], vcc, v[119:120], v[117:118], v[119:120]
	v_fma_f64 v[99:100], -v[90:91], v[95:96], 1.0
	v_fma_f64 v[95:96], v[95:96], v[99:100], v[95:96]
	v_mul_f64 v[99:100], v[97:98], v[95:96]
	v_fma_f64 v[90:91], -v[90:91], v[99:100], v[97:98]
	v_div_fmas_f64 v[90:91], v[90:91], v[95:96], v[99:100]
	v_div_fixup_f64 v[90:91], v[90:91], v[117:118], v[119:120]
	v_fma_f64 v[95:96], v[119:120], v[90:91], v[117:118]
	v_div_scale_f64 v[97:98], s[20:21], v[95:96], v[95:96], 1.0
	v_div_scale_f64 v[103:104], vcc, 1.0, v[95:96], 1.0
	v_rcp_f64_e32 v[99:100], v[97:98]
	v_fma_f64 v[101:102], -v[97:98], v[99:100], 1.0
	v_fma_f64 v[99:100], v[99:100], v[101:102], v[99:100]
	v_fma_f64 v[101:102], -v[97:98], v[99:100], 1.0
	v_fma_f64 v[99:100], v[99:100], v[101:102], v[99:100]
	v_mul_f64 v[101:102], v[103:104], v[99:100]
	v_fma_f64 v[97:98], -v[97:98], v[101:102], v[103:104]
	v_div_fmas_f64 v[97:98], v[97:98], v[99:100], v[101:102]
	v_div_fixup_f64 v[117:118], v[97:98], v[95:96], 1.0
	v_mul_f64 v[119:120], v[90:91], -v[117:118]
.LBB110_492:
	s_or_b64 exec, exec, s[18:19]
.LBB110_493:
	s_or_b64 exec, exec, s[0:1]
	v_cmp_ne_u32_e32 vcc, v93, v89
	s_and_saveexec_b64 s[0:1], vcc
	s_xor_b64 s[0:1], exec, s[0:1]
	s_cbranch_execz .LBB110_499
; %bb.494:
	v_cmp_eq_u32_e32 vcc, 23, v93
	s_and_saveexec_b64 s[18:19], vcc
	s_cbranch_execz .LBB110_498
; %bb.495:
	v_cmp_ne_u32_e32 vcc, 23, v89
	s_xor_b64 s[20:21], s[6:7], -1
	s_and_b64 s[22:23], s[20:21], vcc
	s_and_saveexec_b64 s[20:21], s[22:23]
	s_cbranch_execz .LBB110_497
; %bb.496:
	v_mov_b32_e32 v73, v81
	v_mov_b32_e32 v74, v82
	v_mov_b32_e32 v75, v83
	v_mov_b32_e32 v76, v84
	buffer_load_dword v81, off, s[24:27], 0 offset:448 ; 4-byte Folded Reload
	buffer_load_dword v82, off, s[24:27], 0 offset:452 ; 4-byte Folded Reload
	v_ashrrev_i32_e32 v90, 31, v89
	v_lshlrev_b64 v[90:91], 2, v[89:90]
	s_waitcnt vmcnt(1)
	v_add_co_u32_e32 v90, vcc, v81, v90
	s_waitcnt vmcnt(0)
	v_addc_co_u32_e32 v91, vcc, v82, v91, vcc
	global_load_dword v92, v[90:91], off
	global_load_dword v93, v[81:82], off offset:92
	s_waitcnt vmcnt(1)
	global_store_dword v[81:82], v92, off offset:92
	v_mov_b32_e32 v84, v76
	v_mov_b32_e32 v83, v75
	;; [unrolled: 1-line block ×4, first 2 shown]
	s_waitcnt vmcnt(1)
	global_store_dword v[90:91], v93, off
.LBB110_497:
	s_or_b64 exec, exec, s[20:21]
	v_mov_b32_e32 v93, v89
	v_mov_b32_e32 v127, v89
.LBB110_498:
	s_or_b64 exec, exec, s[18:19]
.LBB110_499:
	s_andn2_saveexec_b64 s[0:1], s[0:1]
	s_cbranch_execz .LBB110_501
; %bb.500:
	buffer_load_dword v73, off, s[24:27], 0 offset:112 ; 4-byte Folded Reload
	buffer_load_dword v74, off, s[24:27], 0 offset:116 ; 4-byte Folded Reload
	;; [unrolled: 1-line block ×4, first 2 shown]
	v_mov_b32_e32 v93, 23
	s_waitcnt vmcnt(0)
	ds_write2_b64 v0, v[73:74], v[75:76] offset0:48 offset1:49
	buffer_load_dword v73, off, s[24:27], 0 offset:96 ; 4-byte Folded Reload
	buffer_load_dword v74, off, s[24:27], 0 offset:100 ; 4-byte Folded Reload
	buffer_load_dword v75, off, s[24:27], 0 offset:104 ; 4-byte Folded Reload
	buffer_load_dword v76, off, s[24:27], 0 offset:108 ; 4-byte Folded Reload
	s_waitcnt vmcnt(0)
	ds_write2_b64 v0, v[73:74], v[75:76] offset0:50 offset1:51
	buffer_load_dword v73, off, s[24:27], 0 offset:80 ; 4-byte Folded Reload
	buffer_load_dword v74, off, s[24:27], 0 offset:84 ; 4-byte Folded Reload
	buffer_load_dword v75, off, s[24:27], 0 offset:88 ; 4-byte Folded Reload
	buffer_load_dword v76, off, s[24:27], 0 offset:92 ; 4-byte Folded Reload
	;; [unrolled: 6-line block ×6, first 2 shown]
	s_waitcnt vmcnt(0)
	ds_write2_b64 v0, v[73:74], v[75:76] offset0:60 offset1:61
	ds_write2_b64 v0, v[81:82], v[83:84] offset0:62 offset1:63
	ds_write2_b64 v0, v[85:86], v[87:88] offset0:64 offset1:65
	ds_write2_b64 v0, v[109:110], v[111:112] offset0:66 offset1:67
	ds_write2_b64 v0, v[113:114], v[115:116] offset0:68 offset1:69
	ds_write2_b64 v0, v[77:78], v[79:80] offset0:70 offset1:71
	buffer_load_dword v73, off, s[24:27], 0 ; 4-byte Folded Reload
	buffer_load_dword v74, off, s[24:27], 0 offset:4 ; 4-byte Folded Reload
	buffer_load_dword v75, off, s[24:27], 0 offset:8 ; 4-byte Folded Reload
	;; [unrolled: 1-line block ×3, first 2 shown]
	s_waitcnt vmcnt(0)
	ds_write2_b64 v0, v[73:74], v[75:76] offset0:72 offset1:73
	ds_write2_b64 v0, v[69:70], v[71:72] offset0:74 offset1:75
	;; [unrolled: 1-line block ×20, first 2 shown]
.LBB110_501:
	s_or_b64 exec, exec, s[0:1]
	v_cmp_lt_i32_e32 vcc, 23, v93
	s_waitcnt vmcnt(0) lgkmcnt(0)
	s_barrier
	s_and_saveexec_b64 s[0:1], vcc
	s_cbranch_execz .LBB110_503
; %bb.502:
	buffer_load_dword v95, off, s[24:27], 0 offset:128 ; 4-byte Folded Reload
	buffer_load_dword v96, off, s[24:27], 0 offset:132 ; 4-byte Folded Reload
	;; [unrolled: 1-line block ×4, first 2 shown]
	s_waitcnt vmcnt(0)
	v_mul_f64 v[89:90], v[119:120], v[97:98]
	v_fma_f64 v[125:126], v[117:118], v[95:96], -v[89:90]
	v_mul_f64 v[89:90], v[117:118], v[97:98]
	v_fma_f64 v[97:98], v[119:120], v[95:96], v[89:90]
	ds_read2_b64 v[89:92], v0 offset0:48 offset1:49
	buffer_load_dword v73, off, s[24:27], 0 offset:112 ; 4-byte Folded Reload
	buffer_load_dword v74, off, s[24:27], 0 offset:116 ; 4-byte Folded Reload
	buffer_load_dword v75, off, s[24:27], 0 offset:120 ; 4-byte Folded Reload
	buffer_load_dword v76, off, s[24:27], 0 offset:124 ; 4-byte Folded Reload
	s_waitcnt lgkmcnt(0)
	v_mul_f64 v[95:96], v[91:92], v[97:98]
	v_fma_f64 v[95:96], v[89:90], v[125:126], -v[95:96]
	v_mul_f64 v[89:90], v[89:90], v[97:98]
	v_fma_f64 v[89:90], v[91:92], v[125:126], v[89:90]
	s_waitcnt vmcnt(2)
	v_add_f64 v[73:74], v[73:74], -v[95:96]
	s_waitcnt vmcnt(0)
	v_add_f64 v[75:76], v[75:76], -v[89:90]
	buffer_store_dword v73, off, s[24:27], 0 offset:112 ; 4-byte Folded Spill
	s_nop 0
	buffer_store_dword v74, off, s[24:27], 0 offset:116 ; 4-byte Folded Spill
	buffer_store_dword v75, off, s[24:27], 0 offset:120 ; 4-byte Folded Spill
	buffer_store_dword v76, off, s[24:27], 0 offset:124 ; 4-byte Folded Spill
	ds_read2_b64 v[89:92], v0 offset0:50 offset1:51
	buffer_load_dword v73, off, s[24:27], 0 offset:96 ; 4-byte Folded Reload
	buffer_load_dword v74, off, s[24:27], 0 offset:100 ; 4-byte Folded Reload
	buffer_load_dword v75, off, s[24:27], 0 offset:104 ; 4-byte Folded Reload
	buffer_load_dword v76, off, s[24:27], 0 offset:108 ; 4-byte Folded Reload
	s_waitcnt lgkmcnt(0)
	v_mul_f64 v[95:96], v[91:92], v[97:98]
	v_fma_f64 v[95:96], v[89:90], v[125:126], -v[95:96]
	v_mul_f64 v[89:90], v[89:90], v[97:98]
	v_fma_f64 v[89:90], v[91:92], v[125:126], v[89:90]
	s_waitcnt vmcnt(2)
	v_add_f64 v[73:74], v[73:74], -v[95:96]
	s_waitcnt vmcnt(0)
	v_add_f64 v[75:76], v[75:76], -v[89:90]
	buffer_store_dword v73, off, s[24:27], 0 offset:96 ; 4-byte Folded Spill
	s_nop 0
	buffer_store_dword v74, off, s[24:27], 0 offset:100 ; 4-byte Folded Spill
	buffer_store_dword v75, off, s[24:27], 0 offset:104 ; 4-byte Folded Spill
	buffer_store_dword v76, off, s[24:27], 0 offset:108 ; 4-byte Folded Spill
	;; [unrolled: 19-line block ×7, first 2 shown]
	ds_read2_b64 v[89:92], v0 offset0:62 offset1:63
	s_waitcnt lgkmcnt(0)
	v_mul_f64 v[95:96], v[91:92], v[97:98]
	v_fma_f64 v[95:96], v[89:90], v[125:126], -v[95:96]
	v_mul_f64 v[89:90], v[89:90], v[97:98]
	v_add_f64 v[81:82], v[81:82], -v[95:96]
	v_fma_f64 v[89:90], v[91:92], v[125:126], v[89:90]
	v_add_f64 v[83:84], v[83:84], -v[89:90]
	ds_read2_b64 v[89:92], v0 offset0:64 offset1:65
	s_waitcnt lgkmcnt(0)
	v_mul_f64 v[95:96], v[91:92], v[97:98]
	v_fma_f64 v[95:96], v[89:90], v[125:126], -v[95:96]
	v_mul_f64 v[89:90], v[89:90], v[97:98]
	v_add_f64 v[85:86], v[85:86], -v[95:96]
	v_fma_f64 v[89:90], v[91:92], v[125:126], v[89:90]
	v_add_f64 v[87:88], v[87:88], -v[89:90]
	ds_read2_b64 v[89:92], v0 offset0:66 offset1:67
	s_waitcnt lgkmcnt(0)
	v_mul_f64 v[95:96], v[91:92], v[97:98]
	v_fma_f64 v[95:96], v[89:90], v[125:126], -v[95:96]
	v_mul_f64 v[89:90], v[89:90], v[97:98]
	v_add_f64 v[109:110], v[109:110], -v[95:96]
	v_fma_f64 v[89:90], v[91:92], v[125:126], v[89:90]
	v_add_f64 v[111:112], v[111:112], -v[89:90]
	ds_read2_b64 v[89:92], v0 offset0:68 offset1:69
	s_waitcnt lgkmcnt(0)
	v_mul_f64 v[95:96], v[91:92], v[97:98]
	v_fma_f64 v[95:96], v[89:90], v[125:126], -v[95:96]
	v_mul_f64 v[89:90], v[89:90], v[97:98]
	v_add_f64 v[113:114], v[113:114], -v[95:96]
	v_fma_f64 v[89:90], v[91:92], v[125:126], v[89:90]
	v_add_f64 v[115:116], v[115:116], -v[89:90]
	ds_read2_b64 v[89:92], v0 offset0:70 offset1:71
	s_waitcnt lgkmcnt(0)
	v_mul_f64 v[95:96], v[91:92], v[97:98]
	v_fma_f64 v[95:96], v[89:90], v[125:126], -v[95:96]
	v_mul_f64 v[89:90], v[89:90], v[97:98]
	v_add_f64 v[77:78], v[77:78], -v[95:96]
	v_fma_f64 v[89:90], v[91:92], v[125:126], v[89:90]
	v_add_f64 v[79:80], v[79:80], -v[89:90]
	ds_read2_b64 v[89:92], v0 offset0:72 offset1:73
	buffer_load_dword v73, off, s[24:27], 0 ; 4-byte Folded Reload
	buffer_load_dword v74, off, s[24:27], 0 offset:4 ; 4-byte Folded Reload
	buffer_load_dword v75, off, s[24:27], 0 offset:8 ; 4-byte Folded Reload
	;; [unrolled: 1-line block ×3, first 2 shown]
	s_waitcnt lgkmcnt(0)
	v_mul_f64 v[95:96], v[91:92], v[97:98]
	v_fma_f64 v[95:96], v[89:90], v[125:126], -v[95:96]
	v_mul_f64 v[89:90], v[89:90], v[97:98]
	v_fma_f64 v[89:90], v[91:92], v[125:126], v[89:90]
	s_waitcnt vmcnt(2)
	v_add_f64 v[73:74], v[73:74], -v[95:96]
	s_waitcnt vmcnt(0)
	v_add_f64 v[75:76], v[75:76], -v[89:90]
	buffer_store_dword v73, off, s[24:27], 0 ; 4-byte Folded Spill
	s_nop 0
	buffer_store_dword v74, off, s[24:27], 0 offset:4 ; 4-byte Folded Spill
	buffer_store_dword v75, off, s[24:27], 0 offset:8 ; 4-byte Folded Spill
	;; [unrolled: 1-line block ×3, first 2 shown]
	ds_read2_b64 v[89:92], v0 offset0:74 offset1:75
	s_waitcnt lgkmcnt(0)
	v_mul_f64 v[95:96], v[91:92], v[97:98]
	v_fma_f64 v[95:96], v[89:90], v[125:126], -v[95:96]
	v_mul_f64 v[89:90], v[89:90], v[97:98]
	v_add_f64 v[69:70], v[69:70], -v[95:96]
	v_fma_f64 v[89:90], v[91:92], v[125:126], v[89:90]
	v_add_f64 v[71:72], v[71:72], -v[89:90]
	ds_read2_b64 v[89:92], v0 offset0:76 offset1:77
	s_waitcnt lgkmcnt(0)
	v_mul_f64 v[95:96], v[91:92], v[97:98]
	v_fma_f64 v[95:96], v[89:90], v[125:126], -v[95:96]
	v_mul_f64 v[89:90], v[89:90], v[97:98]
	v_add_f64 v[65:66], v[65:66], -v[95:96]
	v_fma_f64 v[89:90], v[91:92], v[125:126], v[89:90]
	v_add_f64 v[67:68], v[67:68], -v[89:90]
	;; [unrolled: 8-line block ×18, first 2 shown]
	ds_read2_b64 v[89:92], v0 offset0:110 offset1:111
	s_waitcnt lgkmcnt(0)
	v_mul_f64 v[95:96], v[91:92], v[97:98]
	v_fma_f64 v[95:96], v[89:90], v[125:126], -v[95:96]
	v_mul_f64 v[89:90], v[89:90], v[97:98]
	v_add_f64 v[121:122], v[121:122], -v[95:96]
	v_fma_f64 v[89:90], v[91:92], v[125:126], v[89:90]
	v_mov_b32_e32 v95, v125
	v_mov_b32_e32 v96, v126
	buffer_store_dword v95, off, s[24:27], 0 offset:128 ; 4-byte Folded Spill
	s_nop 0
	buffer_store_dword v96, off, s[24:27], 0 offset:132 ; 4-byte Folded Spill
	buffer_store_dword v97, off, s[24:27], 0 offset:136 ; 4-byte Folded Spill
	;; [unrolled: 1-line block ×3, first 2 shown]
	v_add_f64 v[123:124], v[123:124], -v[89:90]
.LBB110_503:
	s_or_b64 exec, exec, s[0:1]
	s_waitcnt vmcnt(0)
	s_barrier
	buffer_load_dword v73, off, s[24:27], 0 offset:112 ; 4-byte Folded Reload
	buffer_load_dword v74, off, s[24:27], 0 offset:116 ; 4-byte Folded Reload
	buffer_load_dword v75, off, s[24:27], 0 offset:120 ; 4-byte Folded Reload
	buffer_load_dword v76, off, s[24:27], 0 offset:124 ; 4-byte Folded Reload
	v_lshl_add_u32 v89, v93, 4, v0
	s_cmp_lt_i32 s3, 26
	s_waitcnt vmcnt(0)
	ds_write2_b64 v89, v[73:74], v[75:76] offset1:1
	s_waitcnt lgkmcnt(0)
	s_barrier
	ds_read2_b64 v[117:120], v0 offset0:48 offset1:49
	v_mov_b32_e32 v89, 24
	s_cbranch_scc1 .LBB110_506
; %bb.504:
	v_add_u32_e32 v90, 0x190, v0
	s_mov_b32 s0, 25
	v_mov_b32_e32 v89, 24
.LBB110_505:                            ; =>This Inner Loop Header: Depth=1
	s_waitcnt lgkmcnt(0)
	v_cmp_gt_f64_e32 vcc, 0, v[117:118]
	v_xor_b32_e32 v91, 0x80000000, v118
	ds_read2_b64 v[95:98], v90 offset1:1
	v_xor_b32_e32 v99, 0x80000000, v120
	v_add_u32_e32 v90, 16, v90
	s_waitcnt lgkmcnt(0)
	v_xor_b32_e32 v101, 0x80000000, v98
	v_cndmask_b32_e32 v92, v118, v91, vcc
	v_cmp_gt_f64_e32 vcc, 0, v[119:120]
	v_mov_b32_e32 v91, v117
	v_cndmask_b32_e32 v100, v120, v99, vcc
	v_cmp_gt_f64_e32 vcc, 0, v[95:96]
	v_mov_b32_e32 v99, v119
	v_add_f64 v[91:92], v[91:92], v[99:100]
	v_xor_b32_e32 v99, 0x80000000, v96
	v_cndmask_b32_e32 v100, v96, v99, vcc
	v_cmp_gt_f64_e32 vcc, 0, v[97:98]
	v_mov_b32_e32 v99, v95
	v_cndmask_b32_e32 v102, v98, v101, vcc
	v_mov_b32_e32 v101, v97
	v_add_f64 v[99:100], v[99:100], v[101:102]
	v_cmp_lt_f64_e32 vcc, v[91:92], v[99:100]
	v_mov_b32_e32 v91, s0
	s_add_i32 s0, s0, 1
	s_cmp_lg_u32 s3, s0
	v_cndmask_b32_e32 v118, v118, v96, vcc
	v_cndmask_b32_e32 v117, v117, v95, vcc
	;; [unrolled: 1-line block ×5, first 2 shown]
	s_cbranch_scc1 .LBB110_505
.LBB110_506:
	s_waitcnt lgkmcnt(0)
	v_cmp_eq_f64_e32 vcc, 0, v[117:118]
	v_cmp_eq_f64_e64 s[0:1], 0, v[119:120]
	s_and_b64 s[0:1], vcc, s[0:1]
	s_and_saveexec_b64 s[18:19], s[0:1]
	s_xor_b64 s[0:1], exec, s[18:19]
; %bb.507:
	v_cmp_ne_u32_e32 vcc, 0, v94
	v_cndmask_b32_e32 v94, 25, v94, vcc
; %bb.508:
	s_andn2_saveexec_b64 s[0:1], s[0:1]
	s_cbranch_execz .LBB110_514
; %bb.509:
	v_cmp_ngt_f64_e64 s[18:19], |v[117:118]|, |v[119:120]|
	s_and_saveexec_b64 s[20:21], s[18:19]
	s_xor_b64 s[18:19], exec, s[20:21]
	s_cbranch_execz .LBB110_511
; %bb.510:
	v_div_scale_f64 v[90:91], s[20:21], v[119:120], v[119:120], v[117:118]
	v_rcp_f64_e32 v[95:96], v[90:91]
	v_fma_f64 v[97:98], -v[90:91], v[95:96], 1.0
	v_fma_f64 v[95:96], v[95:96], v[97:98], v[95:96]
	v_div_scale_f64 v[97:98], vcc, v[117:118], v[119:120], v[117:118]
	v_fma_f64 v[99:100], -v[90:91], v[95:96], 1.0
	v_fma_f64 v[95:96], v[95:96], v[99:100], v[95:96]
	v_mul_f64 v[99:100], v[97:98], v[95:96]
	v_fma_f64 v[90:91], -v[90:91], v[99:100], v[97:98]
	v_div_fmas_f64 v[90:91], v[90:91], v[95:96], v[99:100]
	v_div_fixup_f64 v[90:91], v[90:91], v[119:120], v[117:118]
	v_fma_f64 v[95:96], v[117:118], v[90:91], v[119:120]
	v_div_scale_f64 v[97:98], s[20:21], v[95:96], v[95:96], 1.0
	v_div_scale_f64 v[103:104], vcc, 1.0, v[95:96], 1.0
	v_rcp_f64_e32 v[99:100], v[97:98]
	v_fma_f64 v[101:102], -v[97:98], v[99:100], 1.0
	v_fma_f64 v[99:100], v[99:100], v[101:102], v[99:100]
	v_fma_f64 v[101:102], -v[97:98], v[99:100], 1.0
	v_fma_f64 v[99:100], v[99:100], v[101:102], v[99:100]
	v_mul_f64 v[101:102], v[103:104], v[99:100]
	v_fma_f64 v[97:98], -v[97:98], v[101:102], v[103:104]
	v_div_fmas_f64 v[97:98], v[97:98], v[99:100], v[101:102]
	v_div_fixup_f64 v[119:120], v[97:98], v[95:96], 1.0
	v_mul_f64 v[117:118], v[90:91], v[119:120]
	v_xor_b32_e32 v120, 0x80000000, v120
.LBB110_511:
	s_andn2_saveexec_b64 s[18:19], s[18:19]
	s_cbranch_execz .LBB110_513
; %bb.512:
	v_div_scale_f64 v[90:91], s[20:21], v[117:118], v[117:118], v[119:120]
	v_rcp_f64_e32 v[95:96], v[90:91]
	v_fma_f64 v[97:98], -v[90:91], v[95:96], 1.0
	v_fma_f64 v[95:96], v[95:96], v[97:98], v[95:96]
	v_div_scale_f64 v[97:98], vcc, v[119:120], v[117:118], v[119:120]
	v_fma_f64 v[99:100], -v[90:91], v[95:96], 1.0
	v_fma_f64 v[95:96], v[95:96], v[99:100], v[95:96]
	v_mul_f64 v[99:100], v[97:98], v[95:96]
	v_fma_f64 v[90:91], -v[90:91], v[99:100], v[97:98]
	v_div_fmas_f64 v[90:91], v[90:91], v[95:96], v[99:100]
	v_div_fixup_f64 v[90:91], v[90:91], v[117:118], v[119:120]
	v_fma_f64 v[95:96], v[119:120], v[90:91], v[117:118]
	v_div_scale_f64 v[97:98], s[20:21], v[95:96], v[95:96], 1.0
	v_div_scale_f64 v[103:104], vcc, 1.0, v[95:96], 1.0
	v_rcp_f64_e32 v[99:100], v[97:98]
	v_fma_f64 v[101:102], -v[97:98], v[99:100], 1.0
	v_fma_f64 v[99:100], v[99:100], v[101:102], v[99:100]
	v_fma_f64 v[101:102], -v[97:98], v[99:100], 1.0
	v_fma_f64 v[99:100], v[99:100], v[101:102], v[99:100]
	v_mul_f64 v[101:102], v[103:104], v[99:100]
	v_fma_f64 v[97:98], -v[97:98], v[101:102], v[103:104]
	v_div_fmas_f64 v[97:98], v[97:98], v[99:100], v[101:102]
	v_div_fixup_f64 v[117:118], v[97:98], v[95:96], 1.0
	v_mul_f64 v[119:120], v[90:91], -v[117:118]
.LBB110_513:
	s_or_b64 exec, exec, s[18:19]
.LBB110_514:
	s_or_b64 exec, exec, s[0:1]
	v_cmp_ne_u32_e32 vcc, v93, v89
	s_and_saveexec_b64 s[0:1], vcc
	s_xor_b64 s[0:1], exec, s[0:1]
	s_cbranch_execz .LBB110_520
; %bb.515:
	v_cmp_eq_u32_e32 vcc, 24, v93
	s_and_saveexec_b64 s[18:19], vcc
	s_cbranch_execz .LBB110_519
; %bb.516:
	v_cmp_ne_u32_e32 vcc, 24, v89
	s_xor_b64 s[20:21], s[6:7], -1
	s_and_b64 s[22:23], s[20:21], vcc
	s_and_saveexec_b64 s[20:21], s[22:23]
	s_cbranch_execz .LBB110_518
; %bb.517:
	v_mov_b32_e32 v73, v81
	v_mov_b32_e32 v74, v82
	;; [unrolled: 1-line block ×4, first 2 shown]
	buffer_load_dword v81, off, s[24:27], 0 offset:448 ; 4-byte Folded Reload
	buffer_load_dword v82, off, s[24:27], 0 offset:452 ; 4-byte Folded Reload
	v_ashrrev_i32_e32 v90, 31, v89
	v_lshlrev_b64 v[90:91], 2, v[89:90]
	s_waitcnt vmcnt(1)
	v_add_co_u32_e32 v90, vcc, v81, v90
	s_waitcnt vmcnt(0)
	v_addc_co_u32_e32 v91, vcc, v82, v91, vcc
	global_load_dword v92, v[90:91], off
	global_load_dword v93, v[81:82], off offset:96
	s_waitcnt vmcnt(1)
	global_store_dword v[81:82], v92, off offset:96
	v_mov_b32_e32 v84, v76
	v_mov_b32_e32 v83, v75
	;; [unrolled: 1-line block ×4, first 2 shown]
	s_waitcnt vmcnt(1)
	global_store_dword v[90:91], v93, off
.LBB110_518:
	s_or_b64 exec, exec, s[20:21]
	v_mov_b32_e32 v93, v89
	v_mov_b32_e32 v127, v89
.LBB110_519:
	s_or_b64 exec, exec, s[18:19]
.LBB110_520:
	s_andn2_saveexec_b64 s[0:1], s[0:1]
	s_cbranch_execz .LBB110_522
; %bb.521:
	buffer_load_dword v73, off, s[24:27], 0 offset:96 ; 4-byte Folded Reload
	buffer_load_dword v74, off, s[24:27], 0 offset:100 ; 4-byte Folded Reload
	buffer_load_dword v75, off, s[24:27], 0 offset:104 ; 4-byte Folded Reload
	buffer_load_dword v76, off, s[24:27], 0 offset:108 ; 4-byte Folded Reload
	v_mov_b32_e32 v93, 24
	s_waitcnt vmcnt(0)
	ds_write2_b64 v0, v[73:74], v[75:76] offset0:50 offset1:51
	buffer_load_dword v73, off, s[24:27], 0 offset:80 ; 4-byte Folded Reload
	buffer_load_dword v74, off, s[24:27], 0 offset:84 ; 4-byte Folded Reload
	buffer_load_dword v75, off, s[24:27], 0 offset:88 ; 4-byte Folded Reload
	buffer_load_dword v76, off, s[24:27], 0 offset:92 ; 4-byte Folded Reload
	s_waitcnt vmcnt(0)
	ds_write2_b64 v0, v[73:74], v[75:76] offset0:52 offset1:53
	buffer_load_dword v73, off, s[24:27], 0 offset:64 ; 4-byte Folded Reload
	buffer_load_dword v74, off, s[24:27], 0 offset:68 ; 4-byte Folded Reload
	buffer_load_dword v75, off, s[24:27], 0 offset:72 ; 4-byte Folded Reload
	buffer_load_dword v76, off, s[24:27], 0 offset:76 ; 4-byte Folded Reload
	;; [unrolled: 6-line block ×5, first 2 shown]
	s_waitcnt vmcnt(0)
	ds_write2_b64 v0, v[73:74], v[75:76] offset0:60 offset1:61
	ds_write2_b64 v0, v[81:82], v[83:84] offset0:62 offset1:63
	;; [unrolled: 1-line block ×6, first 2 shown]
	buffer_load_dword v73, off, s[24:27], 0 ; 4-byte Folded Reload
	buffer_load_dword v74, off, s[24:27], 0 offset:4 ; 4-byte Folded Reload
	buffer_load_dword v75, off, s[24:27], 0 offset:8 ; 4-byte Folded Reload
	;; [unrolled: 1-line block ×3, first 2 shown]
	s_waitcnt vmcnt(0)
	ds_write2_b64 v0, v[73:74], v[75:76] offset0:72 offset1:73
	ds_write2_b64 v0, v[69:70], v[71:72] offset0:74 offset1:75
	;; [unrolled: 1-line block ×20, first 2 shown]
.LBB110_522:
	s_or_b64 exec, exec, s[0:1]
	v_cmp_lt_i32_e32 vcc, 24, v93
	s_waitcnt vmcnt(0) lgkmcnt(0)
	s_barrier
	s_and_saveexec_b64 s[0:1], vcc
	s_cbranch_execz .LBB110_524
; %bb.523:
	buffer_load_dword v101, off, s[24:27], 0 offset:112 ; 4-byte Folded Reload
	buffer_load_dword v102, off, s[24:27], 0 offset:116 ; 4-byte Folded Reload
	;; [unrolled: 1-line block ×4, first 2 shown]
	v_mov_b32_e32 v100, v84
	v_mov_b32_e32 v99, v83
	;; [unrolled: 1-line block ×8, first 2 shown]
	s_waitcnt vmcnt(0)
	v_mul_f64 v[89:90], v[119:120], v[103:104]
	v_fma_f64 v[113:114], v[117:118], v[101:102], -v[89:90]
	v_mul_f64 v[89:90], v[117:118], v[103:104]
	v_fma_f64 v[103:104], v[119:120], v[101:102], v[89:90]
	ds_read2_b64 v[89:92], v0 offset0:50 offset1:51
	buffer_load_dword v73, off, s[24:27], 0 offset:96 ; 4-byte Folded Reload
	buffer_load_dword v74, off, s[24:27], 0 offset:100 ; 4-byte Folded Reload
	;; [unrolled: 1-line block ×4, first 2 shown]
	v_mov_b32_e32 v101, v113
	v_mov_b32_e32 v102, v114
	s_waitcnt lgkmcnt(0)
	v_mul_f64 v[95:96], v[91:92], v[103:104]
	v_fma_f64 v[95:96], v[89:90], v[113:114], -v[95:96]
	v_mul_f64 v[89:90], v[89:90], v[103:104]
	v_fma_f64 v[89:90], v[91:92], v[113:114], v[89:90]
	s_waitcnt vmcnt(2)
	v_add_f64 v[73:74], v[73:74], -v[95:96]
	s_waitcnt vmcnt(0)
	v_add_f64 v[75:76], v[75:76], -v[89:90]
	buffer_store_dword v73, off, s[24:27], 0 offset:96 ; 4-byte Folded Spill
	s_nop 0
	buffer_store_dword v74, off, s[24:27], 0 offset:100 ; 4-byte Folded Spill
	buffer_store_dword v75, off, s[24:27], 0 offset:104 ; 4-byte Folded Spill
	buffer_store_dword v76, off, s[24:27], 0 offset:108 ; 4-byte Folded Spill
	ds_read2_b64 v[89:92], v0 offset0:52 offset1:53
	buffer_load_dword v73, off, s[24:27], 0 offset:80 ; 4-byte Folded Reload
	buffer_load_dword v74, off, s[24:27], 0 offset:84 ; 4-byte Folded Reload
	buffer_load_dword v75, off, s[24:27], 0 offset:88 ; 4-byte Folded Reload
	buffer_load_dword v76, off, s[24:27], 0 offset:92 ; 4-byte Folded Reload
	s_waitcnt lgkmcnt(0)
	v_mul_f64 v[95:96], v[91:92], v[103:104]
	v_fma_f64 v[95:96], v[89:90], v[113:114], -v[95:96]
	v_mul_f64 v[89:90], v[89:90], v[103:104]
	v_fma_f64 v[89:90], v[91:92], v[113:114], v[89:90]
	s_waitcnt vmcnt(2)
	v_add_f64 v[73:74], v[73:74], -v[95:96]
	s_waitcnt vmcnt(0)
	v_add_f64 v[75:76], v[75:76], -v[89:90]
	buffer_store_dword v73, off, s[24:27], 0 offset:80 ; 4-byte Folded Spill
	s_nop 0
	buffer_store_dword v74, off, s[24:27], 0 offset:84 ; 4-byte Folded Spill
	buffer_store_dword v75, off, s[24:27], 0 offset:88 ; 4-byte Folded Spill
	buffer_store_dword v76, off, s[24:27], 0 offset:92 ; 4-byte Folded Spill
	ds_read2_b64 v[89:92], v0 offset0:54 offset1:55
	buffer_load_dword v73, off, s[24:27], 0 offset:64 ; 4-byte Folded Reload
	buffer_load_dword v74, off, s[24:27], 0 offset:68 ; 4-byte Folded Reload
	buffer_load_dword v75, off, s[24:27], 0 offset:72 ; 4-byte Folded Reload
	buffer_load_dword v76, off, s[24:27], 0 offset:76 ; 4-byte Folded Reload
	;; [unrolled: 19-line block ×5, first 2 shown]
	s_waitcnt lgkmcnt(0)
	v_mul_f64 v[95:96], v[91:92], v[103:104]
	v_fma_f64 v[95:96], v[89:90], v[113:114], -v[95:96]
	v_mul_f64 v[89:90], v[89:90], v[103:104]
	v_fma_f64 v[89:90], v[91:92], v[113:114], v[89:90]
	s_waitcnt vmcnt(2)
	v_add_f64 v[73:74], v[73:74], -v[95:96]
	s_waitcnt vmcnt(0)
	v_add_f64 v[75:76], v[75:76], -v[89:90]
	buffer_store_dword v73, off, s[24:27], 0 offset:16 ; 4-byte Folded Spill
	s_nop 0
	buffer_store_dword v74, off, s[24:27], 0 offset:20 ; 4-byte Folded Spill
	buffer_store_dword v75, off, s[24:27], 0 offset:24 ; 4-byte Folded Spill
	;; [unrolled: 1-line block ×3, first 2 shown]
	ds_read2_b64 v[89:92], v0 offset0:62 offset1:63
	s_waitcnt lgkmcnt(0)
	v_mul_f64 v[95:96], v[91:92], v[103:104]
	v_fma_f64 v[95:96], v[89:90], v[113:114], -v[95:96]
	v_mul_f64 v[89:90], v[89:90], v[103:104]
	v_add_f64 v[97:98], v[97:98], -v[95:96]
	v_fma_f64 v[89:90], v[91:92], v[113:114], v[89:90]
	v_add_f64 v[99:100], v[99:100], -v[89:90]
	ds_read2_b64 v[89:92], v0 offset0:64 offset1:65
	s_waitcnt lgkmcnt(0)
	v_mul_f64 v[95:96], v[91:92], v[103:104]
	v_fma_f64 v[95:96], v[89:90], v[113:114], -v[95:96]
	v_mul_f64 v[89:90], v[89:90], v[103:104]
	v_add_f64 v[85:86], v[85:86], -v[95:96]
	v_fma_f64 v[89:90], v[91:92], v[113:114], v[89:90]
	v_add_f64 v[87:88], v[87:88], -v[89:90]
	ds_read2_b64 v[89:92], v0 offset0:66 offset1:67
	s_waitcnt lgkmcnt(0)
	v_mul_f64 v[95:96], v[91:92], v[103:104]
	v_fma_f64 v[95:96], v[89:90], v[113:114], -v[95:96]
	v_mul_f64 v[89:90], v[89:90], v[103:104]
	v_add_f64 v[109:110], v[109:110], -v[95:96]
	v_fma_f64 v[89:90], v[91:92], v[113:114], v[89:90]
	v_add_f64 v[111:112], v[111:112], -v[89:90]
	ds_read2_b64 v[89:92], v0 offset0:68 offset1:69
	s_waitcnt lgkmcnt(0)
	v_mul_f64 v[95:96], v[91:92], v[103:104]
	v_fma_f64 v[95:96], v[89:90], v[113:114], -v[95:96]
	v_mul_f64 v[89:90], v[89:90], v[103:104]
	v_add_f64 v[81:82], v[81:82], -v[95:96]
	v_fma_f64 v[89:90], v[91:92], v[113:114], v[89:90]
	v_add_f64 v[83:84], v[83:84], -v[89:90]
	ds_read2_b64 v[89:92], v0 offset0:70 offset1:71
	s_waitcnt lgkmcnt(0)
	v_mul_f64 v[95:96], v[91:92], v[103:104]
	v_fma_f64 v[95:96], v[89:90], v[113:114], -v[95:96]
	v_mul_f64 v[89:90], v[89:90], v[103:104]
	v_add_f64 v[77:78], v[77:78], -v[95:96]
	v_fma_f64 v[89:90], v[91:92], v[113:114], v[89:90]
	v_add_f64 v[79:80], v[79:80], -v[89:90]
	ds_read2_b64 v[89:92], v0 offset0:72 offset1:73
	buffer_load_dword v73, off, s[24:27], 0 ; 4-byte Folded Reload
	buffer_load_dword v74, off, s[24:27], 0 offset:4 ; 4-byte Folded Reload
	buffer_load_dword v75, off, s[24:27], 0 offset:8 ; 4-byte Folded Reload
	buffer_load_dword v76, off, s[24:27], 0 offset:12 ; 4-byte Folded Reload
	s_waitcnt lgkmcnt(0)
	v_mul_f64 v[95:96], v[91:92], v[103:104]
	v_fma_f64 v[95:96], v[89:90], v[113:114], -v[95:96]
	v_mul_f64 v[89:90], v[89:90], v[103:104]
	v_fma_f64 v[89:90], v[91:92], v[113:114], v[89:90]
	s_waitcnt vmcnt(2)
	v_add_f64 v[73:74], v[73:74], -v[95:96]
	s_waitcnt vmcnt(0)
	v_add_f64 v[75:76], v[75:76], -v[89:90]
	buffer_store_dword v73, off, s[24:27], 0 ; 4-byte Folded Spill
	s_nop 0
	buffer_store_dword v74, off, s[24:27], 0 offset:4 ; 4-byte Folded Spill
	buffer_store_dword v75, off, s[24:27], 0 offset:8 ; 4-byte Folded Spill
	;; [unrolled: 1-line block ×3, first 2 shown]
	ds_read2_b64 v[89:92], v0 offset0:74 offset1:75
	s_waitcnt lgkmcnt(0)
	v_mul_f64 v[95:96], v[91:92], v[103:104]
	v_fma_f64 v[95:96], v[89:90], v[113:114], -v[95:96]
	v_mul_f64 v[89:90], v[89:90], v[103:104]
	v_add_f64 v[69:70], v[69:70], -v[95:96]
	v_fma_f64 v[89:90], v[91:92], v[113:114], v[89:90]
	v_add_f64 v[71:72], v[71:72], -v[89:90]
	ds_read2_b64 v[89:92], v0 offset0:76 offset1:77
	s_waitcnt lgkmcnt(0)
	v_mul_f64 v[95:96], v[91:92], v[103:104]
	v_fma_f64 v[95:96], v[89:90], v[113:114], -v[95:96]
	v_mul_f64 v[89:90], v[89:90], v[103:104]
	v_add_f64 v[65:66], v[65:66], -v[95:96]
	v_fma_f64 v[89:90], v[91:92], v[113:114], v[89:90]
	v_add_f64 v[67:68], v[67:68], -v[89:90]
	;; [unrolled: 8-line block ×18, first 2 shown]
	ds_read2_b64 v[89:92], v0 offset0:110 offset1:111
	s_waitcnt lgkmcnt(0)
	v_mul_f64 v[95:96], v[91:92], v[103:104]
	v_fma_f64 v[95:96], v[89:90], v[113:114], -v[95:96]
	v_mul_f64 v[89:90], v[89:90], v[103:104]
	buffer_store_dword v101, off, s[24:27], 0 offset:112 ; 4-byte Folded Spill
	s_nop 0
	buffer_store_dword v102, off, s[24:27], 0 offset:116 ; 4-byte Folded Spill
	buffer_store_dword v103, off, s[24:27], 0 offset:120 ; 4-byte Folded Spill
	;; [unrolled: 1-line block ×3, first 2 shown]
	v_add_f64 v[121:122], v[121:122], -v[95:96]
	v_fma_f64 v[89:90], v[91:92], v[113:114], v[89:90]
	v_mov_b32_e32 v116, v84
	v_mov_b32_e32 v115, v83
	;; [unrolled: 1-line block ×7, first 2 shown]
	v_add_f64 v[123:124], v[123:124], -v[89:90]
	v_mov_b32_e32 v84, v100
.LBB110_524:
	s_or_b64 exec, exec, s[0:1]
	s_waitcnt vmcnt(0)
	s_barrier
	buffer_load_dword v73, off, s[24:27], 0 offset:96 ; 4-byte Folded Reload
	buffer_load_dword v74, off, s[24:27], 0 offset:100 ; 4-byte Folded Reload
	;; [unrolled: 1-line block ×4, first 2 shown]
	v_lshl_add_u32 v89, v93, 4, v0
	s_cmp_lt_i32 s3, 27
	s_waitcnt vmcnt(0)
	ds_write2_b64 v89, v[73:74], v[75:76] offset1:1
	s_waitcnt lgkmcnt(0)
	s_barrier
	ds_read2_b64 v[117:120], v0 offset0:50 offset1:51
	v_mov_b32_e32 v89, 25
	s_cbranch_scc1 .LBB110_527
; %bb.525:
	v_add_u32_e32 v90, 0x1a0, v0
	s_mov_b32 s0, 26
	v_mov_b32_e32 v89, 25
.LBB110_526:                            ; =>This Inner Loop Header: Depth=1
	s_waitcnt lgkmcnt(0)
	v_cmp_gt_f64_e32 vcc, 0, v[117:118]
	v_xor_b32_e32 v91, 0x80000000, v118
	ds_read2_b64 v[95:98], v90 offset1:1
	v_xor_b32_e32 v99, 0x80000000, v120
	v_add_u32_e32 v90, 16, v90
	s_waitcnt lgkmcnt(0)
	v_xor_b32_e32 v101, 0x80000000, v98
	v_cndmask_b32_e32 v92, v118, v91, vcc
	v_cmp_gt_f64_e32 vcc, 0, v[119:120]
	v_mov_b32_e32 v91, v117
	v_cndmask_b32_e32 v100, v120, v99, vcc
	v_cmp_gt_f64_e32 vcc, 0, v[95:96]
	v_mov_b32_e32 v99, v119
	v_add_f64 v[91:92], v[91:92], v[99:100]
	v_xor_b32_e32 v99, 0x80000000, v96
	v_cndmask_b32_e32 v100, v96, v99, vcc
	v_cmp_gt_f64_e32 vcc, 0, v[97:98]
	v_mov_b32_e32 v99, v95
	v_cndmask_b32_e32 v102, v98, v101, vcc
	v_mov_b32_e32 v101, v97
	v_add_f64 v[99:100], v[99:100], v[101:102]
	v_cmp_lt_f64_e32 vcc, v[91:92], v[99:100]
	v_mov_b32_e32 v91, s0
	s_add_i32 s0, s0, 1
	s_cmp_lg_u32 s3, s0
	v_cndmask_b32_e32 v118, v118, v96, vcc
	v_cndmask_b32_e32 v117, v117, v95, vcc
	;; [unrolled: 1-line block ×5, first 2 shown]
	s_cbranch_scc1 .LBB110_526
.LBB110_527:
	s_waitcnt lgkmcnt(0)
	v_cmp_eq_f64_e32 vcc, 0, v[117:118]
	v_cmp_eq_f64_e64 s[0:1], 0, v[119:120]
	s_and_b64 s[0:1], vcc, s[0:1]
	s_and_saveexec_b64 s[18:19], s[0:1]
	s_xor_b64 s[0:1], exec, s[18:19]
; %bb.528:
	v_cmp_ne_u32_e32 vcc, 0, v94
	v_cndmask_b32_e32 v94, 26, v94, vcc
; %bb.529:
	s_andn2_saveexec_b64 s[0:1], s[0:1]
	s_cbranch_execz .LBB110_535
; %bb.530:
	v_cmp_ngt_f64_e64 s[18:19], |v[117:118]|, |v[119:120]|
	s_and_saveexec_b64 s[20:21], s[18:19]
	s_xor_b64 s[18:19], exec, s[20:21]
	s_cbranch_execz .LBB110_532
; %bb.531:
	v_div_scale_f64 v[90:91], s[20:21], v[119:120], v[119:120], v[117:118]
	v_rcp_f64_e32 v[95:96], v[90:91]
	v_fma_f64 v[97:98], -v[90:91], v[95:96], 1.0
	v_fma_f64 v[95:96], v[95:96], v[97:98], v[95:96]
	v_div_scale_f64 v[97:98], vcc, v[117:118], v[119:120], v[117:118]
	v_fma_f64 v[99:100], -v[90:91], v[95:96], 1.0
	v_fma_f64 v[95:96], v[95:96], v[99:100], v[95:96]
	v_mul_f64 v[99:100], v[97:98], v[95:96]
	v_fma_f64 v[90:91], -v[90:91], v[99:100], v[97:98]
	v_div_fmas_f64 v[90:91], v[90:91], v[95:96], v[99:100]
	v_div_fixup_f64 v[90:91], v[90:91], v[119:120], v[117:118]
	v_fma_f64 v[95:96], v[117:118], v[90:91], v[119:120]
	v_div_scale_f64 v[97:98], s[20:21], v[95:96], v[95:96], 1.0
	v_div_scale_f64 v[103:104], vcc, 1.0, v[95:96], 1.0
	v_rcp_f64_e32 v[99:100], v[97:98]
	v_fma_f64 v[101:102], -v[97:98], v[99:100], 1.0
	v_fma_f64 v[99:100], v[99:100], v[101:102], v[99:100]
	v_fma_f64 v[101:102], -v[97:98], v[99:100], 1.0
	v_fma_f64 v[99:100], v[99:100], v[101:102], v[99:100]
	v_mul_f64 v[101:102], v[103:104], v[99:100]
	v_fma_f64 v[97:98], -v[97:98], v[101:102], v[103:104]
	v_div_fmas_f64 v[97:98], v[97:98], v[99:100], v[101:102]
	v_div_fixup_f64 v[119:120], v[97:98], v[95:96], 1.0
	v_mul_f64 v[117:118], v[90:91], v[119:120]
	v_xor_b32_e32 v120, 0x80000000, v120
.LBB110_532:
	s_andn2_saveexec_b64 s[18:19], s[18:19]
	s_cbranch_execz .LBB110_534
; %bb.533:
	v_div_scale_f64 v[90:91], s[20:21], v[117:118], v[117:118], v[119:120]
	v_rcp_f64_e32 v[95:96], v[90:91]
	v_fma_f64 v[97:98], -v[90:91], v[95:96], 1.0
	v_fma_f64 v[95:96], v[95:96], v[97:98], v[95:96]
	v_div_scale_f64 v[97:98], vcc, v[119:120], v[117:118], v[119:120]
	v_fma_f64 v[99:100], -v[90:91], v[95:96], 1.0
	v_fma_f64 v[95:96], v[95:96], v[99:100], v[95:96]
	v_mul_f64 v[99:100], v[97:98], v[95:96]
	v_fma_f64 v[90:91], -v[90:91], v[99:100], v[97:98]
	v_div_fmas_f64 v[90:91], v[90:91], v[95:96], v[99:100]
	v_div_fixup_f64 v[90:91], v[90:91], v[117:118], v[119:120]
	v_fma_f64 v[95:96], v[119:120], v[90:91], v[117:118]
	v_div_scale_f64 v[97:98], s[20:21], v[95:96], v[95:96], 1.0
	v_div_scale_f64 v[103:104], vcc, 1.0, v[95:96], 1.0
	v_rcp_f64_e32 v[99:100], v[97:98]
	v_fma_f64 v[101:102], -v[97:98], v[99:100], 1.0
	v_fma_f64 v[99:100], v[99:100], v[101:102], v[99:100]
	v_fma_f64 v[101:102], -v[97:98], v[99:100], 1.0
	v_fma_f64 v[99:100], v[99:100], v[101:102], v[99:100]
	v_mul_f64 v[101:102], v[103:104], v[99:100]
	v_fma_f64 v[97:98], -v[97:98], v[101:102], v[103:104]
	v_div_fmas_f64 v[97:98], v[97:98], v[99:100], v[101:102]
	v_div_fixup_f64 v[117:118], v[97:98], v[95:96], 1.0
	v_mul_f64 v[119:120], v[90:91], -v[117:118]
.LBB110_534:
	s_or_b64 exec, exec, s[18:19]
.LBB110_535:
	s_or_b64 exec, exec, s[0:1]
	v_cmp_ne_u32_e32 vcc, v93, v89
	s_and_saveexec_b64 s[0:1], vcc
	s_xor_b64 s[0:1], exec, s[0:1]
	s_cbranch_execz .LBB110_541
; %bb.536:
	v_cmp_eq_u32_e32 vcc, 25, v93
	s_and_saveexec_b64 s[18:19], vcc
	s_cbranch_execz .LBB110_540
; %bb.537:
	v_cmp_ne_u32_e32 vcc, 25, v89
	s_xor_b64 s[20:21], s[6:7], -1
	s_and_b64 s[22:23], s[20:21], vcc
	s_and_saveexec_b64 s[20:21], s[22:23]
	s_cbranch_execz .LBB110_539
; %bb.538:
	v_mov_b32_e32 v73, v81
	v_mov_b32_e32 v74, v82
	;; [unrolled: 1-line block ×4, first 2 shown]
	buffer_load_dword v81, off, s[24:27], 0 offset:448 ; 4-byte Folded Reload
	buffer_load_dword v82, off, s[24:27], 0 offset:452 ; 4-byte Folded Reload
	v_ashrrev_i32_e32 v90, 31, v89
	v_lshlrev_b64 v[90:91], 2, v[89:90]
	s_waitcnt vmcnt(1)
	v_add_co_u32_e32 v90, vcc, v81, v90
	s_waitcnt vmcnt(0)
	v_addc_co_u32_e32 v91, vcc, v82, v91, vcc
	global_load_dword v92, v[90:91], off
	global_load_dword v93, v[81:82], off offset:100
	s_waitcnt vmcnt(1)
	global_store_dword v[81:82], v92, off offset:100
	v_mov_b32_e32 v84, v76
	v_mov_b32_e32 v83, v75
	;; [unrolled: 1-line block ×4, first 2 shown]
	s_waitcnt vmcnt(1)
	global_store_dword v[90:91], v93, off
.LBB110_539:
	s_or_b64 exec, exec, s[20:21]
	v_mov_b32_e32 v93, v89
	v_mov_b32_e32 v127, v89
.LBB110_540:
	s_or_b64 exec, exec, s[18:19]
.LBB110_541:
	s_andn2_saveexec_b64 s[0:1], s[0:1]
	s_cbranch_execz .LBB110_543
; %bb.542:
	buffer_load_dword v73, off, s[24:27], 0 offset:80 ; 4-byte Folded Reload
	buffer_load_dword v74, off, s[24:27], 0 offset:84 ; 4-byte Folded Reload
	;; [unrolled: 1-line block ×4, first 2 shown]
	v_mov_b32_e32 v93, 25
	s_waitcnt vmcnt(0)
	ds_write2_b64 v0, v[73:74], v[75:76] offset0:52 offset1:53
	buffer_load_dword v73, off, s[24:27], 0 offset:64 ; 4-byte Folded Reload
	buffer_load_dword v74, off, s[24:27], 0 offset:68 ; 4-byte Folded Reload
	buffer_load_dword v75, off, s[24:27], 0 offset:72 ; 4-byte Folded Reload
	buffer_load_dword v76, off, s[24:27], 0 offset:76 ; 4-byte Folded Reload
	s_waitcnt vmcnt(0)
	ds_write2_b64 v0, v[73:74], v[75:76] offset0:54 offset1:55
	buffer_load_dword v73, off, s[24:27], 0 offset:48 ; 4-byte Folded Reload
	buffer_load_dword v74, off, s[24:27], 0 offset:52 ; 4-byte Folded Reload
	buffer_load_dword v75, off, s[24:27], 0 offset:56 ; 4-byte Folded Reload
	buffer_load_dword v76, off, s[24:27], 0 offset:60 ; 4-byte Folded Reload
	;; [unrolled: 6-line block ×4, first 2 shown]
	s_waitcnt vmcnt(0)
	ds_write2_b64 v0, v[73:74], v[75:76] offset0:60 offset1:61
	ds_write2_b64 v0, v[81:82], v[83:84] offset0:62 offset1:63
	;; [unrolled: 1-line block ×6, first 2 shown]
	buffer_load_dword v73, off, s[24:27], 0 ; 4-byte Folded Reload
	buffer_load_dword v74, off, s[24:27], 0 offset:4 ; 4-byte Folded Reload
	buffer_load_dword v75, off, s[24:27], 0 offset:8 ; 4-byte Folded Reload
	;; [unrolled: 1-line block ×3, first 2 shown]
	s_waitcnt vmcnt(0)
	ds_write2_b64 v0, v[73:74], v[75:76] offset0:72 offset1:73
	ds_write2_b64 v0, v[69:70], v[71:72] offset0:74 offset1:75
	;; [unrolled: 1-line block ×20, first 2 shown]
.LBB110_543:
	s_or_b64 exec, exec, s[0:1]
	v_cmp_lt_i32_e32 vcc, 25, v93
	s_waitcnt vmcnt(0) lgkmcnt(0)
	s_barrier
	s_and_saveexec_b64 s[0:1], vcc
	s_cbranch_execz .LBB110_545
; %bb.544:
	buffer_load_dword v95, off, s[24:27], 0 offset:96 ; 4-byte Folded Reload
	buffer_load_dword v96, off, s[24:27], 0 offset:100 ; 4-byte Folded Reload
	;; [unrolled: 1-line block ×4, first 2 shown]
	s_waitcnt vmcnt(0)
	v_mul_f64 v[89:90], v[119:120], v[97:98]
	v_fma_f64 v[101:102], v[117:118], v[95:96], -v[89:90]
	v_mul_f64 v[89:90], v[117:118], v[97:98]
	v_fma_f64 v[97:98], v[119:120], v[95:96], v[89:90]
	ds_read2_b64 v[89:92], v0 offset0:52 offset1:53
	buffer_load_dword v73, off, s[24:27], 0 offset:80 ; 4-byte Folded Reload
	buffer_load_dword v74, off, s[24:27], 0 offset:84 ; 4-byte Folded Reload
	buffer_load_dword v75, off, s[24:27], 0 offset:88 ; 4-byte Folded Reload
	buffer_load_dword v76, off, s[24:27], 0 offset:92 ; 4-byte Folded Reload
	s_waitcnt lgkmcnt(0)
	v_mul_f64 v[95:96], v[91:92], v[97:98]
	v_fma_f64 v[95:96], v[89:90], v[101:102], -v[95:96]
	v_mul_f64 v[89:90], v[89:90], v[97:98]
	v_fma_f64 v[89:90], v[91:92], v[101:102], v[89:90]
	s_waitcnt vmcnt(2)
	v_add_f64 v[73:74], v[73:74], -v[95:96]
	s_waitcnt vmcnt(0)
	v_add_f64 v[75:76], v[75:76], -v[89:90]
	buffer_store_dword v73, off, s[24:27], 0 offset:80 ; 4-byte Folded Spill
	s_nop 0
	buffer_store_dword v74, off, s[24:27], 0 offset:84 ; 4-byte Folded Spill
	buffer_store_dword v75, off, s[24:27], 0 offset:88 ; 4-byte Folded Spill
	buffer_store_dword v76, off, s[24:27], 0 offset:92 ; 4-byte Folded Spill
	ds_read2_b64 v[89:92], v0 offset0:54 offset1:55
	buffer_load_dword v73, off, s[24:27], 0 offset:64 ; 4-byte Folded Reload
	buffer_load_dword v74, off, s[24:27], 0 offset:68 ; 4-byte Folded Reload
	buffer_load_dword v75, off, s[24:27], 0 offset:72 ; 4-byte Folded Reload
	buffer_load_dword v76, off, s[24:27], 0 offset:76 ; 4-byte Folded Reload
	s_waitcnt lgkmcnt(0)
	v_mul_f64 v[95:96], v[91:92], v[97:98]
	v_fma_f64 v[95:96], v[89:90], v[101:102], -v[95:96]
	v_mul_f64 v[89:90], v[89:90], v[97:98]
	v_fma_f64 v[89:90], v[91:92], v[101:102], v[89:90]
	s_waitcnt vmcnt(2)
	v_add_f64 v[73:74], v[73:74], -v[95:96]
	s_waitcnt vmcnt(0)
	v_add_f64 v[75:76], v[75:76], -v[89:90]
	buffer_store_dword v73, off, s[24:27], 0 offset:64 ; 4-byte Folded Spill
	s_nop 0
	buffer_store_dword v74, off, s[24:27], 0 offset:68 ; 4-byte Folded Spill
	buffer_store_dword v75, off, s[24:27], 0 offset:72 ; 4-byte Folded Spill
	buffer_store_dword v76, off, s[24:27], 0 offset:76 ; 4-byte Folded Spill
	;; [unrolled: 19-line block ×5, first 2 shown]
	ds_read2_b64 v[89:92], v0 offset0:62 offset1:63
	s_waitcnt lgkmcnt(0)
	v_mul_f64 v[95:96], v[91:92], v[97:98]
	v_fma_f64 v[95:96], v[89:90], v[101:102], -v[95:96]
	v_mul_f64 v[89:90], v[89:90], v[97:98]
	v_add_f64 v[81:82], v[81:82], -v[95:96]
	v_fma_f64 v[89:90], v[91:92], v[101:102], v[89:90]
	v_add_f64 v[83:84], v[83:84], -v[89:90]
	ds_read2_b64 v[89:92], v0 offset0:64 offset1:65
	s_waitcnt lgkmcnt(0)
	v_mul_f64 v[95:96], v[91:92], v[97:98]
	v_fma_f64 v[95:96], v[89:90], v[101:102], -v[95:96]
	v_mul_f64 v[89:90], v[89:90], v[97:98]
	v_add_f64 v[85:86], v[85:86], -v[95:96]
	v_fma_f64 v[89:90], v[91:92], v[101:102], v[89:90]
	v_add_f64 v[87:88], v[87:88], -v[89:90]
	;; [unrolled: 8-line block ×5, first 2 shown]
	ds_read2_b64 v[89:92], v0 offset0:72 offset1:73
	buffer_load_dword v73, off, s[24:27], 0 ; 4-byte Folded Reload
	buffer_load_dword v74, off, s[24:27], 0 offset:4 ; 4-byte Folded Reload
	buffer_load_dword v75, off, s[24:27], 0 offset:8 ; 4-byte Folded Reload
	;; [unrolled: 1-line block ×3, first 2 shown]
	s_waitcnt lgkmcnt(0)
	v_mul_f64 v[95:96], v[91:92], v[97:98]
	v_fma_f64 v[95:96], v[89:90], v[101:102], -v[95:96]
	v_mul_f64 v[89:90], v[89:90], v[97:98]
	v_fma_f64 v[89:90], v[91:92], v[101:102], v[89:90]
	s_waitcnt vmcnt(2)
	v_add_f64 v[73:74], v[73:74], -v[95:96]
	s_waitcnt vmcnt(0)
	v_add_f64 v[75:76], v[75:76], -v[89:90]
	buffer_store_dword v73, off, s[24:27], 0 ; 4-byte Folded Spill
	s_nop 0
	buffer_store_dword v74, off, s[24:27], 0 offset:4 ; 4-byte Folded Spill
	buffer_store_dword v75, off, s[24:27], 0 offset:8 ; 4-byte Folded Spill
	;; [unrolled: 1-line block ×3, first 2 shown]
	ds_read2_b64 v[89:92], v0 offset0:74 offset1:75
	s_waitcnt lgkmcnt(0)
	v_mul_f64 v[95:96], v[91:92], v[97:98]
	v_fma_f64 v[95:96], v[89:90], v[101:102], -v[95:96]
	v_mul_f64 v[89:90], v[89:90], v[97:98]
	v_add_f64 v[69:70], v[69:70], -v[95:96]
	v_fma_f64 v[89:90], v[91:92], v[101:102], v[89:90]
	v_add_f64 v[71:72], v[71:72], -v[89:90]
	ds_read2_b64 v[89:92], v0 offset0:76 offset1:77
	s_waitcnt lgkmcnt(0)
	v_mul_f64 v[95:96], v[91:92], v[97:98]
	v_fma_f64 v[95:96], v[89:90], v[101:102], -v[95:96]
	v_mul_f64 v[89:90], v[89:90], v[97:98]
	v_add_f64 v[65:66], v[65:66], -v[95:96]
	v_fma_f64 v[89:90], v[91:92], v[101:102], v[89:90]
	v_add_f64 v[67:68], v[67:68], -v[89:90]
	;; [unrolled: 8-line block ×18, first 2 shown]
	ds_read2_b64 v[89:92], v0 offset0:110 offset1:111
	s_waitcnt lgkmcnt(0)
	v_mul_f64 v[95:96], v[91:92], v[97:98]
	v_fma_f64 v[95:96], v[89:90], v[101:102], -v[95:96]
	v_mul_f64 v[89:90], v[89:90], v[97:98]
	v_add_f64 v[121:122], v[121:122], -v[95:96]
	v_fma_f64 v[89:90], v[91:92], v[101:102], v[89:90]
	v_mov_b32_e32 v95, v101
	v_mov_b32_e32 v96, v102
	buffer_store_dword v95, off, s[24:27], 0 offset:96 ; 4-byte Folded Spill
	s_nop 0
	buffer_store_dword v96, off, s[24:27], 0 offset:100 ; 4-byte Folded Spill
	buffer_store_dword v97, off, s[24:27], 0 offset:104 ; 4-byte Folded Spill
	;; [unrolled: 1-line block ×3, first 2 shown]
	v_add_f64 v[123:124], v[123:124], -v[89:90]
.LBB110_545:
	s_or_b64 exec, exec, s[0:1]
	s_waitcnt vmcnt(0)
	s_barrier
	buffer_load_dword v73, off, s[24:27], 0 offset:80 ; 4-byte Folded Reload
	buffer_load_dword v74, off, s[24:27], 0 offset:84 ; 4-byte Folded Reload
	;; [unrolled: 1-line block ×4, first 2 shown]
	v_lshl_add_u32 v89, v93, 4, v0
	s_cmp_lt_i32 s3, 28
	s_waitcnt vmcnt(0)
	ds_write2_b64 v89, v[73:74], v[75:76] offset1:1
	s_waitcnt lgkmcnt(0)
	s_barrier
	ds_read2_b64 v[117:120], v0 offset0:52 offset1:53
	v_mov_b32_e32 v89, 26
	s_cbranch_scc1 .LBB110_548
; %bb.546:
	v_add_u32_e32 v90, 0x1b0, v0
	s_mov_b32 s0, 27
	v_mov_b32_e32 v89, 26
.LBB110_547:                            ; =>This Inner Loop Header: Depth=1
	s_waitcnt lgkmcnt(0)
	v_cmp_gt_f64_e32 vcc, 0, v[117:118]
	v_xor_b32_e32 v91, 0x80000000, v118
	ds_read2_b64 v[95:98], v90 offset1:1
	v_xor_b32_e32 v99, 0x80000000, v120
	v_add_u32_e32 v90, 16, v90
	s_waitcnt lgkmcnt(0)
	v_xor_b32_e32 v101, 0x80000000, v98
	v_cndmask_b32_e32 v92, v118, v91, vcc
	v_cmp_gt_f64_e32 vcc, 0, v[119:120]
	v_mov_b32_e32 v91, v117
	v_cndmask_b32_e32 v100, v120, v99, vcc
	v_cmp_gt_f64_e32 vcc, 0, v[95:96]
	v_mov_b32_e32 v99, v119
	v_add_f64 v[91:92], v[91:92], v[99:100]
	v_xor_b32_e32 v99, 0x80000000, v96
	v_cndmask_b32_e32 v100, v96, v99, vcc
	v_cmp_gt_f64_e32 vcc, 0, v[97:98]
	v_mov_b32_e32 v99, v95
	v_cndmask_b32_e32 v102, v98, v101, vcc
	v_mov_b32_e32 v101, v97
	v_add_f64 v[99:100], v[99:100], v[101:102]
	v_cmp_lt_f64_e32 vcc, v[91:92], v[99:100]
	v_mov_b32_e32 v91, s0
	s_add_i32 s0, s0, 1
	s_cmp_lg_u32 s3, s0
	v_cndmask_b32_e32 v118, v118, v96, vcc
	v_cndmask_b32_e32 v117, v117, v95, vcc
	;; [unrolled: 1-line block ×5, first 2 shown]
	s_cbranch_scc1 .LBB110_547
.LBB110_548:
	s_waitcnt lgkmcnt(0)
	v_cmp_eq_f64_e32 vcc, 0, v[117:118]
	v_cmp_eq_f64_e64 s[0:1], 0, v[119:120]
	s_and_b64 s[0:1], vcc, s[0:1]
	s_and_saveexec_b64 s[18:19], s[0:1]
	s_xor_b64 s[0:1], exec, s[18:19]
; %bb.549:
	v_cmp_ne_u32_e32 vcc, 0, v94
	v_cndmask_b32_e32 v94, 27, v94, vcc
; %bb.550:
	s_andn2_saveexec_b64 s[0:1], s[0:1]
	s_cbranch_execz .LBB110_556
; %bb.551:
	v_cmp_ngt_f64_e64 s[18:19], |v[117:118]|, |v[119:120]|
	s_and_saveexec_b64 s[20:21], s[18:19]
	s_xor_b64 s[18:19], exec, s[20:21]
	s_cbranch_execz .LBB110_553
; %bb.552:
	v_div_scale_f64 v[90:91], s[20:21], v[119:120], v[119:120], v[117:118]
	v_rcp_f64_e32 v[95:96], v[90:91]
	v_fma_f64 v[97:98], -v[90:91], v[95:96], 1.0
	v_fma_f64 v[95:96], v[95:96], v[97:98], v[95:96]
	v_div_scale_f64 v[97:98], vcc, v[117:118], v[119:120], v[117:118]
	v_fma_f64 v[99:100], -v[90:91], v[95:96], 1.0
	v_fma_f64 v[95:96], v[95:96], v[99:100], v[95:96]
	v_mul_f64 v[99:100], v[97:98], v[95:96]
	v_fma_f64 v[90:91], -v[90:91], v[99:100], v[97:98]
	v_div_fmas_f64 v[90:91], v[90:91], v[95:96], v[99:100]
	v_div_fixup_f64 v[90:91], v[90:91], v[119:120], v[117:118]
	v_fma_f64 v[95:96], v[117:118], v[90:91], v[119:120]
	v_div_scale_f64 v[97:98], s[20:21], v[95:96], v[95:96], 1.0
	v_div_scale_f64 v[103:104], vcc, 1.0, v[95:96], 1.0
	v_rcp_f64_e32 v[99:100], v[97:98]
	v_fma_f64 v[101:102], -v[97:98], v[99:100], 1.0
	v_fma_f64 v[99:100], v[99:100], v[101:102], v[99:100]
	v_fma_f64 v[101:102], -v[97:98], v[99:100], 1.0
	v_fma_f64 v[99:100], v[99:100], v[101:102], v[99:100]
	v_mul_f64 v[101:102], v[103:104], v[99:100]
	v_fma_f64 v[97:98], -v[97:98], v[101:102], v[103:104]
	v_div_fmas_f64 v[97:98], v[97:98], v[99:100], v[101:102]
	v_div_fixup_f64 v[119:120], v[97:98], v[95:96], 1.0
	v_mul_f64 v[117:118], v[90:91], v[119:120]
	v_xor_b32_e32 v120, 0x80000000, v120
.LBB110_553:
	s_andn2_saveexec_b64 s[18:19], s[18:19]
	s_cbranch_execz .LBB110_555
; %bb.554:
	v_div_scale_f64 v[90:91], s[20:21], v[117:118], v[117:118], v[119:120]
	v_rcp_f64_e32 v[95:96], v[90:91]
	v_fma_f64 v[97:98], -v[90:91], v[95:96], 1.0
	v_fma_f64 v[95:96], v[95:96], v[97:98], v[95:96]
	v_div_scale_f64 v[97:98], vcc, v[119:120], v[117:118], v[119:120]
	v_fma_f64 v[99:100], -v[90:91], v[95:96], 1.0
	v_fma_f64 v[95:96], v[95:96], v[99:100], v[95:96]
	v_mul_f64 v[99:100], v[97:98], v[95:96]
	v_fma_f64 v[90:91], -v[90:91], v[99:100], v[97:98]
	v_div_fmas_f64 v[90:91], v[90:91], v[95:96], v[99:100]
	v_div_fixup_f64 v[90:91], v[90:91], v[117:118], v[119:120]
	v_fma_f64 v[95:96], v[119:120], v[90:91], v[117:118]
	v_div_scale_f64 v[97:98], s[20:21], v[95:96], v[95:96], 1.0
	v_div_scale_f64 v[103:104], vcc, 1.0, v[95:96], 1.0
	v_rcp_f64_e32 v[99:100], v[97:98]
	v_fma_f64 v[101:102], -v[97:98], v[99:100], 1.0
	v_fma_f64 v[99:100], v[99:100], v[101:102], v[99:100]
	v_fma_f64 v[101:102], -v[97:98], v[99:100], 1.0
	v_fma_f64 v[99:100], v[99:100], v[101:102], v[99:100]
	v_mul_f64 v[101:102], v[103:104], v[99:100]
	v_fma_f64 v[97:98], -v[97:98], v[101:102], v[103:104]
	v_div_fmas_f64 v[97:98], v[97:98], v[99:100], v[101:102]
	v_div_fixup_f64 v[117:118], v[97:98], v[95:96], 1.0
	v_mul_f64 v[119:120], v[90:91], -v[117:118]
.LBB110_555:
	s_or_b64 exec, exec, s[18:19]
.LBB110_556:
	s_or_b64 exec, exec, s[0:1]
	v_cmp_ne_u32_e32 vcc, v93, v89
	s_and_saveexec_b64 s[0:1], vcc
	s_xor_b64 s[0:1], exec, s[0:1]
	s_cbranch_execz .LBB110_562
; %bb.557:
	v_cmp_eq_u32_e32 vcc, 26, v93
	s_and_saveexec_b64 s[18:19], vcc
	s_cbranch_execz .LBB110_561
; %bb.558:
	v_cmp_ne_u32_e32 vcc, 26, v89
	s_xor_b64 s[20:21], s[6:7], -1
	s_and_b64 s[22:23], s[20:21], vcc
	s_and_saveexec_b64 s[20:21], s[22:23]
	s_cbranch_execz .LBB110_560
; %bb.559:
	v_mov_b32_e32 v73, v81
	v_mov_b32_e32 v74, v82
	v_mov_b32_e32 v75, v83
	v_mov_b32_e32 v76, v84
	buffer_load_dword v81, off, s[24:27], 0 offset:448 ; 4-byte Folded Reload
	buffer_load_dword v82, off, s[24:27], 0 offset:452 ; 4-byte Folded Reload
	v_ashrrev_i32_e32 v90, 31, v89
	v_lshlrev_b64 v[90:91], 2, v[89:90]
	s_waitcnt vmcnt(1)
	v_add_co_u32_e32 v90, vcc, v81, v90
	s_waitcnt vmcnt(0)
	v_addc_co_u32_e32 v91, vcc, v82, v91, vcc
	global_load_dword v92, v[90:91], off
	global_load_dword v93, v[81:82], off offset:104
	s_waitcnt vmcnt(1)
	global_store_dword v[81:82], v92, off offset:104
	v_mov_b32_e32 v84, v76
	v_mov_b32_e32 v83, v75
	;; [unrolled: 1-line block ×4, first 2 shown]
	s_waitcnt vmcnt(1)
	global_store_dword v[90:91], v93, off
.LBB110_560:
	s_or_b64 exec, exec, s[20:21]
	v_mov_b32_e32 v93, v89
	v_mov_b32_e32 v127, v89
.LBB110_561:
	s_or_b64 exec, exec, s[18:19]
.LBB110_562:
	s_andn2_saveexec_b64 s[0:1], s[0:1]
	s_cbranch_execz .LBB110_564
; %bb.563:
	buffer_load_dword v73, off, s[24:27], 0 offset:64 ; 4-byte Folded Reload
	buffer_load_dword v74, off, s[24:27], 0 offset:68 ; 4-byte Folded Reload
	;; [unrolled: 1-line block ×4, first 2 shown]
	v_mov_b32_e32 v93, 26
	s_waitcnt vmcnt(0)
	ds_write2_b64 v0, v[73:74], v[75:76] offset0:54 offset1:55
	buffer_load_dword v73, off, s[24:27], 0 offset:48 ; 4-byte Folded Reload
	buffer_load_dword v74, off, s[24:27], 0 offset:52 ; 4-byte Folded Reload
	buffer_load_dword v75, off, s[24:27], 0 offset:56 ; 4-byte Folded Reload
	buffer_load_dword v76, off, s[24:27], 0 offset:60 ; 4-byte Folded Reload
	s_waitcnt vmcnt(0)
	ds_write2_b64 v0, v[73:74], v[75:76] offset0:56 offset1:57
	buffer_load_dword v73, off, s[24:27], 0 offset:32 ; 4-byte Folded Reload
	buffer_load_dword v74, off, s[24:27], 0 offset:36 ; 4-byte Folded Reload
	buffer_load_dword v75, off, s[24:27], 0 offset:40 ; 4-byte Folded Reload
	buffer_load_dword v76, off, s[24:27], 0 offset:44 ; 4-byte Folded Reload
	;; [unrolled: 6-line block ×3, first 2 shown]
	s_waitcnt vmcnt(0)
	ds_write2_b64 v0, v[73:74], v[75:76] offset0:60 offset1:61
	ds_write2_b64 v0, v[81:82], v[83:84] offset0:62 offset1:63
	;; [unrolled: 1-line block ×6, first 2 shown]
	buffer_load_dword v73, off, s[24:27], 0 ; 4-byte Folded Reload
	buffer_load_dword v74, off, s[24:27], 0 offset:4 ; 4-byte Folded Reload
	buffer_load_dword v75, off, s[24:27], 0 offset:8 ; 4-byte Folded Reload
	;; [unrolled: 1-line block ×3, first 2 shown]
	s_waitcnt vmcnt(0)
	ds_write2_b64 v0, v[73:74], v[75:76] offset0:72 offset1:73
	ds_write2_b64 v0, v[69:70], v[71:72] offset0:74 offset1:75
	;; [unrolled: 1-line block ×20, first 2 shown]
.LBB110_564:
	s_or_b64 exec, exec, s[0:1]
	v_cmp_lt_i32_e32 vcc, 26, v93
	s_waitcnt vmcnt(0) lgkmcnt(0)
	s_barrier
	s_and_saveexec_b64 s[0:1], vcc
	s_cbranch_execz .LBB110_566
; %bb.565:
	buffer_load_dword v97, off, s[24:27], 0 offset:80 ; 4-byte Folded Reload
	buffer_load_dword v98, off, s[24:27], 0 offset:84 ; 4-byte Folded Reload
	;; [unrolled: 1-line block ×4, first 2 shown]
	s_waitcnt vmcnt(0)
	v_mul_f64 v[89:90], v[119:120], v[99:100]
	v_mul_f64 v[91:92], v[117:118], v[99:100]
	v_fma_f64 v[89:90], v[117:118], v[97:98], -v[89:90]
	v_fma_f64 v[99:100], v[119:120], v[97:98], v[91:92]
	ds_read2_b64 v[95:98], v0 offset0:54 offset1:55
	buffer_load_dword v73, off, s[24:27], 0 offset:64 ; 4-byte Folded Reload
	buffer_load_dword v74, off, s[24:27], 0 offset:68 ; 4-byte Folded Reload
	buffer_load_dword v75, off, s[24:27], 0 offset:72 ; 4-byte Folded Reload
	buffer_load_dword v76, off, s[24:27], 0 offset:76 ; 4-byte Folded Reload
	s_waitcnt lgkmcnt(0)
	v_mul_f64 v[91:92], v[97:98], v[99:100]
	v_fma_f64 v[91:92], v[95:96], v[89:90], -v[91:92]
	v_mul_f64 v[95:96], v[95:96], v[99:100]
	v_fma_f64 v[95:96], v[97:98], v[89:90], v[95:96]
	s_waitcnt vmcnt(2)
	v_add_f64 v[73:74], v[73:74], -v[91:92]
	s_waitcnt vmcnt(0)
	v_add_f64 v[75:76], v[75:76], -v[95:96]
	buffer_store_dword v73, off, s[24:27], 0 offset:64 ; 4-byte Folded Spill
	s_nop 0
	buffer_store_dword v74, off, s[24:27], 0 offset:68 ; 4-byte Folded Spill
	buffer_store_dword v75, off, s[24:27], 0 offset:72 ; 4-byte Folded Spill
	buffer_store_dword v76, off, s[24:27], 0 offset:76 ; 4-byte Folded Spill
	ds_read2_b64 v[95:98], v0 offset0:56 offset1:57
	buffer_load_dword v73, off, s[24:27], 0 offset:48 ; 4-byte Folded Reload
	buffer_load_dword v74, off, s[24:27], 0 offset:52 ; 4-byte Folded Reload
	buffer_load_dword v75, off, s[24:27], 0 offset:56 ; 4-byte Folded Reload
	buffer_load_dword v76, off, s[24:27], 0 offset:60 ; 4-byte Folded Reload
	s_waitcnt lgkmcnt(0)
	v_mul_f64 v[91:92], v[97:98], v[99:100]
	v_fma_f64 v[91:92], v[95:96], v[89:90], -v[91:92]
	v_mul_f64 v[95:96], v[95:96], v[99:100]
	v_fma_f64 v[95:96], v[97:98], v[89:90], v[95:96]
	s_waitcnt vmcnt(2)
	v_add_f64 v[73:74], v[73:74], -v[91:92]
	s_waitcnt vmcnt(0)
	v_add_f64 v[75:76], v[75:76], -v[95:96]
	buffer_store_dword v73, off, s[24:27], 0 offset:48 ; 4-byte Folded Spill
	s_nop 0
	buffer_store_dword v74, off, s[24:27], 0 offset:52 ; 4-byte Folded Spill
	buffer_store_dword v75, off, s[24:27], 0 offset:56 ; 4-byte Folded Spill
	buffer_store_dword v76, off, s[24:27], 0 offset:60 ; 4-byte Folded Spill
	ds_read2_b64 v[95:98], v0 offset0:58 offset1:59
	buffer_load_dword v73, off, s[24:27], 0 offset:32 ; 4-byte Folded Reload
	buffer_load_dword v74, off, s[24:27], 0 offset:36 ; 4-byte Folded Reload
	buffer_load_dword v75, off, s[24:27], 0 offset:40 ; 4-byte Folded Reload
	buffer_load_dword v76, off, s[24:27], 0 offset:44 ; 4-byte Folded Reload
	s_waitcnt lgkmcnt(0)
	v_mul_f64 v[91:92], v[97:98], v[99:100]
	v_fma_f64 v[91:92], v[95:96], v[89:90], -v[91:92]
	v_mul_f64 v[95:96], v[95:96], v[99:100]
	v_fma_f64 v[95:96], v[97:98], v[89:90], v[95:96]
	s_waitcnt vmcnt(2)
	v_add_f64 v[73:74], v[73:74], -v[91:92]
	s_waitcnt vmcnt(0)
	v_add_f64 v[75:76], v[75:76], -v[95:96]
	buffer_store_dword v73, off, s[24:27], 0 offset:32 ; 4-byte Folded Spill
	s_nop 0
	buffer_store_dword v74, off, s[24:27], 0 offset:36 ; 4-byte Folded Spill
	buffer_store_dword v75, off, s[24:27], 0 offset:40 ; 4-byte Folded Spill
	buffer_store_dword v76, off, s[24:27], 0 offset:44 ; 4-byte Folded Spill
	ds_read2_b64 v[95:98], v0 offset0:60 offset1:61
	buffer_load_dword v73, off, s[24:27], 0 offset:16 ; 4-byte Folded Reload
	buffer_load_dword v74, off, s[24:27], 0 offset:20 ; 4-byte Folded Reload
	buffer_load_dword v75, off, s[24:27], 0 offset:24 ; 4-byte Folded Reload
	buffer_load_dword v76, off, s[24:27], 0 offset:28 ; 4-byte Folded Reload
	s_waitcnt lgkmcnt(0)
	v_mul_f64 v[91:92], v[97:98], v[99:100]
	v_fma_f64 v[91:92], v[95:96], v[89:90], -v[91:92]
	v_mul_f64 v[95:96], v[95:96], v[99:100]
	v_fma_f64 v[95:96], v[97:98], v[89:90], v[95:96]
	s_waitcnt vmcnt(2)
	v_add_f64 v[73:74], v[73:74], -v[91:92]
	s_waitcnt vmcnt(0)
	v_add_f64 v[75:76], v[75:76], -v[95:96]
	buffer_store_dword v73, off, s[24:27], 0 offset:16 ; 4-byte Folded Spill
	s_nop 0
	buffer_store_dword v74, off, s[24:27], 0 offset:20 ; 4-byte Folded Spill
	buffer_store_dword v75, off, s[24:27], 0 offset:24 ; 4-byte Folded Spill
	buffer_store_dword v76, off, s[24:27], 0 offset:28 ; 4-byte Folded Spill
	ds_read2_b64 v[95:98], v0 offset0:62 offset1:63
	s_waitcnt lgkmcnt(0)
	v_mul_f64 v[91:92], v[97:98], v[99:100]
	v_fma_f64 v[91:92], v[95:96], v[89:90], -v[91:92]
	v_mul_f64 v[95:96], v[95:96], v[99:100]
	v_add_f64 v[81:82], v[81:82], -v[91:92]
	v_fma_f64 v[95:96], v[97:98], v[89:90], v[95:96]
	v_add_f64 v[83:84], v[83:84], -v[95:96]
	ds_read2_b64 v[95:98], v0 offset0:64 offset1:65
	s_waitcnt lgkmcnt(0)
	v_mul_f64 v[91:92], v[97:98], v[99:100]
	v_fma_f64 v[91:92], v[95:96], v[89:90], -v[91:92]
	v_mul_f64 v[95:96], v[95:96], v[99:100]
	v_add_f64 v[85:86], v[85:86], -v[91:92]
	v_fma_f64 v[95:96], v[97:98], v[89:90], v[95:96]
	v_add_f64 v[87:88], v[87:88], -v[95:96]
	;; [unrolled: 8-line block ×5, first 2 shown]
	ds_read2_b64 v[95:98], v0 offset0:72 offset1:73
	buffer_load_dword v73, off, s[24:27], 0 ; 4-byte Folded Reload
	buffer_load_dword v74, off, s[24:27], 0 offset:4 ; 4-byte Folded Reload
	buffer_load_dword v75, off, s[24:27], 0 offset:8 ; 4-byte Folded Reload
	;; [unrolled: 1-line block ×3, first 2 shown]
	s_waitcnt lgkmcnt(0)
	v_mul_f64 v[91:92], v[97:98], v[99:100]
	v_fma_f64 v[91:92], v[95:96], v[89:90], -v[91:92]
	v_mul_f64 v[95:96], v[95:96], v[99:100]
	v_fma_f64 v[95:96], v[97:98], v[89:90], v[95:96]
	s_waitcnt vmcnt(2)
	v_add_f64 v[73:74], v[73:74], -v[91:92]
	s_waitcnt vmcnt(0)
	v_add_f64 v[75:76], v[75:76], -v[95:96]
	buffer_store_dword v73, off, s[24:27], 0 ; 4-byte Folded Spill
	s_nop 0
	buffer_store_dword v74, off, s[24:27], 0 offset:4 ; 4-byte Folded Spill
	buffer_store_dword v75, off, s[24:27], 0 offset:8 ; 4-byte Folded Spill
	;; [unrolled: 1-line block ×3, first 2 shown]
	ds_read2_b64 v[95:98], v0 offset0:74 offset1:75
	s_waitcnt lgkmcnt(0)
	v_mul_f64 v[91:92], v[97:98], v[99:100]
	v_fma_f64 v[91:92], v[95:96], v[89:90], -v[91:92]
	v_mul_f64 v[95:96], v[95:96], v[99:100]
	v_add_f64 v[69:70], v[69:70], -v[91:92]
	v_fma_f64 v[95:96], v[97:98], v[89:90], v[95:96]
	v_add_f64 v[71:72], v[71:72], -v[95:96]
	ds_read2_b64 v[95:98], v0 offset0:76 offset1:77
	s_waitcnt lgkmcnt(0)
	v_mul_f64 v[91:92], v[97:98], v[99:100]
	v_fma_f64 v[91:92], v[95:96], v[89:90], -v[91:92]
	v_mul_f64 v[95:96], v[95:96], v[99:100]
	v_add_f64 v[65:66], v[65:66], -v[91:92]
	v_fma_f64 v[95:96], v[97:98], v[89:90], v[95:96]
	v_add_f64 v[67:68], v[67:68], -v[95:96]
	;; [unrolled: 8-line block ×18, first 2 shown]
	ds_read2_b64 v[95:98], v0 offset0:110 offset1:111
	s_waitcnt lgkmcnt(0)
	v_mul_f64 v[91:92], v[97:98], v[99:100]
	v_fma_f64 v[91:92], v[95:96], v[89:90], -v[91:92]
	v_mul_f64 v[95:96], v[95:96], v[99:100]
	v_add_f64 v[121:122], v[121:122], -v[91:92]
	v_fma_f64 v[95:96], v[97:98], v[89:90], v[95:96]
	v_mov_b32_e32 v98, v90
	v_mov_b32_e32 v97, v89
	buffer_store_dword v97, off, s[24:27], 0 offset:80 ; 4-byte Folded Spill
	s_nop 0
	buffer_store_dword v98, off, s[24:27], 0 offset:84 ; 4-byte Folded Spill
	buffer_store_dword v99, off, s[24:27], 0 offset:88 ; 4-byte Folded Spill
	;; [unrolled: 1-line block ×3, first 2 shown]
	v_add_f64 v[123:124], v[123:124], -v[95:96]
.LBB110_566:
	s_or_b64 exec, exec, s[0:1]
	s_waitcnt vmcnt(0)
	s_barrier
	buffer_load_dword v73, off, s[24:27], 0 offset:64 ; 4-byte Folded Reload
	buffer_load_dword v74, off, s[24:27], 0 offset:68 ; 4-byte Folded Reload
	buffer_load_dword v75, off, s[24:27], 0 offset:72 ; 4-byte Folded Reload
	buffer_load_dword v76, off, s[24:27], 0 offset:76 ; 4-byte Folded Reload
	v_lshl_add_u32 v89, v93, 4, v0
	s_cmp_lt_i32 s3, 29
	s_waitcnt vmcnt(0)
	ds_write2_b64 v89, v[73:74], v[75:76] offset1:1
	s_waitcnt lgkmcnt(0)
	s_barrier
	ds_read2_b64 v[117:120], v0 offset0:54 offset1:55
	v_mov_b32_e32 v89, 27
	s_cbranch_scc1 .LBB110_569
; %bb.567:
	v_add_u32_e32 v90, 0x1c0, v0
	s_mov_b32 s0, 28
	v_mov_b32_e32 v89, 27
.LBB110_568:                            ; =>This Inner Loop Header: Depth=1
	s_waitcnt lgkmcnt(0)
	v_cmp_gt_f64_e32 vcc, 0, v[117:118]
	v_xor_b32_e32 v91, 0x80000000, v118
	ds_read2_b64 v[95:98], v90 offset1:1
	v_xor_b32_e32 v99, 0x80000000, v120
	v_add_u32_e32 v90, 16, v90
	s_waitcnt lgkmcnt(0)
	v_xor_b32_e32 v101, 0x80000000, v98
	v_cndmask_b32_e32 v92, v118, v91, vcc
	v_cmp_gt_f64_e32 vcc, 0, v[119:120]
	v_mov_b32_e32 v91, v117
	v_cndmask_b32_e32 v100, v120, v99, vcc
	v_cmp_gt_f64_e32 vcc, 0, v[95:96]
	v_mov_b32_e32 v99, v119
	v_add_f64 v[91:92], v[91:92], v[99:100]
	v_xor_b32_e32 v99, 0x80000000, v96
	v_cndmask_b32_e32 v100, v96, v99, vcc
	v_cmp_gt_f64_e32 vcc, 0, v[97:98]
	v_mov_b32_e32 v99, v95
	v_cndmask_b32_e32 v102, v98, v101, vcc
	v_mov_b32_e32 v101, v97
	v_add_f64 v[99:100], v[99:100], v[101:102]
	v_cmp_lt_f64_e32 vcc, v[91:92], v[99:100]
	v_mov_b32_e32 v91, s0
	s_add_i32 s0, s0, 1
	s_cmp_lg_u32 s3, s0
	v_cndmask_b32_e32 v118, v118, v96, vcc
	v_cndmask_b32_e32 v117, v117, v95, vcc
	;; [unrolled: 1-line block ×5, first 2 shown]
	s_cbranch_scc1 .LBB110_568
.LBB110_569:
	s_waitcnt lgkmcnt(0)
	v_cmp_eq_f64_e32 vcc, 0, v[117:118]
	v_cmp_eq_f64_e64 s[0:1], 0, v[119:120]
	s_and_b64 s[0:1], vcc, s[0:1]
	s_and_saveexec_b64 s[18:19], s[0:1]
	s_xor_b64 s[0:1], exec, s[18:19]
; %bb.570:
	v_cmp_ne_u32_e32 vcc, 0, v94
	v_cndmask_b32_e32 v94, 28, v94, vcc
; %bb.571:
	s_andn2_saveexec_b64 s[0:1], s[0:1]
	s_cbranch_execz .LBB110_577
; %bb.572:
	v_cmp_ngt_f64_e64 s[18:19], |v[117:118]|, |v[119:120]|
	s_and_saveexec_b64 s[20:21], s[18:19]
	s_xor_b64 s[18:19], exec, s[20:21]
	s_cbranch_execz .LBB110_574
; %bb.573:
	v_div_scale_f64 v[90:91], s[20:21], v[119:120], v[119:120], v[117:118]
	v_rcp_f64_e32 v[95:96], v[90:91]
	v_fma_f64 v[97:98], -v[90:91], v[95:96], 1.0
	v_fma_f64 v[95:96], v[95:96], v[97:98], v[95:96]
	v_div_scale_f64 v[97:98], vcc, v[117:118], v[119:120], v[117:118]
	v_fma_f64 v[99:100], -v[90:91], v[95:96], 1.0
	v_fma_f64 v[95:96], v[95:96], v[99:100], v[95:96]
	v_mul_f64 v[99:100], v[97:98], v[95:96]
	v_fma_f64 v[90:91], -v[90:91], v[99:100], v[97:98]
	v_div_fmas_f64 v[90:91], v[90:91], v[95:96], v[99:100]
	v_div_fixup_f64 v[90:91], v[90:91], v[119:120], v[117:118]
	v_fma_f64 v[95:96], v[117:118], v[90:91], v[119:120]
	v_div_scale_f64 v[97:98], s[20:21], v[95:96], v[95:96], 1.0
	v_div_scale_f64 v[103:104], vcc, 1.0, v[95:96], 1.0
	v_rcp_f64_e32 v[99:100], v[97:98]
	v_fma_f64 v[101:102], -v[97:98], v[99:100], 1.0
	v_fma_f64 v[99:100], v[99:100], v[101:102], v[99:100]
	v_fma_f64 v[101:102], -v[97:98], v[99:100], 1.0
	v_fma_f64 v[99:100], v[99:100], v[101:102], v[99:100]
	v_mul_f64 v[101:102], v[103:104], v[99:100]
	v_fma_f64 v[97:98], -v[97:98], v[101:102], v[103:104]
	v_div_fmas_f64 v[97:98], v[97:98], v[99:100], v[101:102]
	v_div_fixup_f64 v[119:120], v[97:98], v[95:96], 1.0
	v_mul_f64 v[117:118], v[90:91], v[119:120]
	v_xor_b32_e32 v120, 0x80000000, v120
.LBB110_574:
	s_andn2_saveexec_b64 s[18:19], s[18:19]
	s_cbranch_execz .LBB110_576
; %bb.575:
	v_div_scale_f64 v[90:91], s[20:21], v[117:118], v[117:118], v[119:120]
	v_rcp_f64_e32 v[95:96], v[90:91]
	v_fma_f64 v[97:98], -v[90:91], v[95:96], 1.0
	v_fma_f64 v[95:96], v[95:96], v[97:98], v[95:96]
	v_div_scale_f64 v[97:98], vcc, v[119:120], v[117:118], v[119:120]
	v_fma_f64 v[99:100], -v[90:91], v[95:96], 1.0
	v_fma_f64 v[95:96], v[95:96], v[99:100], v[95:96]
	v_mul_f64 v[99:100], v[97:98], v[95:96]
	v_fma_f64 v[90:91], -v[90:91], v[99:100], v[97:98]
	v_div_fmas_f64 v[90:91], v[90:91], v[95:96], v[99:100]
	v_div_fixup_f64 v[90:91], v[90:91], v[117:118], v[119:120]
	v_fma_f64 v[95:96], v[119:120], v[90:91], v[117:118]
	v_div_scale_f64 v[97:98], s[20:21], v[95:96], v[95:96], 1.0
	v_div_scale_f64 v[103:104], vcc, 1.0, v[95:96], 1.0
	v_rcp_f64_e32 v[99:100], v[97:98]
	v_fma_f64 v[101:102], -v[97:98], v[99:100], 1.0
	v_fma_f64 v[99:100], v[99:100], v[101:102], v[99:100]
	v_fma_f64 v[101:102], -v[97:98], v[99:100], 1.0
	v_fma_f64 v[99:100], v[99:100], v[101:102], v[99:100]
	v_mul_f64 v[101:102], v[103:104], v[99:100]
	v_fma_f64 v[97:98], -v[97:98], v[101:102], v[103:104]
	v_div_fmas_f64 v[97:98], v[97:98], v[99:100], v[101:102]
	v_div_fixup_f64 v[117:118], v[97:98], v[95:96], 1.0
	v_mul_f64 v[119:120], v[90:91], -v[117:118]
.LBB110_576:
	s_or_b64 exec, exec, s[18:19]
.LBB110_577:
	s_or_b64 exec, exec, s[0:1]
	v_cmp_ne_u32_e32 vcc, v93, v89
	s_and_saveexec_b64 s[0:1], vcc
	s_xor_b64 s[0:1], exec, s[0:1]
	s_cbranch_execz .LBB110_583
; %bb.578:
	v_cmp_eq_u32_e32 vcc, 27, v93
	s_and_saveexec_b64 s[18:19], vcc
	s_cbranch_execz .LBB110_582
; %bb.579:
	v_cmp_ne_u32_e32 vcc, 27, v89
	s_xor_b64 s[20:21], s[6:7], -1
	s_and_b64 s[22:23], s[20:21], vcc
	s_and_saveexec_b64 s[20:21], s[22:23]
	s_cbranch_execz .LBB110_581
; %bb.580:
	v_mov_b32_e32 v73, v81
	v_mov_b32_e32 v74, v82
	;; [unrolled: 1-line block ×4, first 2 shown]
	buffer_load_dword v81, off, s[24:27], 0 offset:448 ; 4-byte Folded Reload
	buffer_load_dword v82, off, s[24:27], 0 offset:452 ; 4-byte Folded Reload
	v_ashrrev_i32_e32 v90, 31, v89
	v_lshlrev_b64 v[90:91], 2, v[89:90]
	s_waitcnt vmcnt(1)
	v_add_co_u32_e32 v90, vcc, v81, v90
	s_waitcnt vmcnt(0)
	v_addc_co_u32_e32 v91, vcc, v82, v91, vcc
	global_load_dword v92, v[90:91], off
	global_load_dword v93, v[81:82], off offset:108
	s_waitcnt vmcnt(1)
	global_store_dword v[81:82], v92, off offset:108
	v_mov_b32_e32 v84, v76
	v_mov_b32_e32 v83, v75
	;; [unrolled: 1-line block ×4, first 2 shown]
	s_waitcnt vmcnt(1)
	global_store_dword v[90:91], v93, off
.LBB110_581:
	s_or_b64 exec, exec, s[20:21]
	v_mov_b32_e32 v93, v89
	v_mov_b32_e32 v127, v89
.LBB110_582:
	s_or_b64 exec, exec, s[18:19]
.LBB110_583:
	s_andn2_saveexec_b64 s[0:1], s[0:1]
	s_cbranch_execz .LBB110_585
; %bb.584:
	buffer_load_dword v73, off, s[24:27], 0 offset:48 ; 4-byte Folded Reload
	buffer_load_dword v74, off, s[24:27], 0 offset:52 ; 4-byte Folded Reload
	;; [unrolled: 1-line block ×4, first 2 shown]
	v_mov_b32_e32 v93, 27
	s_waitcnt vmcnt(0)
	ds_write2_b64 v0, v[73:74], v[75:76] offset0:56 offset1:57
	buffer_load_dword v73, off, s[24:27], 0 offset:32 ; 4-byte Folded Reload
	buffer_load_dword v74, off, s[24:27], 0 offset:36 ; 4-byte Folded Reload
	;; [unrolled: 1-line block ×4, first 2 shown]
	s_waitcnt vmcnt(0)
	ds_write2_b64 v0, v[73:74], v[75:76] offset0:58 offset1:59
	buffer_load_dword v73, off, s[24:27], 0 offset:16 ; 4-byte Folded Reload
	buffer_load_dword v74, off, s[24:27], 0 offset:20 ; 4-byte Folded Reload
	;; [unrolled: 1-line block ×4, first 2 shown]
	s_waitcnt vmcnt(0)
	ds_write2_b64 v0, v[73:74], v[75:76] offset0:60 offset1:61
	ds_write2_b64 v0, v[81:82], v[83:84] offset0:62 offset1:63
	;; [unrolled: 1-line block ×6, first 2 shown]
	buffer_load_dword v73, off, s[24:27], 0 ; 4-byte Folded Reload
	buffer_load_dword v74, off, s[24:27], 0 offset:4 ; 4-byte Folded Reload
	buffer_load_dword v75, off, s[24:27], 0 offset:8 ; 4-byte Folded Reload
	;; [unrolled: 1-line block ×3, first 2 shown]
	s_waitcnt vmcnt(0)
	ds_write2_b64 v0, v[73:74], v[75:76] offset0:72 offset1:73
	ds_write2_b64 v0, v[69:70], v[71:72] offset0:74 offset1:75
	;; [unrolled: 1-line block ×20, first 2 shown]
.LBB110_585:
	s_or_b64 exec, exec, s[0:1]
	v_cmp_lt_i32_e32 vcc, 27, v93
	s_waitcnt vmcnt(0) lgkmcnt(0)
	s_barrier
	s_and_saveexec_b64 s[0:1], vcc
	s_cbranch_execz .LBB110_587
; %bb.586:
	buffer_load_dword v97, off, s[24:27], 0 offset:64 ; 4-byte Folded Reload
	buffer_load_dword v98, off, s[24:27], 0 offset:68 ; 4-byte Folded Reload
	buffer_load_dword v99, off, s[24:27], 0 offset:72 ; 4-byte Folded Reload
	buffer_load_dword v100, off, s[24:27], 0 offset:76 ; 4-byte Folded Reload
	s_waitcnt vmcnt(0)
	v_mul_f64 v[89:90], v[119:120], v[99:100]
	v_mul_f64 v[91:92], v[117:118], v[99:100]
	v_fma_f64 v[89:90], v[117:118], v[97:98], -v[89:90]
	v_fma_f64 v[99:100], v[119:120], v[97:98], v[91:92]
	ds_read2_b64 v[95:98], v0 offset0:56 offset1:57
	buffer_load_dword v73, off, s[24:27], 0 offset:48 ; 4-byte Folded Reload
	buffer_load_dword v74, off, s[24:27], 0 offset:52 ; 4-byte Folded Reload
	buffer_load_dword v75, off, s[24:27], 0 offset:56 ; 4-byte Folded Reload
	buffer_load_dword v76, off, s[24:27], 0 offset:60 ; 4-byte Folded Reload
	s_waitcnt lgkmcnt(0)
	v_mul_f64 v[91:92], v[97:98], v[99:100]
	v_fma_f64 v[91:92], v[95:96], v[89:90], -v[91:92]
	v_mul_f64 v[95:96], v[95:96], v[99:100]
	v_fma_f64 v[95:96], v[97:98], v[89:90], v[95:96]
	s_waitcnt vmcnt(2)
	v_add_f64 v[73:74], v[73:74], -v[91:92]
	s_waitcnt vmcnt(0)
	v_add_f64 v[75:76], v[75:76], -v[95:96]
	buffer_store_dword v73, off, s[24:27], 0 offset:48 ; 4-byte Folded Spill
	s_nop 0
	buffer_store_dword v74, off, s[24:27], 0 offset:52 ; 4-byte Folded Spill
	buffer_store_dword v75, off, s[24:27], 0 offset:56 ; 4-byte Folded Spill
	buffer_store_dword v76, off, s[24:27], 0 offset:60 ; 4-byte Folded Spill
	ds_read2_b64 v[95:98], v0 offset0:58 offset1:59
	buffer_load_dword v73, off, s[24:27], 0 offset:32 ; 4-byte Folded Reload
	buffer_load_dword v74, off, s[24:27], 0 offset:36 ; 4-byte Folded Reload
	buffer_load_dword v75, off, s[24:27], 0 offset:40 ; 4-byte Folded Reload
	buffer_load_dword v76, off, s[24:27], 0 offset:44 ; 4-byte Folded Reload
	s_waitcnt lgkmcnt(0)
	v_mul_f64 v[91:92], v[97:98], v[99:100]
	v_fma_f64 v[91:92], v[95:96], v[89:90], -v[91:92]
	v_mul_f64 v[95:96], v[95:96], v[99:100]
	v_fma_f64 v[95:96], v[97:98], v[89:90], v[95:96]
	s_waitcnt vmcnt(2)
	v_add_f64 v[73:74], v[73:74], -v[91:92]
	s_waitcnt vmcnt(0)
	v_add_f64 v[75:76], v[75:76], -v[95:96]
	buffer_store_dword v73, off, s[24:27], 0 offset:32 ; 4-byte Folded Spill
	s_nop 0
	buffer_store_dword v74, off, s[24:27], 0 offset:36 ; 4-byte Folded Spill
	buffer_store_dword v75, off, s[24:27], 0 offset:40 ; 4-byte Folded Spill
	buffer_store_dword v76, off, s[24:27], 0 offset:44 ; 4-byte Folded Spill
	;; [unrolled: 19-line block ×3, first 2 shown]
	ds_read2_b64 v[95:98], v0 offset0:62 offset1:63
	s_waitcnt lgkmcnt(0)
	v_mul_f64 v[91:92], v[97:98], v[99:100]
	v_fma_f64 v[91:92], v[95:96], v[89:90], -v[91:92]
	v_mul_f64 v[95:96], v[95:96], v[99:100]
	v_add_f64 v[81:82], v[81:82], -v[91:92]
	v_fma_f64 v[95:96], v[97:98], v[89:90], v[95:96]
	v_add_f64 v[83:84], v[83:84], -v[95:96]
	ds_read2_b64 v[95:98], v0 offset0:64 offset1:65
	s_waitcnt lgkmcnt(0)
	v_mul_f64 v[91:92], v[97:98], v[99:100]
	v_fma_f64 v[91:92], v[95:96], v[89:90], -v[91:92]
	v_mul_f64 v[95:96], v[95:96], v[99:100]
	v_add_f64 v[85:86], v[85:86], -v[91:92]
	v_fma_f64 v[95:96], v[97:98], v[89:90], v[95:96]
	v_add_f64 v[87:88], v[87:88], -v[95:96]
	;; [unrolled: 8-line block ×5, first 2 shown]
	ds_read2_b64 v[95:98], v0 offset0:72 offset1:73
	buffer_load_dword v73, off, s[24:27], 0 ; 4-byte Folded Reload
	buffer_load_dword v74, off, s[24:27], 0 offset:4 ; 4-byte Folded Reload
	buffer_load_dword v75, off, s[24:27], 0 offset:8 ; 4-byte Folded Reload
	;; [unrolled: 1-line block ×3, first 2 shown]
	s_waitcnt lgkmcnt(0)
	v_mul_f64 v[91:92], v[97:98], v[99:100]
	v_fma_f64 v[91:92], v[95:96], v[89:90], -v[91:92]
	v_mul_f64 v[95:96], v[95:96], v[99:100]
	v_fma_f64 v[95:96], v[97:98], v[89:90], v[95:96]
	s_waitcnt vmcnt(2)
	v_add_f64 v[73:74], v[73:74], -v[91:92]
	s_waitcnt vmcnt(0)
	v_add_f64 v[75:76], v[75:76], -v[95:96]
	buffer_store_dword v73, off, s[24:27], 0 ; 4-byte Folded Spill
	s_nop 0
	buffer_store_dword v74, off, s[24:27], 0 offset:4 ; 4-byte Folded Spill
	buffer_store_dword v75, off, s[24:27], 0 offset:8 ; 4-byte Folded Spill
	;; [unrolled: 1-line block ×3, first 2 shown]
	ds_read2_b64 v[95:98], v0 offset0:74 offset1:75
	s_waitcnt lgkmcnt(0)
	v_mul_f64 v[91:92], v[97:98], v[99:100]
	v_fma_f64 v[91:92], v[95:96], v[89:90], -v[91:92]
	v_mul_f64 v[95:96], v[95:96], v[99:100]
	v_add_f64 v[69:70], v[69:70], -v[91:92]
	v_fma_f64 v[95:96], v[97:98], v[89:90], v[95:96]
	v_add_f64 v[71:72], v[71:72], -v[95:96]
	ds_read2_b64 v[95:98], v0 offset0:76 offset1:77
	s_waitcnt lgkmcnt(0)
	v_mul_f64 v[91:92], v[97:98], v[99:100]
	v_fma_f64 v[91:92], v[95:96], v[89:90], -v[91:92]
	v_mul_f64 v[95:96], v[95:96], v[99:100]
	v_add_f64 v[65:66], v[65:66], -v[91:92]
	v_fma_f64 v[95:96], v[97:98], v[89:90], v[95:96]
	v_add_f64 v[67:68], v[67:68], -v[95:96]
	;; [unrolled: 8-line block ×18, first 2 shown]
	ds_read2_b64 v[95:98], v0 offset0:110 offset1:111
	s_waitcnt lgkmcnt(0)
	v_mul_f64 v[91:92], v[97:98], v[99:100]
	v_fma_f64 v[91:92], v[95:96], v[89:90], -v[91:92]
	v_mul_f64 v[95:96], v[95:96], v[99:100]
	v_add_f64 v[121:122], v[121:122], -v[91:92]
	v_fma_f64 v[95:96], v[97:98], v[89:90], v[95:96]
	v_mov_b32_e32 v98, v90
	v_mov_b32_e32 v97, v89
	buffer_store_dword v97, off, s[24:27], 0 offset:64 ; 4-byte Folded Spill
	s_nop 0
	buffer_store_dword v98, off, s[24:27], 0 offset:68 ; 4-byte Folded Spill
	buffer_store_dword v99, off, s[24:27], 0 offset:72 ; 4-byte Folded Spill
	;; [unrolled: 1-line block ×3, first 2 shown]
	v_add_f64 v[123:124], v[123:124], -v[95:96]
.LBB110_587:
	s_or_b64 exec, exec, s[0:1]
	s_waitcnt vmcnt(0)
	s_barrier
	buffer_load_dword v73, off, s[24:27], 0 offset:48 ; 4-byte Folded Reload
	buffer_load_dword v74, off, s[24:27], 0 offset:52 ; 4-byte Folded Reload
	;; [unrolled: 1-line block ×4, first 2 shown]
	v_lshl_add_u32 v89, v93, 4, v0
	s_cmp_lt_i32 s3, 30
	s_waitcnt vmcnt(0)
	ds_write2_b64 v89, v[73:74], v[75:76] offset1:1
	s_waitcnt lgkmcnt(0)
	s_barrier
	ds_read2_b64 v[117:120], v0 offset0:56 offset1:57
	v_mov_b32_e32 v89, 28
	s_cbranch_scc1 .LBB110_590
; %bb.588:
	v_add_u32_e32 v90, 0x1d0, v0
	s_mov_b32 s0, 29
	v_mov_b32_e32 v89, 28
.LBB110_589:                            ; =>This Inner Loop Header: Depth=1
	s_waitcnt lgkmcnt(0)
	v_cmp_gt_f64_e32 vcc, 0, v[117:118]
	v_xor_b32_e32 v91, 0x80000000, v118
	ds_read2_b64 v[95:98], v90 offset1:1
	v_xor_b32_e32 v99, 0x80000000, v120
	v_add_u32_e32 v90, 16, v90
	s_waitcnt lgkmcnt(0)
	v_xor_b32_e32 v101, 0x80000000, v98
	v_cndmask_b32_e32 v92, v118, v91, vcc
	v_cmp_gt_f64_e32 vcc, 0, v[119:120]
	v_mov_b32_e32 v91, v117
	v_cndmask_b32_e32 v100, v120, v99, vcc
	v_cmp_gt_f64_e32 vcc, 0, v[95:96]
	v_mov_b32_e32 v99, v119
	v_add_f64 v[91:92], v[91:92], v[99:100]
	v_xor_b32_e32 v99, 0x80000000, v96
	v_cndmask_b32_e32 v100, v96, v99, vcc
	v_cmp_gt_f64_e32 vcc, 0, v[97:98]
	v_mov_b32_e32 v99, v95
	v_cndmask_b32_e32 v102, v98, v101, vcc
	v_mov_b32_e32 v101, v97
	v_add_f64 v[99:100], v[99:100], v[101:102]
	v_cmp_lt_f64_e32 vcc, v[91:92], v[99:100]
	v_mov_b32_e32 v91, s0
	s_add_i32 s0, s0, 1
	s_cmp_lg_u32 s3, s0
	v_cndmask_b32_e32 v118, v118, v96, vcc
	v_cndmask_b32_e32 v117, v117, v95, vcc
	;; [unrolled: 1-line block ×5, first 2 shown]
	s_cbranch_scc1 .LBB110_589
.LBB110_590:
	s_waitcnt lgkmcnt(0)
	v_cmp_eq_f64_e32 vcc, 0, v[117:118]
	v_cmp_eq_f64_e64 s[0:1], 0, v[119:120]
	s_and_b64 s[0:1], vcc, s[0:1]
	s_and_saveexec_b64 s[18:19], s[0:1]
	s_xor_b64 s[0:1], exec, s[18:19]
; %bb.591:
	v_cmp_ne_u32_e32 vcc, 0, v94
	v_cndmask_b32_e32 v94, 29, v94, vcc
; %bb.592:
	s_andn2_saveexec_b64 s[0:1], s[0:1]
	s_cbranch_execz .LBB110_598
; %bb.593:
	v_cmp_ngt_f64_e64 s[18:19], |v[117:118]|, |v[119:120]|
	s_and_saveexec_b64 s[20:21], s[18:19]
	s_xor_b64 s[18:19], exec, s[20:21]
	s_cbranch_execz .LBB110_595
; %bb.594:
	v_div_scale_f64 v[90:91], s[20:21], v[119:120], v[119:120], v[117:118]
	v_rcp_f64_e32 v[95:96], v[90:91]
	v_fma_f64 v[97:98], -v[90:91], v[95:96], 1.0
	v_fma_f64 v[95:96], v[95:96], v[97:98], v[95:96]
	v_div_scale_f64 v[97:98], vcc, v[117:118], v[119:120], v[117:118]
	v_fma_f64 v[99:100], -v[90:91], v[95:96], 1.0
	v_fma_f64 v[95:96], v[95:96], v[99:100], v[95:96]
	v_mul_f64 v[99:100], v[97:98], v[95:96]
	v_fma_f64 v[90:91], -v[90:91], v[99:100], v[97:98]
	v_div_fmas_f64 v[90:91], v[90:91], v[95:96], v[99:100]
	v_div_fixup_f64 v[90:91], v[90:91], v[119:120], v[117:118]
	v_fma_f64 v[95:96], v[117:118], v[90:91], v[119:120]
	v_div_scale_f64 v[97:98], s[20:21], v[95:96], v[95:96], 1.0
	v_div_scale_f64 v[103:104], vcc, 1.0, v[95:96], 1.0
	v_rcp_f64_e32 v[99:100], v[97:98]
	v_fma_f64 v[101:102], -v[97:98], v[99:100], 1.0
	v_fma_f64 v[99:100], v[99:100], v[101:102], v[99:100]
	v_fma_f64 v[101:102], -v[97:98], v[99:100], 1.0
	v_fma_f64 v[99:100], v[99:100], v[101:102], v[99:100]
	v_mul_f64 v[101:102], v[103:104], v[99:100]
	v_fma_f64 v[97:98], -v[97:98], v[101:102], v[103:104]
	v_div_fmas_f64 v[97:98], v[97:98], v[99:100], v[101:102]
	v_div_fixup_f64 v[119:120], v[97:98], v[95:96], 1.0
	v_mul_f64 v[117:118], v[90:91], v[119:120]
	v_xor_b32_e32 v120, 0x80000000, v120
.LBB110_595:
	s_andn2_saveexec_b64 s[18:19], s[18:19]
	s_cbranch_execz .LBB110_597
; %bb.596:
	v_div_scale_f64 v[90:91], s[20:21], v[117:118], v[117:118], v[119:120]
	v_rcp_f64_e32 v[95:96], v[90:91]
	v_fma_f64 v[97:98], -v[90:91], v[95:96], 1.0
	v_fma_f64 v[95:96], v[95:96], v[97:98], v[95:96]
	v_div_scale_f64 v[97:98], vcc, v[119:120], v[117:118], v[119:120]
	v_fma_f64 v[99:100], -v[90:91], v[95:96], 1.0
	v_fma_f64 v[95:96], v[95:96], v[99:100], v[95:96]
	v_mul_f64 v[99:100], v[97:98], v[95:96]
	v_fma_f64 v[90:91], -v[90:91], v[99:100], v[97:98]
	v_div_fmas_f64 v[90:91], v[90:91], v[95:96], v[99:100]
	v_div_fixup_f64 v[90:91], v[90:91], v[117:118], v[119:120]
	v_fma_f64 v[95:96], v[119:120], v[90:91], v[117:118]
	v_div_scale_f64 v[97:98], s[20:21], v[95:96], v[95:96], 1.0
	v_div_scale_f64 v[103:104], vcc, 1.0, v[95:96], 1.0
	v_rcp_f64_e32 v[99:100], v[97:98]
	v_fma_f64 v[101:102], -v[97:98], v[99:100], 1.0
	v_fma_f64 v[99:100], v[99:100], v[101:102], v[99:100]
	v_fma_f64 v[101:102], -v[97:98], v[99:100], 1.0
	v_fma_f64 v[99:100], v[99:100], v[101:102], v[99:100]
	v_mul_f64 v[101:102], v[103:104], v[99:100]
	v_fma_f64 v[97:98], -v[97:98], v[101:102], v[103:104]
	v_div_fmas_f64 v[97:98], v[97:98], v[99:100], v[101:102]
	v_div_fixup_f64 v[117:118], v[97:98], v[95:96], 1.0
	v_mul_f64 v[119:120], v[90:91], -v[117:118]
.LBB110_597:
	s_or_b64 exec, exec, s[18:19]
.LBB110_598:
	s_or_b64 exec, exec, s[0:1]
	v_cmp_ne_u32_e32 vcc, v93, v89
	s_and_saveexec_b64 s[0:1], vcc
	s_xor_b64 s[0:1], exec, s[0:1]
	s_cbranch_execz .LBB110_604
; %bb.599:
	v_cmp_eq_u32_e32 vcc, 28, v93
	s_and_saveexec_b64 s[18:19], vcc
	s_cbranch_execz .LBB110_603
; %bb.600:
	v_cmp_ne_u32_e32 vcc, 28, v89
	s_xor_b64 s[20:21], s[6:7], -1
	s_and_b64 s[22:23], s[20:21], vcc
	s_and_saveexec_b64 s[20:21], s[22:23]
	s_cbranch_execz .LBB110_602
; %bb.601:
	v_mov_b32_e32 v73, v81
	v_mov_b32_e32 v74, v82
	;; [unrolled: 1-line block ×4, first 2 shown]
	buffer_load_dword v81, off, s[24:27], 0 offset:448 ; 4-byte Folded Reload
	buffer_load_dword v82, off, s[24:27], 0 offset:452 ; 4-byte Folded Reload
	v_ashrrev_i32_e32 v90, 31, v89
	v_lshlrev_b64 v[90:91], 2, v[89:90]
	s_waitcnt vmcnt(1)
	v_add_co_u32_e32 v90, vcc, v81, v90
	s_waitcnt vmcnt(0)
	v_addc_co_u32_e32 v91, vcc, v82, v91, vcc
	global_load_dword v92, v[90:91], off
	global_load_dword v93, v[81:82], off offset:112
	s_waitcnt vmcnt(1)
	global_store_dword v[81:82], v92, off offset:112
	v_mov_b32_e32 v84, v76
	v_mov_b32_e32 v83, v75
	;; [unrolled: 1-line block ×4, first 2 shown]
	s_waitcnt vmcnt(1)
	global_store_dword v[90:91], v93, off
.LBB110_602:
	s_or_b64 exec, exec, s[20:21]
	v_mov_b32_e32 v93, v89
	v_mov_b32_e32 v127, v89
.LBB110_603:
	s_or_b64 exec, exec, s[18:19]
.LBB110_604:
	s_andn2_saveexec_b64 s[0:1], s[0:1]
	s_cbranch_execz .LBB110_606
; %bb.605:
	buffer_load_dword v73, off, s[24:27], 0 offset:32 ; 4-byte Folded Reload
	buffer_load_dword v74, off, s[24:27], 0 offset:36 ; 4-byte Folded Reload
	;; [unrolled: 1-line block ×4, first 2 shown]
	v_mov_b32_e32 v93, 28
	s_waitcnt vmcnt(0)
	ds_write2_b64 v0, v[73:74], v[75:76] offset0:58 offset1:59
	buffer_load_dword v73, off, s[24:27], 0 offset:16 ; 4-byte Folded Reload
	buffer_load_dword v74, off, s[24:27], 0 offset:20 ; 4-byte Folded Reload
	;; [unrolled: 1-line block ×4, first 2 shown]
	s_waitcnt vmcnt(0)
	ds_write2_b64 v0, v[73:74], v[75:76] offset0:60 offset1:61
	ds_write2_b64 v0, v[81:82], v[83:84] offset0:62 offset1:63
	;; [unrolled: 1-line block ×6, first 2 shown]
	buffer_load_dword v73, off, s[24:27], 0 ; 4-byte Folded Reload
	buffer_load_dword v74, off, s[24:27], 0 offset:4 ; 4-byte Folded Reload
	buffer_load_dword v75, off, s[24:27], 0 offset:8 ; 4-byte Folded Reload
	;; [unrolled: 1-line block ×3, first 2 shown]
	s_waitcnt vmcnt(0)
	ds_write2_b64 v0, v[73:74], v[75:76] offset0:72 offset1:73
	ds_write2_b64 v0, v[69:70], v[71:72] offset0:74 offset1:75
	;; [unrolled: 1-line block ×20, first 2 shown]
.LBB110_606:
	s_or_b64 exec, exec, s[0:1]
	v_cmp_lt_i32_e32 vcc, 28, v93
	s_waitcnt vmcnt(0) lgkmcnt(0)
	s_barrier
	s_and_saveexec_b64 s[0:1], vcc
	s_cbranch_execz .LBB110_608
; %bb.607:
	buffer_load_dword v97, off, s[24:27], 0 offset:48 ; 4-byte Folded Reload
	buffer_load_dword v98, off, s[24:27], 0 offset:52 ; 4-byte Folded Reload
	;; [unrolled: 1-line block ×4, first 2 shown]
	s_waitcnt vmcnt(0)
	v_mul_f64 v[89:90], v[119:120], v[99:100]
	v_mul_f64 v[91:92], v[117:118], v[99:100]
	v_fma_f64 v[89:90], v[117:118], v[97:98], -v[89:90]
	v_fma_f64 v[99:100], v[119:120], v[97:98], v[91:92]
	ds_read2_b64 v[95:98], v0 offset0:58 offset1:59
	buffer_load_dword v73, off, s[24:27], 0 offset:32 ; 4-byte Folded Reload
	buffer_load_dword v74, off, s[24:27], 0 offset:36 ; 4-byte Folded Reload
	;; [unrolled: 1-line block ×4, first 2 shown]
	s_waitcnt lgkmcnt(0)
	v_mul_f64 v[91:92], v[97:98], v[99:100]
	v_fma_f64 v[91:92], v[95:96], v[89:90], -v[91:92]
	v_mul_f64 v[95:96], v[95:96], v[99:100]
	v_fma_f64 v[95:96], v[97:98], v[89:90], v[95:96]
	s_waitcnt vmcnt(2)
	v_add_f64 v[73:74], v[73:74], -v[91:92]
	s_waitcnt vmcnt(0)
	v_add_f64 v[75:76], v[75:76], -v[95:96]
	buffer_store_dword v73, off, s[24:27], 0 offset:32 ; 4-byte Folded Spill
	s_nop 0
	buffer_store_dword v74, off, s[24:27], 0 offset:36 ; 4-byte Folded Spill
	buffer_store_dword v75, off, s[24:27], 0 offset:40 ; 4-byte Folded Spill
	;; [unrolled: 1-line block ×3, first 2 shown]
	ds_read2_b64 v[95:98], v0 offset0:60 offset1:61
	buffer_load_dword v73, off, s[24:27], 0 offset:16 ; 4-byte Folded Reload
	buffer_load_dword v74, off, s[24:27], 0 offset:20 ; 4-byte Folded Reload
	;; [unrolled: 1-line block ×4, first 2 shown]
	s_waitcnt lgkmcnt(0)
	v_mul_f64 v[91:92], v[97:98], v[99:100]
	v_fma_f64 v[91:92], v[95:96], v[89:90], -v[91:92]
	v_mul_f64 v[95:96], v[95:96], v[99:100]
	v_fma_f64 v[95:96], v[97:98], v[89:90], v[95:96]
	s_waitcnt vmcnt(2)
	v_add_f64 v[73:74], v[73:74], -v[91:92]
	s_waitcnt vmcnt(0)
	v_add_f64 v[75:76], v[75:76], -v[95:96]
	buffer_store_dword v73, off, s[24:27], 0 offset:16 ; 4-byte Folded Spill
	s_nop 0
	buffer_store_dword v74, off, s[24:27], 0 offset:20 ; 4-byte Folded Spill
	buffer_store_dword v75, off, s[24:27], 0 offset:24 ; 4-byte Folded Spill
	buffer_store_dword v76, off, s[24:27], 0 offset:28 ; 4-byte Folded Spill
	ds_read2_b64 v[95:98], v0 offset0:62 offset1:63
	s_waitcnt lgkmcnt(0)
	v_mul_f64 v[91:92], v[97:98], v[99:100]
	v_fma_f64 v[91:92], v[95:96], v[89:90], -v[91:92]
	v_mul_f64 v[95:96], v[95:96], v[99:100]
	v_add_f64 v[81:82], v[81:82], -v[91:92]
	v_fma_f64 v[95:96], v[97:98], v[89:90], v[95:96]
	v_add_f64 v[83:84], v[83:84], -v[95:96]
	ds_read2_b64 v[95:98], v0 offset0:64 offset1:65
	s_waitcnt lgkmcnt(0)
	v_mul_f64 v[91:92], v[97:98], v[99:100]
	v_fma_f64 v[91:92], v[95:96], v[89:90], -v[91:92]
	v_mul_f64 v[95:96], v[95:96], v[99:100]
	v_add_f64 v[85:86], v[85:86], -v[91:92]
	v_fma_f64 v[95:96], v[97:98], v[89:90], v[95:96]
	v_add_f64 v[87:88], v[87:88], -v[95:96]
	ds_read2_b64 v[95:98], v0 offset0:66 offset1:67
	s_waitcnt lgkmcnt(0)
	v_mul_f64 v[91:92], v[97:98], v[99:100]
	v_fma_f64 v[91:92], v[95:96], v[89:90], -v[91:92]
	v_mul_f64 v[95:96], v[95:96], v[99:100]
	v_add_f64 v[109:110], v[109:110], -v[91:92]
	v_fma_f64 v[95:96], v[97:98], v[89:90], v[95:96]
	v_add_f64 v[111:112], v[111:112], -v[95:96]
	ds_read2_b64 v[95:98], v0 offset0:68 offset1:69
	s_waitcnt lgkmcnt(0)
	v_mul_f64 v[91:92], v[97:98], v[99:100]
	v_fma_f64 v[91:92], v[95:96], v[89:90], -v[91:92]
	v_mul_f64 v[95:96], v[95:96], v[99:100]
	v_add_f64 v[113:114], v[113:114], -v[91:92]
	v_fma_f64 v[95:96], v[97:98], v[89:90], v[95:96]
	v_add_f64 v[115:116], v[115:116], -v[95:96]
	ds_read2_b64 v[95:98], v0 offset0:70 offset1:71
	s_waitcnt lgkmcnt(0)
	v_mul_f64 v[91:92], v[97:98], v[99:100]
	v_fma_f64 v[91:92], v[95:96], v[89:90], -v[91:92]
	v_mul_f64 v[95:96], v[95:96], v[99:100]
	v_add_f64 v[77:78], v[77:78], -v[91:92]
	v_fma_f64 v[95:96], v[97:98], v[89:90], v[95:96]
	v_add_f64 v[79:80], v[79:80], -v[95:96]
	ds_read2_b64 v[95:98], v0 offset0:72 offset1:73
	buffer_load_dword v73, off, s[24:27], 0 ; 4-byte Folded Reload
	buffer_load_dword v74, off, s[24:27], 0 offset:4 ; 4-byte Folded Reload
	buffer_load_dword v75, off, s[24:27], 0 offset:8 ; 4-byte Folded Reload
	buffer_load_dword v76, off, s[24:27], 0 offset:12 ; 4-byte Folded Reload
	s_waitcnt lgkmcnt(0)
	v_mul_f64 v[91:92], v[97:98], v[99:100]
	v_fma_f64 v[91:92], v[95:96], v[89:90], -v[91:92]
	v_mul_f64 v[95:96], v[95:96], v[99:100]
	v_fma_f64 v[95:96], v[97:98], v[89:90], v[95:96]
	s_waitcnt vmcnt(2)
	v_add_f64 v[73:74], v[73:74], -v[91:92]
	s_waitcnt vmcnt(0)
	v_add_f64 v[75:76], v[75:76], -v[95:96]
	buffer_store_dword v73, off, s[24:27], 0 ; 4-byte Folded Spill
	s_nop 0
	buffer_store_dword v74, off, s[24:27], 0 offset:4 ; 4-byte Folded Spill
	buffer_store_dword v75, off, s[24:27], 0 offset:8 ; 4-byte Folded Spill
	;; [unrolled: 1-line block ×3, first 2 shown]
	ds_read2_b64 v[95:98], v0 offset0:74 offset1:75
	s_waitcnt lgkmcnt(0)
	v_mul_f64 v[91:92], v[97:98], v[99:100]
	v_fma_f64 v[91:92], v[95:96], v[89:90], -v[91:92]
	v_mul_f64 v[95:96], v[95:96], v[99:100]
	v_add_f64 v[69:70], v[69:70], -v[91:92]
	v_fma_f64 v[95:96], v[97:98], v[89:90], v[95:96]
	v_add_f64 v[71:72], v[71:72], -v[95:96]
	ds_read2_b64 v[95:98], v0 offset0:76 offset1:77
	s_waitcnt lgkmcnt(0)
	v_mul_f64 v[91:92], v[97:98], v[99:100]
	v_fma_f64 v[91:92], v[95:96], v[89:90], -v[91:92]
	v_mul_f64 v[95:96], v[95:96], v[99:100]
	v_add_f64 v[65:66], v[65:66], -v[91:92]
	v_fma_f64 v[95:96], v[97:98], v[89:90], v[95:96]
	v_add_f64 v[67:68], v[67:68], -v[95:96]
	;; [unrolled: 8-line block ×18, first 2 shown]
	ds_read2_b64 v[95:98], v0 offset0:110 offset1:111
	s_waitcnt lgkmcnt(0)
	v_mul_f64 v[91:92], v[97:98], v[99:100]
	v_fma_f64 v[91:92], v[95:96], v[89:90], -v[91:92]
	v_mul_f64 v[95:96], v[95:96], v[99:100]
	v_add_f64 v[121:122], v[121:122], -v[91:92]
	v_fma_f64 v[95:96], v[97:98], v[89:90], v[95:96]
	v_mov_b32_e32 v98, v90
	v_mov_b32_e32 v97, v89
	buffer_store_dword v97, off, s[24:27], 0 offset:48 ; 4-byte Folded Spill
	s_nop 0
	buffer_store_dword v98, off, s[24:27], 0 offset:52 ; 4-byte Folded Spill
	buffer_store_dword v99, off, s[24:27], 0 offset:56 ; 4-byte Folded Spill
	;; [unrolled: 1-line block ×3, first 2 shown]
	v_add_f64 v[123:124], v[123:124], -v[95:96]
.LBB110_608:
	s_or_b64 exec, exec, s[0:1]
	s_waitcnt vmcnt(0)
	s_barrier
	buffer_load_dword v73, off, s[24:27], 0 offset:32 ; 4-byte Folded Reload
	buffer_load_dword v74, off, s[24:27], 0 offset:36 ; 4-byte Folded Reload
	;; [unrolled: 1-line block ×4, first 2 shown]
	v_lshl_add_u32 v89, v93, 4, v0
	s_cmp_lt_i32 s3, 31
	s_waitcnt vmcnt(0)
	ds_write2_b64 v89, v[73:74], v[75:76] offset1:1
	s_waitcnt lgkmcnt(0)
	s_barrier
	ds_read2_b64 v[117:120], v0 offset0:58 offset1:59
	v_mov_b32_e32 v89, 29
	s_cbranch_scc1 .LBB110_611
; %bb.609:
	v_add_u32_e32 v90, 0x1e0, v0
	s_mov_b32 s0, 30
	v_mov_b32_e32 v89, 29
.LBB110_610:                            ; =>This Inner Loop Header: Depth=1
	s_waitcnt lgkmcnt(0)
	v_cmp_gt_f64_e32 vcc, 0, v[117:118]
	v_xor_b32_e32 v91, 0x80000000, v118
	ds_read2_b64 v[95:98], v90 offset1:1
	v_xor_b32_e32 v99, 0x80000000, v120
	v_add_u32_e32 v90, 16, v90
	s_waitcnt lgkmcnt(0)
	v_xor_b32_e32 v101, 0x80000000, v98
	v_cndmask_b32_e32 v92, v118, v91, vcc
	v_cmp_gt_f64_e32 vcc, 0, v[119:120]
	v_mov_b32_e32 v91, v117
	v_cndmask_b32_e32 v100, v120, v99, vcc
	v_cmp_gt_f64_e32 vcc, 0, v[95:96]
	v_mov_b32_e32 v99, v119
	v_add_f64 v[91:92], v[91:92], v[99:100]
	v_xor_b32_e32 v99, 0x80000000, v96
	v_cndmask_b32_e32 v100, v96, v99, vcc
	v_cmp_gt_f64_e32 vcc, 0, v[97:98]
	v_mov_b32_e32 v99, v95
	v_cndmask_b32_e32 v102, v98, v101, vcc
	v_mov_b32_e32 v101, v97
	v_add_f64 v[99:100], v[99:100], v[101:102]
	v_cmp_lt_f64_e32 vcc, v[91:92], v[99:100]
	v_mov_b32_e32 v91, s0
	s_add_i32 s0, s0, 1
	s_cmp_lg_u32 s3, s0
	v_cndmask_b32_e32 v118, v118, v96, vcc
	v_cndmask_b32_e32 v117, v117, v95, vcc
	;; [unrolled: 1-line block ×5, first 2 shown]
	s_cbranch_scc1 .LBB110_610
.LBB110_611:
	s_waitcnt lgkmcnt(0)
	v_cmp_eq_f64_e32 vcc, 0, v[117:118]
	v_cmp_eq_f64_e64 s[0:1], 0, v[119:120]
	s_and_b64 s[0:1], vcc, s[0:1]
	s_and_saveexec_b64 s[18:19], s[0:1]
	s_xor_b64 s[0:1], exec, s[18:19]
; %bb.612:
	v_cmp_ne_u32_e32 vcc, 0, v94
	v_cndmask_b32_e32 v94, 30, v94, vcc
; %bb.613:
	s_andn2_saveexec_b64 s[0:1], s[0:1]
	s_cbranch_execz .LBB110_619
; %bb.614:
	v_cmp_ngt_f64_e64 s[18:19], |v[117:118]|, |v[119:120]|
	s_and_saveexec_b64 s[20:21], s[18:19]
	s_xor_b64 s[18:19], exec, s[20:21]
	s_cbranch_execz .LBB110_616
; %bb.615:
	v_div_scale_f64 v[90:91], s[20:21], v[119:120], v[119:120], v[117:118]
	v_rcp_f64_e32 v[95:96], v[90:91]
	v_fma_f64 v[97:98], -v[90:91], v[95:96], 1.0
	v_fma_f64 v[95:96], v[95:96], v[97:98], v[95:96]
	v_div_scale_f64 v[97:98], vcc, v[117:118], v[119:120], v[117:118]
	v_fma_f64 v[99:100], -v[90:91], v[95:96], 1.0
	v_fma_f64 v[95:96], v[95:96], v[99:100], v[95:96]
	v_mul_f64 v[99:100], v[97:98], v[95:96]
	v_fma_f64 v[90:91], -v[90:91], v[99:100], v[97:98]
	v_div_fmas_f64 v[90:91], v[90:91], v[95:96], v[99:100]
	v_div_fixup_f64 v[90:91], v[90:91], v[119:120], v[117:118]
	v_fma_f64 v[95:96], v[117:118], v[90:91], v[119:120]
	v_div_scale_f64 v[97:98], s[20:21], v[95:96], v[95:96], 1.0
	v_div_scale_f64 v[103:104], vcc, 1.0, v[95:96], 1.0
	v_rcp_f64_e32 v[99:100], v[97:98]
	v_fma_f64 v[101:102], -v[97:98], v[99:100], 1.0
	v_fma_f64 v[99:100], v[99:100], v[101:102], v[99:100]
	v_fma_f64 v[101:102], -v[97:98], v[99:100], 1.0
	v_fma_f64 v[99:100], v[99:100], v[101:102], v[99:100]
	v_mul_f64 v[101:102], v[103:104], v[99:100]
	v_fma_f64 v[97:98], -v[97:98], v[101:102], v[103:104]
	v_div_fmas_f64 v[97:98], v[97:98], v[99:100], v[101:102]
	v_div_fixup_f64 v[119:120], v[97:98], v[95:96], 1.0
	v_mul_f64 v[117:118], v[90:91], v[119:120]
	v_xor_b32_e32 v120, 0x80000000, v120
.LBB110_616:
	s_andn2_saveexec_b64 s[18:19], s[18:19]
	s_cbranch_execz .LBB110_618
; %bb.617:
	v_div_scale_f64 v[90:91], s[20:21], v[117:118], v[117:118], v[119:120]
	v_rcp_f64_e32 v[95:96], v[90:91]
	v_fma_f64 v[97:98], -v[90:91], v[95:96], 1.0
	v_fma_f64 v[95:96], v[95:96], v[97:98], v[95:96]
	v_div_scale_f64 v[97:98], vcc, v[119:120], v[117:118], v[119:120]
	v_fma_f64 v[99:100], -v[90:91], v[95:96], 1.0
	v_fma_f64 v[95:96], v[95:96], v[99:100], v[95:96]
	v_mul_f64 v[99:100], v[97:98], v[95:96]
	v_fma_f64 v[90:91], -v[90:91], v[99:100], v[97:98]
	v_div_fmas_f64 v[90:91], v[90:91], v[95:96], v[99:100]
	v_div_fixup_f64 v[90:91], v[90:91], v[117:118], v[119:120]
	v_fma_f64 v[95:96], v[119:120], v[90:91], v[117:118]
	v_div_scale_f64 v[97:98], s[20:21], v[95:96], v[95:96], 1.0
	v_div_scale_f64 v[103:104], vcc, 1.0, v[95:96], 1.0
	v_rcp_f64_e32 v[99:100], v[97:98]
	v_fma_f64 v[101:102], -v[97:98], v[99:100], 1.0
	v_fma_f64 v[99:100], v[99:100], v[101:102], v[99:100]
	v_fma_f64 v[101:102], -v[97:98], v[99:100], 1.0
	v_fma_f64 v[99:100], v[99:100], v[101:102], v[99:100]
	v_mul_f64 v[101:102], v[103:104], v[99:100]
	v_fma_f64 v[97:98], -v[97:98], v[101:102], v[103:104]
	v_div_fmas_f64 v[97:98], v[97:98], v[99:100], v[101:102]
	v_div_fixup_f64 v[117:118], v[97:98], v[95:96], 1.0
	v_mul_f64 v[119:120], v[90:91], -v[117:118]
.LBB110_618:
	s_or_b64 exec, exec, s[18:19]
.LBB110_619:
	s_or_b64 exec, exec, s[0:1]
	v_cmp_ne_u32_e32 vcc, v93, v89
	s_and_saveexec_b64 s[0:1], vcc
	s_xor_b64 s[0:1], exec, s[0:1]
	s_cbranch_execz .LBB110_625
; %bb.620:
	v_cmp_eq_u32_e32 vcc, 29, v93
	s_and_saveexec_b64 s[18:19], vcc
	s_cbranch_execz .LBB110_624
; %bb.621:
	v_cmp_ne_u32_e32 vcc, 29, v89
	s_xor_b64 s[20:21], s[6:7], -1
	s_and_b64 s[22:23], s[20:21], vcc
	s_and_saveexec_b64 s[20:21], s[22:23]
	s_cbranch_execz .LBB110_623
; %bb.622:
	v_mov_b32_e32 v73, v81
	v_mov_b32_e32 v74, v82
	;; [unrolled: 1-line block ×4, first 2 shown]
	buffer_load_dword v81, off, s[24:27], 0 offset:448 ; 4-byte Folded Reload
	buffer_load_dword v82, off, s[24:27], 0 offset:452 ; 4-byte Folded Reload
	v_ashrrev_i32_e32 v90, 31, v89
	v_lshlrev_b64 v[90:91], 2, v[89:90]
	s_waitcnt vmcnt(1)
	v_add_co_u32_e32 v90, vcc, v81, v90
	s_waitcnt vmcnt(0)
	v_addc_co_u32_e32 v91, vcc, v82, v91, vcc
	global_load_dword v92, v[90:91], off
	global_load_dword v93, v[81:82], off offset:116
	s_waitcnt vmcnt(1)
	global_store_dword v[81:82], v92, off offset:116
	v_mov_b32_e32 v84, v76
	v_mov_b32_e32 v83, v75
	;; [unrolled: 1-line block ×4, first 2 shown]
	s_waitcnt vmcnt(1)
	global_store_dword v[90:91], v93, off
.LBB110_623:
	s_or_b64 exec, exec, s[20:21]
	v_mov_b32_e32 v93, v89
	v_mov_b32_e32 v127, v89
.LBB110_624:
	s_or_b64 exec, exec, s[18:19]
.LBB110_625:
	s_andn2_saveexec_b64 s[0:1], s[0:1]
	s_cbranch_execz .LBB110_627
; %bb.626:
	buffer_load_dword v73, off, s[24:27], 0 offset:16 ; 4-byte Folded Reload
	buffer_load_dword v74, off, s[24:27], 0 offset:20 ; 4-byte Folded Reload
	;; [unrolled: 1-line block ×4, first 2 shown]
	v_mov_b32_e32 v93, 29
	s_waitcnt vmcnt(0)
	ds_write2_b64 v0, v[73:74], v[75:76] offset0:60 offset1:61
	ds_write2_b64 v0, v[81:82], v[83:84] offset0:62 offset1:63
	;; [unrolled: 1-line block ×6, first 2 shown]
	buffer_load_dword v73, off, s[24:27], 0 ; 4-byte Folded Reload
	buffer_load_dword v74, off, s[24:27], 0 offset:4 ; 4-byte Folded Reload
	buffer_load_dword v75, off, s[24:27], 0 offset:8 ; 4-byte Folded Reload
	;; [unrolled: 1-line block ×3, first 2 shown]
	s_waitcnt vmcnt(0)
	ds_write2_b64 v0, v[73:74], v[75:76] offset0:72 offset1:73
	ds_write2_b64 v0, v[69:70], v[71:72] offset0:74 offset1:75
	;; [unrolled: 1-line block ×20, first 2 shown]
.LBB110_627:
	s_or_b64 exec, exec, s[0:1]
	v_cmp_lt_i32_e32 vcc, 29, v93
	s_waitcnt vmcnt(0) lgkmcnt(0)
	s_barrier
	s_and_saveexec_b64 s[0:1], vcc
	s_cbranch_execz .LBB110_629
; %bb.628:
	buffer_load_dword v97, off, s[24:27], 0 offset:32 ; 4-byte Folded Reload
	buffer_load_dword v98, off, s[24:27], 0 offset:36 ; 4-byte Folded Reload
	buffer_load_dword v99, off, s[24:27], 0 offset:40 ; 4-byte Folded Reload
	buffer_load_dword v100, off, s[24:27], 0 offset:44 ; 4-byte Folded Reload
	s_waitcnt vmcnt(0)
	v_mul_f64 v[89:90], v[119:120], v[99:100]
	v_mul_f64 v[91:92], v[117:118], v[99:100]
	v_fma_f64 v[89:90], v[117:118], v[97:98], -v[89:90]
	v_fma_f64 v[99:100], v[119:120], v[97:98], v[91:92]
	ds_read2_b64 v[95:98], v0 offset0:60 offset1:61
	buffer_load_dword v73, off, s[24:27], 0 offset:16 ; 4-byte Folded Reload
	buffer_load_dword v74, off, s[24:27], 0 offset:20 ; 4-byte Folded Reload
	buffer_load_dword v75, off, s[24:27], 0 offset:24 ; 4-byte Folded Reload
	buffer_load_dword v76, off, s[24:27], 0 offset:28 ; 4-byte Folded Reload
	s_waitcnt lgkmcnt(0)
	v_mul_f64 v[91:92], v[97:98], v[99:100]
	v_fma_f64 v[91:92], v[95:96], v[89:90], -v[91:92]
	v_mul_f64 v[95:96], v[95:96], v[99:100]
	v_fma_f64 v[95:96], v[97:98], v[89:90], v[95:96]
	s_waitcnt vmcnt(2)
	v_add_f64 v[73:74], v[73:74], -v[91:92]
	s_waitcnt vmcnt(0)
	v_add_f64 v[75:76], v[75:76], -v[95:96]
	buffer_store_dword v73, off, s[24:27], 0 offset:16 ; 4-byte Folded Spill
	s_nop 0
	buffer_store_dword v74, off, s[24:27], 0 offset:20 ; 4-byte Folded Spill
	buffer_store_dword v75, off, s[24:27], 0 offset:24 ; 4-byte Folded Spill
	;; [unrolled: 1-line block ×3, first 2 shown]
	ds_read2_b64 v[95:98], v0 offset0:62 offset1:63
	s_waitcnt lgkmcnt(0)
	v_mul_f64 v[91:92], v[97:98], v[99:100]
	v_fma_f64 v[91:92], v[95:96], v[89:90], -v[91:92]
	v_mul_f64 v[95:96], v[95:96], v[99:100]
	v_add_f64 v[81:82], v[81:82], -v[91:92]
	v_fma_f64 v[95:96], v[97:98], v[89:90], v[95:96]
	v_add_f64 v[83:84], v[83:84], -v[95:96]
	ds_read2_b64 v[95:98], v0 offset0:64 offset1:65
	s_waitcnt lgkmcnt(0)
	v_mul_f64 v[91:92], v[97:98], v[99:100]
	v_fma_f64 v[91:92], v[95:96], v[89:90], -v[91:92]
	v_mul_f64 v[95:96], v[95:96], v[99:100]
	v_add_f64 v[85:86], v[85:86], -v[91:92]
	v_fma_f64 v[95:96], v[97:98], v[89:90], v[95:96]
	v_add_f64 v[87:88], v[87:88], -v[95:96]
	;; [unrolled: 8-line block ×5, first 2 shown]
	ds_read2_b64 v[95:98], v0 offset0:72 offset1:73
	buffer_load_dword v73, off, s[24:27], 0 ; 4-byte Folded Reload
	buffer_load_dword v74, off, s[24:27], 0 offset:4 ; 4-byte Folded Reload
	buffer_load_dword v75, off, s[24:27], 0 offset:8 ; 4-byte Folded Reload
	;; [unrolled: 1-line block ×3, first 2 shown]
	s_waitcnt lgkmcnt(0)
	v_mul_f64 v[91:92], v[97:98], v[99:100]
	v_fma_f64 v[91:92], v[95:96], v[89:90], -v[91:92]
	v_mul_f64 v[95:96], v[95:96], v[99:100]
	v_fma_f64 v[95:96], v[97:98], v[89:90], v[95:96]
	s_waitcnt vmcnt(2)
	v_add_f64 v[73:74], v[73:74], -v[91:92]
	s_waitcnt vmcnt(0)
	v_add_f64 v[75:76], v[75:76], -v[95:96]
	buffer_store_dword v73, off, s[24:27], 0 ; 4-byte Folded Spill
	s_nop 0
	buffer_store_dword v74, off, s[24:27], 0 offset:4 ; 4-byte Folded Spill
	buffer_store_dword v75, off, s[24:27], 0 offset:8 ; 4-byte Folded Spill
	;; [unrolled: 1-line block ×3, first 2 shown]
	ds_read2_b64 v[95:98], v0 offset0:74 offset1:75
	s_waitcnt lgkmcnt(0)
	v_mul_f64 v[91:92], v[97:98], v[99:100]
	v_fma_f64 v[91:92], v[95:96], v[89:90], -v[91:92]
	v_mul_f64 v[95:96], v[95:96], v[99:100]
	v_add_f64 v[69:70], v[69:70], -v[91:92]
	v_fma_f64 v[95:96], v[97:98], v[89:90], v[95:96]
	v_add_f64 v[71:72], v[71:72], -v[95:96]
	ds_read2_b64 v[95:98], v0 offset0:76 offset1:77
	s_waitcnt lgkmcnt(0)
	v_mul_f64 v[91:92], v[97:98], v[99:100]
	v_fma_f64 v[91:92], v[95:96], v[89:90], -v[91:92]
	v_mul_f64 v[95:96], v[95:96], v[99:100]
	v_add_f64 v[65:66], v[65:66], -v[91:92]
	v_fma_f64 v[95:96], v[97:98], v[89:90], v[95:96]
	v_add_f64 v[67:68], v[67:68], -v[95:96]
	;; [unrolled: 8-line block ×18, first 2 shown]
	ds_read2_b64 v[95:98], v0 offset0:110 offset1:111
	s_waitcnt lgkmcnt(0)
	v_mul_f64 v[91:92], v[97:98], v[99:100]
	v_fma_f64 v[91:92], v[95:96], v[89:90], -v[91:92]
	v_mul_f64 v[95:96], v[95:96], v[99:100]
	v_add_f64 v[121:122], v[121:122], -v[91:92]
	v_fma_f64 v[95:96], v[97:98], v[89:90], v[95:96]
	v_mov_b32_e32 v98, v90
	v_mov_b32_e32 v97, v89
	buffer_store_dword v97, off, s[24:27], 0 offset:32 ; 4-byte Folded Spill
	s_nop 0
	buffer_store_dword v98, off, s[24:27], 0 offset:36 ; 4-byte Folded Spill
	buffer_store_dword v99, off, s[24:27], 0 offset:40 ; 4-byte Folded Spill
	;; [unrolled: 1-line block ×3, first 2 shown]
	v_add_f64 v[123:124], v[123:124], -v[95:96]
.LBB110_629:
	s_or_b64 exec, exec, s[0:1]
	s_waitcnt vmcnt(0)
	s_barrier
	buffer_load_dword v73, off, s[24:27], 0 offset:16 ; 4-byte Folded Reload
	buffer_load_dword v74, off, s[24:27], 0 offset:20 ; 4-byte Folded Reload
	;; [unrolled: 1-line block ×4, first 2 shown]
	v_lshl_add_u32 v89, v93, 4, v0
	s_cmp_lt_i32 s3, 32
	s_waitcnt vmcnt(0)
	ds_write2_b64 v89, v[73:74], v[75:76] offset1:1
	s_waitcnt lgkmcnt(0)
	s_barrier
	ds_read2_b64 v[117:120], v0 offset0:60 offset1:61
	v_mov_b32_e32 v89, 30
	s_cbranch_scc1 .LBB110_632
; %bb.630:
	v_add_u32_e32 v90, 0x1f0, v0
	s_mov_b32 s0, 31
	v_mov_b32_e32 v89, 30
.LBB110_631:                            ; =>This Inner Loop Header: Depth=1
	s_waitcnt lgkmcnt(0)
	v_cmp_gt_f64_e32 vcc, 0, v[117:118]
	v_xor_b32_e32 v91, 0x80000000, v118
	ds_read2_b64 v[95:98], v90 offset1:1
	v_xor_b32_e32 v99, 0x80000000, v120
	v_add_u32_e32 v90, 16, v90
	s_waitcnt lgkmcnt(0)
	v_xor_b32_e32 v101, 0x80000000, v98
	v_cndmask_b32_e32 v92, v118, v91, vcc
	v_cmp_gt_f64_e32 vcc, 0, v[119:120]
	v_mov_b32_e32 v91, v117
	v_cndmask_b32_e32 v100, v120, v99, vcc
	v_cmp_gt_f64_e32 vcc, 0, v[95:96]
	v_mov_b32_e32 v99, v119
	v_add_f64 v[91:92], v[91:92], v[99:100]
	v_xor_b32_e32 v99, 0x80000000, v96
	v_cndmask_b32_e32 v100, v96, v99, vcc
	v_cmp_gt_f64_e32 vcc, 0, v[97:98]
	v_mov_b32_e32 v99, v95
	v_cndmask_b32_e32 v102, v98, v101, vcc
	v_mov_b32_e32 v101, v97
	v_add_f64 v[99:100], v[99:100], v[101:102]
	v_cmp_lt_f64_e32 vcc, v[91:92], v[99:100]
	v_mov_b32_e32 v91, s0
	s_add_i32 s0, s0, 1
	s_cmp_lg_u32 s3, s0
	v_cndmask_b32_e32 v118, v118, v96, vcc
	v_cndmask_b32_e32 v117, v117, v95, vcc
	;; [unrolled: 1-line block ×5, first 2 shown]
	s_cbranch_scc1 .LBB110_631
.LBB110_632:
	s_waitcnt lgkmcnt(0)
	v_cmp_eq_f64_e32 vcc, 0, v[117:118]
	v_cmp_eq_f64_e64 s[0:1], 0, v[119:120]
	s_and_b64 s[0:1], vcc, s[0:1]
	s_and_saveexec_b64 s[18:19], s[0:1]
	s_xor_b64 s[0:1], exec, s[18:19]
; %bb.633:
	v_cmp_ne_u32_e32 vcc, 0, v94
	v_cndmask_b32_e32 v94, 31, v94, vcc
; %bb.634:
	s_andn2_saveexec_b64 s[0:1], s[0:1]
	s_cbranch_execz .LBB110_640
; %bb.635:
	v_cmp_ngt_f64_e64 s[18:19], |v[117:118]|, |v[119:120]|
	s_and_saveexec_b64 s[20:21], s[18:19]
	s_xor_b64 s[18:19], exec, s[20:21]
	s_cbranch_execz .LBB110_637
; %bb.636:
	v_div_scale_f64 v[90:91], s[20:21], v[119:120], v[119:120], v[117:118]
	v_rcp_f64_e32 v[95:96], v[90:91]
	v_fma_f64 v[97:98], -v[90:91], v[95:96], 1.0
	v_fma_f64 v[95:96], v[95:96], v[97:98], v[95:96]
	v_div_scale_f64 v[97:98], vcc, v[117:118], v[119:120], v[117:118]
	v_fma_f64 v[99:100], -v[90:91], v[95:96], 1.0
	v_fma_f64 v[95:96], v[95:96], v[99:100], v[95:96]
	v_mul_f64 v[99:100], v[97:98], v[95:96]
	v_fma_f64 v[90:91], -v[90:91], v[99:100], v[97:98]
	v_div_fmas_f64 v[90:91], v[90:91], v[95:96], v[99:100]
	v_div_fixup_f64 v[90:91], v[90:91], v[119:120], v[117:118]
	v_fma_f64 v[95:96], v[117:118], v[90:91], v[119:120]
	v_div_scale_f64 v[97:98], s[20:21], v[95:96], v[95:96], 1.0
	v_div_scale_f64 v[103:104], vcc, 1.0, v[95:96], 1.0
	v_rcp_f64_e32 v[99:100], v[97:98]
	v_fma_f64 v[101:102], -v[97:98], v[99:100], 1.0
	v_fma_f64 v[99:100], v[99:100], v[101:102], v[99:100]
	v_fma_f64 v[101:102], -v[97:98], v[99:100], 1.0
	v_fma_f64 v[99:100], v[99:100], v[101:102], v[99:100]
	v_mul_f64 v[101:102], v[103:104], v[99:100]
	v_fma_f64 v[97:98], -v[97:98], v[101:102], v[103:104]
	v_div_fmas_f64 v[97:98], v[97:98], v[99:100], v[101:102]
	v_div_fixup_f64 v[119:120], v[97:98], v[95:96], 1.0
	v_mul_f64 v[117:118], v[90:91], v[119:120]
	v_xor_b32_e32 v120, 0x80000000, v120
.LBB110_637:
	s_andn2_saveexec_b64 s[18:19], s[18:19]
	s_cbranch_execz .LBB110_639
; %bb.638:
	v_div_scale_f64 v[90:91], s[20:21], v[117:118], v[117:118], v[119:120]
	v_rcp_f64_e32 v[95:96], v[90:91]
	v_fma_f64 v[97:98], -v[90:91], v[95:96], 1.0
	v_fma_f64 v[95:96], v[95:96], v[97:98], v[95:96]
	v_div_scale_f64 v[97:98], vcc, v[119:120], v[117:118], v[119:120]
	v_fma_f64 v[99:100], -v[90:91], v[95:96], 1.0
	v_fma_f64 v[95:96], v[95:96], v[99:100], v[95:96]
	v_mul_f64 v[99:100], v[97:98], v[95:96]
	v_fma_f64 v[90:91], -v[90:91], v[99:100], v[97:98]
	v_div_fmas_f64 v[90:91], v[90:91], v[95:96], v[99:100]
	v_div_fixup_f64 v[90:91], v[90:91], v[117:118], v[119:120]
	v_fma_f64 v[95:96], v[119:120], v[90:91], v[117:118]
	v_div_scale_f64 v[97:98], s[20:21], v[95:96], v[95:96], 1.0
	v_div_scale_f64 v[103:104], vcc, 1.0, v[95:96], 1.0
	v_rcp_f64_e32 v[99:100], v[97:98]
	v_fma_f64 v[101:102], -v[97:98], v[99:100], 1.0
	v_fma_f64 v[99:100], v[99:100], v[101:102], v[99:100]
	v_fma_f64 v[101:102], -v[97:98], v[99:100], 1.0
	v_fma_f64 v[99:100], v[99:100], v[101:102], v[99:100]
	v_mul_f64 v[101:102], v[103:104], v[99:100]
	v_fma_f64 v[97:98], -v[97:98], v[101:102], v[103:104]
	v_div_fmas_f64 v[97:98], v[97:98], v[99:100], v[101:102]
	v_div_fixup_f64 v[117:118], v[97:98], v[95:96], 1.0
	v_mul_f64 v[119:120], v[90:91], -v[117:118]
.LBB110_639:
	s_or_b64 exec, exec, s[18:19]
.LBB110_640:
	s_or_b64 exec, exec, s[0:1]
	v_cmp_ne_u32_e32 vcc, v93, v89
	s_and_saveexec_b64 s[0:1], vcc
	s_xor_b64 s[0:1], exec, s[0:1]
	s_cbranch_execz .LBB110_646
; %bb.641:
	v_cmp_eq_u32_e32 vcc, 30, v93
	s_and_saveexec_b64 s[18:19], vcc
	s_cbranch_execz .LBB110_645
; %bb.642:
	v_cmp_ne_u32_e32 vcc, 30, v89
	s_xor_b64 s[20:21], s[6:7], -1
	s_and_b64 s[22:23], s[20:21], vcc
	s_and_saveexec_b64 s[20:21], s[22:23]
	s_cbranch_execz .LBB110_644
; %bb.643:
	v_mov_b32_e32 v73, v81
	v_mov_b32_e32 v74, v82
	;; [unrolled: 1-line block ×4, first 2 shown]
	buffer_load_dword v81, off, s[24:27], 0 offset:448 ; 4-byte Folded Reload
	buffer_load_dword v82, off, s[24:27], 0 offset:452 ; 4-byte Folded Reload
	v_ashrrev_i32_e32 v90, 31, v89
	v_lshlrev_b64 v[90:91], 2, v[89:90]
	s_waitcnt vmcnt(1)
	v_add_co_u32_e32 v90, vcc, v81, v90
	s_waitcnt vmcnt(0)
	v_addc_co_u32_e32 v91, vcc, v82, v91, vcc
	global_load_dword v92, v[90:91], off
	global_load_dword v93, v[81:82], off offset:120
	s_waitcnt vmcnt(1)
	global_store_dword v[81:82], v92, off offset:120
	v_mov_b32_e32 v84, v76
	v_mov_b32_e32 v83, v75
	;; [unrolled: 1-line block ×4, first 2 shown]
	s_waitcnt vmcnt(1)
	global_store_dword v[90:91], v93, off
.LBB110_644:
	s_or_b64 exec, exec, s[20:21]
	v_mov_b32_e32 v93, v89
	v_mov_b32_e32 v127, v89
.LBB110_645:
	s_or_b64 exec, exec, s[18:19]
.LBB110_646:
	s_andn2_saveexec_b64 s[0:1], s[0:1]
	s_cbranch_execz .LBB110_648
; %bb.647:
	ds_write2_b64 v0, v[81:82], v[83:84] offset0:62 offset1:63
	ds_write2_b64 v0, v[85:86], v[87:88] offset0:64 offset1:65
	;; [unrolled: 1-line block ×5, first 2 shown]
	buffer_load_dword v73, off, s[24:27], 0 ; 4-byte Folded Reload
	buffer_load_dword v74, off, s[24:27], 0 offset:4 ; 4-byte Folded Reload
	buffer_load_dword v75, off, s[24:27], 0 offset:8 ; 4-byte Folded Reload
	;; [unrolled: 1-line block ×3, first 2 shown]
	v_mov_b32_e32 v93, 30
	s_waitcnt vmcnt(0)
	ds_write2_b64 v0, v[73:74], v[75:76] offset0:72 offset1:73
	ds_write2_b64 v0, v[69:70], v[71:72] offset0:74 offset1:75
	;; [unrolled: 1-line block ×20, first 2 shown]
.LBB110_648:
	s_or_b64 exec, exec, s[0:1]
	v_cmp_lt_i32_e32 vcc, 30, v93
	s_waitcnt vmcnt(0) lgkmcnt(0)
	s_barrier
	s_and_saveexec_b64 s[0:1], vcc
	s_cbranch_execz .LBB110_650
; %bb.649:
	buffer_load_dword v97, off, s[24:27], 0 offset:16 ; 4-byte Folded Reload
	buffer_load_dword v98, off, s[24:27], 0 offset:20 ; 4-byte Folded Reload
	;; [unrolled: 1-line block ×4, first 2 shown]
	s_waitcnt vmcnt(0)
	v_mul_f64 v[91:92], v[117:118], v[99:100]
	v_mul_f64 v[89:90], v[119:120], v[99:100]
	v_fma_f64 v[99:100], v[119:120], v[97:98], v[91:92]
	v_fma_f64 v[89:90], v[117:118], v[97:98], -v[89:90]
	ds_read2_b64 v[95:98], v0 offset0:62 offset1:63
	s_waitcnt lgkmcnt(0)
	v_mul_f64 v[91:92], v[97:98], v[99:100]
	v_fma_f64 v[91:92], v[95:96], v[89:90], -v[91:92]
	v_mul_f64 v[95:96], v[95:96], v[99:100]
	v_add_f64 v[81:82], v[81:82], -v[91:92]
	v_fma_f64 v[95:96], v[97:98], v[89:90], v[95:96]
	v_add_f64 v[83:84], v[83:84], -v[95:96]
	ds_read2_b64 v[95:98], v0 offset0:64 offset1:65
	s_waitcnt lgkmcnt(0)
	v_mul_f64 v[91:92], v[97:98], v[99:100]
	v_fma_f64 v[91:92], v[95:96], v[89:90], -v[91:92]
	v_mul_f64 v[95:96], v[95:96], v[99:100]
	v_add_f64 v[85:86], v[85:86], -v[91:92]
	v_fma_f64 v[95:96], v[97:98], v[89:90], v[95:96]
	v_add_f64 v[87:88], v[87:88], -v[95:96]
	;; [unrolled: 8-line block ×5, first 2 shown]
	ds_read2_b64 v[95:98], v0 offset0:72 offset1:73
	buffer_load_dword v73, off, s[24:27], 0 ; 4-byte Folded Reload
	buffer_load_dword v74, off, s[24:27], 0 offset:4 ; 4-byte Folded Reload
	buffer_load_dword v75, off, s[24:27], 0 offset:8 ; 4-byte Folded Reload
	;; [unrolled: 1-line block ×3, first 2 shown]
	s_waitcnt lgkmcnt(0)
	v_mul_f64 v[91:92], v[97:98], v[99:100]
	v_fma_f64 v[91:92], v[95:96], v[89:90], -v[91:92]
	v_mul_f64 v[95:96], v[95:96], v[99:100]
	v_fma_f64 v[95:96], v[97:98], v[89:90], v[95:96]
	s_waitcnt vmcnt(2)
	v_add_f64 v[73:74], v[73:74], -v[91:92]
	s_waitcnt vmcnt(0)
	v_add_f64 v[75:76], v[75:76], -v[95:96]
	buffer_store_dword v73, off, s[24:27], 0 ; 4-byte Folded Spill
	s_nop 0
	buffer_store_dword v74, off, s[24:27], 0 offset:4 ; 4-byte Folded Spill
	buffer_store_dword v75, off, s[24:27], 0 offset:8 ; 4-byte Folded Spill
	;; [unrolled: 1-line block ×3, first 2 shown]
	ds_read2_b64 v[95:98], v0 offset0:74 offset1:75
	s_waitcnt lgkmcnt(0)
	v_mul_f64 v[91:92], v[97:98], v[99:100]
	v_fma_f64 v[91:92], v[95:96], v[89:90], -v[91:92]
	v_mul_f64 v[95:96], v[95:96], v[99:100]
	v_add_f64 v[69:70], v[69:70], -v[91:92]
	v_fma_f64 v[95:96], v[97:98], v[89:90], v[95:96]
	v_add_f64 v[71:72], v[71:72], -v[95:96]
	ds_read2_b64 v[95:98], v0 offset0:76 offset1:77
	s_waitcnt lgkmcnt(0)
	v_mul_f64 v[91:92], v[97:98], v[99:100]
	v_fma_f64 v[91:92], v[95:96], v[89:90], -v[91:92]
	v_mul_f64 v[95:96], v[95:96], v[99:100]
	v_add_f64 v[65:66], v[65:66], -v[91:92]
	v_fma_f64 v[95:96], v[97:98], v[89:90], v[95:96]
	v_add_f64 v[67:68], v[67:68], -v[95:96]
	;; [unrolled: 8-line block ×18, first 2 shown]
	ds_read2_b64 v[95:98], v0 offset0:110 offset1:111
	s_waitcnt lgkmcnt(0)
	v_mul_f64 v[91:92], v[97:98], v[99:100]
	v_fma_f64 v[91:92], v[95:96], v[89:90], -v[91:92]
	v_mul_f64 v[95:96], v[95:96], v[99:100]
	v_add_f64 v[121:122], v[121:122], -v[91:92]
	v_fma_f64 v[95:96], v[97:98], v[89:90], v[95:96]
	v_mov_b32_e32 v98, v90
	v_mov_b32_e32 v97, v89
	buffer_store_dword v97, off, s[24:27], 0 offset:16 ; 4-byte Folded Spill
	s_nop 0
	buffer_store_dword v98, off, s[24:27], 0 offset:20 ; 4-byte Folded Spill
	buffer_store_dword v99, off, s[24:27], 0 offset:24 ; 4-byte Folded Spill
	;; [unrolled: 1-line block ×3, first 2 shown]
	v_add_f64 v[123:124], v[123:124], -v[95:96]
.LBB110_650:
	s_or_b64 exec, exec, s[0:1]
	v_lshl_add_u32 v89, v93, 4, v0
	s_waitcnt vmcnt(0)
	s_barrier
	ds_write2_b64 v89, v[81:82], v[83:84] offset1:1
	s_waitcnt lgkmcnt(0)
	s_barrier
	ds_read2_b64 v[117:120], v0 offset0:62 offset1:63
	s_cmp_lt_i32 s3, 33
	v_mov_b32_e32 v89, 31
	s_cbranch_scc1 .LBB110_653
; %bb.651:
	v_add_u32_e32 v90, 0x200, v0
	s_mov_b32 s0, 32
	v_mov_b32_e32 v89, 31
.LBB110_652:                            ; =>This Inner Loop Header: Depth=1
	s_waitcnt lgkmcnt(0)
	v_cmp_gt_f64_e32 vcc, 0, v[117:118]
	v_xor_b32_e32 v91, 0x80000000, v118
	ds_read2_b64 v[95:98], v90 offset1:1
	v_xor_b32_e32 v99, 0x80000000, v120
	v_add_u32_e32 v90, 16, v90
	s_waitcnt lgkmcnt(0)
	v_xor_b32_e32 v101, 0x80000000, v98
	v_cndmask_b32_e32 v92, v118, v91, vcc
	v_cmp_gt_f64_e32 vcc, 0, v[119:120]
	v_mov_b32_e32 v91, v117
	v_cndmask_b32_e32 v100, v120, v99, vcc
	v_cmp_gt_f64_e32 vcc, 0, v[95:96]
	v_mov_b32_e32 v99, v119
	v_add_f64 v[91:92], v[91:92], v[99:100]
	v_xor_b32_e32 v99, 0x80000000, v96
	v_cndmask_b32_e32 v100, v96, v99, vcc
	v_cmp_gt_f64_e32 vcc, 0, v[97:98]
	v_mov_b32_e32 v99, v95
	v_cndmask_b32_e32 v102, v98, v101, vcc
	v_mov_b32_e32 v101, v97
	v_add_f64 v[99:100], v[99:100], v[101:102]
	v_cmp_lt_f64_e32 vcc, v[91:92], v[99:100]
	v_mov_b32_e32 v91, s0
	s_add_i32 s0, s0, 1
	s_cmp_lg_u32 s3, s0
	v_cndmask_b32_e32 v118, v118, v96, vcc
	v_cndmask_b32_e32 v117, v117, v95, vcc
	;; [unrolled: 1-line block ×5, first 2 shown]
	s_cbranch_scc1 .LBB110_652
.LBB110_653:
	s_waitcnt lgkmcnt(0)
	v_cmp_eq_f64_e32 vcc, 0, v[117:118]
	v_cmp_eq_f64_e64 s[0:1], 0, v[119:120]
	s_and_b64 s[0:1], vcc, s[0:1]
	s_and_saveexec_b64 s[18:19], s[0:1]
	s_xor_b64 s[0:1], exec, s[18:19]
; %bb.654:
	v_cmp_ne_u32_e32 vcc, 0, v94
	v_cndmask_b32_e32 v94, 32, v94, vcc
; %bb.655:
	s_andn2_saveexec_b64 s[0:1], s[0:1]
	s_cbranch_execz .LBB110_661
; %bb.656:
	v_cmp_ngt_f64_e64 s[18:19], |v[117:118]|, |v[119:120]|
	s_and_saveexec_b64 s[20:21], s[18:19]
	s_xor_b64 s[18:19], exec, s[20:21]
	s_cbranch_execz .LBB110_658
; %bb.657:
	v_div_scale_f64 v[90:91], s[20:21], v[119:120], v[119:120], v[117:118]
	v_rcp_f64_e32 v[95:96], v[90:91]
	v_fma_f64 v[97:98], -v[90:91], v[95:96], 1.0
	v_fma_f64 v[95:96], v[95:96], v[97:98], v[95:96]
	v_div_scale_f64 v[97:98], vcc, v[117:118], v[119:120], v[117:118]
	v_fma_f64 v[99:100], -v[90:91], v[95:96], 1.0
	v_fma_f64 v[95:96], v[95:96], v[99:100], v[95:96]
	v_mul_f64 v[99:100], v[97:98], v[95:96]
	v_fma_f64 v[90:91], -v[90:91], v[99:100], v[97:98]
	v_div_fmas_f64 v[90:91], v[90:91], v[95:96], v[99:100]
	v_div_fixup_f64 v[90:91], v[90:91], v[119:120], v[117:118]
	v_fma_f64 v[95:96], v[117:118], v[90:91], v[119:120]
	v_div_scale_f64 v[97:98], s[20:21], v[95:96], v[95:96], 1.0
	v_div_scale_f64 v[103:104], vcc, 1.0, v[95:96], 1.0
	v_rcp_f64_e32 v[99:100], v[97:98]
	v_fma_f64 v[101:102], -v[97:98], v[99:100], 1.0
	v_fma_f64 v[99:100], v[99:100], v[101:102], v[99:100]
	v_fma_f64 v[101:102], -v[97:98], v[99:100], 1.0
	v_fma_f64 v[99:100], v[99:100], v[101:102], v[99:100]
	v_mul_f64 v[101:102], v[103:104], v[99:100]
	v_fma_f64 v[97:98], -v[97:98], v[101:102], v[103:104]
	v_div_fmas_f64 v[97:98], v[97:98], v[99:100], v[101:102]
	v_div_fixup_f64 v[119:120], v[97:98], v[95:96], 1.0
	v_mul_f64 v[117:118], v[90:91], v[119:120]
	v_xor_b32_e32 v120, 0x80000000, v120
.LBB110_658:
	s_andn2_saveexec_b64 s[18:19], s[18:19]
	s_cbranch_execz .LBB110_660
; %bb.659:
	v_div_scale_f64 v[90:91], s[20:21], v[117:118], v[117:118], v[119:120]
	v_rcp_f64_e32 v[95:96], v[90:91]
	v_fma_f64 v[97:98], -v[90:91], v[95:96], 1.0
	v_fma_f64 v[95:96], v[95:96], v[97:98], v[95:96]
	v_div_scale_f64 v[97:98], vcc, v[119:120], v[117:118], v[119:120]
	v_fma_f64 v[99:100], -v[90:91], v[95:96], 1.0
	v_fma_f64 v[95:96], v[95:96], v[99:100], v[95:96]
	v_mul_f64 v[99:100], v[97:98], v[95:96]
	v_fma_f64 v[90:91], -v[90:91], v[99:100], v[97:98]
	v_div_fmas_f64 v[90:91], v[90:91], v[95:96], v[99:100]
	v_div_fixup_f64 v[90:91], v[90:91], v[117:118], v[119:120]
	v_fma_f64 v[95:96], v[119:120], v[90:91], v[117:118]
	v_div_scale_f64 v[97:98], s[20:21], v[95:96], v[95:96], 1.0
	v_div_scale_f64 v[103:104], vcc, 1.0, v[95:96], 1.0
	v_rcp_f64_e32 v[99:100], v[97:98]
	v_fma_f64 v[101:102], -v[97:98], v[99:100], 1.0
	v_fma_f64 v[99:100], v[99:100], v[101:102], v[99:100]
	v_fma_f64 v[101:102], -v[97:98], v[99:100], 1.0
	v_fma_f64 v[99:100], v[99:100], v[101:102], v[99:100]
	v_mul_f64 v[101:102], v[103:104], v[99:100]
	v_fma_f64 v[97:98], -v[97:98], v[101:102], v[103:104]
	v_div_fmas_f64 v[97:98], v[97:98], v[99:100], v[101:102]
	v_div_fixup_f64 v[117:118], v[97:98], v[95:96], 1.0
	v_mul_f64 v[119:120], v[90:91], -v[117:118]
.LBB110_660:
	s_or_b64 exec, exec, s[18:19]
.LBB110_661:
	s_or_b64 exec, exec, s[0:1]
	v_cmp_ne_u32_e32 vcc, v93, v89
	s_and_saveexec_b64 s[0:1], vcc
	s_xor_b64 s[0:1], exec, s[0:1]
	s_cbranch_execz .LBB110_667
; %bb.662:
	v_cmp_eq_u32_e32 vcc, 31, v93
	s_and_saveexec_b64 s[18:19], vcc
	s_cbranch_execz .LBB110_666
; %bb.663:
	v_cmp_ne_u32_e32 vcc, 31, v89
	s_xor_b64 s[20:21], s[6:7], -1
	s_and_b64 s[22:23], s[20:21], vcc
	s_and_saveexec_b64 s[20:21], s[22:23]
	s_cbranch_execz .LBB110_665
; %bb.664:
	v_mov_b32_e32 v73, v81
	v_mov_b32_e32 v74, v82
	;; [unrolled: 1-line block ×4, first 2 shown]
	buffer_load_dword v81, off, s[24:27], 0 offset:448 ; 4-byte Folded Reload
	buffer_load_dword v82, off, s[24:27], 0 offset:452 ; 4-byte Folded Reload
	v_ashrrev_i32_e32 v90, 31, v89
	v_lshlrev_b64 v[90:91], 2, v[89:90]
	s_waitcnt vmcnt(1)
	v_add_co_u32_e32 v90, vcc, v81, v90
	s_waitcnt vmcnt(0)
	v_addc_co_u32_e32 v91, vcc, v82, v91, vcc
	global_load_dword v92, v[90:91], off
	global_load_dword v93, v[81:82], off offset:124
	s_waitcnt vmcnt(1)
	global_store_dword v[81:82], v92, off offset:124
	v_mov_b32_e32 v84, v76
	v_mov_b32_e32 v83, v75
	;; [unrolled: 1-line block ×4, first 2 shown]
	s_waitcnt vmcnt(1)
	global_store_dword v[90:91], v93, off
.LBB110_665:
	s_or_b64 exec, exec, s[20:21]
	v_mov_b32_e32 v93, v89
	v_mov_b32_e32 v127, v89
.LBB110_666:
	s_or_b64 exec, exec, s[18:19]
.LBB110_667:
	s_andn2_saveexec_b64 s[0:1], s[0:1]
	s_cbranch_execz .LBB110_669
; %bb.668:
	ds_write2_b64 v0, v[85:86], v[87:88] offset0:64 offset1:65
	ds_write2_b64 v0, v[109:110], v[111:112] offset0:66 offset1:67
	;; [unrolled: 1-line block ×4, first 2 shown]
	buffer_load_dword v73, off, s[24:27], 0 ; 4-byte Folded Reload
	buffer_load_dword v74, off, s[24:27], 0 offset:4 ; 4-byte Folded Reload
	buffer_load_dword v75, off, s[24:27], 0 offset:8 ; 4-byte Folded Reload
	;; [unrolled: 1-line block ×3, first 2 shown]
	v_mov_b32_e32 v93, 31
	s_waitcnt vmcnt(0)
	ds_write2_b64 v0, v[73:74], v[75:76] offset0:72 offset1:73
	ds_write2_b64 v0, v[69:70], v[71:72] offset0:74 offset1:75
	;; [unrolled: 1-line block ×20, first 2 shown]
.LBB110_669:
	s_or_b64 exec, exec, s[0:1]
	v_cmp_lt_i32_e32 vcc, 31, v93
	s_waitcnt vmcnt(0) lgkmcnt(0)
	s_barrier
	s_and_saveexec_b64 s[0:1], vcc
	s_cbranch_execz .LBB110_671
; %bb.670:
	v_mul_f64 v[91:92], v[117:118], v[83:84]
	v_mul_f64 v[89:90], v[119:120], v[83:84]
	ds_read2_b64 v[95:98], v0 offset0:64 offset1:65
	v_fma_f64 v[83:84], v[119:120], v[81:82], v[91:92]
	v_fma_f64 v[89:90], v[117:118], v[81:82], -v[89:90]
	s_waitcnt lgkmcnt(0)
	v_mul_f64 v[91:92], v[97:98], v[83:84]
	v_mov_b32_e32 v81, v89
	v_mov_b32_e32 v82, v90
	v_fma_f64 v[91:92], v[95:96], v[89:90], -v[91:92]
	v_mul_f64 v[95:96], v[95:96], v[83:84]
	v_add_f64 v[85:86], v[85:86], -v[91:92]
	v_fma_f64 v[95:96], v[97:98], v[89:90], v[95:96]
	v_add_f64 v[87:88], v[87:88], -v[95:96]
	ds_read2_b64 v[95:98], v0 offset0:66 offset1:67
	s_waitcnt lgkmcnt(0)
	v_mul_f64 v[91:92], v[97:98], v[83:84]
	v_fma_f64 v[91:92], v[95:96], v[89:90], -v[91:92]
	v_mul_f64 v[95:96], v[95:96], v[83:84]
	v_add_f64 v[109:110], v[109:110], -v[91:92]
	v_fma_f64 v[95:96], v[97:98], v[89:90], v[95:96]
	v_add_f64 v[111:112], v[111:112], -v[95:96]
	ds_read2_b64 v[95:98], v0 offset0:68 offset1:69
	s_waitcnt lgkmcnt(0)
	v_mul_f64 v[91:92], v[97:98], v[83:84]
	;; [unrolled: 8-line block ×3, first 2 shown]
	v_fma_f64 v[91:92], v[95:96], v[89:90], -v[91:92]
	v_mul_f64 v[95:96], v[95:96], v[83:84]
	v_add_f64 v[77:78], v[77:78], -v[91:92]
	v_fma_f64 v[95:96], v[97:98], v[89:90], v[95:96]
	v_add_f64 v[79:80], v[79:80], -v[95:96]
	ds_read2_b64 v[95:98], v0 offset0:72 offset1:73
	buffer_load_dword v73, off, s[24:27], 0 ; 4-byte Folded Reload
	buffer_load_dword v74, off, s[24:27], 0 offset:4 ; 4-byte Folded Reload
	buffer_load_dword v75, off, s[24:27], 0 offset:8 ; 4-byte Folded Reload
	buffer_load_dword v76, off, s[24:27], 0 offset:12 ; 4-byte Folded Reload
	s_waitcnt lgkmcnt(0)
	v_mul_f64 v[91:92], v[97:98], v[83:84]
	v_fma_f64 v[91:92], v[95:96], v[89:90], -v[91:92]
	v_mul_f64 v[95:96], v[95:96], v[83:84]
	v_fma_f64 v[95:96], v[97:98], v[89:90], v[95:96]
	s_waitcnt vmcnt(2)
	v_add_f64 v[73:74], v[73:74], -v[91:92]
	s_waitcnt vmcnt(0)
	v_add_f64 v[75:76], v[75:76], -v[95:96]
	buffer_store_dword v73, off, s[24:27], 0 ; 4-byte Folded Spill
	s_nop 0
	buffer_store_dword v74, off, s[24:27], 0 offset:4 ; 4-byte Folded Spill
	buffer_store_dword v75, off, s[24:27], 0 offset:8 ; 4-byte Folded Spill
	;; [unrolled: 1-line block ×3, first 2 shown]
	ds_read2_b64 v[95:98], v0 offset0:74 offset1:75
	s_waitcnt lgkmcnt(0)
	v_mul_f64 v[91:92], v[97:98], v[83:84]
	v_fma_f64 v[91:92], v[95:96], v[89:90], -v[91:92]
	v_mul_f64 v[95:96], v[95:96], v[83:84]
	v_add_f64 v[69:70], v[69:70], -v[91:92]
	v_fma_f64 v[95:96], v[97:98], v[89:90], v[95:96]
	v_add_f64 v[71:72], v[71:72], -v[95:96]
	ds_read2_b64 v[95:98], v0 offset0:76 offset1:77
	s_waitcnt lgkmcnt(0)
	v_mul_f64 v[91:92], v[97:98], v[83:84]
	v_fma_f64 v[91:92], v[95:96], v[89:90], -v[91:92]
	v_mul_f64 v[95:96], v[95:96], v[83:84]
	v_add_f64 v[65:66], v[65:66], -v[91:92]
	v_fma_f64 v[95:96], v[97:98], v[89:90], v[95:96]
	v_add_f64 v[67:68], v[67:68], -v[95:96]
	;; [unrolled: 8-line block ×19, first 2 shown]
.LBB110_671:
	s_or_b64 exec, exec, s[0:1]
	v_lshl_add_u32 v89, v93, 4, v0
	s_waitcnt vmcnt(0)
	s_barrier
	ds_write2_b64 v89, v[85:86], v[87:88] offset1:1
	s_waitcnt lgkmcnt(0)
	s_barrier
	ds_read2_b64 v[117:120], v0 offset0:64 offset1:65
	s_cmp_lt_i32 s3, 34
	v_mov_b32_e32 v89, 32
	s_cbranch_scc1 .LBB110_674
; %bb.672:
	v_add_u32_e32 v90, 0x210, v0
	s_mov_b32 s0, 33
	v_mov_b32_e32 v89, 32
.LBB110_673:                            ; =>This Inner Loop Header: Depth=1
	s_waitcnt lgkmcnt(0)
	v_cmp_gt_f64_e32 vcc, 0, v[117:118]
	v_xor_b32_e32 v91, 0x80000000, v118
	ds_read2_b64 v[95:98], v90 offset1:1
	v_xor_b32_e32 v99, 0x80000000, v120
	v_add_u32_e32 v90, 16, v90
	s_waitcnt lgkmcnt(0)
	v_xor_b32_e32 v101, 0x80000000, v98
	v_cndmask_b32_e32 v92, v118, v91, vcc
	v_cmp_gt_f64_e32 vcc, 0, v[119:120]
	v_mov_b32_e32 v91, v117
	v_cndmask_b32_e32 v100, v120, v99, vcc
	v_cmp_gt_f64_e32 vcc, 0, v[95:96]
	v_mov_b32_e32 v99, v119
	v_add_f64 v[91:92], v[91:92], v[99:100]
	v_xor_b32_e32 v99, 0x80000000, v96
	v_cndmask_b32_e32 v100, v96, v99, vcc
	v_cmp_gt_f64_e32 vcc, 0, v[97:98]
	v_mov_b32_e32 v99, v95
	v_cndmask_b32_e32 v102, v98, v101, vcc
	v_mov_b32_e32 v101, v97
	v_add_f64 v[99:100], v[99:100], v[101:102]
	v_cmp_lt_f64_e32 vcc, v[91:92], v[99:100]
	v_mov_b32_e32 v91, s0
	s_add_i32 s0, s0, 1
	s_cmp_lg_u32 s3, s0
	v_cndmask_b32_e32 v118, v118, v96, vcc
	v_cndmask_b32_e32 v117, v117, v95, vcc
	;; [unrolled: 1-line block ×5, first 2 shown]
	s_cbranch_scc1 .LBB110_673
.LBB110_674:
	s_waitcnt lgkmcnt(0)
	v_cmp_eq_f64_e32 vcc, 0, v[117:118]
	v_cmp_eq_f64_e64 s[0:1], 0, v[119:120]
	s_and_b64 s[0:1], vcc, s[0:1]
	s_and_saveexec_b64 s[18:19], s[0:1]
	s_xor_b64 s[0:1], exec, s[18:19]
; %bb.675:
	v_cmp_ne_u32_e32 vcc, 0, v94
	v_cndmask_b32_e32 v94, 33, v94, vcc
; %bb.676:
	s_andn2_saveexec_b64 s[0:1], s[0:1]
	s_cbranch_execz .LBB110_682
; %bb.677:
	v_cmp_ngt_f64_e64 s[18:19], |v[117:118]|, |v[119:120]|
	s_and_saveexec_b64 s[20:21], s[18:19]
	s_xor_b64 s[18:19], exec, s[20:21]
	s_cbranch_execz .LBB110_679
; %bb.678:
	v_div_scale_f64 v[90:91], s[20:21], v[119:120], v[119:120], v[117:118]
	v_rcp_f64_e32 v[95:96], v[90:91]
	v_fma_f64 v[97:98], -v[90:91], v[95:96], 1.0
	v_fma_f64 v[95:96], v[95:96], v[97:98], v[95:96]
	v_div_scale_f64 v[97:98], vcc, v[117:118], v[119:120], v[117:118]
	v_fma_f64 v[99:100], -v[90:91], v[95:96], 1.0
	v_fma_f64 v[95:96], v[95:96], v[99:100], v[95:96]
	v_mul_f64 v[99:100], v[97:98], v[95:96]
	v_fma_f64 v[90:91], -v[90:91], v[99:100], v[97:98]
	v_div_fmas_f64 v[90:91], v[90:91], v[95:96], v[99:100]
	v_div_fixup_f64 v[90:91], v[90:91], v[119:120], v[117:118]
	v_fma_f64 v[95:96], v[117:118], v[90:91], v[119:120]
	v_div_scale_f64 v[97:98], s[20:21], v[95:96], v[95:96], 1.0
	v_div_scale_f64 v[103:104], vcc, 1.0, v[95:96], 1.0
	v_rcp_f64_e32 v[99:100], v[97:98]
	v_fma_f64 v[101:102], -v[97:98], v[99:100], 1.0
	v_fma_f64 v[99:100], v[99:100], v[101:102], v[99:100]
	v_fma_f64 v[101:102], -v[97:98], v[99:100], 1.0
	v_fma_f64 v[99:100], v[99:100], v[101:102], v[99:100]
	v_mul_f64 v[101:102], v[103:104], v[99:100]
	v_fma_f64 v[97:98], -v[97:98], v[101:102], v[103:104]
	v_div_fmas_f64 v[97:98], v[97:98], v[99:100], v[101:102]
	v_div_fixup_f64 v[119:120], v[97:98], v[95:96], 1.0
	v_mul_f64 v[117:118], v[90:91], v[119:120]
	v_xor_b32_e32 v120, 0x80000000, v120
.LBB110_679:
	s_andn2_saveexec_b64 s[18:19], s[18:19]
	s_cbranch_execz .LBB110_681
; %bb.680:
	v_div_scale_f64 v[90:91], s[20:21], v[117:118], v[117:118], v[119:120]
	v_rcp_f64_e32 v[95:96], v[90:91]
	v_fma_f64 v[97:98], -v[90:91], v[95:96], 1.0
	v_fma_f64 v[95:96], v[95:96], v[97:98], v[95:96]
	v_div_scale_f64 v[97:98], vcc, v[119:120], v[117:118], v[119:120]
	v_fma_f64 v[99:100], -v[90:91], v[95:96], 1.0
	v_fma_f64 v[95:96], v[95:96], v[99:100], v[95:96]
	v_mul_f64 v[99:100], v[97:98], v[95:96]
	v_fma_f64 v[90:91], -v[90:91], v[99:100], v[97:98]
	v_div_fmas_f64 v[90:91], v[90:91], v[95:96], v[99:100]
	v_div_fixup_f64 v[90:91], v[90:91], v[117:118], v[119:120]
	v_fma_f64 v[95:96], v[119:120], v[90:91], v[117:118]
	v_div_scale_f64 v[97:98], s[20:21], v[95:96], v[95:96], 1.0
	v_div_scale_f64 v[103:104], vcc, 1.0, v[95:96], 1.0
	v_rcp_f64_e32 v[99:100], v[97:98]
	v_fma_f64 v[101:102], -v[97:98], v[99:100], 1.0
	v_fma_f64 v[99:100], v[99:100], v[101:102], v[99:100]
	v_fma_f64 v[101:102], -v[97:98], v[99:100], 1.0
	v_fma_f64 v[99:100], v[99:100], v[101:102], v[99:100]
	v_mul_f64 v[101:102], v[103:104], v[99:100]
	v_fma_f64 v[97:98], -v[97:98], v[101:102], v[103:104]
	v_div_fmas_f64 v[97:98], v[97:98], v[99:100], v[101:102]
	v_div_fixup_f64 v[117:118], v[97:98], v[95:96], 1.0
	v_mul_f64 v[119:120], v[90:91], -v[117:118]
.LBB110_681:
	s_or_b64 exec, exec, s[18:19]
.LBB110_682:
	s_or_b64 exec, exec, s[0:1]
	v_cmp_ne_u32_e32 vcc, v93, v89
	s_mov_b64 s[0:1], exec
	s_and_b64 s[18:19], s[0:1], vcc
	v_mov_b32_e32 v108, v84
	s_xor_b64 s[0:1], s[18:19], s[0:1]
	v_mov_b32_e32 v107, v83
	v_mov_b32_e32 v106, v82
	;; [unrolled: 1-line block ×3, first 2 shown]
	s_mov_b64 exec, s[18:19]
	s_cbranch_execz .LBB110_688
; %bb.683:
	v_cmp_eq_u32_e32 vcc, 32, v93
	s_and_saveexec_b64 s[18:19], vcc
	s_cbranch_execz .LBB110_687
; %bb.684:
	v_cmp_ne_u32_e32 vcc, 32, v89
	s_xor_b64 s[20:21], s[6:7], -1
	s_and_b64 s[22:23], s[20:21], vcc
	s_and_saveexec_b64 s[20:21], s[22:23]
	s_cbranch_execz .LBB110_686
; %bb.685:
	buffer_load_dword v81, off, s[24:27], 0 offset:448 ; 4-byte Folded Reload
	buffer_load_dword v82, off, s[24:27], 0 offset:452 ; 4-byte Folded Reload
	v_ashrrev_i32_e32 v90, 31, v89
	v_lshlrev_b64 v[90:91], 2, v[89:90]
	s_waitcnt vmcnt(1)
	v_add_co_u32_e32 v90, vcc, v81, v90
	s_waitcnt vmcnt(0)
	v_addc_co_u32_e32 v91, vcc, v82, v91, vcc
	global_load_dword v92, v[90:91], off
	global_load_dword v93, v[81:82], off offset:128
	s_waitcnt vmcnt(1)
	global_store_dword v[81:82], v92, off offset:128
	v_mov_b32_e32 v81, v105
	v_mov_b32_e32 v82, v106
	;; [unrolled: 1-line block ×4, first 2 shown]
	s_waitcnt vmcnt(1)
	global_store_dword v[90:91], v93, off
.LBB110_686:
	s_or_b64 exec, exec, s[20:21]
	v_mov_b32_e32 v93, v89
	v_mov_b32_e32 v127, v89
.LBB110_687:
	s_or_b64 exec, exec, s[18:19]
.LBB110_688:
	s_andn2_saveexec_b64 s[0:1], s[0:1]
	s_cbranch_execz .LBB110_690
; %bb.689:
	ds_write2_b64 v0, v[109:110], v[111:112] offset0:66 offset1:67
	ds_write2_b64 v0, v[113:114], v[115:116] offset0:68 offset1:69
	;; [unrolled: 1-line block ×3, first 2 shown]
	buffer_load_dword v73, off, s[24:27], 0 ; 4-byte Folded Reload
	buffer_load_dword v74, off, s[24:27], 0 offset:4 ; 4-byte Folded Reload
	buffer_load_dword v75, off, s[24:27], 0 offset:8 ; 4-byte Folded Reload
	;; [unrolled: 1-line block ×3, first 2 shown]
	v_mov_b32_e32 v93, 32
	s_waitcnt vmcnt(0)
	ds_write2_b64 v0, v[73:74], v[75:76] offset0:72 offset1:73
	ds_write2_b64 v0, v[69:70], v[71:72] offset0:74 offset1:75
	;; [unrolled: 1-line block ×20, first 2 shown]
.LBB110_690:
	s_or_b64 exec, exec, s[0:1]
	v_cmp_lt_i32_e32 vcc, 32, v93
	s_waitcnt vmcnt(0) lgkmcnt(0)
	s_barrier
	s_and_saveexec_b64 s[0:1], vcc
	s_cbranch_execz .LBB110_692
; %bb.691:
	v_mul_f64 v[91:92], v[117:118], v[87:88]
	v_mul_f64 v[89:90], v[119:120], v[87:88]
	ds_read2_b64 v[95:98], v0 offset0:66 offset1:67
	v_fma_f64 v[87:88], v[119:120], v[85:86], v[91:92]
	v_fma_f64 v[89:90], v[117:118], v[85:86], -v[89:90]
	s_waitcnt lgkmcnt(0)
	v_mul_f64 v[91:92], v[97:98], v[87:88]
	v_mov_b32_e32 v85, v89
	v_mov_b32_e32 v86, v90
	v_fma_f64 v[91:92], v[95:96], v[89:90], -v[91:92]
	v_mul_f64 v[95:96], v[95:96], v[87:88]
	v_add_f64 v[109:110], v[109:110], -v[91:92]
	v_fma_f64 v[95:96], v[97:98], v[89:90], v[95:96]
	v_add_f64 v[111:112], v[111:112], -v[95:96]
	ds_read2_b64 v[95:98], v0 offset0:68 offset1:69
	s_waitcnt lgkmcnt(0)
	v_mul_f64 v[91:92], v[97:98], v[87:88]
	v_fma_f64 v[91:92], v[95:96], v[89:90], -v[91:92]
	v_mul_f64 v[95:96], v[95:96], v[87:88]
	v_add_f64 v[113:114], v[113:114], -v[91:92]
	v_fma_f64 v[95:96], v[97:98], v[89:90], v[95:96]
	v_add_f64 v[115:116], v[115:116], -v[95:96]
	ds_read2_b64 v[95:98], v0 offset0:70 offset1:71
	s_waitcnt lgkmcnt(0)
	v_mul_f64 v[91:92], v[97:98], v[87:88]
	v_fma_f64 v[91:92], v[95:96], v[89:90], -v[91:92]
	v_mul_f64 v[95:96], v[95:96], v[87:88]
	v_add_f64 v[77:78], v[77:78], -v[91:92]
	v_fma_f64 v[95:96], v[97:98], v[89:90], v[95:96]
	v_add_f64 v[79:80], v[79:80], -v[95:96]
	ds_read2_b64 v[95:98], v0 offset0:72 offset1:73
	buffer_load_dword v73, off, s[24:27], 0 ; 4-byte Folded Reload
	buffer_load_dword v74, off, s[24:27], 0 offset:4 ; 4-byte Folded Reload
	buffer_load_dword v75, off, s[24:27], 0 offset:8 ; 4-byte Folded Reload
	;; [unrolled: 1-line block ×3, first 2 shown]
	s_waitcnt lgkmcnt(0)
	v_mul_f64 v[91:92], v[97:98], v[87:88]
	v_fma_f64 v[91:92], v[95:96], v[89:90], -v[91:92]
	v_mul_f64 v[95:96], v[95:96], v[87:88]
	v_fma_f64 v[95:96], v[97:98], v[89:90], v[95:96]
	s_waitcnt vmcnt(2)
	v_add_f64 v[73:74], v[73:74], -v[91:92]
	s_waitcnt vmcnt(0)
	v_add_f64 v[75:76], v[75:76], -v[95:96]
	buffer_store_dword v73, off, s[24:27], 0 ; 4-byte Folded Spill
	s_nop 0
	buffer_store_dword v74, off, s[24:27], 0 offset:4 ; 4-byte Folded Spill
	buffer_store_dword v75, off, s[24:27], 0 offset:8 ; 4-byte Folded Spill
	buffer_store_dword v76, off, s[24:27], 0 offset:12 ; 4-byte Folded Spill
	ds_read2_b64 v[95:98], v0 offset0:74 offset1:75
	s_waitcnt lgkmcnt(0)
	v_mul_f64 v[91:92], v[97:98], v[87:88]
	v_fma_f64 v[91:92], v[95:96], v[89:90], -v[91:92]
	v_mul_f64 v[95:96], v[95:96], v[87:88]
	v_add_f64 v[69:70], v[69:70], -v[91:92]
	v_fma_f64 v[95:96], v[97:98], v[89:90], v[95:96]
	v_add_f64 v[71:72], v[71:72], -v[95:96]
	ds_read2_b64 v[95:98], v0 offset0:76 offset1:77
	s_waitcnt lgkmcnt(0)
	v_mul_f64 v[91:92], v[97:98], v[87:88]
	v_fma_f64 v[91:92], v[95:96], v[89:90], -v[91:92]
	v_mul_f64 v[95:96], v[95:96], v[87:88]
	v_add_f64 v[65:66], v[65:66], -v[91:92]
	v_fma_f64 v[95:96], v[97:98], v[89:90], v[95:96]
	v_add_f64 v[67:68], v[67:68], -v[95:96]
	;; [unrolled: 8-line block ×19, first 2 shown]
.LBB110_692:
	s_or_b64 exec, exec, s[0:1]
	v_lshl_add_u32 v89, v93, 4, v0
	s_waitcnt vmcnt(0)
	s_barrier
	ds_write2_b64 v89, v[109:110], v[111:112] offset1:1
	s_waitcnt lgkmcnt(0)
	s_barrier
	ds_read2_b64 v[117:120], v0 offset0:66 offset1:67
	s_cmp_lt_i32 s3, 35
	v_mov_b32_e32 v89, 33
	s_cbranch_scc1 .LBB110_695
; %bb.693:
	v_add_u32_e32 v90, 0x220, v0
	s_mov_b32 s0, 34
	v_mov_b32_e32 v89, 33
.LBB110_694:                            ; =>This Inner Loop Header: Depth=1
	s_waitcnt lgkmcnt(0)
	v_cmp_gt_f64_e32 vcc, 0, v[117:118]
	v_xor_b32_e32 v91, 0x80000000, v118
	ds_read2_b64 v[95:98], v90 offset1:1
	v_xor_b32_e32 v99, 0x80000000, v120
	v_add_u32_e32 v90, 16, v90
	s_waitcnt lgkmcnt(0)
	v_xor_b32_e32 v101, 0x80000000, v98
	v_cndmask_b32_e32 v92, v118, v91, vcc
	v_cmp_gt_f64_e32 vcc, 0, v[119:120]
	v_mov_b32_e32 v91, v117
	v_cndmask_b32_e32 v100, v120, v99, vcc
	v_cmp_gt_f64_e32 vcc, 0, v[95:96]
	v_mov_b32_e32 v99, v119
	v_add_f64 v[91:92], v[91:92], v[99:100]
	v_xor_b32_e32 v99, 0x80000000, v96
	v_cndmask_b32_e32 v100, v96, v99, vcc
	v_cmp_gt_f64_e32 vcc, 0, v[97:98]
	v_mov_b32_e32 v99, v95
	v_cndmask_b32_e32 v102, v98, v101, vcc
	v_mov_b32_e32 v101, v97
	v_add_f64 v[99:100], v[99:100], v[101:102]
	v_cmp_lt_f64_e32 vcc, v[91:92], v[99:100]
	v_mov_b32_e32 v91, s0
	s_add_i32 s0, s0, 1
	s_cmp_lg_u32 s3, s0
	v_cndmask_b32_e32 v118, v118, v96, vcc
	v_cndmask_b32_e32 v117, v117, v95, vcc
	;; [unrolled: 1-line block ×5, first 2 shown]
	s_cbranch_scc1 .LBB110_694
.LBB110_695:
	s_waitcnt lgkmcnt(0)
	v_cmp_eq_f64_e32 vcc, 0, v[117:118]
	v_cmp_eq_f64_e64 s[0:1], 0, v[119:120]
	s_and_b64 s[0:1], vcc, s[0:1]
	s_and_saveexec_b64 s[18:19], s[0:1]
	s_xor_b64 s[0:1], exec, s[18:19]
; %bb.696:
	v_cmp_ne_u32_e32 vcc, 0, v94
	v_cndmask_b32_e32 v94, 34, v94, vcc
; %bb.697:
	s_andn2_saveexec_b64 s[0:1], s[0:1]
	s_cbranch_execz .LBB110_703
; %bb.698:
	v_cmp_ngt_f64_e64 s[18:19], |v[117:118]|, |v[119:120]|
	s_and_saveexec_b64 s[20:21], s[18:19]
	s_xor_b64 s[18:19], exec, s[20:21]
	s_cbranch_execz .LBB110_700
; %bb.699:
	v_div_scale_f64 v[90:91], s[20:21], v[119:120], v[119:120], v[117:118]
	v_rcp_f64_e32 v[95:96], v[90:91]
	v_fma_f64 v[97:98], -v[90:91], v[95:96], 1.0
	v_fma_f64 v[95:96], v[95:96], v[97:98], v[95:96]
	v_div_scale_f64 v[97:98], vcc, v[117:118], v[119:120], v[117:118]
	v_fma_f64 v[99:100], -v[90:91], v[95:96], 1.0
	v_fma_f64 v[95:96], v[95:96], v[99:100], v[95:96]
	v_mul_f64 v[99:100], v[97:98], v[95:96]
	v_fma_f64 v[90:91], -v[90:91], v[99:100], v[97:98]
	v_div_fmas_f64 v[90:91], v[90:91], v[95:96], v[99:100]
	v_div_fixup_f64 v[90:91], v[90:91], v[119:120], v[117:118]
	v_fma_f64 v[95:96], v[117:118], v[90:91], v[119:120]
	v_div_scale_f64 v[97:98], s[20:21], v[95:96], v[95:96], 1.0
	v_div_scale_f64 v[103:104], vcc, 1.0, v[95:96], 1.0
	v_rcp_f64_e32 v[99:100], v[97:98]
	v_fma_f64 v[101:102], -v[97:98], v[99:100], 1.0
	v_fma_f64 v[99:100], v[99:100], v[101:102], v[99:100]
	v_fma_f64 v[101:102], -v[97:98], v[99:100], 1.0
	v_fma_f64 v[99:100], v[99:100], v[101:102], v[99:100]
	v_mul_f64 v[101:102], v[103:104], v[99:100]
	v_fma_f64 v[97:98], -v[97:98], v[101:102], v[103:104]
	v_div_fmas_f64 v[97:98], v[97:98], v[99:100], v[101:102]
	v_div_fixup_f64 v[119:120], v[97:98], v[95:96], 1.0
	v_mul_f64 v[117:118], v[90:91], v[119:120]
	v_xor_b32_e32 v120, 0x80000000, v120
.LBB110_700:
	s_andn2_saveexec_b64 s[18:19], s[18:19]
	s_cbranch_execz .LBB110_702
; %bb.701:
	v_div_scale_f64 v[90:91], s[20:21], v[117:118], v[117:118], v[119:120]
	v_rcp_f64_e32 v[95:96], v[90:91]
	v_fma_f64 v[97:98], -v[90:91], v[95:96], 1.0
	v_fma_f64 v[95:96], v[95:96], v[97:98], v[95:96]
	v_div_scale_f64 v[97:98], vcc, v[119:120], v[117:118], v[119:120]
	v_fma_f64 v[99:100], -v[90:91], v[95:96], 1.0
	v_fma_f64 v[95:96], v[95:96], v[99:100], v[95:96]
	v_mul_f64 v[99:100], v[97:98], v[95:96]
	v_fma_f64 v[90:91], -v[90:91], v[99:100], v[97:98]
	v_div_fmas_f64 v[90:91], v[90:91], v[95:96], v[99:100]
	v_div_fixup_f64 v[90:91], v[90:91], v[117:118], v[119:120]
	v_fma_f64 v[95:96], v[119:120], v[90:91], v[117:118]
	v_div_scale_f64 v[97:98], s[20:21], v[95:96], v[95:96], 1.0
	v_div_scale_f64 v[103:104], vcc, 1.0, v[95:96], 1.0
	v_rcp_f64_e32 v[99:100], v[97:98]
	v_fma_f64 v[101:102], -v[97:98], v[99:100], 1.0
	v_fma_f64 v[99:100], v[99:100], v[101:102], v[99:100]
	v_fma_f64 v[101:102], -v[97:98], v[99:100], 1.0
	v_fma_f64 v[99:100], v[99:100], v[101:102], v[99:100]
	v_mul_f64 v[101:102], v[103:104], v[99:100]
	v_fma_f64 v[97:98], -v[97:98], v[101:102], v[103:104]
	v_div_fmas_f64 v[97:98], v[97:98], v[99:100], v[101:102]
	v_div_fixup_f64 v[117:118], v[97:98], v[95:96], 1.0
	v_mul_f64 v[119:120], v[90:91], -v[117:118]
.LBB110_702:
	s_or_b64 exec, exec, s[18:19]
.LBB110_703:
	s_or_b64 exec, exec, s[0:1]
	v_cmp_ne_u32_e32 vcc, v93, v89
	s_and_saveexec_b64 s[0:1], vcc
	s_xor_b64 s[0:1], exec, s[0:1]
	s_cbranch_execz .LBB110_709
; %bb.704:
	v_cmp_eq_u32_e32 vcc, 33, v93
	s_and_saveexec_b64 s[18:19], vcc
	s_cbranch_execz .LBB110_708
; %bb.705:
	v_cmp_ne_u32_e32 vcc, 33, v89
	s_xor_b64 s[20:21], s[6:7], -1
	s_and_b64 s[22:23], s[20:21], vcc
	s_and_saveexec_b64 s[20:21], s[22:23]
	s_cbranch_execz .LBB110_707
; %bb.706:
	buffer_load_dword v81, off, s[24:27], 0 offset:448 ; 4-byte Folded Reload
	buffer_load_dword v82, off, s[24:27], 0 offset:452 ; 4-byte Folded Reload
	v_ashrrev_i32_e32 v90, 31, v89
	v_lshlrev_b64 v[90:91], 2, v[89:90]
	s_waitcnt vmcnt(1)
	v_add_co_u32_e32 v90, vcc, v81, v90
	s_waitcnt vmcnt(0)
	v_addc_co_u32_e32 v91, vcc, v82, v91, vcc
	global_load_dword v92, v[90:91], off
	global_load_dword v93, v[81:82], off offset:132
	s_waitcnt vmcnt(1)
	global_store_dword v[81:82], v92, off offset:132
	v_mov_b32_e32 v81, v105
	v_mov_b32_e32 v82, v106
	;; [unrolled: 1-line block ×4, first 2 shown]
	s_waitcnt vmcnt(1)
	global_store_dword v[90:91], v93, off
.LBB110_707:
	s_or_b64 exec, exec, s[20:21]
	v_mov_b32_e32 v93, v89
	v_mov_b32_e32 v127, v89
.LBB110_708:
	s_or_b64 exec, exec, s[18:19]
.LBB110_709:
	s_andn2_saveexec_b64 s[0:1], s[0:1]
	s_cbranch_execz .LBB110_711
; %bb.710:
	ds_write2_b64 v0, v[113:114], v[115:116] offset0:68 offset1:69
	ds_write2_b64 v0, v[77:78], v[79:80] offset0:70 offset1:71
	buffer_load_dword v73, off, s[24:27], 0 ; 4-byte Folded Reload
	buffer_load_dword v74, off, s[24:27], 0 offset:4 ; 4-byte Folded Reload
	buffer_load_dword v75, off, s[24:27], 0 offset:8 ; 4-byte Folded Reload
	;; [unrolled: 1-line block ×3, first 2 shown]
	v_mov_b32_e32 v93, 33
	s_waitcnt vmcnt(0)
	ds_write2_b64 v0, v[73:74], v[75:76] offset0:72 offset1:73
	ds_write2_b64 v0, v[69:70], v[71:72] offset0:74 offset1:75
	;; [unrolled: 1-line block ×20, first 2 shown]
.LBB110_711:
	s_or_b64 exec, exec, s[0:1]
	v_cmp_lt_i32_e32 vcc, 33, v93
	s_waitcnt vmcnt(0) lgkmcnt(0)
	s_barrier
	s_and_saveexec_b64 s[0:1], vcc
	s_cbranch_execz .LBB110_713
; %bb.712:
	v_mov_b32_e32 v81, v85
	v_mov_b32_e32 v82, v86
	;; [unrolled: 1-line block ×4, first 2 shown]
	v_mul_f64 v[87:88], v[117:118], v[111:112]
	v_mul_f64 v[89:90], v[119:120], v[111:112]
	v_fma_f64 v[111:112], v[119:120], v[109:110], v[87:88]
	v_fma_f64 v[97:98], v[117:118], v[109:110], -v[89:90]
	ds_read2_b64 v[89:92], v0 offset0:68 offset1:69
	s_waitcnt lgkmcnt(0)
	v_mul_f64 v[85:86], v[91:92], v[111:112]
	v_mov_b32_e32 v110, v98
	v_mov_b32_e32 v109, v97
	v_fma_f64 v[85:86], v[89:90], v[97:98], -v[85:86]
	v_mul_f64 v[89:90], v[89:90], v[111:112]
	v_add_f64 v[113:114], v[113:114], -v[85:86]
	v_fma_f64 v[89:90], v[91:92], v[97:98], v[89:90]
	v_add_f64 v[115:116], v[115:116], -v[89:90]
	ds_read2_b64 v[89:92], v0 offset0:70 offset1:71
	s_waitcnt lgkmcnt(0)
	v_mul_f64 v[85:86], v[91:92], v[111:112]
	v_fma_f64 v[85:86], v[89:90], v[97:98], -v[85:86]
	v_mul_f64 v[89:90], v[89:90], v[111:112]
	v_add_f64 v[77:78], v[77:78], -v[85:86]
	v_fma_f64 v[89:90], v[91:92], v[97:98], v[89:90]
	v_add_f64 v[79:80], v[79:80], -v[89:90]
	ds_read2_b64 v[89:92], v0 offset0:72 offset1:73
	buffer_load_dword v73, off, s[24:27], 0 ; 4-byte Folded Reload
	buffer_load_dword v74, off, s[24:27], 0 offset:4 ; 4-byte Folded Reload
	buffer_load_dword v75, off, s[24:27], 0 offset:8 ; 4-byte Folded Reload
	;; [unrolled: 1-line block ×3, first 2 shown]
	s_waitcnt lgkmcnt(0)
	v_mul_f64 v[85:86], v[91:92], v[111:112]
	v_fma_f64 v[85:86], v[89:90], v[97:98], -v[85:86]
	v_mul_f64 v[89:90], v[89:90], v[111:112]
	v_fma_f64 v[89:90], v[91:92], v[97:98], v[89:90]
	s_waitcnt vmcnt(2)
	v_add_f64 v[73:74], v[73:74], -v[85:86]
	s_waitcnt vmcnt(0)
	v_add_f64 v[75:76], v[75:76], -v[89:90]
	buffer_store_dword v73, off, s[24:27], 0 ; 4-byte Folded Spill
	s_nop 0
	buffer_store_dword v74, off, s[24:27], 0 offset:4 ; 4-byte Folded Spill
	buffer_store_dword v75, off, s[24:27], 0 offset:8 ; 4-byte Folded Spill
	;; [unrolled: 1-line block ×3, first 2 shown]
	ds_read2_b64 v[89:92], v0 offset0:74 offset1:75
	s_waitcnt lgkmcnt(0)
	v_mul_f64 v[85:86], v[91:92], v[111:112]
	v_fma_f64 v[85:86], v[89:90], v[97:98], -v[85:86]
	v_mul_f64 v[89:90], v[89:90], v[111:112]
	v_add_f64 v[69:70], v[69:70], -v[85:86]
	v_fma_f64 v[89:90], v[91:92], v[97:98], v[89:90]
	v_add_f64 v[71:72], v[71:72], -v[89:90]
	ds_read2_b64 v[89:92], v0 offset0:76 offset1:77
	s_waitcnt lgkmcnt(0)
	v_mul_f64 v[85:86], v[91:92], v[111:112]
	v_fma_f64 v[85:86], v[89:90], v[97:98], -v[85:86]
	v_mul_f64 v[89:90], v[89:90], v[111:112]
	v_add_f64 v[65:66], v[65:66], -v[85:86]
	v_fma_f64 v[89:90], v[91:92], v[97:98], v[89:90]
	v_add_f64 v[67:68], v[67:68], -v[89:90]
	;; [unrolled: 8-line block ×18, first 2 shown]
	ds_read2_b64 v[89:92], v0 offset0:110 offset1:111
	s_waitcnt lgkmcnt(0)
	v_mul_f64 v[85:86], v[91:92], v[111:112]
	v_fma_f64 v[85:86], v[89:90], v[97:98], -v[85:86]
	v_mul_f64 v[89:90], v[89:90], v[111:112]
	v_add_f64 v[121:122], v[121:122], -v[85:86]
	v_fma_f64 v[89:90], v[91:92], v[97:98], v[89:90]
	v_mov_b32_e32 v88, v84
	v_mov_b32_e32 v87, v83
	v_mov_b32_e32 v86, v82
	v_mov_b32_e32 v85, v81
	v_mov_b32_e32 v81, v105
	v_mov_b32_e32 v82, v106
	v_mov_b32_e32 v83, v107
	v_add_f64 v[123:124], v[123:124], -v[89:90]
	v_mov_b32_e32 v84, v108
.LBB110_713:
	s_or_b64 exec, exec, s[0:1]
	v_lshl_add_u32 v89, v93, 4, v0
	s_waitcnt vmcnt(0)
	s_barrier
	ds_write2_b64 v89, v[113:114], v[115:116] offset1:1
	s_waitcnt lgkmcnt(0)
	s_barrier
	ds_read2_b64 v[117:120], v0 offset0:68 offset1:69
	s_cmp_lt_i32 s3, 36
	v_mov_b32_e32 v89, 34
	s_cbranch_scc1 .LBB110_716
; %bb.714:
	v_add_u32_e32 v90, 0x230, v0
	s_mov_b32 s0, 35
	v_mov_b32_e32 v89, 34
.LBB110_715:                            ; =>This Inner Loop Header: Depth=1
	s_waitcnt lgkmcnt(0)
	v_cmp_gt_f64_e32 vcc, 0, v[117:118]
	v_xor_b32_e32 v91, 0x80000000, v118
	ds_read2_b64 v[95:98], v90 offset1:1
	v_xor_b32_e32 v99, 0x80000000, v120
	v_add_u32_e32 v90, 16, v90
	s_waitcnt lgkmcnt(0)
	v_xor_b32_e32 v101, 0x80000000, v98
	v_cndmask_b32_e32 v92, v118, v91, vcc
	v_cmp_gt_f64_e32 vcc, 0, v[119:120]
	v_mov_b32_e32 v91, v117
	v_cndmask_b32_e32 v100, v120, v99, vcc
	v_cmp_gt_f64_e32 vcc, 0, v[95:96]
	v_mov_b32_e32 v99, v119
	v_add_f64 v[91:92], v[91:92], v[99:100]
	v_xor_b32_e32 v99, 0x80000000, v96
	v_cndmask_b32_e32 v100, v96, v99, vcc
	v_cmp_gt_f64_e32 vcc, 0, v[97:98]
	v_mov_b32_e32 v99, v95
	v_cndmask_b32_e32 v102, v98, v101, vcc
	v_mov_b32_e32 v101, v97
	v_add_f64 v[99:100], v[99:100], v[101:102]
	v_cmp_lt_f64_e32 vcc, v[91:92], v[99:100]
	v_mov_b32_e32 v91, s0
	s_add_i32 s0, s0, 1
	s_cmp_lg_u32 s3, s0
	v_cndmask_b32_e32 v118, v118, v96, vcc
	v_cndmask_b32_e32 v117, v117, v95, vcc
	;; [unrolled: 1-line block ×5, first 2 shown]
	s_cbranch_scc1 .LBB110_715
.LBB110_716:
	s_waitcnt lgkmcnt(0)
	v_cmp_eq_f64_e32 vcc, 0, v[117:118]
	v_cmp_eq_f64_e64 s[0:1], 0, v[119:120]
	s_and_b64 s[0:1], vcc, s[0:1]
	s_and_saveexec_b64 s[18:19], s[0:1]
	s_xor_b64 s[0:1], exec, s[18:19]
; %bb.717:
	v_cmp_ne_u32_e32 vcc, 0, v94
	v_cndmask_b32_e32 v94, 35, v94, vcc
; %bb.718:
	s_andn2_saveexec_b64 s[0:1], s[0:1]
	s_cbranch_execz .LBB110_724
; %bb.719:
	v_cmp_ngt_f64_e64 s[18:19], |v[117:118]|, |v[119:120]|
	s_and_saveexec_b64 s[20:21], s[18:19]
	s_xor_b64 s[18:19], exec, s[20:21]
	s_cbranch_execz .LBB110_721
; %bb.720:
	v_div_scale_f64 v[90:91], s[20:21], v[119:120], v[119:120], v[117:118]
	v_rcp_f64_e32 v[95:96], v[90:91]
	v_fma_f64 v[97:98], -v[90:91], v[95:96], 1.0
	v_fma_f64 v[95:96], v[95:96], v[97:98], v[95:96]
	v_div_scale_f64 v[97:98], vcc, v[117:118], v[119:120], v[117:118]
	v_fma_f64 v[99:100], -v[90:91], v[95:96], 1.0
	v_fma_f64 v[95:96], v[95:96], v[99:100], v[95:96]
	v_mul_f64 v[99:100], v[97:98], v[95:96]
	v_fma_f64 v[90:91], -v[90:91], v[99:100], v[97:98]
	v_div_fmas_f64 v[90:91], v[90:91], v[95:96], v[99:100]
	v_div_fixup_f64 v[90:91], v[90:91], v[119:120], v[117:118]
	v_fma_f64 v[95:96], v[117:118], v[90:91], v[119:120]
	v_div_scale_f64 v[97:98], s[20:21], v[95:96], v[95:96], 1.0
	v_div_scale_f64 v[103:104], vcc, 1.0, v[95:96], 1.0
	v_rcp_f64_e32 v[99:100], v[97:98]
	v_fma_f64 v[101:102], -v[97:98], v[99:100], 1.0
	v_fma_f64 v[99:100], v[99:100], v[101:102], v[99:100]
	v_fma_f64 v[101:102], -v[97:98], v[99:100], 1.0
	v_fma_f64 v[99:100], v[99:100], v[101:102], v[99:100]
	v_mul_f64 v[101:102], v[103:104], v[99:100]
	v_fma_f64 v[97:98], -v[97:98], v[101:102], v[103:104]
	v_div_fmas_f64 v[97:98], v[97:98], v[99:100], v[101:102]
	v_div_fixup_f64 v[119:120], v[97:98], v[95:96], 1.0
	v_mul_f64 v[117:118], v[90:91], v[119:120]
	v_xor_b32_e32 v120, 0x80000000, v120
.LBB110_721:
	s_andn2_saveexec_b64 s[18:19], s[18:19]
	s_cbranch_execz .LBB110_723
; %bb.722:
	v_div_scale_f64 v[90:91], s[20:21], v[117:118], v[117:118], v[119:120]
	v_rcp_f64_e32 v[95:96], v[90:91]
	v_fma_f64 v[97:98], -v[90:91], v[95:96], 1.0
	v_fma_f64 v[95:96], v[95:96], v[97:98], v[95:96]
	v_div_scale_f64 v[97:98], vcc, v[119:120], v[117:118], v[119:120]
	v_fma_f64 v[99:100], -v[90:91], v[95:96], 1.0
	v_fma_f64 v[95:96], v[95:96], v[99:100], v[95:96]
	v_mul_f64 v[99:100], v[97:98], v[95:96]
	v_fma_f64 v[90:91], -v[90:91], v[99:100], v[97:98]
	v_div_fmas_f64 v[90:91], v[90:91], v[95:96], v[99:100]
	v_div_fixup_f64 v[90:91], v[90:91], v[117:118], v[119:120]
	v_fma_f64 v[95:96], v[119:120], v[90:91], v[117:118]
	v_div_scale_f64 v[97:98], s[20:21], v[95:96], v[95:96], 1.0
	v_div_scale_f64 v[103:104], vcc, 1.0, v[95:96], 1.0
	v_rcp_f64_e32 v[99:100], v[97:98]
	v_fma_f64 v[101:102], -v[97:98], v[99:100], 1.0
	v_fma_f64 v[99:100], v[99:100], v[101:102], v[99:100]
	v_fma_f64 v[101:102], -v[97:98], v[99:100], 1.0
	v_fma_f64 v[99:100], v[99:100], v[101:102], v[99:100]
	v_mul_f64 v[101:102], v[103:104], v[99:100]
	v_fma_f64 v[97:98], -v[97:98], v[101:102], v[103:104]
	v_div_fmas_f64 v[97:98], v[97:98], v[99:100], v[101:102]
	v_div_fixup_f64 v[117:118], v[97:98], v[95:96], 1.0
	v_mul_f64 v[119:120], v[90:91], -v[117:118]
.LBB110_723:
	s_or_b64 exec, exec, s[18:19]
.LBB110_724:
	s_or_b64 exec, exec, s[0:1]
	v_cmp_ne_u32_e32 vcc, v93, v89
	s_and_saveexec_b64 s[0:1], vcc
	s_xor_b64 s[0:1], exec, s[0:1]
	s_cbranch_execz .LBB110_730
; %bb.725:
	v_cmp_eq_u32_e32 vcc, 34, v93
	s_and_saveexec_b64 s[18:19], vcc
	s_cbranch_execz .LBB110_729
; %bb.726:
	v_cmp_ne_u32_e32 vcc, 34, v89
	s_xor_b64 s[20:21], s[6:7], -1
	s_and_b64 s[22:23], s[20:21], vcc
	s_and_saveexec_b64 s[20:21], s[22:23]
	s_cbranch_execz .LBB110_728
; %bb.727:
	buffer_load_dword v81, off, s[24:27], 0 offset:448 ; 4-byte Folded Reload
	buffer_load_dword v82, off, s[24:27], 0 offset:452 ; 4-byte Folded Reload
	v_ashrrev_i32_e32 v90, 31, v89
	v_lshlrev_b64 v[90:91], 2, v[89:90]
	s_waitcnt vmcnt(1)
	v_add_co_u32_e32 v90, vcc, v81, v90
	s_waitcnt vmcnt(0)
	v_addc_co_u32_e32 v91, vcc, v82, v91, vcc
	global_load_dword v92, v[90:91], off
	global_load_dword v93, v[81:82], off offset:136
	s_waitcnt vmcnt(1)
	global_store_dword v[81:82], v92, off offset:136
	v_mov_b32_e32 v81, v105
	v_mov_b32_e32 v82, v106
	;; [unrolled: 1-line block ×4, first 2 shown]
	s_waitcnt vmcnt(1)
	global_store_dword v[90:91], v93, off
.LBB110_728:
	s_or_b64 exec, exec, s[20:21]
	v_mov_b32_e32 v93, v89
	v_mov_b32_e32 v127, v89
.LBB110_729:
	s_or_b64 exec, exec, s[18:19]
.LBB110_730:
	s_andn2_saveexec_b64 s[0:1], s[0:1]
	s_cbranch_execz .LBB110_732
; %bb.731:
	ds_write2_b64 v0, v[77:78], v[79:80] offset0:70 offset1:71
	buffer_load_dword v73, off, s[24:27], 0 ; 4-byte Folded Reload
	buffer_load_dword v74, off, s[24:27], 0 offset:4 ; 4-byte Folded Reload
	buffer_load_dword v75, off, s[24:27], 0 offset:8 ; 4-byte Folded Reload
	;; [unrolled: 1-line block ×3, first 2 shown]
	v_mov_b32_e32 v93, 34
	s_waitcnt vmcnt(0)
	ds_write2_b64 v0, v[73:74], v[75:76] offset0:72 offset1:73
	ds_write2_b64 v0, v[69:70], v[71:72] offset0:74 offset1:75
	;; [unrolled: 1-line block ×20, first 2 shown]
.LBB110_732:
	s_or_b64 exec, exec, s[0:1]
	v_cmp_lt_i32_e32 vcc, 34, v93
	s_waitcnt vmcnt(0) lgkmcnt(0)
	s_barrier
	s_and_saveexec_b64 s[0:1], vcc
	s_cbranch_execz .LBB110_734
; %bb.733:
	v_mul_f64 v[83:84], v[117:118], v[115:116]
	v_mul_f64 v[89:90], v[119:120], v[115:116]
	ds_read2_b64 v[95:98], v0 offset0:70 offset1:71
	v_fma_f64 v[115:116], v[119:120], v[113:114], v[83:84]
	v_fma_f64 v[89:90], v[117:118], v[113:114], -v[89:90]
	s_waitcnt lgkmcnt(0)
	v_mul_f64 v[81:82], v[97:98], v[115:116]
	v_mul_f64 v[91:92], v[95:96], v[115:116]
	v_mov_b32_e32 v114, v90
	v_mov_b32_e32 v113, v89
	v_fma_f64 v[81:82], v[95:96], v[89:90], -v[81:82]
	v_fma_f64 v[91:92], v[97:98], v[89:90], v[91:92]
	ds_read2_b64 v[95:98], v0 offset0:72 offset1:73
	buffer_load_dword v73, off, s[24:27], 0 ; 4-byte Folded Reload
	buffer_load_dword v74, off, s[24:27], 0 offset:4 ; 4-byte Folded Reload
	buffer_load_dword v75, off, s[24:27], 0 offset:8 ; 4-byte Folded Reload
	;; [unrolled: 1-line block ×3, first 2 shown]
	v_add_f64 v[77:78], v[77:78], -v[81:82]
	v_add_f64 v[79:80], v[79:80], -v[91:92]
	s_waitcnt lgkmcnt(0)
	v_mul_f64 v[81:82], v[97:98], v[115:116]
	v_mul_f64 v[91:92], v[95:96], v[115:116]
	v_fma_f64 v[81:82], v[95:96], v[89:90], -v[81:82]
	v_fma_f64 v[91:92], v[97:98], v[89:90], v[91:92]
	s_waitcnt vmcnt(2)
	v_add_f64 v[73:74], v[73:74], -v[81:82]
	s_waitcnt vmcnt(0)
	v_add_f64 v[75:76], v[75:76], -v[91:92]
	buffer_store_dword v73, off, s[24:27], 0 ; 4-byte Folded Spill
	s_nop 0
	buffer_store_dword v74, off, s[24:27], 0 offset:4 ; 4-byte Folded Spill
	buffer_store_dword v75, off, s[24:27], 0 offset:8 ; 4-byte Folded Spill
	;; [unrolled: 1-line block ×3, first 2 shown]
	ds_read2_b64 v[95:98], v0 offset0:74 offset1:75
	s_waitcnt lgkmcnt(0)
	v_mul_f64 v[81:82], v[97:98], v[115:116]
	v_mul_f64 v[91:92], v[95:96], v[115:116]
	v_fma_f64 v[81:82], v[95:96], v[89:90], -v[81:82]
	v_fma_f64 v[91:92], v[97:98], v[89:90], v[91:92]
	ds_read2_b64 v[95:98], v0 offset0:76 offset1:77
	v_add_f64 v[69:70], v[69:70], -v[81:82]
	v_add_f64 v[71:72], v[71:72], -v[91:92]
	s_waitcnt lgkmcnt(0)
	v_mul_f64 v[81:82], v[97:98], v[115:116]
	v_mul_f64 v[91:92], v[95:96], v[115:116]
	v_fma_f64 v[81:82], v[95:96], v[89:90], -v[81:82]
	v_fma_f64 v[91:92], v[97:98], v[89:90], v[91:92]
	ds_read2_b64 v[95:98], v0 offset0:78 offset1:79
	v_add_f64 v[65:66], v[65:66], -v[81:82]
	v_add_f64 v[67:68], v[67:68], -v[91:92]
	;; [unrolled: 8-line block ×18, first 2 shown]
	s_waitcnt lgkmcnt(0)
	v_mul_f64 v[81:82], v[97:98], v[115:116]
	v_mul_f64 v[91:92], v[95:96], v[115:116]
	v_fma_f64 v[81:82], v[95:96], v[89:90], -v[81:82]
	v_fma_f64 v[91:92], v[97:98], v[89:90], v[91:92]
	v_add_f64 v[121:122], v[121:122], -v[81:82]
	v_add_f64 v[123:124], v[123:124], -v[91:92]
	v_mov_b32_e32 v81, v105
	v_mov_b32_e32 v82, v106
	;; [unrolled: 1-line block ×4, first 2 shown]
.LBB110_734:
	s_or_b64 exec, exec, s[0:1]
	v_lshl_add_u32 v89, v93, 4, v0
	s_waitcnt vmcnt(0)
	s_barrier
	ds_write2_b64 v89, v[77:78], v[79:80] offset1:1
	s_waitcnt lgkmcnt(0)
	s_barrier
	ds_read2_b64 v[117:120], v0 offset0:70 offset1:71
	s_cmp_lt_i32 s3, 37
	v_mov_b32_e32 v89, 35
	s_cbranch_scc1 .LBB110_737
; %bb.735:
	v_add_u32_e32 v90, 0x240, v0
	s_mov_b32 s0, 36
	v_mov_b32_e32 v89, 35
.LBB110_736:                            ; =>This Inner Loop Header: Depth=1
	s_waitcnt lgkmcnt(0)
	v_cmp_gt_f64_e32 vcc, 0, v[117:118]
	v_xor_b32_e32 v91, 0x80000000, v118
	ds_read2_b64 v[95:98], v90 offset1:1
	v_xor_b32_e32 v99, 0x80000000, v120
	v_add_u32_e32 v90, 16, v90
	s_waitcnt lgkmcnt(0)
	v_xor_b32_e32 v101, 0x80000000, v98
	v_cndmask_b32_e32 v92, v118, v91, vcc
	v_cmp_gt_f64_e32 vcc, 0, v[119:120]
	v_mov_b32_e32 v91, v117
	v_cndmask_b32_e32 v100, v120, v99, vcc
	v_cmp_gt_f64_e32 vcc, 0, v[95:96]
	v_mov_b32_e32 v99, v119
	v_add_f64 v[91:92], v[91:92], v[99:100]
	v_xor_b32_e32 v99, 0x80000000, v96
	v_cndmask_b32_e32 v100, v96, v99, vcc
	v_cmp_gt_f64_e32 vcc, 0, v[97:98]
	v_mov_b32_e32 v99, v95
	v_cndmask_b32_e32 v102, v98, v101, vcc
	v_mov_b32_e32 v101, v97
	v_add_f64 v[99:100], v[99:100], v[101:102]
	v_cmp_lt_f64_e32 vcc, v[91:92], v[99:100]
	v_mov_b32_e32 v91, s0
	s_add_i32 s0, s0, 1
	s_cmp_lg_u32 s3, s0
	v_cndmask_b32_e32 v118, v118, v96, vcc
	v_cndmask_b32_e32 v117, v117, v95, vcc
	;; [unrolled: 1-line block ×5, first 2 shown]
	s_cbranch_scc1 .LBB110_736
.LBB110_737:
	s_waitcnt lgkmcnt(0)
	v_cmp_eq_f64_e32 vcc, 0, v[117:118]
	v_cmp_eq_f64_e64 s[0:1], 0, v[119:120]
	s_and_b64 s[0:1], vcc, s[0:1]
	s_and_saveexec_b64 s[18:19], s[0:1]
	s_xor_b64 s[0:1], exec, s[18:19]
; %bb.738:
	v_cmp_ne_u32_e32 vcc, 0, v94
	v_cndmask_b32_e32 v94, 36, v94, vcc
; %bb.739:
	s_andn2_saveexec_b64 s[0:1], s[0:1]
	s_cbranch_execz .LBB110_745
; %bb.740:
	v_cmp_ngt_f64_e64 s[18:19], |v[117:118]|, |v[119:120]|
	s_and_saveexec_b64 s[20:21], s[18:19]
	s_xor_b64 s[18:19], exec, s[20:21]
	s_cbranch_execz .LBB110_742
; %bb.741:
	v_div_scale_f64 v[90:91], s[20:21], v[119:120], v[119:120], v[117:118]
	v_rcp_f64_e32 v[95:96], v[90:91]
	v_fma_f64 v[97:98], -v[90:91], v[95:96], 1.0
	v_fma_f64 v[95:96], v[95:96], v[97:98], v[95:96]
	v_div_scale_f64 v[97:98], vcc, v[117:118], v[119:120], v[117:118]
	v_fma_f64 v[99:100], -v[90:91], v[95:96], 1.0
	v_fma_f64 v[95:96], v[95:96], v[99:100], v[95:96]
	v_mul_f64 v[99:100], v[97:98], v[95:96]
	v_fma_f64 v[90:91], -v[90:91], v[99:100], v[97:98]
	v_div_fmas_f64 v[90:91], v[90:91], v[95:96], v[99:100]
	v_div_fixup_f64 v[90:91], v[90:91], v[119:120], v[117:118]
	v_fma_f64 v[95:96], v[117:118], v[90:91], v[119:120]
	v_div_scale_f64 v[97:98], s[20:21], v[95:96], v[95:96], 1.0
	v_div_scale_f64 v[103:104], vcc, 1.0, v[95:96], 1.0
	v_rcp_f64_e32 v[99:100], v[97:98]
	v_fma_f64 v[101:102], -v[97:98], v[99:100], 1.0
	v_fma_f64 v[99:100], v[99:100], v[101:102], v[99:100]
	v_fma_f64 v[101:102], -v[97:98], v[99:100], 1.0
	v_fma_f64 v[99:100], v[99:100], v[101:102], v[99:100]
	v_mul_f64 v[101:102], v[103:104], v[99:100]
	v_fma_f64 v[97:98], -v[97:98], v[101:102], v[103:104]
	v_div_fmas_f64 v[97:98], v[97:98], v[99:100], v[101:102]
	v_div_fixup_f64 v[119:120], v[97:98], v[95:96], 1.0
	v_mul_f64 v[117:118], v[90:91], v[119:120]
	v_xor_b32_e32 v120, 0x80000000, v120
.LBB110_742:
	s_andn2_saveexec_b64 s[18:19], s[18:19]
	s_cbranch_execz .LBB110_744
; %bb.743:
	v_div_scale_f64 v[90:91], s[20:21], v[117:118], v[117:118], v[119:120]
	v_rcp_f64_e32 v[95:96], v[90:91]
	v_fma_f64 v[97:98], -v[90:91], v[95:96], 1.0
	v_fma_f64 v[95:96], v[95:96], v[97:98], v[95:96]
	v_div_scale_f64 v[97:98], vcc, v[119:120], v[117:118], v[119:120]
	v_fma_f64 v[99:100], -v[90:91], v[95:96], 1.0
	v_fma_f64 v[95:96], v[95:96], v[99:100], v[95:96]
	v_mul_f64 v[99:100], v[97:98], v[95:96]
	v_fma_f64 v[90:91], -v[90:91], v[99:100], v[97:98]
	v_div_fmas_f64 v[90:91], v[90:91], v[95:96], v[99:100]
	v_div_fixup_f64 v[90:91], v[90:91], v[117:118], v[119:120]
	v_fma_f64 v[95:96], v[119:120], v[90:91], v[117:118]
	v_div_scale_f64 v[97:98], s[20:21], v[95:96], v[95:96], 1.0
	v_div_scale_f64 v[103:104], vcc, 1.0, v[95:96], 1.0
	v_rcp_f64_e32 v[99:100], v[97:98]
	v_fma_f64 v[101:102], -v[97:98], v[99:100], 1.0
	v_fma_f64 v[99:100], v[99:100], v[101:102], v[99:100]
	v_fma_f64 v[101:102], -v[97:98], v[99:100], 1.0
	v_fma_f64 v[99:100], v[99:100], v[101:102], v[99:100]
	v_mul_f64 v[101:102], v[103:104], v[99:100]
	v_fma_f64 v[97:98], -v[97:98], v[101:102], v[103:104]
	v_div_fmas_f64 v[97:98], v[97:98], v[99:100], v[101:102]
	v_div_fixup_f64 v[117:118], v[97:98], v[95:96], 1.0
	v_mul_f64 v[119:120], v[90:91], -v[117:118]
.LBB110_744:
	s_or_b64 exec, exec, s[18:19]
.LBB110_745:
	s_or_b64 exec, exec, s[0:1]
	v_cmp_ne_u32_e32 vcc, v93, v89
	s_and_saveexec_b64 s[0:1], vcc
	s_xor_b64 s[0:1], exec, s[0:1]
	s_cbranch_execz .LBB110_751
; %bb.746:
	v_cmp_eq_u32_e32 vcc, 35, v93
	s_and_saveexec_b64 s[18:19], vcc
	s_cbranch_execz .LBB110_750
; %bb.747:
	v_cmp_ne_u32_e32 vcc, 35, v89
	s_xor_b64 s[20:21], s[6:7], -1
	s_and_b64 s[22:23], s[20:21], vcc
	s_and_saveexec_b64 s[20:21], s[22:23]
	s_cbranch_execz .LBB110_749
; %bb.748:
	buffer_load_dword v81, off, s[24:27], 0 offset:448 ; 4-byte Folded Reload
	buffer_load_dword v82, off, s[24:27], 0 offset:452 ; 4-byte Folded Reload
	v_ashrrev_i32_e32 v90, 31, v89
	v_lshlrev_b64 v[90:91], 2, v[89:90]
	s_waitcnt vmcnt(1)
	v_add_co_u32_e32 v90, vcc, v81, v90
	s_waitcnt vmcnt(0)
	v_addc_co_u32_e32 v91, vcc, v82, v91, vcc
	global_load_dword v92, v[90:91], off
	global_load_dword v93, v[81:82], off offset:140
	s_waitcnt vmcnt(1)
	global_store_dword v[81:82], v92, off offset:140
	v_mov_b32_e32 v81, v105
	v_mov_b32_e32 v82, v106
	;; [unrolled: 1-line block ×4, first 2 shown]
	s_waitcnt vmcnt(1)
	global_store_dword v[90:91], v93, off
.LBB110_749:
	s_or_b64 exec, exec, s[20:21]
	v_mov_b32_e32 v93, v89
	v_mov_b32_e32 v127, v89
.LBB110_750:
	s_or_b64 exec, exec, s[18:19]
.LBB110_751:
	s_andn2_saveexec_b64 s[0:1], s[0:1]
	s_cbranch_execz .LBB110_753
; %bb.752:
	buffer_load_dword v73, off, s[24:27], 0 ; 4-byte Folded Reload
	buffer_load_dword v74, off, s[24:27], 0 offset:4 ; 4-byte Folded Reload
	buffer_load_dword v75, off, s[24:27], 0 offset:8 ; 4-byte Folded Reload
	buffer_load_dword v76, off, s[24:27], 0 offset:12 ; 4-byte Folded Reload
	v_mov_b32_e32 v93, 35
	s_waitcnt vmcnt(0)
	ds_write2_b64 v0, v[73:74], v[75:76] offset0:72 offset1:73
	ds_write2_b64 v0, v[69:70], v[71:72] offset0:74 offset1:75
	;; [unrolled: 1-line block ×20, first 2 shown]
.LBB110_753:
	s_or_b64 exec, exec, s[0:1]
	v_cmp_lt_i32_e32 vcc, 35, v93
	s_waitcnt vmcnt(0) lgkmcnt(0)
	s_barrier
	s_and_saveexec_b64 s[0:1], vcc
	s_cbranch_execz .LBB110_755
; %bb.754:
	ds_read2_b64 v[95:98], v0 offset0:72 offset1:73
	buffer_load_dword v73, off, s[24:27], 0 ; 4-byte Folded Reload
	buffer_load_dword v74, off, s[24:27], 0 offset:4 ; 4-byte Folded Reload
	buffer_load_dword v75, off, s[24:27], 0 offset:8 ; 4-byte Folded Reload
	;; [unrolled: 1-line block ×3, first 2 shown]
	v_mul_f64 v[89:90], v[119:120], v[79:80]
	v_mul_f64 v[79:80], v[117:118], v[79:80]
	v_fma_f64 v[89:90], v[117:118], v[77:78], -v[89:90]
	v_fma_f64 v[79:80], v[119:120], v[77:78], v[79:80]
	s_waitcnt lgkmcnt(0)
	v_mul_f64 v[77:78], v[97:98], v[79:80]
	v_mul_f64 v[91:92], v[95:96], v[79:80]
	v_fma_f64 v[77:78], v[95:96], v[89:90], -v[77:78]
	v_fma_f64 v[91:92], v[97:98], v[89:90], v[91:92]
	s_waitcnt vmcnt(2)
	v_add_f64 v[73:74], v[73:74], -v[77:78]
	s_waitcnt vmcnt(0)
	v_add_f64 v[75:76], v[75:76], -v[91:92]
	buffer_store_dword v73, off, s[24:27], 0 ; 4-byte Folded Spill
	s_nop 0
	buffer_store_dword v74, off, s[24:27], 0 offset:4 ; 4-byte Folded Spill
	buffer_store_dword v75, off, s[24:27], 0 offset:8 ; 4-byte Folded Spill
	;; [unrolled: 1-line block ×3, first 2 shown]
	ds_read2_b64 v[95:98], v0 offset0:74 offset1:75
	s_waitcnt lgkmcnt(0)
	v_mul_f64 v[77:78], v[97:98], v[79:80]
	v_mul_f64 v[91:92], v[95:96], v[79:80]
	v_fma_f64 v[77:78], v[95:96], v[89:90], -v[77:78]
	v_fma_f64 v[91:92], v[97:98], v[89:90], v[91:92]
	ds_read2_b64 v[95:98], v0 offset0:76 offset1:77
	v_add_f64 v[69:70], v[69:70], -v[77:78]
	v_add_f64 v[71:72], v[71:72], -v[91:92]
	s_waitcnt lgkmcnt(0)
	v_mul_f64 v[77:78], v[97:98], v[79:80]
	v_mul_f64 v[91:92], v[95:96], v[79:80]
	v_fma_f64 v[77:78], v[95:96], v[89:90], -v[77:78]
	v_fma_f64 v[91:92], v[97:98], v[89:90], v[91:92]
	ds_read2_b64 v[95:98], v0 offset0:78 offset1:79
	v_add_f64 v[65:66], v[65:66], -v[77:78]
	v_add_f64 v[67:68], v[67:68], -v[91:92]
	;; [unrolled: 8-line block ×18, first 2 shown]
	s_waitcnt lgkmcnt(0)
	v_mul_f64 v[77:78], v[97:98], v[79:80]
	v_mul_f64 v[91:92], v[95:96], v[79:80]
	v_fma_f64 v[77:78], v[95:96], v[89:90], -v[77:78]
	v_fma_f64 v[91:92], v[97:98], v[89:90], v[91:92]
	v_add_f64 v[121:122], v[121:122], -v[77:78]
	v_add_f64 v[123:124], v[123:124], -v[91:92]
	v_mov_b32_e32 v77, v89
	v_mov_b32_e32 v78, v90
.LBB110_755:
	s_or_b64 exec, exec, s[0:1]
	s_waitcnt vmcnt(0)
	s_barrier
	buffer_load_dword v73, off, s[24:27], 0 ; 4-byte Folded Reload
	buffer_load_dword v74, off, s[24:27], 0 offset:4 ; 4-byte Folded Reload
	buffer_load_dword v75, off, s[24:27], 0 offset:8 ; 4-byte Folded Reload
	;; [unrolled: 1-line block ×3, first 2 shown]
	v_lshl_add_u32 v89, v93, 4, v0
	s_cmp_lt_i32 s3, 38
	s_waitcnt vmcnt(0)
	ds_write2_b64 v89, v[73:74], v[75:76] offset1:1
	s_waitcnt lgkmcnt(0)
	s_barrier
	ds_read2_b64 v[117:120], v0 offset0:72 offset1:73
	v_mov_b32_e32 v89, 36
	s_cbranch_scc1 .LBB110_758
; %bb.756:
	v_add_u32_e32 v90, 0x250, v0
	s_mov_b32 s0, 37
	v_mov_b32_e32 v89, 36
.LBB110_757:                            ; =>This Inner Loop Header: Depth=1
	s_waitcnt lgkmcnt(0)
	v_cmp_gt_f64_e32 vcc, 0, v[117:118]
	v_xor_b32_e32 v91, 0x80000000, v118
	ds_read2_b64 v[95:98], v90 offset1:1
	v_xor_b32_e32 v99, 0x80000000, v120
	v_add_u32_e32 v90, 16, v90
	s_waitcnt lgkmcnt(0)
	v_xor_b32_e32 v101, 0x80000000, v98
	v_cndmask_b32_e32 v92, v118, v91, vcc
	v_cmp_gt_f64_e32 vcc, 0, v[119:120]
	v_mov_b32_e32 v91, v117
	v_cndmask_b32_e32 v100, v120, v99, vcc
	v_cmp_gt_f64_e32 vcc, 0, v[95:96]
	v_mov_b32_e32 v99, v119
	v_add_f64 v[91:92], v[91:92], v[99:100]
	v_xor_b32_e32 v99, 0x80000000, v96
	v_cndmask_b32_e32 v100, v96, v99, vcc
	v_cmp_gt_f64_e32 vcc, 0, v[97:98]
	v_mov_b32_e32 v99, v95
	v_cndmask_b32_e32 v102, v98, v101, vcc
	v_mov_b32_e32 v101, v97
	v_add_f64 v[99:100], v[99:100], v[101:102]
	v_cmp_lt_f64_e32 vcc, v[91:92], v[99:100]
	v_mov_b32_e32 v91, s0
	s_add_i32 s0, s0, 1
	s_cmp_lg_u32 s3, s0
	v_cndmask_b32_e32 v118, v118, v96, vcc
	v_cndmask_b32_e32 v117, v117, v95, vcc
	;; [unrolled: 1-line block ×5, first 2 shown]
	s_cbranch_scc1 .LBB110_757
.LBB110_758:
	s_waitcnt lgkmcnt(0)
	v_cmp_eq_f64_e32 vcc, 0, v[117:118]
	v_cmp_eq_f64_e64 s[0:1], 0, v[119:120]
	s_and_b64 s[0:1], vcc, s[0:1]
	s_and_saveexec_b64 s[18:19], s[0:1]
	s_xor_b64 s[0:1], exec, s[18:19]
; %bb.759:
	v_cmp_ne_u32_e32 vcc, 0, v94
	v_cndmask_b32_e32 v94, 37, v94, vcc
; %bb.760:
	s_andn2_saveexec_b64 s[0:1], s[0:1]
	s_cbranch_execz .LBB110_766
; %bb.761:
	v_cmp_ngt_f64_e64 s[18:19], |v[117:118]|, |v[119:120]|
	s_and_saveexec_b64 s[20:21], s[18:19]
	s_xor_b64 s[18:19], exec, s[20:21]
	s_cbranch_execz .LBB110_763
; %bb.762:
	v_div_scale_f64 v[90:91], s[20:21], v[119:120], v[119:120], v[117:118]
	v_rcp_f64_e32 v[95:96], v[90:91]
	v_fma_f64 v[97:98], -v[90:91], v[95:96], 1.0
	v_fma_f64 v[95:96], v[95:96], v[97:98], v[95:96]
	v_div_scale_f64 v[97:98], vcc, v[117:118], v[119:120], v[117:118]
	v_fma_f64 v[99:100], -v[90:91], v[95:96], 1.0
	v_fma_f64 v[95:96], v[95:96], v[99:100], v[95:96]
	v_mul_f64 v[99:100], v[97:98], v[95:96]
	v_fma_f64 v[90:91], -v[90:91], v[99:100], v[97:98]
	v_div_fmas_f64 v[90:91], v[90:91], v[95:96], v[99:100]
	v_div_fixup_f64 v[90:91], v[90:91], v[119:120], v[117:118]
	v_fma_f64 v[95:96], v[117:118], v[90:91], v[119:120]
	v_div_scale_f64 v[97:98], s[20:21], v[95:96], v[95:96], 1.0
	v_div_scale_f64 v[103:104], vcc, 1.0, v[95:96], 1.0
	v_rcp_f64_e32 v[99:100], v[97:98]
	v_fma_f64 v[101:102], -v[97:98], v[99:100], 1.0
	v_fma_f64 v[99:100], v[99:100], v[101:102], v[99:100]
	v_fma_f64 v[101:102], -v[97:98], v[99:100], 1.0
	v_fma_f64 v[99:100], v[99:100], v[101:102], v[99:100]
	v_mul_f64 v[101:102], v[103:104], v[99:100]
	v_fma_f64 v[97:98], -v[97:98], v[101:102], v[103:104]
	v_div_fmas_f64 v[97:98], v[97:98], v[99:100], v[101:102]
	v_div_fixup_f64 v[119:120], v[97:98], v[95:96], 1.0
	v_mul_f64 v[117:118], v[90:91], v[119:120]
	v_xor_b32_e32 v120, 0x80000000, v120
.LBB110_763:
	s_andn2_saveexec_b64 s[18:19], s[18:19]
	s_cbranch_execz .LBB110_765
; %bb.764:
	v_div_scale_f64 v[90:91], s[20:21], v[117:118], v[117:118], v[119:120]
	v_rcp_f64_e32 v[95:96], v[90:91]
	v_fma_f64 v[97:98], -v[90:91], v[95:96], 1.0
	v_fma_f64 v[95:96], v[95:96], v[97:98], v[95:96]
	v_div_scale_f64 v[97:98], vcc, v[119:120], v[117:118], v[119:120]
	v_fma_f64 v[99:100], -v[90:91], v[95:96], 1.0
	v_fma_f64 v[95:96], v[95:96], v[99:100], v[95:96]
	v_mul_f64 v[99:100], v[97:98], v[95:96]
	v_fma_f64 v[90:91], -v[90:91], v[99:100], v[97:98]
	v_div_fmas_f64 v[90:91], v[90:91], v[95:96], v[99:100]
	v_div_fixup_f64 v[90:91], v[90:91], v[117:118], v[119:120]
	v_fma_f64 v[95:96], v[119:120], v[90:91], v[117:118]
	v_div_scale_f64 v[97:98], s[20:21], v[95:96], v[95:96], 1.0
	v_div_scale_f64 v[103:104], vcc, 1.0, v[95:96], 1.0
	v_rcp_f64_e32 v[99:100], v[97:98]
	v_fma_f64 v[101:102], -v[97:98], v[99:100], 1.0
	v_fma_f64 v[99:100], v[99:100], v[101:102], v[99:100]
	v_fma_f64 v[101:102], -v[97:98], v[99:100], 1.0
	v_fma_f64 v[99:100], v[99:100], v[101:102], v[99:100]
	v_mul_f64 v[101:102], v[103:104], v[99:100]
	v_fma_f64 v[97:98], -v[97:98], v[101:102], v[103:104]
	v_div_fmas_f64 v[97:98], v[97:98], v[99:100], v[101:102]
	v_div_fixup_f64 v[117:118], v[97:98], v[95:96], 1.0
	v_mul_f64 v[119:120], v[90:91], -v[117:118]
.LBB110_765:
	s_or_b64 exec, exec, s[18:19]
.LBB110_766:
	s_or_b64 exec, exec, s[0:1]
	v_cmp_ne_u32_e32 vcc, v93, v89
	s_and_saveexec_b64 s[0:1], vcc
	s_xor_b64 s[0:1], exec, s[0:1]
	s_cbranch_execz .LBB110_772
; %bb.767:
	v_cmp_eq_u32_e32 vcc, 36, v93
	s_and_saveexec_b64 s[18:19], vcc
	s_cbranch_execz .LBB110_771
; %bb.768:
	v_cmp_ne_u32_e32 vcc, 36, v89
	s_xor_b64 s[20:21], s[6:7], -1
	s_and_b64 s[22:23], s[20:21], vcc
	s_and_saveexec_b64 s[20:21], s[22:23]
	s_cbranch_execz .LBB110_770
; %bb.769:
	buffer_load_dword v81, off, s[24:27], 0 offset:448 ; 4-byte Folded Reload
	buffer_load_dword v82, off, s[24:27], 0 offset:452 ; 4-byte Folded Reload
	v_ashrrev_i32_e32 v90, 31, v89
	v_lshlrev_b64 v[90:91], 2, v[89:90]
	s_waitcnt vmcnt(1)
	v_add_co_u32_e32 v90, vcc, v81, v90
	s_waitcnt vmcnt(0)
	v_addc_co_u32_e32 v91, vcc, v82, v91, vcc
	global_load_dword v92, v[90:91], off
	global_load_dword v93, v[81:82], off offset:144
	s_waitcnt vmcnt(1)
	global_store_dword v[81:82], v92, off offset:144
	v_mov_b32_e32 v81, v105
	v_mov_b32_e32 v82, v106
	;; [unrolled: 1-line block ×4, first 2 shown]
	s_waitcnt vmcnt(1)
	global_store_dword v[90:91], v93, off
.LBB110_770:
	s_or_b64 exec, exec, s[20:21]
	v_mov_b32_e32 v93, v89
	v_mov_b32_e32 v127, v89
.LBB110_771:
	s_or_b64 exec, exec, s[18:19]
.LBB110_772:
	s_andn2_saveexec_b64 s[0:1], s[0:1]
	s_cbranch_execz .LBB110_774
; %bb.773:
	v_mov_b32_e32 v93, 36
	ds_write2_b64 v0, v[69:70], v[71:72] offset0:74 offset1:75
	ds_write2_b64 v0, v[65:66], v[67:68] offset0:76 offset1:77
	ds_write2_b64 v0, v[61:62], v[63:64] offset0:78 offset1:79
	ds_write2_b64 v0, v[57:58], v[59:60] offset0:80 offset1:81
	ds_write2_b64 v0, v[53:54], v[55:56] offset0:82 offset1:83
	ds_write2_b64 v0, v[49:50], v[51:52] offset0:84 offset1:85
	ds_write2_b64 v0, v[45:46], v[47:48] offset0:86 offset1:87
	ds_write2_b64 v0, v[41:42], v[43:44] offset0:88 offset1:89
	ds_write2_b64 v0, v[37:38], v[39:40] offset0:90 offset1:91
	ds_write2_b64 v0, v[33:34], v[35:36] offset0:92 offset1:93
	ds_write2_b64 v0, v[29:30], v[31:32] offset0:94 offset1:95
	ds_write2_b64 v0, v[25:26], v[27:28] offset0:96 offset1:97
	ds_write2_b64 v0, v[21:22], v[23:24] offset0:98 offset1:99
	ds_write2_b64 v0, v[17:18], v[19:20] offset0:100 offset1:101
	ds_write2_b64 v0, v[13:14], v[15:16] offset0:102 offset1:103
	ds_write2_b64 v0, v[9:10], v[11:12] offset0:104 offset1:105
	ds_write2_b64 v0, v[5:6], v[7:8] offset0:106 offset1:107
	ds_write2_b64 v0, v[1:2], v[3:4] offset0:108 offset1:109
	ds_write2_b64 v0, v[121:122], v[123:124] offset0:110 offset1:111
.LBB110_774:
	s_or_b64 exec, exec, s[0:1]
	v_cmp_lt_i32_e32 vcc, 36, v93
	s_waitcnt vmcnt(0) lgkmcnt(0)
	s_barrier
	s_and_saveexec_b64 s[0:1], vcc
	s_cbranch_execz .LBB110_776
; %bb.775:
	buffer_load_dword v73, off, s[24:27], 0 ; 4-byte Folded Reload
	buffer_load_dword v74, off, s[24:27], 0 offset:4 ; 4-byte Folded Reload
	buffer_load_dword v75, off, s[24:27], 0 offset:8 ; 4-byte Folded Reload
	;; [unrolled: 1-line block ×3, first 2 shown]
	ds_read2_b64 v[95:98], v0 offset0:74 offset1:75
	s_waitcnt vmcnt(0)
	v_mul_f64 v[89:90], v[119:120], v[75:76]
	v_mul_f64 v[75:76], v[117:118], v[75:76]
	v_fma_f64 v[89:90], v[117:118], v[73:74], -v[89:90]
	v_fma_f64 v[75:76], v[119:120], v[73:74], v[75:76]
	s_waitcnt lgkmcnt(0)
	v_mul_f64 v[73:74], v[97:98], v[75:76]
	v_mul_f64 v[91:92], v[95:96], v[75:76]
	v_fma_f64 v[73:74], v[95:96], v[89:90], -v[73:74]
	v_fma_f64 v[91:92], v[97:98], v[89:90], v[91:92]
	ds_read2_b64 v[95:98], v0 offset0:76 offset1:77
	v_add_f64 v[69:70], v[69:70], -v[73:74]
	v_add_f64 v[71:72], v[71:72], -v[91:92]
	s_waitcnt lgkmcnt(0)
	v_mul_f64 v[73:74], v[97:98], v[75:76]
	v_mul_f64 v[91:92], v[95:96], v[75:76]
	v_fma_f64 v[73:74], v[95:96], v[89:90], -v[73:74]
	v_fma_f64 v[91:92], v[97:98], v[89:90], v[91:92]
	ds_read2_b64 v[95:98], v0 offset0:78 offset1:79
	v_add_f64 v[65:66], v[65:66], -v[73:74]
	v_add_f64 v[67:68], v[67:68], -v[91:92]
	s_waitcnt lgkmcnt(0)
	v_mul_f64 v[73:74], v[97:98], v[75:76]
	v_mul_f64 v[91:92], v[95:96], v[75:76]
	v_fma_f64 v[73:74], v[95:96], v[89:90], -v[73:74]
	v_fma_f64 v[91:92], v[97:98], v[89:90], v[91:92]
	ds_read2_b64 v[95:98], v0 offset0:80 offset1:81
	v_add_f64 v[61:62], v[61:62], -v[73:74]
	v_add_f64 v[63:64], v[63:64], -v[91:92]
	s_waitcnt lgkmcnt(0)
	v_mul_f64 v[73:74], v[97:98], v[75:76]
	v_mul_f64 v[91:92], v[95:96], v[75:76]
	v_fma_f64 v[73:74], v[95:96], v[89:90], -v[73:74]
	v_fma_f64 v[91:92], v[97:98], v[89:90], v[91:92]
	ds_read2_b64 v[95:98], v0 offset0:82 offset1:83
	v_add_f64 v[57:58], v[57:58], -v[73:74]
	v_add_f64 v[59:60], v[59:60], -v[91:92]
	s_waitcnt lgkmcnt(0)
	v_mul_f64 v[73:74], v[97:98], v[75:76]
	v_mul_f64 v[91:92], v[95:96], v[75:76]
	v_fma_f64 v[73:74], v[95:96], v[89:90], -v[73:74]
	v_fma_f64 v[91:92], v[97:98], v[89:90], v[91:92]
	ds_read2_b64 v[95:98], v0 offset0:84 offset1:85
	v_add_f64 v[53:54], v[53:54], -v[73:74]
	v_add_f64 v[55:56], v[55:56], -v[91:92]
	s_waitcnt lgkmcnt(0)
	v_mul_f64 v[73:74], v[97:98], v[75:76]
	v_mul_f64 v[91:92], v[95:96], v[75:76]
	v_fma_f64 v[73:74], v[95:96], v[89:90], -v[73:74]
	v_fma_f64 v[91:92], v[97:98], v[89:90], v[91:92]
	ds_read2_b64 v[95:98], v0 offset0:86 offset1:87
	v_add_f64 v[49:50], v[49:50], -v[73:74]
	v_add_f64 v[51:52], v[51:52], -v[91:92]
	s_waitcnt lgkmcnt(0)
	v_mul_f64 v[73:74], v[97:98], v[75:76]
	v_mul_f64 v[91:92], v[95:96], v[75:76]
	v_fma_f64 v[73:74], v[95:96], v[89:90], -v[73:74]
	v_fma_f64 v[91:92], v[97:98], v[89:90], v[91:92]
	ds_read2_b64 v[95:98], v0 offset0:88 offset1:89
	v_add_f64 v[45:46], v[45:46], -v[73:74]
	v_add_f64 v[47:48], v[47:48], -v[91:92]
	s_waitcnt lgkmcnt(0)
	v_mul_f64 v[73:74], v[97:98], v[75:76]
	v_mul_f64 v[91:92], v[95:96], v[75:76]
	v_fma_f64 v[73:74], v[95:96], v[89:90], -v[73:74]
	v_fma_f64 v[91:92], v[97:98], v[89:90], v[91:92]
	ds_read2_b64 v[95:98], v0 offset0:90 offset1:91
	v_add_f64 v[41:42], v[41:42], -v[73:74]
	v_add_f64 v[43:44], v[43:44], -v[91:92]
	s_waitcnt lgkmcnt(0)
	v_mul_f64 v[73:74], v[97:98], v[75:76]
	v_mul_f64 v[91:92], v[95:96], v[75:76]
	v_fma_f64 v[73:74], v[95:96], v[89:90], -v[73:74]
	v_fma_f64 v[91:92], v[97:98], v[89:90], v[91:92]
	ds_read2_b64 v[95:98], v0 offset0:92 offset1:93
	v_add_f64 v[37:38], v[37:38], -v[73:74]
	v_add_f64 v[39:40], v[39:40], -v[91:92]
	s_waitcnt lgkmcnt(0)
	v_mul_f64 v[73:74], v[97:98], v[75:76]
	v_mul_f64 v[91:92], v[95:96], v[75:76]
	v_fma_f64 v[73:74], v[95:96], v[89:90], -v[73:74]
	v_fma_f64 v[91:92], v[97:98], v[89:90], v[91:92]
	ds_read2_b64 v[95:98], v0 offset0:94 offset1:95
	v_add_f64 v[33:34], v[33:34], -v[73:74]
	v_add_f64 v[35:36], v[35:36], -v[91:92]
	s_waitcnt lgkmcnt(0)
	v_mul_f64 v[73:74], v[97:98], v[75:76]
	v_mul_f64 v[91:92], v[95:96], v[75:76]
	v_fma_f64 v[73:74], v[95:96], v[89:90], -v[73:74]
	v_fma_f64 v[91:92], v[97:98], v[89:90], v[91:92]
	ds_read2_b64 v[95:98], v0 offset0:96 offset1:97
	v_add_f64 v[29:30], v[29:30], -v[73:74]
	v_add_f64 v[31:32], v[31:32], -v[91:92]
	s_waitcnt lgkmcnt(0)
	v_mul_f64 v[73:74], v[97:98], v[75:76]
	v_mul_f64 v[91:92], v[95:96], v[75:76]
	v_fma_f64 v[73:74], v[95:96], v[89:90], -v[73:74]
	v_fma_f64 v[91:92], v[97:98], v[89:90], v[91:92]
	ds_read2_b64 v[95:98], v0 offset0:98 offset1:99
	v_add_f64 v[25:26], v[25:26], -v[73:74]
	v_add_f64 v[27:28], v[27:28], -v[91:92]
	s_waitcnt lgkmcnt(0)
	v_mul_f64 v[73:74], v[97:98], v[75:76]
	v_mul_f64 v[91:92], v[95:96], v[75:76]
	v_fma_f64 v[73:74], v[95:96], v[89:90], -v[73:74]
	v_fma_f64 v[91:92], v[97:98], v[89:90], v[91:92]
	ds_read2_b64 v[95:98], v0 offset0:100 offset1:101
	v_add_f64 v[21:22], v[21:22], -v[73:74]
	v_add_f64 v[23:24], v[23:24], -v[91:92]
	s_waitcnt lgkmcnt(0)
	v_mul_f64 v[73:74], v[97:98], v[75:76]
	v_mul_f64 v[91:92], v[95:96], v[75:76]
	v_fma_f64 v[73:74], v[95:96], v[89:90], -v[73:74]
	v_fma_f64 v[91:92], v[97:98], v[89:90], v[91:92]
	ds_read2_b64 v[95:98], v0 offset0:102 offset1:103
	v_add_f64 v[17:18], v[17:18], -v[73:74]
	v_add_f64 v[19:20], v[19:20], -v[91:92]
	s_waitcnt lgkmcnt(0)
	v_mul_f64 v[73:74], v[97:98], v[75:76]
	v_mul_f64 v[91:92], v[95:96], v[75:76]
	v_fma_f64 v[73:74], v[95:96], v[89:90], -v[73:74]
	v_fma_f64 v[91:92], v[97:98], v[89:90], v[91:92]
	ds_read2_b64 v[95:98], v0 offset0:104 offset1:105
	v_add_f64 v[13:14], v[13:14], -v[73:74]
	v_add_f64 v[15:16], v[15:16], -v[91:92]
	s_waitcnt lgkmcnt(0)
	v_mul_f64 v[73:74], v[97:98], v[75:76]
	v_mul_f64 v[91:92], v[95:96], v[75:76]
	v_fma_f64 v[73:74], v[95:96], v[89:90], -v[73:74]
	v_fma_f64 v[91:92], v[97:98], v[89:90], v[91:92]
	ds_read2_b64 v[95:98], v0 offset0:106 offset1:107
	v_add_f64 v[9:10], v[9:10], -v[73:74]
	v_add_f64 v[11:12], v[11:12], -v[91:92]
	s_waitcnt lgkmcnt(0)
	v_mul_f64 v[73:74], v[97:98], v[75:76]
	v_mul_f64 v[91:92], v[95:96], v[75:76]
	v_fma_f64 v[73:74], v[95:96], v[89:90], -v[73:74]
	v_fma_f64 v[91:92], v[97:98], v[89:90], v[91:92]
	ds_read2_b64 v[95:98], v0 offset0:108 offset1:109
	v_add_f64 v[5:6], v[5:6], -v[73:74]
	v_add_f64 v[7:8], v[7:8], -v[91:92]
	s_waitcnt lgkmcnt(0)
	v_mul_f64 v[73:74], v[97:98], v[75:76]
	v_mul_f64 v[91:92], v[95:96], v[75:76]
	v_fma_f64 v[73:74], v[95:96], v[89:90], -v[73:74]
	v_fma_f64 v[91:92], v[97:98], v[89:90], v[91:92]
	ds_read2_b64 v[95:98], v0 offset0:110 offset1:111
	v_add_f64 v[1:2], v[1:2], -v[73:74]
	v_add_f64 v[3:4], v[3:4], -v[91:92]
	s_waitcnt lgkmcnt(0)
	v_mul_f64 v[73:74], v[97:98], v[75:76]
	v_mul_f64 v[91:92], v[95:96], v[75:76]
	v_fma_f64 v[73:74], v[95:96], v[89:90], -v[73:74]
	v_fma_f64 v[91:92], v[97:98], v[89:90], v[91:92]
	v_add_f64 v[121:122], v[121:122], -v[73:74]
	v_add_f64 v[123:124], v[123:124], -v[91:92]
	v_mov_b32_e32 v73, v89
	v_mov_b32_e32 v74, v90
	buffer_store_dword v73, off, s[24:27], 0 ; 4-byte Folded Spill
	s_nop 0
	buffer_store_dword v74, off, s[24:27], 0 offset:4 ; 4-byte Folded Spill
	buffer_store_dword v75, off, s[24:27], 0 offset:8 ; 4-byte Folded Spill
	;; [unrolled: 1-line block ×3, first 2 shown]
.LBB110_776:
	s_or_b64 exec, exec, s[0:1]
	v_lshl_add_u32 v89, v93, 4, v0
	s_waitcnt vmcnt(0)
	s_barrier
	ds_write2_b64 v89, v[69:70], v[71:72] offset1:1
	s_waitcnt lgkmcnt(0)
	s_barrier
	ds_read2_b64 v[117:120], v0 offset0:74 offset1:75
	s_cmp_lt_i32 s3, 39
	v_mov_b32_e32 v89, 37
	s_cbranch_scc1 .LBB110_779
; %bb.777:
	v_add_u32_e32 v90, 0x260, v0
	s_mov_b32 s0, 38
	v_mov_b32_e32 v89, 37
.LBB110_778:                            ; =>This Inner Loop Header: Depth=1
	s_waitcnt lgkmcnt(0)
	v_cmp_gt_f64_e32 vcc, 0, v[117:118]
	v_xor_b32_e32 v91, 0x80000000, v118
	ds_read2_b64 v[95:98], v90 offset1:1
	v_xor_b32_e32 v99, 0x80000000, v120
	v_add_u32_e32 v90, 16, v90
	s_waitcnt lgkmcnt(0)
	v_xor_b32_e32 v101, 0x80000000, v98
	v_cndmask_b32_e32 v92, v118, v91, vcc
	v_cmp_gt_f64_e32 vcc, 0, v[119:120]
	v_mov_b32_e32 v91, v117
	v_cndmask_b32_e32 v100, v120, v99, vcc
	v_cmp_gt_f64_e32 vcc, 0, v[95:96]
	v_mov_b32_e32 v99, v119
	v_add_f64 v[91:92], v[91:92], v[99:100]
	v_xor_b32_e32 v99, 0x80000000, v96
	v_cndmask_b32_e32 v100, v96, v99, vcc
	v_cmp_gt_f64_e32 vcc, 0, v[97:98]
	v_mov_b32_e32 v99, v95
	v_cndmask_b32_e32 v102, v98, v101, vcc
	v_mov_b32_e32 v101, v97
	v_add_f64 v[99:100], v[99:100], v[101:102]
	v_cmp_lt_f64_e32 vcc, v[91:92], v[99:100]
	v_mov_b32_e32 v91, s0
	s_add_i32 s0, s0, 1
	s_cmp_lg_u32 s3, s0
	v_cndmask_b32_e32 v118, v118, v96, vcc
	v_cndmask_b32_e32 v117, v117, v95, vcc
	;; [unrolled: 1-line block ×5, first 2 shown]
	s_cbranch_scc1 .LBB110_778
.LBB110_779:
	s_waitcnt lgkmcnt(0)
	v_cmp_eq_f64_e32 vcc, 0, v[117:118]
	v_cmp_eq_f64_e64 s[0:1], 0, v[119:120]
	s_and_b64 s[0:1], vcc, s[0:1]
	s_and_saveexec_b64 s[18:19], s[0:1]
	s_xor_b64 s[0:1], exec, s[18:19]
; %bb.780:
	v_cmp_ne_u32_e32 vcc, 0, v94
	v_cndmask_b32_e32 v94, 38, v94, vcc
; %bb.781:
	s_andn2_saveexec_b64 s[0:1], s[0:1]
	s_cbranch_execz .LBB110_787
; %bb.782:
	v_cmp_ngt_f64_e64 s[18:19], |v[117:118]|, |v[119:120]|
	s_and_saveexec_b64 s[20:21], s[18:19]
	s_xor_b64 s[18:19], exec, s[20:21]
	s_cbranch_execz .LBB110_784
; %bb.783:
	v_div_scale_f64 v[90:91], s[20:21], v[119:120], v[119:120], v[117:118]
	v_rcp_f64_e32 v[95:96], v[90:91]
	v_fma_f64 v[97:98], -v[90:91], v[95:96], 1.0
	v_fma_f64 v[95:96], v[95:96], v[97:98], v[95:96]
	v_div_scale_f64 v[97:98], vcc, v[117:118], v[119:120], v[117:118]
	v_fma_f64 v[99:100], -v[90:91], v[95:96], 1.0
	v_fma_f64 v[95:96], v[95:96], v[99:100], v[95:96]
	v_mul_f64 v[99:100], v[97:98], v[95:96]
	v_fma_f64 v[90:91], -v[90:91], v[99:100], v[97:98]
	v_div_fmas_f64 v[90:91], v[90:91], v[95:96], v[99:100]
	v_div_fixup_f64 v[90:91], v[90:91], v[119:120], v[117:118]
	v_fma_f64 v[95:96], v[117:118], v[90:91], v[119:120]
	v_div_scale_f64 v[97:98], s[20:21], v[95:96], v[95:96], 1.0
	v_div_scale_f64 v[103:104], vcc, 1.0, v[95:96], 1.0
	v_rcp_f64_e32 v[99:100], v[97:98]
	v_fma_f64 v[101:102], -v[97:98], v[99:100], 1.0
	v_fma_f64 v[99:100], v[99:100], v[101:102], v[99:100]
	v_fma_f64 v[101:102], -v[97:98], v[99:100], 1.0
	v_fma_f64 v[99:100], v[99:100], v[101:102], v[99:100]
	v_mul_f64 v[101:102], v[103:104], v[99:100]
	v_fma_f64 v[97:98], -v[97:98], v[101:102], v[103:104]
	v_div_fmas_f64 v[97:98], v[97:98], v[99:100], v[101:102]
	v_div_fixup_f64 v[119:120], v[97:98], v[95:96], 1.0
	v_mul_f64 v[117:118], v[90:91], v[119:120]
	v_xor_b32_e32 v120, 0x80000000, v120
.LBB110_784:
	s_andn2_saveexec_b64 s[18:19], s[18:19]
	s_cbranch_execz .LBB110_786
; %bb.785:
	v_div_scale_f64 v[90:91], s[20:21], v[117:118], v[117:118], v[119:120]
	v_rcp_f64_e32 v[95:96], v[90:91]
	v_fma_f64 v[97:98], -v[90:91], v[95:96], 1.0
	v_fma_f64 v[95:96], v[95:96], v[97:98], v[95:96]
	v_div_scale_f64 v[97:98], vcc, v[119:120], v[117:118], v[119:120]
	v_fma_f64 v[99:100], -v[90:91], v[95:96], 1.0
	v_fma_f64 v[95:96], v[95:96], v[99:100], v[95:96]
	v_mul_f64 v[99:100], v[97:98], v[95:96]
	v_fma_f64 v[90:91], -v[90:91], v[99:100], v[97:98]
	v_div_fmas_f64 v[90:91], v[90:91], v[95:96], v[99:100]
	v_div_fixup_f64 v[90:91], v[90:91], v[117:118], v[119:120]
	v_fma_f64 v[95:96], v[119:120], v[90:91], v[117:118]
	v_div_scale_f64 v[97:98], s[20:21], v[95:96], v[95:96], 1.0
	v_div_scale_f64 v[103:104], vcc, 1.0, v[95:96], 1.0
	v_rcp_f64_e32 v[99:100], v[97:98]
	v_fma_f64 v[101:102], -v[97:98], v[99:100], 1.0
	v_fma_f64 v[99:100], v[99:100], v[101:102], v[99:100]
	v_fma_f64 v[101:102], -v[97:98], v[99:100], 1.0
	v_fma_f64 v[99:100], v[99:100], v[101:102], v[99:100]
	v_mul_f64 v[101:102], v[103:104], v[99:100]
	v_fma_f64 v[97:98], -v[97:98], v[101:102], v[103:104]
	v_div_fmas_f64 v[97:98], v[97:98], v[99:100], v[101:102]
	v_div_fixup_f64 v[117:118], v[97:98], v[95:96], 1.0
	v_mul_f64 v[119:120], v[90:91], -v[117:118]
.LBB110_786:
	s_or_b64 exec, exec, s[18:19]
.LBB110_787:
	s_or_b64 exec, exec, s[0:1]
	v_cmp_ne_u32_e32 vcc, v93, v89
	s_and_saveexec_b64 s[0:1], vcc
	s_xor_b64 s[0:1], exec, s[0:1]
	s_cbranch_execz .LBB110_793
; %bb.788:
	v_cmp_eq_u32_e32 vcc, 37, v93
	s_and_saveexec_b64 s[18:19], vcc
	s_cbranch_execz .LBB110_792
; %bb.789:
	v_cmp_ne_u32_e32 vcc, 37, v89
	s_xor_b64 s[20:21], s[6:7], -1
	s_and_b64 s[22:23], s[20:21], vcc
	s_and_saveexec_b64 s[20:21], s[22:23]
	s_cbranch_execz .LBB110_791
; %bb.790:
	buffer_load_dword v81, off, s[24:27], 0 offset:448 ; 4-byte Folded Reload
	buffer_load_dword v82, off, s[24:27], 0 offset:452 ; 4-byte Folded Reload
	v_ashrrev_i32_e32 v90, 31, v89
	v_lshlrev_b64 v[90:91], 2, v[89:90]
	s_waitcnt vmcnt(1)
	v_add_co_u32_e32 v90, vcc, v81, v90
	s_waitcnt vmcnt(0)
	v_addc_co_u32_e32 v91, vcc, v82, v91, vcc
	global_load_dword v92, v[90:91], off
	global_load_dword v93, v[81:82], off offset:148
	s_waitcnt vmcnt(1)
	global_store_dword v[81:82], v92, off offset:148
	v_mov_b32_e32 v81, v105
	v_mov_b32_e32 v82, v106
	;; [unrolled: 1-line block ×4, first 2 shown]
	s_waitcnt vmcnt(1)
	global_store_dword v[90:91], v93, off
.LBB110_791:
	s_or_b64 exec, exec, s[20:21]
	v_mov_b32_e32 v93, v89
	v_mov_b32_e32 v127, v89
.LBB110_792:
	s_or_b64 exec, exec, s[18:19]
.LBB110_793:
	s_andn2_saveexec_b64 s[0:1], s[0:1]
	s_cbranch_execz .LBB110_795
; %bb.794:
	v_mov_b32_e32 v93, 37
	ds_write2_b64 v0, v[65:66], v[67:68] offset0:76 offset1:77
	ds_write2_b64 v0, v[61:62], v[63:64] offset0:78 offset1:79
	;; [unrolled: 1-line block ×18, first 2 shown]
.LBB110_795:
	s_or_b64 exec, exec, s[0:1]
	v_cmp_lt_i32_e32 vcc, 37, v93
	s_waitcnt vmcnt(0) lgkmcnt(0)
	s_barrier
	s_and_saveexec_b64 s[0:1], vcc
	s_cbranch_execz .LBB110_797
; %bb.796:
	v_mul_f64 v[89:90], v[119:120], v[71:72]
	v_mul_f64 v[71:72], v[117:118], v[71:72]
	ds_read2_b64 v[95:98], v0 offset0:76 offset1:77
	v_fma_f64 v[89:90], v[117:118], v[69:70], -v[89:90]
	v_fma_f64 v[71:72], v[119:120], v[69:70], v[71:72]
	s_waitcnt lgkmcnt(0)
	v_mul_f64 v[69:70], v[97:98], v[71:72]
	v_mul_f64 v[91:92], v[95:96], v[71:72]
	v_fma_f64 v[69:70], v[95:96], v[89:90], -v[69:70]
	v_fma_f64 v[91:92], v[97:98], v[89:90], v[91:92]
	ds_read2_b64 v[95:98], v0 offset0:78 offset1:79
	v_add_f64 v[65:66], v[65:66], -v[69:70]
	v_add_f64 v[67:68], v[67:68], -v[91:92]
	s_waitcnt lgkmcnt(0)
	v_mul_f64 v[69:70], v[97:98], v[71:72]
	v_mul_f64 v[91:92], v[95:96], v[71:72]
	v_fma_f64 v[69:70], v[95:96], v[89:90], -v[69:70]
	v_fma_f64 v[91:92], v[97:98], v[89:90], v[91:92]
	ds_read2_b64 v[95:98], v0 offset0:80 offset1:81
	v_add_f64 v[61:62], v[61:62], -v[69:70]
	v_add_f64 v[63:64], v[63:64], -v[91:92]
	;; [unrolled: 8-line block ×17, first 2 shown]
	s_waitcnt lgkmcnt(0)
	v_mul_f64 v[69:70], v[97:98], v[71:72]
	v_mul_f64 v[91:92], v[95:96], v[71:72]
	v_fma_f64 v[69:70], v[95:96], v[89:90], -v[69:70]
	v_fma_f64 v[91:92], v[97:98], v[89:90], v[91:92]
	v_add_f64 v[121:122], v[121:122], -v[69:70]
	v_add_f64 v[123:124], v[123:124], -v[91:92]
	v_mov_b32_e32 v69, v89
	v_mov_b32_e32 v70, v90
.LBB110_797:
	s_or_b64 exec, exec, s[0:1]
	v_lshl_add_u32 v89, v93, 4, v0
	s_barrier
	ds_write2_b64 v89, v[65:66], v[67:68] offset1:1
	s_waitcnt lgkmcnt(0)
	s_barrier
	ds_read2_b64 v[117:120], v0 offset0:76 offset1:77
	s_cmp_lt_i32 s3, 40
	v_mov_b32_e32 v89, 38
	s_cbranch_scc1 .LBB110_800
; %bb.798:
	v_add_u32_e32 v90, 0x270, v0
	s_mov_b32 s0, 39
	v_mov_b32_e32 v89, 38
.LBB110_799:                            ; =>This Inner Loop Header: Depth=1
	s_waitcnt lgkmcnt(0)
	v_cmp_gt_f64_e32 vcc, 0, v[117:118]
	v_xor_b32_e32 v91, 0x80000000, v118
	ds_read2_b64 v[95:98], v90 offset1:1
	v_xor_b32_e32 v99, 0x80000000, v120
	v_add_u32_e32 v90, 16, v90
	s_waitcnt lgkmcnt(0)
	v_xor_b32_e32 v101, 0x80000000, v98
	v_cndmask_b32_e32 v92, v118, v91, vcc
	v_cmp_gt_f64_e32 vcc, 0, v[119:120]
	v_mov_b32_e32 v91, v117
	v_cndmask_b32_e32 v100, v120, v99, vcc
	v_cmp_gt_f64_e32 vcc, 0, v[95:96]
	v_mov_b32_e32 v99, v119
	v_add_f64 v[91:92], v[91:92], v[99:100]
	v_xor_b32_e32 v99, 0x80000000, v96
	v_cndmask_b32_e32 v100, v96, v99, vcc
	v_cmp_gt_f64_e32 vcc, 0, v[97:98]
	v_mov_b32_e32 v99, v95
	v_cndmask_b32_e32 v102, v98, v101, vcc
	v_mov_b32_e32 v101, v97
	v_add_f64 v[99:100], v[99:100], v[101:102]
	v_cmp_lt_f64_e32 vcc, v[91:92], v[99:100]
	v_mov_b32_e32 v91, s0
	s_add_i32 s0, s0, 1
	s_cmp_lg_u32 s3, s0
	v_cndmask_b32_e32 v118, v118, v96, vcc
	v_cndmask_b32_e32 v117, v117, v95, vcc
	;; [unrolled: 1-line block ×5, first 2 shown]
	s_cbranch_scc1 .LBB110_799
.LBB110_800:
	s_waitcnt lgkmcnt(0)
	v_cmp_eq_f64_e32 vcc, 0, v[117:118]
	v_cmp_eq_f64_e64 s[0:1], 0, v[119:120]
	s_and_b64 s[0:1], vcc, s[0:1]
	s_and_saveexec_b64 s[18:19], s[0:1]
	s_xor_b64 s[0:1], exec, s[18:19]
; %bb.801:
	v_cmp_ne_u32_e32 vcc, 0, v94
	v_cndmask_b32_e32 v94, 39, v94, vcc
; %bb.802:
	s_andn2_saveexec_b64 s[0:1], s[0:1]
	s_cbranch_execz .LBB110_808
; %bb.803:
	v_cmp_ngt_f64_e64 s[18:19], |v[117:118]|, |v[119:120]|
	s_and_saveexec_b64 s[20:21], s[18:19]
	s_xor_b64 s[18:19], exec, s[20:21]
	s_cbranch_execz .LBB110_805
; %bb.804:
	v_div_scale_f64 v[90:91], s[20:21], v[119:120], v[119:120], v[117:118]
	v_rcp_f64_e32 v[95:96], v[90:91]
	v_fma_f64 v[97:98], -v[90:91], v[95:96], 1.0
	v_fma_f64 v[95:96], v[95:96], v[97:98], v[95:96]
	v_div_scale_f64 v[97:98], vcc, v[117:118], v[119:120], v[117:118]
	v_fma_f64 v[99:100], -v[90:91], v[95:96], 1.0
	v_fma_f64 v[95:96], v[95:96], v[99:100], v[95:96]
	v_mul_f64 v[99:100], v[97:98], v[95:96]
	v_fma_f64 v[90:91], -v[90:91], v[99:100], v[97:98]
	v_div_fmas_f64 v[90:91], v[90:91], v[95:96], v[99:100]
	v_div_fixup_f64 v[90:91], v[90:91], v[119:120], v[117:118]
	v_fma_f64 v[95:96], v[117:118], v[90:91], v[119:120]
	v_div_scale_f64 v[97:98], s[20:21], v[95:96], v[95:96], 1.0
	v_div_scale_f64 v[103:104], vcc, 1.0, v[95:96], 1.0
	v_rcp_f64_e32 v[99:100], v[97:98]
	v_fma_f64 v[101:102], -v[97:98], v[99:100], 1.0
	v_fma_f64 v[99:100], v[99:100], v[101:102], v[99:100]
	v_fma_f64 v[101:102], -v[97:98], v[99:100], 1.0
	v_fma_f64 v[99:100], v[99:100], v[101:102], v[99:100]
	v_mul_f64 v[101:102], v[103:104], v[99:100]
	v_fma_f64 v[97:98], -v[97:98], v[101:102], v[103:104]
	v_div_fmas_f64 v[97:98], v[97:98], v[99:100], v[101:102]
	v_div_fixup_f64 v[119:120], v[97:98], v[95:96], 1.0
	v_mul_f64 v[117:118], v[90:91], v[119:120]
	v_xor_b32_e32 v120, 0x80000000, v120
.LBB110_805:
	s_andn2_saveexec_b64 s[18:19], s[18:19]
	s_cbranch_execz .LBB110_807
; %bb.806:
	v_div_scale_f64 v[90:91], s[20:21], v[117:118], v[117:118], v[119:120]
	v_rcp_f64_e32 v[95:96], v[90:91]
	v_fma_f64 v[97:98], -v[90:91], v[95:96], 1.0
	v_fma_f64 v[95:96], v[95:96], v[97:98], v[95:96]
	v_div_scale_f64 v[97:98], vcc, v[119:120], v[117:118], v[119:120]
	v_fma_f64 v[99:100], -v[90:91], v[95:96], 1.0
	v_fma_f64 v[95:96], v[95:96], v[99:100], v[95:96]
	v_mul_f64 v[99:100], v[97:98], v[95:96]
	v_fma_f64 v[90:91], -v[90:91], v[99:100], v[97:98]
	v_div_fmas_f64 v[90:91], v[90:91], v[95:96], v[99:100]
	v_div_fixup_f64 v[90:91], v[90:91], v[117:118], v[119:120]
	v_fma_f64 v[95:96], v[119:120], v[90:91], v[117:118]
	v_div_scale_f64 v[97:98], s[20:21], v[95:96], v[95:96], 1.0
	v_div_scale_f64 v[103:104], vcc, 1.0, v[95:96], 1.0
	v_rcp_f64_e32 v[99:100], v[97:98]
	v_fma_f64 v[101:102], -v[97:98], v[99:100], 1.0
	v_fma_f64 v[99:100], v[99:100], v[101:102], v[99:100]
	v_fma_f64 v[101:102], -v[97:98], v[99:100], 1.0
	v_fma_f64 v[99:100], v[99:100], v[101:102], v[99:100]
	v_mul_f64 v[101:102], v[103:104], v[99:100]
	v_fma_f64 v[97:98], -v[97:98], v[101:102], v[103:104]
	v_div_fmas_f64 v[97:98], v[97:98], v[99:100], v[101:102]
	v_div_fixup_f64 v[117:118], v[97:98], v[95:96], 1.0
	v_mul_f64 v[119:120], v[90:91], -v[117:118]
.LBB110_807:
	s_or_b64 exec, exec, s[18:19]
.LBB110_808:
	s_or_b64 exec, exec, s[0:1]
	v_cmp_ne_u32_e32 vcc, v93, v89
	s_and_saveexec_b64 s[0:1], vcc
	s_xor_b64 s[0:1], exec, s[0:1]
	s_cbranch_execz .LBB110_814
; %bb.809:
	v_cmp_eq_u32_e32 vcc, 38, v93
	s_and_saveexec_b64 s[18:19], vcc
	s_cbranch_execz .LBB110_813
; %bb.810:
	v_cmp_ne_u32_e32 vcc, 38, v89
	s_xor_b64 s[20:21], s[6:7], -1
	s_and_b64 s[22:23], s[20:21], vcc
	s_and_saveexec_b64 s[20:21], s[22:23]
	s_cbranch_execz .LBB110_812
; %bb.811:
	buffer_load_dword v81, off, s[24:27], 0 offset:448 ; 4-byte Folded Reload
	buffer_load_dword v82, off, s[24:27], 0 offset:452 ; 4-byte Folded Reload
	v_ashrrev_i32_e32 v90, 31, v89
	v_lshlrev_b64 v[90:91], 2, v[89:90]
	s_waitcnt vmcnt(1)
	v_add_co_u32_e32 v90, vcc, v81, v90
	s_waitcnt vmcnt(0)
	v_addc_co_u32_e32 v91, vcc, v82, v91, vcc
	global_load_dword v92, v[90:91], off
	global_load_dword v93, v[81:82], off offset:152
	s_waitcnt vmcnt(1)
	global_store_dword v[81:82], v92, off offset:152
	v_mov_b32_e32 v81, v105
	v_mov_b32_e32 v82, v106
	;; [unrolled: 1-line block ×4, first 2 shown]
	s_waitcnt vmcnt(1)
	global_store_dword v[90:91], v93, off
.LBB110_812:
	s_or_b64 exec, exec, s[20:21]
	v_mov_b32_e32 v93, v89
	v_mov_b32_e32 v127, v89
.LBB110_813:
	s_or_b64 exec, exec, s[18:19]
.LBB110_814:
	s_andn2_saveexec_b64 s[0:1], s[0:1]
	s_cbranch_execz .LBB110_816
; %bb.815:
	v_mov_b32_e32 v93, 38
	ds_write2_b64 v0, v[61:62], v[63:64] offset0:78 offset1:79
	ds_write2_b64 v0, v[57:58], v[59:60] offset0:80 offset1:81
	;; [unrolled: 1-line block ×17, first 2 shown]
.LBB110_816:
	s_or_b64 exec, exec, s[0:1]
	v_cmp_lt_i32_e32 vcc, 38, v93
	s_waitcnt vmcnt(0) lgkmcnt(0)
	s_barrier
	s_and_saveexec_b64 s[0:1], vcc
	s_cbranch_execz .LBB110_818
; %bb.817:
	v_mul_f64 v[89:90], v[119:120], v[67:68]
	v_mul_f64 v[67:68], v[117:118], v[67:68]
	ds_read2_b64 v[95:98], v0 offset0:78 offset1:79
	v_fma_f64 v[89:90], v[117:118], v[65:66], -v[89:90]
	v_fma_f64 v[67:68], v[119:120], v[65:66], v[67:68]
	s_waitcnt lgkmcnt(0)
	v_mul_f64 v[65:66], v[97:98], v[67:68]
	v_mul_f64 v[91:92], v[95:96], v[67:68]
	v_fma_f64 v[65:66], v[95:96], v[89:90], -v[65:66]
	v_fma_f64 v[91:92], v[97:98], v[89:90], v[91:92]
	ds_read2_b64 v[95:98], v0 offset0:80 offset1:81
	v_add_f64 v[61:62], v[61:62], -v[65:66]
	v_add_f64 v[63:64], v[63:64], -v[91:92]
	s_waitcnt lgkmcnt(0)
	v_mul_f64 v[65:66], v[97:98], v[67:68]
	v_mul_f64 v[91:92], v[95:96], v[67:68]
	v_fma_f64 v[65:66], v[95:96], v[89:90], -v[65:66]
	v_fma_f64 v[91:92], v[97:98], v[89:90], v[91:92]
	ds_read2_b64 v[95:98], v0 offset0:82 offset1:83
	v_add_f64 v[57:58], v[57:58], -v[65:66]
	v_add_f64 v[59:60], v[59:60], -v[91:92]
	;; [unrolled: 8-line block ×16, first 2 shown]
	s_waitcnt lgkmcnt(0)
	v_mul_f64 v[65:66], v[97:98], v[67:68]
	v_mul_f64 v[91:92], v[95:96], v[67:68]
	v_fma_f64 v[65:66], v[95:96], v[89:90], -v[65:66]
	v_fma_f64 v[91:92], v[97:98], v[89:90], v[91:92]
	v_add_f64 v[121:122], v[121:122], -v[65:66]
	v_add_f64 v[123:124], v[123:124], -v[91:92]
	v_mov_b32_e32 v65, v89
	v_mov_b32_e32 v66, v90
.LBB110_818:
	s_or_b64 exec, exec, s[0:1]
	v_lshl_add_u32 v89, v93, 4, v0
	s_barrier
	ds_write2_b64 v89, v[61:62], v[63:64] offset1:1
	s_waitcnt lgkmcnt(0)
	s_barrier
	ds_read2_b64 v[117:120], v0 offset0:78 offset1:79
	s_cmp_lt_i32 s3, 41
	v_mov_b32_e32 v89, 39
	s_cbranch_scc1 .LBB110_821
; %bb.819:
	v_add_u32_e32 v90, 0x280, v0
	s_mov_b32 s0, 40
	v_mov_b32_e32 v89, 39
.LBB110_820:                            ; =>This Inner Loop Header: Depth=1
	s_waitcnt lgkmcnt(0)
	v_cmp_gt_f64_e32 vcc, 0, v[117:118]
	v_xor_b32_e32 v91, 0x80000000, v118
	ds_read2_b64 v[95:98], v90 offset1:1
	v_xor_b32_e32 v99, 0x80000000, v120
	v_add_u32_e32 v90, 16, v90
	s_waitcnt lgkmcnt(0)
	v_xor_b32_e32 v101, 0x80000000, v98
	v_cndmask_b32_e32 v92, v118, v91, vcc
	v_cmp_gt_f64_e32 vcc, 0, v[119:120]
	v_mov_b32_e32 v91, v117
	v_cndmask_b32_e32 v100, v120, v99, vcc
	v_cmp_gt_f64_e32 vcc, 0, v[95:96]
	v_mov_b32_e32 v99, v119
	v_add_f64 v[91:92], v[91:92], v[99:100]
	v_xor_b32_e32 v99, 0x80000000, v96
	v_cndmask_b32_e32 v100, v96, v99, vcc
	v_cmp_gt_f64_e32 vcc, 0, v[97:98]
	v_mov_b32_e32 v99, v95
	v_cndmask_b32_e32 v102, v98, v101, vcc
	v_mov_b32_e32 v101, v97
	v_add_f64 v[99:100], v[99:100], v[101:102]
	v_cmp_lt_f64_e32 vcc, v[91:92], v[99:100]
	v_mov_b32_e32 v91, s0
	s_add_i32 s0, s0, 1
	s_cmp_lg_u32 s3, s0
	v_cndmask_b32_e32 v118, v118, v96, vcc
	v_cndmask_b32_e32 v117, v117, v95, vcc
	;; [unrolled: 1-line block ×5, first 2 shown]
	s_cbranch_scc1 .LBB110_820
.LBB110_821:
	s_waitcnt lgkmcnt(0)
	v_cmp_eq_f64_e32 vcc, 0, v[117:118]
	v_cmp_eq_f64_e64 s[0:1], 0, v[119:120]
	s_and_b64 s[0:1], vcc, s[0:1]
	s_and_saveexec_b64 s[18:19], s[0:1]
	s_xor_b64 s[0:1], exec, s[18:19]
; %bb.822:
	v_cmp_ne_u32_e32 vcc, 0, v94
	v_cndmask_b32_e32 v94, 40, v94, vcc
; %bb.823:
	s_andn2_saveexec_b64 s[0:1], s[0:1]
	s_cbranch_execz .LBB110_829
; %bb.824:
	v_cmp_ngt_f64_e64 s[18:19], |v[117:118]|, |v[119:120]|
	s_and_saveexec_b64 s[20:21], s[18:19]
	s_xor_b64 s[18:19], exec, s[20:21]
	s_cbranch_execz .LBB110_826
; %bb.825:
	v_div_scale_f64 v[90:91], s[20:21], v[119:120], v[119:120], v[117:118]
	v_rcp_f64_e32 v[95:96], v[90:91]
	v_fma_f64 v[97:98], -v[90:91], v[95:96], 1.0
	v_fma_f64 v[95:96], v[95:96], v[97:98], v[95:96]
	v_div_scale_f64 v[97:98], vcc, v[117:118], v[119:120], v[117:118]
	v_fma_f64 v[99:100], -v[90:91], v[95:96], 1.0
	v_fma_f64 v[95:96], v[95:96], v[99:100], v[95:96]
	v_mul_f64 v[99:100], v[97:98], v[95:96]
	v_fma_f64 v[90:91], -v[90:91], v[99:100], v[97:98]
	v_div_fmas_f64 v[90:91], v[90:91], v[95:96], v[99:100]
	v_div_fixup_f64 v[90:91], v[90:91], v[119:120], v[117:118]
	v_fma_f64 v[95:96], v[117:118], v[90:91], v[119:120]
	v_div_scale_f64 v[97:98], s[20:21], v[95:96], v[95:96], 1.0
	v_div_scale_f64 v[103:104], vcc, 1.0, v[95:96], 1.0
	v_rcp_f64_e32 v[99:100], v[97:98]
	v_fma_f64 v[101:102], -v[97:98], v[99:100], 1.0
	v_fma_f64 v[99:100], v[99:100], v[101:102], v[99:100]
	v_fma_f64 v[101:102], -v[97:98], v[99:100], 1.0
	v_fma_f64 v[99:100], v[99:100], v[101:102], v[99:100]
	v_mul_f64 v[101:102], v[103:104], v[99:100]
	v_fma_f64 v[97:98], -v[97:98], v[101:102], v[103:104]
	v_div_fmas_f64 v[97:98], v[97:98], v[99:100], v[101:102]
	v_div_fixup_f64 v[119:120], v[97:98], v[95:96], 1.0
	v_mul_f64 v[117:118], v[90:91], v[119:120]
	v_xor_b32_e32 v120, 0x80000000, v120
.LBB110_826:
	s_andn2_saveexec_b64 s[18:19], s[18:19]
	s_cbranch_execz .LBB110_828
; %bb.827:
	v_div_scale_f64 v[90:91], s[20:21], v[117:118], v[117:118], v[119:120]
	v_rcp_f64_e32 v[95:96], v[90:91]
	v_fma_f64 v[97:98], -v[90:91], v[95:96], 1.0
	v_fma_f64 v[95:96], v[95:96], v[97:98], v[95:96]
	v_div_scale_f64 v[97:98], vcc, v[119:120], v[117:118], v[119:120]
	v_fma_f64 v[99:100], -v[90:91], v[95:96], 1.0
	v_fma_f64 v[95:96], v[95:96], v[99:100], v[95:96]
	v_mul_f64 v[99:100], v[97:98], v[95:96]
	v_fma_f64 v[90:91], -v[90:91], v[99:100], v[97:98]
	v_div_fmas_f64 v[90:91], v[90:91], v[95:96], v[99:100]
	v_div_fixup_f64 v[90:91], v[90:91], v[117:118], v[119:120]
	v_fma_f64 v[95:96], v[119:120], v[90:91], v[117:118]
	v_div_scale_f64 v[97:98], s[20:21], v[95:96], v[95:96], 1.0
	v_div_scale_f64 v[103:104], vcc, 1.0, v[95:96], 1.0
	v_rcp_f64_e32 v[99:100], v[97:98]
	v_fma_f64 v[101:102], -v[97:98], v[99:100], 1.0
	v_fma_f64 v[99:100], v[99:100], v[101:102], v[99:100]
	v_fma_f64 v[101:102], -v[97:98], v[99:100], 1.0
	v_fma_f64 v[99:100], v[99:100], v[101:102], v[99:100]
	v_mul_f64 v[101:102], v[103:104], v[99:100]
	v_fma_f64 v[97:98], -v[97:98], v[101:102], v[103:104]
	v_div_fmas_f64 v[97:98], v[97:98], v[99:100], v[101:102]
	v_div_fixup_f64 v[117:118], v[97:98], v[95:96], 1.0
	v_mul_f64 v[119:120], v[90:91], -v[117:118]
.LBB110_828:
	s_or_b64 exec, exec, s[18:19]
.LBB110_829:
	s_or_b64 exec, exec, s[0:1]
	v_cmp_ne_u32_e32 vcc, v93, v89
	s_and_saveexec_b64 s[0:1], vcc
	s_xor_b64 s[0:1], exec, s[0:1]
	s_cbranch_execz .LBB110_835
; %bb.830:
	v_cmp_eq_u32_e32 vcc, 39, v93
	s_and_saveexec_b64 s[18:19], vcc
	s_cbranch_execz .LBB110_834
; %bb.831:
	v_cmp_ne_u32_e32 vcc, 39, v89
	s_xor_b64 s[20:21], s[6:7], -1
	s_and_b64 s[22:23], s[20:21], vcc
	s_and_saveexec_b64 s[20:21], s[22:23]
	s_cbranch_execz .LBB110_833
; %bb.832:
	buffer_load_dword v81, off, s[24:27], 0 offset:448 ; 4-byte Folded Reload
	buffer_load_dword v82, off, s[24:27], 0 offset:452 ; 4-byte Folded Reload
	v_ashrrev_i32_e32 v90, 31, v89
	v_lshlrev_b64 v[90:91], 2, v[89:90]
	s_waitcnt vmcnt(1)
	v_add_co_u32_e32 v90, vcc, v81, v90
	s_waitcnt vmcnt(0)
	v_addc_co_u32_e32 v91, vcc, v82, v91, vcc
	global_load_dword v92, v[90:91], off
	global_load_dword v93, v[81:82], off offset:156
	s_waitcnt vmcnt(1)
	global_store_dword v[81:82], v92, off offset:156
	v_mov_b32_e32 v81, v105
	v_mov_b32_e32 v82, v106
	v_mov_b32_e32 v83, v107
	v_mov_b32_e32 v84, v108
	s_waitcnt vmcnt(1)
	global_store_dword v[90:91], v93, off
.LBB110_833:
	s_or_b64 exec, exec, s[20:21]
	v_mov_b32_e32 v93, v89
	v_mov_b32_e32 v127, v89
.LBB110_834:
	s_or_b64 exec, exec, s[18:19]
.LBB110_835:
	s_andn2_saveexec_b64 s[0:1], s[0:1]
	s_cbranch_execz .LBB110_837
; %bb.836:
	v_mov_b32_e32 v93, 39
	ds_write2_b64 v0, v[57:58], v[59:60] offset0:80 offset1:81
	ds_write2_b64 v0, v[53:54], v[55:56] offset0:82 offset1:83
	;; [unrolled: 1-line block ×16, first 2 shown]
.LBB110_837:
	s_or_b64 exec, exec, s[0:1]
	v_cmp_lt_i32_e32 vcc, 39, v93
	s_waitcnt vmcnt(0) lgkmcnt(0)
	s_barrier
	s_and_saveexec_b64 s[0:1], vcc
	s_cbranch_execz .LBB110_839
; %bb.838:
	v_mul_f64 v[89:90], v[117:118], v[63:64]
	v_mul_f64 v[63:64], v[119:120], v[63:64]
	ds_read2_b64 v[95:98], v0 offset0:80 offset1:81
	v_fma_f64 v[89:90], v[119:120], v[61:62], v[89:90]
	v_fma_f64 v[61:62], v[117:118], v[61:62], -v[63:64]
	s_waitcnt lgkmcnt(0)
	v_mul_f64 v[63:64], v[97:98], v[89:90]
	v_mul_f64 v[91:92], v[95:96], v[89:90]
	v_fma_f64 v[63:64], v[95:96], v[61:62], -v[63:64]
	v_fma_f64 v[91:92], v[97:98], v[61:62], v[91:92]
	ds_read2_b64 v[95:98], v0 offset0:82 offset1:83
	v_add_f64 v[57:58], v[57:58], -v[63:64]
	v_add_f64 v[59:60], v[59:60], -v[91:92]
	s_waitcnt lgkmcnt(0)
	v_mul_f64 v[63:64], v[97:98], v[89:90]
	v_mul_f64 v[91:92], v[95:96], v[89:90]
	v_fma_f64 v[63:64], v[95:96], v[61:62], -v[63:64]
	v_fma_f64 v[91:92], v[97:98], v[61:62], v[91:92]
	ds_read2_b64 v[95:98], v0 offset0:84 offset1:85
	v_add_f64 v[53:54], v[53:54], -v[63:64]
	v_add_f64 v[55:56], v[55:56], -v[91:92]
	;; [unrolled: 8-line block ×15, first 2 shown]
	s_waitcnt lgkmcnt(0)
	v_mul_f64 v[63:64], v[97:98], v[89:90]
	v_mul_f64 v[91:92], v[95:96], v[89:90]
	v_fma_f64 v[63:64], v[95:96], v[61:62], -v[63:64]
	v_fma_f64 v[91:92], v[97:98], v[61:62], v[91:92]
	v_add_f64 v[121:122], v[121:122], -v[63:64]
	v_add_f64 v[123:124], v[123:124], -v[91:92]
	v_mov_b32_e32 v63, v89
	v_mov_b32_e32 v64, v90
.LBB110_839:
	s_or_b64 exec, exec, s[0:1]
	v_lshl_add_u32 v89, v93, 4, v0
	s_barrier
	ds_write2_b64 v89, v[57:58], v[59:60] offset1:1
	s_waitcnt lgkmcnt(0)
	s_barrier
	ds_read2_b64 v[117:120], v0 offset0:80 offset1:81
	s_cmp_lt_i32 s3, 42
	v_mov_b32_e32 v89, 40
	s_cbranch_scc1 .LBB110_842
; %bb.840:
	v_add_u32_e32 v90, 0x290, v0
	s_mov_b32 s0, 41
	v_mov_b32_e32 v89, 40
.LBB110_841:                            ; =>This Inner Loop Header: Depth=1
	s_waitcnt lgkmcnt(0)
	v_cmp_gt_f64_e32 vcc, 0, v[117:118]
	v_xor_b32_e32 v91, 0x80000000, v118
	ds_read2_b64 v[95:98], v90 offset1:1
	v_xor_b32_e32 v99, 0x80000000, v120
	v_add_u32_e32 v90, 16, v90
	s_waitcnt lgkmcnt(0)
	v_xor_b32_e32 v101, 0x80000000, v98
	v_cndmask_b32_e32 v92, v118, v91, vcc
	v_cmp_gt_f64_e32 vcc, 0, v[119:120]
	v_mov_b32_e32 v91, v117
	v_cndmask_b32_e32 v100, v120, v99, vcc
	v_cmp_gt_f64_e32 vcc, 0, v[95:96]
	v_mov_b32_e32 v99, v119
	v_add_f64 v[91:92], v[91:92], v[99:100]
	v_xor_b32_e32 v99, 0x80000000, v96
	v_cndmask_b32_e32 v100, v96, v99, vcc
	v_cmp_gt_f64_e32 vcc, 0, v[97:98]
	v_mov_b32_e32 v99, v95
	v_cndmask_b32_e32 v102, v98, v101, vcc
	v_mov_b32_e32 v101, v97
	v_add_f64 v[99:100], v[99:100], v[101:102]
	v_cmp_lt_f64_e32 vcc, v[91:92], v[99:100]
	v_mov_b32_e32 v91, s0
	s_add_i32 s0, s0, 1
	s_cmp_lg_u32 s3, s0
	v_cndmask_b32_e32 v118, v118, v96, vcc
	v_cndmask_b32_e32 v117, v117, v95, vcc
	;; [unrolled: 1-line block ×5, first 2 shown]
	s_cbranch_scc1 .LBB110_841
.LBB110_842:
	s_waitcnt lgkmcnt(0)
	v_cmp_eq_f64_e32 vcc, 0, v[117:118]
	v_cmp_eq_f64_e64 s[0:1], 0, v[119:120]
	s_and_b64 s[0:1], vcc, s[0:1]
	s_and_saveexec_b64 s[18:19], s[0:1]
	s_xor_b64 s[0:1], exec, s[18:19]
; %bb.843:
	v_cmp_ne_u32_e32 vcc, 0, v94
	v_cndmask_b32_e32 v94, 41, v94, vcc
; %bb.844:
	s_andn2_saveexec_b64 s[0:1], s[0:1]
	s_cbranch_execz .LBB110_850
; %bb.845:
	v_cmp_ngt_f64_e64 s[18:19], |v[117:118]|, |v[119:120]|
	s_and_saveexec_b64 s[20:21], s[18:19]
	s_xor_b64 s[18:19], exec, s[20:21]
	s_cbranch_execz .LBB110_847
; %bb.846:
	v_div_scale_f64 v[90:91], s[20:21], v[119:120], v[119:120], v[117:118]
	v_rcp_f64_e32 v[95:96], v[90:91]
	v_fma_f64 v[97:98], -v[90:91], v[95:96], 1.0
	v_fma_f64 v[95:96], v[95:96], v[97:98], v[95:96]
	v_div_scale_f64 v[97:98], vcc, v[117:118], v[119:120], v[117:118]
	v_fma_f64 v[99:100], -v[90:91], v[95:96], 1.0
	v_fma_f64 v[95:96], v[95:96], v[99:100], v[95:96]
	v_mul_f64 v[99:100], v[97:98], v[95:96]
	v_fma_f64 v[90:91], -v[90:91], v[99:100], v[97:98]
	v_div_fmas_f64 v[90:91], v[90:91], v[95:96], v[99:100]
	v_div_fixup_f64 v[90:91], v[90:91], v[119:120], v[117:118]
	v_fma_f64 v[95:96], v[117:118], v[90:91], v[119:120]
	v_div_scale_f64 v[97:98], s[20:21], v[95:96], v[95:96], 1.0
	v_div_scale_f64 v[103:104], vcc, 1.0, v[95:96], 1.0
	v_rcp_f64_e32 v[99:100], v[97:98]
	v_fma_f64 v[101:102], -v[97:98], v[99:100], 1.0
	v_fma_f64 v[99:100], v[99:100], v[101:102], v[99:100]
	v_fma_f64 v[101:102], -v[97:98], v[99:100], 1.0
	v_fma_f64 v[99:100], v[99:100], v[101:102], v[99:100]
	v_mul_f64 v[101:102], v[103:104], v[99:100]
	v_fma_f64 v[97:98], -v[97:98], v[101:102], v[103:104]
	v_div_fmas_f64 v[97:98], v[97:98], v[99:100], v[101:102]
	v_div_fixup_f64 v[119:120], v[97:98], v[95:96], 1.0
	v_mul_f64 v[117:118], v[90:91], v[119:120]
	v_xor_b32_e32 v120, 0x80000000, v120
.LBB110_847:
	s_andn2_saveexec_b64 s[18:19], s[18:19]
	s_cbranch_execz .LBB110_849
; %bb.848:
	v_div_scale_f64 v[90:91], s[20:21], v[117:118], v[117:118], v[119:120]
	v_rcp_f64_e32 v[95:96], v[90:91]
	v_fma_f64 v[97:98], -v[90:91], v[95:96], 1.0
	v_fma_f64 v[95:96], v[95:96], v[97:98], v[95:96]
	v_div_scale_f64 v[97:98], vcc, v[119:120], v[117:118], v[119:120]
	v_fma_f64 v[99:100], -v[90:91], v[95:96], 1.0
	v_fma_f64 v[95:96], v[95:96], v[99:100], v[95:96]
	v_mul_f64 v[99:100], v[97:98], v[95:96]
	v_fma_f64 v[90:91], -v[90:91], v[99:100], v[97:98]
	v_div_fmas_f64 v[90:91], v[90:91], v[95:96], v[99:100]
	v_div_fixup_f64 v[90:91], v[90:91], v[117:118], v[119:120]
	v_fma_f64 v[95:96], v[119:120], v[90:91], v[117:118]
	v_div_scale_f64 v[97:98], s[20:21], v[95:96], v[95:96], 1.0
	v_div_scale_f64 v[103:104], vcc, 1.0, v[95:96], 1.0
	v_rcp_f64_e32 v[99:100], v[97:98]
	v_fma_f64 v[101:102], -v[97:98], v[99:100], 1.0
	v_fma_f64 v[99:100], v[99:100], v[101:102], v[99:100]
	v_fma_f64 v[101:102], -v[97:98], v[99:100], 1.0
	v_fma_f64 v[99:100], v[99:100], v[101:102], v[99:100]
	v_mul_f64 v[101:102], v[103:104], v[99:100]
	v_fma_f64 v[97:98], -v[97:98], v[101:102], v[103:104]
	v_div_fmas_f64 v[97:98], v[97:98], v[99:100], v[101:102]
	v_div_fixup_f64 v[117:118], v[97:98], v[95:96], 1.0
	v_mul_f64 v[119:120], v[90:91], -v[117:118]
.LBB110_849:
	s_or_b64 exec, exec, s[18:19]
.LBB110_850:
	s_or_b64 exec, exec, s[0:1]
	v_cmp_ne_u32_e32 vcc, v93, v89
	s_and_saveexec_b64 s[0:1], vcc
	s_xor_b64 s[0:1], exec, s[0:1]
	s_cbranch_execz .LBB110_856
; %bb.851:
	v_cmp_eq_u32_e32 vcc, 40, v93
	s_and_saveexec_b64 s[18:19], vcc
	s_cbranch_execz .LBB110_855
; %bb.852:
	v_cmp_ne_u32_e32 vcc, 40, v89
	s_xor_b64 s[20:21], s[6:7], -1
	s_and_b64 s[22:23], s[20:21], vcc
	s_and_saveexec_b64 s[20:21], s[22:23]
	s_cbranch_execz .LBB110_854
; %bb.853:
	buffer_load_dword v81, off, s[24:27], 0 offset:448 ; 4-byte Folded Reload
	buffer_load_dword v82, off, s[24:27], 0 offset:452 ; 4-byte Folded Reload
	v_ashrrev_i32_e32 v90, 31, v89
	v_lshlrev_b64 v[90:91], 2, v[89:90]
	s_waitcnt vmcnt(1)
	v_add_co_u32_e32 v90, vcc, v81, v90
	s_waitcnt vmcnt(0)
	v_addc_co_u32_e32 v91, vcc, v82, v91, vcc
	global_load_dword v92, v[90:91], off
	global_load_dword v93, v[81:82], off offset:160
	s_waitcnt vmcnt(1)
	global_store_dword v[81:82], v92, off offset:160
	v_mov_b32_e32 v81, v105
	v_mov_b32_e32 v82, v106
	;; [unrolled: 1-line block ×4, first 2 shown]
	s_waitcnt vmcnt(1)
	global_store_dword v[90:91], v93, off
.LBB110_854:
	s_or_b64 exec, exec, s[20:21]
	v_mov_b32_e32 v93, v89
	v_mov_b32_e32 v127, v89
.LBB110_855:
	s_or_b64 exec, exec, s[18:19]
.LBB110_856:
	s_andn2_saveexec_b64 s[0:1], s[0:1]
	s_cbranch_execz .LBB110_858
; %bb.857:
	v_mov_b32_e32 v93, 40
	ds_write2_b64 v0, v[53:54], v[55:56] offset0:82 offset1:83
	ds_write2_b64 v0, v[49:50], v[51:52] offset0:84 offset1:85
	;; [unrolled: 1-line block ×15, first 2 shown]
.LBB110_858:
	s_or_b64 exec, exec, s[0:1]
	v_cmp_lt_i32_e32 vcc, 40, v93
	s_waitcnt vmcnt(0) lgkmcnt(0)
	s_barrier
	s_and_saveexec_b64 s[0:1], vcc
	s_cbranch_execz .LBB110_860
; %bb.859:
	v_mul_f64 v[89:90], v[117:118], v[59:60]
	v_mul_f64 v[59:60], v[119:120], v[59:60]
	ds_read2_b64 v[95:98], v0 offset0:82 offset1:83
	v_fma_f64 v[89:90], v[119:120], v[57:58], v[89:90]
	v_fma_f64 v[57:58], v[117:118], v[57:58], -v[59:60]
	s_waitcnt lgkmcnt(0)
	v_mul_f64 v[59:60], v[97:98], v[89:90]
	v_mul_f64 v[91:92], v[95:96], v[89:90]
	v_fma_f64 v[59:60], v[95:96], v[57:58], -v[59:60]
	v_fma_f64 v[91:92], v[97:98], v[57:58], v[91:92]
	ds_read2_b64 v[95:98], v0 offset0:84 offset1:85
	v_add_f64 v[53:54], v[53:54], -v[59:60]
	v_add_f64 v[55:56], v[55:56], -v[91:92]
	s_waitcnt lgkmcnt(0)
	v_mul_f64 v[59:60], v[97:98], v[89:90]
	v_mul_f64 v[91:92], v[95:96], v[89:90]
	v_fma_f64 v[59:60], v[95:96], v[57:58], -v[59:60]
	v_fma_f64 v[91:92], v[97:98], v[57:58], v[91:92]
	ds_read2_b64 v[95:98], v0 offset0:86 offset1:87
	v_add_f64 v[49:50], v[49:50], -v[59:60]
	v_add_f64 v[51:52], v[51:52], -v[91:92]
	;; [unrolled: 8-line block ×14, first 2 shown]
	s_waitcnt lgkmcnt(0)
	v_mul_f64 v[59:60], v[97:98], v[89:90]
	v_mul_f64 v[91:92], v[95:96], v[89:90]
	v_fma_f64 v[59:60], v[95:96], v[57:58], -v[59:60]
	v_fma_f64 v[91:92], v[97:98], v[57:58], v[91:92]
	v_add_f64 v[121:122], v[121:122], -v[59:60]
	v_add_f64 v[123:124], v[123:124], -v[91:92]
	v_mov_b32_e32 v59, v89
	v_mov_b32_e32 v60, v90
.LBB110_860:
	s_or_b64 exec, exec, s[0:1]
	v_lshl_add_u32 v89, v93, 4, v0
	s_barrier
	ds_write2_b64 v89, v[53:54], v[55:56] offset1:1
	s_waitcnt lgkmcnt(0)
	s_barrier
	ds_read2_b64 v[117:120], v0 offset0:82 offset1:83
	s_cmp_lt_i32 s3, 43
	v_mov_b32_e32 v89, 41
	s_cbranch_scc1 .LBB110_863
; %bb.861:
	v_add_u32_e32 v90, 0x2a0, v0
	s_mov_b32 s0, 42
	v_mov_b32_e32 v89, 41
.LBB110_862:                            ; =>This Inner Loop Header: Depth=1
	s_waitcnt lgkmcnt(0)
	v_cmp_gt_f64_e32 vcc, 0, v[117:118]
	v_xor_b32_e32 v91, 0x80000000, v118
	ds_read2_b64 v[95:98], v90 offset1:1
	v_xor_b32_e32 v99, 0x80000000, v120
	v_add_u32_e32 v90, 16, v90
	s_waitcnt lgkmcnt(0)
	v_xor_b32_e32 v101, 0x80000000, v98
	v_cndmask_b32_e32 v92, v118, v91, vcc
	v_cmp_gt_f64_e32 vcc, 0, v[119:120]
	v_mov_b32_e32 v91, v117
	v_cndmask_b32_e32 v100, v120, v99, vcc
	v_cmp_gt_f64_e32 vcc, 0, v[95:96]
	v_mov_b32_e32 v99, v119
	v_add_f64 v[91:92], v[91:92], v[99:100]
	v_xor_b32_e32 v99, 0x80000000, v96
	v_cndmask_b32_e32 v100, v96, v99, vcc
	v_cmp_gt_f64_e32 vcc, 0, v[97:98]
	v_mov_b32_e32 v99, v95
	v_cndmask_b32_e32 v102, v98, v101, vcc
	v_mov_b32_e32 v101, v97
	v_add_f64 v[99:100], v[99:100], v[101:102]
	v_cmp_lt_f64_e32 vcc, v[91:92], v[99:100]
	v_mov_b32_e32 v91, s0
	s_add_i32 s0, s0, 1
	s_cmp_lg_u32 s3, s0
	v_cndmask_b32_e32 v118, v118, v96, vcc
	v_cndmask_b32_e32 v117, v117, v95, vcc
	;; [unrolled: 1-line block ×5, first 2 shown]
	s_cbranch_scc1 .LBB110_862
.LBB110_863:
	s_waitcnt lgkmcnt(0)
	v_cmp_eq_f64_e32 vcc, 0, v[117:118]
	v_cmp_eq_f64_e64 s[0:1], 0, v[119:120]
	s_and_b64 s[0:1], vcc, s[0:1]
	s_and_saveexec_b64 s[18:19], s[0:1]
	s_xor_b64 s[0:1], exec, s[18:19]
; %bb.864:
	v_cmp_ne_u32_e32 vcc, 0, v94
	v_cndmask_b32_e32 v94, 42, v94, vcc
; %bb.865:
	s_andn2_saveexec_b64 s[0:1], s[0:1]
	s_cbranch_execz .LBB110_871
; %bb.866:
	v_cmp_ngt_f64_e64 s[18:19], |v[117:118]|, |v[119:120]|
	s_and_saveexec_b64 s[20:21], s[18:19]
	s_xor_b64 s[18:19], exec, s[20:21]
	s_cbranch_execz .LBB110_868
; %bb.867:
	v_div_scale_f64 v[90:91], s[20:21], v[119:120], v[119:120], v[117:118]
	v_rcp_f64_e32 v[95:96], v[90:91]
	v_fma_f64 v[97:98], -v[90:91], v[95:96], 1.0
	v_fma_f64 v[95:96], v[95:96], v[97:98], v[95:96]
	v_div_scale_f64 v[97:98], vcc, v[117:118], v[119:120], v[117:118]
	v_fma_f64 v[99:100], -v[90:91], v[95:96], 1.0
	v_fma_f64 v[95:96], v[95:96], v[99:100], v[95:96]
	v_mul_f64 v[99:100], v[97:98], v[95:96]
	v_fma_f64 v[90:91], -v[90:91], v[99:100], v[97:98]
	v_div_fmas_f64 v[90:91], v[90:91], v[95:96], v[99:100]
	v_div_fixup_f64 v[90:91], v[90:91], v[119:120], v[117:118]
	v_fma_f64 v[95:96], v[117:118], v[90:91], v[119:120]
	v_div_scale_f64 v[97:98], s[20:21], v[95:96], v[95:96], 1.0
	v_div_scale_f64 v[103:104], vcc, 1.0, v[95:96], 1.0
	v_rcp_f64_e32 v[99:100], v[97:98]
	v_fma_f64 v[101:102], -v[97:98], v[99:100], 1.0
	v_fma_f64 v[99:100], v[99:100], v[101:102], v[99:100]
	v_fma_f64 v[101:102], -v[97:98], v[99:100], 1.0
	v_fma_f64 v[99:100], v[99:100], v[101:102], v[99:100]
	v_mul_f64 v[101:102], v[103:104], v[99:100]
	v_fma_f64 v[97:98], -v[97:98], v[101:102], v[103:104]
	v_div_fmas_f64 v[97:98], v[97:98], v[99:100], v[101:102]
	v_div_fixup_f64 v[119:120], v[97:98], v[95:96], 1.0
	v_mul_f64 v[117:118], v[90:91], v[119:120]
	v_xor_b32_e32 v120, 0x80000000, v120
.LBB110_868:
	s_andn2_saveexec_b64 s[18:19], s[18:19]
	s_cbranch_execz .LBB110_870
; %bb.869:
	v_div_scale_f64 v[90:91], s[20:21], v[117:118], v[117:118], v[119:120]
	v_rcp_f64_e32 v[95:96], v[90:91]
	v_fma_f64 v[97:98], -v[90:91], v[95:96], 1.0
	v_fma_f64 v[95:96], v[95:96], v[97:98], v[95:96]
	v_div_scale_f64 v[97:98], vcc, v[119:120], v[117:118], v[119:120]
	v_fma_f64 v[99:100], -v[90:91], v[95:96], 1.0
	v_fma_f64 v[95:96], v[95:96], v[99:100], v[95:96]
	v_mul_f64 v[99:100], v[97:98], v[95:96]
	v_fma_f64 v[90:91], -v[90:91], v[99:100], v[97:98]
	v_div_fmas_f64 v[90:91], v[90:91], v[95:96], v[99:100]
	v_div_fixup_f64 v[90:91], v[90:91], v[117:118], v[119:120]
	v_fma_f64 v[95:96], v[119:120], v[90:91], v[117:118]
	v_div_scale_f64 v[97:98], s[20:21], v[95:96], v[95:96], 1.0
	v_div_scale_f64 v[103:104], vcc, 1.0, v[95:96], 1.0
	v_rcp_f64_e32 v[99:100], v[97:98]
	v_fma_f64 v[101:102], -v[97:98], v[99:100], 1.0
	v_fma_f64 v[99:100], v[99:100], v[101:102], v[99:100]
	v_fma_f64 v[101:102], -v[97:98], v[99:100], 1.0
	v_fma_f64 v[99:100], v[99:100], v[101:102], v[99:100]
	v_mul_f64 v[101:102], v[103:104], v[99:100]
	v_fma_f64 v[97:98], -v[97:98], v[101:102], v[103:104]
	v_div_fmas_f64 v[97:98], v[97:98], v[99:100], v[101:102]
	v_div_fixup_f64 v[117:118], v[97:98], v[95:96], 1.0
	v_mul_f64 v[119:120], v[90:91], -v[117:118]
.LBB110_870:
	s_or_b64 exec, exec, s[18:19]
.LBB110_871:
	s_or_b64 exec, exec, s[0:1]
	v_cmp_ne_u32_e32 vcc, v93, v89
	s_and_saveexec_b64 s[0:1], vcc
	s_xor_b64 s[0:1], exec, s[0:1]
	s_cbranch_execz .LBB110_877
; %bb.872:
	v_cmp_eq_u32_e32 vcc, 41, v93
	s_and_saveexec_b64 s[18:19], vcc
	s_cbranch_execz .LBB110_876
; %bb.873:
	v_cmp_ne_u32_e32 vcc, 41, v89
	s_xor_b64 s[20:21], s[6:7], -1
	s_and_b64 s[22:23], s[20:21], vcc
	s_and_saveexec_b64 s[20:21], s[22:23]
	s_cbranch_execz .LBB110_875
; %bb.874:
	buffer_load_dword v81, off, s[24:27], 0 offset:448 ; 4-byte Folded Reload
	buffer_load_dword v82, off, s[24:27], 0 offset:452 ; 4-byte Folded Reload
	v_ashrrev_i32_e32 v90, 31, v89
	v_lshlrev_b64 v[90:91], 2, v[89:90]
	s_waitcnt vmcnt(1)
	v_add_co_u32_e32 v90, vcc, v81, v90
	s_waitcnt vmcnt(0)
	v_addc_co_u32_e32 v91, vcc, v82, v91, vcc
	global_load_dword v92, v[90:91], off
	global_load_dword v93, v[81:82], off offset:164
	s_waitcnt vmcnt(1)
	global_store_dword v[81:82], v92, off offset:164
	v_mov_b32_e32 v81, v105
	v_mov_b32_e32 v82, v106
	;; [unrolled: 1-line block ×4, first 2 shown]
	s_waitcnt vmcnt(1)
	global_store_dword v[90:91], v93, off
.LBB110_875:
	s_or_b64 exec, exec, s[20:21]
	v_mov_b32_e32 v93, v89
	v_mov_b32_e32 v127, v89
.LBB110_876:
	s_or_b64 exec, exec, s[18:19]
.LBB110_877:
	s_andn2_saveexec_b64 s[0:1], s[0:1]
	s_cbranch_execz .LBB110_879
; %bb.878:
	v_mov_b32_e32 v93, 41
	ds_write2_b64 v0, v[49:50], v[51:52] offset0:84 offset1:85
	ds_write2_b64 v0, v[45:46], v[47:48] offset0:86 offset1:87
	ds_write2_b64 v0, v[41:42], v[43:44] offset0:88 offset1:89
	ds_write2_b64 v0, v[37:38], v[39:40] offset0:90 offset1:91
	ds_write2_b64 v0, v[33:34], v[35:36] offset0:92 offset1:93
	ds_write2_b64 v0, v[29:30], v[31:32] offset0:94 offset1:95
	ds_write2_b64 v0, v[25:26], v[27:28] offset0:96 offset1:97
	ds_write2_b64 v0, v[21:22], v[23:24] offset0:98 offset1:99
	ds_write2_b64 v0, v[17:18], v[19:20] offset0:100 offset1:101
	ds_write2_b64 v0, v[13:14], v[15:16] offset0:102 offset1:103
	ds_write2_b64 v0, v[9:10], v[11:12] offset0:104 offset1:105
	ds_write2_b64 v0, v[5:6], v[7:8] offset0:106 offset1:107
	ds_write2_b64 v0, v[1:2], v[3:4] offset0:108 offset1:109
	ds_write2_b64 v0, v[121:122], v[123:124] offset0:110 offset1:111
.LBB110_879:
	s_or_b64 exec, exec, s[0:1]
	v_cmp_lt_i32_e32 vcc, 41, v93
	s_waitcnt vmcnt(0) lgkmcnt(0)
	s_barrier
	s_and_saveexec_b64 s[0:1], vcc
	s_cbranch_execz .LBB110_881
; %bb.880:
	v_mul_f64 v[89:90], v[117:118], v[55:56]
	v_mul_f64 v[55:56], v[119:120], v[55:56]
	ds_read2_b64 v[95:98], v0 offset0:84 offset1:85
	v_fma_f64 v[89:90], v[119:120], v[53:54], v[89:90]
	v_fma_f64 v[53:54], v[117:118], v[53:54], -v[55:56]
	s_waitcnt lgkmcnt(0)
	v_mul_f64 v[55:56], v[97:98], v[89:90]
	v_mul_f64 v[91:92], v[95:96], v[89:90]
	v_fma_f64 v[55:56], v[95:96], v[53:54], -v[55:56]
	v_fma_f64 v[91:92], v[97:98], v[53:54], v[91:92]
	ds_read2_b64 v[95:98], v0 offset0:86 offset1:87
	v_add_f64 v[49:50], v[49:50], -v[55:56]
	v_add_f64 v[51:52], v[51:52], -v[91:92]
	s_waitcnt lgkmcnt(0)
	v_mul_f64 v[55:56], v[97:98], v[89:90]
	v_mul_f64 v[91:92], v[95:96], v[89:90]
	v_fma_f64 v[55:56], v[95:96], v[53:54], -v[55:56]
	v_fma_f64 v[91:92], v[97:98], v[53:54], v[91:92]
	ds_read2_b64 v[95:98], v0 offset0:88 offset1:89
	v_add_f64 v[45:46], v[45:46], -v[55:56]
	v_add_f64 v[47:48], v[47:48], -v[91:92]
	s_waitcnt lgkmcnt(0)
	v_mul_f64 v[55:56], v[97:98], v[89:90]
	v_mul_f64 v[91:92], v[95:96], v[89:90]
	v_fma_f64 v[55:56], v[95:96], v[53:54], -v[55:56]
	v_fma_f64 v[91:92], v[97:98], v[53:54], v[91:92]
	ds_read2_b64 v[95:98], v0 offset0:90 offset1:91
	v_add_f64 v[41:42], v[41:42], -v[55:56]
	v_add_f64 v[43:44], v[43:44], -v[91:92]
	s_waitcnt lgkmcnt(0)
	v_mul_f64 v[55:56], v[97:98], v[89:90]
	v_mul_f64 v[91:92], v[95:96], v[89:90]
	v_fma_f64 v[55:56], v[95:96], v[53:54], -v[55:56]
	v_fma_f64 v[91:92], v[97:98], v[53:54], v[91:92]
	ds_read2_b64 v[95:98], v0 offset0:92 offset1:93
	v_add_f64 v[37:38], v[37:38], -v[55:56]
	v_add_f64 v[39:40], v[39:40], -v[91:92]
	s_waitcnt lgkmcnt(0)
	v_mul_f64 v[55:56], v[97:98], v[89:90]
	v_mul_f64 v[91:92], v[95:96], v[89:90]
	v_fma_f64 v[55:56], v[95:96], v[53:54], -v[55:56]
	v_fma_f64 v[91:92], v[97:98], v[53:54], v[91:92]
	ds_read2_b64 v[95:98], v0 offset0:94 offset1:95
	v_add_f64 v[33:34], v[33:34], -v[55:56]
	v_add_f64 v[35:36], v[35:36], -v[91:92]
	s_waitcnt lgkmcnt(0)
	v_mul_f64 v[55:56], v[97:98], v[89:90]
	v_mul_f64 v[91:92], v[95:96], v[89:90]
	v_fma_f64 v[55:56], v[95:96], v[53:54], -v[55:56]
	v_fma_f64 v[91:92], v[97:98], v[53:54], v[91:92]
	ds_read2_b64 v[95:98], v0 offset0:96 offset1:97
	v_add_f64 v[29:30], v[29:30], -v[55:56]
	v_add_f64 v[31:32], v[31:32], -v[91:92]
	s_waitcnt lgkmcnt(0)
	v_mul_f64 v[55:56], v[97:98], v[89:90]
	v_mul_f64 v[91:92], v[95:96], v[89:90]
	v_fma_f64 v[55:56], v[95:96], v[53:54], -v[55:56]
	v_fma_f64 v[91:92], v[97:98], v[53:54], v[91:92]
	ds_read2_b64 v[95:98], v0 offset0:98 offset1:99
	v_add_f64 v[25:26], v[25:26], -v[55:56]
	v_add_f64 v[27:28], v[27:28], -v[91:92]
	s_waitcnt lgkmcnt(0)
	v_mul_f64 v[55:56], v[97:98], v[89:90]
	v_mul_f64 v[91:92], v[95:96], v[89:90]
	v_fma_f64 v[55:56], v[95:96], v[53:54], -v[55:56]
	v_fma_f64 v[91:92], v[97:98], v[53:54], v[91:92]
	ds_read2_b64 v[95:98], v0 offset0:100 offset1:101
	v_add_f64 v[21:22], v[21:22], -v[55:56]
	v_add_f64 v[23:24], v[23:24], -v[91:92]
	s_waitcnt lgkmcnt(0)
	v_mul_f64 v[55:56], v[97:98], v[89:90]
	v_mul_f64 v[91:92], v[95:96], v[89:90]
	v_fma_f64 v[55:56], v[95:96], v[53:54], -v[55:56]
	v_fma_f64 v[91:92], v[97:98], v[53:54], v[91:92]
	ds_read2_b64 v[95:98], v0 offset0:102 offset1:103
	v_add_f64 v[17:18], v[17:18], -v[55:56]
	v_add_f64 v[19:20], v[19:20], -v[91:92]
	s_waitcnt lgkmcnt(0)
	v_mul_f64 v[55:56], v[97:98], v[89:90]
	v_mul_f64 v[91:92], v[95:96], v[89:90]
	v_fma_f64 v[55:56], v[95:96], v[53:54], -v[55:56]
	v_fma_f64 v[91:92], v[97:98], v[53:54], v[91:92]
	ds_read2_b64 v[95:98], v0 offset0:104 offset1:105
	v_add_f64 v[13:14], v[13:14], -v[55:56]
	v_add_f64 v[15:16], v[15:16], -v[91:92]
	s_waitcnt lgkmcnt(0)
	v_mul_f64 v[55:56], v[97:98], v[89:90]
	v_mul_f64 v[91:92], v[95:96], v[89:90]
	v_fma_f64 v[55:56], v[95:96], v[53:54], -v[55:56]
	v_fma_f64 v[91:92], v[97:98], v[53:54], v[91:92]
	ds_read2_b64 v[95:98], v0 offset0:106 offset1:107
	v_add_f64 v[9:10], v[9:10], -v[55:56]
	v_add_f64 v[11:12], v[11:12], -v[91:92]
	s_waitcnt lgkmcnt(0)
	v_mul_f64 v[55:56], v[97:98], v[89:90]
	v_mul_f64 v[91:92], v[95:96], v[89:90]
	v_fma_f64 v[55:56], v[95:96], v[53:54], -v[55:56]
	v_fma_f64 v[91:92], v[97:98], v[53:54], v[91:92]
	ds_read2_b64 v[95:98], v0 offset0:108 offset1:109
	v_add_f64 v[5:6], v[5:6], -v[55:56]
	v_add_f64 v[7:8], v[7:8], -v[91:92]
	s_waitcnt lgkmcnt(0)
	v_mul_f64 v[55:56], v[97:98], v[89:90]
	v_mul_f64 v[91:92], v[95:96], v[89:90]
	v_fma_f64 v[55:56], v[95:96], v[53:54], -v[55:56]
	v_fma_f64 v[91:92], v[97:98], v[53:54], v[91:92]
	ds_read2_b64 v[95:98], v0 offset0:110 offset1:111
	v_add_f64 v[1:2], v[1:2], -v[55:56]
	v_add_f64 v[3:4], v[3:4], -v[91:92]
	s_waitcnt lgkmcnt(0)
	v_mul_f64 v[55:56], v[97:98], v[89:90]
	v_mul_f64 v[91:92], v[95:96], v[89:90]
	v_fma_f64 v[55:56], v[95:96], v[53:54], -v[55:56]
	v_fma_f64 v[91:92], v[97:98], v[53:54], v[91:92]
	v_add_f64 v[121:122], v[121:122], -v[55:56]
	v_add_f64 v[123:124], v[123:124], -v[91:92]
	v_mov_b32_e32 v55, v89
	v_mov_b32_e32 v56, v90
.LBB110_881:
	s_or_b64 exec, exec, s[0:1]
	v_lshl_add_u32 v89, v93, 4, v0
	s_barrier
	ds_write2_b64 v89, v[49:50], v[51:52] offset1:1
	s_waitcnt lgkmcnt(0)
	s_barrier
	ds_read2_b64 v[117:120], v0 offset0:84 offset1:85
	s_cmp_lt_i32 s3, 44
	v_mov_b32_e32 v89, 42
	s_cbranch_scc1 .LBB110_884
; %bb.882:
	v_add_u32_e32 v90, 0x2b0, v0
	s_mov_b32 s0, 43
	v_mov_b32_e32 v89, 42
.LBB110_883:                            ; =>This Inner Loop Header: Depth=1
	s_waitcnt lgkmcnt(0)
	v_cmp_gt_f64_e32 vcc, 0, v[117:118]
	v_xor_b32_e32 v91, 0x80000000, v118
	ds_read2_b64 v[95:98], v90 offset1:1
	v_xor_b32_e32 v99, 0x80000000, v120
	v_add_u32_e32 v90, 16, v90
	s_waitcnt lgkmcnt(0)
	v_xor_b32_e32 v101, 0x80000000, v98
	v_cndmask_b32_e32 v92, v118, v91, vcc
	v_cmp_gt_f64_e32 vcc, 0, v[119:120]
	v_mov_b32_e32 v91, v117
	v_cndmask_b32_e32 v100, v120, v99, vcc
	v_cmp_gt_f64_e32 vcc, 0, v[95:96]
	v_mov_b32_e32 v99, v119
	v_add_f64 v[91:92], v[91:92], v[99:100]
	v_xor_b32_e32 v99, 0x80000000, v96
	v_cndmask_b32_e32 v100, v96, v99, vcc
	v_cmp_gt_f64_e32 vcc, 0, v[97:98]
	v_mov_b32_e32 v99, v95
	v_cndmask_b32_e32 v102, v98, v101, vcc
	v_mov_b32_e32 v101, v97
	v_add_f64 v[99:100], v[99:100], v[101:102]
	v_cmp_lt_f64_e32 vcc, v[91:92], v[99:100]
	v_mov_b32_e32 v91, s0
	s_add_i32 s0, s0, 1
	s_cmp_lg_u32 s3, s0
	v_cndmask_b32_e32 v118, v118, v96, vcc
	v_cndmask_b32_e32 v117, v117, v95, vcc
	;; [unrolled: 1-line block ×5, first 2 shown]
	s_cbranch_scc1 .LBB110_883
.LBB110_884:
	s_waitcnt lgkmcnt(0)
	v_cmp_eq_f64_e32 vcc, 0, v[117:118]
	v_cmp_eq_f64_e64 s[0:1], 0, v[119:120]
	s_and_b64 s[0:1], vcc, s[0:1]
	s_and_saveexec_b64 s[18:19], s[0:1]
	s_xor_b64 s[0:1], exec, s[18:19]
; %bb.885:
	v_cmp_ne_u32_e32 vcc, 0, v94
	v_cndmask_b32_e32 v94, 43, v94, vcc
; %bb.886:
	s_andn2_saveexec_b64 s[0:1], s[0:1]
	s_cbranch_execz .LBB110_892
; %bb.887:
	v_cmp_ngt_f64_e64 s[18:19], |v[117:118]|, |v[119:120]|
	s_and_saveexec_b64 s[20:21], s[18:19]
	s_xor_b64 s[18:19], exec, s[20:21]
	s_cbranch_execz .LBB110_889
; %bb.888:
	v_div_scale_f64 v[90:91], s[20:21], v[119:120], v[119:120], v[117:118]
	v_rcp_f64_e32 v[95:96], v[90:91]
	v_fma_f64 v[97:98], -v[90:91], v[95:96], 1.0
	v_fma_f64 v[95:96], v[95:96], v[97:98], v[95:96]
	v_div_scale_f64 v[97:98], vcc, v[117:118], v[119:120], v[117:118]
	v_fma_f64 v[99:100], -v[90:91], v[95:96], 1.0
	v_fma_f64 v[95:96], v[95:96], v[99:100], v[95:96]
	v_mul_f64 v[99:100], v[97:98], v[95:96]
	v_fma_f64 v[90:91], -v[90:91], v[99:100], v[97:98]
	v_div_fmas_f64 v[90:91], v[90:91], v[95:96], v[99:100]
	v_div_fixup_f64 v[90:91], v[90:91], v[119:120], v[117:118]
	v_fma_f64 v[95:96], v[117:118], v[90:91], v[119:120]
	v_div_scale_f64 v[97:98], s[20:21], v[95:96], v[95:96], 1.0
	v_div_scale_f64 v[103:104], vcc, 1.0, v[95:96], 1.0
	v_rcp_f64_e32 v[99:100], v[97:98]
	v_fma_f64 v[101:102], -v[97:98], v[99:100], 1.0
	v_fma_f64 v[99:100], v[99:100], v[101:102], v[99:100]
	v_fma_f64 v[101:102], -v[97:98], v[99:100], 1.0
	v_fma_f64 v[99:100], v[99:100], v[101:102], v[99:100]
	v_mul_f64 v[101:102], v[103:104], v[99:100]
	v_fma_f64 v[97:98], -v[97:98], v[101:102], v[103:104]
	v_div_fmas_f64 v[97:98], v[97:98], v[99:100], v[101:102]
	v_div_fixup_f64 v[119:120], v[97:98], v[95:96], 1.0
	v_mul_f64 v[117:118], v[90:91], v[119:120]
	v_xor_b32_e32 v120, 0x80000000, v120
.LBB110_889:
	s_andn2_saveexec_b64 s[18:19], s[18:19]
	s_cbranch_execz .LBB110_891
; %bb.890:
	v_div_scale_f64 v[90:91], s[20:21], v[117:118], v[117:118], v[119:120]
	v_rcp_f64_e32 v[95:96], v[90:91]
	v_fma_f64 v[97:98], -v[90:91], v[95:96], 1.0
	v_fma_f64 v[95:96], v[95:96], v[97:98], v[95:96]
	v_div_scale_f64 v[97:98], vcc, v[119:120], v[117:118], v[119:120]
	v_fma_f64 v[99:100], -v[90:91], v[95:96], 1.0
	v_fma_f64 v[95:96], v[95:96], v[99:100], v[95:96]
	v_mul_f64 v[99:100], v[97:98], v[95:96]
	v_fma_f64 v[90:91], -v[90:91], v[99:100], v[97:98]
	v_div_fmas_f64 v[90:91], v[90:91], v[95:96], v[99:100]
	v_div_fixup_f64 v[90:91], v[90:91], v[117:118], v[119:120]
	v_fma_f64 v[95:96], v[119:120], v[90:91], v[117:118]
	v_div_scale_f64 v[97:98], s[20:21], v[95:96], v[95:96], 1.0
	v_div_scale_f64 v[103:104], vcc, 1.0, v[95:96], 1.0
	v_rcp_f64_e32 v[99:100], v[97:98]
	v_fma_f64 v[101:102], -v[97:98], v[99:100], 1.0
	v_fma_f64 v[99:100], v[99:100], v[101:102], v[99:100]
	v_fma_f64 v[101:102], -v[97:98], v[99:100], 1.0
	v_fma_f64 v[99:100], v[99:100], v[101:102], v[99:100]
	v_mul_f64 v[101:102], v[103:104], v[99:100]
	v_fma_f64 v[97:98], -v[97:98], v[101:102], v[103:104]
	v_div_fmas_f64 v[97:98], v[97:98], v[99:100], v[101:102]
	v_div_fixup_f64 v[117:118], v[97:98], v[95:96], 1.0
	v_mul_f64 v[119:120], v[90:91], -v[117:118]
.LBB110_891:
	s_or_b64 exec, exec, s[18:19]
.LBB110_892:
	s_or_b64 exec, exec, s[0:1]
	v_cmp_ne_u32_e32 vcc, v93, v89
	s_and_saveexec_b64 s[0:1], vcc
	s_xor_b64 s[0:1], exec, s[0:1]
	s_cbranch_execz .LBB110_898
; %bb.893:
	v_cmp_eq_u32_e32 vcc, 42, v93
	s_and_saveexec_b64 s[18:19], vcc
	s_cbranch_execz .LBB110_897
; %bb.894:
	v_cmp_ne_u32_e32 vcc, 42, v89
	s_xor_b64 s[20:21], s[6:7], -1
	s_and_b64 s[22:23], s[20:21], vcc
	s_and_saveexec_b64 s[20:21], s[22:23]
	s_cbranch_execz .LBB110_896
; %bb.895:
	buffer_load_dword v81, off, s[24:27], 0 offset:448 ; 4-byte Folded Reload
	buffer_load_dword v82, off, s[24:27], 0 offset:452 ; 4-byte Folded Reload
	v_ashrrev_i32_e32 v90, 31, v89
	v_lshlrev_b64 v[90:91], 2, v[89:90]
	s_waitcnt vmcnt(1)
	v_add_co_u32_e32 v90, vcc, v81, v90
	s_waitcnt vmcnt(0)
	v_addc_co_u32_e32 v91, vcc, v82, v91, vcc
	global_load_dword v92, v[90:91], off
	global_load_dword v93, v[81:82], off offset:168
	s_waitcnt vmcnt(1)
	global_store_dword v[81:82], v92, off offset:168
	v_mov_b32_e32 v81, v105
	v_mov_b32_e32 v82, v106
	;; [unrolled: 1-line block ×4, first 2 shown]
	s_waitcnt vmcnt(1)
	global_store_dword v[90:91], v93, off
.LBB110_896:
	s_or_b64 exec, exec, s[20:21]
	v_mov_b32_e32 v93, v89
	v_mov_b32_e32 v127, v89
.LBB110_897:
	s_or_b64 exec, exec, s[18:19]
.LBB110_898:
	s_andn2_saveexec_b64 s[0:1], s[0:1]
	s_cbranch_execz .LBB110_900
; %bb.899:
	v_mov_b32_e32 v93, 42
	ds_write2_b64 v0, v[45:46], v[47:48] offset0:86 offset1:87
	ds_write2_b64 v0, v[41:42], v[43:44] offset0:88 offset1:89
	;; [unrolled: 1-line block ×13, first 2 shown]
.LBB110_900:
	s_or_b64 exec, exec, s[0:1]
	v_cmp_lt_i32_e32 vcc, 42, v93
	s_waitcnt vmcnt(0) lgkmcnt(0)
	s_barrier
	s_and_saveexec_b64 s[0:1], vcc
	s_cbranch_execz .LBB110_902
; %bb.901:
	v_mul_f64 v[89:90], v[117:118], v[51:52]
	v_mul_f64 v[51:52], v[119:120], v[51:52]
	ds_read2_b64 v[95:98], v0 offset0:86 offset1:87
	v_fma_f64 v[89:90], v[119:120], v[49:50], v[89:90]
	v_fma_f64 v[49:50], v[117:118], v[49:50], -v[51:52]
	s_waitcnt lgkmcnt(0)
	v_mul_f64 v[51:52], v[97:98], v[89:90]
	v_mul_f64 v[91:92], v[95:96], v[89:90]
	v_fma_f64 v[51:52], v[95:96], v[49:50], -v[51:52]
	v_fma_f64 v[91:92], v[97:98], v[49:50], v[91:92]
	ds_read2_b64 v[95:98], v0 offset0:88 offset1:89
	v_add_f64 v[45:46], v[45:46], -v[51:52]
	v_add_f64 v[47:48], v[47:48], -v[91:92]
	s_waitcnt lgkmcnt(0)
	v_mul_f64 v[51:52], v[97:98], v[89:90]
	v_mul_f64 v[91:92], v[95:96], v[89:90]
	v_fma_f64 v[51:52], v[95:96], v[49:50], -v[51:52]
	v_fma_f64 v[91:92], v[97:98], v[49:50], v[91:92]
	ds_read2_b64 v[95:98], v0 offset0:90 offset1:91
	v_add_f64 v[41:42], v[41:42], -v[51:52]
	v_add_f64 v[43:44], v[43:44], -v[91:92]
	;; [unrolled: 8-line block ×12, first 2 shown]
	s_waitcnt lgkmcnt(0)
	v_mul_f64 v[51:52], v[97:98], v[89:90]
	v_mul_f64 v[91:92], v[95:96], v[89:90]
	v_fma_f64 v[51:52], v[95:96], v[49:50], -v[51:52]
	v_fma_f64 v[91:92], v[97:98], v[49:50], v[91:92]
	v_add_f64 v[121:122], v[121:122], -v[51:52]
	v_add_f64 v[123:124], v[123:124], -v[91:92]
	v_mov_b32_e32 v51, v89
	v_mov_b32_e32 v52, v90
.LBB110_902:
	s_or_b64 exec, exec, s[0:1]
	v_lshl_add_u32 v89, v93, 4, v0
	s_barrier
	ds_write2_b64 v89, v[45:46], v[47:48] offset1:1
	s_waitcnt lgkmcnt(0)
	s_barrier
	ds_read2_b64 v[117:120], v0 offset0:86 offset1:87
	s_cmp_lt_i32 s3, 45
	v_mov_b32_e32 v89, 43
	s_cbranch_scc1 .LBB110_905
; %bb.903:
	v_add_u32_e32 v90, 0x2c0, v0
	s_mov_b32 s0, 44
	v_mov_b32_e32 v89, 43
.LBB110_904:                            ; =>This Inner Loop Header: Depth=1
	s_waitcnt lgkmcnt(0)
	v_cmp_gt_f64_e32 vcc, 0, v[117:118]
	v_xor_b32_e32 v91, 0x80000000, v118
	ds_read2_b64 v[95:98], v90 offset1:1
	v_xor_b32_e32 v99, 0x80000000, v120
	v_add_u32_e32 v90, 16, v90
	s_waitcnt lgkmcnt(0)
	v_xor_b32_e32 v101, 0x80000000, v98
	v_cndmask_b32_e32 v92, v118, v91, vcc
	v_cmp_gt_f64_e32 vcc, 0, v[119:120]
	v_mov_b32_e32 v91, v117
	v_cndmask_b32_e32 v100, v120, v99, vcc
	v_cmp_gt_f64_e32 vcc, 0, v[95:96]
	v_mov_b32_e32 v99, v119
	v_add_f64 v[91:92], v[91:92], v[99:100]
	v_xor_b32_e32 v99, 0x80000000, v96
	v_cndmask_b32_e32 v100, v96, v99, vcc
	v_cmp_gt_f64_e32 vcc, 0, v[97:98]
	v_mov_b32_e32 v99, v95
	v_cndmask_b32_e32 v102, v98, v101, vcc
	v_mov_b32_e32 v101, v97
	v_add_f64 v[99:100], v[99:100], v[101:102]
	v_cmp_lt_f64_e32 vcc, v[91:92], v[99:100]
	v_mov_b32_e32 v91, s0
	s_add_i32 s0, s0, 1
	s_cmp_lg_u32 s3, s0
	v_cndmask_b32_e32 v118, v118, v96, vcc
	v_cndmask_b32_e32 v117, v117, v95, vcc
	;; [unrolled: 1-line block ×5, first 2 shown]
	s_cbranch_scc1 .LBB110_904
.LBB110_905:
	s_waitcnt lgkmcnt(0)
	v_cmp_eq_f64_e32 vcc, 0, v[117:118]
	v_cmp_eq_f64_e64 s[0:1], 0, v[119:120]
	s_and_b64 s[0:1], vcc, s[0:1]
	s_and_saveexec_b64 s[18:19], s[0:1]
	s_xor_b64 s[0:1], exec, s[18:19]
; %bb.906:
	v_cmp_ne_u32_e32 vcc, 0, v94
	v_cndmask_b32_e32 v94, 44, v94, vcc
; %bb.907:
	s_andn2_saveexec_b64 s[0:1], s[0:1]
	s_cbranch_execz .LBB110_913
; %bb.908:
	v_cmp_ngt_f64_e64 s[18:19], |v[117:118]|, |v[119:120]|
	s_and_saveexec_b64 s[20:21], s[18:19]
	s_xor_b64 s[18:19], exec, s[20:21]
	s_cbranch_execz .LBB110_910
; %bb.909:
	v_div_scale_f64 v[90:91], s[20:21], v[119:120], v[119:120], v[117:118]
	v_rcp_f64_e32 v[95:96], v[90:91]
	v_fma_f64 v[97:98], -v[90:91], v[95:96], 1.0
	v_fma_f64 v[95:96], v[95:96], v[97:98], v[95:96]
	v_div_scale_f64 v[97:98], vcc, v[117:118], v[119:120], v[117:118]
	v_fma_f64 v[99:100], -v[90:91], v[95:96], 1.0
	v_fma_f64 v[95:96], v[95:96], v[99:100], v[95:96]
	v_mul_f64 v[99:100], v[97:98], v[95:96]
	v_fma_f64 v[90:91], -v[90:91], v[99:100], v[97:98]
	v_div_fmas_f64 v[90:91], v[90:91], v[95:96], v[99:100]
	v_div_fixup_f64 v[90:91], v[90:91], v[119:120], v[117:118]
	v_fma_f64 v[95:96], v[117:118], v[90:91], v[119:120]
	v_div_scale_f64 v[97:98], s[20:21], v[95:96], v[95:96], 1.0
	v_div_scale_f64 v[103:104], vcc, 1.0, v[95:96], 1.0
	v_rcp_f64_e32 v[99:100], v[97:98]
	v_fma_f64 v[101:102], -v[97:98], v[99:100], 1.0
	v_fma_f64 v[99:100], v[99:100], v[101:102], v[99:100]
	v_fma_f64 v[101:102], -v[97:98], v[99:100], 1.0
	v_fma_f64 v[99:100], v[99:100], v[101:102], v[99:100]
	v_mul_f64 v[101:102], v[103:104], v[99:100]
	v_fma_f64 v[97:98], -v[97:98], v[101:102], v[103:104]
	v_div_fmas_f64 v[97:98], v[97:98], v[99:100], v[101:102]
	v_div_fixup_f64 v[119:120], v[97:98], v[95:96], 1.0
	v_mul_f64 v[117:118], v[90:91], v[119:120]
	v_xor_b32_e32 v120, 0x80000000, v120
.LBB110_910:
	s_andn2_saveexec_b64 s[18:19], s[18:19]
	s_cbranch_execz .LBB110_912
; %bb.911:
	v_div_scale_f64 v[90:91], s[20:21], v[117:118], v[117:118], v[119:120]
	v_rcp_f64_e32 v[95:96], v[90:91]
	v_fma_f64 v[97:98], -v[90:91], v[95:96], 1.0
	v_fma_f64 v[95:96], v[95:96], v[97:98], v[95:96]
	v_div_scale_f64 v[97:98], vcc, v[119:120], v[117:118], v[119:120]
	v_fma_f64 v[99:100], -v[90:91], v[95:96], 1.0
	v_fma_f64 v[95:96], v[95:96], v[99:100], v[95:96]
	v_mul_f64 v[99:100], v[97:98], v[95:96]
	v_fma_f64 v[90:91], -v[90:91], v[99:100], v[97:98]
	v_div_fmas_f64 v[90:91], v[90:91], v[95:96], v[99:100]
	v_div_fixup_f64 v[90:91], v[90:91], v[117:118], v[119:120]
	v_fma_f64 v[95:96], v[119:120], v[90:91], v[117:118]
	v_div_scale_f64 v[97:98], s[20:21], v[95:96], v[95:96], 1.0
	v_div_scale_f64 v[103:104], vcc, 1.0, v[95:96], 1.0
	v_rcp_f64_e32 v[99:100], v[97:98]
	v_fma_f64 v[101:102], -v[97:98], v[99:100], 1.0
	v_fma_f64 v[99:100], v[99:100], v[101:102], v[99:100]
	v_fma_f64 v[101:102], -v[97:98], v[99:100], 1.0
	v_fma_f64 v[99:100], v[99:100], v[101:102], v[99:100]
	v_mul_f64 v[101:102], v[103:104], v[99:100]
	v_fma_f64 v[97:98], -v[97:98], v[101:102], v[103:104]
	v_div_fmas_f64 v[97:98], v[97:98], v[99:100], v[101:102]
	v_div_fixup_f64 v[117:118], v[97:98], v[95:96], 1.0
	v_mul_f64 v[119:120], v[90:91], -v[117:118]
.LBB110_912:
	s_or_b64 exec, exec, s[18:19]
.LBB110_913:
	s_or_b64 exec, exec, s[0:1]
	v_cmp_ne_u32_e32 vcc, v93, v89
	s_and_saveexec_b64 s[0:1], vcc
	s_xor_b64 s[0:1], exec, s[0:1]
	s_cbranch_execz .LBB110_919
; %bb.914:
	v_cmp_eq_u32_e32 vcc, 43, v93
	s_and_saveexec_b64 s[18:19], vcc
	s_cbranch_execz .LBB110_918
; %bb.915:
	v_cmp_ne_u32_e32 vcc, 43, v89
	s_xor_b64 s[20:21], s[6:7], -1
	s_and_b64 s[22:23], s[20:21], vcc
	s_and_saveexec_b64 s[20:21], s[22:23]
	s_cbranch_execz .LBB110_917
; %bb.916:
	buffer_load_dword v81, off, s[24:27], 0 offset:448 ; 4-byte Folded Reload
	buffer_load_dword v82, off, s[24:27], 0 offset:452 ; 4-byte Folded Reload
	v_ashrrev_i32_e32 v90, 31, v89
	v_lshlrev_b64 v[90:91], 2, v[89:90]
	s_waitcnt vmcnt(1)
	v_add_co_u32_e32 v90, vcc, v81, v90
	s_waitcnt vmcnt(0)
	v_addc_co_u32_e32 v91, vcc, v82, v91, vcc
	global_load_dword v92, v[90:91], off
	global_load_dword v93, v[81:82], off offset:172
	s_waitcnt vmcnt(1)
	global_store_dword v[81:82], v92, off offset:172
	v_mov_b32_e32 v81, v105
	v_mov_b32_e32 v82, v106
	;; [unrolled: 1-line block ×4, first 2 shown]
	s_waitcnt vmcnt(1)
	global_store_dword v[90:91], v93, off
.LBB110_917:
	s_or_b64 exec, exec, s[20:21]
	v_mov_b32_e32 v93, v89
	v_mov_b32_e32 v127, v89
.LBB110_918:
	s_or_b64 exec, exec, s[18:19]
.LBB110_919:
	s_andn2_saveexec_b64 s[0:1], s[0:1]
	s_cbranch_execz .LBB110_921
; %bb.920:
	v_mov_b32_e32 v93, 43
	ds_write2_b64 v0, v[41:42], v[43:44] offset0:88 offset1:89
	ds_write2_b64 v0, v[37:38], v[39:40] offset0:90 offset1:91
	ds_write2_b64 v0, v[33:34], v[35:36] offset0:92 offset1:93
	ds_write2_b64 v0, v[29:30], v[31:32] offset0:94 offset1:95
	ds_write2_b64 v0, v[25:26], v[27:28] offset0:96 offset1:97
	ds_write2_b64 v0, v[21:22], v[23:24] offset0:98 offset1:99
	ds_write2_b64 v0, v[17:18], v[19:20] offset0:100 offset1:101
	ds_write2_b64 v0, v[13:14], v[15:16] offset0:102 offset1:103
	ds_write2_b64 v0, v[9:10], v[11:12] offset0:104 offset1:105
	ds_write2_b64 v0, v[5:6], v[7:8] offset0:106 offset1:107
	ds_write2_b64 v0, v[1:2], v[3:4] offset0:108 offset1:109
	ds_write2_b64 v0, v[121:122], v[123:124] offset0:110 offset1:111
.LBB110_921:
	s_or_b64 exec, exec, s[0:1]
	v_cmp_lt_i32_e32 vcc, 43, v93
	s_waitcnt vmcnt(0) lgkmcnt(0)
	s_barrier
	s_and_saveexec_b64 s[0:1], vcc
	s_cbranch_execz .LBB110_923
; %bb.922:
	v_mul_f64 v[89:90], v[117:118], v[47:48]
	v_mul_f64 v[47:48], v[119:120], v[47:48]
	ds_read2_b64 v[95:98], v0 offset0:88 offset1:89
	v_fma_f64 v[89:90], v[119:120], v[45:46], v[89:90]
	v_fma_f64 v[45:46], v[117:118], v[45:46], -v[47:48]
	s_waitcnt lgkmcnt(0)
	v_mul_f64 v[47:48], v[97:98], v[89:90]
	v_mul_f64 v[91:92], v[95:96], v[89:90]
	v_fma_f64 v[47:48], v[95:96], v[45:46], -v[47:48]
	v_fma_f64 v[91:92], v[97:98], v[45:46], v[91:92]
	ds_read2_b64 v[95:98], v0 offset0:90 offset1:91
	v_add_f64 v[41:42], v[41:42], -v[47:48]
	v_add_f64 v[43:44], v[43:44], -v[91:92]
	s_waitcnt lgkmcnt(0)
	v_mul_f64 v[47:48], v[97:98], v[89:90]
	v_mul_f64 v[91:92], v[95:96], v[89:90]
	v_fma_f64 v[47:48], v[95:96], v[45:46], -v[47:48]
	v_fma_f64 v[91:92], v[97:98], v[45:46], v[91:92]
	ds_read2_b64 v[95:98], v0 offset0:92 offset1:93
	v_add_f64 v[37:38], v[37:38], -v[47:48]
	v_add_f64 v[39:40], v[39:40], -v[91:92]
	;; [unrolled: 8-line block ×11, first 2 shown]
	s_waitcnt lgkmcnt(0)
	v_mul_f64 v[47:48], v[97:98], v[89:90]
	v_mul_f64 v[91:92], v[95:96], v[89:90]
	v_fma_f64 v[47:48], v[95:96], v[45:46], -v[47:48]
	v_fma_f64 v[91:92], v[97:98], v[45:46], v[91:92]
	v_add_f64 v[121:122], v[121:122], -v[47:48]
	v_add_f64 v[123:124], v[123:124], -v[91:92]
	v_mov_b32_e32 v47, v89
	v_mov_b32_e32 v48, v90
.LBB110_923:
	s_or_b64 exec, exec, s[0:1]
	v_lshl_add_u32 v89, v93, 4, v0
	s_barrier
	ds_write2_b64 v89, v[41:42], v[43:44] offset1:1
	s_waitcnt lgkmcnt(0)
	s_barrier
	ds_read2_b64 v[117:120], v0 offset0:88 offset1:89
	s_cmp_lt_i32 s3, 46
	v_mov_b32_e32 v89, 44
	s_cbranch_scc1 .LBB110_926
; %bb.924:
	v_add_u32_e32 v90, 0x2d0, v0
	s_mov_b32 s0, 45
	v_mov_b32_e32 v89, 44
.LBB110_925:                            ; =>This Inner Loop Header: Depth=1
	s_waitcnt lgkmcnt(0)
	v_cmp_gt_f64_e32 vcc, 0, v[117:118]
	v_xor_b32_e32 v91, 0x80000000, v118
	ds_read2_b64 v[95:98], v90 offset1:1
	v_xor_b32_e32 v99, 0x80000000, v120
	v_add_u32_e32 v90, 16, v90
	s_waitcnt lgkmcnt(0)
	v_xor_b32_e32 v101, 0x80000000, v98
	v_cndmask_b32_e32 v92, v118, v91, vcc
	v_cmp_gt_f64_e32 vcc, 0, v[119:120]
	v_mov_b32_e32 v91, v117
	v_cndmask_b32_e32 v100, v120, v99, vcc
	v_cmp_gt_f64_e32 vcc, 0, v[95:96]
	v_mov_b32_e32 v99, v119
	v_add_f64 v[91:92], v[91:92], v[99:100]
	v_xor_b32_e32 v99, 0x80000000, v96
	v_cndmask_b32_e32 v100, v96, v99, vcc
	v_cmp_gt_f64_e32 vcc, 0, v[97:98]
	v_mov_b32_e32 v99, v95
	v_cndmask_b32_e32 v102, v98, v101, vcc
	v_mov_b32_e32 v101, v97
	v_add_f64 v[99:100], v[99:100], v[101:102]
	v_cmp_lt_f64_e32 vcc, v[91:92], v[99:100]
	v_mov_b32_e32 v91, s0
	s_add_i32 s0, s0, 1
	s_cmp_lg_u32 s3, s0
	v_cndmask_b32_e32 v118, v118, v96, vcc
	v_cndmask_b32_e32 v117, v117, v95, vcc
	;; [unrolled: 1-line block ×5, first 2 shown]
	s_cbranch_scc1 .LBB110_925
.LBB110_926:
	s_waitcnt lgkmcnt(0)
	v_cmp_eq_f64_e32 vcc, 0, v[117:118]
	v_cmp_eq_f64_e64 s[0:1], 0, v[119:120]
	s_and_b64 s[0:1], vcc, s[0:1]
	s_and_saveexec_b64 s[18:19], s[0:1]
	s_xor_b64 s[0:1], exec, s[18:19]
; %bb.927:
	v_cmp_ne_u32_e32 vcc, 0, v94
	v_cndmask_b32_e32 v94, 45, v94, vcc
; %bb.928:
	s_andn2_saveexec_b64 s[0:1], s[0:1]
	s_cbranch_execz .LBB110_934
; %bb.929:
	v_cmp_ngt_f64_e64 s[18:19], |v[117:118]|, |v[119:120]|
	s_and_saveexec_b64 s[20:21], s[18:19]
	s_xor_b64 s[18:19], exec, s[20:21]
	s_cbranch_execz .LBB110_931
; %bb.930:
	v_div_scale_f64 v[90:91], s[20:21], v[119:120], v[119:120], v[117:118]
	v_rcp_f64_e32 v[95:96], v[90:91]
	v_fma_f64 v[97:98], -v[90:91], v[95:96], 1.0
	v_fma_f64 v[95:96], v[95:96], v[97:98], v[95:96]
	v_div_scale_f64 v[97:98], vcc, v[117:118], v[119:120], v[117:118]
	v_fma_f64 v[99:100], -v[90:91], v[95:96], 1.0
	v_fma_f64 v[95:96], v[95:96], v[99:100], v[95:96]
	v_mul_f64 v[99:100], v[97:98], v[95:96]
	v_fma_f64 v[90:91], -v[90:91], v[99:100], v[97:98]
	v_div_fmas_f64 v[90:91], v[90:91], v[95:96], v[99:100]
	v_div_fixup_f64 v[90:91], v[90:91], v[119:120], v[117:118]
	v_fma_f64 v[95:96], v[117:118], v[90:91], v[119:120]
	v_div_scale_f64 v[97:98], s[20:21], v[95:96], v[95:96], 1.0
	v_div_scale_f64 v[103:104], vcc, 1.0, v[95:96], 1.0
	v_rcp_f64_e32 v[99:100], v[97:98]
	v_fma_f64 v[101:102], -v[97:98], v[99:100], 1.0
	v_fma_f64 v[99:100], v[99:100], v[101:102], v[99:100]
	v_fma_f64 v[101:102], -v[97:98], v[99:100], 1.0
	v_fma_f64 v[99:100], v[99:100], v[101:102], v[99:100]
	v_mul_f64 v[101:102], v[103:104], v[99:100]
	v_fma_f64 v[97:98], -v[97:98], v[101:102], v[103:104]
	v_div_fmas_f64 v[97:98], v[97:98], v[99:100], v[101:102]
	v_div_fixup_f64 v[119:120], v[97:98], v[95:96], 1.0
	v_mul_f64 v[117:118], v[90:91], v[119:120]
	v_xor_b32_e32 v120, 0x80000000, v120
.LBB110_931:
	s_andn2_saveexec_b64 s[18:19], s[18:19]
	s_cbranch_execz .LBB110_933
; %bb.932:
	v_div_scale_f64 v[90:91], s[20:21], v[117:118], v[117:118], v[119:120]
	v_rcp_f64_e32 v[95:96], v[90:91]
	v_fma_f64 v[97:98], -v[90:91], v[95:96], 1.0
	v_fma_f64 v[95:96], v[95:96], v[97:98], v[95:96]
	v_div_scale_f64 v[97:98], vcc, v[119:120], v[117:118], v[119:120]
	v_fma_f64 v[99:100], -v[90:91], v[95:96], 1.0
	v_fma_f64 v[95:96], v[95:96], v[99:100], v[95:96]
	v_mul_f64 v[99:100], v[97:98], v[95:96]
	v_fma_f64 v[90:91], -v[90:91], v[99:100], v[97:98]
	v_div_fmas_f64 v[90:91], v[90:91], v[95:96], v[99:100]
	v_div_fixup_f64 v[90:91], v[90:91], v[117:118], v[119:120]
	v_fma_f64 v[95:96], v[119:120], v[90:91], v[117:118]
	v_div_scale_f64 v[97:98], s[20:21], v[95:96], v[95:96], 1.0
	v_div_scale_f64 v[103:104], vcc, 1.0, v[95:96], 1.0
	v_rcp_f64_e32 v[99:100], v[97:98]
	v_fma_f64 v[101:102], -v[97:98], v[99:100], 1.0
	v_fma_f64 v[99:100], v[99:100], v[101:102], v[99:100]
	v_fma_f64 v[101:102], -v[97:98], v[99:100], 1.0
	v_fma_f64 v[99:100], v[99:100], v[101:102], v[99:100]
	v_mul_f64 v[101:102], v[103:104], v[99:100]
	v_fma_f64 v[97:98], -v[97:98], v[101:102], v[103:104]
	v_div_fmas_f64 v[97:98], v[97:98], v[99:100], v[101:102]
	v_div_fixup_f64 v[117:118], v[97:98], v[95:96], 1.0
	v_mul_f64 v[119:120], v[90:91], -v[117:118]
.LBB110_933:
	s_or_b64 exec, exec, s[18:19]
.LBB110_934:
	s_or_b64 exec, exec, s[0:1]
	v_cmp_ne_u32_e32 vcc, v93, v89
	s_and_saveexec_b64 s[0:1], vcc
	s_xor_b64 s[0:1], exec, s[0:1]
	s_cbranch_execz .LBB110_940
; %bb.935:
	v_cmp_eq_u32_e32 vcc, 44, v93
	s_and_saveexec_b64 s[18:19], vcc
	s_cbranch_execz .LBB110_939
; %bb.936:
	v_cmp_ne_u32_e32 vcc, 44, v89
	s_xor_b64 s[20:21], s[6:7], -1
	s_and_b64 s[22:23], s[20:21], vcc
	s_and_saveexec_b64 s[20:21], s[22:23]
	s_cbranch_execz .LBB110_938
; %bb.937:
	buffer_load_dword v81, off, s[24:27], 0 offset:448 ; 4-byte Folded Reload
	buffer_load_dword v82, off, s[24:27], 0 offset:452 ; 4-byte Folded Reload
	v_ashrrev_i32_e32 v90, 31, v89
	v_lshlrev_b64 v[90:91], 2, v[89:90]
	s_waitcnt vmcnt(1)
	v_add_co_u32_e32 v90, vcc, v81, v90
	s_waitcnt vmcnt(0)
	v_addc_co_u32_e32 v91, vcc, v82, v91, vcc
	global_load_dword v92, v[90:91], off
	global_load_dword v93, v[81:82], off offset:176
	s_waitcnt vmcnt(1)
	global_store_dword v[81:82], v92, off offset:176
	v_mov_b32_e32 v81, v105
	v_mov_b32_e32 v82, v106
	;; [unrolled: 1-line block ×4, first 2 shown]
	s_waitcnt vmcnt(1)
	global_store_dword v[90:91], v93, off
.LBB110_938:
	s_or_b64 exec, exec, s[20:21]
	v_mov_b32_e32 v93, v89
	v_mov_b32_e32 v127, v89
.LBB110_939:
	s_or_b64 exec, exec, s[18:19]
.LBB110_940:
	s_andn2_saveexec_b64 s[0:1], s[0:1]
	s_cbranch_execz .LBB110_942
; %bb.941:
	v_mov_b32_e32 v93, 44
	ds_write2_b64 v0, v[37:38], v[39:40] offset0:90 offset1:91
	ds_write2_b64 v0, v[33:34], v[35:36] offset0:92 offset1:93
	;; [unrolled: 1-line block ×11, first 2 shown]
.LBB110_942:
	s_or_b64 exec, exec, s[0:1]
	v_cmp_lt_i32_e32 vcc, 44, v93
	s_waitcnt vmcnt(0) lgkmcnt(0)
	s_barrier
	s_and_saveexec_b64 s[0:1], vcc
	s_cbranch_execz .LBB110_944
; %bb.943:
	v_mul_f64 v[89:90], v[117:118], v[43:44]
	v_mul_f64 v[43:44], v[119:120], v[43:44]
	ds_read2_b64 v[95:98], v0 offset0:90 offset1:91
	v_fma_f64 v[89:90], v[119:120], v[41:42], v[89:90]
	v_fma_f64 v[41:42], v[117:118], v[41:42], -v[43:44]
	s_waitcnt lgkmcnt(0)
	v_mul_f64 v[43:44], v[97:98], v[89:90]
	v_mul_f64 v[91:92], v[95:96], v[89:90]
	v_fma_f64 v[43:44], v[95:96], v[41:42], -v[43:44]
	v_fma_f64 v[91:92], v[97:98], v[41:42], v[91:92]
	ds_read2_b64 v[95:98], v0 offset0:92 offset1:93
	v_add_f64 v[37:38], v[37:38], -v[43:44]
	v_add_f64 v[39:40], v[39:40], -v[91:92]
	s_waitcnt lgkmcnt(0)
	v_mul_f64 v[43:44], v[97:98], v[89:90]
	v_mul_f64 v[91:92], v[95:96], v[89:90]
	v_fma_f64 v[43:44], v[95:96], v[41:42], -v[43:44]
	v_fma_f64 v[91:92], v[97:98], v[41:42], v[91:92]
	ds_read2_b64 v[95:98], v0 offset0:94 offset1:95
	v_add_f64 v[33:34], v[33:34], -v[43:44]
	v_add_f64 v[35:36], v[35:36], -v[91:92]
	;; [unrolled: 8-line block ×10, first 2 shown]
	s_waitcnt lgkmcnt(0)
	v_mul_f64 v[43:44], v[97:98], v[89:90]
	v_mul_f64 v[91:92], v[95:96], v[89:90]
	v_fma_f64 v[43:44], v[95:96], v[41:42], -v[43:44]
	v_fma_f64 v[91:92], v[97:98], v[41:42], v[91:92]
	v_add_f64 v[121:122], v[121:122], -v[43:44]
	v_add_f64 v[123:124], v[123:124], -v[91:92]
	v_mov_b32_e32 v43, v89
	v_mov_b32_e32 v44, v90
.LBB110_944:
	s_or_b64 exec, exec, s[0:1]
	v_lshl_add_u32 v89, v93, 4, v0
	s_barrier
	ds_write2_b64 v89, v[37:38], v[39:40] offset1:1
	s_waitcnt lgkmcnt(0)
	s_barrier
	ds_read2_b64 v[117:120], v0 offset0:90 offset1:91
	s_cmp_lt_i32 s3, 47
	v_mov_b32_e32 v89, 45
	s_cbranch_scc1 .LBB110_947
; %bb.945:
	v_add_u32_e32 v90, 0x2e0, v0
	s_mov_b32 s0, 46
	v_mov_b32_e32 v89, 45
.LBB110_946:                            ; =>This Inner Loop Header: Depth=1
	s_waitcnt lgkmcnt(0)
	v_cmp_gt_f64_e32 vcc, 0, v[117:118]
	v_xor_b32_e32 v91, 0x80000000, v118
	ds_read2_b64 v[95:98], v90 offset1:1
	v_xor_b32_e32 v99, 0x80000000, v120
	v_add_u32_e32 v90, 16, v90
	s_waitcnt lgkmcnt(0)
	v_xor_b32_e32 v101, 0x80000000, v98
	v_cndmask_b32_e32 v92, v118, v91, vcc
	v_cmp_gt_f64_e32 vcc, 0, v[119:120]
	v_mov_b32_e32 v91, v117
	v_cndmask_b32_e32 v100, v120, v99, vcc
	v_cmp_gt_f64_e32 vcc, 0, v[95:96]
	v_mov_b32_e32 v99, v119
	v_add_f64 v[91:92], v[91:92], v[99:100]
	v_xor_b32_e32 v99, 0x80000000, v96
	v_cndmask_b32_e32 v100, v96, v99, vcc
	v_cmp_gt_f64_e32 vcc, 0, v[97:98]
	v_mov_b32_e32 v99, v95
	v_cndmask_b32_e32 v102, v98, v101, vcc
	v_mov_b32_e32 v101, v97
	v_add_f64 v[99:100], v[99:100], v[101:102]
	v_cmp_lt_f64_e32 vcc, v[91:92], v[99:100]
	v_mov_b32_e32 v91, s0
	s_add_i32 s0, s0, 1
	s_cmp_lg_u32 s3, s0
	v_cndmask_b32_e32 v118, v118, v96, vcc
	v_cndmask_b32_e32 v117, v117, v95, vcc
	;; [unrolled: 1-line block ×5, first 2 shown]
	s_cbranch_scc1 .LBB110_946
.LBB110_947:
	s_waitcnt lgkmcnt(0)
	v_cmp_eq_f64_e32 vcc, 0, v[117:118]
	v_cmp_eq_f64_e64 s[0:1], 0, v[119:120]
	s_and_b64 s[0:1], vcc, s[0:1]
	s_and_saveexec_b64 s[18:19], s[0:1]
	s_xor_b64 s[0:1], exec, s[18:19]
; %bb.948:
	v_cmp_ne_u32_e32 vcc, 0, v94
	v_cndmask_b32_e32 v94, 46, v94, vcc
; %bb.949:
	s_andn2_saveexec_b64 s[0:1], s[0:1]
	s_cbranch_execz .LBB110_955
; %bb.950:
	v_cmp_ngt_f64_e64 s[18:19], |v[117:118]|, |v[119:120]|
	s_and_saveexec_b64 s[20:21], s[18:19]
	s_xor_b64 s[18:19], exec, s[20:21]
	s_cbranch_execz .LBB110_952
; %bb.951:
	v_div_scale_f64 v[90:91], s[20:21], v[119:120], v[119:120], v[117:118]
	v_rcp_f64_e32 v[95:96], v[90:91]
	v_fma_f64 v[97:98], -v[90:91], v[95:96], 1.0
	v_fma_f64 v[95:96], v[95:96], v[97:98], v[95:96]
	v_div_scale_f64 v[97:98], vcc, v[117:118], v[119:120], v[117:118]
	v_fma_f64 v[99:100], -v[90:91], v[95:96], 1.0
	v_fma_f64 v[95:96], v[95:96], v[99:100], v[95:96]
	v_mul_f64 v[99:100], v[97:98], v[95:96]
	v_fma_f64 v[90:91], -v[90:91], v[99:100], v[97:98]
	v_div_fmas_f64 v[90:91], v[90:91], v[95:96], v[99:100]
	v_div_fixup_f64 v[90:91], v[90:91], v[119:120], v[117:118]
	v_fma_f64 v[95:96], v[117:118], v[90:91], v[119:120]
	v_div_scale_f64 v[97:98], s[20:21], v[95:96], v[95:96], 1.0
	v_div_scale_f64 v[103:104], vcc, 1.0, v[95:96], 1.0
	v_rcp_f64_e32 v[99:100], v[97:98]
	v_fma_f64 v[101:102], -v[97:98], v[99:100], 1.0
	v_fma_f64 v[99:100], v[99:100], v[101:102], v[99:100]
	v_fma_f64 v[101:102], -v[97:98], v[99:100], 1.0
	v_fma_f64 v[99:100], v[99:100], v[101:102], v[99:100]
	v_mul_f64 v[101:102], v[103:104], v[99:100]
	v_fma_f64 v[97:98], -v[97:98], v[101:102], v[103:104]
	v_div_fmas_f64 v[97:98], v[97:98], v[99:100], v[101:102]
	v_div_fixup_f64 v[119:120], v[97:98], v[95:96], 1.0
	v_mul_f64 v[117:118], v[90:91], v[119:120]
	v_xor_b32_e32 v120, 0x80000000, v120
.LBB110_952:
	s_andn2_saveexec_b64 s[18:19], s[18:19]
	s_cbranch_execz .LBB110_954
; %bb.953:
	v_div_scale_f64 v[90:91], s[20:21], v[117:118], v[117:118], v[119:120]
	v_rcp_f64_e32 v[95:96], v[90:91]
	v_fma_f64 v[97:98], -v[90:91], v[95:96], 1.0
	v_fma_f64 v[95:96], v[95:96], v[97:98], v[95:96]
	v_div_scale_f64 v[97:98], vcc, v[119:120], v[117:118], v[119:120]
	v_fma_f64 v[99:100], -v[90:91], v[95:96], 1.0
	v_fma_f64 v[95:96], v[95:96], v[99:100], v[95:96]
	v_mul_f64 v[99:100], v[97:98], v[95:96]
	v_fma_f64 v[90:91], -v[90:91], v[99:100], v[97:98]
	v_div_fmas_f64 v[90:91], v[90:91], v[95:96], v[99:100]
	v_div_fixup_f64 v[90:91], v[90:91], v[117:118], v[119:120]
	v_fma_f64 v[95:96], v[119:120], v[90:91], v[117:118]
	v_div_scale_f64 v[97:98], s[20:21], v[95:96], v[95:96], 1.0
	v_div_scale_f64 v[103:104], vcc, 1.0, v[95:96], 1.0
	v_rcp_f64_e32 v[99:100], v[97:98]
	v_fma_f64 v[101:102], -v[97:98], v[99:100], 1.0
	v_fma_f64 v[99:100], v[99:100], v[101:102], v[99:100]
	v_fma_f64 v[101:102], -v[97:98], v[99:100], 1.0
	v_fma_f64 v[99:100], v[99:100], v[101:102], v[99:100]
	v_mul_f64 v[101:102], v[103:104], v[99:100]
	v_fma_f64 v[97:98], -v[97:98], v[101:102], v[103:104]
	v_div_fmas_f64 v[97:98], v[97:98], v[99:100], v[101:102]
	v_div_fixup_f64 v[117:118], v[97:98], v[95:96], 1.0
	v_mul_f64 v[119:120], v[90:91], -v[117:118]
.LBB110_954:
	s_or_b64 exec, exec, s[18:19]
.LBB110_955:
	s_or_b64 exec, exec, s[0:1]
	v_cmp_ne_u32_e32 vcc, v93, v89
	s_and_saveexec_b64 s[0:1], vcc
	s_xor_b64 s[0:1], exec, s[0:1]
	s_cbranch_execz .LBB110_961
; %bb.956:
	v_cmp_eq_u32_e32 vcc, 45, v93
	s_and_saveexec_b64 s[18:19], vcc
	s_cbranch_execz .LBB110_960
; %bb.957:
	v_cmp_ne_u32_e32 vcc, 45, v89
	s_xor_b64 s[20:21], s[6:7], -1
	s_and_b64 s[22:23], s[20:21], vcc
	s_and_saveexec_b64 s[20:21], s[22:23]
	s_cbranch_execz .LBB110_959
; %bb.958:
	buffer_load_dword v81, off, s[24:27], 0 offset:448 ; 4-byte Folded Reload
	buffer_load_dword v82, off, s[24:27], 0 offset:452 ; 4-byte Folded Reload
	v_ashrrev_i32_e32 v90, 31, v89
	v_lshlrev_b64 v[90:91], 2, v[89:90]
	s_waitcnt vmcnt(1)
	v_add_co_u32_e32 v90, vcc, v81, v90
	s_waitcnt vmcnt(0)
	v_addc_co_u32_e32 v91, vcc, v82, v91, vcc
	global_load_dword v92, v[90:91], off
	global_load_dword v93, v[81:82], off offset:180
	s_waitcnt vmcnt(1)
	global_store_dword v[81:82], v92, off offset:180
	v_mov_b32_e32 v81, v105
	v_mov_b32_e32 v82, v106
	;; [unrolled: 1-line block ×4, first 2 shown]
	s_waitcnt vmcnt(1)
	global_store_dword v[90:91], v93, off
.LBB110_959:
	s_or_b64 exec, exec, s[20:21]
	v_mov_b32_e32 v93, v89
	v_mov_b32_e32 v127, v89
.LBB110_960:
	s_or_b64 exec, exec, s[18:19]
.LBB110_961:
	s_andn2_saveexec_b64 s[0:1], s[0:1]
	s_cbranch_execz .LBB110_963
; %bb.962:
	v_mov_b32_e32 v93, 45
	ds_write2_b64 v0, v[33:34], v[35:36] offset0:92 offset1:93
	ds_write2_b64 v0, v[29:30], v[31:32] offset0:94 offset1:95
	;; [unrolled: 1-line block ×10, first 2 shown]
.LBB110_963:
	s_or_b64 exec, exec, s[0:1]
	v_cmp_lt_i32_e32 vcc, 45, v93
	s_waitcnt vmcnt(0) lgkmcnt(0)
	s_barrier
	s_and_saveexec_b64 s[0:1], vcc
	s_cbranch_execz .LBB110_965
; %bb.964:
	v_mul_f64 v[89:90], v[117:118], v[39:40]
	v_mul_f64 v[39:40], v[119:120], v[39:40]
	ds_read2_b64 v[95:98], v0 offset0:92 offset1:93
	v_fma_f64 v[89:90], v[119:120], v[37:38], v[89:90]
	v_fma_f64 v[37:38], v[117:118], v[37:38], -v[39:40]
	s_waitcnt lgkmcnt(0)
	v_mul_f64 v[39:40], v[97:98], v[89:90]
	v_mul_f64 v[91:92], v[95:96], v[89:90]
	v_fma_f64 v[39:40], v[95:96], v[37:38], -v[39:40]
	v_fma_f64 v[91:92], v[97:98], v[37:38], v[91:92]
	ds_read2_b64 v[95:98], v0 offset0:94 offset1:95
	v_add_f64 v[33:34], v[33:34], -v[39:40]
	v_add_f64 v[35:36], v[35:36], -v[91:92]
	s_waitcnt lgkmcnt(0)
	v_mul_f64 v[39:40], v[97:98], v[89:90]
	v_mul_f64 v[91:92], v[95:96], v[89:90]
	v_fma_f64 v[39:40], v[95:96], v[37:38], -v[39:40]
	v_fma_f64 v[91:92], v[97:98], v[37:38], v[91:92]
	ds_read2_b64 v[95:98], v0 offset0:96 offset1:97
	v_add_f64 v[29:30], v[29:30], -v[39:40]
	v_add_f64 v[31:32], v[31:32], -v[91:92]
	;; [unrolled: 8-line block ×9, first 2 shown]
	s_waitcnt lgkmcnt(0)
	v_mul_f64 v[39:40], v[97:98], v[89:90]
	v_mul_f64 v[91:92], v[95:96], v[89:90]
	v_fma_f64 v[39:40], v[95:96], v[37:38], -v[39:40]
	v_fma_f64 v[91:92], v[97:98], v[37:38], v[91:92]
	v_add_f64 v[121:122], v[121:122], -v[39:40]
	v_add_f64 v[123:124], v[123:124], -v[91:92]
	v_mov_b32_e32 v39, v89
	v_mov_b32_e32 v40, v90
.LBB110_965:
	s_or_b64 exec, exec, s[0:1]
	v_lshl_add_u32 v89, v93, 4, v0
	s_barrier
	ds_write2_b64 v89, v[33:34], v[35:36] offset1:1
	s_waitcnt lgkmcnt(0)
	s_barrier
	ds_read2_b64 v[117:120], v0 offset0:92 offset1:93
	s_cmp_lt_i32 s3, 48
	v_mov_b32_e32 v89, 46
	s_cbranch_scc1 .LBB110_968
; %bb.966:
	v_add_u32_e32 v90, 0x2f0, v0
	s_mov_b32 s0, 47
	v_mov_b32_e32 v89, 46
.LBB110_967:                            ; =>This Inner Loop Header: Depth=1
	s_waitcnt lgkmcnt(0)
	v_cmp_gt_f64_e32 vcc, 0, v[117:118]
	v_xor_b32_e32 v91, 0x80000000, v118
	ds_read2_b64 v[95:98], v90 offset1:1
	v_xor_b32_e32 v99, 0x80000000, v120
	v_add_u32_e32 v90, 16, v90
	s_waitcnt lgkmcnt(0)
	v_xor_b32_e32 v101, 0x80000000, v98
	v_cndmask_b32_e32 v92, v118, v91, vcc
	v_cmp_gt_f64_e32 vcc, 0, v[119:120]
	v_mov_b32_e32 v91, v117
	v_cndmask_b32_e32 v100, v120, v99, vcc
	v_cmp_gt_f64_e32 vcc, 0, v[95:96]
	v_mov_b32_e32 v99, v119
	v_add_f64 v[91:92], v[91:92], v[99:100]
	v_xor_b32_e32 v99, 0x80000000, v96
	v_cndmask_b32_e32 v100, v96, v99, vcc
	v_cmp_gt_f64_e32 vcc, 0, v[97:98]
	v_mov_b32_e32 v99, v95
	v_cndmask_b32_e32 v102, v98, v101, vcc
	v_mov_b32_e32 v101, v97
	v_add_f64 v[99:100], v[99:100], v[101:102]
	v_cmp_lt_f64_e32 vcc, v[91:92], v[99:100]
	v_mov_b32_e32 v91, s0
	s_add_i32 s0, s0, 1
	s_cmp_lg_u32 s3, s0
	v_cndmask_b32_e32 v118, v118, v96, vcc
	v_cndmask_b32_e32 v117, v117, v95, vcc
	;; [unrolled: 1-line block ×5, first 2 shown]
	s_cbranch_scc1 .LBB110_967
.LBB110_968:
	s_waitcnt lgkmcnt(0)
	v_cmp_eq_f64_e32 vcc, 0, v[117:118]
	v_cmp_eq_f64_e64 s[0:1], 0, v[119:120]
	s_and_b64 s[0:1], vcc, s[0:1]
	s_and_saveexec_b64 s[18:19], s[0:1]
	s_xor_b64 s[0:1], exec, s[18:19]
; %bb.969:
	v_cmp_ne_u32_e32 vcc, 0, v94
	v_cndmask_b32_e32 v94, 47, v94, vcc
; %bb.970:
	s_andn2_saveexec_b64 s[0:1], s[0:1]
	s_cbranch_execz .LBB110_976
; %bb.971:
	v_cmp_ngt_f64_e64 s[18:19], |v[117:118]|, |v[119:120]|
	s_and_saveexec_b64 s[20:21], s[18:19]
	s_xor_b64 s[18:19], exec, s[20:21]
	s_cbranch_execz .LBB110_973
; %bb.972:
	v_div_scale_f64 v[90:91], s[20:21], v[119:120], v[119:120], v[117:118]
	v_rcp_f64_e32 v[95:96], v[90:91]
	v_fma_f64 v[97:98], -v[90:91], v[95:96], 1.0
	v_fma_f64 v[95:96], v[95:96], v[97:98], v[95:96]
	v_div_scale_f64 v[97:98], vcc, v[117:118], v[119:120], v[117:118]
	v_fma_f64 v[99:100], -v[90:91], v[95:96], 1.0
	v_fma_f64 v[95:96], v[95:96], v[99:100], v[95:96]
	v_mul_f64 v[99:100], v[97:98], v[95:96]
	v_fma_f64 v[90:91], -v[90:91], v[99:100], v[97:98]
	v_div_fmas_f64 v[90:91], v[90:91], v[95:96], v[99:100]
	v_div_fixup_f64 v[90:91], v[90:91], v[119:120], v[117:118]
	v_fma_f64 v[95:96], v[117:118], v[90:91], v[119:120]
	v_div_scale_f64 v[97:98], s[20:21], v[95:96], v[95:96], 1.0
	v_div_scale_f64 v[103:104], vcc, 1.0, v[95:96], 1.0
	v_rcp_f64_e32 v[99:100], v[97:98]
	v_fma_f64 v[101:102], -v[97:98], v[99:100], 1.0
	v_fma_f64 v[99:100], v[99:100], v[101:102], v[99:100]
	v_fma_f64 v[101:102], -v[97:98], v[99:100], 1.0
	v_fma_f64 v[99:100], v[99:100], v[101:102], v[99:100]
	v_mul_f64 v[101:102], v[103:104], v[99:100]
	v_fma_f64 v[97:98], -v[97:98], v[101:102], v[103:104]
	v_div_fmas_f64 v[97:98], v[97:98], v[99:100], v[101:102]
	v_div_fixup_f64 v[119:120], v[97:98], v[95:96], 1.0
	v_mul_f64 v[117:118], v[90:91], v[119:120]
	v_xor_b32_e32 v120, 0x80000000, v120
.LBB110_973:
	s_andn2_saveexec_b64 s[18:19], s[18:19]
	s_cbranch_execz .LBB110_975
; %bb.974:
	v_div_scale_f64 v[90:91], s[20:21], v[117:118], v[117:118], v[119:120]
	v_rcp_f64_e32 v[95:96], v[90:91]
	v_fma_f64 v[97:98], -v[90:91], v[95:96], 1.0
	v_fma_f64 v[95:96], v[95:96], v[97:98], v[95:96]
	v_div_scale_f64 v[97:98], vcc, v[119:120], v[117:118], v[119:120]
	v_fma_f64 v[99:100], -v[90:91], v[95:96], 1.0
	v_fma_f64 v[95:96], v[95:96], v[99:100], v[95:96]
	v_mul_f64 v[99:100], v[97:98], v[95:96]
	v_fma_f64 v[90:91], -v[90:91], v[99:100], v[97:98]
	v_div_fmas_f64 v[90:91], v[90:91], v[95:96], v[99:100]
	v_div_fixup_f64 v[90:91], v[90:91], v[117:118], v[119:120]
	v_fma_f64 v[95:96], v[119:120], v[90:91], v[117:118]
	v_div_scale_f64 v[97:98], s[20:21], v[95:96], v[95:96], 1.0
	v_div_scale_f64 v[103:104], vcc, 1.0, v[95:96], 1.0
	v_rcp_f64_e32 v[99:100], v[97:98]
	v_fma_f64 v[101:102], -v[97:98], v[99:100], 1.0
	v_fma_f64 v[99:100], v[99:100], v[101:102], v[99:100]
	v_fma_f64 v[101:102], -v[97:98], v[99:100], 1.0
	v_fma_f64 v[99:100], v[99:100], v[101:102], v[99:100]
	v_mul_f64 v[101:102], v[103:104], v[99:100]
	v_fma_f64 v[97:98], -v[97:98], v[101:102], v[103:104]
	v_div_fmas_f64 v[97:98], v[97:98], v[99:100], v[101:102]
	v_div_fixup_f64 v[117:118], v[97:98], v[95:96], 1.0
	v_mul_f64 v[119:120], v[90:91], -v[117:118]
.LBB110_975:
	s_or_b64 exec, exec, s[18:19]
.LBB110_976:
	s_or_b64 exec, exec, s[0:1]
	v_cmp_ne_u32_e32 vcc, v93, v89
	s_and_saveexec_b64 s[0:1], vcc
	s_xor_b64 s[0:1], exec, s[0:1]
	s_cbranch_execz .LBB110_982
; %bb.977:
	v_cmp_eq_u32_e32 vcc, 46, v93
	s_and_saveexec_b64 s[18:19], vcc
	s_cbranch_execz .LBB110_981
; %bb.978:
	v_cmp_ne_u32_e32 vcc, 46, v89
	s_xor_b64 s[20:21], s[6:7], -1
	s_and_b64 s[22:23], s[20:21], vcc
	s_and_saveexec_b64 s[20:21], s[22:23]
	s_cbranch_execz .LBB110_980
; %bb.979:
	buffer_load_dword v81, off, s[24:27], 0 offset:448 ; 4-byte Folded Reload
	buffer_load_dword v82, off, s[24:27], 0 offset:452 ; 4-byte Folded Reload
	v_ashrrev_i32_e32 v90, 31, v89
	v_lshlrev_b64 v[90:91], 2, v[89:90]
	s_waitcnt vmcnt(1)
	v_add_co_u32_e32 v90, vcc, v81, v90
	s_waitcnt vmcnt(0)
	v_addc_co_u32_e32 v91, vcc, v82, v91, vcc
	global_load_dword v92, v[90:91], off
	global_load_dword v93, v[81:82], off offset:184
	s_waitcnt vmcnt(1)
	global_store_dword v[81:82], v92, off offset:184
	v_mov_b32_e32 v81, v105
	v_mov_b32_e32 v82, v106
	;; [unrolled: 1-line block ×4, first 2 shown]
	s_waitcnt vmcnt(1)
	global_store_dword v[90:91], v93, off
.LBB110_980:
	s_or_b64 exec, exec, s[20:21]
	v_mov_b32_e32 v93, v89
	v_mov_b32_e32 v127, v89
.LBB110_981:
	s_or_b64 exec, exec, s[18:19]
.LBB110_982:
	s_andn2_saveexec_b64 s[0:1], s[0:1]
	s_cbranch_execz .LBB110_984
; %bb.983:
	v_mov_b32_e32 v93, 46
	ds_write2_b64 v0, v[29:30], v[31:32] offset0:94 offset1:95
	ds_write2_b64 v0, v[25:26], v[27:28] offset0:96 offset1:97
	;; [unrolled: 1-line block ×9, first 2 shown]
.LBB110_984:
	s_or_b64 exec, exec, s[0:1]
	v_cmp_lt_i32_e32 vcc, 46, v93
	s_waitcnt vmcnt(0) lgkmcnt(0)
	s_barrier
	s_and_saveexec_b64 s[0:1], vcc
	s_cbranch_execz .LBB110_986
; %bb.985:
	v_mul_f64 v[89:90], v[117:118], v[35:36]
	v_mul_f64 v[35:36], v[119:120], v[35:36]
	ds_read2_b64 v[95:98], v0 offset0:94 offset1:95
	v_fma_f64 v[89:90], v[119:120], v[33:34], v[89:90]
	v_fma_f64 v[33:34], v[117:118], v[33:34], -v[35:36]
	s_waitcnt lgkmcnt(0)
	v_mul_f64 v[35:36], v[97:98], v[89:90]
	v_mul_f64 v[91:92], v[95:96], v[89:90]
	v_fma_f64 v[35:36], v[95:96], v[33:34], -v[35:36]
	v_fma_f64 v[91:92], v[97:98], v[33:34], v[91:92]
	ds_read2_b64 v[95:98], v0 offset0:96 offset1:97
	v_add_f64 v[29:30], v[29:30], -v[35:36]
	v_add_f64 v[31:32], v[31:32], -v[91:92]
	s_waitcnt lgkmcnt(0)
	v_mul_f64 v[35:36], v[97:98], v[89:90]
	v_mul_f64 v[91:92], v[95:96], v[89:90]
	v_fma_f64 v[35:36], v[95:96], v[33:34], -v[35:36]
	v_fma_f64 v[91:92], v[97:98], v[33:34], v[91:92]
	ds_read2_b64 v[95:98], v0 offset0:98 offset1:99
	v_add_f64 v[25:26], v[25:26], -v[35:36]
	v_add_f64 v[27:28], v[27:28], -v[91:92]
	;; [unrolled: 8-line block ×8, first 2 shown]
	s_waitcnt lgkmcnt(0)
	v_mul_f64 v[35:36], v[97:98], v[89:90]
	v_mul_f64 v[91:92], v[95:96], v[89:90]
	v_fma_f64 v[35:36], v[95:96], v[33:34], -v[35:36]
	v_fma_f64 v[91:92], v[97:98], v[33:34], v[91:92]
	v_add_f64 v[121:122], v[121:122], -v[35:36]
	v_add_f64 v[123:124], v[123:124], -v[91:92]
	v_mov_b32_e32 v35, v89
	v_mov_b32_e32 v36, v90
.LBB110_986:
	s_or_b64 exec, exec, s[0:1]
	v_lshl_add_u32 v89, v93, 4, v0
	s_barrier
	ds_write2_b64 v89, v[29:30], v[31:32] offset1:1
	s_waitcnt lgkmcnt(0)
	s_barrier
	ds_read2_b64 v[117:120], v0 offset0:94 offset1:95
	s_cmp_lt_i32 s3, 49
	v_mov_b32_e32 v89, 47
	s_cbranch_scc1 .LBB110_989
; %bb.987:
	v_add_u32_e32 v90, 0x300, v0
	s_mov_b32 s0, 48
	v_mov_b32_e32 v89, 47
.LBB110_988:                            ; =>This Inner Loop Header: Depth=1
	s_waitcnt lgkmcnt(0)
	v_cmp_gt_f64_e32 vcc, 0, v[117:118]
	v_xor_b32_e32 v91, 0x80000000, v118
	ds_read2_b64 v[95:98], v90 offset1:1
	v_xor_b32_e32 v99, 0x80000000, v120
	v_add_u32_e32 v90, 16, v90
	s_waitcnt lgkmcnt(0)
	v_xor_b32_e32 v101, 0x80000000, v98
	v_cndmask_b32_e32 v92, v118, v91, vcc
	v_cmp_gt_f64_e32 vcc, 0, v[119:120]
	v_mov_b32_e32 v91, v117
	v_cndmask_b32_e32 v100, v120, v99, vcc
	v_cmp_gt_f64_e32 vcc, 0, v[95:96]
	v_mov_b32_e32 v99, v119
	v_add_f64 v[91:92], v[91:92], v[99:100]
	v_xor_b32_e32 v99, 0x80000000, v96
	v_cndmask_b32_e32 v100, v96, v99, vcc
	v_cmp_gt_f64_e32 vcc, 0, v[97:98]
	v_mov_b32_e32 v99, v95
	v_cndmask_b32_e32 v102, v98, v101, vcc
	v_mov_b32_e32 v101, v97
	v_add_f64 v[99:100], v[99:100], v[101:102]
	v_cmp_lt_f64_e32 vcc, v[91:92], v[99:100]
	v_mov_b32_e32 v91, s0
	s_add_i32 s0, s0, 1
	s_cmp_lg_u32 s3, s0
	v_cndmask_b32_e32 v118, v118, v96, vcc
	v_cndmask_b32_e32 v117, v117, v95, vcc
	;; [unrolled: 1-line block ×5, first 2 shown]
	s_cbranch_scc1 .LBB110_988
.LBB110_989:
	s_waitcnt lgkmcnt(0)
	v_cmp_eq_f64_e32 vcc, 0, v[117:118]
	v_cmp_eq_f64_e64 s[0:1], 0, v[119:120]
	s_and_b64 s[0:1], vcc, s[0:1]
	s_and_saveexec_b64 s[18:19], s[0:1]
	s_xor_b64 s[0:1], exec, s[18:19]
; %bb.990:
	v_cmp_ne_u32_e32 vcc, 0, v94
	v_cndmask_b32_e32 v94, 48, v94, vcc
; %bb.991:
	s_andn2_saveexec_b64 s[0:1], s[0:1]
	s_cbranch_execz .LBB110_997
; %bb.992:
	v_cmp_ngt_f64_e64 s[18:19], |v[117:118]|, |v[119:120]|
	s_and_saveexec_b64 s[20:21], s[18:19]
	s_xor_b64 s[18:19], exec, s[20:21]
	s_cbranch_execz .LBB110_994
; %bb.993:
	v_div_scale_f64 v[90:91], s[20:21], v[119:120], v[119:120], v[117:118]
	v_rcp_f64_e32 v[95:96], v[90:91]
	v_fma_f64 v[97:98], -v[90:91], v[95:96], 1.0
	v_fma_f64 v[95:96], v[95:96], v[97:98], v[95:96]
	v_div_scale_f64 v[97:98], vcc, v[117:118], v[119:120], v[117:118]
	v_fma_f64 v[99:100], -v[90:91], v[95:96], 1.0
	v_fma_f64 v[95:96], v[95:96], v[99:100], v[95:96]
	v_mul_f64 v[99:100], v[97:98], v[95:96]
	v_fma_f64 v[90:91], -v[90:91], v[99:100], v[97:98]
	v_div_fmas_f64 v[90:91], v[90:91], v[95:96], v[99:100]
	v_div_fixup_f64 v[90:91], v[90:91], v[119:120], v[117:118]
	v_fma_f64 v[95:96], v[117:118], v[90:91], v[119:120]
	v_div_scale_f64 v[97:98], s[20:21], v[95:96], v[95:96], 1.0
	v_div_scale_f64 v[103:104], vcc, 1.0, v[95:96], 1.0
	v_rcp_f64_e32 v[99:100], v[97:98]
	v_fma_f64 v[101:102], -v[97:98], v[99:100], 1.0
	v_fma_f64 v[99:100], v[99:100], v[101:102], v[99:100]
	v_fma_f64 v[101:102], -v[97:98], v[99:100], 1.0
	v_fma_f64 v[99:100], v[99:100], v[101:102], v[99:100]
	v_mul_f64 v[101:102], v[103:104], v[99:100]
	v_fma_f64 v[97:98], -v[97:98], v[101:102], v[103:104]
	v_div_fmas_f64 v[97:98], v[97:98], v[99:100], v[101:102]
	v_div_fixup_f64 v[119:120], v[97:98], v[95:96], 1.0
	v_mul_f64 v[117:118], v[90:91], v[119:120]
	v_xor_b32_e32 v120, 0x80000000, v120
.LBB110_994:
	s_andn2_saveexec_b64 s[18:19], s[18:19]
	s_cbranch_execz .LBB110_996
; %bb.995:
	v_div_scale_f64 v[90:91], s[20:21], v[117:118], v[117:118], v[119:120]
	v_rcp_f64_e32 v[95:96], v[90:91]
	v_fma_f64 v[97:98], -v[90:91], v[95:96], 1.0
	v_fma_f64 v[95:96], v[95:96], v[97:98], v[95:96]
	v_div_scale_f64 v[97:98], vcc, v[119:120], v[117:118], v[119:120]
	v_fma_f64 v[99:100], -v[90:91], v[95:96], 1.0
	v_fma_f64 v[95:96], v[95:96], v[99:100], v[95:96]
	v_mul_f64 v[99:100], v[97:98], v[95:96]
	v_fma_f64 v[90:91], -v[90:91], v[99:100], v[97:98]
	v_div_fmas_f64 v[90:91], v[90:91], v[95:96], v[99:100]
	v_div_fixup_f64 v[90:91], v[90:91], v[117:118], v[119:120]
	v_fma_f64 v[95:96], v[119:120], v[90:91], v[117:118]
	v_div_scale_f64 v[97:98], s[20:21], v[95:96], v[95:96], 1.0
	v_div_scale_f64 v[103:104], vcc, 1.0, v[95:96], 1.0
	v_rcp_f64_e32 v[99:100], v[97:98]
	v_fma_f64 v[101:102], -v[97:98], v[99:100], 1.0
	v_fma_f64 v[99:100], v[99:100], v[101:102], v[99:100]
	v_fma_f64 v[101:102], -v[97:98], v[99:100], 1.0
	v_fma_f64 v[99:100], v[99:100], v[101:102], v[99:100]
	v_mul_f64 v[101:102], v[103:104], v[99:100]
	v_fma_f64 v[97:98], -v[97:98], v[101:102], v[103:104]
	v_div_fmas_f64 v[97:98], v[97:98], v[99:100], v[101:102]
	v_div_fixup_f64 v[117:118], v[97:98], v[95:96], 1.0
	v_mul_f64 v[119:120], v[90:91], -v[117:118]
.LBB110_996:
	s_or_b64 exec, exec, s[18:19]
.LBB110_997:
	s_or_b64 exec, exec, s[0:1]
	v_cmp_ne_u32_e32 vcc, v93, v89
	s_and_saveexec_b64 s[0:1], vcc
	s_xor_b64 s[0:1], exec, s[0:1]
	s_cbranch_execz .LBB110_1003
; %bb.998:
	v_cmp_eq_u32_e32 vcc, 47, v93
	s_and_saveexec_b64 s[18:19], vcc
	s_cbranch_execz .LBB110_1002
; %bb.999:
	v_cmp_ne_u32_e32 vcc, 47, v89
	s_xor_b64 s[20:21], s[6:7], -1
	s_and_b64 s[22:23], s[20:21], vcc
	s_and_saveexec_b64 s[20:21], s[22:23]
	s_cbranch_execz .LBB110_1001
; %bb.1000:
	buffer_load_dword v81, off, s[24:27], 0 offset:448 ; 4-byte Folded Reload
	buffer_load_dword v82, off, s[24:27], 0 offset:452 ; 4-byte Folded Reload
	v_ashrrev_i32_e32 v90, 31, v89
	v_lshlrev_b64 v[90:91], 2, v[89:90]
	s_waitcnt vmcnt(1)
	v_add_co_u32_e32 v90, vcc, v81, v90
	s_waitcnt vmcnt(0)
	v_addc_co_u32_e32 v91, vcc, v82, v91, vcc
	global_load_dword v92, v[90:91], off
	global_load_dword v93, v[81:82], off offset:188
	s_waitcnt vmcnt(1)
	global_store_dword v[81:82], v92, off offset:188
	v_mov_b32_e32 v81, v105
	v_mov_b32_e32 v82, v106
	;; [unrolled: 1-line block ×4, first 2 shown]
	s_waitcnt vmcnt(1)
	global_store_dword v[90:91], v93, off
.LBB110_1001:
	s_or_b64 exec, exec, s[20:21]
	v_mov_b32_e32 v93, v89
	v_mov_b32_e32 v127, v89
.LBB110_1002:
	s_or_b64 exec, exec, s[18:19]
.LBB110_1003:
	s_andn2_saveexec_b64 s[0:1], s[0:1]
	s_cbranch_execz .LBB110_1005
; %bb.1004:
	v_mov_b32_e32 v93, 47
	ds_write2_b64 v0, v[25:26], v[27:28] offset0:96 offset1:97
	ds_write2_b64 v0, v[21:22], v[23:24] offset0:98 offset1:99
	;; [unrolled: 1-line block ×8, first 2 shown]
.LBB110_1005:
	s_or_b64 exec, exec, s[0:1]
	v_cmp_lt_i32_e32 vcc, 47, v93
	s_waitcnt vmcnt(0) lgkmcnt(0)
	s_barrier
	s_and_saveexec_b64 s[0:1], vcc
	s_cbranch_execz .LBB110_1007
; %bb.1006:
	v_mul_f64 v[89:90], v[117:118], v[31:32]
	v_mul_f64 v[31:32], v[119:120], v[31:32]
	ds_read2_b64 v[95:98], v0 offset0:96 offset1:97
	v_fma_f64 v[89:90], v[119:120], v[29:30], v[89:90]
	v_fma_f64 v[29:30], v[117:118], v[29:30], -v[31:32]
	s_waitcnt lgkmcnt(0)
	v_mul_f64 v[31:32], v[97:98], v[89:90]
	v_mul_f64 v[91:92], v[95:96], v[89:90]
	v_fma_f64 v[31:32], v[95:96], v[29:30], -v[31:32]
	v_fma_f64 v[91:92], v[97:98], v[29:30], v[91:92]
	ds_read2_b64 v[95:98], v0 offset0:98 offset1:99
	v_add_f64 v[25:26], v[25:26], -v[31:32]
	v_add_f64 v[27:28], v[27:28], -v[91:92]
	s_waitcnt lgkmcnt(0)
	v_mul_f64 v[31:32], v[97:98], v[89:90]
	v_mul_f64 v[91:92], v[95:96], v[89:90]
	v_fma_f64 v[31:32], v[95:96], v[29:30], -v[31:32]
	v_fma_f64 v[91:92], v[97:98], v[29:30], v[91:92]
	ds_read2_b64 v[95:98], v0 offset0:100 offset1:101
	v_add_f64 v[21:22], v[21:22], -v[31:32]
	v_add_f64 v[23:24], v[23:24], -v[91:92]
	;; [unrolled: 8-line block ×7, first 2 shown]
	s_waitcnt lgkmcnt(0)
	v_mul_f64 v[31:32], v[97:98], v[89:90]
	v_mul_f64 v[91:92], v[95:96], v[89:90]
	v_fma_f64 v[31:32], v[95:96], v[29:30], -v[31:32]
	v_fma_f64 v[91:92], v[97:98], v[29:30], v[91:92]
	v_add_f64 v[121:122], v[121:122], -v[31:32]
	v_add_f64 v[123:124], v[123:124], -v[91:92]
	v_mov_b32_e32 v31, v89
	v_mov_b32_e32 v32, v90
.LBB110_1007:
	s_or_b64 exec, exec, s[0:1]
	v_lshl_add_u32 v89, v93, 4, v0
	s_barrier
	ds_write2_b64 v89, v[25:26], v[27:28] offset1:1
	s_waitcnt lgkmcnt(0)
	s_barrier
	ds_read2_b64 v[117:120], v0 offset0:96 offset1:97
	s_cmp_lt_i32 s3, 50
	v_mov_b32_e32 v89, 48
	s_cbranch_scc1 .LBB110_1010
; %bb.1008:
	v_add_u32_e32 v90, 0x310, v0
	s_mov_b32 s0, 49
	v_mov_b32_e32 v89, 48
.LBB110_1009:                           ; =>This Inner Loop Header: Depth=1
	s_waitcnt lgkmcnt(0)
	v_cmp_gt_f64_e32 vcc, 0, v[117:118]
	v_xor_b32_e32 v91, 0x80000000, v118
	ds_read2_b64 v[95:98], v90 offset1:1
	v_xor_b32_e32 v99, 0x80000000, v120
	v_add_u32_e32 v90, 16, v90
	s_waitcnt lgkmcnt(0)
	v_xor_b32_e32 v101, 0x80000000, v98
	v_cndmask_b32_e32 v92, v118, v91, vcc
	v_cmp_gt_f64_e32 vcc, 0, v[119:120]
	v_mov_b32_e32 v91, v117
	v_cndmask_b32_e32 v100, v120, v99, vcc
	v_cmp_gt_f64_e32 vcc, 0, v[95:96]
	v_mov_b32_e32 v99, v119
	v_add_f64 v[91:92], v[91:92], v[99:100]
	v_xor_b32_e32 v99, 0x80000000, v96
	v_cndmask_b32_e32 v100, v96, v99, vcc
	v_cmp_gt_f64_e32 vcc, 0, v[97:98]
	v_mov_b32_e32 v99, v95
	v_cndmask_b32_e32 v102, v98, v101, vcc
	v_mov_b32_e32 v101, v97
	v_add_f64 v[99:100], v[99:100], v[101:102]
	v_cmp_lt_f64_e32 vcc, v[91:92], v[99:100]
	v_mov_b32_e32 v91, s0
	s_add_i32 s0, s0, 1
	s_cmp_lg_u32 s3, s0
	v_cndmask_b32_e32 v118, v118, v96, vcc
	v_cndmask_b32_e32 v117, v117, v95, vcc
	;; [unrolled: 1-line block ×5, first 2 shown]
	s_cbranch_scc1 .LBB110_1009
.LBB110_1010:
	s_waitcnt lgkmcnt(0)
	v_cmp_eq_f64_e32 vcc, 0, v[117:118]
	v_cmp_eq_f64_e64 s[0:1], 0, v[119:120]
	s_and_b64 s[0:1], vcc, s[0:1]
	s_and_saveexec_b64 s[18:19], s[0:1]
	s_xor_b64 s[0:1], exec, s[18:19]
; %bb.1011:
	v_cmp_ne_u32_e32 vcc, 0, v94
	v_cndmask_b32_e32 v94, 49, v94, vcc
; %bb.1012:
	s_andn2_saveexec_b64 s[0:1], s[0:1]
	s_cbranch_execz .LBB110_1018
; %bb.1013:
	v_cmp_ngt_f64_e64 s[18:19], |v[117:118]|, |v[119:120]|
	s_and_saveexec_b64 s[20:21], s[18:19]
	s_xor_b64 s[18:19], exec, s[20:21]
	s_cbranch_execz .LBB110_1015
; %bb.1014:
	v_div_scale_f64 v[90:91], s[20:21], v[119:120], v[119:120], v[117:118]
	v_rcp_f64_e32 v[95:96], v[90:91]
	v_fma_f64 v[97:98], -v[90:91], v[95:96], 1.0
	v_fma_f64 v[95:96], v[95:96], v[97:98], v[95:96]
	v_div_scale_f64 v[97:98], vcc, v[117:118], v[119:120], v[117:118]
	v_fma_f64 v[99:100], -v[90:91], v[95:96], 1.0
	v_fma_f64 v[95:96], v[95:96], v[99:100], v[95:96]
	v_mul_f64 v[99:100], v[97:98], v[95:96]
	v_fma_f64 v[90:91], -v[90:91], v[99:100], v[97:98]
	v_div_fmas_f64 v[90:91], v[90:91], v[95:96], v[99:100]
	v_div_fixup_f64 v[90:91], v[90:91], v[119:120], v[117:118]
	v_fma_f64 v[95:96], v[117:118], v[90:91], v[119:120]
	v_div_scale_f64 v[97:98], s[20:21], v[95:96], v[95:96], 1.0
	v_div_scale_f64 v[103:104], vcc, 1.0, v[95:96], 1.0
	v_rcp_f64_e32 v[99:100], v[97:98]
	v_fma_f64 v[101:102], -v[97:98], v[99:100], 1.0
	v_fma_f64 v[99:100], v[99:100], v[101:102], v[99:100]
	v_fma_f64 v[101:102], -v[97:98], v[99:100], 1.0
	v_fma_f64 v[99:100], v[99:100], v[101:102], v[99:100]
	v_mul_f64 v[101:102], v[103:104], v[99:100]
	v_fma_f64 v[97:98], -v[97:98], v[101:102], v[103:104]
	v_div_fmas_f64 v[97:98], v[97:98], v[99:100], v[101:102]
	v_div_fixup_f64 v[119:120], v[97:98], v[95:96], 1.0
	v_mul_f64 v[117:118], v[90:91], v[119:120]
	v_xor_b32_e32 v120, 0x80000000, v120
.LBB110_1015:
	s_andn2_saveexec_b64 s[18:19], s[18:19]
	s_cbranch_execz .LBB110_1017
; %bb.1016:
	v_div_scale_f64 v[90:91], s[20:21], v[117:118], v[117:118], v[119:120]
	v_rcp_f64_e32 v[95:96], v[90:91]
	v_fma_f64 v[97:98], -v[90:91], v[95:96], 1.0
	v_fma_f64 v[95:96], v[95:96], v[97:98], v[95:96]
	v_div_scale_f64 v[97:98], vcc, v[119:120], v[117:118], v[119:120]
	v_fma_f64 v[99:100], -v[90:91], v[95:96], 1.0
	v_fma_f64 v[95:96], v[95:96], v[99:100], v[95:96]
	v_mul_f64 v[99:100], v[97:98], v[95:96]
	v_fma_f64 v[90:91], -v[90:91], v[99:100], v[97:98]
	v_div_fmas_f64 v[90:91], v[90:91], v[95:96], v[99:100]
	v_div_fixup_f64 v[90:91], v[90:91], v[117:118], v[119:120]
	v_fma_f64 v[95:96], v[119:120], v[90:91], v[117:118]
	v_div_scale_f64 v[97:98], s[20:21], v[95:96], v[95:96], 1.0
	v_div_scale_f64 v[103:104], vcc, 1.0, v[95:96], 1.0
	v_rcp_f64_e32 v[99:100], v[97:98]
	v_fma_f64 v[101:102], -v[97:98], v[99:100], 1.0
	v_fma_f64 v[99:100], v[99:100], v[101:102], v[99:100]
	v_fma_f64 v[101:102], -v[97:98], v[99:100], 1.0
	v_fma_f64 v[99:100], v[99:100], v[101:102], v[99:100]
	v_mul_f64 v[101:102], v[103:104], v[99:100]
	v_fma_f64 v[97:98], -v[97:98], v[101:102], v[103:104]
	v_div_fmas_f64 v[97:98], v[97:98], v[99:100], v[101:102]
	v_div_fixup_f64 v[117:118], v[97:98], v[95:96], 1.0
	v_mul_f64 v[119:120], v[90:91], -v[117:118]
.LBB110_1017:
	s_or_b64 exec, exec, s[18:19]
.LBB110_1018:
	s_or_b64 exec, exec, s[0:1]
	v_cmp_ne_u32_e32 vcc, v93, v89
	s_and_saveexec_b64 s[0:1], vcc
	s_xor_b64 s[0:1], exec, s[0:1]
	s_cbranch_execz .LBB110_1024
; %bb.1019:
	v_cmp_eq_u32_e32 vcc, 48, v93
	s_and_saveexec_b64 s[18:19], vcc
	s_cbranch_execz .LBB110_1023
; %bb.1020:
	v_cmp_ne_u32_e32 vcc, 48, v89
	s_xor_b64 s[20:21], s[6:7], -1
	s_and_b64 s[22:23], s[20:21], vcc
	s_and_saveexec_b64 s[20:21], s[22:23]
	s_cbranch_execz .LBB110_1022
; %bb.1021:
	buffer_load_dword v81, off, s[24:27], 0 offset:448 ; 4-byte Folded Reload
	buffer_load_dword v82, off, s[24:27], 0 offset:452 ; 4-byte Folded Reload
	v_ashrrev_i32_e32 v90, 31, v89
	v_lshlrev_b64 v[90:91], 2, v[89:90]
	s_waitcnt vmcnt(1)
	v_add_co_u32_e32 v90, vcc, v81, v90
	s_waitcnt vmcnt(0)
	v_addc_co_u32_e32 v91, vcc, v82, v91, vcc
	global_load_dword v92, v[90:91], off
	global_load_dword v93, v[81:82], off offset:192
	s_waitcnt vmcnt(1)
	global_store_dword v[81:82], v92, off offset:192
	v_mov_b32_e32 v81, v105
	v_mov_b32_e32 v82, v106
	;; [unrolled: 1-line block ×4, first 2 shown]
	s_waitcnt vmcnt(1)
	global_store_dword v[90:91], v93, off
.LBB110_1022:
	s_or_b64 exec, exec, s[20:21]
	v_mov_b32_e32 v93, v89
	v_mov_b32_e32 v127, v89
.LBB110_1023:
	s_or_b64 exec, exec, s[18:19]
.LBB110_1024:
	s_andn2_saveexec_b64 s[0:1], s[0:1]
	s_cbranch_execz .LBB110_1026
; %bb.1025:
	v_mov_b32_e32 v93, 48
	ds_write2_b64 v0, v[21:22], v[23:24] offset0:98 offset1:99
	ds_write2_b64 v0, v[17:18], v[19:20] offset0:100 offset1:101
	;; [unrolled: 1-line block ×7, first 2 shown]
.LBB110_1026:
	s_or_b64 exec, exec, s[0:1]
	v_cmp_lt_i32_e32 vcc, 48, v93
	s_waitcnt vmcnt(0) lgkmcnt(0)
	s_barrier
	s_and_saveexec_b64 s[0:1], vcc
	s_cbranch_execz .LBB110_1028
; %bb.1027:
	v_mul_f64 v[89:90], v[117:118], v[27:28]
	v_mul_f64 v[27:28], v[119:120], v[27:28]
	ds_read2_b64 v[95:98], v0 offset0:98 offset1:99
	v_fma_f64 v[89:90], v[119:120], v[25:26], v[89:90]
	v_fma_f64 v[25:26], v[117:118], v[25:26], -v[27:28]
	s_waitcnt lgkmcnt(0)
	v_mul_f64 v[27:28], v[97:98], v[89:90]
	v_mul_f64 v[91:92], v[95:96], v[89:90]
	v_fma_f64 v[27:28], v[95:96], v[25:26], -v[27:28]
	v_fma_f64 v[91:92], v[97:98], v[25:26], v[91:92]
	ds_read2_b64 v[95:98], v0 offset0:100 offset1:101
	v_add_f64 v[21:22], v[21:22], -v[27:28]
	v_add_f64 v[23:24], v[23:24], -v[91:92]
	s_waitcnt lgkmcnt(0)
	v_mul_f64 v[27:28], v[97:98], v[89:90]
	v_mul_f64 v[91:92], v[95:96], v[89:90]
	v_fma_f64 v[27:28], v[95:96], v[25:26], -v[27:28]
	v_fma_f64 v[91:92], v[97:98], v[25:26], v[91:92]
	ds_read2_b64 v[95:98], v0 offset0:102 offset1:103
	v_add_f64 v[17:18], v[17:18], -v[27:28]
	v_add_f64 v[19:20], v[19:20], -v[91:92]
	;; [unrolled: 8-line block ×6, first 2 shown]
	s_waitcnt lgkmcnt(0)
	v_mul_f64 v[27:28], v[97:98], v[89:90]
	v_mul_f64 v[91:92], v[95:96], v[89:90]
	v_fma_f64 v[27:28], v[95:96], v[25:26], -v[27:28]
	v_fma_f64 v[91:92], v[97:98], v[25:26], v[91:92]
	v_add_f64 v[121:122], v[121:122], -v[27:28]
	v_add_f64 v[123:124], v[123:124], -v[91:92]
	v_mov_b32_e32 v27, v89
	v_mov_b32_e32 v28, v90
.LBB110_1028:
	s_or_b64 exec, exec, s[0:1]
	v_lshl_add_u32 v89, v93, 4, v0
	s_barrier
	ds_write2_b64 v89, v[21:22], v[23:24] offset1:1
	s_waitcnt lgkmcnt(0)
	s_barrier
	ds_read2_b64 v[117:120], v0 offset0:98 offset1:99
	s_cmp_lt_i32 s3, 51
	v_mov_b32_e32 v89, 49
	s_cbranch_scc1 .LBB110_1031
; %bb.1029:
	v_add_u32_e32 v90, 0x320, v0
	s_mov_b32 s0, 50
	v_mov_b32_e32 v89, 49
.LBB110_1030:                           ; =>This Inner Loop Header: Depth=1
	s_waitcnt lgkmcnt(0)
	v_cmp_gt_f64_e32 vcc, 0, v[117:118]
	v_xor_b32_e32 v91, 0x80000000, v118
	ds_read2_b64 v[95:98], v90 offset1:1
	v_xor_b32_e32 v99, 0x80000000, v120
	v_add_u32_e32 v90, 16, v90
	s_waitcnt lgkmcnt(0)
	v_xor_b32_e32 v101, 0x80000000, v98
	v_cndmask_b32_e32 v92, v118, v91, vcc
	v_cmp_gt_f64_e32 vcc, 0, v[119:120]
	v_mov_b32_e32 v91, v117
	v_cndmask_b32_e32 v100, v120, v99, vcc
	v_cmp_gt_f64_e32 vcc, 0, v[95:96]
	v_mov_b32_e32 v99, v119
	v_add_f64 v[91:92], v[91:92], v[99:100]
	v_xor_b32_e32 v99, 0x80000000, v96
	v_cndmask_b32_e32 v100, v96, v99, vcc
	v_cmp_gt_f64_e32 vcc, 0, v[97:98]
	v_mov_b32_e32 v99, v95
	v_cndmask_b32_e32 v102, v98, v101, vcc
	v_mov_b32_e32 v101, v97
	v_add_f64 v[99:100], v[99:100], v[101:102]
	v_cmp_lt_f64_e32 vcc, v[91:92], v[99:100]
	v_mov_b32_e32 v91, s0
	s_add_i32 s0, s0, 1
	s_cmp_lg_u32 s3, s0
	v_cndmask_b32_e32 v118, v118, v96, vcc
	v_cndmask_b32_e32 v117, v117, v95, vcc
	;; [unrolled: 1-line block ×5, first 2 shown]
	s_cbranch_scc1 .LBB110_1030
.LBB110_1031:
	s_waitcnt lgkmcnt(0)
	v_cmp_eq_f64_e32 vcc, 0, v[117:118]
	v_cmp_eq_f64_e64 s[0:1], 0, v[119:120]
	s_and_b64 s[0:1], vcc, s[0:1]
	s_and_saveexec_b64 s[18:19], s[0:1]
	s_xor_b64 s[0:1], exec, s[18:19]
; %bb.1032:
	v_cmp_ne_u32_e32 vcc, 0, v94
	v_cndmask_b32_e32 v94, 50, v94, vcc
; %bb.1033:
	s_andn2_saveexec_b64 s[0:1], s[0:1]
	s_cbranch_execz .LBB110_1039
; %bb.1034:
	v_cmp_ngt_f64_e64 s[18:19], |v[117:118]|, |v[119:120]|
	s_and_saveexec_b64 s[20:21], s[18:19]
	s_xor_b64 s[18:19], exec, s[20:21]
	s_cbranch_execz .LBB110_1036
; %bb.1035:
	v_div_scale_f64 v[90:91], s[20:21], v[119:120], v[119:120], v[117:118]
	v_rcp_f64_e32 v[95:96], v[90:91]
	v_fma_f64 v[97:98], -v[90:91], v[95:96], 1.0
	v_fma_f64 v[95:96], v[95:96], v[97:98], v[95:96]
	v_div_scale_f64 v[97:98], vcc, v[117:118], v[119:120], v[117:118]
	v_fma_f64 v[99:100], -v[90:91], v[95:96], 1.0
	v_fma_f64 v[95:96], v[95:96], v[99:100], v[95:96]
	v_mul_f64 v[99:100], v[97:98], v[95:96]
	v_fma_f64 v[90:91], -v[90:91], v[99:100], v[97:98]
	v_div_fmas_f64 v[90:91], v[90:91], v[95:96], v[99:100]
	v_div_fixup_f64 v[90:91], v[90:91], v[119:120], v[117:118]
	v_fma_f64 v[95:96], v[117:118], v[90:91], v[119:120]
	v_div_scale_f64 v[97:98], s[20:21], v[95:96], v[95:96], 1.0
	v_div_scale_f64 v[103:104], vcc, 1.0, v[95:96], 1.0
	v_rcp_f64_e32 v[99:100], v[97:98]
	v_fma_f64 v[101:102], -v[97:98], v[99:100], 1.0
	v_fma_f64 v[99:100], v[99:100], v[101:102], v[99:100]
	v_fma_f64 v[101:102], -v[97:98], v[99:100], 1.0
	v_fma_f64 v[99:100], v[99:100], v[101:102], v[99:100]
	v_mul_f64 v[101:102], v[103:104], v[99:100]
	v_fma_f64 v[97:98], -v[97:98], v[101:102], v[103:104]
	v_div_fmas_f64 v[97:98], v[97:98], v[99:100], v[101:102]
	v_div_fixup_f64 v[119:120], v[97:98], v[95:96], 1.0
	v_mul_f64 v[117:118], v[90:91], v[119:120]
	v_xor_b32_e32 v120, 0x80000000, v120
.LBB110_1036:
	s_andn2_saveexec_b64 s[18:19], s[18:19]
	s_cbranch_execz .LBB110_1038
; %bb.1037:
	v_div_scale_f64 v[90:91], s[20:21], v[117:118], v[117:118], v[119:120]
	v_rcp_f64_e32 v[95:96], v[90:91]
	v_fma_f64 v[97:98], -v[90:91], v[95:96], 1.0
	v_fma_f64 v[95:96], v[95:96], v[97:98], v[95:96]
	v_div_scale_f64 v[97:98], vcc, v[119:120], v[117:118], v[119:120]
	v_fma_f64 v[99:100], -v[90:91], v[95:96], 1.0
	v_fma_f64 v[95:96], v[95:96], v[99:100], v[95:96]
	v_mul_f64 v[99:100], v[97:98], v[95:96]
	v_fma_f64 v[90:91], -v[90:91], v[99:100], v[97:98]
	v_div_fmas_f64 v[90:91], v[90:91], v[95:96], v[99:100]
	v_div_fixup_f64 v[90:91], v[90:91], v[117:118], v[119:120]
	v_fma_f64 v[95:96], v[119:120], v[90:91], v[117:118]
	v_div_scale_f64 v[97:98], s[20:21], v[95:96], v[95:96], 1.0
	v_div_scale_f64 v[103:104], vcc, 1.0, v[95:96], 1.0
	v_rcp_f64_e32 v[99:100], v[97:98]
	v_fma_f64 v[101:102], -v[97:98], v[99:100], 1.0
	v_fma_f64 v[99:100], v[99:100], v[101:102], v[99:100]
	v_fma_f64 v[101:102], -v[97:98], v[99:100], 1.0
	v_fma_f64 v[99:100], v[99:100], v[101:102], v[99:100]
	v_mul_f64 v[101:102], v[103:104], v[99:100]
	v_fma_f64 v[97:98], -v[97:98], v[101:102], v[103:104]
	v_div_fmas_f64 v[97:98], v[97:98], v[99:100], v[101:102]
	v_div_fixup_f64 v[117:118], v[97:98], v[95:96], 1.0
	v_mul_f64 v[119:120], v[90:91], -v[117:118]
.LBB110_1038:
	s_or_b64 exec, exec, s[18:19]
.LBB110_1039:
	s_or_b64 exec, exec, s[0:1]
	v_cmp_ne_u32_e32 vcc, v93, v89
	s_and_saveexec_b64 s[0:1], vcc
	s_xor_b64 s[0:1], exec, s[0:1]
	s_cbranch_execz .LBB110_1045
; %bb.1040:
	v_cmp_eq_u32_e32 vcc, 49, v93
	s_and_saveexec_b64 s[18:19], vcc
	s_cbranch_execz .LBB110_1044
; %bb.1041:
	v_cmp_ne_u32_e32 vcc, 49, v89
	s_xor_b64 s[20:21], s[6:7], -1
	s_and_b64 s[22:23], s[20:21], vcc
	s_and_saveexec_b64 s[20:21], s[22:23]
	s_cbranch_execz .LBB110_1043
; %bb.1042:
	buffer_load_dword v81, off, s[24:27], 0 offset:448 ; 4-byte Folded Reload
	buffer_load_dword v82, off, s[24:27], 0 offset:452 ; 4-byte Folded Reload
	v_ashrrev_i32_e32 v90, 31, v89
	v_lshlrev_b64 v[90:91], 2, v[89:90]
	s_waitcnt vmcnt(1)
	v_add_co_u32_e32 v90, vcc, v81, v90
	s_waitcnt vmcnt(0)
	v_addc_co_u32_e32 v91, vcc, v82, v91, vcc
	global_load_dword v92, v[90:91], off
	global_load_dword v93, v[81:82], off offset:196
	s_waitcnt vmcnt(1)
	global_store_dword v[81:82], v92, off offset:196
	v_mov_b32_e32 v81, v105
	v_mov_b32_e32 v82, v106
	;; [unrolled: 1-line block ×4, first 2 shown]
	s_waitcnt vmcnt(1)
	global_store_dword v[90:91], v93, off
.LBB110_1043:
	s_or_b64 exec, exec, s[20:21]
	v_mov_b32_e32 v93, v89
	v_mov_b32_e32 v127, v89
.LBB110_1044:
	s_or_b64 exec, exec, s[18:19]
.LBB110_1045:
	s_andn2_saveexec_b64 s[0:1], s[0:1]
	s_cbranch_execz .LBB110_1047
; %bb.1046:
	v_mov_b32_e32 v93, 49
	ds_write2_b64 v0, v[17:18], v[19:20] offset0:100 offset1:101
	ds_write2_b64 v0, v[13:14], v[15:16] offset0:102 offset1:103
	ds_write2_b64 v0, v[9:10], v[11:12] offset0:104 offset1:105
	ds_write2_b64 v0, v[5:6], v[7:8] offset0:106 offset1:107
	ds_write2_b64 v0, v[1:2], v[3:4] offset0:108 offset1:109
	ds_write2_b64 v0, v[121:122], v[123:124] offset0:110 offset1:111
.LBB110_1047:
	s_or_b64 exec, exec, s[0:1]
	v_cmp_lt_i32_e32 vcc, 49, v93
	s_waitcnt vmcnt(0) lgkmcnt(0)
	s_barrier
	s_and_saveexec_b64 s[0:1], vcc
	s_cbranch_execz .LBB110_1049
; %bb.1048:
	v_mul_f64 v[89:90], v[117:118], v[23:24]
	v_mul_f64 v[23:24], v[119:120], v[23:24]
	ds_read2_b64 v[95:98], v0 offset0:100 offset1:101
	v_fma_f64 v[89:90], v[119:120], v[21:22], v[89:90]
	v_fma_f64 v[21:22], v[117:118], v[21:22], -v[23:24]
	s_waitcnt lgkmcnt(0)
	v_mul_f64 v[23:24], v[97:98], v[89:90]
	v_mul_f64 v[91:92], v[95:96], v[89:90]
	v_fma_f64 v[23:24], v[95:96], v[21:22], -v[23:24]
	v_fma_f64 v[91:92], v[97:98], v[21:22], v[91:92]
	ds_read2_b64 v[95:98], v0 offset0:102 offset1:103
	v_add_f64 v[17:18], v[17:18], -v[23:24]
	v_add_f64 v[19:20], v[19:20], -v[91:92]
	s_waitcnt lgkmcnt(0)
	v_mul_f64 v[23:24], v[97:98], v[89:90]
	v_mul_f64 v[91:92], v[95:96], v[89:90]
	v_fma_f64 v[23:24], v[95:96], v[21:22], -v[23:24]
	v_fma_f64 v[91:92], v[97:98], v[21:22], v[91:92]
	ds_read2_b64 v[95:98], v0 offset0:104 offset1:105
	v_add_f64 v[13:14], v[13:14], -v[23:24]
	v_add_f64 v[15:16], v[15:16], -v[91:92]
	;; [unrolled: 8-line block ×5, first 2 shown]
	s_waitcnt lgkmcnt(0)
	v_mul_f64 v[23:24], v[97:98], v[89:90]
	v_mul_f64 v[91:92], v[95:96], v[89:90]
	v_fma_f64 v[23:24], v[95:96], v[21:22], -v[23:24]
	v_fma_f64 v[91:92], v[97:98], v[21:22], v[91:92]
	v_add_f64 v[121:122], v[121:122], -v[23:24]
	v_add_f64 v[123:124], v[123:124], -v[91:92]
	v_mov_b32_e32 v23, v89
	v_mov_b32_e32 v24, v90
.LBB110_1049:
	s_or_b64 exec, exec, s[0:1]
	v_lshl_add_u32 v89, v93, 4, v0
	s_barrier
	ds_write2_b64 v89, v[17:18], v[19:20] offset1:1
	s_waitcnt lgkmcnt(0)
	s_barrier
	ds_read2_b64 v[117:120], v0 offset0:100 offset1:101
	s_cmp_lt_i32 s3, 52
	v_mov_b32_e32 v89, 50
	s_cbranch_scc1 .LBB110_1052
; %bb.1050:
	v_add_u32_e32 v90, 0x330, v0
	s_mov_b32 s0, 51
	v_mov_b32_e32 v89, 50
.LBB110_1051:                           ; =>This Inner Loop Header: Depth=1
	s_waitcnt lgkmcnt(0)
	v_cmp_gt_f64_e32 vcc, 0, v[117:118]
	v_xor_b32_e32 v91, 0x80000000, v118
	ds_read2_b64 v[95:98], v90 offset1:1
	v_xor_b32_e32 v99, 0x80000000, v120
	v_add_u32_e32 v90, 16, v90
	s_waitcnt lgkmcnt(0)
	v_xor_b32_e32 v101, 0x80000000, v98
	v_cndmask_b32_e32 v92, v118, v91, vcc
	v_cmp_gt_f64_e32 vcc, 0, v[119:120]
	v_mov_b32_e32 v91, v117
	v_cndmask_b32_e32 v100, v120, v99, vcc
	v_cmp_gt_f64_e32 vcc, 0, v[95:96]
	v_mov_b32_e32 v99, v119
	v_add_f64 v[91:92], v[91:92], v[99:100]
	v_xor_b32_e32 v99, 0x80000000, v96
	v_cndmask_b32_e32 v100, v96, v99, vcc
	v_cmp_gt_f64_e32 vcc, 0, v[97:98]
	v_mov_b32_e32 v99, v95
	v_cndmask_b32_e32 v102, v98, v101, vcc
	v_mov_b32_e32 v101, v97
	v_add_f64 v[99:100], v[99:100], v[101:102]
	v_cmp_lt_f64_e32 vcc, v[91:92], v[99:100]
	v_mov_b32_e32 v91, s0
	s_add_i32 s0, s0, 1
	s_cmp_lg_u32 s3, s0
	v_cndmask_b32_e32 v118, v118, v96, vcc
	v_cndmask_b32_e32 v117, v117, v95, vcc
	;; [unrolled: 1-line block ×5, first 2 shown]
	s_cbranch_scc1 .LBB110_1051
.LBB110_1052:
	s_waitcnt lgkmcnt(0)
	v_cmp_eq_f64_e32 vcc, 0, v[117:118]
	v_cmp_eq_f64_e64 s[0:1], 0, v[119:120]
	s_and_b64 s[0:1], vcc, s[0:1]
	s_and_saveexec_b64 s[18:19], s[0:1]
	s_xor_b64 s[0:1], exec, s[18:19]
; %bb.1053:
	v_cmp_ne_u32_e32 vcc, 0, v94
	v_cndmask_b32_e32 v94, 51, v94, vcc
; %bb.1054:
	s_andn2_saveexec_b64 s[0:1], s[0:1]
	s_cbranch_execz .LBB110_1060
; %bb.1055:
	v_cmp_ngt_f64_e64 s[18:19], |v[117:118]|, |v[119:120]|
	s_and_saveexec_b64 s[20:21], s[18:19]
	s_xor_b64 s[18:19], exec, s[20:21]
	s_cbranch_execz .LBB110_1057
; %bb.1056:
	v_div_scale_f64 v[90:91], s[20:21], v[119:120], v[119:120], v[117:118]
	v_rcp_f64_e32 v[95:96], v[90:91]
	v_fma_f64 v[97:98], -v[90:91], v[95:96], 1.0
	v_fma_f64 v[95:96], v[95:96], v[97:98], v[95:96]
	v_div_scale_f64 v[97:98], vcc, v[117:118], v[119:120], v[117:118]
	v_fma_f64 v[99:100], -v[90:91], v[95:96], 1.0
	v_fma_f64 v[95:96], v[95:96], v[99:100], v[95:96]
	v_mul_f64 v[99:100], v[97:98], v[95:96]
	v_fma_f64 v[90:91], -v[90:91], v[99:100], v[97:98]
	v_div_fmas_f64 v[90:91], v[90:91], v[95:96], v[99:100]
	v_div_fixup_f64 v[90:91], v[90:91], v[119:120], v[117:118]
	v_fma_f64 v[95:96], v[117:118], v[90:91], v[119:120]
	v_div_scale_f64 v[97:98], s[20:21], v[95:96], v[95:96], 1.0
	v_div_scale_f64 v[103:104], vcc, 1.0, v[95:96], 1.0
	v_rcp_f64_e32 v[99:100], v[97:98]
	v_fma_f64 v[101:102], -v[97:98], v[99:100], 1.0
	v_fma_f64 v[99:100], v[99:100], v[101:102], v[99:100]
	v_fma_f64 v[101:102], -v[97:98], v[99:100], 1.0
	v_fma_f64 v[99:100], v[99:100], v[101:102], v[99:100]
	v_mul_f64 v[101:102], v[103:104], v[99:100]
	v_fma_f64 v[97:98], -v[97:98], v[101:102], v[103:104]
	v_div_fmas_f64 v[97:98], v[97:98], v[99:100], v[101:102]
	v_div_fixup_f64 v[119:120], v[97:98], v[95:96], 1.0
	v_mul_f64 v[117:118], v[90:91], v[119:120]
	v_xor_b32_e32 v120, 0x80000000, v120
.LBB110_1057:
	s_andn2_saveexec_b64 s[18:19], s[18:19]
	s_cbranch_execz .LBB110_1059
; %bb.1058:
	v_div_scale_f64 v[90:91], s[20:21], v[117:118], v[117:118], v[119:120]
	v_rcp_f64_e32 v[95:96], v[90:91]
	v_fma_f64 v[97:98], -v[90:91], v[95:96], 1.0
	v_fma_f64 v[95:96], v[95:96], v[97:98], v[95:96]
	v_div_scale_f64 v[97:98], vcc, v[119:120], v[117:118], v[119:120]
	v_fma_f64 v[99:100], -v[90:91], v[95:96], 1.0
	v_fma_f64 v[95:96], v[95:96], v[99:100], v[95:96]
	v_mul_f64 v[99:100], v[97:98], v[95:96]
	v_fma_f64 v[90:91], -v[90:91], v[99:100], v[97:98]
	v_div_fmas_f64 v[90:91], v[90:91], v[95:96], v[99:100]
	v_div_fixup_f64 v[90:91], v[90:91], v[117:118], v[119:120]
	v_fma_f64 v[95:96], v[119:120], v[90:91], v[117:118]
	v_div_scale_f64 v[97:98], s[20:21], v[95:96], v[95:96], 1.0
	v_div_scale_f64 v[103:104], vcc, 1.0, v[95:96], 1.0
	v_rcp_f64_e32 v[99:100], v[97:98]
	v_fma_f64 v[101:102], -v[97:98], v[99:100], 1.0
	v_fma_f64 v[99:100], v[99:100], v[101:102], v[99:100]
	v_fma_f64 v[101:102], -v[97:98], v[99:100], 1.0
	v_fma_f64 v[99:100], v[99:100], v[101:102], v[99:100]
	v_mul_f64 v[101:102], v[103:104], v[99:100]
	v_fma_f64 v[97:98], -v[97:98], v[101:102], v[103:104]
	v_div_fmas_f64 v[97:98], v[97:98], v[99:100], v[101:102]
	v_div_fixup_f64 v[117:118], v[97:98], v[95:96], 1.0
	v_mul_f64 v[119:120], v[90:91], -v[117:118]
.LBB110_1059:
	s_or_b64 exec, exec, s[18:19]
.LBB110_1060:
	s_or_b64 exec, exec, s[0:1]
	v_cmp_ne_u32_e32 vcc, v93, v89
	s_and_saveexec_b64 s[0:1], vcc
	s_xor_b64 s[0:1], exec, s[0:1]
	s_cbranch_execz .LBB110_1066
; %bb.1061:
	v_cmp_eq_u32_e32 vcc, 50, v93
	s_and_saveexec_b64 s[18:19], vcc
	s_cbranch_execz .LBB110_1065
; %bb.1062:
	v_cmp_ne_u32_e32 vcc, 50, v89
	s_xor_b64 s[20:21], s[6:7], -1
	s_and_b64 s[22:23], s[20:21], vcc
	s_and_saveexec_b64 s[20:21], s[22:23]
	s_cbranch_execz .LBB110_1064
; %bb.1063:
	buffer_load_dword v81, off, s[24:27], 0 offset:448 ; 4-byte Folded Reload
	buffer_load_dword v82, off, s[24:27], 0 offset:452 ; 4-byte Folded Reload
	v_ashrrev_i32_e32 v90, 31, v89
	v_lshlrev_b64 v[90:91], 2, v[89:90]
	s_waitcnt vmcnt(1)
	v_add_co_u32_e32 v90, vcc, v81, v90
	s_waitcnt vmcnt(0)
	v_addc_co_u32_e32 v91, vcc, v82, v91, vcc
	global_load_dword v92, v[90:91], off
	global_load_dword v93, v[81:82], off offset:200
	s_waitcnt vmcnt(1)
	global_store_dword v[81:82], v92, off offset:200
	v_mov_b32_e32 v81, v105
	v_mov_b32_e32 v82, v106
	;; [unrolled: 1-line block ×4, first 2 shown]
	s_waitcnt vmcnt(1)
	global_store_dword v[90:91], v93, off
.LBB110_1064:
	s_or_b64 exec, exec, s[20:21]
	v_mov_b32_e32 v93, v89
	v_mov_b32_e32 v127, v89
.LBB110_1065:
	s_or_b64 exec, exec, s[18:19]
.LBB110_1066:
	s_andn2_saveexec_b64 s[0:1], s[0:1]
	s_cbranch_execz .LBB110_1068
; %bb.1067:
	v_mov_b32_e32 v93, 50
	ds_write2_b64 v0, v[13:14], v[15:16] offset0:102 offset1:103
	ds_write2_b64 v0, v[9:10], v[11:12] offset0:104 offset1:105
	;; [unrolled: 1-line block ×5, first 2 shown]
.LBB110_1068:
	s_or_b64 exec, exec, s[0:1]
	v_cmp_lt_i32_e32 vcc, 50, v93
	s_waitcnt vmcnt(0) lgkmcnt(0)
	s_barrier
	s_and_saveexec_b64 s[0:1], vcc
	s_cbranch_execz .LBB110_1070
; %bb.1069:
	v_mul_f64 v[89:90], v[117:118], v[19:20]
	v_mul_f64 v[19:20], v[119:120], v[19:20]
	v_fma_f64 v[95:96], v[119:120], v[17:18], v[89:90]
	ds_read2_b64 v[89:92], v0 offset0:102 offset1:103
	v_fma_f64 v[17:18], v[117:118], v[17:18], -v[19:20]
	s_waitcnt lgkmcnt(0)
	v_mul_f64 v[19:20], v[91:92], v[95:96]
	v_fma_f64 v[19:20], v[89:90], v[17:18], -v[19:20]
	v_mul_f64 v[89:90], v[89:90], v[95:96]
	v_add_f64 v[13:14], v[13:14], -v[19:20]
	v_fma_f64 v[89:90], v[91:92], v[17:18], v[89:90]
	v_add_f64 v[15:16], v[15:16], -v[89:90]
	ds_read2_b64 v[89:92], v0 offset0:104 offset1:105
	s_waitcnt lgkmcnt(0)
	v_mul_f64 v[19:20], v[91:92], v[95:96]
	v_fma_f64 v[19:20], v[89:90], v[17:18], -v[19:20]
	v_mul_f64 v[89:90], v[89:90], v[95:96]
	v_add_f64 v[9:10], v[9:10], -v[19:20]
	v_fma_f64 v[89:90], v[91:92], v[17:18], v[89:90]
	v_add_f64 v[11:12], v[11:12], -v[89:90]
	ds_read2_b64 v[89:92], v0 offset0:106 offset1:107
	;; [unrolled: 8-line block ×4, first 2 shown]
	s_waitcnt lgkmcnt(0)
	v_mul_f64 v[19:20], v[91:92], v[95:96]
	v_fma_f64 v[19:20], v[89:90], v[17:18], -v[19:20]
	v_mul_f64 v[89:90], v[89:90], v[95:96]
	v_add_f64 v[121:122], v[121:122], -v[19:20]
	v_fma_f64 v[89:90], v[91:92], v[17:18], v[89:90]
	v_mov_b32_e32 v19, v95
	v_mov_b32_e32 v20, v96
	v_add_f64 v[123:124], v[123:124], -v[89:90]
.LBB110_1070:
	s_or_b64 exec, exec, s[0:1]
	v_lshl_add_u32 v89, v93, 4, v0
	s_barrier
	ds_write2_b64 v89, v[13:14], v[15:16] offset1:1
	s_waitcnt lgkmcnt(0)
	s_barrier
	ds_read2_b64 v[117:120], v0 offset0:102 offset1:103
	s_cmp_lt_i32 s3, 53
	v_mov_b32_e32 v89, 51
	s_cbranch_scc1 .LBB110_1073
; %bb.1071:
	v_add_u32_e32 v90, 0x340, v0
	s_mov_b32 s0, 52
	v_mov_b32_e32 v89, 51
.LBB110_1072:                           ; =>This Inner Loop Header: Depth=1
	s_waitcnt lgkmcnt(0)
	v_cmp_gt_f64_e32 vcc, 0, v[117:118]
	v_xor_b32_e32 v91, 0x80000000, v118
	ds_read2_b64 v[95:98], v90 offset1:1
	v_xor_b32_e32 v99, 0x80000000, v120
	v_add_u32_e32 v90, 16, v90
	s_waitcnt lgkmcnt(0)
	v_xor_b32_e32 v101, 0x80000000, v98
	v_cndmask_b32_e32 v92, v118, v91, vcc
	v_cmp_gt_f64_e32 vcc, 0, v[119:120]
	v_mov_b32_e32 v91, v117
	v_cndmask_b32_e32 v100, v120, v99, vcc
	v_cmp_gt_f64_e32 vcc, 0, v[95:96]
	v_mov_b32_e32 v99, v119
	v_add_f64 v[91:92], v[91:92], v[99:100]
	v_xor_b32_e32 v99, 0x80000000, v96
	v_cndmask_b32_e32 v100, v96, v99, vcc
	v_cmp_gt_f64_e32 vcc, 0, v[97:98]
	v_mov_b32_e32 v99, v95
	v_cndmask_b32_e32 v102, v98, v101, vcc
	v_mov_b32_e32 v101, v97
	v_add_f64 v[99:100], v[99:100], v[101:102]
	v_cmp_lt_f64_e32 vcc, v[91:92], v[99:100]
	v_mov_b32_e32 v91, s0
	s_add_i32 s0, s0, 1
	s_cmp_lg_u32 s3, s0
	v_cndmask_b32_e32 v118, v118, v96, vcc
	v_cndmask_b32_e32 v117, v117, v95, vcc
	;; [unrolled: 1-line block ×5, first 2 shown]
	s_cbranch_scc1 .LBB110_1072
.LBB110_1073:
	s_waitcnt lgkmcnt(0)
	v_cmp_eq_f64_e32 vcc, 0, v[117:118]
	v_cmp_eq_f64_e64 s[0:1], 0, v[119:120]
	s_and_b64 s[0:1], vcc, s[0:1]
	s_and_saveexec_b64 s[18:19], s[0:1]
	s_xor_b64 s[0:1], exec, s[18:19]
; %bb.1074:
	v_cmp_ne_u32_e32 vcc, 0, v94
	v_cndmask_b32_e32 v94, 52, v94, vcc
; %bb.1075:
	s_andn2_saveexec_b64 s[0:1], s[0:1]
	s_cbranch_execz .LBB110_1081
; %bb.1076:
	v_cmp_ngt_f64_e64 s[18:19], |v[117:118]|, |v[119:120]|
	s_and_saveexec_b64 s[20:21], s[18:19]
	s_xor_b64 s[18:19], exec, s[20:21]
	s_cbranch_execz .LBB110_1078
; %bb.1077:
	v_div_scale_f64 v[90:91], s[20:21], v[119:120], v[119:120], v[117:118]
	v_rcp_f64_e32 v[95:96], v[90:91]
	v_fma_f64 v[97:98], -v[90:91], v[95:96], 1.0
	v_fma_f64 v[95:96], v[95:96], v[97:98], v[95:96]
	v_div_scale_f64 v[97:98], vcc, v[117:118], v[119:120], v[117:118]
	v_fma_f64 v[99:100], -v[90:91], v[95:96], 1.0
	v_fma_f64 v[95:96], v[95:96], v[99:100], v[95:96]
	v_mul_f64 v[99:100], v[97:98], v[95:96]
	v_fma_f64 v[90:91], -v[90:91], v[99:100], v[97:98]
	v_div_fmas_f64 v[90:91], v[90:91], v[95:96], v[99:100]
	v_div_fixup_f64 v[90:91], v[90:91], v[119:120], v[117:118]
	v_fma_f64 v[95:96], v[117:118], v[90:91], v[119:120]
	v_div_scale_f64 v[97:98], s[20:21], v[95:96], v[95:96], 1.0
	v_div_scale_f64 v[103:104], vcc, 1.0, v[95:96], 1.0
	v_rcp_f64_e32 v[99:100], v[97:98]
	v_fma_f64 v[101:102], -v[97:98], v[99:100], 1.0
	v_fma_f64 v[99:100], v[99:100], v[101:102], v[99:100]
	v_fma_f64 v[101:102], -v[97:98], v[99:100], 1.0
	v_fma_f64 v[99:100], v[99:100], v[101:102], v[99:100]
	v_mul_f64 v[101:102], v[103:104], v[99:100]
	v_fma_f64 v[97:98], -v[97:98], v[101:102], v[103:104]
	v_div_fmas_f64 v[97:98], v[97:98], v[99:100], v[101:102]
	v_div_fixup_f64 v[119:120], v[97:98], v[95:96], 1.0
	v_mul_f64 v[117:118], v[90:91], v[119:120]
	v_xor_b32_e32 v120, 0x80000000, v120
.LBB110_1078:
	s_andn2_saveexec_b64 s[18:19], s[18:19]
	s_cbranch_execz .LBB110_1080
; %bb.1079:
	v_div_scale_f64 v[90:91], s[20:21], v[117:118], v[117:118], v[119:120]
	v_rcp_f64_e32 v[95:96], v[90:91]
	v_fma_f64 v[97:98], -v[90:91], v[95:96], 1.0
	v_fma_f64 v[95:96], v[95:96], v[97:98], v[95:96]
	v_div_scale_f64 v[97:98], vcc, v[119:120], v[117:118], v[119:120]
	v_fma_f64 v[99:100], -v[90:91], v[95:96], 1.0
	v_fma_f64 v[95:96], v[95:96], v[99:100], v[95:96]
	v_mul_f64 v[99:100], v[97:98], v[95:96]
	v_fma_f64 v[90:91], -v[90:91], v[99:100], v[97:98]
	v_div_fmas_f64 v[90:91], v[90:91], v[95:96], v[99:100]
	v_div_fixup_f64 v[90:91], v[90:91], v[117:118], v[119:120]
	v_fma_f64 v[95:96], v[119:120], v[90:91], v[117:118]
	v_div_scale_f64 v[97:98], s[20:21], v[95:96], v[95:96], 1.0
	v_div_scale_f64 v[103:104], vcc, 1.0, v[95:96], 1.0
	v_rcp_f64_e32 v[99:100], v[97:98]
	v_fma_f64 v[101:102], -v[97:98], v[99:100], 1.0
	v_fma_f64 v[99:100], v[99:100], v[101:102], v[99:100]
	v_fma_f64 v[101:102], -v[97:98], v[99:100], 1.0
	v_fma_f64 v[99:100], v[99:100], v[101:102], v[99:100]
	v_mul_f64 v[101:102], v[103:104], v[99:100]
	v_fma_f64 v[97:98], -v[97:98], v[101:102], v[103:104]
	v_div_fmas_f64 v[97:98], v[97:98], v[99:100], v[101:102]
	v_div_fixup_f64 v[117:118], v[97:98], v[95:96], 1.0
	v_mul_f64 v[119:120], v[90:91], -v[117:118]
.LBB110_1080:
	s_or_b64 exec, exec, s[18:19]
.LBB110_1081:
	s_or_b64 exec, exec, s[0:1]
	v_cmp_ne_u32_e32 vcc, v93, v89
	s_and_saveexec_b64 s[0:1], vcc
	s_xor_b64 s[0:1], exec, s[0:1]
	s_cbranch_execz .LBB110_1087
; %bb.1082:
	v_cmp_eq_u32_e32 vcc, 51, v93
	s_and_saveexec_b64 s[18:19], vcc
	s_cbranch_execz .LBB110_1086
; %bb.1083:
	v_cmp_ne_u32_e32 vcc, 51, v89
	s_xor_b64 s[20:21], s[6:7], -1
	s_and_b64 s[22:23], s[20:21], vcc
	s_and_saveexec_b64 s[20:21], s[22:23]
	s_cbranch_execz .LBB110_1085
; %bb.1084:
	buffer_load_dword v81, off, s[24:27], 0 offset:448 ; 4-byte Folded Reload
	buffer_load_dword v82, off, s[24:27], 0 offset:452 ; 4-byte Folded Reload
	v_ashrrev_i32_e32 v90, 31, v89
	v_lshlrev_b64 v[90:91], 2, v[89:90]
	s_waitcnt vmcnt(1)
	v_add_co_u32_e32 v90, vcc, v81, v90
	s_waitcnt vmcnt(0)
	v_addc_co_u32_e32 v91, vcc, v82, v91, vcc
	global_load_dword v92, v[90:91], off
	global_load_dword v93, v[81:82], off offset:204
	s_waitcnt vmcnt(1)
	global_store_dword v[81:82], v92, off offset:204
	v_mov_b32_e32 v81, v105
	v_mov_b32_e32 v82, v106
	;; [unrolled: 1-line block ×4, first 2 shown]
	s_waitcnt vmcnt(1)
	global_store_dword v[90:91], v93, off
.LBB110_1085:
	s_or_b64 exec, exec, s[20:21]
	v_mov_b32_e32 v93, v89
	v_mov_b32_e32 v127, v89
.LBB110_1086:
	s_or_b64 exec, exec, s[18:19]
.LBB110_1087:
	s_andn2_saveexec_b64 s[0:1], s[0:1]
	s_cbranch_execz .LBB110_1089
; %bb.1088:
	v_mov_b32_e32 v93, 51
	ds_write2_b64 v0, v[9:10], v[11:12] offset0:104 offset1:105
	ds_write2_b64 v0, v[5:6], v[7:8] offset0:106 offset1:107
	;; [unrolled: 1-line block ×4, first 2 shown]
.LBB110_1089:
	s_or_b64 exec, exec, s[0:1]
	v_cmp_lt_i32_e32 vcc, 51, v93
	s_waitcnt vmcnt(0) lgkmcnt(0)
	s_barrier
	s_and_saveexec_b64 s[0:1], vcc
	s_cbranch_execz .LBB110_1091
; %bb.1090:
	v_mul_f64 v[89:90], v[117:118], v[15:16]
	v_mul_f64 v[15:16], v[119:120], v[15:16]
	v_fma_f64 v[95:96], v[119:120], v[13:14], v[89:90]
	ds_read2_b64 v[89:92], v0 offset0:104 offset1:105
	v_fma_f64 v[13:14], v[117:118], v[13:14], -v[15:16]
	s_waitcnt lgkmcnt(0)
	v_mul_f64 v[15:16], v[91:92], v[95:96]
	v_fma_f64 v[15:16], v[89:90], v[13:14], -v[15:16]
	v_mul_f64 v[89:90], v[89:90], v[95:96]
	v_add_f64 v[9:10], v[9:10], -v[15:16]
	v_fma_f64 v[89:90], v[91:92], v[13:14], v[89:90]
	v_add_f64 v[11:12], v[11:12], -v[89:90]
	ds_read2_b64 v[89:92], v0 offset0:106 offset1:107
	s_waitcnt lgkmcnt(0)
	v_mul_f64 v[15:16], v[91:92], v[95:96]
	v_fma_f64 v[15:16], v[89:90], v[13:14], -v[15:16]
	v_mul_f64 v[89:90], v[89:90], v[95:96]
	v_add_f64 v[5:6], v[5:6], -v[15:16]
	v_fma_f64 v[89:90], v[91:92], v[13:14], v[89:90]
	v_add_f64 v[7:8], v[7:8], -v[89:90]
	ds_read2_b64 v[89:92], v0 offset0:108 offset1:109
	;; [unrolled: 8-line block ×3, first 2 shown]
	s_waitcnt lgkmcnt(0)
	v_mul_f64 v[15:16], v[91:92], v[95:96]
	v_fma_f64 v[15:16], v[89:90], v[13:14], -v[15:16]
	v_mul_f64 v[89:90], v[89:90], v[95:96]
	v_add_f64 v[121:122], v[121:122], -v[15:16]
	v_fma_f64 v[89:90], v[91:92], v[13:14], v[89:90]
	v_mov_b32_e32 v15, v95
	v_mov_b32_e32 v16, v96
	v_add_f64 v[123:124], v[123:124], -v[89:90]
.LBB110_1091:
	s_or_b64 exec, exec, s[0:1]
	v_lshl_add_u32 v89, v93, 4, v0
	s_barrier
	ds_write2_b64 v89, v[9:10], v[11:12] offset1:1
	s_waitcnt lgkmcnt(0)
	s_barrier
	ds_read2_b64 v[117:120], v0 offset0:104 offset1:105
	s_cmp_lt_i32 s3, 54
	v_mov_b32_e32 v89, 52
	s_cbranch_scc1 .LBB110_1094
; %bb.1092:
	v_add_u32_e32 v90, 0x350, v0
	s_mov_b32 s0, 53
	v_mov_b32_e32 v89, 52
.LBB110_1093:                           ; =>This Inner Loop Header: Depth=1
	s_waitcnt lgkmcnt(0)
	v_cmp_gt_f64_e32 vcc, 0, v[117:118]
	v_xor_b32_e32 v91, 0x80000000, v118
	ds_read2_b64 v[95:98], v90 offset1:1
	v_xor_b32_e32 v99, 0x80000000, v120
	v_add_u32_e32 v90, 16, v90
	s_waitcnt lgkmcnt(0)
	v_xor_b32_e32 v101, 0x80000000, v98
	v_cndmask_b32_e32 v92, v118, v91, vcc
	v_cmp_gt_f64_e32 vcc, 0, v[119:120]
	v_mov_b32_e32 v91, v117
	v_cndmask_b32_e32 v100, v120, v99, vcc
	v_cmp_gt_f64_e32 vcc, 0, v[95:96]
	v_mov_b32_e32 v99, v119
	v_add_f64 v[91:92], v[91:92], v[99:100]
	v_xor_b32_e32 v99, 0x80000000, v96
	v_cndmask_b32_e32 v100, v96, v99, vcc
	v_cmp_gt_f64_e32 vcc, 0, v[97:98]
	v_mov_b32_e32 v99, v95
	v_cndmask_b32_e32 v102, v98, v101, vcc
	v_mov_b32_e32 v101, v97
	v_add_f64 v[99:100], v[99:100], v[101:102]
	v_cmp_lt_f64_e32 vcc, v[91:92], v[99:100]
	v_mov_b32_e32 v91, s0
	s_add_i32 s0, s0, 1
	s_cmp_lg_u32 s3, s0
	v_cndmask_b32_e32 v118, v118, v96, vcc
	v_cndmask_b32_e32 v117, v117, v95, vcc
	;; [unrolled: 1-line block ×5, first 2 shown]
	s_cbranch_scc1 .LBB110_1093
.LBB110_1094:
	s_waitcnt lgkmcnt(0)
	v_cmp_eq_f64_e32 vcc, 0, v[117:118]
	v_cmp_eq_f64_e64 s[0:1], 0, v[119:120]
	s_and_b64 s[0:1], vcc, s[0:1]
	s_and_saveexec_b64 s[18:19], s[0:1]
	s_xor_b64 s[0:1], exec, s[18:19]
; %bb.1095:
	v_cmp_ne_u32_e32 vcc, 0, v94
	v_cndmask_b32_e32 v94, 53, v94, vcc
; %bb.1096:
	s_andn2_saveexec_b64 s[0:1], s[0:1]
	s_cbranch_execz .LBB110_1102
; %bb.1097:
	v_cmp_ngt_f64_e64 s[18:19], |v[117:118]|, |v[119:120]|
	s_and_saveexec_b64 s[20:21], s[18:19]
	s_xor_b64 s[18:19], exec, s[20:21]
	s_cbranch_execz .LBB110_1099
; %bb.1098:
	v_div_scale_f64 v[90:91], s[20:21], v[119:120], v[119:120], v[117:118]
	v_rcp_f64_e32 v[95:96], v[90:91]
	v_fma_f64 v[97:98], -v[90:91], v[95:96], 1.0
	v_fma_f64 v[95:96], v[95:96], v[97:98], v[95:96]
	v_div_scale_f64 v[97:98], vcc, v[117:118], v[119:120], v[117:118]
	v_fma_f64 v[99:100], -v[90:91], v[95:96], 1.0
	v_fma_f64 v[95:96], v[95:96], v[99:100], v[95:96]
	v_mul_f64 v[99:100], v[97:98], v[95:96]
	v_fma_f64 v[90:91], -v[90:91], v[99:100], v[97:98]
	v_div_fmas_f64 v[90:91], v[90:91], v[95:96], v[99:100]
	v_div_fixup_f64 v[90:91], v[90:91], v[119:120], v[117:118]
	v_fma_f64 v[95:96], v[117:118], v[90:91], v[119:120]
	v_div_scale_f64 v[97:98], s[20:21], v[95:96], v[95:96], 1.0
	v_div_scale_f64 v[103:104], vcc, 1.0, v[95:96], 1.0
	v_rcp_f64_e32 v[99:100], v[97:98]
	v_fma_f64 v[101:102], -v[97:98], v[99:100], 1.0
	v_fma_f64 v[99:100], v[99:100], v[101:102], v[99:100]
	v_fma_f64 v[101:102], -v[97:98], v[99:100], 1.0
	v_fma_f64 v[99:100], v[99:100], v[101:102], v[99:100]
	v_mul_f64 v[101:102], v[103:104], v[99:100]
	v_fma_f64 v[97:98], -v[97:98], v[101:102], v[103:104]
	v_div_fmas_f64 v[97:98], v[97:98], v[99:100], v[101:102]
	v_div_fixup_f64 v[119:120], v[97:98], v[95:96], 1.0
	v_mul_f64 v[117:118], v[90:91], v[119:120]
	v_xor_b32_e32 v120, 0x80000000, v120
.LBB110_1099:
	s_andn2_saveexec_b64 s[18:19], s[18:19]
	s_cbranch_execz .LBB110_1101
; %bb.1100:
	v_div_scale_f64 v[90:91], s[20:21], v[117:118], v[117:118], v[119:120]
	v_rcp_f64_e32 v[95:96], v[90:91]
	v_fma_f64 v[97:98], -v[90:91], v[95:96], 1.0
	v_fma_f64 v[95:96], v[95:96], v[97:98], v[95:96]
	v_div_scale_f64 v[97:98], vcc, v[119:120], v[117:118], v[119:120]
	v_fma_f64 v[99:100], -v[90:91], v[95:96], 1.0
	v_fma_f64 v[95:96], v[95:96], v[99:100], v[95:96]
	v_mul_f64 v[99:100], v[97:98], v[95:96]
	v_fma_f64 v[90:91], -v[90:91], v[99:100], v[97:98]
	v_div_fmas_f64 v[90:91], v[90:91], v[95:96], v[99:100]
	v_div_fixup_f64 v[90:91], v[90:91], v[117:118], v[119:120]
	v_fma_f64 v[95:96], v[119:120], v[90:91], v[117:118]
	v_div_scale_f64 v[97:98], s[20:21], v[95:96], v[95:96], 1.0
	v_div_scale_f64 v[103:104], vcc, 1.0, v[95:96], 1.0
	v_rcp_f64_e32 v[99:100], v[97:98]
	v_fma_f64 v[101:102], -v[97:98], v[99:100], 1.0
	v_fma_f64 v[99:100], v[99:100], v[101:102], v[99:100]
	v_fma_f64 v[101:102], -v[97:98], v[99:100], 1.0
	v_fma_f64 v[99:100], v[99:100], v[101:102], v[99:100]
	v_mul_f64 v[101:102], v[103:104], v[99:100]
	v_fma_f64 v[97:98], -v[97:98], v[101:102], v[103:104]
	v_div_fmas_f64 v[97:98], v[97:98], v[99:100], v[101:102]
	v_div_fixup_f64 v[117:118], v[97:98], v[95:96], 1.0
	v_mul_f64 v[119:120], v[90:91], -v[117:118]
.LBB110_1101:
	s_or_b64 exec, exec, s[18:19]
.LBB110_1102:
	s_or_b64 exec, exec, s[0:1]
	v_cmp_ne_u32_e32 vcc, v93, v89
	s_and_saveexec_b64 s[0:1], vcc
	s_xor_b64 s[0:1], exec, s[0:1]
	s_cbranch_execz .LBB110_1108
; %bb.1103:
	v_cmp_eq_u32_e32 vcc, 52, v93
	s_and_saveexec_b64 s[18:19], vcc
	s_cbranch_execz .LBB110_1107
; %bb.1104:
	v_cmp_ne_u32_e32 vcc, 52, v89
	s_xor_b64 s[20:21], s[6:7], -1
	s_and_b64 s[22:23], s[20:21], vcc
	s_and_saveexec_b64 s[20:21], s[22:23]
	s_cbranch_execz .LBB110_1106
; %bb.1105:
	buffer_load_dword v81, off, s[24:27], 0 offset:448 ; 4-byte Folded Reload
	buffer_load_dword v82, off, s[24:27], 0 offset:452 ; 4-byte Folded Reload
	v_ashrrev_i32_e32 v90, 31, v89
	v_lshlrev_b64 v[90:91], 2, v[89:90]
	s_waitcnt vmcnt(1)
	v_add_co_u32_e32 v90, vcc, v81, v90
	s_waitcnt vmcnt(0)
	v_addc_co_u32_e32 v91, vcc, v82, v91, vcc
	global_load_dword v92, v[90:91], off
	global_load_dword v93, v[81:82], off offset:208
	s_waitcnt vmcnt(1)
	global_store_dword v[81:82], v92, off offset:208
	v_mov_b32_e32 v81, v105
	v_mov_b32_e32 v82, v106
	v_mov_b32_e32 v83, v107
	v_mov_b32_e32 v84, v108
	s_waitcnt vmcnt(1)
	global_store_dword v[90:91], v93, off
.LBB110_1106:
	s_or_b64 exec, exec, s[20:21]
	v_mov_b32_e32 v93, v89
	v_mov_b32_e32 v127, v89
.LBB110_1107:
	s_or_b64 exec, exec, s[18:19]
.LBB110_1108:
	s_andn2_saveexec_b64 s[0:1], s[0:1]
	s_cbranch_execz .LBB110_1110
; %bb.1109:
	v_mov_b32_e32 v93, 52
	ds_write2_b64 v0, v[5:6], v[7:8] offset0:106 offset1:107
	ds_write2_b64 v0, v[1:2], v[3:4] offset0:108 offset1:109
	;; [unrolled: 1-line block ×3, first 2 shown]
.LBB110_1110:
	s_or_b64 exec, exec, s[0:1]
	v_cmp_lt_i32_e32 vcc, 52, v93
	s_waitcnt vmcnt(0) lgkmcnt(0)
	s_barrier
	s_and_saveexec_b64 s[0:1], vcc
	s_cbranch_execz .LBB110_1112
; %bb.1111:
	v_mul_f64 v[89:90], v[117:118], v[11:12]
	v_mul_f64 v[11:12], v[119:120], v[11:12]
	v_fma_f64 v[95:96], v[119:120], v[9:10], v[89:90]
	ds_read2_b64 v[89:92], v0 offset0:106 offset1:107
	v_fma_f64 v[9:10], v[117:118], v[9:10], -v[11:12]
	s_waitcnt lgkmcnt(0)
	v_mul_f64 v[11:12], v[91:92], v[95:96]
	v_fma_f64 v[11:12], v[89:90], v[9:10], -v[11:12]
	v_mul_f64 v[89:90], v[89:90], v[95:96]
	v_add_f64 v[5:6], v[5:6], -v[11:12]
	v_fma_f64 v[89:90], v[91:92], v[9:10], v[89:90]
	v_add_f64 v[7:8], v[7:8], -v[89:90]
	ds_read2_b64 v[89:92], v0 offset0:108 offset1:109
	s_waitcnt lgkmcnt(0)
	v_mul_f64 v[11:12], v[91:92], v[95:96]
	v_fma_f64 v[11:12], v[89:90], v[9:10], -v[11:12]
	v_mul_f64 v[89:90], v[89:90], v[95:96]
	v_add_f64 v[1:2], v[1:2], -v[11:12]
	v_fma_f64 v[89:90], v[91:92], v[9:10], v[89:90]
	v_add_f64 v[3:4], v[3:4], -v[89:90]
	ds_read2_b64 v[89:92], v0 offset0:110 offset1:111
	s_waitcnt lgkmcnt(0)
	v_mul_f64 v[11:12], v[91:92], v[95:96]
	v_fma_f64 v[11:12], v[89:90], v[9:10], -v[11:12]
	v_mul_f64 v[89:90], v[89:90], v[95:96]
	v_add_f64 v[121:122], v[121:122], -v[11:12]
	v_fma_f64 v[89:90], v[91:92], v[9:10], v[89:90]
	v_mov_b32_e32 v11, v95
	v_mov_b32_e32 v12, v96
	v_add_f64 v[123:124], v[123:124], -v[89:90]
.LBB110_1112:
	s_or_b64 exec, exec, s[0:1]
	v_lshl_add_u32 v89, v93, 4, v0
	s_barrier
	ds_write2_b64 v89, v[5:6], v[7:8] offset1:1
	s_waitcnt lgkmcnt(0)
	s_barrier
	ds_read2_b64 v[117:120], v0 offset0:106 offset1:107
	s_cmp_lt_i32 s3, 55
	v_mov_b32_e32 v89, 53
	s_cbranch_scc1 .LBB110_1115
; %bb.1113:
	v_add_u32_e32 v90, 0x360, v0
	s_mov_b32 s0, 54
	v_mov_b32_e32 v89, 53
.LBB110_1114:                           ; =>This Inner Loop Header: Depth=1
	s_waitcnt lgkmcnt(0)
	v_cmp_gt_f64_e32 vcc, 0, v[117:118]
	v_xor_b32_e32 v91, 0x80000000, v118
	ds_read2_b64 v[95:98], v90 offset1:1
	v_xor_b32_e32 v99, 0x80000000, v120
	v_add_u32_e32 v90, 16, v90
	s_waitcnt lgkmcnt(0)
	v_xor_b32_e32 v101, 0x80000000, v98
	v_cndmask_b32_e32 v92, v118, v91, vcc
	v_cmp_gt_f64_e32 vcc, 0, v[119:120]
	v_mov_b32_e32 v91, v117
	v_cndmask_b32_e32 v100, v120, v99, vcc
	v_cmp_gt_f64_e32 vcc, 0, v[95:96]
	v_mov_b32_e32 v99, v119
	v_add_f64 v[91:92], v[91:92], v[99:100]
	v_xor_b32_e32 v99, 0x80000000, v96
	v_cndmask_b32_e32 v100, v96, v99, vcc
	v_cmp_gt_f64_e32 vcc, 0, v[97:98]
	v_mov_b32_e32 v99, v95
	v_cndmask_b32_e32 v102, v98, v101, vcc
	v_mov_b32_e32 v101, v97
	v_add_f64 v[99:100], v[99:100], v[101:102]
	v_cmp_lt_f64_e32 vcc, v[91:92], v[99:100]
	v_mov_b32_e32 v91, s0
	s_add_i32 s0, s0, 1
	s_cmp_lg_u32 s3, s0
	v_cndmask_b32_e32 v118, v118, v96, vcc
	v_cndmask_b32_e32 v117, v117, v95, vcc
	;; [unrolled: 1-line block ×5, first 2 shown]
	s_cbranch_scc1 .LBB110_1114
.LBB110_1115:
	s_waitcnt lgkmcnt(0)
	v_cmp_eq_f64_e32 vcc, 0, v[117:118]
	v_cmp_eq_f64_e64 s[0:1], 0, v[119:120]
	s_and_b64 s[0:1], vcc, s[0:1]
	s_and_saveexec_b64 s[18:19], s[0:1]
	s_xor_b64 s[0:1], exec, s[18:19]
; %bb.1116:
	v_cmp_ne_u32_e32 vcc, 0, v94
	v_cndmask_b32_e32 v94, 54, v94, vcc
; %bb.1117:
	s_andn2_saveexec_b64 s[0:1], s[0:1]
	s_cbranch_execz .LBB110_1123
; %bb.1118:
	v_cmp_ngt_f64_e64 s[18:19], |v[117:118]|, |v[119:120]|
	s_and_saveexec_b64 s[20:21], s[18:19]
	s_xor_b64 s[18:19], exec, s[20:21]
	s_cbranch_execz .LBB110_1120
; %bb.1119:
	v_div_scale_f64 v[90:91], s[20:21], v[119:120], v[119:120], v[117:118]
	v_rcp_f64_e32 v[95:96], v[90:91]
	v_fma_f64 v[97:98], -v[90:91], v[95:96], 1.0
	v_fma_f64 v[95:96], v[95:96], v[97:98], v[95:96]
	v_div_scale_f64 v[97:98], vcc, v[117:118], v[119:120], v[117:118]
	v_fma_f64 v[99:100], -v[90:91], v[95:96], 1.0
	v_fma_f64 v[95:96], v[95:96], v[99:100], v[95:96]
	v_mul_f64 v[99:100], v[97:98], v[95:96]
	v_fma_f64 v[90:91], -v[90:91], v[99:100], v[97:98]
	v_div_fmas_f64 v[90:91], v[90:91], v[95:96], v[99:100]
	v_div_fixup_f64 v[90:91], v[90:91], v[119:120], v[117:118]
	v_fma_f64 v[95:96], v[117:118], v[90:91], v[119:120]
	v_div_scale_f64 v[97:98], s[20:21], v[95:96], v[95:96], 1.0
	v_div_scale_f64 v[103:104], vcc, 1.0, v[95:96], 1.0
	v_rcp_f64_e32 v[99:100], v[97:98]
	v_fma_f64 v[101:102], -v[97:98], v[99:100], 1.0
	v_fma_f64 v[99:100], v[99:100], v[101:102], v[99:100]
	v_fma_f64 v[101:102], -v[97:98], v[99:100], 1.0
	v_fma_f64 v[99:100], v[99:100], v[101:102], v[99:100]
	v_mul_f64 v[101:102], v[103:104], v[99:100]
	v_fma_f64 v[97:98], -v[97:98], v[101:102], v[103:104]
	v_div_fmas_f64 v[97:98], v[97:98], v[99:100], v[101:102]
	v_div_fixup_f64 v[119:120], v[97:98], v[95:96], 1.0
	v_mul_f64 v[117:118], v[90:91], v[119:120]
	v_xor_b32_e32 v120, 0x80000000, v120
.LBB110_1120:
	s_andn2_saveexec_b64 s[18:19], s[18:19]
	s_cbranch_execz .LBB110_1122
; %bb.1121:
	v_div_scale_f64 v[90:91], s[20:21], v[117:118], v[117:118], v[119:120]
	v_rcp_f64_e32 v[95:96], v[90:91]
	v_fma_f64 v[97:98], -v[90:91], v[95:96], 1.0
	v_fma_f64 v[95:96], v[95:96], v[97:98], v[95:96]
	v_div_scale_f64 v[97:98], vcc, v[119:120], v[117:118], v[119:120]
	v_fma_f64 v[99:100], -v[90:91], v[95:96], 1.0
	v_fma_f64 v[95:96], v[95:96], v[99:100], v[95:96]
	v_mul_f64 v[99:100], v[97:98], v[95:96]
	v_fma_f64 v[90:91], -v[90:91], v[99:100], v[97:98]
	v_div_fmas_f64 v[90:91], v[90:91], v[95:96], v[99:100]
	v_div_fixup_f64 v[90:91], v[90:91], v[117:118], v[119:120]
	v_fma_f64 v[95:96], v[119:120], v[90:91], v[117:118]
	v_div_scale_f64 v[97:98], s[20:21], v[95:96], v[95:96], 1.0
	v_div_scale_f64 v[103:104], vcc, 1.0, v[95:96], 1.0
	v_rcp_f64_e32 v[99:100], v[97:98]
	v_fma_f64 v[101:102], -v[97:98], v[99:100], 1.0
	v_fma_f64 v[99:100], v[99:100], v[101:102], v[99:100]
	v_fma_f64 v[101:102], -v[97:98], v[99:100], 1.0
	v_fma_f64 v[99:100], v[99:100], v[101:102], v[99:100]
	v_mul_f64 v[101:102], v[103:104], v[99:100]
	v_fma_f64 v[97:98], -v[97:98], v[101:102], v[103:104]
	v_div_fmas_f64 v[97:98], v[97:98], v[99:100], v[101:102]
	v_div_fixup_f64 v[117:118], v[97:98], v[95:96], 1.0
	v_mul_f64 v[119:120], v[90:91], -v[117:118]
.LBB110_1122:
	s_or_b64 exec, exec, s[18:19]
.LBB110_1123:
	s_or_b64 exec, exec, s[0:1]
	v_cmp_ne_u32_e32 vcc, v93, v89
	s_and_saveexec_b64 s[0:1], vcc
	s_xor_b64 s[0:1], exec, s[0:1]
	s_cbranch_execz .LBB110_1129
; %bb.1124:
	v_cmp_eq_u32_e32 vcc, 53, v93
	s_and_saveexec_b64 s[18:19], vcc
	s_cbranch_execz .LBB110_1128
; %bb.1125:
	v_cmp_ne_u32_e32 vcc, 53, v89
	s_xor_b64 s[20:21], s[6:7], -1
	s_and_b64 s[22:23], s[20:21], vcc
	s_and_saveexec_b64 s[20:21], s[22:23]
	s_cbranch_execz .LBB110_1127
; %bb.1126:
	buffer_load_dword v81, off, s[24:27], 0 offset:448 ; 4-byte Folded Reload
	buffer_load_dword v82, off, s[24:27], 0 offset:452 ; 4-byte Folded Reload
	v_ashrrev_i32_e32 v90, 31, v89
	v_lshlrev_b64 v[90:91], 2, v[89:90]
	s_waitcnt vmcnt(1)
	v_add_co_u32_e32 v90, vcc, v81, v90
	s_waitcnt vmcnt(0)
	v_addc_co_u32_e32 v91, vcc, v82, v91, vcc
	global_load_dword v92, v[90:91], off
	global_load_dword v93, v[81:82], off offset:212
	s_waitcnt vmcnt(1)
	global_store_dword v[81:82], v92, off offset:212
	v_mov_b32_e32 v81, v105
	v_mov_b32_e32 v82, v106
	;; [unrolled: 1-line block ×4, first 2 shown]
	s_waitcnt vmcnt(1)
	global_store_dword v[90:91], v93, off
.LBB110_1127:
	s_or_b64 exec, exec, s[20:21]
	v_mov_b32_e32 v93, v89
	v_mov_b32_e32 v127, v89
.LBB110_1128:
	s_or_b64 exec, exec, s[18:19]
.LBB110_1129:
	s_andn2_saveexec_b64 s[0:1], s[0:1]
	s_cbranch_execz .LBB110_1131
; %bb.1130:
	v_mov_b32_e32 v93, 53
	ds_write2_b64 v0, v[1:2], v[3:4] offset0:108 offset1:109
	ds_write2_b64 v0, v[121:122], v[123:124] offset0:110 offset1:111
.LBB110_1131:
	s_or_b64 exec, exec, s[0:1]
	v_cmp_lt_i32_e32 vcc, 53, v93
	s_waitcnt vmcnt(0) lgkmcnt(0)
	s_barrier
	s_and_saveexec_b64 s[0:1], vcc
	s_cbranch_execz .LBB110_1133
; %bb.1132:
	v_mul_f64 v[89:90], v[117:118], v[7:8]
	v_mul_f64 v[7:8], v[119:120], v[7:8]
	v_fma_f64 v[95:96], v[119:120], v[5:6], v[89:90]
	ds_read2_b64 v[89:92], v0 offset0:108 offset1:109
	v_fma_f64 v[5:6], v[117:118], v[5:6], -v[7:8]
	s_waitcnt lgkmcnt(0)
	v_mul_f64 v[7:8], v[91:92], v[95:96]
	v_fma_f64 v[7:8], v[89:90], v[5:6], -v[7:8]
	v_mul_f64 v[89:90], v[89:90], v[95:96]
	v_add_f64 v[1:2], v[1:2], -v[7:8]
	v_fma_f64 v[89:90], v[91:92], v[5:6], v[89:90]
	v_add_f64 v[3:4], v[3:4], -v[89:90]
	ds_read2_b64 v[89:92], v0 offset0:110 offset1:111
	s_waitcnt lgkmcnt(0)
	v_mul_f64 v[7:8], v[91:92], v[95:96]
	v_fma_f64 v[7:8], v[89:90], v[5:6], -v[7:8]
	v_mul_f64 v[89:90], v[89:90], v[95:96]
	v_add_f64 v[121:122], v[121:122], -v[7:8]
	v_fma_f64 v[89:90], v[91:92], v[5:6], v[89:90]
	v_mov_b32_e32 v7, v95
	v_mov_b32_e32 v8, v96
	v_add_f64 v[123:124], v[123:124], -v[89:90]
.LBB110_1133:
	s_or_b64 exec, exec, s[0:1]
	v_lshl_add_u32 v89, v93, 4, v0
	s_barrier
	ds_write2_b64 v89, v[1:2], v[3:4] offset1:1
	s_waitcnt lgkmcnt(0)
	s_barrier
	ds_read2_b64 v[117:120], v0 offset0:108 offset1:109
	s_cmp_lt_i32 s3, 56
	v_mov_b32_e32 v89, 54
	s_cbranch_scc1 .LBB110_1136
; %bb.1134:
	v_add_u32_e32 v90, 0x370, v0
	s_mov_b32 s0, 55
	v_mov_b32_e32 v89, 54
.LBB110_1135:                           ; =>This Inner Loop Header: Depth=1
	s_waitcnt lgkmcnt(0)
	v_cmp_gt_f64_e32 vcc, 0, v[117:118]
	v_xor_b32_e32 v91, 0x80000000, v118
	ds_read2_b64 v[95:98], v90 offset1:1
	v_xor_b32_e32 v99, 0x80000000, v120
	v_add_u32_e32 v90, 16, v90
	s_waitcnt lgkmcnt(0)
	v_xor_b32_e32 v101, 0x80000000, v98
	v_cndmask_b32_e32 v92, v118, v91, vcc
	v_cmp_gt_f64_e32 vcc, 0, v[119:120]
	v_mov_b32_e32 v91, v117
	v_cndmask_b32_e32 v100, v120, v99, vcc
	v_cmp_gt_f64_e32 vcc, 0, v[95:96]
	v_mov_b32_e32 v99, v119
	v_add_f64 v[91:92], v[91:92], v[99:100]
	v_xor_b32_e32 v99, 0x80000000, v96
	v_cndmask_b32_e32 v100, v96, v99, vcc
	v_cmp_gt_f64_e32 vcc, 0, v[97:98]
	v_mov_b32_e32 v99, v95
	v_cndmask_b32_e32 v102, v98, v101, vcc
	v_mov_b32_e32 v101, v97
	v_add_f64 v[99:100], v[99:100], v[101:102]
	v_cmp_lt_f64_e32 vcc, v[91:92], v[99:100]
	v_mov_b32_e32 v91, s0
	s_add_i32 s0, s0, 1
	s_cmp_lg_u32 s3, s0
	v_cndmask_b32_e32 v118, v118, v96, vcc
	v_cndmask_b32_e32 v117, v117, v95, vcc
	;; [unrolled: 1-line block ×5, first 2 shown]
	s_cbranch_scc1 .LBB110_1135
.LBB110_1136:
	s_waitcnt lgkmcnt(0)
	v_cmp_eq_f64_e32 vcc, 0, v[117:118]
	v_cmp_eq_f64_e64 s[0:1], 0, v[119:120]
	s_and_b64 s[0:1], vcc, s[0:1]
	s_and_saveexec_b64 s[18:19], s[0:1]
	s_xor_b64 s[0:1], exec, s[18:19]
; %bb.1137:
	v_cmp_ne_u32_e32 vcc, 0, v94
	v_cndmask_b32_e32 v94, 55, v94, vcc
; %bb.1138:
	s_andn2_saveexec_b64 s[0:1], s[0:1]
	s_cbranch_execz .LBB110_1144
; %bb.1139:
	v_cmp_ngt_f64_e64 s[18:19], |v[117:118]|, |v[119:120]|
	s_and_saveexec_b64 s[20:21], s[18:19]
	s_xor_b64 s[18:19], exec, s[20:21]
	s_cbranch_execz .LBB110_1141
; %bb.1140:
	v_div_scale_f64 v[90:91], s[20:21], v[119:120], v[119:120], v[117:118]
	v_rcp_f64_e32 v[95:96], v[90:91]
	v_fma_f64 v[97:98], -v[90:91], v[95:96], 1.0
	v_fma_f64 v[95:96], v[95:96], v[97:98], v[95:96]
	v_div_scale_f64 v[97:98], vcc, v[117:118], v[119:120], v[117:118]
	v_fma_f64 v[99:100], -v[90:91], v[95:96], 1.0
	v_fma_f64 v[95:96], v[95:96], v[99:100], v[95:96]
	v_mul_f64 v[99:100], v[97:98], v[95:96]
	v_fma_f64 v[90:91], -v[90:91], v[99:100], v[97:98]
	v_div_fmas_f64 v[90:91], v[90:91], v[95:96], v[99:100]
	v_div_fixup_f64 v[90:91], v[90:91], v[119:120], v[117:118]
	v_fma_f64 v[95:96], v[117:118], v[90:91], v[119:120]
	v_div_scale_f64 v[97:98], s[20:21], v[95:96], v[95:96], 1.0
	v_div_scale_f64 v[103:104], vcc, 1.0, v[95:96], 1.0
	v_rcp_f64_e32 v[99:100], v[97:98]
	v_fma_f64 v[101:102], -v[97:98], v[99:100], 1.0
	v_fma_f64 v[99:100], v[99:100], v[101:102], v[99:100]
	v_fma_f64 v[101:102], -v[97:98], v[99:100], 1.0
	v_fma_f64 v[99:100], v[99:100], v[101:102], v[99:100]
	v_mul_f64 v[101:102], v[103:104], v[99:100]
	v_fma_f64 v[97:98], -v[97:98], v[101:102], v[103:104]
	v_div_fmas_f64 v[97:98], v[97:98], v[99:100], v[101:102]
	v_div_fixup_f64 v[119:120], v[97:98], v[95:96], 1.0
	v_mul_f64 v[117:118], v[90:91], v[119:120]
	v_xor_b32_e32 v120, 0x80000000, v120
.LBB110_1141:
	s_andn2_saveexec_b64 s[18:19], s[18:19]
	s_cbranch_execz .LBB110_1143
; %bb.1142:
	v_div_scale_f64 v[90:91], s[20:21], v[117:118], v[117:118], v[119:120]
	v_rcp_f64_e32 v[95:96], v[90:91]
	v_fma_f64 v[97:98], -v[90:91], v[95:96], 1.0
	v_fma_f64 v[95:96], v[95:96], v[97:98], v[95:96]
	v_div_scale_f64 v[97:98], vcc, v[119:120], v[117:118], v[119:120]
	v_fma_f64 v[99:100], -v[90:91], v[95:96], 1.0
	v_fma_f64 v[95:96], v[95:96], v[99:100], v[95:96]
	v_mul_f64 v[99:100], v[97:98], v[95:96]
	v_fma_f64 v[90:91], -v[90:91], v[99:100], v[97:98]
	v_div_fmas_f64 v[90:91], v[90:91], v[95:96], v[99:100]
	v_div_fixup_f64 v[90:91], v[90:91], v[117:118], v[119:120]
	v_fma_f64 v[95:96], v[119:120], v[90:91], v[117:118]
	v_div_scale_f64 v[97:98], s[20:21], v[95:96], v[95:96], 1.0
	v_div_scale_f64 v[103:104], vcc, 1.0, v[95:96], 1.0
	v_rcp_f64_e32 v[99:100], v[97:98]
	v_fma_f64 v[101:102], -v[97:98], v[99:100], 1.0
	v_fma_f64 v[99:100], v[99:100], v[101:102], v[99:100]
	v_fma_f64 v[101:102], -v[97:98], v[99:100], 1.0
	v_fma_f64 v[99:100], v[99:100], v[101:102], v[99:100]
	v_mul_f64 v[101:102], v[103:104], v[99:100]
	v_fma_f64 v[97:98], -v[97:98], v[101:102], v[103:104]
	v_div_fmas_f64 v[97:98], v[97:98], v[99:100], v[101:102]
	v_div_fixup_f64 v[117:118], v[97:98], v[95:96], 1.0
	v_mul_f64 v[119:120], v[90:91], -v[117:118]
.LBB110_1143:
	s_or_b64 exec, exec, s[18:19]
.LBB110_1144:
	s_or_b64 exec, exec, s[0:1]
	v_cmp_ne_u32_e32 vcc, v93, v89
	s_and_saveexec_b64 s[0:1], vcc
	s_xor_b64 s[0:1], exec, s[0:1]
	s_cbranch_execz .LBB110_1150
; %bb.1145:
	v_cmp_eq_u32_e32 vcc, 54, v93
	s_and_saveexec_b64 s[18:19], vcc
	s_cbranch_execz .LBB110_1149
; %bb.1146:
	v_cmp_ne_u32_e32 vcc, 54, v89
	s_xor_b64 s[20:21], s[6:7], -1
	s_and_b64 s[22:23], s[20:21], vcc
	s_and_saveexec_b64 s[20:21], s[22:23]
	s_cbranch_execz .LBB110_1148
; %bb.1147:
	buffer_load_dword v81, off, s[24:27], 0 offset:448 ; 4-byte Folded Reload
	buffer_load_dword v82, off, s[24:27], 0 offset:452 ; 4-byte Folded Reload
	v_ashrrev_i32_e32 v90, 31, v89
	v_lshlrev_b64 v[90:91], 2, v[89:90]
	s_waitcnt vmcnt(1)
	v_add_co_u32_e32 v90, vcc, v81, v90
	s_waitcnt vmcnt(0)
	v_addc_co_u32_e32 v91, vcc, v82, v91, vcc
	global_load_dword v92, v[90:91], off
	global_load_dword v93, v[81:82], off offset:216
	s_waitcnt vmcnt(1)
	global_store_dword v[81:82], v92, off offset:216
	v_mov_b32_e32 v81, v105
	v_mov_b32_e32 v82, v106
	;; [unrolled: 1-line block ×4, first 2 shown]
	s_waitcnt vmcnt(1)
	global_store_dword v[90:91], v93, off
.LBB110_1148:
	s_or_b64 exec, exec, s[20:21]
	v_mov_b32_e32 v93, v89
	v_mov_b32_e32 v127, v89
.LBB110_1149:
	s_or_b64 exec, exec, s[18:19]
.LBB110_1150:
	s_andn2_saveexec_b64 s[0:1], s[0:1]
; %bb.1151:
	v_mov_b32_e32 v93, 54
	ds_write2_b64 v0, v[121:122], v[123:124] offset0:110 offset1:111
; %bb.1152:
	s_or_b64 exec, exec, s[0:1]
	v_cmp_lt_i32_e32 vcc, 54, v93
	s_waitcnt vmcnt(0) lgkmcnt(0)
	s_barrier
	s_and_saveexec_b64 s[0:1], vcc
	s_cbranch_execz .LBB110_1154
; %bb.1153:
	v_mul_f64 v[89:90], v[117:118], v[3:4]
	v_mul_f64 v[3:4], v[119:120], v[3:4]
	v_fma_f64 v[95:96], v[119:120], v[1:2], v[89:90]
	ds_read2_b64 v[89:92], v0 offset0:110 offset1:111
	v_fma_f64 v[1:2], v[117:118], v[1:2], -v[3:4]
	s_waitcnt lgkmcnt(0)
	v_mul_f64 v[3:4], v[91:92], v[95:96]
	v_fma_f64 v[3:4], v[89:90], v[1:2], -v[3:4]
	v_mul_f64 v[89:90], v[89:90], v[95:96]
	v_add_f64 v[121:122], v[121:122], -v[3:4]
	v_fma_f64 v[89:90], v[91:92], v[1:2], v[89:90]
	v_mov_b32_e32 v3, v95
	v_mov_b32_e32 v4, v96
	v_add_f64 v[123:124], v[123:124], -v[89:90]
.LBB110_1154:
	s_or_b64 exec, exec, s[0:1]
	v_lshl_add_u32 v89, v93, 4, v0
	s_barrier
	ds_write2_b64 v89, v[121:122], v[123:124] offset1:1
	s_waitcnt lgkmcnt(0)
	s_barrier
	ds_read2_b64 v[117:120], v0 offset0:110 offset1:111
	s_cmp_lt_i32 s3, 57
	v_mov_b32_e32 v89, 55
	s_cbranch_scc1 .LBB110_1157
; %bb.1155:
	v_add_u32_e32 v0, 0x380, v0
	s_mov_b32 s0, 56
	v_mov_b32_e32 v89, 55
.LBB110_1156:                           ; =>This Inner Loop Header: Depth=1
	s_waitcnt lgkmcnt(0)
	v_cmp_gt_f64_e32 vcc, 0, v[117:118]
	v_xor_b32_e32 v90, 0x80000000, v118
	ds_read2_b64 v[95:98], v0 offset1:1
	v_xor_b32_e32 v92, 0x80000000, v120
	v_mov_b32_e32 v99, v119
	v_add_u32_e32 v0, 16, v0
	s_waitcnt lgkmcnt(0)
	v_mov_b32_e32 v101, v97
	v_cndmask_b32_e32 v91, v118, v90, vcc
	v_cmp_gt_f64_e32 vcc, 0, v[119:120]
	v_mov_b32_e32 v90, v117
	v_cndmask_b32_e32 v100, v120, v92, vcc
	v_cmp_gt_f64_e32 vcc, 0, v[95:96]
	v_xor_b32_e32 v92, 0x80000000, v96
	v_add_f64 v[90:91], v[90:91], v[99:100]
	v_mov_b32_e32 v99, v95
	v_cndmask_b32_e32 v100, v96, v92, vcc
	v_cmp_gt_f64_e32 vcc, 0, v[97:98]
	v_xor_b32_e32 v92, 0x80000000, v98
	v_cndmask_b32_e32 v102, v98, v92, vcc
	v_add_f64 v[99:100], v[99:100], v[101:102]
	v_cmp_lt_f64_e32 vcc, v[90:91], v[99:100]
	v_mov_b32_e32 v90, s0
	s_add_i32 s0, s0, 1
	s_cmp_lg_u32 s3, s0
	v_cndmask_b32_e32 v118, v118, v96, vcc
	v_cndmask_b32_e32 v117, v117, v95, vcc
	;; [unrolled: 1-line block ×5, first 2 shown]
	s_cbranch_scc1 .LBB110_1156
.LBB110_1157:
	s_waitcnt lgkmcnt(0)
	v_cmp_eq_f64_e32 vcc, 0, v[117:118]
	v_cmp_eq_f64_e64 s[0:1], 0, v[119:120]
	s_and_b64 s[0:1], vcc, s[0:1]
	s_and_saveexec_b64 s[18:19], s[0:1]
	s_xor_b64 s[0:1], exec, s[18:19]
; %bb.1158:
	v_cmp_ne_u32_e32 vcc, 0, v94
	v_cndmask_b32_e32 v94, 56, v94, vcc
; %bb.1159:
	s_andn2_saveexec_b64 s[0:1], s[0:1]
	s_cbranch_execz .LBB110_1165
; %bb.1160:
	v_cmp_ngt_f64_e64 s[18:19], |v[117:118]|, |v[119:120]|
	s_and_saveexec_b64 s[20:21], s[18:19]
	s_xor_b64 s[18:19], exec, s[20:21]
	s_cbranch_execz .LBB110_1162
; %bb.1161:
	v_div_scale_f64 v[90:91], s[20:21], v[119:120], v[119:120], v[117:118]
	v_rcp_f64_e32 v[95:96], v[90:91]
	v_fma_f64 v[97:98], -v[90:91], v[95:96], 1.0
	v_fma_f64 v[95:96], v[95:96], v[97:98], v[95:96]
	v_div_scale_f64 v[97:98], vcc, v[117:118], v[119:120], v[117:118]
	v_fma_f64 v[99:100], -v[90:91], v[95:96], 1.0
	v_fma_f64 v[95:96], v[95:96], v[99:100], v[95:96]
	v_mul_f64 v[99:100], v[97:98], v[95:96]
	v_fma_f64 v[90:91], -v[90:91], v[99:100], v[97:98]
	v_div_fmas_f64 v[90:91], v[90:91], v[95:96], v[99:100]
	v_div_fixup_f64 v[90:91], v[90:91], v[119:120], v[117:118]
	v_fma_f64 v[95:96], v[117:118], v[90:91], v[119:120]
	v_div_scale_f64 v[97:98], s[20:21], v[95:96], v[95:96], 1.0
	v_div_scale_f64 v[103:104], vcc, 1.0, v[95:96], 1.0
	v_rcp_f64_e32 v[99:100], v[97:98]
	v_fma_f64 v[101:102], -v[97:98], v[99:100], 1.0
	v_fma_f64 v[99:100], v[99:100], v[101:102], v[99:100]
	v_fma_f64 v[101:102], -v[97:98], v[99:100], 1.0
	v_fma_f64 v[99:100], v[99:100], v[101:102], v[99:100]
	v_mul_f64 v[101:102], v[103:104], v[99:100]
	v_fma_f64 v[97:98], -v[97:98], v[101:102], v[103:104]
	v_div_fmas_f64 v[97:98], v[97:98], v[99:100], v[101:102]
	v_div_fixup_f64 v[119:120], v[97:98], v[95:96], 1.0
	v_mul_f64 v[117:118], v[90:91], v[119:120]
	v_xor_b32_e32 v120, 0x80000000, v120
.LBB110_1162:
	s_andn2_saveexec_b64 s[18:19], s[18:19]
	s_cbranch_execz .LBB110_1164
; %bb.1163:
	v_div_scale_f64 v[90:91], s[20:21], v[117:118], v[117:118], v[119:120]
	v_rcp_f64_e32 v[95:96], v[90:91]
	v_fma_f64 v[97:98], -v[90:91], v[95:96], 1.0
	v_fma_f64 v[95:96], v[95:96], v[97:98], v[95:96]
	v_div_scale_f64 v[97:98], vcc, v[119:120], v[117:118], v[119:120]
	v_fma_f64 v[99:100], -v[90:91], v[95:96], 1.0
	v_fma_f64 v[95:96], v[95:96], v[99:100], v[95:96]
	v_mul_f64 v[99:100], v[97:98], v[95:96]
	v_fma_f64 v[90:91], -v[90:91], v[99:100], v[97:98]
	v_div_fmas_f64 v[90:91], v[90:91], v[95:96], v[99:100]
	v_div_fixup_f64 v[90:91], v[90:91], v[117:118], v[119:120]
	v_fma_f64 v[95:96], v[119:120], v[90:91], v[117:118]
	v_div_scale_f64 v[97:98], s[20:21], v[95:96], v[95:96], 1.0
	v_div_scale_f64 v[103:104], vcc, 1.0, v[95:96], 1.0
	v_rcp_f64_e32 v[99:100], v[97:98]
	v_fma_f64 v[101:102], -v[97:98], v[99:100], 1.0
	v_fma_f64 v[99:100], v[99:100], v[101:102], v[99:100]
	v_fma_f64 v[101:102], -v[97:98], v[99:100], 1.0
	v_fma_f64 v[99:100], v[99:100], v[101:102], v[99:100]
	v_mul_f64 v[101:102], v[103:104], v[99:100]
	v_fma_f64 v[97:98], -v[97:98], v[101:102], v[103:104]
	v_div_fmas_f64 v[97:98], v[97:98], v[99:100], v[101:102]
	v_div_fixup_f64 v[117:118], v[97:98], v[95:96], 1.0
	v_mul_f64 v[119:120], v[90:91], -v[117:118]
.LBB110_1164:
	s_or_b64 exec, exec, s[18:19]
.LBB110_1165:
	s_or_b64 exec, exec, s[0:1]
	v_cmp_ne_u32_e32 vcc, v93, v89
	v_mov_b32_e32 v90, 55
	s_and_saveexec_b64 s[0:1], vcc
	s_cbranch_execz .LBB110_1171
; %bb.1166:
	v_cmp_eq_u32_e32 vcc, 55, v93
	s_and_saveexec_b64 s[18:19], vcc
	s_cbranch_execz .LBB110_1170
; %bb.1167:
	v_cmp_ne_u32_e32 vcc, 55, v89
	s_xor_b64 s[6:7], s[6:7], -1
	s_and_b64 s[20:21], s[6:7], vcc
	s_and_saveexec_b64 s[6:7], s[20:21]
	s_cbranch_execz .LBB110_1169
; %bb.1168:
	buffer_load_dword v81, off, s[24:27], 0 offset:448 ; 4-byte Folded Reload
	buffer_load_dword v82, off, s[24:27], 0 offset:452 ; 4-byte Folded Reload
	v_ashrrev_i32_e32 v90, 31, v89
	v_lshlrev_b64 v[90:91], 2, v[89:90]
	s_waitcnt vmcnt(1)
	v_add_co_u32_e32 v90, vcc, v81, v90
	s_waitcnt vmcnt(0)
	v_addc_co_u32_e32 v91, vcc, v82, v91, vcc
	global_load_dword v0, v[90:91], off
	global_load_dword v92, v[81:82], off offset:220
	s_waitcnt vmcnt(1)
	global_store_dword v[81:82], v0, off offset:220
	v_mov_b32_e32 v81, v105
	v_mov_b32_e32 v82, v106
	;; [unrolled: 1-line block ×4, first 2 shown]
	s_waitcnt vmcnt(1)
	global_store_dword v[90:91], v92, off
.LBB110_1169:
	s_or_b64 exec, exec, s[6:7]
	v_mov_b32_e32 v93, v89
	v_mov_b32_e32 v127, v89
.LBB110_1170:
	s_or_b64 exec, exec, s[18:19]
	v_mov_b32_e32 v90, v93
.LBB110_1171:
	s_or_b64 exec, exec, s[0:1]
	v_cmp_gt_i32_e32 vcc, 56, v90
	v_ashrrev_i32_e32 v91, 31, v90
	s_waitcnt vmcnt(0)
	s_barrier
	s_barrier
	s_and_saveexec_b64 s[0:1], vcc
	s_cbranch_execz .LBB110_1173
; %bb.1172:
	buffer_load_dword v73, off, s[24:27], 0 offset:528 ; 4-byte Folded Reload
	buffer_load_dword v74, off, s[24:27], 0 offset:532 ; 4-byte Folded Reload
	s_waitcnt vmcnt(1)
	v_mul_lo_u32 v0, s15, v73
	s_waitcnt vmcnt(0)
	v_mul_lo_u32 v89, s14, v74
	v_mad_u64_u32 v[92:93], s[6:7], s14, v73, 0
	s_lshl_b64 s[6:7], s[12:13], 2
	v_add3_u32 v93, v93, v89, v0
	v_lshlrev_b64 v[92:93], 2, v[92:93]
	v_mov_b32_e32 v0, s11
	v_add_co_u32_e32 v89, vcc, s10, v92
	v_addc_co_u32_e32 v0, vcc, v0, v93, vcc
	v_mov_b32_e32 v92, s7
	v_add_co_u32_e32 v89, vcc, s6, v89
	v_addc_co_u32_e32 v0, vcc, v0, v92, vcc
	v_lshlrev_b64 v[92:93], 2, v[90:91]
	v_add_co_u32_e32 v92, vcc, v89, v92
	v_addc_co_u32_e32 v93, vcc, v0, v93, vcc
	v_add3_u32 v0, v127, s17, 1
	global_store_dword v[92:93], v0, off
.LBB110_1173:
	s_or_b64 exec, exec, s[0:1]
	v_cmp_eq_u32_e32 vcc, 0, v90
	s_and_saveexec_b64 s[6:7], vcc
	s_cbranch_execz .LBB110_1176
; %bb.1174:
	buffer_load_dword v73, off, s[24:27], 0 offset:528 ; 4-byte Folded Reload
	buffer_load_dword v74, off, s[24:27], 0 offset:532 ; 4-byte Folded Reload
	v_mov_b32_e32 v0, s5
	v_cmp_ne_u32_e64 s[0:1], 0, v94
	s_waitcnt vmcnt(0)
	v_lshlrev_b64 v[92:93], 2, v[73:74]
	v_add_co_u32_e32 v92, vcc, s4, v92
	v_addc_co_u32_e32 v93, vcc, v0, v93, vcc
	global_load_dword v0, v[92:93], off
	s_waitcnt vmcnt(0)
	v_cmp_eq_u32_e32 vcc, 0, v0
	s_and_b64 s[0:1], vcc, s[0:1]
	s_and_b64 exec, exec, s[0:1]
	s_cbranch_execz .LBB110_1176
; %bb.1175:
	v_add_u32_e32 v0, s17, v94
	global_store_dword v[92:93], v0, off
.LBB110_1176:
	s_or_b64 exec, exec, s[6:7]
	v_mul_f64 v[92:93], v[117:118], v[123:124]
	v_mul_f64 v[94:95], v[119:120], v[123:124]
	v_cmp_lt_i32_e32 vcc, 55, v90
	v_mov_b32_e32 v0, s9
	v_add_u32_e32 v89, s16, v90
	v_fma_f64 v[92:93], v[119:120], v[121:122], v[92:93]
	v_fma_f64 v[94:95], v[117:118], v[121:122], -v[94:95]
	v_cndmask_b32_e32 v120, v124, v93, vcc
	buffer_load_dword v93, off, s[24:27], 0 offset:520 ; 4-byte Folded Reload
	v_cndmask_b32_e32 v117, v121, v94, vcc
	buffer_load_dword v94, off, s[24:27], 0 offset:524 ; 4-byte Folded Reload
	buffer_load_dword v73, off, s[24:27], 0 offset:504 ; 4-byte Folded Reload
	;; [unrolled: 1-line block ×5, first 2 shown]
	v_cndmask_b32_e32 v119, v123, v92, vcc
	v_lshlrev_b64 v[91:92], 4, v[90:91]
	v_cndmask_b32_e32 v118, v122, v95, vcc
	v_ashrrev_i32_e32 v90, 31, v89
	s_waitcnt vmcnt(5)
	v_add_co_u32_e32 v91, vcc, v93, v91
	s_waitcnt vmcnt(4)
	v_addc_co_u32_e32 v92, vcc, v94, v92, vcc
	s_waitcnt vmcnt(0)
	global_store_dwordx4 v[91:92], v[73:76], off
	buffer_load_dword v73, off, s[24:27], 0 offset:488 ; 4-byte Folded Reload
	s_nop 0
	buffer_load_dword v74, off, s[24:27], 0 offset:492 ; 4-byte Folded Reload
	buffer_load_dword v75, off, s[24:27], 0 offset:496 ; 4-byte Folded Reload
	;; [unrolled: 1-line block ×3, first 2 shown]
	v_add_co_u32_e32 v91, vcc, s8, v91
	v_addc_co_u32_e32 v92, vcc, v92, v0, vcc
	s_waitcnt vmcnt(0)
	global_store_dwordx4 v[91:92], v[73:76], off
	buffer_load_dword v73, off, s[24:27], 0 offset:472 ; 4-byte Folded Reload
	s_nop 0
	buffer_load_dword v74, off, s[24:27], 0 offset:476 ; 4-byte Folded Reload
	buffer_load_dword v75, off, s[24:27], 0 offset:480 ; 4-byte Folded Reload
	;; [unrolled: 1-line block ×3, first 2 shown]
	v_lshlrev_b64 v[90:91], 4, v[89:90]
	v_add_u32_e32 v89, s2, v89
	v_add_co_u32_e32 v90, vcc, v93, v90
	v_addc_co_u32_e32 v91, vcc, v94, v91, vcc
	s_waitcnt vmcnt(0)
	global_store_dwordx4 v[90:91], v[73:76], off
	buffer_load_dword v73, off, s[24:27], 0 offset:456 ; 4-byte Folded Reload
	s_nop 0
	buffer_load_dword v74, off, s[24:27], 0 offset:460 ; 4-byte Folded Reload
	buffer_load_dword v75, off, s[24:27], 0 offset:464 ; 4-byte Folded Reload
	buffer_load_dword v76, off, s[24:27], 0 offset:468 ; 4-byte Folded Reload
	v_ashrrev_i32_e32 v90, 31, v89
	v_lshlrev_b64 v[90:91], 4, v[89:90]
	v_add_u32_e32 v89, s2, v89
	v_add_co_u32_e32 v90, vcc, v93, v90
	v_addc_co_u32_e32 v91, vcc, v94, v91, vcc
	s_waitcnt vmcnt(0)
	global_store_dwordx4 v[90:91], v[73:76], off
	buffer_load_dword v73, off, s[24:27], 0 offset:432 ; 4-byte Folded Reload
	s_nop 0
	buffer_load_dword v74, off, s[24:27], 0 offset:436 ; 4-byte Folded Reload
	buffer_load_dword v75, off, s[24:27], 0 offset:440 ; 4-byte Folded Reload
	buffer_load_dword v76, off, s[24:27], 0 offset:444 ; 4-byte Folded Reload
	v_ashrrev_i32_e32 v90, 31, v89
	;; [unrolled: 12-line block ×28, first 2 shown]
	v_lshlrev_b64 v[90:91], 4, v[89:90]
	v_add_u32_e32 v89, s2, v89
	v_add_co_u32_e32 v90, vcc, v93, v90
	v_addc_co_u32_e32 v91, vcc, v94, v91, vcc
	s_waitcnt vmcnt(0)
	global_store_dwordx4 v[90:91], v[73:76], off
	v_ashrrev_i32_e32 v90, 31, v89
	v_lshlrev_b64 v[90:91], 4, v[89:90]
	v_add_u32_e32 v89, s2, v89
	v_add_co_u32_e32 v90, vcc, v93, v90
	v_addc_co_u32_e32 v91, vcc, v94, v91, vcc
	global_store_dwordx4 v[90:91], v[81:84], off
	v_ashrrev_i32_e32 v90, 31, v89
	v_lshlrev_b64 v[90:91], 4, v[89:90]
	v_add_u32_e32 v89, s2, v89
	v_add_co_u32_e32 v90, vcc, v93, v90
	v_addc_co_u32_e32 v91, vcc, v94, v91, vcc
	global_store_dwordx4 v[90:91], v[85:88], off
	v_ashrrev_i32_e32 v90, 31, v89
	v_lshlrev_b64 v[90:91], 4, v[89:90]
	v_add_u32_e32 v85, s2, v89
	v_ashrrev_i32_e32 v86, 31, v85
	v_add_co_u32_e32 v90, vcc, v93, v90
	v_lshlrev_b64 v[86:87], 4, v[85:86]
	v_add_u32_e32 v81, s2, v85
	v_addc_co_u32_e32 v91, vcc, v94, v91, vcc
	v_ashrrev_i32_e32 v82, 31, v81
	v_add_co_u32_e32 v86, vcc, v93, v86
	v_lshlrev_b64 v[82:83], 4, v[81:82]
	v_addc_co_u32_e32 v87, vcc, v94, v87, vcc
	v_add_co_u32_e32 v82, vcc, v93, v82
	v_addc_co_u32_e32 v83, vcc, v94, v83, vcc
	global_store_dwordx4 v[90:91], v[109:112], off
	global_store_dwordx4 v[86:87], v[113:116], off
	;; [unrolled: 1-line block ×3, first 2 shown]
	buffer_load_dword v73, off, s[24:27], 0 ; 4-byte Folded Reload
	buffer_load_dword v74, off, s[24:27], 0 offset:4 ; 4-byte Folded Reload
	buffer_load_dword v75, off, s[24:27], 0 offset:8 ; 4-byte Folded Reload
	;; [unrolled: 1-line block ×3, first 2 shown]
	v_add_u32_e32 v77, s2, v81
	v_ashrrev_i32_e32 v78, 31, v77
	v_lshlrev_b64 v[78:79], 4, v[77:78]
	v_add_co_u32_e32 v78, vcc, v93, v78
	v_addc_co_u32_e32 v79, vcc, v94, v79, vcc
	s_waitcnt vmcnt(0)
	global_store_dwordx4 v[78:79], v[73:76], off
	s_nop 0
	v_add_u32_e32 v73, s2, v77
	v_ashrrev_i32_e32 v74, 31, v73
	v_lshlrev_b64 v[74:75], 4, v[73:74]
	v_add_co_u32_e32 v74, vcc, v93, v74
	v_addc_co_u32_e32 v75, vcc, v94, v75, vcc
	global_store_dwordx4 v[74:75], v[69:72], off
	s_nop 0
	v_add_u32_e32 v69, s2, v73
	v_ashrrev_i32_e32 v70, 31, v69
	v_lshlrev_b64 v[70:71], 4, v[69:70]
	v_add_co_u32_e32 v70, vcc, v93, v70
	v_addc_co_u32_e32 v71, vcc, v94, v71, vcc
	;; [unrolled: 7-line block ×17, first 2 shown]
	global_store_dwordx4 v[10:11], v[5:8], off
	s_nop 0
	v_add_u32_e32 v5, s2, v9
	v_ashrrev_i32_e32 v6, 31, v5
	v_lshlrev_b64 v[6:7], 4, v[5:6]
	v_add_u32_e32 v0, s2, v5
	v_add_co_u32_e32 v6, vcc, v93, v6
	v_addc_co_u32_e32 v7, vcc, v94, v7, vcc
	global_store_dwordx4 v[6:7], v[1:4], off
	s_nop 0
	v_ashrrev_i32_e32 v1, 31, v0
	v_lshlrev_b64 v[0:1], 4, v[0:1]
	v_add_co_u32_e32 v0, vcc, v93, v0
	v_addc_co_u32_e32 v1, vcc, v94, v1, vcc
	global_store_dwordx4 v[0:1], v[117:120], off
.LBB110_1177:
	s_endpgm
	.section	.rodata,"a",@progbits
	.p2align	6, 0x0
	.amdhsa_kernel _ZN9rocsolver6v33100L18getf2_small_kernelILi56E19rocblas_complex_numIdEiiPS3_EEvT1_T3_lS5_lPS5_llPT2_S5_S5_S7_l
		.amdhsa_group_segment_fixed_size 0
		.amdhsa_private_segment_fixed_size 544
		.amdhsa_kernarg_size 352
		.amdhsa_user_sgpr_count 6
		.amdhsa_user_sgpr_private_segment_buffer 1
		.amdhsa_user_sgpr_dispatch_ptr 0
		.amdhsa_user_sgpr_queue_ptr 0
		.amdhsa_user_sgpr_kernarg_segment_ptr 1
		.amdhsa_user_sgpr_dispatch_id 0
		.amdhsa_user_sgpr_flat_scratch_init 0
		.amdhsa_user_sgpr_private_segment_size 0
		.amdhsa_uses_dynamic_stack 0
		.amdhsa_system_sgpr_private_segment_wavefront_offset 1
		.amdhsa_system_sgpr_workgroup_id_x 1
		.amdhsa_system_sgpr_workgroup_id_y 1
		.amdhsa_system_sgpr_workgroup_id_z 0
		.amdhsa_system_sgpr_workgroup_info 0
		.amdhsa_system_vgpr_workitem_id 1
		.amdhsa_next_free_vgpr 128
		.amdhsa_next_free_sgpr 30
		.amdhsa_reserve_vcc 1
		.amdhsa_reserve_flat_scratch 0
		.amdhsa_float_round_mode_32 0
		.amdhsa_float_round_mode_16_64 0
		.amdhsa_float_denorm_mode_32 3
		.amdhsa_float_denorm_mode_16_64 3
		.amdhsa_dx10_clamp 1
		.amdhsa_ieee_mode 1
		.amdhsa_fp16_overflow 0
		.amdhsa_exception_fp_ieee_invalid_op 0
		.amdhsa_exception_fp_denorm_src 0
		.amdhsa_exception_fp_ieee_div_zero 0
		.amdhsa_exception_fp_ieee_overflow 0
		.amdhsa_exception_fp_ieee_underflow 0
		.amdhsa_exception_fp_ieee_inexact 0
		.amdhsa_exception_int_div_zero 0
	.end_amdhsa_kernel
	.section	.text._ZN9rocsolver6v33100L18getf2_small_kernelILi56E19rocblas_complex_numIdEiiPS3_EEvT1_T3_lS5_lPS5_llPT2_S5_S5_S7_l,"axG",@progbits,_ZN9rocsolver6v33100L18getf2_small_kernelILi56E19rocblas_complex_numIdEiiPS3_EEvT1_T3_lS5_lPS5_llPT2_S5_S5_S7_l,comdat
.Lfunc_end110:
	.size	_ZN9rocsolver6v33100L18getf2_small_kernelILi56E19rocblas_complex_numIdEiiPS3_EEvT1_T3_lS5_lPS5_llPT2_S5_S5_S7_l, .Lfunc_end110-_ZN9rocsolver6v33100L18getf2_small_kernelILi56E19rocblas_complex_numIdEiiPS3_EEvT1_T3_lS5_lPS5_llPT2_S5_S5_S7_l
                                        ; -- End function
	.set _ZN9rocsolver6v33100L18getf2_small_kernelILi56E19rocblas_complex_numIdEiiPS3_EEvT1_T3_lS5_lPS5_llPT2_S5_S5_S7_l.num_vgpr, 128
	.set _ZN9rocsolver6v33100L18getf2_small_kernelILi56E19rocblas_complex_numIdEiiPS3_EEvT1_T3_lS5_lPS5_llPT2_S5_S5_S7_l.num_agpr, 0
	.set _ZN9rocsolver6v33100L18getf2_small_kernelILi56E19rocblas_complex_numIdEiiPS3_EEvT1_T3_lS5_lPS5_llPT2_S5_S5_S7_l.numbered_sgpr, 30
	.set _ZN9rocsolver6v33100L18getf2_small_kernelILi56E19rocblas_complex_numIdEiiPS3_EEvT1_T3_lS5_lPS5_llPT2_S5_S5_S7_l.num_named_barrier, 0
	.set _ZN9rocsolver6v33100L18getf2_small_kernelILi56E19rocblas_complex_numIdEiiPS3_EEvT1_T3_lS5_lPS5_llPT2_S5_S5_S7_l.private_seg_size, 544
	.set _ZN9rocsolver6v33100L18getf2_small_kernelILi56E19rocblas_complex_numIdEiiPS3_EEvT1_T3_lS5_lPS5_llPT2_S5_S5_S7_l.uses_vcc, 1
	.set _ZN9rocsolver6v33100L18getf2_small_kernelILi56E19rocblas_complex_numIdEiiPS3_EEvT1_T3_lS5_lPS5_llPT2_S5_S5_S7_l.uses_flat_scratch, 0
	.set _ZN9rocsolver6v33100L18getf2_small_kernelILi56E19rocblas_complex_numIdEiiPS3_EEvT1_T3_lS5_lPS5_llPT2_S5_S5_S7_l.has_dyn_sized_stack, 0
	.set _ZN9rocsolver6v33100L18getf2_small_kernelILi56E19rocblas_complex_numIdEiiPS3_EEvT1_T3_lS5_lPS5_llPT2_S5_S5_S7_l.has_recursion, 0
	.set _ZN9rocsolver6v33100L18getf2_small_kernelILi56E19rocblas_complex_numIdEiiPS3_EEvT1_T3_lS5_lPS5_llPT2_S5_S5_S7_l.has_indirect_call, 0
	.section	.AMDGPU.csdata,"",@progbits
; Kernel info:
; codeLenInByte = 223424
; TotalNumSgprs: 34
; NumVgprs: 128
; ScratchSize: 544
; MemoryBound: 0
; FloatMode: 240
; IeeeMode: 1
; LDSByteSize: 0 bytes/workgroup (compile time only)
; SGPRBlocks: 4
; VGPRBlocks: 31
; NumSGPRsForWavesPerEU: 34
; NumVGPRsForWavesPerEU: 128
; Occupancy: 2
; WaveLimiterHint : 0
; COMPUTE_PGM_RSRC2:SCRATCH_EN: 1
; COMPUTE_PGM_RSRC2:USER_SGPR: 6
; COMPUTE_PGM_RSRC2:TRAP_HANDLER: 0
; COMPUTE_PGM_RSRC2:TGID_X_EN: 1
; COMPUTE_PGM_RSRC2:TGID_Y_EN: 1
; COMPUTE_PGM_RSRC2:TGID_Z_EN: 0
; COMPUTE_PGM_RSRC2:TIDIG_COMP_CNT: 1
	.section	.text._ZN9rocsolver6v33100L23getf2_npvt_small_kernelILi56E19rocblas_complex_numIdEiiPS3_EEvT1_T3_lS5_lPT2_S5_S5_,"axG",@progbits,_ZN9rocsolver6v33100L23getf2_npvt_small_kernelILi56E19rocblas_complex_numIdEiiPS3_EEvT1_T3_lS5_lPT2_S5_S5_,comdat
	.globl	_ZN9rocsolver6v33100L23getf2_npvt_small_kernelILi56E19rocblas_complex_numIdEiiPS3_EEvT1_T3_lS5_lPT2_S5_S5_ ; -- Begin function _ZN9rocsolver6v33100L23getf2_npvt_small_kernelILi56E19rocblas_complex_numIdEiiPS3_EEvT1_T3_lS5_lPT2_S5_S5_
	.p2align	8
	.type	_ZN9rocsolver6v33100L23getf2_npvt_small_kernelILi56E19rocblas_complex_numIdEiiPS3_EEvT1_T3_lS5_lPT2_S5_S5_,@function
_ZN9rocsolver6v33100L23getf2_npvt_small_kernelILi56E19rocblas_complex_numIdEiiPS3_EEvT1_T3_lS5_lPT2_S5_S5_: ; @_ZN9rocsolver6v33100L23getf2_npvt_small_kernelILi56E19rocblas_complex_numIdEiiPS3_EEvT1_T3_lS5_lPT2_S5_S5_
; %bb.0:
	s_mov_b64 s[22:23], s[2:3]
	s_mov_b64 s[20:21], s[0:1]
	s_load_dword s0, s[4:5], 0x44
	s_load_dwordx2 s[12:13], s[4:5], 0x30
	s_add_u32 s20, s20, s8
	s_addc_u32 s21, s21, 0
	s_waitcnt lgkmcnt(0)
	s_lshr_b32 s2, s0, 16
	s_mul_i32 s7, s7, s2
	v_add_u32_e32 v2, s7, v1
	v_cmp_gt_i32_e32 vcc, s12, v2
	s_and_saveexec_b64 s[0:1], vcc
	s_cbranch_execnz .LBB111_1
; %bb.508:
	s_getpc_b64 s[14:15]
.Lpost_getpc25:
	s_add_u32 s14, s14, (.LBB111_507-.Lpost_getpc25)&4294967295
	s_addc_u32 s15, s15, (.LBB111_507-.Lpost_getpc25)>>32
	s_setpc_b64 s[14:15]
.LBB111_1:
	s_load_dwordx4 s[8:11], s[4:5], 0x20
	s_load_dwordx4 s[16:19], s[4:5], 0x8
	v_ashrrev_i32_e32 v3, 31, v2
	s_mulk_i32 s2, 0x380
	s_waitcnt lgkmcnt(0)
	v_mul_lo_u32 v4, s9, v2
	v_mul_lo_u32 v5, s8, v3
	buffer_store_dword v2, off, s[20:23], 0 offset:1824 ; 4-byte Folded Spill
	s_nop 0
	buffer_store_dword v3, off, s[20:23], 0 offset:1828 ; 4-byte Folded Spill
	v_mov_b32_e32 v6, s17
	v_mad_u64_u32 v[2:3], s[0:1], s8, v2, 0
	s_load_dword s0, s[4:5], 0x18
	s_lshl_b64 s[4:5], s[18:19], 4
	v_add3_u32 v3, v3, v5, v4
	v_lshlrev_b64 v[2:3], 4, v[2:3]
	v_mov_b32_e32 v4, s5
	v_add_co_u32_e32 v2, vcc, s16, v2
	v_addc_co_u32_e32 v3, vcc, v6, v3, vcc
	v_add_co_u32_e32 v2, vcc, s4, v2
	s_waitcnt lgkmcnt(0)
	s_add_i32 s1, s0, s0
	v_addc_co_u32_e32 v3, vcc, v3, v4, vcc
	v_add_u32_e32 v4, s1, v0
	v_ashrrev_i32_e32 v5, 31, v4
	v_lshlrev_b64 v[5:6], 4, v[4:5]
	v_add_u32_e32 v4, s0, v4
	v_add_co_u32_e32 v69, vcc, v2, v5
	v_ashrrev_i32_e32 v5, 31, v4
	v_addc_co_u32_e32 v70, vcc, v3, v6, vcc
	v_lshlrev_b64 v[5:6], 4, v[4:5]
	v_add_u32_e32 v4, s0, v4
	v_add_co_u32_e32 v71, vcc, v2, v5
	v_ashrrev_i32_e32 v5, 31, v4
	v_addc_co_u32_e32 v72, vcc, v3, v6, vcc
	;; [unrolled: 5-line block ×52, first 2 shown]
	v_lshlrev_b64 v[5:6], 4, v[4:5]
	v_add_u32_e32 v4, s0, v4
	v_add_co_u32_e32 v91, vcc, v2, v5
	v_ashrrev_i32_e32 v5, 31, v4
	v_lshlrev_b64 v[4:5], 4, v[4:5]
	v_addc_co_u32_e32 v92, vcc, v3, v6, vcc
	v_add_co_u32_e32 v119, vcc, v2, v4
	v_addc_co_u32_e32 v120, vcc, v3, v5, vcc
	v_lshlrev_b32_e32 v4, 4, v0
	v_add_co_u32_e32 v4, vcc, v2, v4
	s_ashr_i32 s1, s0, 31
	v_addc_co_u32_e32 v5, vcc, 0, v3, vcc
	s_lshl_b64 s[0:1], s[0:1], 4
	v_mov_b32_e32 v2, s1
	v_add_co_u32_e32 v75, vcc, s0, v4
	v_addc_co_u32_e32 v76, vcc, v5, v2, vcc
	buffer_store_dword v4, off, s[20:23], 0 offset:1120 ; 4-byte Folded Spill
	s_nop 0
	buffer_store_dword v5, off, s[20:23], 0 offset:1124 ; 4-byte Folded Spill
	s_movk_i32 s0, 0x380
	s_add_i32 s1, s2, 0
	v_mad_u32_u24 v125, v1, s0, 0
	v_lshl_add_u32 v127, v1, 4, s1
	v_cmp_ne_u32_e64 s[2:3], 0, v0
	v_cmp_eq_u32_e64 s[0:1], 0, v0
	global_load_dwordx4 v[1:4], v[4:5], off
	s_waitcnt vmcnt(0)
	buffer_store_dword v1, off, s[20:23], 0 offset:688 ; 4-byte Folded Spill
	s_nop 0
	buffer_store_dword v2, off, s[20:23], 0 offset:692 ; 4-byte Folded Spill
	buffer_store_dword v3, off, s[20:23], 0 offset:696 ; 4-byte Folded Spill
	buffer_store_dword v4, off, s[20:23], 0 offset:700 ; 4-byte Folded Spill
	buffer_store_dword v75, off, s[20:23], 0 offset:1128 ; 4-byte Folded Spill
	s_nop 0
	buffer_store_dword v76, off, s[20:23], 0 offset:1132 ; 4-byte Folded Spill
	global_load_dwordx4 v[1:4], v[75:76], off
	s_waitcnt vmcnt(0)
	buffer_store_dword v1, off, s[20:23], 0 offset:672 ; 4-byte Folded Spill
	s_nop 0
	buffer_store_dword v2, off, s[20:23], 0 offset:676 ; 4-byte Folded Spill
	buffer_store_dword v3, off, s[20:23], 0 offset:680 ; 4-byte Folded Spill
	buffer_store_dword v4, off, s[20:23], 0 offset:684 ; 4-byte Folded Spill
	buffer_store_dword v69, off, s[20:23], 0 offset:1080 ; 4-byte Folded Spill
	s_nop 0
	buffer_store_dword v70, off, s[20:23], 0 offset:1084 ; 4-byte Folded Spill
	;; [unrolled: 10-line block ×33, first 2 shown]
	global_load_dwordx4 v[1:4], v[59:60], off
	s_nop 0
	buffer_store_dword v61, off, s[20:23], 0 offset:920 ; 4-byte Folded Spill
	s_nop 0
	buffer_store_dword v62, off, s[20:23], 0 offset:924 ; 4-byte Folded Spill
	global_load_dwordx4 v[5:8], v[61:62], off
	s_waitcnt vmcnt(0)
	buffer_store_dword v5, off, s[20:23], 0 offset:160 ; 4-byte Folded Spill
	s_nop 0
	buffer_store_dword v6, off, s[20:23], 0 offset:164 ; 4-byte Folded Spill
	buffer_store_dword v7, off, s[20:23], 0 offset:168 ; 4-byte Folded Spill
	buffer_store_dword v8, off, s[20:23], 0 offset:172 ; 4-byte Folded Spill
	buffer_store_dword v63, off, s[20:23], 0 offset:928 ; 4-byte Folded Spill
	s_nop 0
	buffer_store_dword v64, off, s[20:23], 0 offset:932 ; 4-byte Folded Spill
	global_load_dwordx4 v[5:8], v[63:64], off
	s_waitcnt vmcnt(0)
	buffer_store_dword v5, off, s[20:23], 0 offset:144 ; 4-byte Folded Spill
	s_nop 0
	buffer_store_dword v6, off, s[20:23], 0 offset:148 ; 4-byte Folded Spill
	buffer_store_dword v7, off, s[20:23], 0 offset:152 ; 4-byte Folded Spill
	buffer_store_dword v8, off, s[20:23], 0 offset:156 ; 4-byte Folded Spill
	;; [unrolled: 10-line block ×5, first 2 shown]
	buffer_store_dword v93, off, s[20:23], 0 offset:960 ; 4-byte Folded Spill
	s_nop 0
	buffer_store_dword v94, off, s[20:23], 0 offset:964 ; 4-byte Folded Spill
	v_mov_b32_e32 v87, v91
	v_mov_b32_e32 v88, v92
	global_load_dwordx4 v[5:8], v[93:94], off
	s_waitcnt vmcnt(0)
	buffer_store_dword v5, off, s[20:23], 0 offset:80 ; 4-byte Folded Spill
	s_nop 0
	buffer_store_dword v6, off, s[20:23], 0 offset:84 ; 4-byte Folded Spill
	buffer_store_dword v7, off, s[20:23], 0 offset:88 ; 4-byte Folded Spill
	;; [unrolled: 1-line block ×4, first 2 shown]
	s_nop 0
	buffer_store_dword v96, off, s[20:23], 0 offset:972 ; 4-byte Folded Spill
	v_mov_b32_e32 v94, v4
	v_mov_b32_e32 v93, v3
	;; [unrolled: 1-line block ×4, first 2 shown]
	global_load_dwordx4 v[5:8], v[95:96], off
	s_waitcnt vmcnt(0)
	buffer_store_dword v5, off, s[20:23], 0 offset:64 ; 4-byte Folded Spill
	s_nop 0
	buffer_store_dword v6, off, s[20:23], 0 offset:68 ; 4-byte Folded Spill
	buffer_store_dword v7, off, s[20:23], 0 offset:72 ; 4-byte Folded Spill
	buffer_store_dword v8, off, s[20:23], 0 offset:76 ; 4-byte Folded Spill
	buffer_store_dword v97, off, s[20:23], 0 offset:976 ; 4-byte Folded Spill
	s_nop 0
	buffer_store_dword v98, off, s[20:23], 0 offset:980 ; 4-byte Folded Spill
	global_load_dwordx4 v[5:8], v[97:98], off
	s_waitcnt vmcnt(0)
	buffer_store_dword v5, off, s[20:23], 0 offset:48 ; 4-byte Folded Spill
	s_nop 0
	buffer_store_dword v6, off, s[20:23], 0 offset:52 ; 4-byte Folded Spill
	buffer_store_dword v7, off, s[20:23], 0 offset:56 ; 4-byte Folded Spill
	buffer_store_dword v8, off, s[20:23], 0 offset:60 ; 4-byte Folded Spill
	buffer_store_dword v99, off, s[20:23], 0 offset:984 ; 4-byte Folded Spill
	s_nop 0
	buffer_store_dword v100, off, s[20:23], 0 offset:988 ; 4-byte Folded Spill
	;; [unrolled: 10-line block ×4, first 2 shown]
	global_load_dwordx4 v[5:8], v[103:104], off
	s_waitcnt vmcnt(0)
	buffer_store_dword v5, off, s[20:23], 0 ; 4-byte Folded Spill
	s_nop 0
	buffer_store_dword v6, off, s[20:23], 0 offset:4 ; 4-byte Folded Spill
	buffer_store_dword v7, off, s[20:23], 0 offset:8 ; 4-byte Folded Spill
	;; [unrolled: 1-line block ×4, first 2 shown]
	s_nop 0
	buffer_store_dword v106, off, s[20:23], 0 offset:1012 ; 4-byte Folded Spill
	global_load_dwordx4 v[37:40], v[105:106], off
	s_nop 0
	buffer_store_dword v107, off, s[20:23], 0 offset:1016 ; 4-byte Folded Spill
	s_nop 0
	buffer_store_dword v108, off, s[20:23], 0 offset:1020 ; 4-byte Folded Spill
	global_load_dwordx4 v[33:36], v[107:108], off
	s_nop 0
	buffer_store_dword v109, off, s[20:23], 0 offset:1024 ; 4-byte Folded Spill
	s_nop 0
	buffer_store_dword v110, off, s[20:23], 0 offset:1028 ; 4-byte Folded Spill
	global_load_dwordx4 v[29:32], v[109:110], off
	s_nop 0
	buffer_store_dword v111, off, s[20:23], 0 offset:1032 ; 4-byte Folded Spill
	s_nop 0
	buffer_store_dword v112, off, s[20:23], 0 offset:1036 ; 4-byte Folded Spill
	global_load_dwordx4 v[25:28], v[111:112], off
	s_nop 0
	buffer_store_dword v113, off, s[20:23], 0 offset:1040 ; 4-byte Folded Spill
	s_nop 0
	buffer_store_dword v114, off, s[20:23], 0 offset:1044 ; 4-byte Folded Spill
	global_load_dwordx4 v[21:24], v[113:114], off
	s_nop 0
	buffer_store_dword v115, off, s[20:23], 0 offset:1048 ; 4-byte Folded Spill
	s_nop 0
	buffer_store_dword v116, off, s[20:23], 0 offset:1052 ; 4-byte Folded Spill
	global_load_dwordx4 v[17:20], v[115:116], off
	s_nop 0
	buffer_store_dword v121, off, s[20:23], 0 offset:1056 ; 4-byte Folded Spill
	s_nop 0
	buffer_store_dword v122, off, s[20:23], 0 offset:1060 ; 4-byte Folded Spill
	global_load_dwordx4 v[13:16], v[121:122], off
	s_nop 0
	buffer_store_dword v123, off, s[20:23], 0 offset:1064 ; 4-byte Folded Spill
	s_nop 0
	buffer_store_dword v124, off, s[20:23], 0 offset:1068 ; 4-byte Folded Spill
	global_load_dwordx4 v[9:12], v[123:124], off
	s_nop 0
	buffer_store_dword v117, off, s[20:23], 0 offset:1072 ; 4-byte Folded Spill
	s_nop 0
	buffer_store_dword v118, off, s[20:23], 0 offset:1076 ; 4-byte Folded Spill
	global_load_dwordx4 v[5:8], v[117:118], off
	s_nop 0
	buffer_store_dword v87, off, s[20:23], 0 offset:1696 ; 4-byte Folded Spill
	s_nop 0
	buffer_store_dword v88, off, s[20:23], 0 offset:1700 ; 4-byte Folded Spill
	global_load_dwordx4 v[1:4], v[87:88], off
	s_nop 0
	buffer_store_dword v119, off, s[20:23], 0 offset:1688 ; 4-byte Folded Spill
	s_nop 0
	buffer_store_dword v120, off, s[20:23], 0 offset:1692 ; 4-byte Folded Spill
	global_load_dwordx4 v[121:124], v[119:120], off
	s_and_saveexec_b64 s[6:7], s[0:1]
	s_cbranch_execz .LBB111_8
; %bb.2:
	buffer_load_dword v95, off, s[20:23], 0 offset:688 ; 4-byte Folded Reload
	buffer_load_dword v96, off, s[20:23], 0 offset:692 ; 4-byte Folded Reload
	;; [unrolled: 1-line block ×4, first 2 shown]
	s_waitcnt vmcnt(0)
	ds_write2_b64 v127, v[95:96], v[97:98] offset1:1
	buffer_load_dword v95, off, s[20:23], 0 offset:672 ; 4-byte Folded Reload
	buffer_load_dword v96, off, s[20:23], 0 offset:676 ; 4-byte Folded Reload
	buffer_load_dword v97, off, s[20:23], 0 offset:680 ; 4-byte Folded Reload
	buffer_load_dword v98, off, s[20:23], 0 offset:684 ; 4-byte Folded Reload
	s_waitcnt vmcnt(0)
	ds_write2_b64 v125, v[95:96], v[97:98] offset0:2 offset1:3
	buffer_load_dword v95, off, s[20:23], 0 offset:656 ; 4-byte Folded Reload
	buffer_load_dword v96, off, s[20:23], 0 offset:660 ; 4-byte Folded Reload
	buffer_load_dword v97, off, s[20:23], 0 offset:664 ; 4-byte Folded Reload
	buffer_load_dword v98, off, s[20:23], 0 offset:668 ; 4-byte Folded Reload
	s_waitcnt vmcnt(0)
	ds_write2_b64 v125, v[95:96], v[97:98] offset0:4 offset1:5
	;; [unrolled: 6-line block ×32, first 2 shown]
	ds_write2_b64 v125, v[91:92], v[93:94] offset0:66 offset1:67
	buffer_load_dword v77, off, s[20:23], 0 offset:160 ; 4-byte Folded Reload
	buffer_load_dword v78, off, s[20:23], 0 offset:164 ; 4-byte Folded Reload
	buffer_load_dword v79, off, s[20:23], 0 offset:168 ; 4-byte Folded Reload
	buffer_load_dword v80, off, s[20:23], 0 offset:172 ; 4-byte Folded Reload
	s_waitcnt vmcnt(0)
	ds_write2_b64 v125, v[77:78], v[79:80] offset0:68 offset1:69
	buffer_load_dword v77, off, s[20:23], 0 offset:144 ; 4-byte Folded Reload
	buffer_load_dword v78, off, s[20:23], 0 offset:148 ; 4-byte Folded Reload
	buffer_load_dword v79, off, s[20:23], 0 offset:152 ; 4-byte Folded Reload
	buffer_load_dword v80, off, s[20:23], 0 offset:156 ; 4-byte Folded Reload
	s_waitcnt vmcnt(0)
	;; [unrolled: 6-line block ×10, first 2 shown]
	ds_write2_b64 v125, v[45:46], v[47:48] offset0:86 offset1:87
	buffer_load_dword v41, off, s[20:23], 0 ; 4-byte Folded Reload
	buffer_load_dword v42, off, s[20:23], 0 offset:4 ; 4-byte Folded Reload
	buffer_load_dword v43, off, s[20:23], 0 offset:8 ; 4-byte Folded Reload
	;; [unrolled: 1-line block ×3, first 2 shown]
	s_waitcnt vmcnt(0)
	ds_write2_b64 v125, v[41:42], v[43:44] offset0:88 offset1:89
	ds_write2_b64 v125, v[37:38], v[39:40] offset0:90 offset1:91
	;; [unrolled: 1-line block ×12, first 2 shown]
	ds_read2_b64 v[97:100], v127 offset1:1
	s_waitcnt lgkmcnt(0)
	v_cmp_neq_f64_e32 vcc, 0, v[97:98]
	v_cmp_neq_f64_e64 s[4:5], 0, v[99:100]
	s_or_b64 s[4:5], vcc, s[4:5]
	s_and_b64 exec, exec, s[4:5]
	s_cbranch_execz .LBB111_8
; %bb.3:
	v_cmp_ngt_f64_e64 s[4:5], |v[97:98]|, |v[99:100]|
                                        ; implicit-def: $vgpr101_vgpr102
	s_and_saveexec_b64 s[8:9], s[4:5]
	s_xor_b64 s[4:5], exec, s[8:9]
                                        ; implicit-def: $vgpr103_vgpr104
	s_cbranch_execz .LBB111_5
; %bb.4:
	v_div_scale_f64 v[101:102], s[8:9], v[99:100], v[99:100], v[97:98]
	v_rcp_f64_e32 v[103:104], v[101:102]
	v_fma_f64 v[105:106], -v[101:102], v[103:104], 1.0
	v_fma_f64 v[103:104], v[103:104], v[105:106], v[103:104]
	v_div_scale_f64 v[105:106], vcc, v[97:98], v[99:100], v[97:98]
	v_fma_f64 v[107:108], -v[101:102], v[103:104], 1.0
	v_fma_f64 v[103:104], v[103:104], v[107:108], v[103:104]
	v_mul_f64 v[107:108], v[105:106], v[103:104]
	v_fma_f64 v[101:102], -v[101:102], v[107:108], v[105:106]
	v_div_fmas_f64 v[101:102], v[101:102], v[103:104], v[107:108]
	v_div_fixup_f64 v[101:102], v[101:102], v[99:100], v[97:98]
	v_fma_f64 v[97:98], v[97:98], v[101:102], v[99:100]
	v_div_scale_f64 v[99:100], s[8:9], v[97:98], v[97:98], 1.0
	v_div_scale_f64 v[107:108], vcc, 1.0, v[97:98], 1.0
	v_rcp_f64_e32 v[103:104], v[99:100]
	v_fma_f64 v[105:106], -v[99:100], v[103:104], 1.0
	v_fma_f64 v[103:104], v[103:104], v[105:106], v[103:104]
	v_fma_f64 v[105:106], -v[99:100], v[103:104], 1.0
	v_fma_f64 v[103:104], v[103:104], v[105:106], v[103:104]
	v_mul_f64 v[105:106], v[107:108], v[103:104]
	v_fma_f64 v[99:100], -v[99:100], v[105:106], v[107:108]
	v_div_fmas_f64 v[99:100], v[99:100], v[103:104], v[105:106]
	v_div_fixup_f64 v[103:104], v[99:100], v[97:98], 1.0
                                        ; implicit-def: $vgpr97_vgpr98
	v_mul_f64 v[101:102], v[101:102], v[103:104]
	v_xor_b32_e32 v104, 0x80000000, v104
.LBB111_5:
	s_andn2_saveexec_b64 s[4:5], s[4:5]
	s_cbranch_execz .LBB111_7
; %bb.6:
	v_div_scale_f64 v[101:102], s[8:9], v[97:98], v[97:98], v[99:100]
	v_rcp_f64_e32 v[103:104], v[101:102]
	v_fma_f64 v[105:106], -v[101:102], v[103:104], 1.0
	v_fma_f64 v[103:104], v[103:104], v[105:106], v[103:104]
	v_div_scale_f64 v[105:106], vcc, v[99:100], v[97:98], v[99:100]
	v_fma_f64 v[107:108], -v[101:102], v[103:104], 1.0
	v_fma_f64 v[103:104], v[103:104], v[107:108], v[103:104]
	v_mul_f64 v[107:108], v[105:106], v[103:104]
	v_fma_f64 v[101:102], -v[101:102], v[107:108], v[105:106]
	v_div_fmas_f64 v[101:102], v[101:102], v[103:104], v[107:108]
	v_div_fixup_f64 v[103:104], v[101:102], v[97:98], v[99:100]
	v_fma_f64 v[97:98], v[99:100], v[103:104], v[97:98]
	v_div_scale_f64 v[99:100], s[8:9], v[97:98], v[97:98], 1.0
	v_div_scale_f64 v[107:108], vcc, 1.0, v[97:98], 1.0
	v_rcp_f64_e32 v[101:102], v[99:100]
	v_fma_f64 v[105:106], -v[99:100], v[101:102], 1.0
	v_fma_f64 v[101:102], v[101:102], v[105:106], v[101:102]
	v_fma_f64 v[105:106], -v[99:100], v[101:102], 1.0
	v_fma_f64 v[101:102], v[101:102], v[105:106], v[101:102]
	v_mul_f64 v[105:106], v[107:108], v[101:102]
	v_fma_f64 v[99:100], -v[99:100], v[105:106], v[107:108]
	v_div_fmas_f64 v[99:100], v[99:100], v[101:102], v[105:106]
	v_div_fixup_f64 v[101:102], v[99:100], v[97:98], 1.0
	v_mul_f64 v[103:104], v[103:104], -v[101:102]
.LBB111_7:
	s_or_b64 exec, exec, s[4:5]
	ds_write2_b64 v127, v[101:102], v[103:104] offset1:1
.LBB111_8:
	s_or_b64 exec, exec, s[6:7]
	s_waitcnt vmcnt(0) lgkmcnt(0)
	s_barrier
	ds_read2_b64 v[95:98], v127 offset1:1
	s_waitcnt lgkmcnt(0)
	buffer_store_dword v95, off, s[20:23], 0 offset:1136 ; 4-byte Folded Spill
	s_nop 0
	buffer_store_dword v96, off, s[20:23], 0 offset:1140 ; 4-byte Folded Spill
	buffer_store_dword v97, off, s[20:23], 0 offset:1144 ; 4-byte Folded Spill
	;; [unrolled: 1-line block ×3, first 2 shown]
	s_and_saveexec_b64 s[4:5], s[2:3]
	s_cbranch_execz .LBB111_10
; %bb.9:
	buffer_load_dword v107, off, s[20:23], 0 offset:688 ; 4-byte Folded Reload
	buffer_load_dword v108, off, s[20:23], 0 offset:692 ; 4-byte Folded Reload
	;; [unrolled: 1-line block ×8, first 2 shown]
	s_waitcnt vmcnt(0)
	v_mul_f64 v[97:98], v[101:102], v[109:110]
	v_fma_f64 v[97:98], v[99:100], v[107:108], -v[97:98]
	v_mul_f64 v[99:100], v[99:100], v[109:110]
	v_fma_f64 v[109:110], v[101:102], v[107:108], v[99:100]
	ds_read2_b64 v[99:102], v125 offset0:2 offset1:3
	buffer_load_dword v105, off, s[20:23], 0 offset:672 ; 4-byte Folded Reload
	buffer_load_dword v106, off, s[20:23], 0 offset:676 ; 4-byte Folded Reload
	buffer_load_dword v107, off, s[20:23], 0 offset:680 ; 4-byte Folded Reload
	buffer_load_dword v108, off, s[20:23], 0 offset:684 ; 4-byte Folded Reload
	s_waitcnt lgkmcnt(0)
	v_mul_f64 v[103:104], v[101:102], v[109:110]
	v_fma_f64 v[103:104], v[99:100], v[97:98], -v[103:104]
	v_mul_f64 v[99:100], v[99:100], v[109:110]
	v_fma_f64 v[99:100], v[101:102], v[97:98], v[99:100]
	s_waitcnt vmcnt(2)
	v_add_f64 v[105:106], v[105:106], -v[103:104]
	s_waitcnt vmcnt(0)
	v_add_f64 v[107:108], v[107:108], -v[99:100]
	buffer_store_dword v105, off, s[20:23], 0 offset:672 ; 4-byte Folded Spill
	s_nop 0
	buffer_store_dword v106, off, s[20:23], 0 offset:676 ; 4-byte Folded Spill
	buffer_store_dword v107, off, s[20:23], 0 offset:680 ; 4-byte Folded Spill
	buffer_store_dword v108, off, s[20:23], 0 offset:684 ; 4-byte Folded Spill
	ds_read2_b64 v[99:102], v125 offset0:4 offset1:5
	buffer_load_dword v105, off, s[20:23], 0 offset:656 ; 4-byte Folded Reload
	buffer_load_dword v106, off, s[20:23], 0 offset:660 ; 4-byte Folded Reload
	buffer_load_dword v107, off, s[20:23], 0 offset:664 ; 4-byte Folded Reload
	buffer_load_dword v108, off, s[20:23], 0 offset:668 ; 4-byte Folded Reload
	s_waitcnt lgkmcnt(0)
	v_mul_f64 v[103:104], v[101:102], v[109:110]
	v_fma_f64 v[103:104], v[99:100], v[97:98], -v[103:104]
	v_mul_f64 v[99:100], v[99:100], v[109:110]
	v_fma_f64 v[99:100], v[101:102], v[97:98], v[99:100]
	s_waitcnt vmcnt(2)
	v_add_f64 v[105:106], v[105:106], -v[103:104]
	s_waitcnt vmcnt(0)
	v_add_f64 v[107:108], v[107:108], -v[99:100]
	buffer_store_dword v105, off, s[20:23], 0 offset:656 ; 4-byte Folded Spill
	s_nop 0
	buffer_store_dword v106, off, s[20:23], 0 offset:660 ; 4-byte Folded Spill
	buffer_store_dword v107, off, s[20:23], 0 offset:664 ; 4-byte Folded Spill
	buffer_store_dword v108, off, s[20:23], 0 offset:668 ; 4-byte Folded Spill
	;; [unrolled: 19-line block ×32, first 2 shown]
	ds_read2_b64 v[99:102], v125 offset0:66 offset1:67
	v_mov_b32_e32 v108, v98
	v_mov_b32_e32 v107, v97
	s_waitcnt lgkmcnt(0)
	v_mul_f64 v[103:104], v[101:102], v[109:110]
	v_fma_f64 v[103:104], v[99:100], v[97:98], -v[103:104]
	v_mul_f64 v[99:100], v[99:100], v[109:110]
	v_add_f64 v[91:92], v[91:92], -v[103:104]
	v_fma_f64 v[99:100], v[101:102], v[97:98], v[99:100]
	v_add_f64 v[93:94], v[93:94], -v[99:100]
	ds_read2_b64 v[99:102], v125 offset0:68 offset1:69
	buffer_load_dword v77, off, s[20:23], 0 offset:160 ; 4-byte Folded Reload
	buffer_load_dword v78, off, s[20:23], 0 offset:164 ; 4-byte Folded Reload
	buffer_load_dword v79, off, s[20:23], 0 offset:168 ; 4-byte Folded Reload
	buffer_load_dword v80, off, s[20:23], 0 offset:172 ; 4-byte Folded Reload
	s_waitcnt lgkmcnt(0)
	v_mul_f64 v[103:104], v[101:102], v[109:110]
	v_fma_f64 v[103:104], v[99:100], v[97:98], -v[103:104]
	v_mul_f64 v[99:100], v[99:100], v[109:110]
	v_fma_f64 v[99:100], v[101:102], v[97:98], v[99:100]
	s_waitcnt vmcnt(2)
	v_add_f64 v[77:78], v[77:78], -v[103:104]
	s_waitcnt vmcnt(0)
	v_add_f64 v[79:80], v[79:80], -v[99:100]
	buffer_store_dword v77, off, s[20:23], 0 offset:160 ; 4-byte Folded Spill
	s_nop 0
	buffer_store_dword v78, off, s[20:23], 0 offset:164 ; 4-byte Folded Spill
	buffer_store_dword v79, off, s[20:23], 0 offset:168 ; 4-byte Folded Spill
	buffer_store_dword v80, off, s[20:23], 0 offset:172 ; 4-byte Folded Spill
	ds_read2_b64 v[99:102], v125 offset0:70 offset1:71
	buffer_load_dword v77, off, s[20:23], 0 offset:144 ; 4-byte Folded Reload
	buffer_load_dword v78, off, s[20:23], 0 offset:148 ; 4-byte Folded Reload
	buffer_load_dword v79, off, s[20:23], 0 offset:152 ; 4-byte Folded Reload
	buffer_load_dword v80, off, s[20:23], 0 offset:156 ; 4-byte Folded Reload
	s_waitcnt lgkmcnt(0)
	v_mul_f64 v[103:104], v[101:102], v[109:110]
	v_fma_f64 v[103:104], v[99:100], v[97:98], -v[103:104]
	v_mul_f64 v[99:100], v[99:100], v[109:110]
	v_fma_f64 v[99:100], v[101:102], v[97:98], v[99:100]
	s_waitcnt vmcnt(2)
	v_add_f64 v[77:78], v[77:78], -v[103:104]
	s_waitcnt vmcnt(0)
	v_add_f64 v[79:80], v[79:80], -v[99:100]
	buffer_store_dword v77, off, s[20:23], 0 offset:144 ; 4-byte Folded Spill
	s_nop 0
	buffer_store_dword v78, off, s[20:23], 0 offset:148 ; 4-byte Folded Spill
	buffer_store_dword v79, off, s[20:23], 0 offset:152 ; 4-byte Folded Spill
	buffer_store_dword v80, off, s[20:23], 0 offset:156 ; 4-byte Folded Spill
	;; [unrolled: 19-line block ×10, first 2 shown]
	ds_read2_b64 v[99:102], v125 offset0:88 offset1:89
	buffer_load_dword v41, off, s[20:23], 0 ; 4-byte Folded Reload
	buffer_load_dword v42, off, s[20:23], 0 offset:4 ; 4-byte Folded Reload
	buffer_load_dword v43, off, s[20:23], 0 offset:8 ; 4-byte Folded Reload
	;; [unrolled: 1-line block ×3, first 2 shown]
	s_waitcnt lgkmcnt(0)
	v_mul_f64 v[103:104], v[101:102], v[109:110]
	v_fma_f64 v[103:104], v[99:100], v[97:98], -v[103:104]
	v_mul_f64 v[99:100], v[99:100], v[109:110]
	v_fma_f64 v[99:100], v[101:102], v[97:98], v[99:100]
	s_waitcnt vmcnt(2)
	v_add_f64 v[41:42], v[41:42], -v[103:104]
	s_waitcnt vmcnt(0)
	v_add_f64 v[43:44], v[43:44], -v[99:100]
	buffer_store_dword v41, off, s[20:23], 0 ; 4-byte Folded Spill
	s_nop 0
	buffer_store_dword v42, off, s[20:23], 0 offset:4 ; 4-byte Folded Spill
	buffer_store_dword v43, off, s[20:23], 0 offset:8 ; 4-byte Folded Spill
	;; [unrolled: 1-line block ×3, first 2 shown]
	ds_read2_b64 v[99:102], v125 offset0:90 offset1:91
	s_waitcnt lgkmcnt(0)
	v_mul_f64 v[103:104], v[101:102], v[109:110]
	v_fma_f64 v[103:104], v[99:100], v[97:98], -v[103:104]
	v_mul_f64 v[99:100], v[99:100], v[109:110]
	v_add_f64 v[37:38], v[37:38], -v[103:104]
	v_fma_f64 v[99:100], v[101:102], v[97:98], v[99:100]
	v_add_f64 v[39:40], v[39:40], -v[99:100]
	ds_read2_b64 v[99:102], v125 offset0:92 offset1:93
	s_waitcnt lgkmcnt(0)
	v_mul_f64 v[103:104], v[101:102], v[109:110]
	v_fma_f64 v[103:104], v[99:100], v[97:98], -v[103:104]
	v_mul_f64 v[99:100], v[99:100], v[109:110]
	v_add_f64 v[33:34], v[33:34], -v[103:104]
	v_fma_f64 v[99:100], v[101:102], v[97:98], v[99:100]
	v_add_f64 v[35:36], v[35:36], -v[99:100]
	ds_read2_b64 v[99:102], v125 offset0:94 offset1:95
	s_waitcnt lgkmcnt(0)
	v_mul_f64 v[103:104], v[101:102], v[109:110]
	v_fma_f64 v[103:104], v[99:100], v[97:98], -v[103:104]
	v_mul_f64 v[99:100], v[99:100], v[109:110]
	v_add_f64 v[29:30], v[29:30], -v[103:104]
	v_fma_f64 v[99:100], v[101:102], v[97:98], v[99:100]
	v_add_f64 v[31:32], v[31:32], -v[99:100]
	ds_read2_b64 v[99:102], v125 offset0:96 offset1:97
	s_waitcnt lgkmcnt(0)
	v_mul_f64 v[103:104], v[101:102], v[109:110]
	v_fma_f64 v[103:104], v[99:100], v[97:98], -v[103:104]
	v_mul_f64 v[99:100], v[99:100], v[109:110]
	v_add_f64 v[25:26], v[25:26], -v[103:104]
	v_fma_f64 v[99:100], v[101:102], v[97:98], v[99:100]
	v_add_f64 v[27:28], v[27:28], -v[99:100]
	ds_read2_b64 v[99:102], v125 offset0:98 offset1:99
	s_waitcnt lgkmcnt(0)
	v_mul_f64 v[103:104], v[101:102], v[109:110]
	v_fma_f64 v[103:104], v[99:100], v[97:98], -v[103:104]
	v_mul_f64 v[99:100], v[99:100], v[109:110]
	v_add_f64 v[21:22], v[21:22], -v[103:104]
	v_fma_f64 v[99:100], v[101:102], v[97:98], v[99:100]
	v_add_f64 v[23:24], v[23:24], -v[99:100]
	ds_read2_b64 v[99:102], v125 offset0:100 offset1:101
	s_waitcnt lgkmcnt(0)
	v_mul_f64 v[103:104], v[101:102], v[109:110]
	v_fma_f64 v[103:104], v[99:100], v[97:98], -v[103:104]
	v_mul_f64 v[99:100], v[99:100], v[109:110]
	v_add_f64 v[17:18], v[17:18], -v[103:104]
	v_fma_f64 v[99:100], v[101:102], v[97:98], v[99:100]
	v_add_f64 v[19:20], v[19:20], -v[99:100]
	ds_read2_b64 v[99:102], v125 offset0:102 offset1:103
	s_waitcnt lgkmcnt(0)
	v_mul_f64 v[103:104], v[101:102], v[109:110]
	v_fma_f64 v[103:104], v[99:100], v[97:98], -v[103:104]
	v_mul_f64 v[99:100], v[99:100], v[109:110]
	v_add_f64 v[13:14], v[13:14], -v[103:104]
	v_fma_f64 v[99:100], v[101:102], v[97:98], v[99:100]
	v_add_f64 v[15:16], v[15:16], -v[99:100]
	ds_read2_b64 v[99:102], v125 offset0:104 offset1:105
	s_waitcnt lgkmcnt(0)
	v_mul_f64 v[103:104], v[101:102], v[109:110]
	v_fma_f64 v[103:104], v[99:100], v[97:98], -v[103:104]
	v_mul_f64 v[99:100], v[99:100], v[109:110]
	v_add_f64 v[9:10], v[9:10], -v[103:104]
	v_fma_f64 v[99:100], v[101:102], v[97:98], v[99:100]
	v_add_f64 v[11:12], v[11:12], -v[99:100]
	ds_read2_b64 v[99:102], v125 offset0:106 offset1:107
	s_waitcnt lgkmcnt(0)
	v_mul_f64 v[103:104], v[101:102], v[109:110]
	v_fma_f64 v[103:104], v[99:100], v[97:98], -v[103:104]
	v_mul_f64 v[99:100], v[99:100], v[109:110]
	v_add_f64 v[5:6], v[5:6], -v[103:104]
	v_fma_f64 v[99:100], v[101:102], v[97:98], v[99:100]
	v_add_f64 v[7:8], v[7:8], -v[99:100]
	ds_read2_b64 v[99:102], v125 offset0:108 offset1:109
	s_waitcnt lgkmcnt(0)
	v_mul_f64 v[103:104], v[101:102], v[109:110]
	v_fma_f64 v[103:104], v[99:100], v[97:98], -v[103:104]
	v_mul_f64 v[99:100], v[99:100], v[109:110]
	v_add_f64 v[1:2], v[1:2], -v[103:104]
	v_fma_f64 v[99:100], v[101:102], v[97:98], v[99:100]
	ds_read2_b64 v[101:104], v125 offset0:110 offset1:111
	v_add_f64 v[3:4], v[3:4], -v[99:100]
	s_waitcnt lgkmcnt(0)
	v_mul_f64 v[99:100], v[103:104], v[109:110]
	v_fma_f64 v[99:100], v[101:102], v[97:98], -v[99:100]
	v_mul_f64 v[101:102], v[101:102], v[109:110]
	buffer_store_dword v107, off, s[20:23], 0 offset:688 ; 4-byte Folded Spill
	s_nop 0
	buffer_store_dword v108, off, s[20:23], 0 offset:692 ; 4-byte Folded Spill
	buffer_store_dword v109, off, s[20:23], 0 offset:696 ; 4-byte Folded Spill
	;; [unrolled: 1-line block ×3, first 2 shown]
	v_add_f64 v[121:122], v[121:122], -v[99:100]
	v_fma_f64 v[101:102], v[103:104], v[97:98], v[101:102]
	v_add_f64 v[123:124], v[123:124], -v[101:102]
.LBB111_10:
	s_or_b64 exec, exec, s[4:5]
	v_cmp_eq_u32_e32 vcc, 1, v0
	s_waitcnt vmcnt(0)
	s_barrier
	s_and_saveexec_b64 s[4:5], vcc
	s_cbranch_execz .LBB111_17
; %bb.11:
	buffer_load_dword v95, off, s[20:23], 0 offset:672 ; 4-byte Folded Reload
	buffer_load_dword v96, off, s[20:23], 0 offset:676 ; 4-byte Folded Reload
	;; [unrolled: 1-line block ×4, first 2 shown]
	s_waitcnt vmcnt(0)
	ds_write2_b64 v127, v[95:96], v[97:98] offset1:1
	buffer_load_dword v95, off, s[20:23], 0 offset:656 ; 4-byte Folded Reload
	buffer_load_dword v96, off, s[20:23], 0 offset:660 ; 4-byte Folded Reload
	buffer_load_dword v97, off, s[20:23], 0 offset:664 ; 4-byte Folded Reload
	buffer_load_dword v98, off, s[20:23], 0 offset:668 ; 4-byte Folded Reload
	s_waitcnt vmcnt(0)
	ds_write2_b64 v125, v[95:96], v[97:98] offset0:4 offset1:5
	buffer_load_dword v95, off, s[20:23], 0 offset:640 ; 4-byte Folded Reload
	buffer_load_dword v96, off, s[20:23], 0 offset:644 ; 4-byte Folded Reload
	buffer_load_dword v97, off, s[20:23], 0 offset:648 ; 4-byte Folded Reload
	buffer_load_dword v98, off, s[20:23], 0 offset:652 ; 4-byte Folded Reload
	s_waitcnt vmcnt(0)
	ds_write2_b64 v125, v[95:96], v[97:98] offset0:6 offset1:7
	buffer_load_dword v95, off, s[20:23], 0 offset:624 ; 4-byte Folded Reload
	buffer_load_dword v96, off, s[20:23], 0 offset:628 ; 4-byte Folded Reload
	buffer_load_dword v97, off, s[20:23], 0 offset:632 ; 4-byte Folded Reload
	buffer_load_dword v98, off, s[20:23], 0 offset:636 ; 4-byte Folded Reload
	s_waitcnt vmcnt(0)
	ds_write2_b64 v125, v[95:96], v[97:98] offset0:8 offset1:9
	buffer_load_dword v95, off, s[20:23], 0 offset:608 ; 4-byte Folded Reload
	buffer_load_dword v96, off, s[20:23], 0 offset:612 ; 4-byte Folded Reload
	buffer_load_dword v97, off, s[20:23], 0 offset:616 ; 4-byte Folded Reload
	buffer_load_dword v98, off, s[20:23], 0 offset:620 ; 4-byte Folded Reload
	s_waitcnt vmcnt(0)
	ds_write2_b64 v125, v[95:96], v[97:98] offset0:10 offset1:11
	buffer_load_dword v95, off, s[20:23], 0 offset:592 ; 4-byte Folded Reload
	buffer_load_dword v96, off, s[20:23], 0 offset:596 ; 4-byte Folded Reload
	buffer_load_dword v97, off, s[20:23], 0 offset:600 ; 4-byte Folded Reload
	buffer_load_dword v98, off, s[20:23], 0 offset:604 ; 4-byte Folded Reload
	s_waitcnt vmcnt(0)
	ds_write2_b64 v125, v[95:96], v[97:98] offset0:12 offset1:13
	buffer_load_dword v95, off, s[20:23], 0 offset:576 ; 4-byte Folded Reload
	buffer_load_dword v96, off, s[20:23], 0 offset:580 ; 4-byte Folded Reload
	buffer_load_dword v97, off, s[20:23], 0 offset:584 ; 4-byte Folded Reload
	buffer_load_dword v98, off, s[20:23], 0 offset:588 ; 4-byte Folded Reload
	s_waitcnt vmcnt(0)
	ds_write2_b64 v125, v[95:96], v[97:98] offset0:14 offset1:15
	buffer_load_dword v95, off, s[20:23], 0 offset:560 ; 4-byte Folded Reload
	buffer_load_dword v96, off, s[20:23], 0 offset:564 ; 4-byte Folded Reload
	buffer_load_dword v97, off, s[20:23], 0 offset:568 ; 4-byte Folded Reload
	buffer_load_dword v98, off, s[20:23], 0 offset:572 ; 4-byte Folded Reload
	s_waitcnt vmcnt(0)
	ds_write2_b64 v125, v[95:96], v[97:98] offset0:16 offset1:17
	buffer_load_dword v95, off, s[20:23], 0 offset:544 ; 4-byte Folded Reload
	buffer_load_dword v96, off, s[20:23], 0 offset:548 ; 4-byte Folded Reload
	buffer_load_dword v97, off, s[20:23], 0 offset:552 ; 4-byte Folded Reload
	buffer_load_dword v98, off, s[20:23], 0 offset:556 ; 4-byte Folded Reload
	s_waitcnt vmcnt(0)
	ds_write2_b64 v125, v[95:96], v[97:98] offset0:18 offset1:19
	buffer_load_dword v95, off, s[20:23], 0 offset:528 ; 4-byte Folded Reload
	buffer_load_dword v96, off, s[20:23], 0 offset:532 ; 4-byte Folded Reload
	buffer_load_dword v97, off, s[20:23], 0 offset:536 ; 4-byte Folded Reload
	buffer_load_dword v98, off, s[20:23], 0 offset:540 ; 4-byte Folded Reload
	s_waitcnt vmcnt(0)
	ds_write2_b64 v125, v[95:96], v[97:98] offset0:20 offset1:21
	buffer_load_dword v95, off, s[20:23], 0 offset:512 ; 4-byte Folded Reload
	buffer_load_dword v96, off, s[20:23], 0 offset:516 ; 4-byte Folded Reload
	buffer_load_dword v97, off, s[20:23], 0 offset:520 ; 4-byte Folded Reload
	buffer_load_dword v98, off, s[20:23], 0 offset:524 ; 4-byte Folded Reload
	s_waitcnt vmcnt(0)
	ds_write2_b64 v125, v[95:96], v[97:98] offset0:22 offset1:23
	buffer_load_dword v95, off, s[20:23], 0 offset:496 ; 4-byte Folded Reload
	buffer_load_dword v96, off, s[20:23], 0 offset:500 ; 4-byte Folded Reload
	buffer_load_dword v97, off, s[20:23], 0 offset:504 ; 4-byte Folded Reload
	buffer_load_dword v98, off, s[20:23], 0 offset:508 ; 4-byte Folded Reload
	s_waitcnt vmcnt(0)
	ds_write2_b64 v125, v[95:96], v[97:98] offset0:24 offset1:25
	buffer_load_dword v95, off, s[20:23], 0 offset:480 ; 4-byte Folded Reload
	buffer_load_dword v96, off, s[20:23], 0 offset:484 ; 4-byte Folded Reload
	buffer_load_dword v97, off, s[20:23], 0 offset:488 ; 4-byte Folded Reload
	buffer_load_dword v98, off, s[20:23], 0 offset:492 ; 4-byte Folded Reload
	s_waitcnt vmcnt(0)
	ds_write2_b64 v125, v[95:96], v[97:98] offset0:26 offset1:27
	buffer_load_dword v95, off, s[20:23], 0 offset:464 ; 4-byte Folded Reload
	buffer_load_dword v96, off, s[20:23], 0 offset:468 ; 4-byte Folded Reload
	buffer_load_dword v97, off, s[20:23], 0 offset:472 ; 4-byte Folded Reload
	buffer_load_dword v98, off, s[20:23], 0 offset:476 ; 4-byte Folded Reload
	s_waitcnt vmcnt(0)
	ds_write2_b64 v125, v[95:96], v[97:98] offset0:28 offset1:29
	buffer_load_dword v95, off, s[20:23], 0 offset:448 ; 4-byte Folded Reload
	buffer_load_dword v96, off, s[20:23], 0 offset:452 ; 4-byte Folded Reload
	buffer_load_dword v97, off, s[20:23], 0 offset:456 ; 4-byte Folded Reload
	buffer_load_dword v98, off, s[20:23], 0 offset:460 ; 4-byte Folded Reload
	s_waitcnt vmcnt(0)
	ds_write2_b64 v125, v[95:96], v[97:98] offset0:30 offset1:31
	buffer_load_dword v95, off, s[20:23], 0 offset:432 ; 4-byte Folded Reload
	buffer_load_dword v96, off, s[20:23], 0 offset:436 ; 4-byte Folded Reload
	buffer_load_dword v97, off, s[20:23], 0 offset:440 ; 4-byte Folded Reload
	buffer_load_dword v98, off, s[20:23], 0 offset:444 ; 4-byte Folded Reload
	s_waitcnt vmcnt(0)
	ds_write2_b64 v125, v[95:96], v[97:98] offset0:32 offset1:33
	buffer_load_dword v95, off, s[20:23], 0 offset:416 ; 4-byte Folded Reload
	buffer_load_dword v96, off, s[20:23], 0 offset:420 ; 4-byte Folded Reload
	buffer_load_dword v97, off, s[20:23], 0 offset:424 ; 4-byte Folded Reload
	buffer_load_dword v98, off, s[20:23], 0 offset:428 ; 4-byte Folded Reload
	s_waitcnt vmcnt(0)
	ds_write2_b64 v125, v[95:96], v[97:98] offset0:34 offset1:35
	buffer_load_dword v95, off, s[20:23], 0 offset:400 ; 4-byte Folded Reload
	buffer_load_dword v96, off, s[20:23], 0 offset:404 ; 4-byte Folded Reload
	buffer_load_dword v97, off, s[20:23], 0 offset:408 ; 4-byte Folded Reload
	buffer_load_dword v98, off, s[20:23], 0 offset:412 ; 4-byte Folded Reload
	s_waitcnt vmcnt(0)
	ds_write2_b64 v125, v[95:96], v[97:98] offset0:36 offset1:37
	buffer_load_dword v95, off, s[20:23], 0 offset:384 ; 4-byte Folded Reload
	buffer_load_dword v96, off, s[20:23], 0 offset:388 ; 4-byte Folded Reload
	buffer_load_dword v97, off, s[20:23], 0 offset:392 ; 4-byte Folded Reload
	buffer_load_dword v98, off, s[20:23], 0 offset:396 ; 4-byte Folded Reload
	s_waitcnt vmcnt(0)
	ds_write2_b64 v125, v[95:96], v[97:98] offset0:38 offset1:39
	buffer_load_dword v95, off, s[20:23], 0 offset:368 ; 4-byte Folded Reload
	buffer_load_dword v96, off, s[20:23], 0 offset:372 ; 4-byte Folded Reload
	buffer_load_dword v97, off, s[20:23], 0 offset:376 ; 4-byte Folded Reload
	buffer_load_dword v98, off, s[20:23], 0 offset:380 ; 4-byte Folded Reload
	s_waitcnt vmcnt(0)
	ds_write2_b64 v125, v[95:96], v[97:98] offset0:40 offset1:41
	buffer_load_dword v95, off, s[20:23], 0 offset:352 ; 4-byte Folded Reload
	buffer_load_dword v96, off, s[20:23], 0 offset:356 ; 4-byte Folded Reload
	buffer_load_dword v97, off, s[20:23], 0 offset:360 ; 4-byte Folded Reload
	buffer_load_dword v98, off, s[20:23], 0 offset:364 ; 4-byte Folded Reload
	s_waitcnt vmcnt(0)
	ds_write2_b64 v125, v[95:96], v[97:98] offset0:42 offset1:43
	buffer_load_dword v95, off, s[20:23], 0 offset:336 ; 4-byte Folded Reload
	buffer_load_dword v96, off, s[20:23], 0 offset:340 ; 4-byte Folded Reload
	buffer_load_dword v97, off, s[20:23], 0 offset:344 ; 4-byte Folded Reload
	buffer_load_dword v98, off, s[20:23], 0 offset:348 ; 4-byte Folded Reload
	s_waitcnt vmcnt(0)
	ds_write2_b64 v125, v[95:96], v[97:98] offset0:44 offset1:45
	buffer_load_dword v95, off, s[20:23], 0 offset:320 ; 4-byte Folded Reload
	buffer_load_dword v96, off, s[20:23], 0 offset:324 ; 4-byte Folded Reload
	buffer_load_dword v97, off, s[20:23], 0 offset:328 ; 4-byte Folded Reload
	buffer_load_dword v98, off, s[20:23], 0 offset:332 ; 4-byte Folded Reload
	s_waitcnt vmcnt(0)
	ds_write2_b64 v125, v[95:96], v[97:98] offset0:46 offset1:47
	buffer_load_dword v95, off, s[20:23], 0 offset:304 ; 4-byte Folded Reload
	buffer_load_dword v96, off, s[20:23], 0 offset:308 ; 4-byte Folded Reload
	buffer_load_dword v97, off, s[20:23], 0 offset:312 ; 4-byte Folded Reload
	buffer_load_dword v98, off, s[20:23], 0 offset:316 ; 4-byte Folded Reload
	s_waitcnt vmcnt(0)
	ds_write2_b64 v125, v[95:96], v[97:98] offset0:48 offset1:49
	buffer_load_dword v95, off, s[20:23], 0 offset:288 ; 4-byte Folded Reload
	buffer_load_dword v96, off, s[20:23], 0 offset:292 ; 4-byte Folded Reload
	buffer_load_dword v97, off, s[20:23], 0 offset:296 ; 4-byte Folded Reload
	buffer_load_dword v98, off, s[20:23], 0 offset:300 ; 4-byte Folded Reload
	s_waitcnt vmcnt(0)
	ds_write2_b64 v125, v[95:96], v[97:98] offset0:50 offset1:51
	buffer_load_dword v95, off, s[20:23], 0 offset:272 ; 4-byte Folded Reload
	buffer_load_dword v96, off, s[20:23], 0 offset:276 ; 4-byte Folded Reload
	buffer_load_dword v97, off, s[20:23], 0 offset:280 ; 4-byte Folded Reload
	buffer_load_dword v98, off, s[20:23], 0 offset:284 ; 4-byte Folded Reload
	s_waitcnt vmcnt(0)
	ds_write2_b64 v125, v[95:96], v[97:98] offset0:52 offset1:53
	buffer_load_dword v95, off, s[20:23], 0 offset:256 ; 4-byte Folded Reload
	buffer_load_dword v96, off, s[20:23], 0 offset:260 ; 4-byte Folded Reload
	buffer_load_dword v97, off, s[20:23], 0 offset:264 ; 4-byte Folded Reload
	buffer_load_dword v98, off, s[20:23], 0 offset:268 ; 4-byte Folded Reload
	s_waitcnt vmcnt(0)
	ds_write2_b64 v125, v[95:96], v[97:98] offset0:54 offset1:55
	buffer_load_dword v95, off, s[20:23], 0 offset:240 ; 4-byte Folded Reload
	buffer_load_dword v96, off, s[20:23], 0 offset:244 ; 4-byte Folded Reload
	buffer_load_dword v97, off, s[20:23], 0 offset:248 ; 4-byte Folded Reload
	buffer_load_dword v98, off, s[20:23], 0 offset:252 ; 4-byte Folded Reload
	s_waitcnt vmcnt(0)
	ds_write2_b64 v125, v[95:96], v[97:98] offset0:56 offset1:57
	buffer_load_dword v95, off, s[20:23], 0 offset:224 ; 4-byte Folded Reload
	buffer_load_dword v96, off, s[20:23], 0 offset:228 ; 4-byte Folded Reload
	buffer_load_dword v97, off, s[20:23], 0 offset:232 ; 4-byte Folded Reload
	buffer_load_dword v98, off, s[20:23], 0 offset:236 ; 4-byte Folded Reload
	s_waitcnt vmcnt(0)
	ds_write2_b64 v125, v[95:96], v[97:98] offset0:58 offset1:59
	buffer_load_dword v95, off, s[20:23], 0 offset:208 ; 4-byte Folded Reload
	buffer_load_dword v96, off, s[20:23], 0 offset:212 ; 4-byte Folded Reload
	buffer_load_dword v97, off, s[20:23], 0 offset:216 ; 4-byte Folded Reload
	buffer_load_dword v98, off, s[20:23], 0 offset:220 ; 4-byte Folded Reload
	s_waitcnt vmcnt(0)
	ds_write2_b64 v125, v[95:96], v[97:98] offset0:60 offset1:61
	buffer_load_dword v95, off, s[20:23], 0 offset:192 ; 4-byte Folded Reload
	buffer_load_dword v96, off, s[20:23], 0 offset:196 ; 4-byte Folded Reload
	buffer_load_dword v97, off, s[20:23], 0 offset:200 ; 4-byte Folded Reload
	buffer_load_dword v98, off, s[20:23], 0 offset:204 ; 4-byte Folded Reload
	s_waitcnt vmcnt(0)
	ds_write2_b64 v125, v[95:96], v[97:98] offset0:62 offset1:63
	buffer_load_dword v95, off, s[20:23], 0 offset:176 ; 4-byte Folded Reload
	buffer_load_dword v96, off, s[20:23], 0 offset:180 ; 4-byte Folded Reload
	buffer_load_dword v97, off, s[20:23], 0 offset:184 ; 4-byte Folded Reload
	buffer_load_dword v98, off, s[20:23], 0 offset:188 ; 4-byte Folded Reload
	s_waitcnt vmcnt(0)
	ds_write2_b64 v125, v[95:96], v[97:98] offset0:64 offset1:65
	ds_write2_b64 v125, v[91:92], v[93:94] offset0:66 offset1:67
	buffer_load_dword v77, off, s[20:23], 0 offset:160 ; 4-byte Folded Reload
	buffer_load_dword v78, off, s[20:23], 0 offset:164 ; 4-byte Folded Reload
	buffer_load_dword v79, off, s[20:23], 0 offset:168 ; 4-byte Folded Reload
	buffer_load_dword v80, off, s[20:23], 0 offset:172 ; 4-byte Folded Reload
	s_waitcnt vmcnt(0)
	ds_write2_b64 v125, v[77:78], v[79:80] offset0:68 offset1:69
	buffer_load_dword v77, off, s[20:23], 0 offset:144 ; 4-byte Folded Reload
	buffer_load_dword v78, off, s[20:23], 0 offset:148 ; 4-byte Folded Reload
	buffer_load_dword v79, off, s[20:23], 0 offset:152 ; 4-byte Folded Reload
	buffer_load_dword v80, off, s[20:23], 0 offset:156 ; 4-byte Folded Reload
	s_waitcnt vmcnt(0)
	;; [unrolled: 6-line block ×10, first 2 shown]
	ds_write2_b64 v125, v[45:46], v[47:48] offset0:86 offset1:87
	buffer_load_dword v41, off, s[20:23], 0 ; 4-byte Folded Reload
	buffer_load_dword v42, off, s[20:23], 0 offset:4 ; 4-byte Folded Reload
	buffer_load_dword v43, off, s[20:23], 0 offset:8 ; 4-byte Folded Reload
	;; [unrolled: 1-line block ×3, first 2 shown]
	s_waitcnt vmcnt(0)
	ds_write2_b64 v125, v[41:42], v[43:44] offset0:88 offset1:89
	ds_write2_b64 v125, v[37:38], v[39:40] offset0:90 offset1:91
	;; [unrolled: 1-line block ×12, first 2 shown]
	ds_read2_b64 v[97:100], v127 offset1:1
	s_waitcnt lgkmcnt(0)
	v_cmp_neq_f64_e32 vcc, 0, v[97:98]
	v_cmp_neq_f64_e64 s[2:3], 0, v[99:100]
	s_or_b64 s[2:3], vcc, s[2:3]
	s_and_b64 exec, exec, s[2:3]
	s_cbranch_execz .LBB111_17
; %bb.12:
	v_cmp_ngt_f64_e64 s[2:3], |v[97:98]|, |v[99:100]|
                                        ; implicit-def: $vgpr101_vgpr102
	s_and_saveexec_b64 s[6:7], s[2:3]
	s_xor_b64 s[2:3], exec, s[6:7]
                                        ; implicit-def: $vgpr103_vgpr104
	s_cbranch_execz .LBB111_14
; %bb.13:
	v_div_scale_f64 v[101:102], s[6:7], v[99:100], v[99:100], v[97:98]
	v_rcp_f64_e32 v[103:104], v[101:102]
	v_fma_f64 v[105:106], -v[101:102], v[103:104], 1.0
	v_fma_f64 v[103:104], v[103:104], v[105:106], v[103:104]
	v_div_scale_f64 v[105:106], vcc, v[97:98], v[99:100], v[97:98]
	v_fma_f64 v[107:108], -v[101:102], v[103:104], 1.0
	v_fma_f64 v[103:104], v[103:104], v[107:108], v[103:104]
	v_mul_f64 v[107:108], v[105:106], v[103:104]
	v_fma_f64 v[101:102], -v[101:102], v[107:108], v[105:106]
	v_div_fmas_f64 v[101:102], v[101:102], v[103:104], v[107:108]
	v_div_fixup_f64 v[101:102], v[101:102], v[99:100], v[97:98]
	v_fma_f64 v[97:98], v[97:98], v[101:102], v[99:100]
	v_div_scale_f64 v[99:100], s[6:7], v[97:98], v[97:98], 1.0
	v_div_scale_f64 v[107:108], vcc, 1.0, v[97:98], 1.0
	v_rcp_f64_e32 v[103:104], v[99:100]
	v_fma_f64 v[105:106], -v[99:100], v[103:104], 1.0
	v_fma_f64 v[103:104], v[103:104], v[105:106], v[103:104]
	v_fma_f64 v[105:106], -v[99:100], v[103:104], 1.0
	v_fma_f64 v[103:104], v[103:104], v[105:106], v[103:104]
	v_mul_f64 v[105:106], v[107:108], v[103:104]
	v_fma_f64 v[99:100], -v[99:100], v[105:106], v[107:108]
	v_div_fmas_f64 v[99:100], v[99:100], v[103:104], v[105:106]
	v_div_fixup_f64 v[103:104], v[99:100], v[97:98], 1.0
                                        ; implicit-def: $vgpr97_vgpr98
	v_mul_f64 v[101:102], v[101:102], v[103:104]
	v_xor_b32_e32 v104, 0x80000000, v104
.LBB111_14:
	s_andn2_saveexec_b64 s[2:3], s[2:3]
	s_cbranch_execz .LBB111_16
; %bb.15:
	v_div_scale_f64 v[101:102], s[6:7], v[97:98], v[97:98], v[99:100]
	v_rcp_f64_e32 v[103:104], v[101:102]
	v_fma_f64 v[105:106], -v[101:102], v[103:104], 1.0
	v_fma_f64 v[103:104], v[103:104], v[105:106], v[103:104]
	v_div_scale_f64 v[105:106], vcc, v[99:100], v[97:98], v[99:100]
	v_fma_f64 v[107:108], -v[101:102], v[103:104], 1.0
	v_fma_f64 v[103:104], v[103:104], v[107:108], v[103:104]
	v_mul_f64 v[107:108], v[105:106], v[103:104]
	v_fma_f64 v[101:102], -v[101:102], v[107:108], v[105:106]
	v_div_fmas_f64 v[101:102], v[101:102], v[103:104], v[107:108]
	v_div_fixup_f64 v[103:104], v[101:102], v[97:98], v[99:100]
	v_fma_f64 v[97:98], v[99:100], v[103:104], v[97:98]
	v_div_scale_f64 v[99:100], s[6:7], v[97:98], v[97:98], 1.0
	v_div_scale_f64 v[107:108], vcc, 1.0, v[97:98], 1.0
	v_rcp_f64_e32 v[101:102], v[99:100]
	v_fma_f64 v[105:106], -v[99:100], v[101:102], 1.0
	v_fma_f64 v[101:102], v[101:102], v[105:106], v[101:102]
	v_fma_f64 v[105:106], -v[99:100], v[101:102], 1.0
	v_fma_f64 v[101:102], v[101:102], v[105:106], v[101:102]
	v_mul_f64 v[105:106], v[107:108], v[101:102]
	v_fma_f64 v[99:100], -v[99:100], v[105:106], v[107:108]
	v_div_fmas_f64 v[99:100], v[99:100], v[101:102], v[105:106]
	v_div_fixup_f64 v[101:102], v[99:100], v[97:98], 1.0
	v_mul_f64 v[103:104], v[103:104], -v[101:102]
.LBB111_16:
	s_or_b64 exec, exec, s[2:3]
	ds_write2_b64 v127, v[101:102], v[103:104] offset1:1
.LBB111_17:
	s_or_b64 exec, exec, s[4:5]
	s_waitcnt lgkmcnt(0)
	s_barrier
	ds_read2_b64 v[95:98], v127 offset1:1
	v_cmp_lt_u32_e32 vcc, 1, v0
	s_waitcnt lgkmcnt(0)
	buffer_store_dword v95, off, s[20:23], 0 offset:1152 ; 4-byte Folded Spill
	s_nop 0
	buffer_store_dword v96, off, s[20:23], 0 offset:1156 ; 4-byte Folded Spill
	buffer_store_dword v97, off, s[20:23], 0 offset:1160 ; 4-byte Folded Spill
	;; [unrolled: 1-line block ×3, first 2 shown]
	s_and_saveexec_b64 s[2:3], vcc
	s_cbranch_execz .LBB111_19
; %bb.18:
	buffer_load_dword v107, off, s[20:23], 0 offset:672 ; 4-byte Folded Reload
	buffer_load_dword v108, off, s[20:23], 0 offset:676 ; 4-byte Folded Reload
	;; [unrolled: 1-line block ×8, first 2 shown]
	s_waitcnt vmcnt(0)
	v_mul_f64 v[97:98], v[101:102], v[109:110]
	v_fma_f64 v[97:98], v[99:100], v[107:108], -v[97:98]
	v_mul_f64 v[99:100], v[99:100], v[109:110]
	v_fma_f64 v[109:110], v[101:102], v[107:108], v[99:100]
	ds_read2_b64 v[99:102], v125 offset0:4 offset1:5
	buffer_load_dword v105, off, s[20:23], 0 offset:656 ; 4-byte Folded Reload
	buffer_load_dword v106, off, s[20:23], 0 offset:660 ; 4-byte Folded Reload
	buffer_load_dword v107, off, s[20:23], 0 offset:664 ; 4-byte Folded Reload
	buffer_load_dword v108, off, s[20:23], 0 offset:668 ; 4-byte Folded Reload
	s_waitcnt lgkmcnt(0)
	v_mul_f64 v[103:104], v[101:102], v[109:110]
	v_fma_f64 v[103:104], v[99:100], v[97:98], -v[103:104]
	v_mul_f64 v[99:100], v[99:100], v[109:110]
	v_fma_f64 v[99:100], v[101:102], v[97:98], v[99:100]
	s_waitcnt vmcnt(2)
	v_add_f64 v[105:106], v[105:106], -v[103:104]
	s_waitcnt vmcnt(0)
	v_add_f64 v[107:108], v[107:108], -v[99:100]
	buffer_store_dword v105, off, s[20:23], 0 offset:656 ; 4-byte Folded Spill
	s_nop 0
	buffer_store_dword v106, off, s[20:23], 0 offset:660 ; 4-byte Folded Spill
	buffer_store_dword v107, off, s[20:23], 0 offset:664 ; 4-byte Folded Spill
	buffer_store_dword v108, off, s[20:23], 0 offset:668 ; 4-byte Folded Spill
	ds_read2_b64 v[99:102], v125 offset0:6 offset1:7
	buffer_load_dword v105, off, s[20:23], 0 offset:640 ; 4-byte Folded Reload
	buffer_load_dword v106, off, s[20:23], 0 offset:644 ; 4-byte Folded Reload
	buffer_load_dword v107, off, s[20:23], 0 offset:648 ; 4-byte Folded Reload
	buffer_load_dword v108, off, s[20:23], 0 offset:652 ; 4-byte Folded Reload
	s_waitcnt lgkmcnt(0)
	v_mul_f64 v[103:104], v[101:102], v[109:110]
	v_fma_f64 v[103:104], v[99:100], v[97:98], -v[103:104]
	v_mul_f64 v[99:100], v[99:100], v[109:110]
	v_fma_f64 v[99:100], v[101:102], v[97:98], v[99:100]
	s_waitcnt vmcnt(2)
	v_add_f64 v[105:106], v[105:106], -v[103:104]
	s_waitcnt vmcnt(0)
	v_add_f64 v[107:108], v[107:108], -v[99:100]
	buffer_store_dword v105, off, s[20:23], 0 offset:640 ; 4-byte Folded Spill
	s_nop 0
	buffer_store_dword v106, off, s[20:23], 0 offset:644 ; 4-byte Folded Spill
	buffer_store_dword v107, off, s[20:23], 0 offset:648 ; 4-byte Folded Spill
	buffer_store_dword v108, off, s[20:23], 0 offset:652 ; 4-byte Folded Spill
	;; [unrolled: 19-line block ×31, first 2 shown]
	ds_read2_b64 v[99:102], v125 offset0:66 offset1:67
	v_mov_b32_e32 v108, v98
	v_mov_b32_e32 v107, v97
	s_waitcnt lgkmcnt(0)
	v_mul_f64 v[103:104], v[101:102], v[109:110]
	v_fma_f64 v[103:104], v[99:100], v[97:98], -v[103:104]
	v_mul_f64 v[99:100], v[99:100], v[109:110]
	v_add_f64 v[91:92], v[91:92], -v[103:104]
	v_fma_f64 v[99:100], v[101:102], v[97:98], v[99:100]
	v_add_f64 v[93:94], v[93:94], -v[99:100]
	ds_read2_b64 v[99:102], v125 offset0:68 offset1:69
	buffer_load_dword v77, off, s[20:23], 0 offset:160 ; 4-byte Folded Reload
	buffer_load_dword v78, off, s[20:23], 0 offset:164 ; 4-byte Folded Reload
	buffer_load_dword v79, off, s[20:23], 0 offset:168 ; 4-byte Folded Reload
	buffer_load_dword v80, off, s[20:23], 0 offset:172 ; 4-byte Folded Reload
	s_waitcnt lgkmcnt(0)
	v_mul_f64 v[103:104], v[101:102], v[109:110]
	v_fma_f64 v[103:104], v[99:100], v[97:98], -v[103:104]
	v_mul_f64 v[99:100], v[99:100], v[109:110]
	v_fma_f64 v[99:100], v[101:102], v[97:98], v[99:100]
	s_waitcnt vmcnt(2)
	v_add_f64 v[77:78], v[77:78], -v[103:104]
	s_waitcnt vmcnt(0)
	v_add_f64 v[79:80], v[79:80], -v[99:100]
	buffer_store_dword v77, off, s[20:23], 0 offset:160 ; 4-byte Folded Spill
	s_nop 0
	buffer_store_dword v78, off, s[20:23], 0 offset:164 ; 4-byte Folded Spill
	buffer_store_dword v79, off, s[20:23], 0 offset:168 ; 4-byte Folded Spill
	buffer_store_dword v80, off, s[20:23], 0 offset:172 ; 4-byte Folded Spill
	ds_read2_b64 v[99:102], v125 offset0:70 offset1:71
	buffer_load_dword v77, off, s[20:23], 0 offset:144 ; 4-byte Folded Reload
	buffer_load_dword v78, off, s[20:23], 0 offset:148 ; 4-byte Folded Reload
	buffer_load_dword v79, off, s[20:23], 0 offset:152 ; 4-byte Folded Reload
	buffer_load_dword v80, off, s[20:23], 0 offset:156 ; 4-byte Folded Reload
	s_waitcnt lgkmcnt(0)
	v_mul_f64 v[103:104], v[101:102], v[109:110]
	v_fma_f64 v[103:104], v[99:100], v[97:98], -v[103:104]
	v_mul_f64 v[99:100], v[99:100], v[109:110]
	v_fma_f64 v[99:100], v[101:102], v[97:98], v[99:100]
	s_waitcnt vmcnt(2)
	v_add_f64 v[77:78], v[77:78], -v[103:104]
	s_waitcnt vmcnt(0)
	v_add_f64 v[79:80], v[79:80], -v[99:100]
	buffer_store_dword v77, off, s[20:23], 0 offset:144 ; 4-byte Folded Spill
	s_nop 0
	buffer_store_dword v78, off, s[20:23], 0 offset:148 ; 4-byte Folded Spill
	buffer_store_dword v79, off, s[20:23], 0 offset:152 ; 4-byte Folded Spill
	buffer_store_dword v80, off, s[20:23], 0 offset:156 ; 4-byte Folded Spill
	ds_read2_b64 v[99:102], v125 offset0:72 offset1:73
	buffer_load_dword v73, off, s[20:23], 0 offset:128 ; 4-byte Folded Reload
	buffer_load_dword v74, off, s[20:23], 0 offset:132 ; 4-byte Folded Reload
	buffer_load_dword v75, off, s[20:23], 0 offset:136 ; 4-byte Folded Reload
	buffer_load_dword v76, off, s[20:23], 0 offset:140 ; 4-byte Folded Reload
	s_waitcnt lgkmcnt(0)
	v_mul_f64 v[103:104], v[101:102], v[109:110]
	v_fma_f64 v[103:104], v[99:100], v[97:98], -v[103:104]
	v_mul_f64 v[99:100], v[99:100], v[109:110]
	v_fma_f64 v[99:100], v[101:102], v[97:98], v[99:100]
	s_waitcnt vmcnt(2)
	v_add_f64 v[73:74], v[73:74], -v[103:104]
	s_waitcnt vmcnt(0)
	v_add_f64 v[75:76], v[75:76], -v[99:100]
	buffer_store_dword v73, off, s[20:23], 0 offset:128 ; 4-byte Folded Spill
	s_nop 0
	buffer_store_dword v74, off, s[20:23], 0 offset:132 ; 4-byte Folded Spill
	buffer_store_dword v75, off, s[20:23], 0 offset:136 ; 4-byte Folded Spill
	buffer_store_dword v76, off, s[20:23], 0 offset:140 ; 4-byte Folded Spill
	ds_read2_b64 v[99:102], v125 offset0:74 offset1:75
	buffer_load_dword v69, off, s[20:23], 0 offset:112 ; 4-byte Folded Reload
	buffer_load_dword v70, off, s[20:23], 0 offset:116 ; 4-byte Folded Reload
	buffer_load_dword v71, off, s[20:23], 0 offset:120 ; 4-byte Folded Reload
	buffer_load_dword v72, off, s[20:23], 0 offset:124 ; 4-byte Folded Reload
	s_waitcnt lgkmcnt(0)
	v_mul_f64 v[103:104], v[101:102], v[109:110]
	v_fma_f64 v[103:104], v[99:100], v[97:98], -v[103:104]
	v_mul_f64 v[99:100], v[99:100], v[109:110]
	v_fma_f64 v[99:100], v[101:102], v[97:98], v[99:100]
	s_waitcnt vmcnt(2)
	v_add_f64 v[69:70], v[69:70], -v[103:104]
	s_waitcnt vmcnt(0)
	v_add_f64 v[71:72], v[71:72], -v[99:100]
	buffer_store_dword v69, off, s[20:23], 0 offset:112 ; 4-byte Folded Spill
	s_nop 0
	buffer_store_dword v70, off, s[20:23], 0 offset:116 ; 4-byte Folded Spill
	buffer_store_dword v71, off, s[20:23], 0 offset:120 ; 4-byte Folded Spill
	buffer_store_dword v72, off, s[20:23], 0 offset:124 ; 4-byte Folded Spill
	ds_read2_b64 v[99:102], v125 offset0:76 offset1:77
	buffer_load_dword v65, off, s[20:23], 0 offset:96 ; 4-byte Folded Reload
	buffer_load_dword v66, off, s[20:23], 0 offset:100 ; 4-byte Folded Reload
	buffer_load_dword v67, off, s[20:23], 0 offset:104 ; 4-byte Folded Reload
	buffer_load_dword v68, off, s[20:23], 0 offset:108 ; 4-byte Folded Reload
	s_waitcnt lgkmcnt(0)
	v_mul_f64 v[103:104], v[101:102], v[109:110]
	v_fma_f64 v[103:104], v[99:100], v[97:98], -v[103:104]
	v_mul_f64 v[99:100], v[99:100], v[109:110]
	v_fma_f64 v[99:100], v[101:102], v[97:98], v[99:100]
	s_waitcnt vmcnt(2)
	v_add_f64 v[65:66], v[65:66], -v[103:104]
	s_waitcnt vmcnt(0)
	v_add_f64 v[67:68], v[67:68], -v[99:100]
	buffer_store_dword v65, off, s[20:23], 0 offset:96 ; 4-byte Folded Spill
	s_nop 0
	buffer_store_dword v66, off, s[20:23], 0 offset:100 ; 4-byte Folded Spill
	buffer_store_dword v67, off, s[20:23], 0 offset:104 ; 4-byte Folded Spill
	buffer_store_dword v68, off, s[20:23], 0 offset:108 ; 4-byte Folded Spill
	ds_read2_b64 v[99:102], v125 offset0:78 offset1:79
	buffer_load_dword v61, off, s[20:23], 0 offset:80 ; 4-byte Folded Reload
	buffer_load_dword v62, off, s[20:23], 0 offset:84 ; 4-byte Folded Reload
	buffer_load_dword v63, off, s[20:23], 0 offset:88 ; 4-byte Folded Reload
	buffer_load_dword v64, off, s[20:23], 0 offset:92 ; 4-byte Folded Reload
	s_waitcnt lgkmcnt(0)
	v_mul_f64 v[103:104], v[101:102], v[109:110]
	v_fma_f64 v[103:104], v[99:100], v[97:98], -v[103:104]
	v_mul_f64 v[99:100], v[99:100], v[109:110]
	v_fma_f64 v[99:100], v[101:102], v[97:98], v[99:100]
	s_waitcnt vmcnt(2)
	v_add_f64 v[61:62], v[61:62], -v[103:104]
	s_waitcnt vmcnt(0)
	v_add_f64 v[63:64], v[63:64], -v[99:100]
	buffer_store_dword v61, off, s[20:23], 0 offset:80 ; 4-byte Folded Spill
	s_nop 0
	buffer_store_dword v62, off, s[20:23], 0 offset:84 ; 4-byte Folded Spill
	buffer_store_dword v63, off, s[20:23], 0 offset:88 ; 4-byte Folded Spill
	buffer_store_dword v64, off, s[20:23], 0 offset:92 ; 4-byte Folded Spill
	ds_read2_b64 v[99:102], v125 offset0:80 offset1:81
	buffer_load_dword v57, off, s[20:23], 0 offset:64 ; 4-byte Folded Reload
	buffer_load_dword v58, off, s[20:23], 0 offset:68 ; 4-byte Folded Reload
	buffer_load_dword v59, off, s[20:23], 0 offset:72 ; 4-byte Folded Reload
	buffer_load_dword v60, off, s[20:23], 0 offset:76 ; 4-byte Folded Reload
	s_waitcnt lgkmcnt(0)
	v_mul_f64 v[103:104], v[101:102], v[109:110]
	v_fma_f64 v[103:104], v[99:100], v[97:98], -v[103:104]
	v_mul_f64 v[99:100], v[99:100], v[109:110]
	v_fma_f64 v[99:100], v[101:102], v[97:98], v[99:100]
	s_waitcnt vmcnt(2)
	v_add_f64 v[57:58], v[57:58], -v[103:104]
	s_waitcnt vmcnt(0)
	v_add_f64 v[59:60], v[59:60], -v[99:100]
	buffer_store_dword v57, off, s[20:23], 0 offset:64 ; 4-byte Folded Spill
	s_nop 0
	buffer_store_dword v58, off, s[20:23], 0 offset:68 ; 4-byte Folded Spill
	buffer_store_dword v59, off, s[20:23], 0 offset:72 ; 4-byte Folded Spill
	buffer_store_dword v60, off, s[20:23], 0 offset:76 ; 4-byte Folded Spill
	ds_read2_b64 v[99:102], v125 offset0:82 offset1:83
	buffer_load_dword v53, off, s[20:23], 0 offset:48 ; 4-byte Folded Reload
	buffer_load_dword v54, off, s[20:23], 0 offset:52 ; 4-byte Folded Reload
	buffer_load_dword v55, off, s[20:23], 0 offset:56 ; 4-byte Folded Reload
	buffer_load_dword v56, off, s[20:23], 0 offset:60 ; 4-byte Folded Reload
	s_waitcnt lgkmcnt(0)
	v_mul_f64 v[103:104], v[101:102], v[109:110]
	v_fma_f64 v[103:104], v[99:100], v[97:98], -v[103:104]
	v_mul_f64 v[99:100], v[99:100], v[109:110]
	v_fma_f64 v[99:100], v[101:102], v[97:98], v[99:100]
	s_waitcnt vmcnt(2)
	v_add_f64 v[53:54], v[53:54], -v[103:104]
	s_waitcnt vmcnt(0)
	v_add_f64 v[55:56], v[55:56], -v[99:100]
	buffer_store_dword v53, off, s[20:23], 0 offset:48 ; 4-byte Folded Spill
	s_nop 0
	buffer_store_dword v54, off, s[20:23], 0 offset:52 ; 4-byte Folded Spill
	buffer_store_dword v55, off, s[20:23], 0 offset:56 ; 4-byte Folded Spill
	buffer_store_dword v56, off, s[20:23], 0 offset:60 ; 4-byte Folded Spill
	ds_read2_b64 v[99:102], v125 offset0:84 offset1:85
	buffer_load_dword v49, off, s[20:23], 0 offset:32 ; 4-byte Folded Reload
	buffer_load_dword v50, off, s[20:23], 0 offset:36 ; 4-byte Folded Reload
	buffer_load_dword v51, off, s[20:23], 0 offset:40 ; 4-byte Folded Reload
	buffer_load_dword v52, off, s[20:23], 0 offset:44 ; 4-byte Folded Reload
	s_waitcnt lgkmcnt(0)
	v_mul_f64 v[103:104], v[101:102], v[109:110]
	v_fma_f64 v[103:104], v[99:100], v[97:98], -v[103:104]
	v_mul_f64 v[99:100], v[99:100], v[109:110]
	v_fma_f64 v[99:100], v[101:102], v[97:98], v[99:100]
	s_waitcnt vmcnt(2)
	v_add_f64 v[49:50], v[49:50], -v[103:104]
	s_waitcnt vmcnt(0)
	v_add_f64 v[51:52], v[51:52], -v[99:100]
	buffer_store_dword v49, off, s[20:23], 0 offset:32 ; 4-byte Folded Spill
	s_nop 0
	buffer_store_dword v50, off, s[20:23], 0 offset:36 ; 4-byte Folded Spill
	buffer_store_dword v51, off, s[20:23], 0 offset:40 ; 4-byte Folded Spill
	buffer_store_dword v52, off, s[20:23], 0 offset:44 ; 4-byte Folded Spill
	ds_read2_b64 v[99:102], v125 offset0:86 offset1:87
	buffer_load_dword v45, off, s[20:23], 0 offset:16 ; 4-byte Folded Reload
	buffer_load_dword v46, off, s[20:23], 0 offset:20 ; 4-byte Folded Reload
	buffer_load_dword v47, off, s[20:23], 0 offset:24 ; 4-byte Folded Reload
	buffer_load_dword v48, off, s[20:23], 0 offset:28 ; 4-byte Folded Reload
	s_waitcnt lgkmcnt(0)
	v_mul_f64 v[103:104], v[101:102], v[109:110]
	v_fma_f64 v[103:104], v[99:100], v[97:98], -v[103:104]
	v_mul_f64 v[99:100], v[99:100], v[109:110]
	v_fma_f64 v[99:100], v[101:102], v[97:98], v[99:100]
	s_waitcnt vmcnt(2)
	v_add_f64 v[45:46], v[45:46], -v[103:104]
	s_waitcnt vmcnt(0)
	v_add_f64 v[47:48], v[47:48], -v[99:100]
	buffer_store_dword v45, off, s[20:23], 0 offset:16 ; 4-byte Folded Spill
	s_nop 0
	buffer_store_dword v46, off, s[20:23], 0 offset:20 ; 4-byte Folded Spill
	buffer_store_dword v47, off, s[20:23], 0 offset:24 ; 4-byte Folded Spill
	buffer_store_dword v48, off, s[20:23], 0 offset:28 ; 4-byte Folded Spill
	ds_read2_b64 v[99:102], v125 offset0:88 offset1:89
	buffer_load_dword v41, off, s[20:23], 0 ; 4-byte Folded Reload
	buffer_load_dword v42, off, s[20:23], 0 offset:4 ; 4-byte Folded Reload
	buffer_load_dword v43, off, s[20:23], 0 offset:8 ; 4-byte Folded Reload
	;; [unrolled: 1-line block ×3, first 2 shown]
	s_waitcnt lgkmcnt(0)
	v_mul_f64 v[103:104], v[101:102], v[109:110]
	v_fma_f64 v[103:104], v[99:100], v[97:98], -v[103:104]
	v_mul_f64 v[99:100], v[99:100], v[109:110]
	v_fma_f64 v[99:100], v[101:102], v[97:98], v[99:100]
	s_waitcnt vmcnt(2)
	v_add_f64 v[41:42], v[41:42], -v[103:104]
	s_waitcnt vmcnt(0)
	v_add_f64 v[43:44], v[43:44], -v[99:100]
	buffer_store_dword v41, off, s[20:23], 0 ; 4-byte Folded Spill
	s_nop 0
	buffer_store_dword v42, off, s[20:23], 0 offset:4 ; 4-byte Folded Spill
	buffer_store_dword v43, off, s[20:23], 0 offset:8 ; 4-byte Folded Spill
	;; [unrolled: 1-line block ×3, first 2 shown]
	ds_read2_b64 v[99:102], v125 offset0:90 offset1:91
	s_waitcnt lgkmcnt(0)
	v_mul_f64 v[103:104], v[101:102], v[109:110]
	v_fma_f64 v[103:104], v[99:100], v[97:98], -v[103:104]
	v_mul_f64 v[99:100], v[99:100], v[109:110]
	v_add_f64 v[37:38], v[37:38], -v[103:104]
	v_fma_f64 v[99:100], v[101:102], v[97:98], v[99:100]
	v_add_f64 v[39:40], v[39:40], -v[99:100]
	ds_read2_b64 v[99:102], v125 offset0:92 offset1:93
	s_waitcnt lgkmcnt(0)
	v_mul_f64 v[103:104], v[101:102], v[109:110]
	v_fma_f64 v[103:104], v[99:100], v[97:98], -v[103:104]
	v_mul_f64 v[99:100], v[99:100], v[109:110]
	v_add_f64 v[33:34], v[33:34], -v[103:104]
	v_fma_f64 v[99:100], v[101:102], v[97:98], v[99:100]
	v_add_f64 v[35:36], v[35:36], -v[99:100]
	;; [unrolled: 8-line block ×9, first 2 shown]
	ds_read2_b64 v[99:102], v125 offset0:108 offset1:109
	s_waitcnt lgkmcnt(0)
	v_mul_f64 v[103:104], v[101:102], v[109:110]
	v_fma_f64 v[103:104], v[99:100], v[97:98], -v[103:104]
	v_mul_f64 v[99:100], v[99:100], v[109:110]
	v_add_f64 v[1:2], v[1:2], -v[103:104]
	v_fma_f64 v[99:100], v[101:102], v[97:98], v[99:100]
	ds_read2_b64 v[101:104], v125 offset0:110 offset1:111
	v_add_f64 v[3:4], v[3:4], -v[99:100]
	s_waitcnt lgkmcnt(0)
	v_mul_f64 v[99:100], v[103:104], v[109:110]
	v_fma_f64 v[99:100], v[101:102], v[97:98], -v[99:100]
	v_mul_f64 v[101:102], v[101:102], v[109:110]
	buffer_store_dword v107, off, s[20:23], 0 offset:672 ; 4-byte Folded Spill
	s_nop 0
	buffer_store_dword v108, off, s[20:23], 0 offset:676 ; 4-byte Folded Spill
	buffer_store_dword v109, off, s[20:23], 0 offset:680 ; 4-byte Folded Spill
	;; [unrolled: 1-line block ×3, first 2 shown]
	v_add_f64 v[121:122], v[121:122], -v[99:100]
	v_fma_f64 v[101:102], v[103:104], v[97:98], v[101:102]
	v_add_f64 v[123:124], v[123:124], -v[101:102]
.LBB111_19:
	s_or_b64 exec, exec, s[2:3]
	v_cmp_eq_u32_e32 vcc, 2, v0
	s_waitcnt vmcnt(0)
	s_barrier
	s_and_saveexec_b64 s[4:5], vcc
	s_cbranch_execz .LBB111_26
; %bb.20:
	buffer_load_dword v95, off, s[20:23], 0 offset:656 ; 4-byte Folded Reload
	buffer_load_dword v96, off, s[20:23], 0 offset:660 ; 4-byte Folded Reload
	;; [unrolled: 1-line block ×4, first 2 shown]
	s_waitcnt vmcnt(0)
	ds_write2_b64 v127, v[95:96], v[97:98] offset1:1
	buffer_load_dword v95, off, s[20:23], 0 offset:640 ; 4-byte Folded Reload
	buffer_load_dword v96, off, s[20:23], 0 offset:644 ; 4-byte Folded Reload
	buffer_load_dword v97, off, s[20:23], 0 offset:648 ; 4-byte Folded Reload
	buffer_load_dword v98, off, s[20:23], 0 offset:652 ; 4-byte Folded Reload
	s_waitcnt vmcnt(0)
	ds_write2_b64 v125, v[95:96], v[97:98] offset0:6 offset1:7
	buffer_load_dword v95, off, s[20:23], 0 offset:624 ; 4-byte Folded Reload
	buffer_load_dword v96, off, s[20:23], 0 offset:628 ; 4-byte Folded Reload
	buffer_load_dword v97, off, s[20:23], 0 offset:632 ; 4-byte Folded Reload
	buffer_load_dword v98, off, s[20:23], 0 offset:636 ; 4-byte Folded Reload
	s_waitcnt vmcnt(0)
	ds_write2_b64 v125, v[95:96], v[97:98] offset0:8 offset1:9
	;; [unrolled: 6-line block ×30, first 2 shown]
	ds_write2_b64 v125, v[91:92], v[93:94] offset0:66 offset1:67
	buffer_load_dword v77, off, s[20:23], 0 offset:160 ; 4-byte Folded Reload
	buffer_load_dword v78, off, s[20:23], 0 offset:164 ; 4-byte Folded Reload
	buffer_load_dword v79, off, s[20:23], 0 offset:168 ; 4-byte Folded Reload
	buffer_load_dword v80, off, s[20:23], 0 offset:172 ; 4-byte Folded Reload
	s_waitcnt vmcnt(0)
	ds_write2_b64 v125, v[77:78], v[79:80] offset0:68 offset1:69
	buffer_load_dword v77, off, s[20:23], 0 offset:144 ; 4-byte Folded Reload
	buffer_load_dword v78, off, s[20:23], 0 offset:148 ; 4-byte Folded Reload
	buffer_load_dword v79, off, s[20:23], 0 offset:152 ; 4-byte Folded Reload
	buffer_load_dword v80, off, s[20:23], 0 offset:156 ; 4-byte Folded Reload
	s_waitcnt vmcnt(0)
	;; [unrolled: 6-line block ×10, first 2 shown]
	ds_write2_b64 v125, v[45:46], v[47:48] offset0:86 offset1:87
	buffer_load_dword v41, off, s[20:23], 0 ; 4-byte Folded Reload
	buffer_load_dword v42, off, s[20:23], 0 offset:4 ; 4-byte Folded Reload
	buffer_load_dword v43, off, s[20:23], 0 offset:8 ; 4-byte Folded Reload
	buffer_load_dword v44, off, s[20:23], 0 offset:12 ; 4-byte Folded Reload
	s_waitcnt vmcnt(0)
	ds_write2_b64 v125, v[41:42], v[43:44] offset0:88 offset1:89
	ds_write2_b64 v125, v[37:38], v[39:40] offset0:90 offset1:91
	;; [unrolled: 1-line block ×12, first 2 shown]
	ds_read2_b64 v[97:100], v127 offset1:1
	s_waitcnt lgkmcnt(0)
	v_cmp_neq_f64_e32 vcc, 0, v[97:98]
	v_cmp_neq_f64_e64 s[2:3], 0, v[99:100]
	s_or_b64 s[2:3], vcc, s[2:3]
	s_and_b64 exec, exec, s[2:3]
	s_cbranch_execz .LBB111_26
; %bb.21:
	v_cmp_ngt_f64_e64 s[2:3], |v[97:98]|, |v[99:100]|
                                        ; implicit-def: $vgpr101_vgpr102
	s_and_saveexec_b64 s[6:7], s[2:3]
	s_xor_b64 s[2:3], exec, s[6:7]
                                        ; implicit-def: $vgpr103_vgpr104
	s_cbranch_execz .LBB111_23
; %bb.22:
	v_div_scale_f64 v[101:102], s[6:7], v[99:100], v[99:100], v[97:98]
	v_rcp_f64_e32 v[103:104], v[101:102]
	v_fma_f64 v[105:106], -v[101:102], v[103:104], 1.0
	v_fma_f64 v[103:104], v[103:104], v[105:106], v[103:104]
	v_div_scale_f64 v[105:106], vcc, v[97:98], v[99:100], v[97:98]
	v_fma_f64 v[107:108], -v[101:102], v[103:104], 1.0
	v_fma_f64 v[103:104], v[103:104], v[107:108], v[103:104]
	v_mul_f64 v[107:108], v[105:106], v[103:104]
	v_fma_f64 v[101:102], -v[101:102], v[107:108], v[105:106]
	v_div_fmas_f64 v[101:102], v[101:102], v[103:104], v[107:108]
	v_div_fixup_f64 v[101:102], v[101:102], v[99:100], v[97:98]
	v_fma_f64 v[97:98], v[97:98], v[101:102], v[99:100]
	v_div_scale_f64 v[99:100], s[6:7], v[97:98], v[97:98], 1.0
	v_div_scale_f64 v[107:108], vcc, 1.0, v[97:98], 1.0
	v_rcp_f64_e32 v[103:104], v[99:100]
	v_fma_f64 v[105:106], -v[99:100], v[103:104], 1.0
	v_fma_f64 v[103:104], v[103:104], v[105:106], v[103:104]
	v_fma_f64 v[105:106], -v[99:100], v[103:104], 1.0
	v_fma_f64 v[103:104], v[103:104], v[105:106], v[103:104]
	v_mul_f64 v[105:106], v[107:108], v[103:104]
	v_fma_f64 v[99:100], -v[99:100], v[105:106], v[107:108]
	v_div_fmas_f64 v[99:100], v[99:100], v[103:104], v[105:106]
	v_div_fixup_f64 v[103:104], v[99:100], v[97:98], 1.0
                                        ; implicit-def: $vgpr97_vgpr98
	v_mul_f64 v[101:102], v[101:102], v[103:104]
	v_xor_b32_e32 v104, 0x80000000, v104
.LBB111_23:
	s_andn2_saveexec_b64 s[2:3], s[2:3]
	s_cbranch_execz .LBB111_25
; %bb.24:
	v_div_scale_f64 v[101:102], s[6:7], v[97:98], v[97:98], v[99:100]
	v_rcp_f64_e32 v[103:104], v[101:102]
	v_fma_f64 v[105:106], -v[101:102], v[103:104], 1.0
	v_fma_f64 v[103:104], v[103:104], v[105:106], v[103:104]
	v_div_scale_f64 v[105:106], vcc, v[99:100], v[97:98], v[99:100]
	v_fma_f64 v[107:108], -v[101:102], v[103:104], 1.0
	v_fma_f64 v[103:104], v[103:104], v[107:108], v[103:104]
	v_mul_f64 v[107:108], v[105:106], v[103:104]
	v_fma_f64 v[101:102], -v[101:102], v[107:108], v[105:106]
	v_div_fmas_f64 v[101:102], v[101:102], v[103:104], v[107:108]
	v_div_fixup_f64 v[103:104], v[101:102], v[97:98], v[99:100]
	v_fma_f64 v[97:98], v[99:100], v[103:104], v[97:98]
	v_div_scale_f64 v[99:100], s[6:7], v[97:98], v[97:98], 1.0
	v_div_scale_f64 v[107:108], vcc, 1.0, v[97:98], 1.0
	v_rcp_f64_e32 v[101:102], v[99:100]
	v_fma_f64 v[105:106], -v[99:100], v[101:102], 1.0
	v_fma_f64 v[101:102], v[101:102], v[105:106], v[101:102]
	v_fma_f64 v[105:106], -v[99:100], v[101:102], 1.0
	v_fma_f64 v[101:102], v[101:102], v[105:106], v[101:102]
	v_mul_f64 v[105:106], v[107:108], v[101:102]
	v_fma_f64 v[99:100], -v[99:100], v[105:106], v[107:108]
	v_div_fmas_f64 v[99:100], v[99:100], v[101:102], v[105:106]
	v_div_fixup_f64 v[101:102], v[99:100], v[97:98], 1.0
	v_mul_f64 v[103:104], v[103:104], -v[101:102]
.LBB111_25:
	s_or_b64 exec, exec, s[2:3]
	ds_write2_b64 v127, v[101:102], v[103:104] offset1:1
.LBB111_26:
	s_or_b64 exec, exec, s[4:5]
	s_waitcnt lgkmcnt(0)
	s_barrier
	ds_read2_b64 v[87:90], v127 offset1:1
	v_cmp_lt_u32_e32 vcc, 2, v0
	s_waitcnt lgkmcnt(0)
	buffer_store_dword v87, off, s[20:23], 0 offset:1176 ; 4-byte Folded Spill
	s_nop 0
	buffer_store_dword v88, off, s[20:23], 0 offset:1180 ; 4-byte Folded Spill
	buffer_store_dword v89, off, s[20:23], 0 offset:1184 ; 4-byte Folded Spill
	;; [unrolled: 1-line block ×3, first 2 shown]
	s_and_saveexec_b64 s[2:3], vcc
	s_cbranch_execz .LBB111_28
; %bb.27:
	buffer_load_dword v107, off, s[20:23], 0 offset:656 ; 4-byte Folded Reload
	buffer_load_dword v108, off, s[20:23], 0 offset:660 ; 4-byte Folded Reload
	;; [unrolled: 1-line block ×8, first 2 shown]
	s_waitcnt vmcnt(2)
	v_mul_f64 v[99:100], v[87:88], v[109:110]
	s_waitcnt vmcnt(0)
	v_mul_f64 v[97:98], v[89:90], v[109:110]
	v_fma_f64 v[109:110], v[89:90], v[107:108], v[99:100]
	ds_read2_b64 v[99:102], v125 offset0:6 offset1:7
	v_fma_f64 v[97:98], v[87:88], v[107:108], -v[97:98]
	buffer_load_dword v105, off, s[20:23], 0 offset:640 ; 4-byte Folded Reload
	buffer_load_dword v106, off, s[20:23], 0 offset:644 ; 4-byte Folded Reload
	buffer_load_dword v107, off, s[20:23], 0 offset:648 ; 4-byte Folded Reload
	buffer_load_dword v108, off, s[20:23], 0 offset:652 ; 4-byte Folded Reload
	s_waitcnt lgkmcnt(0)
	v_mul_f64 v[103:104], v[101:102], v[109:110]
	v_fma_f64 v[103:104], v[99:100], v[97:98], -v[103:104]
	v_mul_f64 v[99:100], v[99:100], v[109:110]
	v_fma_f64 v[99:100], v[101:102], v[97:98], v[99:100]
	s_waitcnt vmcnt(2)
	v_add_f64 v[105:106], v[105:106], -v[103:104]
	s_waitcnt vmcnt(0)
	v_add_f64 v[107:108], v[107:108], -v[99:100]
	buffer_store_dword v105, off, s[20:23], 0 offset:640 ; 4-byte Folded Spill
	s_nop 0
	buffer_store_dword v106, off, s[20:23], 0 offset:644 ; 4-byte Folded Spill
	buffer_store_dword v107, off, s[20:23], 0 offset:648 ; 4-byte Folded Spill
	buffer_store_dword v108, off, s[20:23], 0 offset:652 ; 4-byte Folded Spill
	ds_read2_b64 v[99:102], v125 offset0:8 offset1:9
	buffer_load_dword v105, off, s[20:23], 0 offset:624 ; 4-byte Folded Reload
	buffer_load_dword v106, off, s[20:23], 0 offset:628 ; 4-byte Folded Reload
	buffer_load_dword v107, off, s[20:23], 0 offset:632 ; 4-byte Folded Reload
	buffer_load_dword v108, off, s[20:23], 0 offset:636 ; 4-byte Folded Reload
	s_waitcnt lgkmcnt(0)
	v_mul_f64 v[103:104], v[101:102], v[109:110]
	v_fma_f64 v[103:104], v[99:100], v[97:98], -v[103:104]
	v_mul_f64 v[99:100], v[99:100], v[109:110]
	v_fma_f64 v[99:100], v[101:102], v[97:98], v[99:100]
	s_waitcnt vmcnt(2)
	v_add_f64 v[105:106], v[105:106], -v[103:104]
	s_waitcnt vmcnt(0)
	v_add_f64 v[107:108], v[107:108], -v[99:100]
	buffer_store_dword v105, off, s[20:23], 0 offset:624 ; 4-byte Folded Spill
	s_nop 0
	buffer_store_dword v106, off, s[20:23], 0 offset:628 ; 4-byte Folded Spill
	buffer_store_dword v107, off, s[20:23], 0 offset:632 ; 4-byte Folded Spill
	buffer_store_dword v108, off, s[20:23], 0 offset:636 ; 4-byte Folded Spill
	ds_read2_b64 v[99:102], v125 offset0:10 offset1:11
	;; [unrolled: 19-line block ×30, first 2 shown]
	v_mov_b32_e32 v108, v98
	v_mov_b32_e32 v107, v97
	s_waitcnt lgkmcnt(0)
	v_mul_f64 v[103:104], v[101:102], v[109:110]
	v_fma_f64 v[103:104], v[99:100], v[97:98], -v[103:104]
	v_mul_f64 v[99:100], v[99:100], v[109:110]
	v_add_f64 v[91:92], v[91:92], -v[103:104]
	v_fma_f64 v[99:100], v[101:102], v[97:98], v[99:100]
	v_add_f64 v[93:94], v[93:94], -v[99:100]
	ds_read2_b64 v[99:102], v125 offset0:68 offset1:69
	buffer_load_dword v77, off, s[20:23], 0 offset:160 ; 4-byte Folded Reload
	buffer_load_dword v78, off, s[20:23], 0 offset:164 ; 4-byte Folded Reload
	buffer_load_dword v79, off, s[20:23], 0 offset:168 ; 4-byte Folded Reload
	buffer_load_dword v80, off, s[20:23], 0 offset:172 ; 4-byte Folded Reload
	s_waitcnt lgkmcnt(0)
	v_mul_f64 v[103:104], v[101:102], v[109:110]
	v_fma_f64 v[103:104], v[99:100], v[97:98], -v[103:104]
	v_mul_f64 v[99:100], v[99:100], v[109:110]
	v_fma_f64 v[99:100], v[101:102], v[97:98], v[99:100]
	s_waitcnt vmcnt(2)
	v_add_f64 v[77:78], v[77:78], -v[103:104]
	s_waitcnt vmcnt(0)
	v_add_f64 v[79:80], v[79:80], -v[99:100]
	buffer_store_dword v77, off, s[20:23], 0 offset:160 ; 4-byte Folded Spill
	s_nop 0
	buffer_store_dword v78, off, s[20:23], 0 offset:164 ; 4-byte Folded Spill
	buffer_store_dword v79, off, s[20:23], 0 offset:168 ; 4-byte Folded Spill
	buffer_store_dword v80, off, s[20:23], 0 offset:172 ; 4-byte Folded Spill
	ds_read2_b64 v[99:102], v125 offset0:70 offset1:71
	buffer_load_dword v77, off, s[20:23], 0 offset:144 ; 4-byte Folded Reload
	buffer_load_dword v78, off, s[20:23], 0 offset:148 ; 4-byte Folded Reload
	buffer_load_dword v79, off, s[20:23], 0 offset:152 ; 4-byte Folded Reload
	buffer_load_dword v80, off, s[20:23], 0 offset:156 ; 4-byte Folded Reload
	s_waitcnt lgkmcnt(0)
	v_mul_f64 v[103:104], v[101:102], v[109:110]
	v_fma_f64 v[103:104], v[99:100], v[97:98], -v[103:104]
	v_mul_f64 v[99:100], v[99:100], v[109:110]
	v_fma_f64 v[99:100], v[101:102], v[97:98], v[99:100]
	s_waitcnt vmcnt(2)
	v_add_f64 v[77:78], v[77:78], -v[103:104]
	s_waitcnt vmcnt(0)
	v_add_f64 v[79:80], v[79:80], -v[99:100]
	buffer_store_dword v77, off, s[20:23], 0 offset:144 ; 4-byte Folded Spill
	s_nop 0
	buffer_store_dword v78, off, s[20:23], 0 offset:148 ; 4-byte Folded Spill
	buffer_store_dword v79, off, s[20:23], 0 offset:152 ; 4-byte Folded Spill
	buffer_store_dword v80, off, s[20:23], 0 offset:156 ; 4-byte Folded Spill
	;; [unrolled: 19-line block ×10, first 2 shown]
	ds_read2_b64 v[99:102], v125 offset0:88 offset1:89
	buffer_load_dword v41, off, s[20:23], 0 ; 4-byte Folded Reload
	buffer_load_dword v42, off, s[20:23], 0 offset:4 ; 4-byte Folded Reload
	buffer_load_dword v43, off, s[20:23], 0 offset:8 ; 4-byte Folded Reload
	buffer_load_dword v44, off, s[20:23], 0 offset:12 ; 4-byte Folded Reload
	s_waitcnt lgkmcnt(0)
	v_mul_f64 v[103:104], v[101:102], v[109:110]
	v_fma_f64 v[103:104], v[99:100], v[97:98], -v[103:104]
	v_mul_f64 v[99:100], v[99:100], v[109:110]
	v_fma_f64 v[99:100], v[101:102], v[97:98], v[99:100]
	s_waitcnt vmcnt(2)
	v_add_f64 v[41:42], v[41:42], -v[103:104]
	s_waitcnt vmcnt(0)
	v_add_f64 v[43:44], v[43:44], -v[99:100]
	buffer_store_dword v41, off, s[20:23], 0 ; 4-byte Folded Spill
	s_nop 0
	buffer_store_dword v42, off, s[20:23], 0 offset:4 ; 4-byte Folded Spill
	buffer_store_dword v43, off, s[20:23], 0 offset:8 ; 4-byte Folded Spill
	buffer_store_dword v44, off, s[20:23], 0 offset:12 ; 4-byte Folded Spill
	ds_read2_b64 v[99:102], v125 offset0:90 offset1:91
	s_waitcnt lgkmcnt(0)
	v_mul_f64 v[103:104], v[101:102], v[109:110]
	v_fma_f64 v[103:104], v[99:100], v[97:98], -v[103:104]
	v_mul_f64 v[99:100], v[99:100], v[109:110]
	v_add_f64 v[37:38], v[37:38], -v[103:104]
	v_fma_f64 v[99:100], v[101:102], v[97:98], v[99:100]
	v_add_f64 v[39:40], v[39:40], -v[99:100]
	ds_read2_b64 v[99:102], v125 offset0:92 offset1:93
	s_waitcnt lgkmcnt(0)
	v_mul_f64 v[103:104], v[101:102], v[109:110]
	v_fma_f64 v[103:104], v[99:100], v[97:98], -v[103:104]
	v_mul_f64 v[99:100], v[99:100], v[109:110]
	v_add_f64 v[33:34], v[33:34], -v[103:104]
	v_fma_f64 v[99:100], v[101:102], v[97:98], v[99:100]
	v_add_f64 v[35:36], v[35:36], -v[99:100]
	;; [unrolled: 8-line block ×9, first 2 shown]
	ds_read2_b64 v[99:102], v125 offset0:108 offset1:109
	s_waitcnt lgkmcnt(0)
	v_mul_f64 v[103:104], v[101:102], v[109:110]
	v_fma_f64 v[103:104], v[99:100], v[97:98], -v[103:104]
	v_mul_f64 v[99:100], v[99:100], v[109:110]
	v_add_f64 v[1:2], v[1:2], -v[103:104]
	v_fma_f64 v[99:100], v[101:102], v[97:98], v[99:100]
	ds_read2_b64 v[101:104], v125 offset0:110 offset1:111
	v_add_f64 v[3:4], v[3:4], -v[99:100]
	s_waitcnt lgkmcnt(0)
	v_mul_f64 v[99:100], v[103:104], v[109:110]
	v_fma_f64 v[99:100], v[101:102], v[97:98], -v[99:100]
	v_mul_f64 v[101:102], v[101:102], v[109:110]
	buffer_store_dword v107, off, s[20:23], 0 offset:656 ; 4-byte Folded Spill
	s_nop 0
	buffer_store_dword v108, off, s[20:23], 0 offset:660 ; 4-byte Folded Spill
	buffer_store_dword v109, off, s[20:23], 0 offset:664 ; 4-byte Folded Spill
	;; [unrolled: 1-line block ×3, first 2 shown]
	v_add_f64 v[121:122], v[121:122], -v[99:100]
	v_fma_f64 v[101:102], v[103:104], v[97:98], v[101:102]
	v_add_f64 v[123:124], v[123:124], -v[101:102]
.LBB111_28:
	s_or_b64 exec, exec, s[2:3]
	v_cmp_eq_u32_e32 vcc, 3, v0
	s_waitcnt vmcnt(0)
	s_barrier
	s_and_saveexec_b64 s[4:5], vcc
	s_cbranch_execz .LBB111_35
; %bb.29:
	buffer_load_dword v95, off, s[20:23], 0 offset:640 ; 4-byte Folded Reload
	buffer_load_dword v96, off, s[20:23], 0 offset:644 ; 4-byte Folded Reload
	;; [unrolled: 1-line block ×4, first 2 shown]
	s_waitcnt vmcnt(0)
	ds_write2_b64 v127, v[95:96], v[97:98] offset1:1
	buffer_load_dword v95, off, s[20:23], 0 offset:624 ; 4-byte Folded Reload
	buffer_load_dword v96, off, s[20:23], 0 offset:628 ; 4-byte Folded Reload
	buffer_load_dword v97, off, s[20:23], 0 offset:632 ; 4-byte Folded Reload
	buffer_load_dword v98, off, s[20:23], 0 offset:636 ; 4-byte Folded Reload
	s_waitcnt vmcnt(0)
	ds_write2_b64 v125, v[95:96], v[97:98] offset0:8 offset1:9
	buffer_load_dword v95, off, s[20:23], 0 offset:608 ; 4-byte Folded Reload
	buffer_load_dword v96, off, s[20:23], 0 offset:612 ; 4-byte Folded Reload
	buffer_load_dword v97, off, s[20:23], 0 offset:616 ; 4-byte Folded Reload
	buffer_load_dword v98, off, s[20:23], 0 offset:620 ; 4-byte Folded Reload
	s_waitcnt vmcnt(0)
	ds_write2_b64 v125, v[95:96], v[97:98] offset0:10 offset1:11
	;; [unrolled: 6-line block ×29, first 2 shown]
	ds_write2_b64 v125, v[91:92], v[93:94] offset0:66 offset1:67
	buffer_load_dword v77, off, s[20:23], 0 offset:160 ; 4-byte Folded Reload
	buffer_load_dword v78, off, s[20:23], 0 offset:164 ; 4-byte Folded Reload
	buffer_load_dword v79, off, s[20:23], 0 offset:168 ; 4-byte Folded Reload
	buffer_load_dword v80, off, s[20:23], 0 offset:172 ; 4-byte Folded Reload
	s_waitcnt vmcnt(0)
	ds_write2_b64 v125, v[77:78], v[79:80] offset0:68 offset1:69
	buffer_load_dword v77, off, s[20:23], 0 offset:144 ; 4-byte Folded Reload
	buffer_load_dword v78, off, s[20:23], 0 offset:148 ; 4-byte Folded Reload
	buffer_load_dword v79, off, s[20:23], 0 offset:152 ; 4-byte Folded Reload
	buffer_load_dword v80, off, s[20:23], 0 offset:156 ; 4-byte Folded Reload
	s_waitcnt vmcnt(0)
	;; [unrolled: 6-line block ×10, first 2 shown]
	ds_write2_b64 v125, v[45:46], v[47:48] offset0:86 offset1:87
	buffer_load_dword v41, off, s[20:23], 0 ; 4-byte Folded Reload
	buffer_load_dword v42, off, s[20:23], 0 offset:4 ; 4-byte Folded Reload
	buffer_load_dword v43, off, s[20:23], 0 offset:8 ; 4-byte Folded Reload
	;; [unrolled: 1-line block ×3, first 2 shown]
	s_waitcnt vmcnt(0)
	ds_write2_b64 v125, v[41:42], v[43:44] offset0:88 offset1:89
	ds_write2_b64 v125, v[37:38], v[39:40] offset0:90 offset1:91
	;; [unrolled: 1-line block ×12, first 2 shown]
	ds_read2_b64 v[97:100], v127 offset1:1
	s_waitcnt lgkmcnt(0)
	v_cmp_neq_f64_e32 vcc, 0, v[97:98]
	v_cmp_neq_f64_e64 s[2:3], 0, v[99:100]
	s_or_b64 s[2:3], vcc, s[2:3]
	s_and_b64 exec, exec, s[2:3]
	s_cbranch_execz .LBB111_35
; %bb.30:
	v_cmp_ngt_f64_e64 s[2:3], |v[97:98]|, |v[99:100]|
                                        ; implicit-def: $vgpr101_vgpr102
	s_and_saveexec_b64 s[6:7], s[2:3]
	s_xor_b64 s[2:3], exec, s[6:7]
                                        ; implicit-def: $vgpr103_vgpr104
	s_cbranch_execz .LBB111_32
; %bb.31:
	v_div_scale_f64 v[101:102], s[6:7], v[99:100], v[99:100], v[97:98]
	v_rcp_f64_e32 v[103:104], v[101:102]
	v_fma_f64 v[105:106], -v[101:102], v[103:104], 1.0
	v_fma_f64 v[103:104], v[103:104], v[105:106], v[103:104]
	v_div_scale_f64 v[105:106], vcc, v[97:98], v[99:100], v[97:98]
	v_fma_f64 v[107:108], -v[101:102], v[103:104], 1.0
	v_fma_f64 v[103:104], v[103:104], v[107:108], v[103:104]
	v_mul_f64 v[107:108], v[105:106], v[103:104]
	v_fma_f64 v[101:102], -v[101:102], v[107:108], v[105:106]
	v_div_fmas_f64 v[101:102], v[101:102], v[103:104], v[107:108]
	v_div_fixup_f64 v[101:102], v[101:102], v[99:100], v[97:98]
	v_fma_f64 v[97:98], v[97:98], v[101:102], v[99:100]
	v_div_scale_f64 v[99:100], s[6:7], v[97:98], v[97:98], 1.0
	v_div_scale_f64 v[107:108], vcc, 1.0, v[97:98], 1.0
	v_rcp_f64_e32 v[103:104], v[99:100]
	v_fma_f64 v[105:106], -v[99:100], v[103:104], 1.0
	v_fma_f64 v[103:104], v[103:104], v[105:106], v[103:104]
	v_fma_f64 v[105:106], -v[99:100], v[103:104], 1.0
	v_fma_f64 v[103:104], v[103:104], v[105:106], v[103:104]
	v_mul_f64 v[105:106], v[107:108], v[103:104]
	v_fma_f64 v[99:100], -v[99:100], v[105:106], v[107:108]
	v_div_fmas_f64 v[99:100], v[99:100], v[103:104], v[105:106]
	v_div_fixup_f64 v[103:104], v[99:100], v[97:98], 1.0
                                        ; implicit-def: $vgpr97_vgpr98
	v_mul_f64 v[101:102], v[101:102], v[103:104]
	v_xor_b32_e32 v104, 0x80000000, v104
.LBB111_32:
	s_andn2_saveexec_b64 s[2:3], s[2:3]
	s_cbranch_execz .LBB111_34
; %bb.33:
	v_div_scale_f64 v[101:102], s[6:7], v[97:98], v[97:98], v[99:100]
	v_rcp_f64_e32 v[103:104], v[101:102]
	v_fma_f64 v[105:106], -v[101:102], v[103:104], 1.0
	v_fma_f64 v[103:104], v[103:104], v[105:106], v[103:104]
	v_div_scale_f64 v[105:106], vcc, v[99:100], v[97:98], v[99:100]
	v_fma_f64 v[107:108], -v[101:102], v[103:104], 1.0
	v_fma_f64 v[103:104], v[103:104], v[107:108], v[103:104]
	v_mul_f64 v[107:108], v[105:106], v[103:104]
	v_fma_f64 v[101:102], -v[101:102], v[107:108], v[105:106]
	v_div_fmas_f64 v[101:102], v[101:102], v[103:104], v[107:108]
	v_div_fixup_f64 v[103:104], v[101:102], v[97:98], v[99:100]
	v_fma_f64 v[97:98], v[99:100], v[103:104], v[97:98]
	v_div_scale_f64 v[99:100], s[6:7], v[97:98], v[97:98], 1.0
	v_div_scale_f64 v[107:108], vcc, 1.0, v[97:98], 1.0
	v_rcp_f64_e32 v[101:102], v[99:100]
	v_fma_f64 v[105:106], -v[99:100], v[101:102], 1.0
	v_fma_f64 v[101:102], v[101:102], v[105:106], v[101:102]
	v_fma_f64 v[105:106], -v[99:100], v[101:102], 1.0
	v_fma_f64 v[101:102], v[101:102], v[105:106], v[101:102]
	v_mul_f64 v[105:106], v[107:108], v[101:102]
	v_fma_f64 v[99:100], -v[99:100], v[105:106], v[107:108]
	v_div_fmas_f64 v[99:100], v[99:100], v[101:102], v[105:106]
	v_div_fixup_f64 v[101:102], v[99:100], v[97:98], 1.0
	v_mul_f64 v[103:104], v[103:104], -v[101:102]
.LBB111_34:
	s_or_b64 exec, exec, s[2:3]
	ds_write2_b64 v127, v[101:102], v[103:104] offset1:1
.LBB111_35:
	s_or_b64 exec, exec, s[4:5]
	s_waitcnt lgkmcnt(0)
	s_barrier
	ds_read2_b64 v[87:90], v127 offset1:1
	v_cmp_lt_u32_e32 vcc, 3, v0
	s_waitcnt lgkmcnt(0)
	buffer_store_dword v87, off, s[20:23], 0 offset:1192 ; 4-byte Folded Spill
	s_nop 0
	buffer_store_dword v88, off, s[20:23], 0 offset:1196 ; 4-byte Folded Spill
	buffer_store_dword v89, off, s[20:23], 0 offset:1200 ; 4-byte Folded Spill
	;; [unrolled: 1-line block ×3, first 2 shown]
	s_and_saveexec_b64 s[2:3], vcc
	s_cbranch_execz .LBB111_37
; %bb.36:
	buffer_load_dword v107, off, s[20:23], 0 offset:640 ; 4-byte Folded Reload
	buffer_load_dword v108, off, s[20:23], 0 offset:644 ; 4-byte Folded Reload
	;; [unrolled: 1-line block ×8, first 2 shown]
	s_waitcnt vmcnt(2)
	v_mul_f64 v[99:100], v[87:88], v[109:110]
	s_waitcnt vmcnt(0)
	v_mul_f64 v[97:98], v[89:90], v[109:110]
	v_fma_f64 v[109:110], v[89:90], v[107:108], v[99:100]
	ds_read2_b64 v[99:102], v125 offset0:8 offset1:9
	v_fma_f64 v[97:98], v[87:88], v[107:108], -v[97:98]
	buffer_load_dword v105, off, s[20:23], 0 offset:624 ; 4-byte Folded Reload
	buffer_load_dword v106, off, s[20:23], 0 offset:628 ; 4-byte Folded Reload
	buffer_load_dword v107, off, s[20:23], 0 offset:632 ; 4-byte Folded Reload
	buffer_load_dword v108, off, s[20:23], 0 offset:636 ; 4-byte Folded Reload
	s_waitcnt lgkmcnt(0)
	v_mul_f64 v[103:104], v[101:102], v[109:110]
	v_fma_f64 v[103:104], v[99:100], v[97:98], -v[103:104]
	v_mul_f64 v[99:100], v[99:100], v[109:110]
	v_fma_f64 v[99:100], v[101:102], v[97:98], v[99:100]
	s_waitcnt vmcnt(2)
	v_add_f64 v[105:106], v[105:106], -v[103:104]
	s_waitcnt vmcnt(0)
	v_add_f64 v[107:108], v[107:108], -v[99:100]
	buffer_store_dword v105, off, s[20:23], 0 offset:624 ; 4-byte Folded Spill
	s_nop 0
	buffer_store_dword v106, off, s[20:23], 0 offset:628 ; 4-byte Folded Spill
	buffer_store_dword v107, off, s[20:23], 0 offset:632 ; 4-byte Folded Spill
	buffer_store_dword v108, off, s[20:23], 0 offset:636 ; 4-byte Folded Spill
	ds_read2_b64 v[99:102], v125 offset0:10 offset1:11
	buffer_load_dword v105, off, s[20:23], 0 offset:608 ; 4-byte Folded Reload
	buffer_load_dword v106, off, s[20:23], 0 offset:612 ; 4-byte Folded Reload
	buffer_load_dword v107, off, s[20:23], 0 offset:616 ; 4-byte Folded Reload
	buffer_load_dword v108, off, s[20:23], 0 offset:620 ; 4-byte Folded Reload
	s_waitcnt lgkmcnt(0)
	v_mul_f64 v[103:104], v[101:102], v[109:110]
	v_fma_f64 v[103:104], v[99:100], v[97:98], -v[103:104]
	v_mul_f64 v[99:100], v[99:100], v[109:110]
	v_fma_f64 v[99:100], v[101:102], v[97:98], v[99:100]
	s_waitcnt vmcnt(2)
	v_add_f64 v[105:106], v[105:106], -v[103:104]
	s_waitcnt vmcnt(0)
	v_add_f64 v[107:108], v[107:108], -v[99:100]
	buffer_store_dword v105, off, s[20:23], 0 offset:608 ; 4-byte Folded Spill
	s_nop 0
	buffer_store_dword v106, off, s[20:23], 0 offset:612 ; 4-byte Folded Spill
	buffer_store_dword v107, off, s[20:23], 0 offset:616 ; 4-byte Folded Spill
	buffer_store_dword v108, off, s[20:23], 0 offset:620 ; 4-byte Folded Spill
	ds_read2_b64 v[99:102], v125 offset0:12 offset1:13
	;; [unrolled: 19-line block ×29, first 2 shown]
	v_mov_b32_e32 v108, v98
	v_mov_b32_e32 v107, v97
	s_waitcnt lgkmcnt(0)
	v_mul_f64 v[103:104], v[101:102], v[109:110]
	v_fma_f64 v[103:104], v[99:100], v[97:98], -v[103:104]
	v_mul_f64 v[99:100], v[99:100], v[109:110]
	v_add_f64 v[91:92], v[91:92], -v[103:104]
	v_fma_f64 v[99:100], v[101:102], v[97:98], v[99:100]
	v_add_f64 v[93:94], v[93:94], -v[99:100]
	ds_read2_b64 v[99:102], v125 offset0:68 offset1:69
	buffer_load_dword v77, off, s[20:23], 0 offset:160 ; 4-byte Folded Reload
	buffer_load_dword v78, off, s[20:23], 0 offset:164 ; 4-byte Folded Reload
	buffer_load_dword v79, off, s[20:23], 0 offset:168 ; 4-byte Folded Reload
	buffer_load_dword v80, off, s[20:23], 0 offset:172 ; 4-byte Folded Reload
	s_waitcnt lgkmcnt(0)
	v_mul_f64 v[103:104], v[101:102], v[109:110]
	v_fma_f64 v[103:104], v[99:100], v[97:98], -v[103:104]
	v_mul_f64 v[99:100], v[99:100], v[109:110]
	v_fma_f64 v[99:100], v[101:102], v[97:98], v[99:100]
	s_waitcnt vmcnt(2)
	v_add_f64 v[77:78], v[77:78], -v[103:104]
	s_waitcnt vmcnt(0)
	v_add_f64 v[79:80], v[79:80], -v[99:100]
	buffer_store_dword v77, off, s[20:23], 0 offset:160 ; 4-byte Folded Spill
	s_nop 0
	buffer_store_dword v78, off, s[20:23], 0 offset:164 ; 4-byte Folded Spill
	buffer_store_dword v79, off, s[20:23], 0 offset:168 ; 4-byte Folded Spill
	buffer_store_dword v80, off, s[20:23], 0 offset:172 ; 4-byte Folded Spill
	ds_read2_b64 v[99:102], v125 offset0:70 offset1:71
	buffer_load_dword v77, off, s[20:23], 0 offset:144 ; 4-byte Folded Reload
	buffer_load_dword v78, off, s[20:23], 0 offset:148 ; 4-byte Folded Reload
	buffer_load_dword v79, off, s[20:23], 0 offset:152 ; 4-byte Folded Reload
	buffer_load_dword v80, off, s[20:23], 0 offset:156 ; 4-byte Folded Reload
	s_waitcnt lgkmcnt(0)
	v_mul_f64 v[103:104], v[101:102], v[109:110]
	v_fma_f64 v[103:104], v[99:100], v[97:98], -v[103:104]
	v_mul_f64 v[99:100], v[99:100], v[109:110]
	v_fma_f64 v[99:100], v[101:102], v[97:98], v[99:100]
	s_waitcnt vmcnt(2)
	v_add_f64 v[77:78], v[77:78], -v[103:104]
	s_waitcnt vmcnt(0)
	v_add_f64 v[79:80], v[79:80], -v[99:100]
	buffer_store_dword v77, off, s[20:23], 0 offset:144 ; 4-byte Folded Spill
	s_nop 0
	buffer_store_dword v78, off, s[20:23], 0 offset:148 ; 4-byte Folded Spill
	buffer_store_dword v79, off, s[20:23], 0 offset:152 ; 4-byte Folded Spill
	buffer_store_dword v80, off, s[20:23], 0 offset:156 ; 4-byte Folded Spill
	;; [unrolled: 19-line block ×10, first 2 shown]
	ds_read2_b64 v[99:102], v125 offset0:88 offset1:89
	buffer_load_dword v41, off, s[20:23], 0 ; 4-byte Folded Reload
	buffer_load_dword v42, off, s[20:23], 0 offset:4 ; 4-byte Folded Reload
	buffer_load_dword v43, off, s[20:23], 0 offset:8 ; 4-byte Folded Reload
	;; [unrolled: 1-line block ×3, first 2 shown]
	s_waitcnt lgkmcnt(0)
	v_mul_f64 v[103:104], v[101:102], v[109:110]
	v_fma_f64 v[103:104], v[99:100], v[97:98], -v[103:104]
	v_mul_f64 v[99:100], v[99:100], v[109:110]
	v_fma_f64 v[99:100], v[101:102], v[97:98], v[99:100]
	s_waitcnt vmcnt(2)
	v_add_f64 v[41:42], v[41:42], -v[103:104]
	s_waitcnt vmcnt(0)
	v_add_f64 v[43:44], v[43:44], -v[99:100]
	buffer_store_dword v41, off, s[20:23], 0 ; 4-byte Folded Spill
	s_nop 0
	buffer_store_dword v42, off, s[20:23], 0 offset:4 ; 4-byte Folded Spill
	buffer_store_dword v43, off, s[20:23], 0 offset:8 ; 4-byte Folded Spill
	;; [unrolled: 1-line block ×3, first 2 shown]
	ds_read2_b64 v[99:102], v125 offset0:90 offset1:91
	s_waitcnt lgkmcnt(0)
	v_mul_f64 v[103:104], v[101:102], v[109:110]
	v_fma_f64 v[103:104], v[99:100], v[97:98], -v[103:104]
	v_mul_f64 v[99:100], v[99:100], v[109:110]
	v_add_f64 v[37:38], v[37:38], -v[103:104]
	v_fma_f64 v[99:100], v[101:102], v[97:98], v[99:100]
	v_add_f64 v[39:40], v[39:40], -v[99:100]
	ds_read2_b64 v[99:102], v125 offset0:92 offset1:93
	s_waitcnt lgkmcnt(0)
	v_mul_f64 v[103:104], v[101:102], v[109:110]
	v_fma_f64 v[103:104], v[99:100], v[97:98], -v[103:104]
	v_mul_f64 v[99:100], v[99:100], v[109:110]
	v_add_f64 v[33:34], v[33:34], -v[103:104]
	v_fma_f64 v[99:100], v[101:102], v[97:98], v[99:100]
	v_add_f64 v[35:36], v[35:36], -v[99:100]
	;; [unrolled: 8-line block ×9, first 2 shown]
	ds_read2_b64 v[99:102], v125 offset0:108 offset1:109
	s_waitcnt lgkmcnt(0)
	v_mul_f64 v[103:104], v[101:102], v[109:110]
	v_fma_f64 v[103:104], v[99:100], v[97:98], -v[103:104]
	v_mul_f64 v[99:100], v[99:100], v[109:110]
	v_add_f64 v[1:2], v[1:2], -v[103:104]
	v_fma_f64 v[99:100], v[101:102], v[97:98], v[99:100]
	ds_read2_b64 v[101:104], v125 offset0:110 offset1:111
	v_add_f64 v[3:4], v[3:4], -v[99:100]
	s_waitcnt lgkmcnt(0)
	v_mul_f64 v[99:100], v[103:104], v[109:110]
	v_fma_f64 v[99:100], v[101:102], v[97:98], -v[99:100]
	v_mul_f64 v[101:102], v[101:102], v[109:110]
	buffer_store_dword v107, off, s[20:23], 0 offset:640 ; 4-byte Folded Spill
	s_nop 0
	buffer_store_dword v108, off, s[20:23], 0 offset:644 ; 4-byte Folded Spill
	buffer_store_dword v109, off, s[20:23], 0 offset:648 ; 4-byte Folded Spill
	;; [unrolled: 1-line block ×3, first 2 shown]
	v_add_f64 v[121:122], v[121:122], -v[99:100]
	v_fma_f64 v[101:102], v[103:104], v[97:98], v[101:102]
	v_add_f64 v[123:124], v[123:124], -v[101:102]
.LBB111_37:
	s_or_b64 exec, exec, s[2:3]
	v_cmp_eq_u32_e32 vcc, 4, v0
	s_waitcnt vmcnt(0)
	s_barrier
	s_and_saveexec_b64 s[4:5], vcc
	s_cbranch_execz .LBB111_44
; %bb.38:
	buffer_load_dword v95, off, s[20:23], 0 offset:624 ; 4-byte Folded Reload
	buffer_load_dword v96, off, s[20:23], 0 offset:628 ; 4-byte Folded Reload
	buffer_load_dword v97, off, s[20:23], 0 offset:632 ; 4-byte Folded Reload
	buffer_load_dword v98, off, s[20:23], 0 offset:636 ; 4-byte Folded Reload
	s_waitcnt vmcnt(0)
	ds_write2_b64 v127, v[95:96], v[97:98] offset1:1
	buffer_load_dword v95, off, s[20:23], 0 offset:608 ; 4-byte Folded Reload
	buffer_load_dword v96, off, s[20:23], 0 offset:612 ; 4-byte Folded Reload
	buffer_load_dword v97, off, s[20:23], 0 offset:616 ; 4-byte Folded Reload
	buffer_load_dword v98, off, s[20:23], 0 offset:620 ; 4-byte Folded Reload
	s_waitcnt vmcnt(0)
	ds_write2_b64 v125, v[95:96], v[97:98] offset0:10 offset1:11
	buffer_load_dword v95, off, s[20:23], 0 offset:592 ; 4-byte Folded Reload
	buffer_load_dword v96, off, s[20:23], 0 offset:596 ; 4-byte Folded Reload
	buffer_load_dword v97, off, s[20:23], 0 offset:600 ; 4-byte Folded Reload
	buffer_load_dword v98, off, s[20:23], 0 offset:604 ; 4-byte Folded Reload
	s_waitcnt vmcnt(0)
	ds_write2_b64 v125, v[95:96], v[97:98] offset0:12 offset1:13
	;; [unrolled: 6-line block ×28, first 2 shown]
	ds_write2_b64 v125, v[91:92], v[93:94] offset0:66 offset1:67
	buffer_load_dword v77, off, s[20:23], 0 offset:160 ; 4-byte Folded Reload
	buffer_load_dword v78, off, s[20:23], 0 offset:164 ; 4-byte Folded Reload
	buffer_load_dword v79, off, s[20:23], 0 offset:168 ; 4-byte Folded Reload
	buffer_load_dword v80, off, s[20:23], 0 offset:172 ; 4-byte Folded Reload
	s_waitcnt vmcnt(0)
	ds_write2_b64 v125, v[77:78], v[79:80] offset0:68 offset1:69
	buffer_load_dword v77, off, s[20:23], 0 offset:144 ; 4-byte Folded Reload
	buffer_load_dword v78, off, s[20:23], 0 offset:148 ; 4-byte Folded Reload
	buffer_load_dword v79, off, s[20:23], 0 offset:152 ; 4-byte Folded Reload
	buffer_load_dword v80, off, s[20:23], 0 offset:156 ; 4-byte Folded Reload
	s_waitcnt vmcnt(0)
	;; [unrolled: 6-line block ×10, first 2 shown]
	ds_write2_b64 v125, v[45:46], v[47:48] offset0:86 offset1:87
	buffer_load_dword v41, off, s[20:23], 0 ; 4-byte Folded Reload
	buffer_load_dword v42, off, s[20:23], 0 offset:4 ; 4-byte Folded Reload
	buffer_load_dword v43, off, s[20:23], 0 offset:8 ; 4-byte Folded Reload
	;; [unrolled: 1-line block ×3, first 2 shown]
	s_waitcnt vmcnt(0)
	ds_write2_b64 v125, v[41:42], v[43:44] offset0:88 offset1:89
	ds_write2_b64 v125, v[37:38], v[39:40] offset0:90 offset1:91
	;; [unrolled: 1-line block ×12, first 2 shown]
	ds_read2_b64 v[97:100], v127 offset1:1
	s_waitcnt lgkmcnt(0)
	v_cmp_neq_f64_e32 vcc, 0, v[97:98]
	v_cmp_neq_f64_e64 s[2:3], 0, v[99:100]
	s_or_b64 s[2:3], vcc, s[2:3]
	s_and_b64 exec, exec, s[2:3]
	s_cbranch_execz .LBB111_44
; %bb.39:
	v_cmp_ngt_f64_e64 s[2:3], |v[97:98]|, |v[99:100]|
                                        ; implicit-def: $vgpr101_vgpr102
	s_and_saveexec_b64 s[6:7], s[2:3]
	s_xor_b64 s[2:3], exec, s[6:7]
                                        ; implicit-def: $vgpr103_vgpr104
	s_cbranch_execz .LBB111_41
; %bb.40:
	v_div_scale_f64 v[101:102], s[6:7], v[99:100], v[99:100], v[97:98]
	v_rcp_f64_e32 v[103:104], v[101:102]
	v_fma_f64 v[105:106], -v[101:102], v[103:104], 1.0
	v_fma_f64 v[103:104], v[103:104], v[105:106], v[103:104]
	v_div_scale_f64 v[105:106], vcc, v[97:98], v[99:100], v[97:98]
	v_fma_f64 v[107:108], -v[101:102], v[103:104], 1.0
	v_fma_f64 v[103:104], v[103:104], v[107:108], v[103:104]
	v_mul_f64 v[107:108], v[105:106], v[103:104]
	v_fma_f64 v[101:102], -v[101:102], v[107:108], v[105:106]
	v_div_fmas_f64 v[101:102], v[101:102], v[103:104], v[107:108]
	v_div_fixup_f64 v[101:102], v[101:102], v[99:100], v[97:98]
	v_fma_f64 v[97:98], v[97:98], v[101:102], v[99:100]
	v_div_scale_f64 v[99:100], s[6:7], v[97:98], v[97:98], 1.0
	v_div_scale_f64 v[107:108], vcc, 1.0, v[97:98], 1.0
	v_rcp_f64_e32 v[103:104], v[99:100]
	v_fma_f64 v[105:106], -v[99:100], v[103:104], 1.0
	v_fma_f64 v[103:104], v[103:104], v[105:106], v[103:104]
	v_fma_f64 v[105:106], -v[99:100], v[103:104], 1.0
	v_fma_f64 v[103:104], v[103:104], v[105:106], v[103:104]
	v_mul_f64 v[105:106], v[107:108], v[103:104]
	v_fma_f64 v[99:100], -v[99:100], v[105:106], v[107:108]
	v_div_fmas_f64 v[99:100], v[99:100], v[103:104], v[105:106]
	v_div_fixup_f64 v[103:104], v[99:100], v[97:98], 1.0
                                        ; implicit-def: $vgpr97_vgpr98
	v_mul_f64 v[101:102], v[101:102], v[103:104]
	v_xor_b32_e32 v104, 0x80000000, v104
.LBB111_41:
	s_andn2_saveexec_b64 s[2:3], s[2:3]
	s_cbranch_execz .LBB111_43
; %bb.42:
	v_div_scale_f64 v[101:102], s[6:7], v[97:98], v[97:98], v[99:100]
	v_rcp_f64_e32 v[103:104], v[101:102]
	v_fma_f64 v[105:106], -v[101:102], v[103:104], 1.0
	v_fma_f64 v[103:104], v[103:104], v[105:106], v[103:104]
	v_div_scale_f64 v[105:106], vcc, v[99:100], v[97:98], v[99:100]
	v_fma_f64 v[107:108], -v[101:102], v[103:104], 1.0
	v_fma_f64 v[103:104], v[103:104], v[107:108], v[103:104]
	v_mul_f64 v[107:108], v[105:106], v[103:104]
	v_fma_f64 v[101:102], -v[101:102], v[107:108], v[105:106]
	v_div_fmas_f64 v[101:102], v[101:102], v[103:104], v[107:108]
	v_div_fixup_f64 v[103:104], v[101:102], v[97:98], v[99:100]
	v_fma_f64 v[97:98], v[99:100], v[103:104], v[97:98]
	v_div_scale_f64 v[99:100], s[6:7], v[97:98], v[97:98], 1.0
	v_div_scale_f64 v[107:108], vcc, 1.0, v[97:98], 1.0
	v_rcp_f64_e32 v[101:102], v[99:100]
	v_fma_f64 v[105:106], -v[99:100], v[101:102], 1.0
	v_fma_f64 v[101:102], v[101:102], v[105:106], v[101:102]
	v_fma_f64 v[105:106], -v[99:100], v[101:102], 1.0
	v_fma_f64 v[101:102], v[101:102], v[105:106], v[101:102]
	v_mul_f64 v[105:106], v[107:108], v[101:102]
	v_fma_f64 v[99:100], -v[99:100], v[105:106], v[107:108]
	v_div_fmas_f64 v[99:100], v[99:100], v[101:102], v[105:106]
	v_div_fixup_f64 v[101:102], v[99:100], v[97:98], 1.0
	v_mul_f64 v[103:104], v[103:104], -v[101:102]
.LBB111_43:
	s_or_b64 exec, exec, s[2:3]
	ds_write2_b64 v127, v[101:102], v[103:104] offset1:1
.LBB111_44:
	s_or_b64 exec, exec, s[4:5]
	s_waitcnt lgkmcnt(0)
	s_barrier
	ds_read2_b64 v[87:90], v127 offset1:1
	v_cmp_lt_u32_e32 vcc, 4, v0
	s_waitcnt lgkmcnt(0)
	buffer_store_dword v87, off, s[20:23], 0 offset:1208 ; 4-byte Folded Spill
	s_nop 0
	buffer_store_dword v88, off, s[20:23], 0 offset:1212 ; 4-byte Folded Spill
	buffer_store_dword v89, off, s[20:23], 0 offset:1216 ; 4-byte Folded Spill
	;; [unrolled: 1-line block ×3, first 2 shown]
	s_and_saveexec_b64 s[2:3], vcc
	s_cbranch_execz .LBB111_46
; %bb.45:
	buffer_load_dword v107, off, s[20:23], 0 offset:624 ; 4-byte Folded Reload
	buffer_load_dword v108, off, s[20:23], 0 offset:628 ; 4-byte Folded Reload
	;; [unrolled: 1-line block ×8, first 2 shown]
	s_waitcnt vmcnt(2)
	v_mul_f64 v[99:100], v[87:88], v[109:110]
	s_waitcnt vmcnt(0)
	v_mul_f64 v[97:98], v[89:90], v[109:110]
	v_fma_f64 v[109:110], v[89:90], v[107:108], v[99:100]
	ds_read2_b64 v[99:102], v125 offset0:10 offset1:11
	v_fma_f64 v[97:98], v[87:88], v[107:108], -v[97:98]
	buffer_load_dword v105, off, s[20:23], 0 offset:608 ; 4-byte Folded Reload
	buffer_load_dword v106, off, s[20:23], 0 offset:612 ; 4-byte Folded Reload
	buffer_load_dword v107, off, s[20:23], 0 offset:616 ; 4-byte Folded Reload
	buffer_load_dword v108, off, s[20:23], 0 offset:620 ; 4-byte Folded Reload
	s_waitcnt lgkmcnt(0)
	v_mul_f64 v[103:104], v[101:102], v[109:110]
	v_fma_f64 v[103:104], v[99:100], v[97:98], -v[103:104]
	v_mul_f64 v[99:100], v[99:100], v[109:110]
	v_fma_f64 v[99:100], v[101:102], v[97:98], v[99:100]
	s_waitcnt vmcnt(2)
	v_add_f64 v[105:106], v[105:106], -v[103:104]
	s_waitcnt vmcnt(0)
	v_add_f64 v[107:108], v[107:108], -v[99:100]
	buffer_store_dword v105, off, s[20:23], 0 offset:608 ; 4-byte Folded Spill
	s_nop 0
	buffer_store_dword v106, off, s[20:23], 0 offset:612 ; 4-byte Folded Spill
	buffer_store_dword v107, off, s[20:23], 0 offset:616 ; 4-byte Folded Spill
	buffer_store_dword v108, off, s[20:23], 0 offset:620 ; 4-byte Folded Spill
	ds_read2_b64 v[99:102], v125 offset0:12 offset1:13
	buffer_load_dword v105, off, s[20:23], 0 offset:592 ; 4-byte Folded Reload
	buffer_load_dword v106, off, s[20:23], 0 offset:596 ; 4-byte Folded Reload
	buffer_load_dword v107, off, s[20:23], 0 offset:600 ; 4-byte Folded Reload
	buffer_load_dword v108, off, s[20:23], 0 offset:604 ; 4-byte Folded Reload
	s_waitcnt lgkmcnt(0)
	v_mul_f64 v[103:104], v[101:102], v[109:110]
	v_fma_f64 v[103:104], v[99:100], v[97:98], -v[103:104]
	v_mul_f64 v[99:100], v[99:100], v[109:110]
	v_fma_f64 v[99:100], v[101:102], v[97:98], v[99:100]
	s_waitcnt vmcnt(2)
	v_add_f64 v[105:106], v[105:106], -v[103:104]
	s_waitcnt vmcnt(0)
	v_add_f64 v[107:108], v[107:108], -v[99:100]
	buffer_store_dword v105, off, s[20:23], 0 offset:592 ; 4-byte Folded Spill
	s_nop 0
	buffer_store_dword v106, off, s[20:23], 0 offset:596 ; 4-byte Folded Spill
	buffer_store_dword v107, off, s[20:23], 0 offset:600 ; 4-byte Folded Spill
	buffer_store_dword v108, off, s[20:23], 0 offset:604 ; 4-byte Folded Spill
	ds_read2_b64 v[99:102], v125 offset0:14 offset1:15
	;; [unrolled: 19-line block ×28, first 2 shown]
	v_mov_b32_e32 v108, v98
	v_mov_b32_e32 v107, v97
	s_waitcnt lgkmcnt(0)
	v_mul_f64 v[103:104], v[101:102], v[109:110]
	v_fma_f64 v[103:104], v[99:100], v[97:98], -v[103:104]
	v_mul_f64 v[99:100], v[99:100], v[109:110]
	v_add_f64 v[91:92], v[91:92], -v[103:104]
	v_fma_f64 v[99:100], v[101:102], v[97:98], v[99:100]
	v_add_f64 v[93:94], v[93:94], -v[99:100]
	ds_read2_b64 v[99:102], v125 offset0:68 offset1:69
	buffer_load_dword v77, off, s[20:23], 0 offset:160 ; 4-byte Folded Reload
	buffer_load_dword v78, off, s[20:23], 0 offset:164 ; 4-byte Folded Reload
	buffer_load_dword v79, off, s[20:23], 0 offset:168 ; 4-byte Folded Reload
	buffer_load_dword v80, off, s[20:23], 0 offset:172 ; 4-byte Folded Reload
	s_waitcnt lgkmcnt(0)
	v_mul_f64 v[103:104], v[101:102], v[109:110]
	v_fma_f64 v[103:104], v[99:100], v[97:98], -v[103:104]
	v_mul_f64 v[99:100], v[99:100], v[109:110]
	v_fma_f64 v[99:100], v[101:102], v[97:98], v[99:100]
	s_waitcnt vmcnt(2)
	v_add_f64 v[77:78], v[77:78], -v[103:104]
	s_waitcnt vmcnt(0)
	v_add_f64 v[79:80], v[79:80], -v[99:100]
	buffer_store_dword v77, off, s[20:23], 0 offset:160 ; 4-byte Folded Spill
	s_nop 0
	buffer_store_dword v78, off, s[20:23], 0 offset:164 ; 4-byte Folded Spill
	buffer_store_dword v79, off, s[20:23], 0 offset:168 ; 4-byte Folded Spill
	buffer_store_dword v80, off, s[20:23], 0 offset:172 ; 4-byte Folded Spill
	ds_read2_b64 v[99:102], v125 offset0:70 offset1:71
	buffer_load_dword v77, off, s[20:23], 0 offset:144 ; 4-byte Folded Reload
	buffer_load_dword v78, off, s[20:23], 0 offset:148 ; 4-byte Folded Reload
	buffer_load_dword v79, off, s[20:23], 0 offset:152 ; 4-byte Folded Reload
	buffer_load_dword v80, off, s[20:23], 0 offset:156 ; 4-byte Folded Reload
	s_waitcnt lgkmcnt(0)
	v_mul_f64 v[103:104], v[101:102], v[109:110]
	v_fma_f64 v[103:104], v[99:100], v[97:98], -v[103:104]
	v_mul_f64 v[99:100], v[99:100], v[109:110]
	v_fma_f64 v[99:100], v[101:102], v[97:98], v[99:100]
	s_waitcnt vmcnt(2)
	v_add_f64 v[77:78], v[77:78], -v[103:104]
	s_waitcnt vmcnt(0)
	v_add_f64 v[79:80], v[79:80], -v[99:100]
	buffer_store_dword v77, off, s[20:23], 0 offset:144 ; 4-byte Folded Spill
	s_nop 0
	buffer_store_dword v78, off, s[20:23], 0 offset:148 ; 4-byte Folded Spill
	buffer_store_dword v79, off, s[20:23], 0 offset:152 ; 4-byte Folded Spill
	buffer_store_dword v80, off, s[20:23], 0 offset:156 ; 4-byte Folded Spill
	;; [unrolled: 19-line block ×10, first 2 shown]
	ds_read2_b64 v[99:102], v125 offset0:88 offset1:89
	buffer_load_dword v41, off, s[20:23], 0 ; 4-byte Folded Reload
	buffer_load_dword v42, off, s[20:23], 0 offset:4 ; 4-byte Folded Reload
	buffer_load_dword v43, off, s[20:23], 0 offset:8 ; 4-byte Folded Reload
	;; [unrolled: 1-line block ×3, first 2 shown]
	s_waitcnt lgkmcnt(0)
	v_mul_f64 v[103:104], v[101:102], v[109:110]
	v_fma_f64 v[103:104], v[99:100], v[97:98], -v[103:104]
	v_mul_f64 v[99:100], v[99:100], v[109:110]
	v_fma_f64 v[99:100], v[101:102], v[97:98], v[99:100]
	s_waitcnt vmcnt(2)
	v_add_f64 v[41:42], v[41:42], -v[103:104]
	s_waitcnt vmcnt(0)
	v_add_f64 v[43:44], v[43:44], -v[99:100]
	buffer_store_dword v41, off, s[20:23], 0 ; 4-byte Folded Spill
	s_nop 0
	buffer_store_dword v42, off, s[20:23], 0 offset:4 ; 4-byte Folded Spill
	buffer_store_dword v43, off, s[20:23], 0 offset:8 ; 4-byte Folded Spill
	;; [unrolled: 1-line block ×3, first 2 shown]
	ds_read2_b64 v[99:102], v125 offset0:90 offset1:91
	s_waitcnt lgkmcnt(0)
	v_mul_f64 v[103:104], v[101:102], v[109:110]
	v_fma_f64 v[103:104], v[99:100], v[97:98], -v[103:104]
	v_mul_f64 v[99:100], v[99:100], v[109:110]
	v_add_f64 v[37:38], v[37:38], -v[103:104]
	v_fma_f64 v[99:100], v[101:102], v[97:98], v[99:100]
	v_add_f64 v[39:40], v[39:40], -v[99:100]
	ds_read2_b64 v[99:102], v125 offset0:92 offset1:93
	s_waitcnt lgkmcnt(0)
	v_mul_f64 v[103:104], v[101:102], v[109:110]
	v_fma_f64 v[103:104], v[99:100], v[97:98], -v[103:104]
	v_mul_f64 v[99:100], v[99:100], v[109:110]
	v_add_f64 v[33:34], v[33:34], -v[103:104]
	v_fma_f64 v[99:100], v[101:102], v[97:98], v[99:100]
	v_add_f64 v[35:36], v[35:36], -v[99:100]
	;; [unrolled: 8-line block ×9, first 2 shown]
	ds_read2_b64 v[99:102], v125 offset0:108 offset1:109
	s_waitcnt lgkmcnt(0)
	v_mul_f64 v[103:104], v[101:102], v[109:110]
	v_fma_f64 v[103:104], v[99:100], v[97:98], -v[103:104]
	v_mul_f64 v[99:100], v[99:100], v[109:110]
	v_add_f64 v[1:2], v[1:2], -v[103:104]
	v_fma_f64 v[99:100], v[101:102], v[97:98], v[99:100]
	ds_read2_b64 v[101:104], v125 offset0:110 offset1:111
	v_add_f64 v[3:4], v[3:4], -v[99:100]
	s_waitcnt lgkmcnt(0)
	v_mul_f64 v[99:100], v[103:104], v[109:110]
	v_fma_f64 v[99:100], v[101:102], v[97:98], -v[99:100]
	v_mul_f64 v[101:102], v[101:102], v[109:110]
	buffer_store_dword v107, off, s[20:23], 0 offset:624 ; 4-byte Folded Spill
	s_nop 0
	buffer_store_dword v108, off, s[20:23], 0 offset:628 ; 4-byte Folded Spill
	buffer_store_dword v109, off, s[20:23], 0 offset:632 ; 4-byte Folded Spill
	;; [unrolled: 1-line block ×3, first 2 shown]
	v_add_f64 v[121:122], v[121:122], -v[99:100]
	v_fma_f64 v[101:102], v[103:104], v[97:98], v[101:102]
	v_add_f64 v[123:124], v[123:124], -v[101:102]
.LBB111_46:
	s_or_b64 exec, exec, s[2:3]
	v_cmp_eq_u32_e32 vcc, 5, v0
	s_waitcnt vmcnt(0)
	s_barrier
	s_and_saveexec_b64 s[4:5], vcc
	s_cbranch_execz .LBB111_53
; %bb.47:
	buffer_load_dword v95, off, s[20:23], 0 offset:608 ; 4-byte Folded Reload
	buffer_load_dword v96, off, s[20:23], 0 offset:612 ; 4-byte Folded Reload
	;; [unrolled: 1-line block ×4, first 2 shown]
	s_waitcnt vmcnt(0)
	ds_write2_b64 v127, v[95:96], v[97:98] offset1:1
	buffer_load_dword v95, off, s[20:23], 0 offset:592 ; 4-byte Folded Reload
	buffer_load_dword v96, off, s[20:23], 0 offset:596 ; 4-byte Folded Reload
	buffer_load_dword v97, off, s[20:23], 0 offset:600 ; 4-byte Folded Reload
	buffer_load_dword v98, off, s[20:23], 0 offset:604 ; 4-byte Folded Reload
	s_waitcnt vmcnt(0)
	ds_write2_b64 v125, v[95:96], v[97:98] offset0:12 offset1:13
	buffer_load_dword v95, off, s[20:23], 0 offset:576 ; 4-byte Folded Reload
	buffer_load_dword v96, off, s[20:23], 0 offset:580 ; 4-byte Folded Reload
	buffer_load_dword v97, off, s[20:23], 0 offset:584 ; 4-byte Folded Reload
	buffer_load_dword v98, off, s[20:23], 0 offset:588 ; 4-byte Folded Reload
	s_waitcnt vmcnt(0)
	ds_write2_b64 v125, v[95:96], v[97:98] offset0:14 offset1:15
	;; [unrolled: 6-line block ×27, first 2 shown]
	ds_write2_b64 v125, v[91:92], v[93:94] offset0:66 offset1:67
	buffer_load_dword v77, off, s[20:23], 0 offset:160 ; 4-byte Folded Reload
	buffer_load_dword v78, off, s[20:23], 0 offset:164 ; 4-byte Folded Reload
	buffer_load_dword v79, off, s[20:23], 0 offset:168 ; 4-byte Folded Reload
	buffer_load_dword v80, off, s[20:23], 0 offset:172 ; 4-byte Folded Reload
	s_waitcnt vmcnt(0)
	ds_write2_b64 v125, v[77:78], v[79:80] offset0:68 offset1:69
	buffer_load_dword v77, off, s[20:23], 0 offset:144 ; 4-byte Folded Reload
	buffer_load_dword v78, off, s[20:23], 0 offset:148 ; 4-byte Folded Reload
	buffer_load_dword v79, off, s[20:23], 0 offset:152 ; 4-byte Folded Reload
	buffer_load_dword v80, off, s[20:23], 0 offset:156 ; 4-byte Folded Reload
	s_waitcnt vmcnt(0)
	;; [unrolled: 6-line block ×10, first 2 shown]
	ds_write2_b64 v125, v[45:46], v[47:48] offset0:86 offset1:87
	buffer_load_dword v41, off, s[20:23], 0 ; 4-byte Folded Reload
	buffer_load_dword v42, off, s[20:23], 0 offset:4 ; 4-byte Folded Reload
	buffer_load_dword v43, off, s[20:23], 0 offset:8 ; 4-byte Folded Reload
	;; [unrolled: 1-line block ×3, first 2 shown]
	s_waitcnt vmcnt(0)
	ds_write2_b64 v125, v[41:42], v[43:44] offset0:88 offset1:89
	ds_write2_b64 v125, v[37:38], v[39:40] offset0:90 offset1:91
	;; [unrolled: 1-line block ×12, first 2 shown]
	ds_read2_b64 v[97:100], v127 offset1:1
	s_waitcnt lgkmcnt(0)
	v_cmp_neq_f64_e32 vcc, 0, v[97:98]
	v_cmp_neq_f64_e64 s[2:3], 0, v[99:100]
	s_or_b64 s[2:3], vcc, s[2:3]
	s_and_b64 exec, exec, s[2:3]
	s_cbranch_execz .LBB111_53
; %bb.48:
	v_cmp_ngt_f64_e64 s[2:3], |v[97:98]|, |v[99:100]|
                                        ; implicit-def: $vgpr101_vgpr102
	s_and_saveexec_b64 s[6:7], s[2:3]
	s_xor_b64 s[2:3], exec, s[6:7]
                                        ; implicit-def: $vgpr103_vgpr104
	s_cbranch_execz .LBB111_50
; %bb.49:
	v_div_scale_f64 v[101:102], s[6:7], v[99:100], v[99:100], v[97:98]
	v_rcp_f64_e32 v[103:104], v[101:102]
	v_fma_f64 v[105:106], -v[101:102], v[103:104], 1.0
	v_fma_f64 v[103:104], v[103:104], v[105:106], v[103:104]
	v_div_scale_f64 v[105:106], vcc, v[97:98], v[99:100], v[97:98]
	v_fma_f64 v[107:108], -v[101:102], v[103:104], 1.0
	v_fma_f64 v[103:104], v[103:104], v[107:108], v[103:104]
	v_mul_f64 v[107:108], v[105:106], v[103:104]
	v_fma_f64 v[101:102], -v[101:102], v[107:108], v[105:106]
	v_div_fmas_f64 v[101:102], v[101:102], v[103:104], v[107:108]
	v_div_fixup_f64 v[101:102], v[101:102], v[99:100], v[97:98]
	v_fma_f64 v[97:98], v[97:98], v[101:102], v[99:100]
	v_div_scale_f64 v[99:100], s[6:7], v[97:98], v[97:98], 1.0
	v_div_scale_f64 v[107:108], vcc, 1.0, v[97:98], 1.0
	v_rcp_f64_e32 v[103:104], v[99:100]
	v_fma_f64 v[105:106], -v[99:100], v[103:104], 1.0
	v_fma_f64 v[103:104], v[103:104], v[105:106], v[103:104]
	v_fma_f64 v[105:106], -v[99:100], v[103:104], 1.0
	v_fma_f64 v[103:104], v[103:104], v[105:106], v[103:104]
	v_mul_f64 v[105:106], v[107:108], v[103:104]
	v_fma_f64 v[99:100], -v[99:100], v[105:106], v[107:108]
	v_div_fmas_f64 v[99:100], v[99:100], v[103:104], v[105:106]
	v_div_fixup_f64 v[103:104], v[99:100], v[97:98], 1.0
                                        ; implicit-def: $vgpr97_vgpr98
	v_mul_f64 v[101:102], v[101:102], v[103:104]
	v_xor_b32_e32 v104, 0x80000000, v104
.LBB111_50:
	s_andn2_saveexec_b64 s[2:3], s[2:3]
	s_cbranch_execz .LBB111_52
; %bb.51:
	v_div_scale_f64 v[101:102], s[6:7], v[97:98], v[97:98], v[99:100]
	v_rcp_f64_e32 v[103:104], v[101:102]
	v_fma_f64 v[105:106], -v[101:102], v[103:104], 1.0
	v_fma_f64 v[103:104], v[103:104], v[105:106], v[103:104]
	v_div_scale_f64 v[105:106], vcc, v[99:100], v[97:98], v[99:100]
	v_fma_f64 v[107:108], -v[101:102], v[103:104], 1.0
	v_fma_f64 v[103:104], v[103:104], v[107:108], v[103:104]
	v_mul_f64 v[107:108], v[105:106], v[103:104]
	v_fma_f64 v[101:102], -v[101:102], v[107:108], v[105:106]
	v_div_fmas_f64 v[101:102], v[101:102], v[103:104], v[107:108]
	v_div_fixup_f64 v[103:104], v[101:102], v[97:98], v[99:100]
	v_fma_f64 v[97:98], v[99:100], v[103:104], v[97:98]
	v_div_scale_f64 v[99:100], s[6:7], v[97:98], v[97:98], 1.0
	v_div_scale_f64 v[107:108], vcc, 1.0, v[97:98], 1.0
	v_rcp_f64_e32 v[101:102], v[99:100]
	v_fma_f64 v[105:106], -v[99:100], v[101:102], 1.0
	v_fma_f64 v[101:102], v[101:102], v[105:106], v[101:102]
	v_fma_f64 v[105:106], -v[99:100], v[101:102], 1.0
	v_fma_f64 v[101:102], v[101:102], v[105:106], v[101:102]
	v_mul_f64 v[105:106], v[107:108], v[101:102]
	v_fma_f64 v[99:100], -v[99:100], v[105:106], v[107:108]
	v_div_fmas_f64 v[99:100], v[99:100], v[101:102], v[105:106]
	v_div_fixup_f64 v[101:102], v[99:100], v[97:98], 1.0
	v_mul_f64 v[103:104], v[103:104], -v[101:102]
.LBB111_52:
	s_or_b64 exec, exec, s[2:3]
	ds_write2_b64 v127, v[101:102], v[103:104] offset1:1
.LBB111_53:
	s_or_b64 exec, exec, s[4:5]
	s_waitcnt lgkmcnt(0)
	s_barrier
	ds_read2_b64 v[87:90], v127 offset1:1
	v_cmp_lt_u32_e32 vcc, 5, v0
	s_waitcnt lgkmcnt(0)
	buffer_store_dword v87, off, s[20:23], 0 offset:1224 ; 4-byte Folded Spill
	s_nop 0
	buffer_store_dword v88, off, s[20:23], 0 offset:1228 ; 4-byte Folded Spill
	buffer_store_dword v89, off, s[20:23], 0 offset:1232 ; 4-byte Folded Spill
	;; [unrolled: 1-line block ×3, first 2 shown]
	s_and_saveexec_b64 s[2:3], vcc
	s_cbranch_execz .LBB111_55
; %bb.54:
	buffer_load_dword v107, off, s[20:23], 0 offset:608 ; 4-byte Folded Reload
	buffer_load_dword v108, off, s[20:23], 0 offset:612 ; 4-byte Folded Reload
	;; [unrolled: 1-line block ×8, first 2 shown]
	s_waitcnt vmcnt(2)
	v_mul_f64 v[99:100], v[87:88], v[109:110]
	s_waitcnt vmcnt(0)
	v_mul_f64 v[97:98], v[89:90], v[109:110]
	v_fma_f64 v[109:110], v[89:90], v[107:108], v[99:100]
	ds_read2_b64 v[99:102], v125 offset0:12 offset1:13
	v_fma_f64 v[97:98], v[87:88], v[107:108], -v[97:98]
	buffer_load_dword v105, off, s[20:23], 0 offset:592 ; 4-byte Folded Reload
	buffer_load_dword v106, off, s[20:23], 0 offset:596 ; 4-byte Folded Reload
	buffer_load_dword v107, off, s[20:23], 0 offset:600 ; 4-byte Folded Reload
	buffer_load_dword v108, off, s[20:23], 0 offset:604 ; 4-byte Folded Reload
	s_waitcnt lgkmcnt(0)
	v_mul_f64 v[103:104], v[101:102], v[109:110]
	v_fma_f64 v[103:104], v[99:100], v[97:98], -v[103:104]
	v_mul_f64 v[99:100], v[99:100], v[109:110]
	v_fma_f64 v[99:100], v[101:102], v[97:98], v[99:100]
	s_waitcnt vmcnt(2)
	v_add_f64 v[105:106], v[105:106], -v[103:104]
	s_waitcnt vmcnt(0)
	v_add_f64 v[107:108], v[107:108], -v[99:100]
	buffer_store_dword v105, off, s[20:23], 0 offset:592 ; 4-byte Folded Spill
	s_nop 0
	buffer_store_dword v106, off, s[20:23], 0 offset:596 ; 4-byte Folded Spill
	buffer_store_dword v107, off, s[20:23], 0 offset:600 ; 4-byte Folded Spill
	buffer_store_dword v108, off, s[20:23], 0 offset:604 ; 4-byte Folded Spill
	ds_read2_b64 v[99:102], v125 offset0:14 offset1:15
	buffer_load_dword v105, off, s[20:23], 0 offset:576 ; 4-byte Folded Reload
	buffer_load_dword v106, off, s[20:23], 0 offset:580 ; 4-byte Folded Reload
	buffer_load_dword v107, off, s[20:23], 0 offset:584 ; 4-byte Folded Reload
	buffer_load_dword v108, off, s[20:23], 0 offset:588 ; 4-byte Folded Reload
	s_waitcnt lgkmcnt(0)
	v_mul_f64 v[103:104], v[101:102], v[109:110]
	v_fma_f64 v[103:104], v[99:100], v[97:98], -v[103:104]
	v_mul_f64 v[99:100], v[99:100], v[109:110]
	v_fma_f64 v[99:100], v[101:102], v[97:98], v[99:100]
	s_waitcnt vmcnt(2)
	v_add_f64 v[105:106], v[105:106], -v[103:104]
	s_waitcnt vmcnt(0)
	v_add_f64 v[107:108], v[107:108], -v[99:100]
	buffer_store_dword v105, off, s[20:23], 0 offset:576 ; 4-byte Folded Spill
	s_nop 0
	buffer_store_dword v106, off, s[20:23], 0 offset:580 ; 4-byte Folded Spill
	buffer_store_dword v107, off, s[20:23], 0 offset:584 ; 4-byte Folded Spill
	buffer_store_dword v108, off, s[20:23], 0 offset:588 ; 4-byte Folded Spill
	ds_read2_b64 v[99:102], v125 offset0:16 offset1:17
	;; [unrolled: 19-line block ×27, first 2 shown]
	v_mov_b32_e32 v108, v98
	v_mov_b32_e32 v107, v97
	s_waitcnt lgkmcnt(0)
	v_mul_f64 v[103:104], v[101:102], v[109:110]
	v_fma_f64 v[103:104], v[99:100], v[97:98], -v[103:104]
	v_mul_f64 v[99:100], v[99:100], v[109:110]
	v_add_f64 v[91:92], v[91:92], -v[103:104]
	v_fma_f64 v[99:100], v[101:102], v[97:98], v[99:100]
	v_add_f64 v[93:94], v[93:94], -v[99:100]
	ds_read2_b64 v[99:102], v125 offset0:68 offset1:69
	buffer_load_dword v77, off, s[20:23], 0 offset:160 ; 4-byte Folded Reload
	buffer_load_dword v78, off, s[20:23], 0 offset:164 ; 4-byte Folded Reload
	buffer_load_dword v79, off, s[20:23], 0 offset:168 ; 4-byte Folded Reload
	buffer_load_dword v80, off, s[20:23], 0 offset:172 ; 4-byte Folded Reload
	s_waitcnt lgkmcnt(0)
	v_mul_f64 v[103:104], v[101:102], v[109:110]
	v_fma_f64 v[103:104], v[99:100], v[97:98], -v[103:104]
	v_mul_f64 v[99:100], v[99:100], v[109:110]
	v_fma_f64 v[99:100], v[101:102], v[97:98], v[99:100]
	s_waitcnt vmcnt(2)
	v_add_f64 v[77:78], v[77:78], -v[103:104]
	s_waitcnt vmcnt(0)
	v_add_f64 v[79:80], v[79:80], -v[99:100]
	buffer_store_dword v77, off, s[20:23], 0 offset:160 ; 4-byte Folded Spill
	s_nop 0
	buffer_store_dword v78, off, s[20:23], 0 offset:164 ; 4-byte Folded Spill
	buffer_store_dword v79, off, s[20:23], 0 offset:168 ; 4-byte Folded Spill
	buffer_store_dword v80, off, s[20:23], 0 offset:172 ; 4-byte Folded Spill
	ds_read2_b64 v[99:102], v125 offset0:70 offset1:71
	buffer_load_dword v77, off, s[20:23], 0 offset:144 ; 4-byte Folded Reload
	buffer_load_dword v78, off, s[20:23], 0 offset:148 ; 4-byte Folded Reload
	buffer_load_dword v79, off, s[20:23], 0 offset:152 ; 4-byte Folded Reload
	buffer_load_dword v80, off, s[20:23], 0 offset:156 ; 4-byte Folded Reload
	s_waitcnt lgkmcnt(0)
	v_mul_f64 v[103:104], v[101:102], v[109:110]
	v_fma_f64 v[103:104], v[99:100], v[97:98], -v[103:104]
	v_mul_f64 v[99:100], v[99:100], v[109:110]
	v_fma_f64 v[99:100], v[101:102], v[97:98], v[99:100]
	s_waitcnt vmcnt(2)
	v_add_f64 v[77:78], v[77:78], -v[103:104]
	s_waitcnt vmcnt(0)
	v_add_f64 v[79:80], v[79:80], -v[99:100]
	buffer_store_dword v77, off, s[20:23], 0 offset:144 ; 4-byte Folded Spill
	s_nop 0
	buffer_store_dword v78, off, s[20:23], 0 offset:148 ; 4-byte Folded Spill
	buffer_store_dword v79, off, s[20:23], 0 offset:152 ; 4-byte Folded Spill
	buffer_store_dword v80, off, s[20:23], 0 offset:156 ; 4-byte Folded Spill
	;; [unrolled: 19-line block ×10, first 2 shown]
	ds_read2_b64 v[99:102], v125 offset0:88 offset1:89
	buffer_load_dword v41, off, s[20:23], 0 ; 4-byte Folded Reload
	buffer_load_dword v42, off, s[20:23], 0 offset:4 ; 4-byte Folded Reload
	buffer_load_dword v43, off, s[20:23], 0 offset:8 ; 4-byte Folded Reload
	;; [unrolled: 1-line block ×3, first 2 shown]
	s_waitcnt lgkmcnt(0)
	v_mul_f64 v[103:104], v[101:102], v[109:110]
	v_fma_f64 v[103:104], v[99:100], v[97:98], -v[103:104]
	v_mul_f64 v[99:100], v[99:100], v[109:110]
	v_fma_f64 v[99:100], v[101:102], v[97:98], v[99:100]
	s_waitcnt vmcnt(2)
	v_add_f64 v[41:42], v[41:42], -v[103:104]
	s_waitcnt vmcnt(0)
	v_add_f64 v[43:44], v[43:44], -v[99:100]
	buffer_store_dword v41, off, s[20:23], 0 ; 4-byte Folded Spill
	s_nop 0
	buffer_store_dword v42, off, s[20:23], 0 offset:4 ; 4-byte Folded Spill
	buffer_store_dword v43, off, s[20:23], 0 offset:8 ; 4-byte Folded Spill
	;; [unrolled: 1-line block ×3, first 2 shown]
	ds_read2_b64 v[99:102], v125 offset0:90 offset1:91
	s_waitcnt lgkmcnt(0)
	v_mul_f64 v[103:104], v[101:102], v[109:110]
	v_fma_f64 v[103:104], v[99:100], v[97:98], -v[103:104]
	v_mul_f64 v[99:100], v[99:100], v[109:110]
	v_add_f64 v[37:38], v[37:38], -v[103:104]
	v_fma_f64 v[99:100], v[101:102], v[97:98], v[99:100]
	v_add_f64 v[39:40], v[39:40], -v[99:100]
	ds_read2_b64 v[99:102], v125 offset0:92 offset1:93
	s_waitcnt lgkmcnt(0)
	v_mul_f64 v[103:104], v[101:102], v[109:110]
	v_fma_f64 v[103:104], v[99:100], v[97:98], -v[103:104]
	v_mul_f64 v[99:100], v[99:100], v[109:110]
	v_add_f64 v[33:34], v[33:34], -v[103:104]
	v_fma_f64 v[99:100], v[101:102], v[97:98], v[99:100]
	v_add_f64 v[35:36], v[35:36], -v[99:100]
	;; [unrolled: 8-line block ×9, first 2 shown]
	ds_read2_b64 v[99:102], v125 offset0:108 offset1:109
	s_waitcnt lgkmcnt(0)
	v_mul_f64 v[103:104], v[101:102], v[109:110]
	v_fma_f64 v[103:104], v[99:100], v[97:98], -v[103:104]
	v_mul_f64 v[99:100], v[99:100], v[109:110]
	v_add_f64 v[1:2], v[1:2], -v[103:104]
	v_fma_f64 v[99:100], v[101:102], v[97:98], v[99:100]
	ds_read2_b64 v[101:104], v125 offset0:110 offset1:111
	v_add_f64 v[3:4], v[3:4], -v[99:100]
	s_waitcnt lgkmcnt(0)
	v_mul_f64 v[99:100], v[103:104], v[109:110]
	v_fma_f64 v[99:100], v[101:102], v[97:98], -v[99:100]
	v_mul_f64 v[101:102], v[101:102], v[109:110]
	buffer_store_dword v107, off, s[20:23], 0 offset:608 ; 4-byte Folded Spill
	s_nop 0
	buffer_store_dword v108, off, s[20:23], 0 offset:612 ; 4-byte Folded Spill
	buffer_store_dword v109, off, s[20:23], 0 offset:616 ; 4-byte Folded Spill
	;; [unrolled: 1-line block ×3, first 2 shown]
	v_add_f64 v[121:122], v[121:122], -v[99:100]
	v_fma_f64 v[101:102], v[103:104], v[97:98], v[101:102]
	v_add_f64 v[123:124], v[123:124], -v[101:102]
.LBB111_55:
	s_or_b64 exec, exec, s[2:3]
	v_cmp_eq_u32_e32 vcc, 6, v0
	s_waitcnt vmcnt(0)
	s_barrier
	s_and_saveexec_b64 s[4:5], vcc
	s_cbranch_execz .LBB111_62
; %bb.56:
	buffer_load_dword v95, off, s[20:23], 0 offset:592 ; 4-byte Folded Reload
	buffer_load_dword v96, off, s[20:23], 0 offset:596 ; 4-byte Folded Reload
	;; [unrolled: 1-line block ×4, first 2 shown]
	s_waitcnt vmcnt(0)
	ds_write2_b64 v127, v[95:96], v[97:98] offset1:1
	buffer_load_dword v95, off, s[20:23], 0 offset:576 ; 4-byte Folded Reload
	buffer_load_dword v96, off, s[20:23], 0 offset:580 ; 4-byte Folded Reload
	buffer_load_dword v97, off, s[20:23], 0 offset:584 ; 4-byte Folded Reload
	buffer_load_dword v98, off, s[20:23], 0 offset:588 ; 4-byte Folded Reload
	s_waitcnt vmcnt(0)
	ds_write2_b64 v125, v[95:96], v[97:98] offset0:14 offset1:15
	buffer_load_dword v95, off, s[20:23], 0 offset:560 ; 4-byte Folded Reload
	buffer_load_dword v96, off, s[20:23], 0 offset:564 ; 4-byte Folded Reload
	buffer_load_dword v97, off, s[20:23], 0 offset:568 ; 4-byte Folded Reload
	buffer_load_dword v98, off, s[20:23], 0 offset:572 ; 4-byte Folded Reload
	s_waitcnt vmcnt(0)
	ds_write2_b64 v125, v[95:96], v[97:98] offset0:16 offset1:17
	buffer_load_dword v95, off, s[20:23], 0 offset:544 ; 4-byte Folded Reload
	buffer_load_dword v96, off, s[20:23], 0 offset:548 ; 4-byte Folded Reload
	buffer_load_dword v97, off, s[20:23], 0 offset:552 ; 4-byte Folded Reload
	buffer_load_dword v98, off, s[20:23], 0 offset:556 ; 4-byte Folded Reload
	s_waitcnt vmcnt(0)
	ds_write2_b64 v125, v[95:96], v[97:98] offset0:18 offset1:19
	buffer_load_dword v95, off, s[20:23], 0 offset:528 ; 4-byte Folded Reload
	buffer_load_dword v96, off, s[20:23], 0 offset:532 ; 4-byte Folded Reload
	buffer_load_dword v97, off, s[20:23], 0 offset:536 ; 4-byte Folded Reload
	buffer_load_dword v98, off, s[20:23], 0 offset:540 ; 4-byte Folded Reload
	s_waitcnt vmcnt(0)
	ds_write2_b64 v125, v[95:96], v[97:98] offset0:20 offset1:21
	buffer_load_dword v95, off, s[20:23], 0 offset:512 ; 4-byte Folded Reload
	buffer_load_dword v96, off, s[20:23], 0 offset:516 ; 4-byte Folded Reload
	buffer_load_dword v97, off, s[20:23], 0 offset:520 ; 4-byte Folded Reload
	buffer_load_dword v98, off, s[20:23], 0 offset:524 ; 4-byte Folded Reload
	s_waitcnt vmcnt(0)
	ds_write2_b64 v125, v[95:96], v[97:98] offset0:22 offset1:23
	buffer_load_dword v95, off, s[20:23], 0 offset:496 ; 4-byte Folded Reload
	buffer_load_dword v96, off, s[20:23], 0 offset:500 ; 4-byte Folded Reload
	buffer_load_dword v97, off, s[20:23], 0 offset:504 ; 4-byte Folded Reload
	buffer_load_dword v98, off, s[20:23], 0 offset:508 ; 4-byte Folded Reload
	s_waitcnt vmcnt(0)
	ds_write2_b64 v125, v[95:96], v[97:98] offset0:24 offset1:25
	buffer_load_dword v95, off, s[20:23], 0 offset:480 ; 4-byte Folded Reload
	buffer_load_dword v96, off, s[20:23], 0 offset:484 ; 4-byte Folded Reload
	buffer_load_dword v97, off, s[20:23], 0 offset:488 ; 4-byte Folded Reload
	buffer_load_dword v98, off, s[20:23], 0 offset:492 ; 4-byte Folded Reload
	s_waitcnt vmcnt(0)
	ds_write2_b64 v125, v[95:96], v[97:98] offset0:26 offset1:27
	buffer_load_dword v95, off, s[20:23], 0 offset:464 ; 4-byte Folded Reload
	buffer_load_dword v96, off, s[20:23], 0 offset:468 ; 4-byte Folded Reload
	buffer_load_dword v97, off, s[20:23], 0 offset:472 ; 4-byte Folded Reload
	buffer_load_dword v98, off, s[20:23], 0 offset:476 ; 4-byte Folded Reload
	s_waitcnt vmcnt(0)
	ds_write2_b64 v125, v[95:96], v[97:98] offset0:28 offset1:29
	buffer_load_dword v95, off, s[20:23], 0 offset:448 ; 4-byte Folded Reload
	buffer_load_dword v96, off, s[20:23], 0 offset:452 ; 4-byte Folded Reload
	buffer_load_dword v97, off, s[20:23], 0 offset:456 ; 4-byte Folded Reload
	buffer_load_dword v98, off, s[20:23], 0 offset:460 ; 4-byte Folded Reload
	s_waitcnt vmcnt(0)
	ds_write2_b64 v125, v[95:96], v[97:98] offset0:30 offset1:31
	buffer_load_dword v95, off, s[20:23], 0 offset:432 ; 4-byte Folded Reload
	buffer_load_dword v96, off, s[20:23], 0 offset:436 ; 4-byte Folded Reload
	buffer_load_dword v97, off, s[20:23], 0 offset:440 ; 4-byte Folded Reload
	buffer_load_dword v98, off, s[20:23], 0 offset:444 ; 4-byte Folded Reload
	s_waitcnt vmcnt(0)
	ds_write2_b64 v125, v[95:96], v[97:98] offset0:32 offset1:33
	buffer_load_dword v95, off, s[20:23], 0 offset:416 ; 4-byte Folded Reload
	buffer_load_dword v96, off, s[20:23], 0 offset:420 ; 4-byte Folded Reload
	buffer_load_dword v97, off, s[20:23], 0 offset:424 ; 4-byte Folded Reload
	buffer_load_dword v98, off, s[20:23], 0 offset:428 ; 4-byte Folded Reload
	s_waitcnt vmcnt(0)
	ds_write2_b64 v125, v[95:96], v[97:98] offset0:34 offset1:35
	buffer_load_dword v95, off, s[20:23], 0 offset:400 ; 4-byte Folded Reload
	buffer_load_dword v96, off, s[20:23], 0 offset:404 ; 4-byte Folded Reload
	buffer_load_dword v97, off, s[20:23], 0 offset:408 ; 4-byte Folded Reload
	buffer_load_dword v98, off, s[20:23], 0 offset:412 ; 4-byte Folded Reload
	s_waitcnt vmcnt(0)
	ds_write2_b64 v125, v[95:96], v[97:98] offset0:36 offset1:37
	buffer_load_dword v95, off, s[20:23], 0 offset:384 ; 4-byte Folded Reload
	buffer_load_dword v96, off, s[20:23], 0 offset:388 ; 4-byte Folded Reload
	buffer_load_dword v97, off, s[20:23], 0 offset:392 ; 4-byte Folded Reload
	buffer_load_dword v98, off, s[20:23], 0 offset:396 ; 4-byte Folded Reload
	s_waitcnt vmcnt(0)
	ds_write2_b64 v125, v[95:96], v[97:98] offset0:38 offset1:39
	buffer_load_dword v95, off, s[20:23], 0 offset:368 ; 4-byte Folded Reload
	buffer_load_dword v96, off, s[20:23], 0 offset:372 ; 4-byte Folded Reload
	buffer_load_dword v97, off, s[20:23], 0 offset:376 ; 4-byte Folded Reload
	buffer_load_dword v98, off, s[20:23], 0 offset:380 ; 4-byte Folded Reload
	s_waitcnt vmcnt(0)
	ds_write2_b64 v125, v[95:96], v[97:98] offset0:40 offset1:41
	buffer_load_dword v95, off, s[20:23], 0 offset:352 ; 4-byte Folded Reload
	buffer_load_dword v96, off, s[20:23], 0 offset:356 ; 4-byte Folded Reload
	buffer_load_dword v97, off, s[20:23], 0 offset:360 ; 4-byte Folded Reload
	buffer_load_dword v98, off, s[20:23], 0 offset:364 ; 4-byte Folded Reload
	s_waitcnt vmcnt(0)
	ds_write2_b64 v125, v[95:96], v[97:98] offset0:42 offset1:43
	buffer_load_dword v95, off, s[20:23], 0 offset:336 ; 4-byte Folded Reload
	buffer_load_dword v96, off, s[20:23], 0 offset:340 ; 4-byte Folded Reload
	buffer_load_dword v97, off, s[20:23], 0 offset:344 ; 4-byte Folded Reload
	buffer_load_dword v98, off, s[20:23], 0 offset:348 ; 4-byte Folded Reload
	s_waitcnt vmcnt(0)
	ds_write2_b64 v125, v[95:96], v[97:98] offset0:44 offset1:45
	buffer_load_dword v95, off, s[20:23], 0 offset:320 ; 4-byte Folded Reload
	buffer_load_dword v96, off, s[20:23], 0 offset:324 ; 4-byte Folded Reload
	buffer_load_dword v97, off, s[20:23], 0 offset:328 ; 4-byte Folded Reload
	buffer_load_dword v98, off, s[20:23], 0 offset:332 ; 4-byte Folded Reload
	s_waitcnt vmcnt(0)
	ds_write2_b64 v125, v[95:96], v[97:98] offset0:46 offset1:47
	buffer_load_dword v95, off, s[20:23], 0 offset:304 ; 4-byte Folded Reload
	buffer_load_dword v96, off, s[20:23], 0 offset:308 ; 4-byte Folded Reload
	buffer_load_dword v97, off, s[20:23], 0 offset:312 ; 4-byte Folded Reload
	buffer_load_dword v98, off, s[20:23], 0 offset:316 ; 4-byte Folded Reload
	s_waitcnt vmcnt(0)
	ds_write2_b64 v125, v[95:96], v[97:98] offset0:48 offset1:49
	buffer_load_dword v95, off, s[20:23], 0 offset:288 ; 4-byte Folded Reload
	buffer_load_dword v96, off, s[20:23], 0 offset:292 ; 4-byte Folded Reload
	buffer_load_dword v97, off, s[20:23], 0 offset:296 ; 4-byte Folded Reload
	buffer_load_dword v98, off, s[20:23], 0 offset:300 ; 4-byte Folded Reload
	s_waitcnt vmcnt(0)
	ds_write2_b64 v125, v[95:96], v[97:98] offset0:50 offset1:51
	buffer_load_dword v95, off, s[20:23], 0 offset:272 ; 4-byte Folded Reload
	buffer_load_dword v96, off, s[20:23], 0 offset:276 ; 4-byte Folded Reload
	buffer_load_dword v97, off, s[20:23], 0 offset:280 ; 4-byte Folded Reload
	buffer_load_dword v98, off, s[20:23], 0 offset:284 ; 4-byte Folded Reload
	s_waitcnt vmcnt(0)
	ds_write2_b64 v125, v[95:96], v[97:98] offset0:52 offset1:53
	buffer_load_dword v95, off, s[20:23], 0 offset:256 ; 4-byte Folded Reload
	buffer_load_dword v96, off, s[20:23], 0 offset:260 ; 4-byte Folded Reload
	buffer_load_dword v97, off, s[20:23], 0 offset:264 ; 4-byte Folded Reload
	buffer_load_dword v98, off, s[20:23], 0 offset:268 ; 4-byte Folded Reload
	s_waitcnt vmcnt(0)
	ds_write2_b64 v125, v[95:96], v[97:98] offset0:54 offset1:55
	buffer_load_dword v95, off, s[20:23], 0 offset:240 ; 4-byte Folded Reload
	buffer_load_dword v96, off, s[20:23], 0 offset:244 ; 4-byte Folded Reload
	buffer_load_dword v97, off, s[20:23], 0 offset:248 ; 4-byte Folded Reload
	buffer_load_dword v98, off, s[20:23], 0 offset:252 ; 4-byte Folded Reload
	s_waitcnt vmcnt(0)
	ds_write2_b64 v125, v[95:96], v[97:98] offset0:56 offset1:57
	buffer_load_dword v95, off, s[20:23], 0 offset:224 ; 4-byte Folded Reload
	buffer_load_dword v96, off, s[20:23], 0 offset:228 ; 4-byte Folded Reload
	buffer_load_dword v97, off, s[20:23], 0 offset:232 ; 4-byte Folded Reload
	buffer_load_dword v98, off, s[20:23], 0 offset:236 ; 4-byte Folded Reload
	s_waitcnt vmcnt(0)
	ds_write2_b64 v125, v[95:96], v[97:98] offset0:58 offset1:59
	buffer_load_dword v95, off, s[20:23], 0 offset:208 ; 4-byte Folded Reload
	buffer_load_dword v96, off, s[20:23], 0 offset:212 ; 4-byte Folded Reload
	buffer_load_dword v97, off, s[20:23], 0 offset:216 ; 4-byte Folded Reload
	buffer_load_dword v98, off, s[20:23], 0 offset:220 ; 4-byte Folded Reload
	s_waitcnt vmcnt(0)
	ds_write2_b64 v125, v[95:96], v[97:98] offset0:60 offset1:61
	buffer_load_dword v95, off, s[20:23], 0 offset:192 ; 4-byte Folded Reload
	buffer_load_dword v96, off, s[20:23], 0 offset:196 ; 4-byte Folded Reload
	buffer_load_dword v97, off, s[20:23], 0 offset:200 ; 4-byte Folded Reload
	buffer_load_dword v98, off, s[20:23], 0 offset:204 ; 4-byte Folded Reload
	s_waitcnt vmcnt(0)
	ds_write2_b64 v125, v[95:96], v[97:98] offset0:62 offset1:63
	buffer_load_dword v95, off, s[20:23], 0 offset:176 ; 4-byte Folded Reload
	buffer_load_dword v96, off, s[20:23], 0 offset:180 ; 4-byte Folded Reload
	buffer_load_dword v97, off, s[20:23], 0 offset:184 ; 4-byte Folded Reload
	buffer_load_dword v98, off, s[20:23], 0 offset:188 ; 4-byte Folded Reload
	s_waitcnt vmcnt(0)
	ds_write2_b64 v125, v[95:96], v[97:98] offset0:64 offset1:65
	ds_write2_b64 v125, v[91:92], v[93:94] offset0:66 offset1:67
	buffer_load_dword v77, off, s[20:23], 0 offset:160 ; 4-byte Folded Reload
	buffer_load_dword v78, off, s[20:23], 0 offset:164 ; 4-byte Folded Reload
	buffer_load_dword v79, off, s[20:23], 0 offset:168 ; 4-byte Folded Reload
	buffer_load_dword v80, off, s[20:23], 0 offset:172 ; 4-byte Folded Reload
	s_waitcnt vmcnt(0)
	ds_write2_b64 v125, v[77:78], v[79:80] offset0:68 offset1:69
	buffer_load_dword v77, off, s[20:23], 0 offset:144 ; 4-byte Folded Reload
	buffer_load_dword v78, off, s[20:23], 0 offset:148 ; 4-byte Folded Reload
	buffer_load_dword v79, off, s[20:23], 0 offset:152 ; 4-byte Folded Reload
	buffer_load_dword v80, off, s[20:23], 0 offset:156 ; 4-byte Folded Reload
	s_waitcnt vmcnt(0)
	;; [unrolled: 6-line block ×10, first 2 shown]
	ds_write2_b64 v125, v[45:46], v[47:48] offset0:86 offset1:87
	buffer_load_dword v41, off, s[20:23], 0 ; 4-byte Folded Reload
	buffer_load_dword v42, off, s[20:23], 0 offset:4 ; 4-byte Folded Reload
	buffer_load_dword v43, off, s[20:23], 0 offset:8 ; 4-byte Folded Reload
	;; [unrolled: 1-line block ×3, first 2 shown]
	s_waitcnt vmcnt(0)
	ds_write2_b64 v125, v[41:42], v[43:44] offset0:88 offset1:89
	ds_write2_b64 v125, v[37:38], v[39:40] offset0:90 offset1:91
	ds_write2_b64 v125, v[33:34], v[35:36] offset0:92 offset1:93
	ds_write2_b64 v125, v[29:30], v[31:32] offset0:94 offset1:95
	ds_write2_b64 v125, v[25:26], v[27:28] offset0:96 offset1:97
	ds_write2_b64 v125, v[21:22], v[23:24] offset0:98 offset1:99
	ds_write2_b64 v125, v[17:18], v[19:20] offset0:100 offset1:101
	ds_write2_b64 v125, v[13:14], v[15:16] offset0:102 offset1:103
	ds_write2_b64 v125, v[9:10], v[11:12] offset0:104 offset1:105
	ds_write2_b64 v125, v[5:6], v[7:8] offset0:106 offset1:107
	ds_write2_b64 v125, v[1:2], v[3:4] offset0:108 offset1:109
	ds_write2_b64 v125, v[121:122], v[123:124] offset0:110 offset1:111
	ds_read2_b64 v[97:100], v127 offset1:1
	s_waitcnt lgkmcnt(0)
	v_cmp_neq_f64_e32 vcc, 0, v[97:98]
	v_cmp_neq_f64_e64 s[2:3], 0, v[99:100]
	s_or_b64 s[2:3], vcc, s[2:3]
	s_and_b64 exec, exec, s[2:3]
	s_cbranch_execz .LBB111_62
; %bb.57:
	v_cmp_ngt_f64_e64 s[2:3], |v[97:98]|, |v[99:100]|
                                        ; implicit-def: $vgpr101_vgpr102
	s_and_saveexec_b64 s[6:7], s[2:3]
	s_xor_b64 s[2:3], exec, s[6:7]
                                        ; implicit-def: $vgpr103_vgpr104
	s_cbranch_execz .LBB111_59
; %bb.58:
	v_div_scale_f64 v[101:102], s[6:7], v[99:100], v[99:100], v[97:98]
	v_rcp_f64_e32 v[103:104], v[101:102]
	v_fma_f64 v[105:106], -v[101:102], v[103:104], 1.0
	v_fma_f64 v[103:104], v[103:104], v[105:106], v[103:104]
	v_div_scale_f64 v[105:106], vcc, v[97:98], v[99:100], v[97:98]
	v_fma_f64 v[107:108], -v[101:102], v[103:104], 1.0
	v_fma_f64 v[103:104], v[103:104], v[107:108], v[103:104]
	v_mul_f64 v[107:108], v[105:106], v[103:104]
	v_fma_f64 v[101:102], -v[101:102], v[107:108], v[105:106]
	v_div_fmas_f64 v[101:102], v[101:102], v[103:104], v[107:108]
	v_div_fixup_f64 v[101:102], v[101:102], v[99:100], v[97:98]
	v_fma_f64 v[97:98], v[97:98], v[101:102], v[99:100]
	v_div_scale_f64 v[99:100], s[6:7], v[97:98], v[97:98], 1.0
	v_div_scale_f64 v[107:108], vcc, 1.0, v[97:98], 1.0
	v_rcp_f64_e32 v[103:104], v[99:100]
	v_fma_f64 v[105:106], -v[99:100], v[103:104], 1.0
	v_fma_f64 v[103:104], v[103:104], v[105:106], v[103:104]
	v_fma_f64 v[105:106], -v[99:100], v[103:104], 1.0
	v_fma_f64 v[103:104], v[103:104], v[105:106], v[103:104]
	v_mul_f64 v[105:106], v[107:108], v[103:104]
	v_fma_f64 v[99:100], -v[99:100], v[105:106], v[107:108]
	v_div_fmas_f64 v[99:100], v[99:100], v[103:104], v[105:106]
	v_div_fixup_f64 v[103:104], v[99:100], v[97:98], 1.0
                                        ; implicit-def: $vgpr97_vgpr98
	v_mul_f64 v[101:102], v[101:102], v[103:104]
	v_xor_b32_e32 v104, 0x80000000, v104
.LBB111_59:
	s_andn2_saveexec_b64 s[2:3], s[2:3]
	s_cbranch_execz .LBB111_61
; %bb.60:
	v_div_scale_f64 v[101:102], s[6:7], v[97:98], v[97:98], v[99:100]
	v_rcp_f64_e32 v[103:104], v[101:102]
	v_fma_f64 v[105:106], -v[101:102], v[103:104], 1.0
	v_fma_f64 v[103:104], v[103:104], v[105:106], v[103:104]
	v_div_scale_f64 v[105:106], vcc, v[99:100], v[97:98], v[99:100]
	v_fma_f64 v[107:108], -v[101:102], v[103:104], 1.0
	v_fma_f64 v[103:104], v[103:104], v[107:108], v[103:104]
	v_mul_f64 v[107:108], v[105:106], v[103:104]
	v_fma_f64 v[101:102], -v[101:102], v[107:108], v[105:106]
	v_div_fmas_f64 v[101:102], v[101:102], v[103:104], v[107:108]
	v_div_fixup_f64 v[103:104], v[101:102], v[97:98], v[99:100]
	v_fma_f64 v[97:98], v[99:100], v[103:104], v[97:98]
	v_div_scale_f64 v[99:100], s[6:7], v[97:98], v[97:98], 1.0
	v_div_scale_f64 v[107:108], vcc, 1.0, v[97:98], 1.0
	v_rcp_f64_e32 v[101:102], v[99:100]
	v_fma_f64 v[105:106], -v[99:100], v[101:102], 1.0
	v_fma_f64 v[101:102], v[101:102], v[105:106], v[101:102]
	v_fma_f64 v[105:106], -v[99:100], v[101:102], 1.0
	v_fma_f64 v[101:102], v[101:102], v[105:106], v[101:102]
	v_mul_f64 v[105:106], v[107:108], v[101:102]
	v_fma_f64 v[99:100], -v[99:100], v[105:106], v[107:108]
	v_div_fmas_f64 v[99:100], v[99:100], v[101:102], v[105:106]
	v_div_fixup_f64 v[101:102], v[99:100], v[97:98], 1.0
	v_mul_f64 v[103:104], v[103:104], -v[101:102]
.LBB111_61:
	s_or_b64 exec, exec, s[2:3]
	ds_write2_b64 v127, v[101:102], v[103:104] offset1:1
.LBB111_62:
	s_or_b64 exec, exec, s[4:5]
	s_waitcnt lgkmcnt(0)
	s_barrier
	ds_read2_b64 v[87:90], v127 offset1:1
	v_cmp_lt_u32_e32 vcc, 6, v0
	s_waitcnt lgkmcnt(0)
	buffer_store_dword v87, off, s[20:23], 0 offset:1240 ; 4-byte Folded Spill
	s_nop 0
	buffer_store_dword v88, off, s[20:23], 0 offset:1244 ; 4-byte Folded Spill
	buffer_store_dword v89, off, s[20:23], 0 offset:1248 ; 4-byte Folded Spill
	;; [unrolled: 1-line block ×3, first 2 shown]
	s_and_saveexec_b64 s[2:3], vcc
	s_cbranch_execz .LBB111_64
; %bb.63:
	buffer_load_dword v107, off, s[20:23], 0 offset:592 ; 4-byte Folded Reload
	buffer_load_dword v108, off, s[20:23], 0 offset:596 ; 4-byte Folded Reload
	;; [unrolled: 1-line block ×8, first 2 shown]
	s_waitcnt vmcnt(2)
	v_mul_f64 v[99:100], v[87:88], v[109:110]
	s_waitcnt vmcnt(0)
	v_mul_f64 v[97:98], v[89:90], v[109:110]
	v_fma_f64 v[109:110], v[89:90], v[107:108], v[99:100]
	ds_read2_b64 v[99:102], v125 offset0:14 offset1:15
	v_fma_f64 v[97:98], v[87:88], v[107:108], -v[97:98]
	buffer_load_dword v105, off, s[20:23], 0 offset:576 ; 4-byte Folded Reload
	buffer_load_dword v106, off, s[20:23], 0 offset:580 ; 4-byte Folded Reload
	buffer_load_dword v107, off, s[20:23], 0 offset:584 ; 4-byte Folded Reload
	buffer_load_dword v108, off, s[20:23], 0 offset:588 ; 4-byte Folded Reload
	s_waitcnt lgkmcnt(0)
	v_mul_f64 v[103:104], v[101:102], v[109:110]
	v_fma_f64 v[103:104], v[99:100], v[97:98], -v[103:104]
	v_mul_f64 v[99:100], v[99:100], v[109:110]
	v_fma_f64 v[99:100], v[101:102], v[97:98], v[99:100]
	s_waitcnt vmcnt(2)
	v_add_f64 v[105:106], v[105:106], -v[103:104]
	s_waitcnt vmcnt(0)
	v_add_f64 v[107:108], v[107:108], -v[99:100]
	buffer_store_dword v105, off, s[20:23], 0 offset:576 ; 4-byte Folded Spill
	s_nop 0
	buffer_store_dword v106, off, s[20:23], 0 offset:580 ; 4-byte Folded Spill
	buffer_store_dword v107, off, s[20:23], 0 offset:584 ; 4-byte Folded Spill
	buffer_store_dword v108, off, s[20:23], 0 offset:588 ; 4-byte Folded Spill
	ds_read2_b64 v[99:102], v125 offset0:16 offset1:17
	buffer_load_dword v105, off, s[20:23], 0 offset:560 ; 4-byte Folded Reload
	buffer_load_dword v106, off, s[20:23], 0 offset:564 ; 4-byte Folded Reload
	buffer_load_dword v107, off, s[20:23], 0 offset:568 ; 4-byte Folded Reload
	buffer_load_dword v108, off, s[20:23], 0 offset:572 ; 4-byte Folded Reload
	s_waitcnt lgkmcnt(0)
	v_mul_f64 v[103:104], v[101:102], v[109:110]
	v_fma_f64 v[103:104], v[99:100], v[97:98], -v[103:104]
	v_mul_f64 v[99:100], v[99:100], v[109:110]
	v_fma_f64 v[99:100], v[101:102], v[97:98], v[99:100]
	s_waitcnt vmcnt(2)
	v_add_f64 v[105:106], v[105:106], -v[103:104]
	s_waitcnt vmcnt(0)
	v_add_f64 v[107:108], v[107:108], -v[99:100]
	buffer_store_dword v105, off, s[20:23], 0 offset:560 ; 4-byte Folded Spill
	s_nop 0
	buffer_store_dword v106, off, s[20:23], 0 offset:564 ; 4-byte Folded Spill
	buffer_store_dword v107, off, s[20:23], 0 offset:568 ; 4-byte Folded Spill
	buffer_store_dword v108, off, s[20:23], 0 offset:572 ; 4-byte Folded Spill
	ds_read2_b64 v[99:102], v125 offset0:18 offset1:19
	;; [unrolled: 19-line block ×26, first 2 shown]
	v_mov_b32_e32 v108, v98
	v_mov_b32_e32 v107, v97
	s_waitcnt lgkmcnt(0)
	v_mul_f64 v[103:104], v[101:102], v[109:110]
	v_fma_f64 v[103:104], v[99:100], v[97:98], -v[103:104]
	v_mul_f64 v[99:100], v[99:100], v[109:110]
	v_add_f64 v[91:92], v[91:92], -v[103:104]
	v_fma_f64 v[99:100], v[101:102], v[97:98], v[99:100]
	v_add_f64 v[93:94], v[93:94], -v[99:100]
	ds_read2_b64 v[99:102], v125 offset0:68 offset1:69
	buffer_load_dword v77, off, s[20:23], 0 offset:160 ; 4-byte Folded Reload
	buffer_load_dword v78, off, s[20:23], 0 offset:164 ; 4-byte Folded Reload
	buffer_load_dword v79, off, s[20:23], 0 offset:168 ; 4-byte Folded Reload
	buffer_load_dword v80, off, s[20:23], 0 offset:172 ; 4-byte Folded Reload
	s_waitcnt lgkmcnt(0)
	v_mul_f64 v[103:104], v[101:102], v[109:110]
	v_fma_f64 v[103:104], v[99:100], v[97:98], -v[103:104]
	v_mul_f64 v[99:100], v[99:100], v[109:110]
	v_fma_f64 v[99:100], v[101:102], v[97:98], v[99:100]
	s_waitcnt vmcnt(2)
	v_add_f64 v[77:78], v[77:78], -v[103:104]
	s_waitcnt vmcnt(0)
	v_add_f64 v[79:80], v[79:80], -v[99:100]
	buffer_store_dword v77, off, s[20:23], 0 offset:160 ; 4-byte Folded Spill
	s_nop 0
	buffer_store_dword v78, off, s[20:23], 0 offset:164 ; 4-byte Folded Spill
	buffer_store_dword v79, off, s[20:23], 0 offset:168 ; 4-byte Folded Spill
	buffer_store_dword v80, off, s[20:23], 0 offset:172 ; 4-byte Folded Spill
	ds_read2_b64 v[99:102], v125 offset0:70 offset1:71
	buffer_load_dword v77, off, s[20:23], 0 offset:144 ; 4-byte Folded Reload
	buffer_load_dword v78, off, s[20:23], 0 offset:148 ; 4-byte Folded Reload
	buffer_load_dword v79, off, s[20:23], 0 offset:152 ; 4-byte Folded Reload
	buffer_load_dword v80, off, s[20:23], 0 offset:156 ; 4-byte Folded Reload
	s_waitcnt lgkmcnt(0)
	v_mul_f64 v[103:104], v[101:102], v[109:110]
	v_fma_f64 v[103:104], v[99:100], v[97:98], -v[103:104]
	v_mul_f64 v[99:100], v[99:100], v[109:110]
	v_fma_f64 v[99:100], v[101:102], v[97:98], v[99:100]
	s_waitcnt vmcnt(2)
	v_add_f64 v[77:78], v[77:78], -v[103:104]
	s_waitcnt vmcnt(0)
	v_add_f64 v[79:80], v[79:80], -v[99:100]
	buffer_store_dword v77, off, s[20:23], 0 offset:144 ; 4-byte Folded Spill
	s_nop 0
	buffer_store_dword v78, off, s[20:23], 0 offset:148 ; 4-byte Folded Spill
	buffer_store_dword v79, off, s[20:23], 0 offset:152 ; 4-byte Folded Spill
	buffer_store_dword v80, off, s[20:23], 0 offset:156 ; 4-byte Folded Spill
	;; [unrolled: 19-line block ×10, first 2 shown]
	ds_read2_b64 v[99:102], v125 offset0:88 offset1:89
	buffer_load_dword v41, off, s[20:23], 0 ; 4-byte Folded Reload
	buffer_load_dword v42, off, s[20:23], 0 offset:4 ; 4-byte Folded Reload
	buffer_load_dword v43, off, s[20:23], 0 offset:8 ; 4-byte Folded Reload
	buffer_load_dword v44, off, s[20:23], 0 offset:12 ; 4-byte Folded Reload
	s_waitcnt lgkmcnt(0)
	v_mul_f64 v[103:104], v[101:102], v[109:110]
	v_fma_f64 v[103:104], v[99:100], v[97:98], -v[103:104]
	v_mul_f64 v[99:100], v[99:100], v[109:110]
	v_fma_f64 v[99:100], v[101:102], v[97:98], v[99:100]
	s_waitcnt vmcnt(2)
	v_add_f64 v[41:42], v[41:42], -v[103:104]
	s_waitcnt vmcnt(0)
	v_add_f64 v[43:44], v[43:44], -v[99:100]
	buffer_store_dword v41, off, s[20:23], 0 ; 4-byte Folded Spill
	s_nop 0
	buffer_store_dword v42, off, s[20:23], 0 offset:4 ; 4-byte Folded Spill
	buffer_store_dword v43, off, s[20:23], 0 offset:8 ; 4-byte Folded Spill
	;; [unrolled: 1-line block ×3, first 2 shown]
	ds_read2_b64 v[99:102], v125 offset0:90 offset1:91
	s_waitcnt lgkmcnt(0)
	v_mul_f64 v[103:104], v[101:102], v[109:110]
	v_fma_f64 v[103:104], v[99:100], v[97:98], -v[103:104]
	v_mul_f64 v[99:100], v[99:100], v[109:110]
	v_add_f64 v[37:38], v[37:38], -v[103:104]
	v_fma_f64 v[99:100], v[101:102], v[97:98], v[99:100]
	v_add_f64 v[39:40], v[39:40], -v[99:100]
	ds_read2_b64 v[99:102], v125 offset0:92 offset1:93
	s_waitcnt lgkmcnt(0)
	v_mul_f64 v[103:104], v[101:102], v[109:110]
	v_fma_f64 v[103:104], v[99:100], v[97:98], -v[103:104]
	v_mul_f64 v[99:100], v[99:100], v[109:110]
	v_add_f64 v[33:34], v[33:34], -v[103:104]
	v_fma_f64 v[99:100], v[101:102], v[97:98], v[99:100]
	v_add_f64 v[35:36], v[35:36], -v[99:100]
	;; [unrolled: 8-line block ×9, first 2 shown]
	ds_read2_b64 v[99:102], v125 offset0:108 offset1:109
	s_waitcnt lgkmcnt(0)
	v_mul_f64 v[103:104], v[101:102], v[109:110]
	v_fma_f64 v[103:104], v[99:100], v[97:98], -v[103:104]
	v_mul_f64 v[99:100], v[99:100], v[109:110]
	v_add_f64 v[1:2], v[1:2], -v[103:104]
	v_fma_f64 v[99:100], v[101:102], v[97:98], v[99:100]
	ds_read2_b64 v[101:104], v125 offset0:110 offset1:111
	v_add_f64 v[3:4], v[3:4], -v[99:100]
	s_waitcnt lgkmcnt(0)
	v_mul_f64 v[99:100], v[103:104], v[109:110]
	v_fma_f64 v[99:100], v[101:102], v[97:98], -v[99:100]
	v_mul_f64 v[101:102], v[101:102], v[109:110]
	buffer_store_dword v107, off, s[20:23], 0 offset:592 ; 4-byte Folded Spill
	s_nop 0
	buffer_store_dword v108, off, s[20:23], 0 offset:596 ; 4-byte Folded Spill
	buffer_store_dword v109, off, s[20:23], 0 offset:600 ; 4-byte Folded Spill
	;; [unrolled: 1-line block ×3, first 2 shown]
	v_add_f64 v[121:122], v[121:122], -v[99:100]
	v_fma_f64 v[101:102], v[103:104], v[97:98], v[101:102]
	v_add_f64 v[123:124], v[123:124], -v[101:102]
.LBB111_64:
	s_or_b64 exec, exec, s[2:3]
	v_cmp_eq_u32_e32 vcc, 7, v0
	s_waitcnt vmcnt(0)
	s_barrier
	s_and_saveexec_b64 s[4:5], vcc
	s_cbranch_execz .LBB111_71
; %bb.65:
	buffer_load_dword v95, off, s[20:23], 0 offset:576 ; 4-byte Folded Reload
	buffer_load_dword v96, off, s[20:23], 0 offset:580 ; 4-byte Folded Reload
	;; [unrolled: 1-line block ×4, first 2 shown]
	s_waitcnt vmcnt(0)
	ds_write2_b64 v127, v[95:96], v[97:98] offset1:1
	buffer_load_dword v95, off, s[20:23], 0 offset:560 ; 4-byte Folded Reload
	buffer_load_dword v96, off, s[20:23], 0 offset:564 ; 4-byte Folded Reload
	buffer_load_dword v97, off, s[20:23], 0 offset:568 ; 4-byte Folded Reload
	buffer_load_dword v98, off, s[20:23], 0 offset:572 ; 4-byte Folded Reload
	s_waitcnt vmcnt(0)
	ds_write2_b64 v125, v[95:96], v[97:98] offset0:16 offset1:17
	buffer_load_dword v95, off, s[20:23], 0 offset:544 ; 4-byte Folded Reload
	buffer_load_dword v96, off, s[20:23], 0 offset:548 ; 4-byte Folded Reload
	buffer_load_dword v97, off, s[20:23], 0 offset:552 ; 4-byte Folded Reload
	buffer_load_dword v98, off, s[20:23], 0 offset:556 ; 4-byte Folded Reload
	s_waitcnt vmcnt(0)
	ds_write2_b64 v125, v[95:96], v[97:98] offset0:18 offset1:19
	;; [unrolled: 6-line block ×25, first 2 shown]
	ds_write2_b64 v125, v[91:92], v[93:94] offset0:66 offset1:67
	buffer_load_dword v77, off, s[20:23], 0 offset:160 ; 4-byte Folded Reload
	buffer_load_dword v78, off, s[20:23], 0 offset:164 ; 4-byte Folded Reload
	buffer_load_dword v79, off, s[20:23], 0 offset:168 ; 4-byte Folded Reload
	buffer_load_dword v80, off, s[20:23], 0 offset:172 ; 4-byte Folded Reload
	s_waitcnt vmcnt(0)
	ds_write2_b64 v125, v[77:78], v[79:80] offset0:68 offset1:69
	buffer_load_dword v77, off, s[20:23], 0 offset:144 ; 4-byte Folded Reload
	buffer_load_dword v78, off, s[20:23], 0 offset:148 ; 4-byte Folded Reload
	buffer_load_dword v79, off, s[20:23], 0 offset:152 ; 4-byte Folded Reload
	buffer_load_dword v80, off, s[20:23], 0 offset:156 ; 4-byte Folded Reload
	s_waitcnt vmcnt(0)
	;; [unrolled: 6-line block ×10, first 2 shown]
	ds_write2_b64 v125, v[45:46], v[47:48] offset0:86 offset1:87
	buffer_load_dword v41, off, s[20:23], 0 ; 4-byte Folded Reload
	buffer_load_dword v42, off, s[20:23], 0 offset:4 ; 4-byte Folded Reload
	buffer_load_dword v43, off, s[20:23], 0 offset:8 ; 4-byte Folded Reload
	;; [unrolled: 1-line block ×3, first 2 shown]
	s_waitcnt vmcnt(0)
	ds_write2_b64 v125, v[41:42], v[43:44] offset0:88 offset1:89
	ds_write2_b64 v125, v[37:38], v[39:40] offset0:90 offset1:91
	;; [unrolled: 1-line block ×12, first 2 shown]
	ds_read2_b64 v[97:100], v127 offset1:1
	s_waitcnt lgkmcnt(0)
	v_cmp_neq_f64_e32 vcc, 0, v[97:98]
	v_cmp_neq_f64_e64 s[2:3], 0, v[99:100]
	s_or_b64 s[2:3], vcc, s[2:3]
	s_and_b64 exec, exec, s[2:3]
	s_cbranch_execz .LBB111_71
; %bb.66:
	v_cmp_ngt_f64_e64 s[2:3], |v[97:98]|, |v[99:100]|
                                        ; implicit-def: $vgpr101_vgpr102
	s_and_saveexec_b64 s[6:7], s[2:3]
	s_xor_b64 s[2:3], exec, s[6:7]
                                        ; implicit-def: $vgpr103_vgpr104
	s_cbranch_execz .LBB111_68
; %bb.67:
	v_div_scale_f64 v[101:102], s[6:7], v[99:100], v[99:100], v[97:98]
	v_rcp_f64_e32 v[103:104], v[101:102]
	v_fma_f64 v[105:106], -v[101:102], v[103:104], 1.0
	v_fma_f64 v[103:104], v[103:104], v[105:106], v[103:104]
	v_div_scale_f64 v[105:106], vcc, v[97:98], v[99:100], v[97:98]
	v_fma_f64 v[107:108], -v[101:102], v[103:104], 1.0
	v_fma_f64 v[103:104], v[103:104], v[107:108], v[103:104]
	v_mul_f64 v[107:108], v[105:106], v[103:104]
	v_fma_f64 v[101:102], -v[101:102], v[107:108], v[105:106]
	v_div_fmas_f64 v[101:102], v[101:102], v[103:104], v[107:108]
	v_div_fixup_f64 v[101:102], v[101:102], v[99:100], v[97:98]
	v_fma_f64 v[97:98], v[97:98], v[101:102], v[99:100]
	v_div_scale_f64 v[99:100], s[6:7], v[97:98], v[97:98], 1.0
	v_div_scale_f64 v[107:108], vcc, 1.0, v[97:98], 1.0
	v_rcp_f64_e32 v[103:104], v[99:100]
	v_fma_f64 v[105:106], -v[99:100], v[103:104], 1.0
	v_fma_f64 v[103:104], v[103:104], v[105:106], v[103:104]
	v_fma_f64 v[105:106], -v[99:100], v[103:104], 1.0
	v_fma_f64 v[103:104], v[103:104], v[105:106], v[103:104]
	v_mul_f64 v[105:106], v[107:108], v[103:104]
	v_fma_f64 v[99:100], -v[99:100], v[105:106], v[107:108]
	v_div_fmas_f64 v[99:100], v[99:100], v[103:104], v[105:106]
	v_div_fixup_f64 v[103:104], v[99:100], v[97:98], 1.0
                                        ; implicit-def: $vgpr97_vgpr98
	v_mul_f64 v[101:102], v[101:102], v[103:104]
	v_xor_b32_e32 v104, 0x80000000, v104
.LBB111_68:
	s_andn2_saveexec_b64 s[2:3], s[2:3]
	s_cbranch_execz .LBB111_70
; %bb.69:
	v_div_scale_f64 v[101:102], s[6:7], v[97:98], v[97:98], v[99:100]
	v_rcp_f64_e32 v[103:104], v[101:102]
	v_fma_f64 v[105:106], -v[101:102], v[103:104], 1.0
	v_fma_f64 v[103:104], v[103:104], v[105:106], v[103:104]
	v_div_scale_f64 v[105:106], vcc, v[99:100], v[97:98], v[99:100]
	v_fma_f64 v[107:108], -v[101:102], v[103:104], 1.0
	v_fma_f64 v[103:104], v[103:104], v[107:108], v[103:104]
	v_mul_f64 v[107:108], v[105:106], v[103:104]
	v_fma_f64 v[101:102], -v[101:102], v[107:108], v[105:106]
	v_div_fmas_f64 v[101:102], v[101:102], v[103:104], v[107:108]
	v_div_fixup_f64 v[103:104], v[101:102], v[97:98], v[99:100]
	v_fma_f64 v[97:98], v[99:100], v[103:104], v[97:98]
	v_div_scale_f64 v[99:100], s[6:7], v[97:98], v[97:98], 1.0
	v_div_scale_f64 v[107:108], vcc, 1.0, v[97:98], 1.0
	v_rcp_f64_e32 v[101:102], v[99:100]
	v_fma_f64 v[105:106], -v[99:100], v[101:102], 1.0
	v_fma_f64 v[101:102], v[101:102], v[105:106], v[101:102]
	v_fma_f64 v[105:106], -v[99:100], v[101:102], 1.0
	v_fma_f64 v[101:102], v[101:102], v[105:106], v[101:102]
	v_mul_f64 v[105:106], v[107:108], v[101:102]
	v_fma_f64 v[99:100], -v[99:100], v[105:106], v[107:108]
	v_div_fmas_f64 v[99:100], v[99:100], v[101:102], v[105:106]
	v_div_fixup_f64 v[101:102], v[99:100], v[97:98], 1.0
	v_mul_f64 v[103:104], v[103:104], -v[101:102]
.LBB111_70:
	s_or_b64 exec, exec, s[2:3]
	ds_write2_b64 v127, v[101:102], v[103:104] offset1:1
.LBB111_71:
	s_or_b64 exec, exec, s[4:5]
	s_waitcnt lgkmcnt(0)
	s_barrier
	ds_read2_b64 v[87:90], v127 offset1:1
	v_cmp_lt_u32_e32 vcc, 7, v0
	s_waitcnt lgkmcnt(0)
	buffer_store_dword v87, off, s[20:23], 0 offset:1256 ; 4-byte Folded Spill
	s_nop 0
	buffer_store_dword v88, off, s[20:23], 0 offset:1260 ; 4-byte Folded Spill
	buffer_store_dword v89, off, s[20:23], 0 offset:1264 ; 4-byte Folded Spill
	;; [unrolled: 1-line block ×3, first 2 shown]
	s_and_saveexec_b64 s[2:3], vcc
	s_cbranch_execz .LBB111_73
; %bb.72:
	buffer_load_dword v107, off, s[20:23], 0 offset:576 ; 4-byte Folded Reload
	buffer_load_dword v108, off, s[20:23], 0 offset:580 ; 4-byte Folded Reload
	;; [unrolled: 1-line block ×8, first 2 shown]
	s_waitcnt vmcnt(2)
	v_mul_f64 v[99:100], v[87:88], v[109:110]
	s_waitcnt vmcnt(0)
	v_mul_f64 v[97:98], v[89:90], v[109:110]
	v_fma_f64 v[109:110], v[89:90], v[107:108], v[99:100]
	ds_read2_b64 v[99:102], v125 offset0:16 offset1:17
	v_fma_f64 v[97:98], v[87:88], v[107:108], -v[97:98]
	buffer_load_dword v105, off, s[20:23], 0 offset:560 ; 4-byte Folded Reload
	buffer_load_dword v106, off, s[20:23], 0 offset:564 ; 4-byte Folded Reload
	buffer_load_dword v107, off, s[20:23], 0 offset:568 ; 4-byte Folded Reload
	buffer_load_dword v108, off, s[20:23], 0 offset:572 ; 4-byte Folded Reload
	s_waitcnt lgkmcnt(0)
	v_mul_f64 v[103:104], v[101:102], v[109:110]
	v_fma_f64 v[103:104], v[99:100], v[97:98], -v[103:104]
	v_mul_f64 v[99:100], v[99:100], v[109:110]
	v_fma_f64 v[99:100], v[101:102], v[97:98], v[99:100]
	s_waitcnt vmcnt(2)
	v_add_f64 v[105:106], v[105:106], -v[103:104]
	s_waitcnt vmcnt(0)
	v_add_f64 v[107:108], v[107:108], -v[99:100]
	buffer_store_dword v105, off, s[20:23], 0 offset:560 ; 4-byte Folded Spill
	s_nop 0
	buffer_store_dword v106, off, s[20:23], 0 offset:564 ; 4-byte Folded Spill
	buffer_store_dword v107, off, s[20:23], 0 offset:568 ; 4-byte Folded Spill
	buffer_store_dword v108, off, s[20:23], 0 offset:572 ; 4-byte Folded Spill
	ds_read2_b64 v[99:102], v125 offset0:18 offset1:19
	buffer_load_dword v105, off, s[20:23], 0 offset:544 ; 4-byte Folded Reload
	buffer_load_dword v106, off, s[20:23], 0 offset:548 ; 4-byte Folded Reload
	buffer_load_dword v107, off, s[20:23], 0 offset:552 ; 4-byte Folded Reload
	buffer_load_dword v108, off, s[20:23], 0 offset:556 ; 4-byte Folded Reload
	s_waitcnt lgkmcnt(0)
	v_mul_f64 v[103:104], v[101:102], v[109:110]
	v_fma_f64 v[103:104], v[99:100], v[97:98], -v[103:104]
	v_mul_f64 v[99:100], v[99:100], v[109:110]
	v_fma_f64 v[99:100], v[101:102], v[97:98], v[99:100]
	s_waitcnt vmcnt(2)
	v_add_f64 v[105:106], v[105:106], -v[103:104]
	s_waitcnt vmcnt(0)
	v_add_f64 v[107:108], v[107:108], -v[99:100]
	buffer_store_dword v105, off, s[20:23], 0 offset:544 ; 4-byte Folded Spill
	s_nop 0
	buffer_store_dword v106, off, s[20:23], 0 offset:548 ; 4-byte Folded Spill
	buffer_store_dword v107, off, s[20:23], 0 offset:552 ; 4-byte Folded Spill
	buffer_store_dword v108, off, s[20:23], 0 offset:556 ; 4-byte Folded Spill
	ds_read2_b64 v[99:102], v125 offset0:20 offset1:21
	;; [unrolled: 19-line block ×25, first 2 shown]
	v_mov_b32_e32 v108, v98
	v_mov_b32_e32 v107, v97
	s_waitcnt lgkmcnt(0)
	v_mul_f64 v[103:104], v[101:102], v[109:110]
	v_fma_f64 v[103:104], v[99:100], v[97:98], -v[103:104]
	v_mul_f64 v[99:100], v[99:100], v[109:110]
	v_add_f64 v[91:92], v[91:92], -v[103:104]
	v_fma_f64 v[99:100], v[101:102], v[97:98], v[99:100]
	v_add_f64 v[93:94], v[93:94], -v[99:100]
	ds_read2_b64 v[99:102], v125 offset0:68 offset1:69
	buffer_load_dword v77, off, s[20:23], 0 offset:160 ; 4-byte Folded Reload
	buffer_load_dword v78, off, s[20:23], 0 offset:164 ; 4-byte Folded Reload
	buffer_load_dword v79, off, s[20:23], 0 offset:168 ; 4-byte Folded Reload
	buffer_load_dword v80, off, s[20:23], 0 offset:172 ; 4-byte Folded Reload
	s_waitcnt lgkmcnt(0)
	v_mul_f64 v[103:104], v[101:102], v[109:110]
	v_fma_f64 v[103:104], v[99:100], v[97:98], -v[103:104]
	v_mul_f64 v[99:100], v[99:100], v[109:110]
	v_fma_f64 v[99:100], v[101:102], v[97:98], v[99:100]
	s_waitcnt vmcnt(2)
	v_add_f64 v[77:78], v[77:78], -v[103:104]
	s_waitcnt vmcnt(0)
	v_add_f64 v[79:80], v[79:80], -v[99:100]
	buffer_store_dword v77, off, s[20:23], 0 offset:160 ; 4-byte Folded Spill
	s_nop 0
	buffer_store_dword v78, off, s[20:23], 0 offset:164 ; 4-byte Folded Spill
	buffer_store_dword v79, off, s[20:23], 0 offset:168 ; 4-byte Folded Spill
	buffer_store_dword v80, off, s[20:23], 0 offset:172 ; 4-byte Folded Spill
	ds_read2_b64 v[99:102], v125 offset0:70 offset1:71
	buffer_load_dword v77, off, s[20:23], 0 offset:144 ; 4-byte Folded Reload
	buffer_load_dword v78, off, s[20:23], 0 offset:148 ; 4-byte Folded Reload
	buffer_load_dword v79, off, s[20:23], 0 offset:152 ; 4-byte Folded Reload
	buffer_load_dword v80, off, s[20:23], 0 offset:156 ; 4-byte Folded Reload
	s_waitcnt lgkmcnt(0)
	v_mul_f64 v[103:104], v[101:102], v[109:110]
	v_fma_f64 v[103:104], v[99:100], v[97:98], -v[103:104]
	v_mul_f64 v[99:100], v[99:100], v[109:110]
	v_fma_f64 v[99:100], v[101:102], v[97:98], v[99:100]
	s_waitcnt vmcnt(2)
	v_add_f64 v[77:78], v[77:78], -v[103:104]
	s_waitcnt vmcnt(0)
	v_add_f64 v[79:80], v[79:80], -v[99:100]
	buffer_store_dword v77, off, s[20:23], 0 offset:144 ; 4-byte Folded Spill
	s_nop 0
	buffer_store_dword v78, off, s[20:23], 0 offset:148 ; 4-byte Folded Spill
	buffer_store_dword v79, off, s[20:23], 0 offset:152 ; 4-byte Folded Spill
	buffer_store_dword v80, off, s[20:23], 0 offset:156 ; 4-byte Folded Spill
	;; [unrolled: 19-line block ×10, first 2 shown]
	ds_read2_b64 v[99:102], v125 offset0:88 offset1:89
	buffer_load_dword v41, off, s[20:23], 0 ; 4-byte Folded Reload
	buffer_load_dword v42, off, s[20:23], 0 offset:4 ; 4-byte Folded Reload
	buffer_load_dword v43, off, s[20:23], 0 offset:8 ; 4-byte Folded Reload
	;; [unrolled: 1-line block ×3, first 2 shown]
	s_waitcnt lgkmcnt(0)
	v_mul_f64 v[103:104], v[101:102], v[109:110]
	v_fma_f64 v[103:104], v[99:100], v[97:98], -v[103:104]
	v_mul_f64 v[99:100], v[99:100], v[109:110]
	v_fma_f64 v[99:100], v[101:102], v[97:98], v[99:100]
	s_waitcnt vmcnt(2)
	v_add_f64 v[41:42], v[41:42], -v[103:104]
	s_waitcnt vmcnt(0)
	v_add_f64 v[43:44], v[43:44], -v[99:100]
	buffer_store_dword v41, off, s[20:23], 0 ; 4-byte Folded Spill
	s_nop 0
	buffer_store_dword v42, off, s[20:23], 0 offset:4 ; 4-byte Folded Spill
	buffer_store_dword v43, off, s[20:23], 0 offset:8 ; 4-byte Folded Spill
	buffer_store_dword v44, off, s[20:23], 0 offset:12 ; 4-byte Folded Spill
	ds_read2_b64 v[99:102], v125 offset0:90 offset1:91
	s_waitcnt lgkmcnt(0)
	v_mul_f64 v[103:104], v[101:102], v[109:110]
	v_fma_f64 v[103:104], v[99:100], v[97:98], -v[103:104]
	v_mul_f64 v[99:100], v[99:100], v[109:110]
	v_add_f64 v[37:38], v[37:38], -v[103:104]
	v_fma_f64 v[99:100], v[101:102], v[97:98], v[99:100]
	v_add_f64 v[39:40], v[39:40], -v[99:100]
	ds_read2_b64 v[99:102], v125 offset0:92 offset1:93
	s_waitcnt lgkmcnt(0)
	v_mul_f64 v[103:104], v[101:102], v[109:110]
	v_fma_f64 v[103:104], v[99:100], v[97:98], -v[103:104]
	v_mul_f64 v[99:100], v[99:100], v[109:110]
	v_add_f64 v[33:34], v[33:34], -v[103:104]
	v_fma_f64 v[99:100], v[101:102], v[97:98], v[99:100]
	v_add_f64 v[35:36], v[35:36], -v[99:100]
	ds_read2_b64 v[99:102], v125 offset0:94 offset1:95
	s_waitcnt lgkmcnt(0)
	v_mul_f64 v[103:104], v[101:102], v[109:110]
	v_fma_f64 v[103:104], v[99:100], v[97:98], -v[103:104]
	v_mul_f64 v[99:100], v[99:100], v[109:110]
	v_add_f64 v[29:30], v[29:30], -v[103:104]
	v_fma_f64 v[99:100], v[101:102], v[97:98], v[99:100]
	v_add_f64 v[31:32], v[31:32], -v[99:100]
	ds_read2_b64 v[99:102], v125 offset0:96 offset1:97
	s_waitcnt lgkmcnt(0)
	v_mul_f64 v[103:104], v[101:102], v[109:110]
	v_fma_f64 v[103:104], v[99:100], v[97:98], -v[103:104]
	v_mul_f64 v[99:100], v[99:100], v[109:110]
	v_add_f64 v[25:26], v[25:26], -v[103:104]
	v_fma_f64 v[99:100], v[101:102], v[97:98], v[99:100]
	v_add_f64 v[27:28], v[27:28], -v[99:100]
	ds_read2_b64 v[99:102], v125 offset0:98 offset1:99
	s_waitcnt lgkmcnt(0)
	v_mul_f64 v[103:104], v[101:102], v[109:110]
	v_fma_f64 v[103:104], v[99:100], v[97:98], -v[103:104]
	v_mul_f64 v[99:100], v[99:100], v[109:110]
	v_add_f64 v[21:22], v[21:22], -v[103:104]
	v_fma_f64 v[99:100], v[101:102], v[97:98], v[99:100]
	v_add_f64 v[23:24], v[23:24], -v[99:100]
	ds_read2_b64 v[99:102], v125 offset0:100 offset1:101
	s_waitcnt lgkmcnt(0)
	v_mul_f64 v[103:104], v[101:102], v[109:110]
	v_fma_f64 v[103:104], v[99:100], v[97:98], -v[103:104]
	v_mul_f64 v[99:100], v[99:100], v[109:110]
	v_add_f64 v[17:18], v[17:18], -v[103:104]
	v_fma_f64 v[99:100], v[101:102], v[97:98], v[99:100]
	v_add_f64 v[19:20], v[19:20], -v[99:100]
	ds_read2_b64 v[99:102], v125 offset0:102 offset1:103
	s_waitcnt lgkmcnt(0)
	v_mul_f64 v[103:104], v[101:102], v[109:110]
	v_fma_f64 v[103:104], v[99:100], v[97:98], -v[103:104]
	v_mul_f64 v[99:100], v[99:100], v[109:110]
	v_add_f64 v[13:14], v[13:14], -v[103:104]
	v_fma_f64 v[99:100], v[101:102], v[97:98], v[99:100]
	v_add_f64 v[15:16], v[15:16], -v[99:100]
	ds_read2_b64 v[99:102], v125 offset0:104 offset1:105
	s_waitcnt lgkmcnt(0)
	v_mul_f64 v[103:104], v[101:102], v[109:110]
	v_fma_f64 v[103:104], v[99:100], v[97:98], -v[103:104]
	v_mul_f64 v[99:100], v[99:100], v[109:110]
	v_add_f64 v[9:10], v[9:10], -v[103:104]
	v_fma_f64 v[99:100], v[101:102], v[97:98], v[99:100]
	v_add_f64 v[11:12], v[11:12], -v[99:100]
	ds_read2_b64 v[99:102], v125 offset0:106 offset1:107
	s_waitcnt lgkmcnt(0)
	v_mul_f64 v[103:104], v[101:102], v[109:110]
	v_fma_f64 v[103:104], v[99:100], v[97:98], -v[103:104]
	v_mul_f64 v[99:100], v[99:100], v[109:110]
	v_add_f64 v[5:6], v[5:6], -v[103:104]
	v_fma_f64 v[99:100], v[101:102], v[97:98], v[99:100]
	v_add_f64 v[7:8], v[7:8], -v[99:100]
	ds_read2_b64 v[99:102], v125 offset0:108 offset1:109
	s_waitcnt lgkmcnt(0)
	v_mul_f64 v[103:104], v[101:102], v[109:110]
	v_fma_f64 v[103:104], v[99:100], v[97:98], -v[103:104]
	v_mul_f64 v[99:100], v[99:100], v[109:110]
	v_add_f64 v[1:2], v[1:2], -v[103:104]
	v_fma_f64 v[99:100], v[101:102], v[97:98], v[99:100]
	ds_read2_b64 v[101:104], v125 offset0:110 offset1:111
	v_add_f64 v[3:4], v[3:4], -v[99:100]
	s_waitcnt lgkmcnt(0)
	v_mul_f64 v[99:100], v[103:104], v[109:110]
	v_fma_f64 v[99:100], v[101:102], v[97:98], -v[99:100]
	v_mul_f64 v[101:102], v[101:102], v[109:110]
	buffer_store_dword v107, off, s[20:23], 0 offset:576 ; 4-byte Folded Spill
	s_nop 0
	buffer_store_dword v108, off, s[20:23], 0 offset:580 ; 4-byte Folded Spill
	buffer_store_dword v109, off, s[20:23], 0 offset:584 ; 4-byte Folded Spill
	;; [unrolled: 1-line block ×3, first 2 shown]
	v_add_f64 v[121:122], v[121:122], -v[99:100]
	v_fma_f64 v[101:102], v[103:104], v[97:98], v[101:102]
	v_add_f64 v[123:124], v[123:124], -v[101:102]
.LBB111_73:
	s_or_b64 exec, exec, s[2:3]
	v_cmp_eq_u32_e32 vcc, 8, v0
	s_waitcnt vmcnt(0)
	s_barrier
	s_and_saveexec_b64 s[4:5], vcc
	s_cbranch_execz .LBB111_80
; %bb.74:
	buffer_load_dword v95, off, s[20:23], 0 offset:560 ; 4-byte Folded Reload
	buffer_load_dword v96, off, s[20:23], 0 offset:564 ; 4-byte Folded Reload
	;; [unrolled: 1-line block ×4, first 2 shown]
	s_waitcnt vmcnt(0)
	ds_write2_b64 v127, v[95:96], v[97:98] offset1:1
	buffer_load_dword v95, off, s[20:23], 0 offset:544 ; 4-byte Folded Reload
	buffer_load_dword v96, off, s[20:23], 0 offset:548 ; 4-byte Folded Reload
	buffer_load_dword v97, off, s[20:23], 0 offset:552 ; 4-byte Folded Reload
	buffer_load_dword v98, off, s[20:23], 0 offset:556 ; 4-byte Folded Reload
	s_waitcnt vmcnt(0)
	ds_write2_b64 v125, v[95:96], v[97:98] offset0:18 offset1:19
	buffer_load_dword v95, off, s[20:23], 0 offset:528 ; 4-byte Folded Reload
	buffer_load_dword v96, off, s[20:23], 0 offset:532 ; 4-byte Folded Reload
	buffer_load_dword v97, off, s[20:23], 0 offset:536 ; 4-byte Folded Reload
	buffer_load_dword v98, off, s[20:23], 0 offset:540 ; 4-byte Folded Reload
	s_waitcnt vmcnt(0)
	ds_write2_b64 v125, v[95:96], v[97:98] offset0:20 offset1:21
	;; [unrolled: 6-line block ×24, first 2 shown]
	ds_write2_b64 v125, v[91:92], v[93:94] offset0:66 offset1:67
	buffer_load_dword v77, off, s[20:23], 0 offset:160 ; 4-byte Folded Reload
	buffer_load_dword v78, off, s[20:23], 0 offset:164 ; 4-byte Folded Reload
	buffer_load_dword v79, off, s[20:23], 0 offset:168 ; 4-byte Folded Reload
	buffer_load_dword v80, off, s[20:23], 0 offset:172 ; 4-byte Folded Reload
	s_waitcnt vmcnt(0)
	ds_write2_b64 v125, v[77:78], v[79:80] offset0:68 offset1:69
	buffer_load_dword v77, off, s[20:23], 0 offset:144 ; 4-byte Folded Reload
	buffer_load_dword v78, off, s[20:23], 0 offset:148 ; 4-byte Folded Reload
	buffer_load_dword v79, off, s[20:23], 0 offset:152 ; 4-byte Folded Reload
	buffer_load_dword v80, off, s[20:23], 0 offset:156 ; 4-byte Folded Reload
	s_waitcnt vmcnt(0)
	;; [unrolled: 6-line block ×10, first 2 shown]
	ds_write2_b64 v125, v[45:46], v[47:48] offset0:86 offset1:87
	buffer_load_dword v41, off, s[20:23], 0 ; 4-byte Folded Reload
	buffer_load_dword v42, off, s[20:23], 0 offset:4 ; 4-byte Folded Reload
	buffer_load_dword v43, off, s[20:23], 0 offset:8 ; 4-byte Folded Reload
	;; [unrolled: 1-line block ×3, first 2 shown]
	s_waitcnt vmcnt(0)
	ds_write2_b64 v125, v[41:42], v[43:44] offset0:88 offset1:89
	ds_write2_b64 v125, v[37:38], v[39:40] offset0:90 offset1:91
	;; [unrolled: 1-line block ×12, first 2 shown]
	ds_read2_b64 v[97:100], v127 offset1:1
	s_waitcnt lgkmcnt(0)
	v_cmp_neq_f64_e32 vcc, 0, v[97:98]
	v_cmp_neq_f64_e64 s[2:3], 0, v[99:100]
	s_or_b64 s[2:3], vcc, s[2:3]
	s_and_b64 exec, exec, s[2:3]
	s_cbranch_execz .LBB111_80
; %bb.75:
	v_cmp_ngt_f64_e64 s[2:3], |v[97:98]|, |v[99:100]|
                                        ; implicit-def: $vgpr101_vgpr102
	s_and_saveexec_b64 s[6:7], s[2:3]
	s_xor_b64 s[2:3], exec, s[6:7]
                                        ; implicit-def: $vgpr103_vgpr104
	s_cbranch_execz .LBB111_77
; %bb.76:
	v_div_scale_f64 v[101:102], s[6:7], v[99:100], v[99:100], v[97:98]
	v_rcp_f64_e32 v[103:104], v[101:102]
	v_fma_f64 v[105:106], -v[101:102], v[103:104], 1.0
	v_fma_f64 v[103:104], v[103:104], v[105:106], v[103:104]
	v_div_scale_f64 v[105:106], vcc, v[97:98], v[99:100], v[97:98]
	v_fma_f64 v[107:108], -v[101:102], v[103:104], 1.0
	v_fma_f64 v[103:104], v[103:104], v[107:108], v[103:104]
	v_mul_f64 v[107:108], v[105:106], v[103:104]
	v_fma_f64 v[101:102], -v[101:102], v[107:108], v[105:106]
	v_div_fmas_f64 v[101:102], v[101:102], v[103:104], v[107:108]
	v_div_fixup_f64 v[101:102], v[101:102], v[99:100], v[97:98]
	v_fma_f64 v[97:98], v[97:98], v[101:102], v[99:100]
	v_div_scale_f64 v[99:100], s[6:7], v[97:98], v[97:98], 1.0
	v_div_scale_f64 v[107:108], vcc, 1.0, v[97:98], 1.0
	v_rcp_f64_e32 v[103:104], v[99:100]
	v_fma_f64 v[105:106], -v[99:100], v[103:104], 1.0
	v_fma_f64 v[103:104], v[103:104], v[105:106], v[103:104]
	v_fma_f64 v[105:106], -v[99:100], v[103:104], 1.0
	v_fma_f64 v[103:104], v[103:104], v[105:106], v[103:104]
	v_mul_f64 v[105:106], v[107:108], v[103:104]
	v_fma_f64 v[99:100], -v[99:100], v[105:106], v[107:108]
	v_div_fmas_f64 v[99:100], v[99:100], v[103:104], v[105:106]
	v_div_fixup_f64 v[103:104], v[99:100], v[97:98], 1.0
                                        ; implicit-def: $vgpr97_vgpr98
	v_mul_f64 v[101:102], v[101:102], v[103:104]
	v_xor_b32_e32 v104, 0x80000000, v104
.LBB111_77:
	s_andn2_saveexec_b64 s[2:3], s[2:3]
	s_cbranch_execz .LBB111_79
; %bb.78:
	v_div_scale_f64 v[101:102], s[6:7], v[97:98], v[97:98], v[99:100]
	v_rcp_f64_e32 v[103:104], v[101:102]
	v_fma_f64 v[105:106], -v[101:102], v[103:104], 1.0
	v_fma_f64 v[103:104], v[103:104], v[105:106], v[103:104]
	v_div_scale_f64 v[105:106], vcc, v[99:100], v[97:98], v[99:100]
	v_fma_f64 v[107:108], -v[101:102], v[103:104], 1.0
	v_fma_f64 v[103:104], v[103:104], v[107:108], v[103:104]
	v_mul_f64 v[107:108], v[105:106], v[103:104]
	v_fma_f64 v[101:102], -v[101:102], v[107:108], v[105:106]
	v_div_fmas_f64 v[101:102], v[101:102], v[103:104], v[107:108]
	v_div_fixup_f64 v[103:104], v[101:102], v[97:98], v[99:100]
	v_fma_f64 v[97:98], v[99:100], v[103:104], v[97:98]
	v_div_scale_f64 v[99:100], s[6:7], v[97:98], v[97:98], 1.0
	v_div_scale_f64 v[107:108], vcc, 1.0, v[97:98], 1.0
	v_rcp_f64_e32 v[101:102], v[99:100]
	v_fma_f64 v[105:106], -v[99:100], v[101:102], 1.0
	v_fma_f64 v[101:102], v[101:102], v[105:106], v[101:102]
	v_fma_f64 v[105:106], -v[99:100], v[101:102], 1.0
	v_fma_f64 v[101:102], v[101:102], v[105:106], v[101:102]
	v_mul_f64 v[105:106], v[107:108], v[101:102]
	v_fma_f64 v[99:100], -v[99:100], v[105:106], v[107:108]
	v_div_fmas_f64 v[99:100], v[99:100], v[101:102], v[105:106]
	v_div_fixup_f64 v[101:102], v[99:100], v[97:98], 1.0
	v_mul_f64 v[103:104], v[103:104], -v[101:102]
.LBB111_79:
	s_or_b64 exec, exec, s[2:3]
	ds_write2_b64 v127, v[101:102], v[103:104] offset1:1
.LBB111_80:
	s_or_b64 exec, exec, s[4:5]
	s_waitcnt lgkmcnt(0)
	s_barrier
	ds_read2_b64 v[87:90], v127 offset1:1
	v_cmp_lt_u32_e32 vcc, 8, v0
	s_waitcnt lgkmcnt(0)
	buffer_store_dword v87, off, s[20:23], 0 offset:1272 ; 4-byte Folded Spill
	s_nop 0
	buffer_store_dword v88, off, s[20:23], 0 offset:1276 ; 4-byte Folded Spill
	buffer_store_dword v89, off, s[20:23], 0 offset:1280 ; 4-byte Folded Spill
	;; [unrolled: 1-line block ×3, first 2 shown]
	s_and_saveexec_b64 s[2:3], vcc
	s_cbranch_execz .LBB111_82
; %bb.81:
	buffer_load_dword v107, off, s[20:23], 0 offset:560 ; 4-byte Folded Reload
	buffer_load_dword v108, off, s[20:23], 0 offset:564 ; 4-byte Folded Reload
	;; [unrolled: 1-line block ×8, first 2 shown]
	s_waitcnt vmcnt(2)
	v_mul_f64 v[99:100], v[87:88], v[109:110]
	s_waitcnt vmcnt(0)
	v_mul_f64 v[97:98], v[89:90], v[109:110]
	v_fma_f64 v[109:110], v[89:90], v[107:108], v[99:100]
	ds_read2_b64 v[99:102], v125 offset0:18 offset1:19
	v_fma_f64 v[97:98], v[87:88], v[107:108], -v[97:98]
	buffer_load_dword v105, off, s[20:23], 0 offset:544 ; 4-byte Folded Reload
	buffer_load_dword v106, off, s[20:23], 0 offset:548 ; 4-byte Folded Reload
	buffer_load_dword v107, off, s[20:23], 0 offset:552 ; 4-byte Folded Reload
	buffer_load_dword v108, off, s[20:23], 0 offset:556 ; 4-byte Folded Reload
	s_waitcnt lgkmcnt(0)
	v_mul_f64 v[103:104], v[101:102], v[109:110]
	v_fma_f64 v[103:104], v[99:100], v[97:98], -v[103:104]
	v_mul_f64 v[99:100], v[99:100], v[109:110]
	v_fma_f64 v[99:100], v[101:102], v[97:98], v[99:100]
	s_waitcnt vmcnt(2)
	v_add_f64 v[105:106], v[105:106], -v[103:104]
	s_waitcnt vmcnt(0)
	v_add_f64 v[107:108], v[107:108], -v[99:100]
	buffer_store_dword v105, off, s[20:23], 0 offset:544 ; 4-byte Folded Spill
	s_nop 0
	buffer_store_dword v106, off, s[20:23], 0 offset:548 ; 4-byte Folded Spill
	buffer_store_dword v107, off, s[20:23], 0 offset:552 ; 4-byte Folded Spill
	buffer_store_dword v108, off, s[20:23], 0 offset:556 ; 4-byte Folded Spill
	ds_read2_b64 v[99:102], v125 offset0:20 offset1:21
	buffer_load_dword v105, off, s[20:23], 0 offset:528 ; 4-byte Folded Reload
	buffer_load_dword v106, off, s[20:23], 0 offset:532 ; 4-byte Folded Reload
	buffer_load_dword v107, off, s[20:23], 0 offset:536 ; 4-byte Folded Reload
	buffer_load_dword v108, off, s[20:23], 0 offset:540 ; 4-byte Folded Reload
	s_waitcnt lgkmcnt(0)
	v_mul_f64 v[103:104], v[101:102], v[109:110]
	v_fma_f64 v[103:104], v[99:100], v[97:98], -v[103:104]
	v_mul_f64 v[99:100], v[99:100], v[109:110]
	v_fma_f64 v[99:100], v[101:102], v[97:98], v[99:100]
	s_waitcnt vmcnt(2)
	v_add_f64 v[105:106], v[105:106], -v[103:104]
	s_waitcnt vmcnt(0)
	v_add_f64 v[107:108], v[107:108], -v[99:100]
	buffer_store_dword v105, off, s[20:23], 0 offset:528 ; 4-byte Folded Spill
	s_nop 0
	buffer_store_dword v106, off, s[20:23], 0 offset:532 ; 4-byte Folded Spill
	buffer_store_dword v107, off, s[20:23], 0 offset:536 ; 4-byte Folded Spill
	buffer_store_dword v108, off, s[20:23], 0 offset:540 ; 4-byte Folded Spill
	ds_read2_b64 v[99:102], v125 offset0:22 offset1:23
	;; [unrolled: 19-line block ×24, first 2 shown]
	v_mov_b32_e32 v108, v98
	v_mov_b32_e32 v107, v97
	s_waitcnt lgkmcnt(0)
	v_mul_f64 v[103:104], v[101:102], v[109:110]
	v_fma_f64 v[103:104], v[99:100], v[97:98], -v[103:104]
	v_mul_f64 v[99:100], v[99:100], v[109:110]
	v_add_f64 v[91:92], v[91:92], -v[103:104]
	v_fma_f64 v[99:100], v[101:102], v[97:98], v[99:100]
	v_add_f64 v[93:94], v[93:94], -v[99:100]
	ds_read2_b64 v[99:102], v125 offset0:68 offset1:69
	buffer_load_dword v77, off, s[20:23], 0 offset:160 ; 4-byte Folded Reload
	buffer_load_dword v78, off, s[20:23], 0 offset:164 ; 4-byte Folded Reload
	buffer_load_dword v79, off, s[20:23], 0 offset:168 ; 4-byte Folded Reload
	buffer_load_dword v80, off, s[20:23], 0 offset:172 ; 4-byte Folded Reload
	s_waitcnt lgkmcnt(0)
	v_mul_f64 v[103:104], v[101:102], v[109:110]
	v_fma_f64 v[103:104], v[99:100], v[97:98], -v[103:104]
	v_mul_f64 v[99:100], v[99:100], v[109:110]
	v_fma_f64 v[99:100], v[101:102], v[97:98], v[99:100]
	s_waitcnt vmcnt(2)
	v_add_f64 v[77:78], v[77:78], -v[103:104]
	s_waitcnt vmcnt(0)
	v_add_f64 v[79:80], v[79:80], -v[99:100]
	buffer_store_dword v77, off, s[20:23], 0 offset:160 ; 4-byte Folded Spill
	s_nop 0
	buffer_store_dword v78, off, s[20:23], 0 offset:164 ; 4-byte Folded Spill
	buffer_store_dword v79, off, s[20:23], 0 offset:168 ; 4-byte Folded Spill
	buffer_store_dword v80, off, s[20:23], 0 offset:172 ; 4-byte Folded Spill
	ds_read2_b64 v[99:102], v125 offset0:70 offset1:71
	buffer_load_dword v77, off, s[20:23], 0 offset:144 ; 4-byte Folded Reload
	buffer_load_dword v78, off, s[20:23], 0 offset:148 ; 4-byte Folded Reload
	buffer_load_dword v79, off, s[20:23], 0 offset:152 ; 4-byte Folded Reload
	buffer_load_dword v80, off, s[20:23], 0 offset:156 ; 4-byte Folded Reload
	s_waitcnt lgkmcnt(0)
	v_mul_f64 v[103:104], v[101:102], v[109:110]
	v_fma_f64 v[103:104], v[99:100], v[97:98], -v[103:104]
	v_mul_f64 v[99:100], v[99:100], v[109:110]
	v_fma_f64 v[99:100], v[101:102], v[97:98], v[99:100]
	s_waitcnt vmcnt(2)
	v_add_f64 v[77:78], v[77:78], -v[103:104]
	s_waitcnt vmcnt(0)
	v_add_f64 v[79:80], v[79:80], -v[99:100]
	buffer_store_dword v77, off, s[20:23], 0 offset:144 ; 4-byte Folded Spill
	s_nop 0
	buffer_store_dword v78, off, s[20:23], 0 offset:148 ; 4-byte Folded Spill
	buffer_store_dword v79, off, s[20:23], 0 offset:152 ; 4-byte Folded Spill
	buffer_store_dword v80, off, s[20:23], 0 offset:156 ; 4-byte Folded Spill
	;; [unrolled: 19-line block ×10, first 2 shown]
	ds_read2_b64 v[99:102], v125 offset0:88 offset1:89
	buffer_load_dword v41, off, s[20:23], 0 ; 4-byte Folded Reload
	buffer_load_dword v42, off, s[20:23], 0 offset:4 ; 4-byte Folded Reload
	buffer_load_dword v43, off, s[20:23], 0 offset:8 ; 4-byte Folded Reload
	;; [unrolled: 1-line block ×3, first 2 shown]
	s_waitcnt lgkmcnt(0)
	v_mul_f64 v[103:104], v[101:102], v[109:110]
	v_fma_f64 v[103:104], v[99:100], v[97:98], -v[103:104]
	v_mul_f64 v[99:100], v[99:100], v[109:110]
	v_fma_f64 v[99:100], v[101:102], v[97:98], v[99:100]
	s_waitcnt vmcnt(2)
	v_add_f64 v[41:42], v[41:42], -v[103:104]
	s_waitcnt vmcnt(0)
	v_add_f64 v[43:44], v[43:44], -v[99:100]
	buffer_store_dword v41, off, s[20:23], 0 ; 4-byte Folded Spill
	s_nop 0
	buffer_store_dword v42, off, s[20:23], 0 offset:4 ; 4-byte Folded Spill
	buffer_store_dword v43, off, s[20:23], 0 offset:8 ; 4-byte Folded Spill
	;; [unrolled: 1-line block ×3, first 2 shown]
	ds_read2_b64 v[99:102], v125 offset0:90 offset1:91
	s_waitcnt lgkmcnt(0)
	v_mul_f64 v[103:104], v[101:102], v[109:110]
	v_fma_f64 v[103:104], v[99:100], v[97:98], -v[103:104]
	v_mul_f64 v[99:100], v[99:100], v[109:110]
	v_add_f64 v[37:38], v[37:38], -v[103:104]
	v_fma_f64 v[99:100], v[101:102], v[97:98], v[99:100]
	v_add_f64 v[39:40], v[39:40], -v[99:100]
	ds_read2_b64 v[99:102], v125 offset0:92 offset1:93
	s_waitcnt lgkmcnt(0)
	v_mul_f64 v[103:104], v[101:102], v[109:110]
	v_fma_f64 v[103:104], v[99:100], v[97:98], -v[103:104]
	v_mul_f64 v[99:100], v[99:100], v[109:110]
	v_add_f64 v[33:34], v[33:34], -v[103:104]
	v_fma_f64 v[99:100], v[101:102], v[97:98], v[99:100]
	v_add_f64 v[35:36], v[35:36], -v[99:100]
	;; [unrolled: 8-line block ×9, first 2 shown]
	ds_read2_b64 v[99:102], v125 offset0:108 offset1:109
	s_waitcnt lgkmcnt(0)
	v_mul_f64 v[103:104], v[101:102], v[109:110]
	v_fma_f64 v[103:104], v[99:100], v[97:98], -v[103:104]
	v_mul_f64 v[99:100], v[99:100], v[109:110]
	v_add_f64 v[1:2], v[1:2], -v[103:104]
	v_fma_f64 v[99:100], v[101:102], v[97:98], v[99:100]
	ds_read2_b64 v[101:104], v125 offset0:110 offset1:111
	v_add_f64 v[3:4], v[3:4], -v[99:100]
	s_waitcnt lgkmcnt(0)
	v_mul_f64 v[99:100], v[103:104], v[109:110]
	v_fma_f64 v[99:100], v[101:102], v[97:98], -v[99:100]
	v_mul_f64 v[101:102], v[101:102], v[109:110]
	buffer_store_dword v107, off, s[20:23], 0 offset:560 ; 4-byte Folded Spill
	s_nop 0
	buffer_store_dword v108, off, s[20:23], 0 offset:564 ; 4-byte Folded Spill
	buffer_store_dword v109, off, s[20:23], 0 offset:568 ; 4-byte Folded Spill
	;; [unrolled: 1-line block ×3, first 2 shown]
	v_add_f64 v[121:122], v[121:122], -v[99:100]
	v_fma_f64 v[101:102], v[103:104], v[97:98], v[101:102]
	v_add_f64 v[123:124], v[123:124], -v[101:102]
.LBB111_82:
	s_or_b64 exec, exec, s[2:3]
	v_cmp_eq_u32_e32 vcc, 9, v0
	s_waitcnt vmcnt(0)
	s_barrier
	s_and_saveexec_b64 s[4:5], vcc
	s_cbranch_execz .LBB111_89
; %bb.83:
	buffer_load_dword v95, off, s[20:23], 0 offset:544 ; 4-byte Folded Reload
	buffer_load_dword v96, off, s[20:23], 0 offset:548 ; 4-byte Folded Reload
	;; [unrolled: 1-line block ×4, first 2 shown]
	s_waitcnt vmcnt(0)
	ds_write2_b64 v127, v[95:96], v[97:98] offset1:1
	buffer_load_dword v95, off, s[20:23], 0 offset:528 ; 4-byte Folded Reload
	buffer_load_dword v96, off, s[20:23], 0 offset:532 ; 4-byte Folded Reload
	buffer_load_dword v97, off, s[20:23], 0 offset:536 ; 4-byte Folded Reload
	buffer_load_dword v98, off, s[20:23], 0 offset:540 ; 4-byte Folded Reload
	s_waitcnt vmcnt(0)
	ds_write2_b64 v125, v[95:96], v[97:98] offset0:20 offset1:21
	buffer_load_dword v95, off, s[20:23], 0 offset:512 ; 4-byte Folded Reload
	buffer_load_dword v96, off, s[20:23], 0 offset:516 ; 4-byte Folded Reload
	buffer_load_dword v97, off, s[20:23], 0 offset:520 ; 4-byte Folded Reload
	buffer_load_dword v98, off, s[20:23], 0 offset:524 ; 4-byte Folded Reload
	s_waitcnt vmcnt(0)
	ds_write2_b64 v125, v[95:96], v[97:98] offset0:22 offset1:23
	;; [unrolled: 6-line block ×23, first 2 shown]
	ds_write2_b64 v125, v[91:92], v[93:94] offset0:66 offset1:67
	buffer_load_dword v77, off, s[20:23], 0 offset:160 ; 4-byte Folded Reload
	buffer_load_dword v78, off, s[20:23], 0 offset:164 ; 4-byte Folded Reload
	buffer_load_dword v79, off, s[20:23], 0 offset:168 ; 4-byte Folded Reload
	buffer_load_dword v80, off, s[20:23], 0 offset:172 ; 4-byte Folded Reload
	s_waitcnt vmcnt(0)
	ds_write2_b64 v125, v[77:78], v[79:80] offset0:68 offset1:69
	buffer_load_dword v77, off, s[20:23], 0 offset:144 ; 4-byte Folded Reload
	buffer_load_dword v78, off, s[20:23], 0 offset:148 ; 4-byte Folded Reload
	buffer_load_dword v79, off, s[20:23], 0 offset:152 ; 4-byte Folded Reload
	buffer_load_dword v80, off, s[20:23], 0 offset:156 ; 4-byte Folded Reload
	s_waitcnt vmcnt(0)
	;; [unrolled: 6-line block ×10, first 2 shown]
	ds_write2_b64 v125, v[45:46], v[47:48] offset0:86 offset1:87
	buffer_load_dword v41, off, s[20:23], 0 ; 4-byte Folded Reload
	buffer_load_dword v42, off, s[20:23], 0 offset:4 ; 4-byte Folded Reload
	buffer_load_dword v43, off, s[20:23], 0 offset:8 ; 4-byte Folded Reload
	;; [unrolled: 1-line block ×3, first 2 shown]
	s_waitcnt vmcnt(0)
	ds_write2_b64 v125, v[41:42], v[43:44] offset0:88 offset1:89
	ds_write2_b64 v125, v[37:38], v[39:40] offset0:90 offset1:91
	;; [unrolled: 1-line block ×12, first 2 shown]
	ds_read2_b64 v[97:100], v127 offset1:1
	s_waitcnt lgkmcnt(0)
	v_cmp_neq_f64_e32 vcc, 0, v[97:98]
	v_cmp_neq_f64_e64 s[2:3], 0, v[99:100]
	s_or_b64 s[2:3], vcc, s[2:3]
	s_and_b64 exec, exec, s[2:3]
	s_cbranch_execz .LBB111_89
; %bb.84:
	v_cmp_ngt_f64_e64 s[2:3], |v[97:98]|, |v[99:100]|
                                        ; implicit-def: $vgpr101_vgpr102
	s_and_saveexec_b64 s[6:7], s[2:3]
	s_xor_b64 s[2:3], exec, s[6:7]
                                        ; implicit-def: $vgpr103_vgpr104
	s_cbranch_execz .LBB111_86
; %bb.85:
	v_div_scale_f64 v[101:102], s[6:7], v[99:100], v[99:100], v[97:98]
	v_rcp_f64_e32 v[103:104], v[101:102]
	v_fma_f64 v[105:106], -v[101:102], v[103:104], 1.0
	v_fma_f64 v[103:104], v[103:104], v[105:106], v[103:104]
	v_div_scale_f64 v[105:106], vcc, v[97:98], v[99:100], v[97:98]
	v_fma_f64 v[107:108], -v[101:102], v[103:104], 1.0
	v_fma_f64 v[103:104], v[103:104], v[107:108], v[103:104]
	v_mul_f64 v[107:108], v[105:106], v[103:104]
	v_fma_f64 v[101:102], -v[101:102], v[107:108], v[105:106]
	v_div_fmas_f64 v[101:102], v[101:102], v[103:104], v[107:108]
	v_div_fixup_f64 v[101:102], v[101:102], v[99:100], v[97:98]
	v_fma_f64 v[97:98], v[97:98], v[101:102], v[99:100]
	v_div_scale_f64 v[99:100], s[6:7], v[97:98], v[97:98], 1.0
	v_div_scale_f64 v[107:108], vcc, 1.0, v[97:98], 1.0
	v_rcp_f64_e32 v[103:104], v[99:100]
	v_fma_f64 v[105:106], -v[99:100], v[103:104], 1.0
	v_fma_f64 v[103:104], v[103:104], v[105:106], v[103:104]
	v_fma_f64 v[105:106], -v[99:100], v[103:104], 1.0
	v_fma_f64 v[103:104], v[103:104], v[105:106], v[103:104]
	v_mul_f64 v[105:106], v[107:108], v[103:104]
	v_fma_f64 v[99:100], -v[99:100], v[105:106], v[107:108]
	v_div_fmas_f64 v[99:100], v[99:100], v[103:104], v[105:106]
	v_div_fixup_f64 v[103:104], v[99:100], v[97:98], 1.0
                                        ; implicit-def: $vgpr97_vgpr98
	v_mul_f64 v[101:102], v[101:102], v[103:104]
	v_xor_b32_e32 v104, 0x80000000, v104
.LBB111_86:
	s_andn2_saveexec_b64 s[2:3], s[2:3]
	s_cbranch_execz .LBB111_88
; %bb.87:
	v_div_scale_f64 v[101:102], s[6:7], v[97:98], v[97:98], v[99:100]
	v_rcp_f64_e32 v[103:104], v[101:102]
	v_fma_f64 v[105:106], -v[101:102], v[103:104], 1.0
	v_fma_f64 v[103:104], v[103:104], v[105:106], v[103:104]
	v_div_scale_f64 v[105:106], vcc, v[99:100], v[97:98], v[99:100]
	v_fma_f64 v[107:108], -v[101:102], v[103:104], 1.0
	v_fma_f64 v[103:104], v[103:104], v[107:108], v[103:104]
	v_mul_f64 v[107:108], v[105:106], v[103:104]
	v_fma_f64 v[101:102], -v[101:102], v[107:108], v[105:106]
	v_div_fmas_f64 v[101:102], v[101:102], v[103:104], v[107:108]
	v_div_fixup_f64 v[103:104], v[101:102], v[97:98], v[99:100]
	v_fma_f64 v[97:98], v[99:100], v[103:104], v[97:98]
	v_div_scale_f64 v[99:100], s[6:7], v[97:98], v[97:98], 1.0
	v_div_scale_f64 v[107:108], vcc, 1.0, v[97:98], 1.0
	v_rcp_f64_e32 v[101:102], v[99:100]
	v_fma_f64 v[105:106], -v[99:100], v[101:102], 1.0
	v_fma_f64 v[101:102], v[101:102], v[105:106], v[101:102]
	v_fma_f64 v[105:106], -v[99:100], v[101:102], 1.0
	v_fma_f64 v[101:102], v[101:102], v[105:106], v[101:102]
	v_mul_f64 v[105:106], v[107:108], v[101:102]
	v_fma_f64 v[99:100], -v[99:100], v[105:106], v[107:108]
	v_div_fmas_f64 v[99:100], v[99:100], v[101:102], v[105:106]
	v_div_fixup_f64 v[101:102], v[99:100], v[97:98], 1.0
	v_mul_f64 v[103:104], v[103:104], -v[101:102]
.LBB111_88:
	s_or_b64 exec, exec, s[2:3]
	ds_write2_b64 v127, v[101:102], v[103:104] offset1:1
.LBB111_89:
	s_or_b64 exec, exec, s[4:5]
	s_waitcnt lgkmcnt(0)
	s_barrier
	ds_read2_b64 v[87:90], v127 offset1:1
	v_cmp_lt_u32_e32 vcc, 9, v0
	s_waitcnt lgkmcnt(0)
	buffer_store_dword v87, off, s[20:23], 0 offset:1288 ; 4-byte Folded Spill
	s_nop 0
	buffer_store_dword v88, off, s[20:23], 0 offset:1292 ; 4-byte Folded Spill
	buffer_store_dword v89, off, s[20:23], 0 offset:1296 ; 4-byte Folded Spill
	;; [unrolled: 1-line block ×3, first 2 shown]
	s_and_saveexec_b64 s[2:3], vcc
	s_cbranch_execz .LBB111_91
; %bb.90:
	buffer_load_dword v107, off, s[20:23], 0 offset:544 ; 4-byte Folded Reload
	buffer_load_dword v108, off, s[20:23], 0 offset:548 ; 4-byte Folded Reload
	;; [unrolled: 1-line block ×8, first 2 shown]
	s_waitcnt vmcnt(2)
	v_mul_f64 v[99:100], v[87:88], v[109:110]
	s_waitcnt vmcnt(0)
	v_mul_f64 v[97:98], v[89:90], v[109:110]
	v_fma_f64 v[109:110], v[89:90], v[107:108], v[99:100]
	ds_read2_b64 v[99:102], v125 offset0:20 offset1:21
	v_fma_f64 v[97:98], v[87:88], v[107:108], -v[97:98]
	buffer_load_dword v105, off, s[20:23], 0 offset:528 ; 4-byte Folded Reload
	buffer_load_dword v106, off, s[20:23], 0 offset:532 ; 4-byte Folded Reload
	buffer_load_dword v107, off, s[20:23], 0 offset:536 ; 4-byte Folded Reload
	buffer_load_dword v108, off, s[20:23], 0 offset:540 ; 4-byte Folded Reload
	s_waitcnt lgkmcnt(0)
	v_mul_f64 v[103:104], v[101:102], v[109:110]
	v_fma_f64 v[103:104], v[99:100], v[97:98], -v[103:104]
	v_mul_f64 v[99:100], v[99:100], v[109:110]
	v_fma_f64 v[99:100], v[101:102], v[97:98], v[99:100]
	s_waitcnt vmcnt(2)
	v_add_f64 v[105:106], v[105:106], -v[103:104]
	s_waitcnt vmcnt(0)
	v_add_f64 v[107:108], v[107:108], -v[99:100]
	buffer_store_dword v105, off, s[20:23], 0 offset:528 ; 4-byte Folded Spill
	s_nop 0
	buffer_store_dword v106, off, s[20:23], 0 offset:532 ; 4-byte Folded Spill
	buffer_store_dword v107, off, s[20:23], 0 offset:536 ; 4-byte Folded Spill
	buffer_store_dword v108, off, s[20:23], 0 offset:540 ; 4-byte Folded Spill
	ds_read2_b64 v[99:102], v125 offset0:22 offset1:23
	buffer_load_dword v105, off, s[20:23], 0 offset:512 ; 4-byte Folded Reload
	buffer_load_dword v106, off, s[20:23], 0 offset:516 ; 4-byte Folded Reload
	buffer_load_dword v107, off, s[20:23], 0 offset:520 ; 4-byte Folded Reload
	buffer_load_dword v108, off, s[20:23], 0 offset:524 ; 4-byte Folded Reload
	s_waitcnt lgkmcnt(0)
	v_mul_f64 v[103:104], v[101:102], v[109:110]
	v_fma_f64 v[103:104], v[99:100], v[97:98], -v[103:104]
	v_mul_f64 v[99:100], v[99:100], v[109:110]
	v_fma_f64 v[99:100], v[101:102], v[97:98], v[99:100]
	s_waitcnt vmcnt(2)
	v_add_f64 v[105:106], v[105:106], -v[103:104]
	s_waitcnt vmcnt(0)
	v_add_f64 v[107:108], v[107:108], -v[99:100]
	buffer_store_dword v105, off, s[20:23], 0 offset:512 ; 4-byte Folded Spill
	s_nop 0
	buffer_store_dword v106, off, s[20:23], 0 offset:516 ; 4-byte Folded Spill
	buffer_store_dword v107, off, s[20:23], 0 offset:520 ; 4-byte Folded Spill
	buffer_store_dword v108, off, s[20:23], 0 offset:524 ; 4-byte Folded Spill
	ds_read2_b64 v[99:102], v125 offset0:24 offset1:25
	buffer_load_dword v105, off, s[20:23], 0 offset:496 ; 4-byte Folded Reload
	buffer_load_dword v106, off, s[20:23], 0 offset:500 ; 4-byte Folded Reload
	buffer_load_dword v107, off, s[20:23], 0 offset:504 ; 4-byte Folded Reload
	buffer_load_dword v108, off, s[20:23], 0 offset:508 ; 4-byte Folded Reload
	s_waitcnt lgkmcnt(0)
	v_mul_f64 v[103:104], v[101:102], v[109:110]
	v_fma_f64 v[103:104], v[99:100], v[97:98], -v[103:104]
	v_mul_f64 v[99:100], v[99:100], v[109:110]
	v_fma_f64 v[99:100], v[101:102], v[97:98], v[99:100]
	s_waitcnt vmcnt(2)
	v_add_f64 v[105:106], v[105:106], -v[103:104]
	s_waitcnt vmcnt(0)
	v_add_f64 v[107:108], v[107:108], -v[99:100]
	buffer_store_dword v105, off, s[20:23], 0 offset:496 ; 4-byte Folded Spill
	s_nop 0
	buffer_store_dword v106, off, s[20:23], 0 offset:500 ; 4-byte Folded Spill
	buffer_store_dword v107, off, s[20:23], 0 offset:504 ; 4-byte Folded Spill
	buffer_store_dword v108, off, s[20:23], 0 offset:508 ; 4-byte Folded Spill
	ds_read2_b64 v[99:102], v125 offset0:26 offset1:27
	buffer_load_dword v105, off, s[20:23], 0 offset:480 ; 4-byte Folded Reload
	buffer_load_dword v106, off, s[20:23], 0 offset:484 ; 4-byte Folded Reload
	buffer_load_dword v107, off, s[20:23], 0 offset:488 ; 4-byte Folded Reload
	buffer_load_dword v108, off, s[20:23], 0 offset:492 ; 4-byte Folded Reload
	s_waitcnt lgkmcnt(0)
	v_mul_f64 v[103:104], v[101:102], v[109:110]
	v_fma_f64 v[103:104], v[99:100], v[97:98], -v[103:104]
	v_mul_f64 v[99:100], v[99:100], v[109:110]
	v_fma_f64 v[99:100], v[101:102], v[97:98], v[99:100]
	s_waitcnt vmcnt(2)
	v_add_f64 v[105:106], v[105:106], -v[103:104]
	s_waitcnt vmcnt(0)
	v_add_f64 v[107:108], v[107:108], -v[99:100]
	buffer_store_dword v105, off, s[20:23], 0 offset:480 ; 4-byte Folded Spill
	s_nop 0
	buffer_store_dword v106, off, s[20:23], 0 offset:484 ; 4-byte Folded Spill
	buffer_store_dword v107, off, s[20:23], 0 offset:488 ; 4-byte Folded Spill
	buffer_store_dword v108, off, s[20:23], 0 offset:492 ; 4-byte Folded Spill
	ds_read2_b64 v[99:102], v125 offset0:28 offset1:29
	buffer_load_dword v105, off, s[20:23], 0 offset:464 ; 4-byte Folded Reload
	buffer_load_dword v106, off, s[20:23], 0 offset:468 ; 4-byte Folded Reload
	buffer_load_dword v107, off, s[20:23], 0 offset:472 ; 4-byte Folded Reload
	buffer_load_dword v108, off, s[20:23], 0 offset:476 ; 4-byte Folded Reload
	s_waitcnt lgkmcnt(0)
	v_mul_f64 v[103:104], v[101:102], v[109:110]
	v_fma_f64 v[103:104], v[99:100], v[97:98], -v[103:104]
	v_mul_f64 v[99:100], v[99:100], v[109:110]
	v_fma_f64 v[99:100], v[101:102], v[97:98], v[99:100]
	s_waitcnt vmcnt(2)
	v_add_f64 v[105:106], v[105:106], -v[103:104]
	s_waitcnt vmcnt(0)
	v_add_f64 v[107:108], v[107:108], -v[99:100]
	buffer_store_dword v105, off, s[20:23], 0 offset:464 ; 4-byte Folded Spill
	s_nop 0
	buffer_store_dword v106, off, s[20:23], 0 offset:468 ; 4-byte Folded Spill
	buffer_store_dword v107, off, s[20:23], 0 offset:472 ; 4-byte Folded Spill
	buffer_store_dword v108, off, s[20:23], 0 offset:476 ; 4-byte Folded Spill
	ds_read2_b64 v[99:102], v125 offset0:30 offset1:31
	buffer_load_dword v105, off, s[20:23], 0 offset:448 ; 4-byte Folded Reload
	buffer_load_dword v106, off, s[20:23], 0 offset:452 ; 4-byte Folded Reload
	buffer_load_dword v107, off, s[20:23], 0 offset:456 ; 4-byte Folded Reload
	buffer_load_dword v108, off, s[20:23], 0 offset:460 ; 4-byte Folded Reload
	s_waitcnt lgkmcnt(0)
	v_mul_f64 v[103:104], v[101:102], v[109:110]
	v_fma_f64 v[103:104], v[99:100], v[97:98], -v[103:104]
	v_mul_f64 v[99:100], v[99:100], v[109:110]
	v_fma_f64 v[99:100], v[101:102], v[97:98], v[99:100]
	s_waitcnt vmcnt(2)
	v_add_f64 v[105:106], v[105:106], -v[103:104]
	s_waitcnt vmcnt(0)
	v_add_f64 v[107:108], v[107:108], -v[99:100]
	buffer_store_dword v105, off, s[20:23], 0 offset:448 ; 4-byte Folded Spill
	s_nop 0
	buffer_store_dword v106, off, s[20:23], 0 offset:452 ; 4-byte Folded Spill
	buffer_store_dword v107, off, s[20:23], 0 offset:456 ; 4-byte Folded Spill
	buffer_store_dword v108, off, s[20:23], 0 offset:460 ; 4-byte Folded Spill
	ds_read2_b64 v[99:102], v125 offset0:32 offset1:33
	buffer_load_dword v105, off, s[20:23], 0 offset:432 ; 4-byte Folded Reload
	buffer_load_dword v106, off, s[20:23], 0 offset:436 ; 4-byte Folded Reload
	buffer_load_dword v107, off, s[20:23], 0 offset:440 ; 4-byte Folded Reload
	buffer_load_dword v108, off, s[20:23], 0 offset:444 ; 4-byte Folded Reload
	s_waitcnt lgkmcnt(0)
	v_mul_f64 v[103:104], v[101:102], v[109:110]
	v_fma_f64 v[103:104], v[99:100], v[97:98], -v[103:104]
	v_mul_f64 v[99:100], v[99:100], v[109:110]
	v_fma_f64 v[99:100], v[101:102], v[97:98], v[99:100]
	s_waitcnt vmcnt(2)
	v_add_f64 v[105:106], v[105:106], -v[103:104]
	s_waitcnt vmcnt(0)
	v_add_f64 v[107:108], v[107:108], -v[99:100]
	buffer_store_dword v105, off, s[20:23], 0 offset:432 ; 4-byte Folded Spill
	s_nop 0
	buffer_store_dword v106, off, s[20:23], 0 offset:436 ; 4-byte Folded Spill
	buffer_store_dword v107, off, s[20:23], 0 offset:440 ; 4-byte Folded Spill
	buffer_store_dword v108, off, s[20:23], 0 offset:444 ; 4-byte Folded Spill
	ds_read2_b64 v[99:102], v125 offset0:34 offset1:35
	buffer_load_dword v105, off, s[20:23], 0 offset:416 ; 4-byte Folded Reload
	buffer_load_dword v106, off, s[20:23], 0 offset:420 ; 4-byte Folded Reload
	buffer_load_dword v107, off, s[20:23], 0 offset:424 ; 4-byte Folded Reload
	buffer_load_dword v108, off, s[20:23], 0 offset:428 ; 4-byte Folded Reload
	s_waitcnt lgkmcnt(0)
	v_mul_f64 v[103:104], v[101:102], v[109:110]
	v_fma_f64 v[103:104], v[99:100], v[97:98], -v[103:104]
	v_mul_f64 v[99:100], v[99:100], v[109:110]
	v_fma_f64 v[99:100], v[101:102], v[97:98], v[99:100]
	s_waitcnt vmcnt(2)
	v_add_f64 v[105:106], v[105:106], -v[103:104]
	s_waitcnt vmcnt(0)
	v_add_f64 v[107:108], v[107:108], -v[99:100]
	buffer_store_dword v105, off, s[20:23], 0 offset:416 ; 4-byte Folded Spill
	s_nop 0
	buffer_store_dword v106, off, s[20:23], 0 offset:420 ; 4-byte Folded Spill
	buffer_store_dword v107, off, s[20:23], 0 offset:424 ; 4-byte Folded Spill
	buffer_store_dword v108, off, s[20:23], 0 offset:428 ; 4-byte Folded Spill
	ds_read2_b64 v[99:102], v125 offset0:36 offset1:37
	buffer_load_dword v105, off, s[20:23], 0 offset:400 ; 4-byte Folded Reload
	buffer_load_dword v106, off, s[20:23], 0 offset:404 ; 4-byte Folded Reload
	buffer_load_dword v107, off, s[20:23], 0 offset:408 ; 4-byte Folded Reload
	buffer_load_dword v108, off, s[20:23], 0 offset:412 ; 4-byte Folded Reload
	s_waitcnt lgkmcnt(0)
	v_mul_f64 v[103:104], v[101:102], v[109:110]
	v_fma_f64 v[103:104], v[99:100], v[97:98], -v[103:104]
	v_mul_f64 v[99:100], v[99:100], v[109:110]
	v_fma_f64 v[99:100], v[101:102], v[97:98], v[99:100]
	s_waitcnt vmcnt(2)
	v_add_f64 v[105:106], v[105:106], -v[103:104]
	s_waitcnt vmcnt(0)
	v_add_f64 v[107:108], v[107:108], -v[99:100]
	buffer_store_dword v105, off, s[20:23], 0 offset:400 ; 4-byte Folded Spill
	s_nop 0
	buffer_store_dword v106, off, s[20:23], 0 offset:404 ; 4-byte Folded Spill
	buffer_store_dword v107, off, s[20:23], 0 offset:408 ; 4-byte Folded Spill
	buffer_store_dword v108, off, s[20:23], 0 offset:412 ; 4-byte Folded Spill
	ds_read2_b64 v[99:102], v125 offset0:38 offset1:39
	buffer_load_dword v105, off, s[20:23], 0 offset:384 ; 4-byte Folded Reload
	buffer_load_dword v106, off, s[20:23], 0 offset:388 ; 4-byte Folded Reload
	buffer_load_dword v107, off, s[20:23], 0 offset:392 ; 4-byte Folded Reload
	buffer_load_dword v108, off, s[20:23], 0 offset:396 ; 4-byte Folded Reload
	s_waitcnt lgkmcnt(0)
	v_mul_f64 v[103:104], v[101:102], v[109:110]
	v_fma_f64 v[103:104], v[99:100], v[97:98], -v[103:104]
	v_mul_f64 v[99:100], v[99:100], v[109:110]
	v_fma_f64 v[99:100], v[101:102], v[97:98], v[99:100]
	s_waitcnt vmcnt(2)
	v_add_f64 v[105:106], v[105:106], -v[103:104]
	s_waitcnt vmcnt(0)
	v_add_f64 v[107:108], v[107:108], -v[99:100]
	buffer_store_dword v105, off, s[20:23], 0 offset:384 ; 4-byte Folded Spill
	s_nop 0
	buffer_store_dword v106, off, s[20:23], 0 offset:388 ; 4-byte Folded Spill
	buffer_store_dword v107, off, s[20:23], 0 offset:392 ; 4-byte Folded Spill
	buffer_store_dword v108, off, s[20:23], 0 offset:396 ; 4-byte Folded Spill
	ds_read2_b64 v[99:102], v125 offset0:40 offset1:41
	buffer_load_dword v105, off, s[20:23], 0 offset:368 ; 4-byte Folded Reload
	buffer_load_dword v106, off, s[20:23], 0 offset:372 ; 4-byte Folded Reload
	buffer_load_dword v107, off, s[20:23], 0 offset:376 ; 4-byte Folded Reload
	buffer_load_dword v108, off, s[20:23], 0 offset:380 ; 4-byte Folded Reload
	s_waitcnt lgkmcnt(0)
	v_mul_f64 v[103:104], v[101:102], v[109:110]
	v_fma_f64 v[103:104], v[99:100], v[97:98], -v[103:104]
	v_mul_f64 v[99:100], v[99:100], v[109:110]
	v_fma_f64 v[99:100], v[101:102], v[97:98], v[99:100]
	s_waitcnt vmcnt(2)
	v_add_f64 v[105:106], v[105:106], -v[103:104]
	s_waitcnt vmcnt(0)
	v_add_f64 v[107:108], v[107:108], -v[99:100]
	buffer_store_dword v105, off, s[20:23], 0 offset:368 ; 4-byte Folded Spill
	s_nop 0
	buffer_store_dword v106, off, s[20:23], 0 offset:372 ; 4-byte Folded Spill
	buffer_store_dword v107, off, s[20:23], 0 offset:376 ; 4-byte Folded Spill
	buffer_store_dword v108, off, s[20:23], 0 offset:380 ; 4-byte Folded Spill
	ds_read2_b64 v[99:102], v125 offset0:42 offset1:43
	buffer_load_dword v105, off, s[20:23], 0 offset:352 ; 4-byte Folded Reload
	buffer_load_dword v106, off, s[20:23], 0 offset:356 ; 4-byte Folded Reload
	buffer_load_dword v107, off, s[20:23], 0 offset:360 ; 4-byte Folded Reload
	buffer_load_dword v108, off, s[20:23], 0 offset:364 ; 4-byte Folded Reload
	s_waitcnt lgkmcnt(0)
	v_mul_f64 v[103:104], v[101:102], v[109:110]
	v_fma_f64 v[103:104], v[99:100], v[97:98], -v[103:104]
	v_mul_f64 v[99:100], v[99:100], v[109:110]
	v_fma_f64 v[99:100], v[101:102], v[97:98], v[99:100]
	s_waitcnt vmcnt(2)
	v_add_f64 v[105:106], v[105:106], -v[103:104]
	s_waitcnt vmcnt(0)
	v_add_f64 v[107:108], v[107:108], -v[99:100]
	buffer_store_dword v105, off, s[20:23], 0 offset:352 ; 4-byte Folded Spill
	s_nop 0
	buffer_store_dword v106, off, s[20:23], 0 offset:356 ; 4-byte Folded Spill
	buffer_store_dword v107, off, s[20:23], 0 offset:360 ; 4-byte Folded Spill
	buffer_store_dword v108, off, s[20:23], 0 offset:364 ; 4-byte Folded Spill
	ds_read2_b64 v[99:102], v125 offset0:44 offset1:45
	buffer_load_dword v105, off, s[20:23], 0 offset:336 ; 4-byte Folded Reload
	buffer_load_dword v106, off, s[20:23], 0 offset:340 ; 4-byte Folded Reload
	buffer_load_dword v107, off, s[20:23], 0 offset:344 ; 4-byte Folded Reload
	buffer_load_dword v108, off, s[20:23], 0 offset:348 ; 4-byte Folded Reload
	s_waitcnt lgkmcnt(0)
	v_mul_f64 v[103:104], v[101:102], v[109:110]
	v_fma_f64 v[103:104], v[99:100], v[97:98], -v[103:104]
	v_mul_f64 v[99:100], v[99:100], v[109:110]
	v_fma_f64 v[99:100], v[101:102], v[97:98], v[99:100]
	s_waitcnt vmcnt(2)
	v_add_f64 v[105:106], v[105:106], -v[103:104]
	s_waitcnt vmcnt(0)
	v_add_f64 v[107:108], v[107:108], -v[99:100]
	buffer_store_dword v105, off, s[20:23], 0 offset:336 ; 4-byte Folded Spill
	s_nop 0
	buffer_store_dword v106, off, s[20:23], 0 offset:340 ; 4-byte Folded Spill
	buffer_store_dword v107, off, s[20:23], 0 offset:344 ; 4-byte Folded Spill
	buffer_store_dword v108, off, s[20:23], 0 offset:348 ; 4-byte Folded Spill
	ds_read2_b64 v[99:102], v125 offset0:46 offset1:47
	buffer_load_dword v105, off, s[20:23], 0 offset:320 ; 4-byte Folded Reload
	buffer_load_dword v106, off, s[20:23], 0 offset:324 ; 4-byte Folded Reload
	buffer_load_dword v107, off, s[20:23], 0 offset:328 ; 4-byte Folded Reload
	buffer_load_dword v108, off, s[20:23], 0 offset:332 ; 4-byte Folded Reload
	s_waitcnt lgkmcnt(0)
	v_mul_f64 v[103:104], v[101:102], v[109:110]
	v_fma_f64 v[103:104], v[99:100], v[97:98], -v[103:104]
	v_mul_f64 v[99:100], v[99:100], v[109:110]
	v_fma_f64 v[99:100], v[101:102], v[97:98], v[99:100]
	s_waitcnt vmcnt(2)
	v_add_f64 v[105:106], v[105:106], -v[103:104]
	s_waitcnt vmcnt(0)
	v_add_f64 v[107:108], v[107:108], -v[99:100]
	buffer_store_dword v105, off, s[20:23], 0 offset:320 ; 4-byte Folded Spill
	s_nop 0
	buffer_store_dword v106, off, s[20:23], 0 offset:324 ; 4-byte Folded Spill
	buffer_store_dword v107, off, s[20:23], 0 offset:328 ; 4-byte Folded Spill
	buffer_store_dword v108, off, s[20:23], 0 offset:332 ; 4-byte Folded Spill
	ds_read2_b64 v[99:102], v125 offset0:48 offset1:49
	buffer_load_dword v105, off, s[20:23], 0 offset:304 ; 4-byte Folded Reload
	buffer_load_dword v106, off, s[20:23], 0 offset:308 ; 4-byte Folded Reload
	buffer_load_dword v107, off, s[20:23], 0 offset:312 ; 4-byte Folded Reload
	buffer_load_dword v108, off, s[20:23], 0 offset:316 ; 4-byte Folded Reload
	s_waitcnt lgkmcnt(0)
	v_mul_f64 v[103:104], v[101:102], v[109:110]
	v_fma_f64 v[103:104], v[99:100], v[97:98], -v[103:104]
	v_mul_f64 v[99:100], v[99:100], v[109:110]
	v_fma_f64 v[99:100], v[101:102], v[97:98], v[99:100]
	s_waitcnt vmcnt(2)
	v_add_f64 v[105:106], v[105:106], -v[103:104]
	s_waitcnt vmcnt(0)
	v_add_f64 v[107:108], v[107:108], -v[99:100]
	buffer_store_dword v105, off, s[20:23], 0 offset:304 ; 4-byte Folded Spill
	s_nop 0
	buffer_store_dword v106, off, s[20:23], 0 offset:308 ; 4-byte Folded Spill
	buffer_store_dword v107, off, s[20:23], 0 offset:312 ; 4-byte Folded Spill
	buffer_store_dword v108, off, s[20:23], 0 offset:316 ; 4-byte Folded Spill
	ds_read2_b64 v[99:102], v125 offset0:50 offset1:51
	buffer_load_dword v105, off, s[20:23], 0 offset:288 ; 4-byte Folded Reload
	buffer_load_dword v106, off, s[20:23], 0 offset:292 ; 4-byte Folded Reload
	buffer_load_dword v107, off, s[20:23], 0 offset:296 ; 4-byte Folded Reload
	buffer_load_dword v108, off, s[20:23], 0 offset:300 ; 4-byte Folded Reload
	s_waitcnt lgkmcnt(0)
	v_mul_f64 v[103:104], v[101:102], v[109:110]
	v_fma_f64 v[103:104], v[99:100], v[97:98], -v[103:104]
	v_mul_f64 v[99:100], v[99:100], v[109:110]
	v_fma_f64 v[99:100], v[101:102], v[97:98], v[99:100]
	s_waitcnt vmcnt(2)
	v_add_f64 v[105:106], v[105:106], -v[103:104]
	s_waitcnt vmcnt(0)
	v_add_f64 v[107:108], v[107:108], -v[99:100]
	buffer_store_dword v105, off, s[20:23], 0 offset:288 ; 4-byte Folded Spill
	s_nop 0
	buffer_store_dword v106, off, s[20:23], 0 offset:292 ; 4-byte Folded Spill
	buffer_store_dword v107, off, s[20:23], 0 offset:296 ; 4-byte Folded Spill
	buffer_store_dword v108, off, s[20:23], 0 offset:300 ; 4-byte Folded Spill
	ds_read2_b64 v[99:102], v125 offset0:52 offset1:53
	buffer_load_dword v105, off, s[20:23], 0 offset:272 ; 4-byte Folded Reload
	buffer_load_dword v106, off, s[20:23], 0 offset:276 ; 4-byte Folded Reload
	buffer_load_dword v107, off, s[20:23], 0 offset:280 ; 4-byte Folded Reload
	buffer_load_dword v108, off, s[20:23], 0 offset:284 ; 4-byte Folded Reload
	s_waitcnt lgkmcnt(0)
	v_mul_f64 v[103:104], v[101:102], v[109:110]
	v_fma_f64 v[103:104], v[99:100], v[97:98], -v[103:104]
	v_mul_f64 v[99:100], v[99:100], v[109:110]
	v_fma_f64 v[99:100], v[101:102], v[97:98], v[99:100]
	s_waitcnt vmcnt(2)
	v_add_f64 v[105:106], v[105:106], -v[103:104]
	s_waitcnt vmcnt(0)
	v_add_f64 v[107:108], v[107:108], -v[99:100]
	buffer_store_dword v105, off, s[20:23], 0 offset:272 ; 4-byte Folded Spill
	s_nop 0
	buffer_store_dword v106, off, s[20:23], 0 offset:276 ; 4-byte Folded Spill
	buffer_store_dword v107, off, s[20:23], 0 offset:280 ; 4-byte Folded Spill
	buffer_store_dword v108, off, s[20:23], 0 offset:284 ; 4-byte Folded Spill
	ds_read2_b64 v[99:102], v125 offset0:54 offset1:55
	buffer_load_dword v105, off, s[20:23], 0 offset:256 ; 4-byte Folded Reload
	buffer_load_dword v106, off, s[20:23], 0 offset:260 ; 4-byte Folded Reload
	buffer_load_dword v107, off, s[20:23], 0 offset:264 ; 4-byte Folded Reload
	buffer_load_dword v108, off, s[20:23], 0 offset:268 ; 4-byte Folded Reload
	s_waitcnt lgkmcnt(0)
	v_mul_f64 v[103:104], v[101:102], v[109:110]
	v_fma_f64 v[103:104], v[99:100], v[97:98], -v[103:104]
	v_mul_f64 v[99:100], v[99:100], v[109:110]
	v_fma_f64 v[99:100], v[101:102], v[97:98], v[99:100]
	s_waitcnt vmcnt(2)
	v_add_f64 v[105:106], v[105:106], -v[103:104]
	s_waitcnt vmcnt(0)
	v_add_f64 v[107:108], v[107:108], -v[99:100]
	buffer_store_dword v105, off, s[20:23], 0 offset:256 ; 4-byte Folded Spill
	s_nop 0
	buffer_store_dword v106, off, s[20:23], 0 offset:260 ; 4-byte Folded Spill
	buffer_store_dword v107, off, s[20:23], 0 offset:264 ; 4-byte Folded Spill
	buffer_store_dword v108, off, s[20:23], 0 offset:268 ; 4-byte Folded Spill
	ds_read2_b64 v[99:102], v125 offset0:56 offset1:57
	buffer_load_dword v105, off, s[20:23], 0 offset:240 ; 4-byte Folded Reload
	buffer_load_dword v106, off, s[20:23], 0 offset:244 ; 4-byte Folded Reload
	buffer_load_dword v107, off, s[20:23], 0 offset:248 ; 4-byte Folded Reload
	buffer_load_dword v108, off, s[20:23], 0 offset:252 ; 4-byte Folded Reload
	s_waitcnt lgkmcnt(0)
	v_mul_f64 v[103:104], v[101:102], v[109:110]
	v_fma_f64 v[103:104], v[99:100], v[97:98], -v[103:104]
	v_mul_f64 v[99:100], v[99:100], v[109:110]
	v_fma_f64 v[99:100], v[101:102], v[97:98], v[99:100]
	s_waitcnt vmcnt(2)
	v_add_f64 v[105:106], v[105:106], -v[103:104]
	s_waitcnt vmcnt(0)
	v_add_f64 v[107:108], v[107:108], -v[99:100]
	buffer_store_dword v105, off, s[20:23], 0 offset:240 ; 4-byte Folded Spill
	s_nop 0
	buffer_store_dword v106, off, s[20:23], 0 offset:244 ; 4-byte Folded Spill
	buffer_store_dword v107, off, s[20:23], 0 offset:248 ; 4-byte Folded Spill
	buffer_store_dword v108, off, s[20:23], 0 offset:252 ; 4-byte Folded Spill
	ds_read2_b64 v[99:102], v125 offset0:58 offset1:59
	buffer_load_dword v105, off, s[20:23], 0 offset:224 ; 4-byte Folded Reload
	buffer_load_dword v106, off, s[20:23], 0 offset:228 ; 4-byte Folded Reload
	buffer_load_dword v107, off, s[20:23], 0 offset:232 ; 4-byte Folded Reload
	buffer_load_dword v108, off, s[20:23], 0 offset:236 ; 4-byte Folded Reload
	s_waitcnt lgkmcnt(0)
	v_mul_f64 v[103:104], v[101:102], v[109:110]
	v_fma_f64 v[103:104], v[99:100], v[97:98], -v[103:104]
	v_mul_f64 v[99:100], v[99:100], v[109:110]
	v_fma_f64 v[99:100], v[101:102], v[97:98], v[99:100]
	s_waitcnt vmcnt(2)
	v_add_f64 v[105:106], v[105:106], -v[103:104]
	s_waitcnt vmcnt(0)
	v_add_f64 v[107:108], v[107:108], -v[99:100]
	buffer_store_dword v105, off, s[20:23], 0 offset:224 ; 4-byte Folded Spill
	s_nop 0
	buffer_store_dword v106, off, s[20:23], 0 offset:228 ; 4-byte Folded Spill
	buffer_store_dword v107, off, s[20:23], 0 offset:232 ; 4-byte Folded Spill
	buffer_store_dword v108, off, s[20:23], 0 offset:236 ; 4-byte Folded Spill
	ds_read2_b64 v[99:102], v125 offset0:60 offset1:61
	buffer_load_dword v105, off, s[20:23], 0 offset:208 ; 4-byte Folded Reload
	buffer_load_dword v106, off, s[20:23], 0 offset:212 ; 4-byte Folded Reload
	buffer_load_dword v107, off, s[20:23], 0 offset:216 ; 4-byte Folded Reload
	buffer_load_dword v108, off, s[20:23], 0 offset:220 ; 4-byte Folded Reload
	s_waitcnt lgkmcnt(0)
	v_mul_f64 v[103:104], v[101:102], v[109:110]
	v_fma_f64 v[103:104], v[99:100], v[97:98], -v[103:104]
	v_mul_f64 v[99:100], v[99:100], v[109:110]
	v_fma_f64 v[99:100], v[101:102], v[97:98], v[99:100]
	s_waitcnt vmcnt(2)
	v_add_f64 v[105:106], v[105:106], -v[103:104]
	s_waitcnt vmcnt(0)
	v_add_f64 v[107:108], v[107:108], -v[99:100]
	buffer_store_dword v105, off, s[20:23], 0 offset:208 ; 4-byte Folded Spill
	s_nop 0
	buffer_store_dword v106, off, s[20:23], 0 offset:212 ; 4-byte Folded Spill
	buffer_store_dword v107, off, s[20:23], 0 offset:216 ; 4-byte Folded Spill
	buffer_store_dword v108, off, s[20:23], 0 offset:220 ; 4-byte Folded Spill
	ds_read2_b64 v[99:102], v125 offset0:62 offset1:63
	buffer_load_dword v105, off, s[20:23], 0 offset:192 ; 4-byte Folded Reload
	buffer_load_dword v106, off, s[20:23], 0 offset:196 ; 4-byte Folded Reload
	buffer_load_dword v107, off, s[20:23], 0 offset:200 ; 4-byte Folded Reload
	buffer_load_dword v108, off, s[20:23], 0 offset:204 ; 4-byte Folded Reload
	s_waitcnt lgkmcnt(0)
	v_mul_f64 v[103:104], v[101:102], v[109:110]
	v_fma_f64 v[103:104], v[99:100], v[97:98], -v[103:104]
	v_mul_f64 v[99:100], v[99:100], v[109:110]
	v_fma_f64 v[99:100], v[101:102], v[97:98], v[99:100]
	s_waitcnt vmcnt(2)
	v_add_f64 v[105:106], v[105:106], -v[103:104]
	s_waitcnt vmcnt(0)
	v_add_f64 v[107:108], v[107:108], -v[99:100]
	buffer_store_dword v105, off, s[20:23], 0 offset:192 ; 4-byte Folded Spill
	s_nop 0
	buffer_store_dword v106, off, s[20:23], 0 offset:196 ; 4-byte Folded Spill
	buffer_store_dword v107, off, s[20:23], 0 offset:200 ; 4-byte Folded Spill
	buffer_store_dword v108, off, s[20:23], 0 offset:204 ; 4-byte Folded Spill
	ds_read2_b64 v[99:102], v125 offset0:64 offset1:65
	buffer_load_dword v105, off, s[20:23], 0 offset:176 ; 4-byte Folded Reload
	buffer_load_dword v106, off, s[20:23], 0 offset:180 ; 4-byte Folded Reload
	buffer_load_dword v107, off, s[20:23], 0 offset:184 ; 4-byte Folded Reload
	buffer_load_dword v108, off, s[20:23], 0 offset:188 ; 4-byte Folded Reload
	s_waitcnt lgkmcnt(0)
	v_mul_f64 v[103:104], v[101:102], v[109:110]
	v_fma_f64 v[103:104], v[99:100], v[97:98], -v[103:104]
	v_mul_f64 v[99:100], v[99:100], v[109:110]
	v_fma_f64 v[99:100], v[101:102], v[97:98], v[99:100]
	s_waitcnt vmcnt(2)
	v_add_f64 v[105:106], v[105:106], -v[103:104]
	s_waitcnt vmcnt(0)
	v_add_f64 v[107:108], v[107:108], -v[99:100]
	buffer_store_dword v105, off, s[20:23], 0 offset:176 ; 4-byte Folded Spill
	s_nop 0
	buffer_store_dword v106, off, s[20:23], 0 offset:180 ; 4-byte Folded Spill
	buffer_store_dword v107, off, s[20:23], 0 offset:184 ; 4-byte Folded Spill
	buffer_store_dword v108, off, s[20:23], 0 offset:188 ; 4-byte Folded Spill
	ds_read2_b64 v[99:102], v125 offset0:66 offset1:67
	v_mov_b32_e32 v108, v98
	v_mov_b32_e32 v107, v97
	s_waitcnt lgkmcnt(0)
	v_mul_f64 v[103:104], v[101:102], v[109:110]
	v_fma_f64 v[103:104], v[99:100], v[97:98], -v[103:104]
	v_mul_f64 v[99:100], v[99:100], v[109:110]
	v_add_f64 v[91:92], v[91:92], -v[103:104]
	v_fma_f64 v[99:100], v[101:102], v[97:98], v[99:100]
	v_add_f64 v[93:94], v[93:94], -v[99:100]
	ds_read2_b64 v[99:102], v125 offset0:68 offset1:69
	buffer_load_dword v77, off, s[20:23], 0 offset:160 ; 4-byte Folded Reload
	buffer_load_dword v78, off, s[20:23], 0 offset:164 ; 4-byte Folded Reload
	buffer_load_dword v79, off, s[20:23], 0 offset:168 ; 4-byte Folded Reload
	buffer_load_dword v80, off, s[20:23], 0 offset:172 ; 4-byte Folded Reload
	s_waitcnt lgkmcnt(0)
	v_mul_f64 v[103:104], v[101:102], v[109:110]
	v_fma_f64 v[103:104], v[99:100], v[97:98], -v[103:104]
	v_mul_f64 v[99:100], v[99:100], v[109:110]
	v_fma_f64 v[99:100], v[101:102], v[97:98], v[99:100]
	s_waitcnt vmcnt(2)
	v_add_f64 v[77:78], v[77:78], -v[103:104]
	s_waitcnt vmcnt(0)
	v_add_f64 v[79:80], v[79:80], -v[99:100]
	buffer_store_dword v77, off, s[20:23], 0 offset:160 ; 4-byte Folded Spill
	s_nop 0
	buffer_store_dword v78, off, s[20:23], 0 offset:164 ; 4-byte Folded Spill
	buffer_store_dword v79, off, s[20:23], 0 offset:168 ; 4-byte Folded Spill
	buffer_store_dword v80, off, s[20:23], 0 offset:172 ; 4-byte Folded Spill
	ds_read2_b64 v[99:102], v125 offset0:70 offset1:71
	buffer_load_dword v77, off, s[20:23], 0 offset:144 ; 4-byte Folded Reload
	buffer_load_dword v78, off, s[20:23], 0 offset:148 ; 4-byte Folded Reload
	buffer_load_dword v79, off, s[20:23], 0 offset:152 ; 4-byte Folded Reload
	buffer_load_dword v80, off, s[20:23], 0 offset:156 ; 4-byte Folded Reload
	s_waitcnt lgkmcnt(0)
	v_mul_f64 v[103:104], v[101:102], v[109:110]
	v_fma_f64 v[103:104], v[99:100], v[97:98], -v[103:104]
	v_mul_f64 v[99:100], v[99:100], v[109:110]
	v_fma_f64 v[99:100], v[101:102], v[97:98], v[99:100]
	s_waitcnt vmcnt(2)
	v_add_f64 v[77:78], v[77:78], -v[103:104]
	s_waitcnt vmcnt(0)
	v_add_f64 v[79:80], v[79:80], -v[99:100]
	buffer_store_dword v77, off, s[20:23], 0 offset:144 ; 4-byte Folded Spill
	s_nop 0
	buffer_store_dword v78, off, s[20:23], 0 offset:148 ; 4-byte Folded Spill
	buffer_store_dword v79, off, s[20:23], 0 offset:152 ; 4-byte Folded Spill
	buffer_store_dword v80, off, s[20:23], 0 offset:156 ; 4-byte Folded Spill
	;; [unrolled: 19-line block ×10, first 2 shown]
	ds_read2_b64 v[99:102], v125 offset0:88 offset1:89
	buffer_load_dword v41, off, s[20:23], 0 ; 4-byte Folded Reload
	buffer_load_dword v42, off, s[20:23], 0 offset:4 ; 4-byte Folded Reload
	buffer_load_dword v43, off, s[20:23], 0 offset:8 ; 4-byte Folded Reload
	;; [unrolled: 1-line block ×3, first 2 shown]
	s_waitcnt lgkmcnt(0)
	v_mul_f64 v[103:104], v[101:102], v[109:110]
	v_fma_f64 v[103:104], v[99:100], v[97:98], -v[103:104]
	v_mul_f64 v[99:100], v[99:100], v[109:110]
	v_fma_f64 v[99:100], v[101:102], v[97:98], v[99:100]
	s_waitcnt vmcnt(2)
	v_add_f64 v[41:42], v[41:42], -v[103:104]
	s_waitcnt vmcnt(0)
	v_add_f64 v[43:44], v[43:44], -v[99:100]
	buffer_store_dword v41, off, s[20:23], 0 ; 4-byte Folded Spill
	s_nop 0
	buffer_store_dword v42, off, s[20:23], 0 offset:4 ; 4-byte Folded Spill
	buffer_store_dword v43, off, s[20:23], 0 offset:8 ; 4-byte Folded Spill
	;; [unrolled: 1-line block ×3, first 2 shown]
	ds_read2_b64 v[99:102], v125 offset0:90 offset1:91
	s_waitcnt lgkmcnt(0)
	v_mul_f64 v[103:104], v[101:102], v[109:110]
	v_fma_f64 v[103:104], v[99:100], v[97:98], -v[103:104]
	v_mul_f64 v[99:100], v[99:100], v[109:110]
	v_add_f64 v[37:38], v[37:38], -v[103:104]
	v_fma_f64 v[99:100], v[101:102], v[97:98], v[99:100]
	v_add_f64 v[39:40], v[39:40], -v[99:100]
	ds_read2_b64 v[99:102], v125 offset0:92 offset1:93
	s_waitcnt lgkmcnt(0)
	v_mul_f64 v[103:104], v[101:102], v[109:110]
	v_fma_f64 v[103:104], v[99:100], v[97:98], -v[103:104]
	v_mul_f64 v[99:100], v[99:100], v[109:110]
	v_add_f64 v[33:34], v[33:34], -v[103:104]
	v_fma_f64 v[99:100], v[101:102], v[97:98], v[99:100]
	v_add_f64 v[35:36], v[35:36], -v[99:100]
	;; [unrolled: 8-line block ×9, first 2 shown]
	ds_read2_b64 v[99:102], v125 offset0:108 offset1:109
	s_waitcnt lgkmcnt(0)
	v_mul_f64 v[103:104], v[101:102], v[109:110]
	v_fma_f64 v[103:104], v[99:100], v[97:98], -v[103:104]
	v_mul_f64 v[99:100], v[99:100], v[109:110]
	v_add_f64 v[1:2], v[1:2], -v[103:104]
	v_fma_f64 v[99:100], v[101:102], v[97:98], v[99:100]
	ds_read2_b64 v[101:104], v125 offset0:110 offset1:111
	v_add_f64 v[3:4], v[3:4], -v[99:100]
	s_waitcnt lgkmcnt(0)
	v_mul_f64 v[99:100], v[103:104], v[109:110]
	v_fma_f64 v[99:100], v[101:102], v[97:98], -v[99:100]
	v_mul_f64 v[101:102], v[101:102], v[109:110]
	buffer_store_dword v107, off, s[20:23], 0 offset:544 ; 4-byte Folded Spill
	s_nop 0
	buffer_store_dword v108, off, s[20:23], 0 offset:548 ; 4-byte Folded Spill
	buffer_store_dword v109, off, s[20:23], 0 offset:552 ; 4-byte Folded Spill
	buffer_store_dword v110, off, s[20:23], 0 offset:556 ; 4-byte Folded Spill
	v_add_f64 v[121:122], v[121:122], -v[99:100]
	v_fma_f64 v[101:102], v[103:104], v[97:98], v[101:102]
	v_add_f64 v[123:124], v[123:124], -v[101:102]
.LBB111_91:
	s_or_b64 exec, exec, s[2:3]
	v_cmp_eq_u32_e32 vcc, 10, v0
	s_waitcnt vmcnt(0)
	s_barrier
	s_and_saveexec_b64 s[4:5], vcc
	s_cbranch_execz .LBB111_98
; %bb.92:
	buffer_load_dword v95, off, s[20:23], 0 offset:528 ; 4-byte Folded Reload
	buffer_load_dword v96, off, s[20:23], 0 offset:532 ; 4-byte Folded Reload
	;; [unrolled: 1-line block ×4, first 2 shown]
	s_waitcnt vmcnt(0)
	ds_write2_b64 v127, v[95:96], v[97:98] offset1:1
	buffer_load_dword v95, off, s[20:23], 0 offset:512 ; 4-byte Folded Reload
	buffer_load_dword v96, off, s[20:23], 0 offset:516 ; 4-byte Folded Reload
	buffer_load_dword v97, off, s[20:23], 0 offset:520 ; 4-byte Folded Reload
	buffer_load_dword v98, off, s[20:23], 0 offset:524 ; 4-byte Folded Reload
	s_waitcnt vmcnt(0)
	ds_write2_b64 v125, v[95:96], v[97:98] offset0:22 offset1:23
	buffer_load_dword v95, off, s[20:23], 0 offset:496 ; 4-byte Folded Reload
	buffer_load_dword v96, off, s[20:23], 0 offset:500 ; 4-byte Folded Reload
	buffer_load_dword v97, off, s[20:23], 0 offset:504 ; 4-byte Folded Reload
	buffer_load_dword v98, off, s[20:23], 0 offset:508 ; 4-byte Folded Reload
	s_waitcnt vmcnt(0)
	ds_write2_b64 v125, v[95:96], v[97:98] offset0:24 offset1:25
	;; [unrolled: 6-line block ×22, first 2 shown]
	ds_write2_b64 v125, v[91:92], v[93:94] offset0:66 offset1:67
	buffer_load_dword v77, off, s[20:23], 0 offset:160 ; 4-byte Folded Reload
	buffer_load_dword v78, off, s[20:23], 0 offset:164 ; 4-byte Folded Reload
	buffer_load_dword v79, off, s[20:23], 0 offset:168 ; 4-byte Folded Reload
	buffer_load_dword v80, off, s[20:23], 0 offset:172 ; 4-byte Folded Reload
	s_waitcnt vmcnt(0)
	ds_write2_b64 v125, v[77:78], v[79:80] offset0:68 offset1:69
	buffer_load_dword v77, off, s[20:23], 0 offset:144 ; 4-byte Folded Reload
	buffer_load_dword v78, off, s[20:23], 0 offset:148 ; 4-byte Folded Reload
	buffer_load_dword v79, off, s[20:23], 0 offset:152 ; 4-byte Folded Reload
	buffer_load_dword v80, off, s[20:23], 0 offset:156 ; 4-byte Folded Reload
	s_waitcnt vmcnt(0)
	;; [unrolled: 6-line block ×10, first 2 shown]
	ds_write2_b64 v125, v[45:46], v[47:48] offset0:86 offset1:87
	buffer_load_dword v41, off, s[20:23], 0 ; 4-byte Folded Reload
	buffer_load_dword v42, off, s[20:23], 0 offset:4 ; 4-byte Folded Reload
	buffer_load_dword v43, off, s[20:23], 0 offset:8 ; 4-byte Folded Reload
	;; [unrolled: 1-line block ×3, first 2 shown]
	s_waitcnt vmcnt(0)
	ds_write2_b64 v125, v[41:42], v[43:44] offset0:88 offset1:89
	ds_write2_b64 v125, v[37:38], v[39:40] offset0:90 offset1:91
	;; [unrolled: 1-line block ×12, first 2 shown]
	ds_read2_b64 v[97:100], v127 offset1:1
	s_waitcnt lgkmcnt(0)
	v_cmp_neq_f64_e32 vcc, 0, v[97:98]
	v_cmp_neq_f64_e64 s[2:3], 0, v[99:100]
	s_or_b64 s[2:3], vcc, s[2:3]
	s_and_b64 exec, exec, s[2:3]
	s_cbranch_execz .LBB111_98
; %bb.93:
	v_cmp_ngt_f64_e64 s[2:3], |v[97:98]|, |v[99:100]|
                                        ; implicit-def: $vgpr101_vgpr102
	s_and_saveexec_b64 s[6:7], s[2:3]
	s_xor_b64 s[2:3], exec, s[6:7]
                                        ; implicit-def: $vgpr103_vgpr104
	s_cbranch_execz .LBB111_95
; %bb.94:
	v_div_scale_f64 v[101:102], s[6:7], v[99:100], v[99:100], v[97:98]
	v_rcp_f64_e32 v[103:104], v[101:102]
	v_fma_f64 v[105:106], -v[101:102], v[103:104], 1.0
	v_fma_f64 v[103:104], v[103:104], v[105:106], v[103:104]
	v_div_scale_f64 v[105:106], vcc, v[97:98], v[99:100], v[97:98]
	v_fma_f64 v[107:108], -v[101:102], v[103:104], 1.0
	v_fma_f64 v[103:104], v[103:104], v[107:108], v[103:104]
	v_mul_f64 v[107:108], v[105:106], v[103:104]
	v_fma_f64 v[101:102], -v[101:102], v[107:108], v[105:106]
	v_div_fmas_f64 v[101:102], v[101:102], v[103:104], v[107:108]
	v_div_fixup_f64 v[101:102], v[101:102], v[99:100], v[97:98]
	v_fma_f64 v[97:98], v[97:98], v[101:102], v[99:100]
	v_div_scale_f64 v[99:100], s[6:7], v[97:98], v[97:98], 1.0
	v_div_scale_f64 v[107:108], vcc, 1.0, v[97:98], 1.0
	v_rcp_f64_e32 v[103:104], v[99:100]
	v_fma_f64 v[105:106], -v[99:100], v[103:104], 1.0
	v_fma_f64 v[103:104], v[103:104], v[105:106], v[103:104]
	v_fma_f64 v[105:106], -v[99:100], v[103:104], 1.0
	v_fma_f64 v[103:104], v[103:104], v[105:106], v[103:104]
	v_mul_f64 v[105:106], v[107:108], v[103:104]
	v_fma_f64 v[99:100], -v[99:100], v[105:106], v[107:108]
	v_div_fmas_f64 v[99:100], v[99:100], v[103:104], v[105:106]
	v_div_fixup_f64 v[103:104], v[99:100], v[97:98], 1.0
                                        ; implicit-def: $vgpr97_vgpr98
	v_mul_f64 v[101:102], v[101:102], v[103:104]
	v_xor_b32_e32 v104, 0x80000000, v104
.LBB111_95:
	s_andn2_saveexec_b64 s[2:3], s[2:3]
	s_cbranch_execz .LBB111_97
; %bb.96:
	v_div_scale_f64 v[101:102], s[6:7], v[97:98], v[97:98], v[99:100]
	v_rcp_f64_e32 v[103:104], v[101:102]
	v_fma_f64 v[105:106], -v[101:102], v[103:104], 1.0
	v_fma_f64 v[103:104], v[103:104], v[105:106], v[103:104]
	v_div_scale_f64 v[105:106], vcc, v[99:100], v[97:98], v[99:100]
	v_fma_f64 v[107:108], -v[101:102], v[103:104], 1.0
	v_fma_f64 v[103:104], v[103:104], v[107:108], v[103:104]
	v_mul_f64 v[107:108], v[105:106], v[103:104]
	v_fma_f64 v[101:102], -v[101:102], v[107:108], v[105:106]
	v_div_fmas_f64 v[101:102], v[101:102], v[103:104], v[107:108]
	v_div_fixup_f64 v[103:104], v[101:102], v[97:98], v[99:100]
	v_fma_f64 v[97:98], v[99:100], v[103:104], v[97:98]
	v_div_scale_f64 v[99:100], s[6:7], v[97:98], v[97:98], 1.0
	v_div_scale_f64 v[107:108], vcc, 1.0, v[97:98], 1.0
	v_rcp_f64_e32 v[101:102], v[99:100]
	v_fma_f64 v[105:106], -v[99:100], v[101:102], 1.0
	v_fma_f64 v[101:102], v[101:102], v[105:106], v[101:102]
	v_fma_f64 v[105:106], -v[99:100], v[101:102], 1.0
	v_fma_f64 v[101:102], v[101:102], v[105:106], v[101:102]
	v_mul_f64 v[105:106], v[107:108], v[101:102]
	v_fma_f64 v[99:100], -v[99:100], v[105:106], v[107:108]
	v_div_fmas_f64 v[99:100], v[99:100], v[101:102], v[105:106]
	v_div_fixup_f64 v[101:102], v[99:100], v[97:98], 1.0
	v_mul_f64 v[103:104], v[103:104], -v[101:102]
.LBB111_97:
	s_or_b64 exec, exec, s[2:3]
	ds_write2_b64 v127, v[101:102], v[103:104] offset1:1
.LBB111_98:
	s_or_b64 exec, exec, s[4:5]
	s_waitcnt lgkmcnt(0)
	s_barrier
	ds_read2_b64 v[87:90], v127 offset1:1
	v_cmp_lt_u32_e32 vcc, 10, v0
	s_waitcnt lgkmcnt(0)
	buffer_store_dword v87, off, s[20:23], 0 offset:1304 ; 4-byte Folded Spill
	s_nop 0
	buffer_store_dword v88, off, s[20:23], 0 offset:1308 ; 4-byte Folded Spill
	buffer_store_dword v89, off, s[20:23], 0 offset:1312 ; 4-byte Folded Spill
	;; [unrolled: 1-line block ×3, first 2 shown]
	s_and_saveexec_b64 s[2:3], vcc
	s_cbranch_execz .LBB111_100
; %bb.99:
	buffer_load_dword v107, off, s[20:23], 0 offset:528 ; 4-byte Folded Reload
	buffer_load_dword v108, off, s[20:23], 0 offset:532 ; 4-byte Folded Reload
	buffer_load_dword v109, off, s[20:23], 0 offset:536 ; 4-byte Folded Reload
	buffer_load_dword v110, off, s[20:23], 0 offset:540 ; 4-byte Folded Reload
	buffer_load_dword v87, off, s[20:23], 0 offset:1304 ; 4-byte Folded Reload
	buffer_load_dword v88, off, s[20:23], 0 offset:1308 ; 4-byte Folded Reload
	buffer_load_dword v89, off, s[20:23], 0 offset:1312 ; 4-byte Folded Reload
	buffer_load_dword v90, off, s[20:23], 0 offset:1316 ; 4-byte Folded Reload
	s_waitcnt vmcnt(2)
	v_mul_f64 v[99:100], v[87:88], v[109:110]
	s_waitcnt vmcnt(0)
	v_mul_f64 v[97:98], v[89:90], v[109:110]
	v_fma_f64 v[109:110], v[89:90], v[107:108], v[99:100]
	ds_read2_b64 v[99:102], v125 offset0:22 offset1:23
	v_fma_f64 v[97:98], v[87:88], v[107:108], -v[97:98]
	buffer_load_dword v105, off, s[20:23], 0 offset:512 ; 4-byte Folded Reload
	buffer_load_dword v106, off, s[20:23], 0 offset:516 ; 4-byte Folded Reload
	buffer_load_dword v107, off, s[20:23], 0 offset:520 ; 4-byte Folded Reload
	buffer_load_dword v108, off, s[20:23], 0 offset:524 ; 4-byte Folded Reload
	s_waitcnt lgkmcnt(0)
	v_mul_f64 v[103:104], v[101:102], v[109:110]
	v_fma_f64 v[103:104], v[99:100], v[97:98], -v[103:104]
	v_mul_f64 v[99:100], v[99:100], v[109:110]
	v_fma_f64 v[99:100], v[101:102], v[97:98], v[99:100]
	s_waitcnt vmcnt(2)
	v_add_f64 v[105:106], v[105:106], -v[103:104]
	s_waitcnt vmcnt(0)
	v_add_f64 v[107:108], v[107:108], -v[99:100]
	buffer_store_dword v105, off, s[20:23], 0 offset:512 ; 4-byte Folded Spill
	s_nop 0
	buffer_store_dword v106, off, s[20:23], 0 offset:516 ; 4-byte Folded Spill
	buffer_store_dword v107, off, s[20:23], 0 offset:520 ; 4-byte Folded Spill
	buffer_store_dword v108, off, s[20:23], 0 offset:524 ; 4-byte Folded Spill
	ds_read2_b64 v[99:102], v125 offset0:24 offset1:25
	buffer_load_dword v105, off, s[20:23], 0 offset:496 ; 4-byte Folded Reload
	buffer_load_dword v106, off, s[20:23], 0 offset:500 ; 4-byte Folded Reload
	buffer_load_dword v107, off, s[20:23], 0 offset:504 ; 4-byte Folded Reload
	buffer_load_dword v108, off, s[20:23], 0 offset:508 ; 4-byte Folded Reload
	s_waitcnt lgkmcnt(0)
	v_mul_f64 v[103:104], v[101:102], v[109:110]
	v_fma_f64 v[103:104], v[99:100], v[97:98], -v[103:104]
	v_mul_f64 v[99:100], v[99:100], v[109:110]
	v_fma_f64 v[99:100], v[101:102], v[97:98], v[99:100]
	s_waitcnt vmcnt(2)
	v_add_f64 v[105:106], v[105:106], -v[103:104]
	s_waitcnt vmcnt(0)
	v_add_f64 v[107:108], v[107:108], -v[99:100]
	buffer_store_dword v105, off, s[20:23], 0 offset:496 ; 4-byte Folded Spill
	s_nop 0
	buffer_store_dword v106, off, s[20:23], 0 offset:500 ; 4-byte Folded Spill
	buffer_store_dword v107, off, s[20:23], 0 offset:504 ; 4-byte Folded Spill
	buffer_store_dword v108, off, s[20:23], 0 offset:508 ; 4-byte Folded Spill
	ds_read2_b64 v[99:102], v125 offset0:26 offset1:27
	;; [unrolled: 19-line block ×22, first 2 shown]
	v_mov_b32_e32 v108, v98
	v_mov_b32_e32 v107, v97
	s_waitcnt lgkmcnt(0)
	v_mul_f64 v[103:104], v[101:102], v[109:110]
	v_fma_f64 v[103:104], v[99:100], v[97:98], -v[103:104]
	v_mul_f64 v[99:100], v[99:100], v[109:110]
	v_add_f64 v[91:92], v[91:92], -v[103:104]
	v_fma_f64 v[99:100], v[101:102], v[97:98], v[99:100]
	v_add_f64 v[93:94], v[93:94], -v[99:100]
	ds_read2_b64 v[99:102], v125 offset0:68 offset1:69
	buffer_load_dword v77, off, s[20:23], 0 offset:160 ; 4-byte Folded Reload
	buffer_load_dword v78, off, s[20:23], 0 offset:164 ; 4-byte Folded Reload
	buffer_load_dword v79, off, s[20:23], 0 offset:168 ; 4-byte Folded Reload
	buffer_load_dword v80, off, s[20:23], 0 offset:172 ; 4-byte Folded Reload
	s_waitcnt lgkmcnt(0)
	v_mul_f64 v[103:104], v[101:102], v[109:110]
	v_fma_f64 v[103:104], v[99:100], v[97:98], -v[103:104]
	v_mul_f64 v[99:100], v[99:100], v[109:110]
	v_fma_f64 v[99:100], v[101:102], v[97:98], v[99:100]
	s_waitcnt vmcnt(2)
	v_add_f64 v[77:78], v[77:78], -v[103:104]
	s_waitcnt vmcnt(0)
	v_add_f64 v[79:80], v[79:80], -v[99:100]
	buffer_store_dword v77, off, s[20:23], 0 offset:160 ; 4-byte Folded Spill
	s_nop 0
	buffer_store_dword v78, off, s[20:23], 0 offset:164 ; 4-byte Folded Spill
	buffer_store_dword v79, off, s[20:23], 0 offset:168 ; 4-byte Folded Spill
	buffer_store_dword v80, off, s[20:23], 0 offset:172 ; 4-byte Folded Spill
	ds_read2_b64 v[99:102], v125 offset0:70 offset1:71
	buffer_load_dword v77, off, s[20:23], 0 offset:144 ; 4-byte Folded Reload
	buffer_load_dword v78, off, s[20:23], 0 offset:148 ; 4-byte Folded Reload
	buffer_load_dword v79, off, s[20:23], 0 offset:152 ; 4-byte Folded Reload
	buffer_load_dword v80, off, s[20:23], 0 offset:156 ; 4-byte Folded Reload
	s_waitcnt lgkmcnt(0)
	v_mul_f64 v[103:104], v[101:102], v[109:110]
	v_fma_f64 v[103:104], v[99:100], v[97:98], -v[103:104]
	v_mul_f64 v[99:100], v[99:100], v[109:110]
	v_fma_f64 v[99:100], v[101:102], v[97:98], v[99:100]
	s_waitcnt vmcnt(2)
	v_add_f64 v[77:78], v[77:78], -v[103:104]
	s_waitcnt vmcnt(0)
	v_add_f64 v[79:80], v[79:80], -v[99:100]
	buffer_store_dword v77, off, s[20:23], 0 offset:144 ; 4-byte Folded Spill
	s_nop 0
	buffer_store_dword v78, off, s[20:23], 0 offset:148 ; 4-byte Folded Spill
	buffer_store_dword v79, off, s[20:23], 0 offset:152 ; 4-byte Folded Spill
	buffer_store_dword v80, off, s[20:23], 0 offset:156 ; 4-byte Folded Spill
	;; [unrolled: 19-line block ×10, first 2 shown]
	ds_read2_b64 v[99:102], v125 offset0:88 offset1:89
	buffer_load_dword v41, off, s[20:23], 0 ; 4-byte Folded Reload
	buffer_load_dword v42, off, s[20:23], 0 offset:4 ; 4-byte Folded Reload
	buffer_load_dword v43, off, s[20:23], 0 offset:8 ; 4-byte Folded Reload
	;; [unrolled: 1-line block ×3, first 2 shown]
	s_waitcnt lgkmcnt(0)
	v_mul_f64 v[103:104], v[101:102], v[109:110]
	v_fma_f64 v[103:104], v[99:100], v[97:98], -v[103:104]
	v_mul_f64 v[99:100], v[99:100], v[109:110]
	v_fma_f64 v[99:100], v[101:102], v[97:98], v[99:100]
	s_waitcnt vmcnt(2)
	v_add_f64 v[41:42], v[41:42], -v[103:104]
	s_waitcnt vmcnt(0)
	v_add_f64 v[43:44], v[43:44], -v[99:100]
	buffer_store_dword v41, off, s[20:23], 0 ; 4-byte Folded Spill
	s_nop 0
	buffer_store_dword v42, off, s[20:23], 0 offset:4 ; 4-byte Folded Spill
	buffer_store_dword v43, off, s[20:23], 0 offset:8 ; 4-byte Folded Spill
	;; [unrolled: 1-line block ×3, first 2 shown]
	ds_read2_b64 v[99:102], v125 offset0:90 offset1:91
	s_waitcnt lgkmcnt(0)
	v_mul_f64 v[103:104], v[101:102], v[109:110]
	v_fma_f64 v[103:104], v[99:100], v[97:98], -v[103:104]
	v_mul_f64 v[99:100], v[99:100], v[109:110]
	v_add_f64 v[37:38], v[37:38], -v[103:104]
	v_fma_f64 v[99:100], v[101:102], v[97:98], v[99:100]
	v_add_f64 v[39:40], v[39:40], -v[99:100]
	ds_read2_b64 v[99:102], v125 offset0:92 offset1:93
	s_waitcnt lgkmcnt(0)
	v_mul_f64 v[103:104], v[101:102], v[109:110]
	v_fma_f64 v[103:104], v[99:100], v[97:98], -v[103:104]
	v_mul_f64 v[99:100], v[99:100], v[109:110]
	v_add_f64 v[33:34], v[33:34], -v[103:104]
	v_fma_f64 v[99:100], v[101:102], v[97:98], v[99:100]
	v_add_f64 v[35:36], v[35:36], -v[99:100]
	;; [unrolled: 8-line block ×9, first 2 shown]
	ds_read2_b64 v[99:102], v125 offset0:108 offset1:109
	s_waitcnt lgkmcnt(0)
	v_mul_f64 v[103:104], v[101:102], v[109:110]
	v_fma_f64 v[103:104], v[99:100], v[97:98], -v[103:104]
	v_mul_f64 v[99:100], v[99:100], v[109:110]
	v_add_f64 v[1:2], v[1:2], -v[103:104]
	v_fma_f64 v[99:100], v[101:102], v[97:98], v[99:100]
	ds_read2_b64 v[101:104], v125 offset0:110 offset1:111
	v_add_f64 v[3:4], v[3:4], -v[99:100]
	s_waitcnt lgkmcnt(0)
	v_mul_f64 v[99:100], v[103:104], v[109:110]
	v_fma_f64 v[99:100], v[101:102], v[97:98], -v[99:100]
	v_mul_f64 v[101:102], v[101:102], v[109:110]
	buffer_store_dword v107, off, s[20:23], 0 offset:528 ; 4-byte Folded Spill
	s_nop 0
	buffer_store_dword v108, off, s[20:23], 0 offset:532 ; 4-byte Folded Spill
	buffer_store_dword v109, off, s[20:23], 0 offset:536 ; 4-byte Folded Spill
	;; [unrolled: 1-line block ×3, first 2 shown]
	v_add_f64 v[121:122], v[121:122], -v[99:100]
	v_fma_f64 v[101:102], v[103:104], v[97:98], v[101:102]
	v_add_f64 v[123:124], v[123:124], -v[101:102]
.LBB111_100:
	s_or_b64 exec, exec, s[2:3]
	v_cmp_eq_u32_e32 vcc, 11, v0
	s_waitcnt vmcnt(0)
	s_barrier
	s_and_saveexec_b64 s[4:5], vcc
	s_cbranch_execz .LBB111_107
; %bb.101:
	buffer_load_dword v95, off, s[20:23], 0 offset:512 ; 4-byte Folded Reload
	buffer_load_dword v96, off, s[20:23], 0 offset:516 ; 4-byte Folded Reload
	;; [unrolled: 1-line block ×4, first 2 shown]
	s_waitcnt vmcnt(0)
	ds_write2_b64 v127, v[95:96], v[97:98] offset1:1
	buffer_load_dword v95, off, s[20:23], 0 offset:496 ; 4-byte Folded Reload
	buffer_load_dword v96, off, s[20:23], 0 offset:500 ; 4-byte Folded Reload
	buffer_load_dword v97, off, s[20:23], 0 offset:504 ; 4-byte Folded Reload
	buffer_load_dword v98, off, s[20:23], 0 offset:508 ; 4-byte Folded Reload
	s_waitcnt vmcnt(0)
	ds_write2_b64 v125, v[95:96], v[97:98] offset0:24 offset1:25
	buffer_load_dword v95, off, s[20:23], 0 offset:480 ; 4-byte Folded Reload
	buffer_load_dword v96, off, s[20:23], 0 offset:484 ; 4-byte Folded Reload
	buffer_load_dword v97, off, s[20:23], 0 offset:488 ; 4-byte Folded Reload
	buffer_load_dword v98, off, s[20:23], 0 offset:492 ; 4-byte Folded Reload
	s_waitcnt vmcnt(0)
	ds_write2_b64 v125, v[95:96], v[97:98] offset0:26 offset1:27
	;; [unrolled: 6-line block ×21, first 2 shown]
	ds_write2_b64 v125, v[91:92], v[93:94] offset0:66 offset1:67
	buffer_load_dword v77, off, s[20:23], 0 offset:160 ; 4-byte Folded Reload
	buffer_load_dword v78, off, s[20:23], 0 offset:164 ; 4-byte Folded Reload
	buffer_load_dword v79, off, s[20:23], 0 offset:168 ; 4-byte Folded Reload
	buffer_load_dword v80, off, s[20:23], 0 offset:172 ; 4-byte Folded Reload
	s_waitcnt vmcnt(0)
	ds_write2_b64 v125, v[77:78], v[79:80] offset0:68 offset1:69
	buffer_load_dword v77, off, s[20:23], 0 offset:144 ; 4-byte Folded Reload
	buffer_load_dword v78, off, s[20:23], 0 offset:148 ; 4-byte Folded Reload
	buffer_load_dword v79, off, s[20:23], 0 offset:152 ; 4-byte Folded Reload
	buffer_load_dword v80, off, s[20:23], 0 offset:156 ; 4-byte Folded Reload
	s_waitcnt vmcnt(0)
	;; [unrolled: 6-line block ×10, first 2 shown]
	ds_write2_b64 v125, v[45:46], v[47:48] offset0:86 offset1:87
	buffer_load_dword v41, off, s[20:23], 0 ; 4-byte Folded Reload
	buffer_load_dword v42, off, s[20:23], 0 offset:4 ; 4-byte Folded Reload
	buffer_load_dword v43, off, s[20:23], 0 offset:8 ; 4-byte Folded Reload
	;; [unrolled: 1-line block ×3, first 2 shown]
	s_waitcnt vmcnt(0)
	ds_write2_b64 v125, v[41:42], v[43:44] offset0:88 offset1:89
	ds_write2_b64 v125, v[37:38], v[39:40] offset0:90 offset1:91
	;; [unrolled: 1-line block ×12, first 2 shown]
	ds_read2_b64 v[97:100], v127 offset1:1
	s_waitcnt lgkmcnt(0)
	v_cmp_neq_f64_e32 vcc, 0, v[97:98]
	v_cmp_neq_f64_e64 s[2:3], 0, v[99:100]
	s_or_b64 s[2:3], vcc, s[2:3]
	s_and_b64 exec, exec, s[2:3]
	s_cbranch_execz .LBB111_107
; %bb.102:
	v_cmp_ngt_f64_e64 s[2:3], |v[97:98]|, |v[99:100]|
                                        ; implicit-def: $vgpr101_vgpr102
	s_and_saveexec_b64 s[6:7], s[2:3]
	s_xor_b64 s[2:3], exec, s[6:7]
                                        ; implicit-def: $vgpr103_vgpr104
	s_cbranch_execz .LBB111_104
; %bb.103:
	v_div_scale_f64 v[101:102], s[6:7], v[99:100], v[99:100], v[97:98]
	v_rcp_f64_e32 v[103:104], v[101:102]
	v_fma_f64 v[105:106], -v[101:102], v[103:104], 1.0
	v_fma_f64 v[103:104], v[103:104], v[105:106], v[103:104]
	v_div_scale_f64 v[105:106], vcc, v[97:98], v[99:100], v[97:98]
	v_fma_f64 v[107:108], -v[101:102], v[103:104], 1.0
	v_fma_f64 v[103:104], v[103:104], v[107:108], v[103:104]
	v_mul_f64 v[107:108], v[105:106], v[103:104]
	v_fma_f64 v[101:102], -v[101:102], v[107:108], v[105:106]
	v_div_fmas_f64 v[101:102], v[101:102], v[103:104], v[107:108]
	v_div_fixup_f64 v[101:102], v[101:102], v[99:100], v[97:98]
	v_fma_f64 v[97:98], v[97:98], v[101:102], v[99:100]
	v_div_scale_f64 v[99:100], s[6:7], v[97:98], v[97:98], 1.0
	v_div_scale_f64 v[107:108], vcc, 1.0, v[97:98], 1.0
	v_rcp_f64_e32 v[103:104], v[99:100]
	v_fma_f64 v[105:106], -v[99:100], v[103:104], 1.0
	v_fma_f64 v[103:104], v[103:104], v[105:106], v[103:104]
	v_fma_f64 v[105:106], -v[99:100], v[103:104], 1.0
	v_fma_f64 v[103:104], v[103:104], v[105:106], v[103:104]
	v_mul_f64 v[105:106], v[107:108], v[103:104]
	v_fma_f64 v[99:100], -v[99:100], v[105:106], v[107:108]
	v_div_fmas_f64 v[99:100], v[99:100], v[103:104], v[105:106]
	v_div_fixup_f64 v[103:104], v[99:100], v[97:98], 1.0
                                        ; implicit-def: $vgpr97_vgpr98
	v_mul_f64 v[101:102], v[101:102], v[103:104]
	v_xor_b32_e32 v104, 0x80000000, v104
.LBB111_104:
	s_andn2_saveexec_b64 s[2:3], s[2:3]
	s_cbranch_execz .LBB111_106
; %bb.105:
	v_div_scale_f64 v[101:102], s[6:7], v[97:98], v[97:98], v[99:100]
	v_rcp_f64_e32 v[103:104], v[101:102]
	v_fma_f64 v[105:106], -v[101:102], v[103:104], 1.0
	v_fma_f64 v[103:104], v[103:104], v[105:106], v[103:104]
	v_div_scale_f64 v[105:106], vcc, v[99:100], v[97:98], v[99:100]
	v_fma_f64 v[107:108], -v[101:102], v[103:104], 1.0
	v_fma_f64 v[103:104], v[103:104], v[107:108], v[103:104]
	v_mul_f64 v[107:108], v[105:106], v[103:104]
	v_fma_f64 v[101:102], -v[101:102], v[107:108], v[105:106]
	v_div_fmas_f64 v[101:102], v[101:102], v[103:104], v[107:108]
	v_div_fixup_f64 v[103:104], v[101:102], v[97:98], v[99:100]
	v_fma_f64 v[97:98], v[99:100], v[103:104], v[97:98]
	v_div_scale_f64 v[99:100], s[6:7], v[97:98], v[97:98], 1.0
	v_div_scale_f64 v[107:108], vcc, 1.0, v[97:98], 1.0
	v_rcp_f64_e32 v[101:102], v[99:100]
	v_fma_f64 v[105:106], -v[99:100], v[101:102], 1.0
	v_fma_f64 v[101:102], v[101:102], v[105:106], v[101:102]
	v_fma_f64 v[105:106], -v[99:100], v[101:102], 1.0
	v_fma_f64 v[101:102], v[101:102], v[105:106], v[101:102]
	v_mul_f64 v[105:106], v[107:108], v[101:102]
	v_fma_f64 v[99:100], -v[99:100], v[105:106], v[107:108]
	v_div_fmas_f64 v[99:100], v[99:100], v[101:102], v[105:106]
	v_div_fixup_f64 v[101:102], v[99:100], v[97:98], 1.0
	v_mul_f64 v[103:104], v[103:104], -v[101:102]
.LBB111_106:
	s_or_b64 exec, exec, s[2:3]
	ds_write2_b64 v127, v[101:102], v[103:104] offset1:1
.LBB111_107:
	s_or_b64 exec, exec, s[4:5]
	s_waitcnt lgkmcnt(0)
	s_barrier
	ds_read2_b64 v[87:90], v127 offset1:1
	v_cmp_lt_u32_e32 vcc, 11, v0
	s_waitcnt lgkmcnt(0)
	buffer_store_dword v87, off, s[20:23], 0 offset:1320 ; 4-byte Folded Spill
	s_nop 0
	buffer_store_dword v88, off, s[20:23], 0 offset:1324 ; 4-byte Folded Spill
	buffer_store_dword v89, off, s[20:23], 0 offset:1328 ; 4-byte Folded Spill
	;; [unrolled: 1-line block ×3, first 2 shown]
	s_and_saveexec_b64 s[2:3], vcc
	s_cbranch_execz .LBB111_109
; %bb.108:
	buffer_load_dword v107, off, s[20:23], 0 offset:512 ; 4-byte Folded Reload
	buffer_load_dword v108, off, s[20:23], 0 offset:516 ; 4-byte Folded Reload
	;; [unrolled: 1-line block ×8, first 2 shown]
	s_waitcnt vmcnt(2)
	v_mul_f64 v[99:100], v[87:88], v[109:110]
	s_waitcnt vmcnt(0)
	v_mul_f64 v[97:98], v[89:90], v[109:110]
	v_fma_f64 v[109:110], v[89:90], v[107:108], v[99:100]
	ds_read2_b64 v[99:102], v125 offset0:24 offset1:25
	v_fma_f64 v[97:98], v[87:88], v[107:108], -v[97:98]
	buffer_load_dword v105, off, s[20:23], 0 offset:496 ; 4-byte Folded Reload
	buffer_load_dword v106, off, s[20:23], 0 offset:500 ; 4-byte Folded Reload
	buffer_load_dword v107, off, s[20:23], 0 offset:504 ; 4-byte Folded Reload
	buffer_load_dword v108, off, s[20:23], 0 offset:508 ; 4-byte Folded Reload
	s_waitcnt lgkmcnt(0)
	v_mul_f64 v[103:104], v[101:102], v[109:110]
	v_fma_f64 v[103:104], v[99:100], v[97:98], -v[103:104]
	v_mul_f64 v[99:100], v[99:100], v[109:110]
	v_fma_f64 v[99:100], v[101:102], v[97:98], v[99:100]
	s_waitcnt vmcnt(2)
	v_add_f64 v[105:106], v[105:106], -v[103:104]
	s_waitcnt vmcnt(0)
	v_add_f64 v[107:108], v[107:108], -v[99:100]
	buffer_store_dword v105, off, s[20:23], 0 offset:496 ; 4-byte Folded Spill
	s_nop 0
	buffer_store_dword v106, off, s[20:23], 0 offset:500 ; 4-byte Folded Spill
	buffer_store_dword v107, off, s[20:23], 0 offset:504 ; 4-byte Folded Spill
	buffer_store_dword v108, off, s[20:23], 0 offset:508 ; 4-byte Folded Spill
	ds_read2_b64 v[99:102], v125 offset0:26 offset1:27
	buffer_load_dword v105, off, s[20:23], 0 offset:480 ; 4-byte Folded Reload
	buffer_load_dword v106, off, s[20:23], 0 offset:484 ; 4-byte Folded Reload
	buffer_load_dword v107, off, s[20:23], 0 offset:488 ; 4-byte Folded Reload
	buffer_load_dword v108, off, s[20:23], 0 offset:492 ; 4-byte Folded Reload
	s_waitcnt lgkmcnt(0)
	v_mul_f64 v[103:104], v[101:102], v[109:110]
	v_fma_f64 v[103:104], v[99:100], v[97:98], -v[103:104]
	v_mul_f64 v[99:100], v[99:100], v[109:110]
	v_fma_f64 v[99:100], v[101:102], v[97:98], v[99:100]
	s_waitcnt vmcnt(2)
	v_add_f64 v[105:106], v[105:106], -v[103:104]
	s_waitcnt vmcnt(0)
	v_add_f64 v[107:108], v[107:108], -v[99:100]
	buffer_store_dword v105, off, s[20:23], 0 offset:480 ; 4-byte Folded Spill
	s_nop 0
	buffer_store_dword v106, off, s[20:23], 0 offset:484 ; 4-byte Folded Spill
	buffer_store_dword v107, off, s[20:23], 0 offset:488 ; 4-byte Folded Spill
	buffer_store_dword v108, off, s[20:23], 0 offset:492 ; 4-byte Folded Spill
	ds_read2_b64 v[99:102], v125 offset0:28 offset1:29
	buffer_load_dword v105, off, s[20:23], 0 offset:464 ; 4-byte Folded Reload
	buffer_load_dword v106, off, s[20:23], 0 offset:468 ; 4-byte Folded Reload
	buffer_load_dword v107, off, s[20:23], 0 offset:472 ; 4-byte Folded Reload
	buffer_load_dword v108, off, s[20:23], 0 offset:476 ; 4-byte Folded Reload
	s_waitcnt lgkmcnt(0)
	v_mul_f64 v[103:104], v[101:102], v[109:110]
	v_fma_f64 v[103:104], v[99:100], v[97:98], -v[103:104]
	v_mul_f64 v[99:100], v[99:100], v[109:110]
	v_fma_f64 v[99:100], v[101:102], v[97:98], v[99:100]
	s_waitcnt vmcnt(2)
	v_add_f64 v[105:106], v[105:106], -v[103:104]
	s_waitcnt vmcnt(0)
	v_add_f64 v[107:108], v[107:108], -v[99:100]
	buffer_store_dword v105, off, s[20:23], 0 offset:464 ; 4-byte Folded Spill
	s_nop 0
	buffer_store_dword v106, off, s[20:23], 0 offset:468 ; 4-byte Folded Spill
	buffer_store_dword v107, off, s[20:23], 0 offset:472 ; 4-byte Folded Spill
	buffer_store_dword v108, off, s[20:23], 0 offset:476 ; 4-byte Folded Spill
	ds_read2_b64 v[99:102], v125 offset0:30 offset1:31
	buffer_load_dword v105, off, s[20:23], 0 offset:448 ; 4-byte Folded Reload
	buffer_load_dword v106, off, s[20:23], 0 offset:452 ; 4-byte Folded Reload
	buffer_load_dword v107, off, s[20:23], 0 offset:456 ; 4-byte Folded Reload
	buffer_load_dword v108, off, s[20:23], 0 offset:460 ; 4-byte Folded Reload
	s_waitcnt lgkmcnt(0)
	v_mul_f64 v[103:104], v[101:102], v[109:110]
	v_fma_f64 v[103:104], v[99:100], v[97:98], -v[103:104]
	v_mul_f64 v[99:100], v[99:100], v[109:110]
	v_fma_f64 v[99:100], v[101:102], v[97:98], v[99:100]
	s_waitcnt vmcnt(2)
	v_add_f64 v[105:106], v[105:106], -v[103:104]
	s_waitcnt vmcnt(0)
	v_add_f64 v[107:108], v[107:108], -v[99:100]
	buffer_store_dword v105, off, s[20:23], 0 offset:448 ; 4-byte Folded Spill
	s_nop 0
	buffer_store_dword v106, off, s[20:23], 0 offset:452 ; 4-byte Folded Spill
	buffer_store_dword v107, off, s[20:23], 0 offset:456 ; 4-byte Folded Spill
	buffer_store_dword v108, off, s[20:23], 0 offset:460 ; 4-byte Folded Spill
	ds_read2_b64 v[99:102], v125 offset0:32 offset1:33
	buffer_load_dword v105, off, s[20:23], 0 offset:432 ; 4-byte Folded Reload
	buffer_load_dword v106, off, s[20:23], 0 offset:436 ; 4-byte Folded Reload
	buffer_load_dword v107, off, s[20:23], 0 offset:440 ; 4-byte Folded Reload
	buffer_load_dword v108, off, s[20:23], 0 offset:444 ; 4-byte Folded Reload
	s_waitcnt lgkmcnt(0)
	v_mul_f64 v[103:104], v[101:102], v[109:110]
	v_fma_f64 v[103:104], v[99:100], v[97:98], -v[103:104]
	v_mul_f64 v[99:100], v[99:100], v[109:110]
	v_fma_f64 v[99:100], v[101:102], v[97:98], v[99:100]
	s_waitcnt vmcnt(2)
	v_add_f64 v[105:106], v[105:106], -v[103:104]
	s_waitcnt vmcnt(0)
	v_add_f64 v[107:108], v[107:108], -v[99:100]
	buffer_store_dword v105, off, s[20:23], 0 offset:432 ; 4-byte Folded Spill
	s_nop 0
	buffer_store_dword v106, off, s[20:23], 0 offset:436 ; 4-byte Folded Spill
	buffer_store_dword v107, off, s[20:23], 0 offset:440 ; 4-byte Folded Spill
	buffer_store_dword v108, off, s[20:23], 0 offset:444 ; 4-byte Folded Spill
	ds_read2_b64 v[99:102], v125 offset0:34 offset1:35
	buffer_load_dword v105, off, s[20:23], 0 offset:416 ; 4-byte Folded Reload
	buffer_load_dword v106, off, s[20:23], 0 offset:420 ; 4-byte Folded Reload
	buffer_load_dword v107, off, s[20:23], 0 offset:424 ; 4-byte Folded Reload
	buffer_load_dword v108, off, s[20:23], 0 offset:428 ; 4-byte Folded Reload
	s_waitcnt lgkmcnt(0)
	v_mul_f64 v[103:104], v[101:102], v[109:110]
	v_fma_f64 v[103:104], v[99:100], v[97:98], -v[103:104]
	v_mul_f64 v[99:100], v[99:100], v[109:110]
	v_fma_f64 v[99:100], v[101:102], v[97:98], v[99:100]
	s_waitcnt vmcnt(2)
	v_add_f64 v[105:106], v[105:106], -v[103:104]
	s_waitcnt vmcnt(0)
	v_add_f64 v[107:108], v[107:108], -v[99:100]
	buffer_store_dword v105, off, s[20:23], 0 offset:416 ; 4-byte Folded Spill
	s_nop 0
	buffer_store_dword v106, off, s[20:23], 0 offset:420 ; 4-byte Folded Spill
	buffer_store_dword v107, off, s[20:23], 0 offset:424 ; 4-byte Folded Spill
	buffer_store_dword v108, off, s[20:23], 0 offset:428 ; 4-byte Folded Spill
	ds_read2_b64 v[99:102], v125 offset0:36 offset1:37
	buffer_load_dword v105, off, s[20:23], 0 offset:400 ; 4-byte Folded Reload
	buffer_load_dword v106, off, s[20:23], 0 offset:404 ; 4-byte Folded Reload
	buffer_load_dword v107, off, s[20:23], 0 offset:408 ; 4-byte Folded Reload
	buffer_load_dword v108, off, s[20:23], 0 offset:412 ; 4-byte Folded Reload
	s_waitcnt lgkmcnt(0)
	v_mul_f64 v[103:104], v[101:102], v[109:110]
	v_fma_f64 v[103:104], v[99:100], v[97:98], -v[103:104]
	v_mul_f64 v[99:100], v[99:100], v[109:110]
	v_fma_f64 v[99:100], v[101:102], v[97:98], v[99:100]
	s_waitcnt vmcnt(2)
	v_add_f64 v[105:106], v[105:106], -v[103:104]
	s_waitcnt vmcnt(0)
	v_add_f64 v[107:108], v[107:108], -v[99:100]
	buffer_store_dword v105, off, s[20:23], 0 offset:400 ; 4-byte Folded Spill
	s_nop 0
	buffer_store_dword v106, off, s[20:23], 0 offset:404 ; 4-byte Folded Spill
	buffer_store_dword v107, off, s[20:23], 0 offset:408 ; 4-byte Folded Spill
	buffer_store_dword v108, off, s[20:23], 0 offset:412 ; 4-byte Folded Spill
	ds_read2_b64 v[99:102], v125 offset0:38 offset1:39
	buffer_load_dword v105, off, s[20:23], 0 offset:384 ; 4-byte Folded Reload
	buffer_load_dword v106, off, s[20:23], 0 offset:388 ; 4-byte Folded Reload
	buffer_load_dword v107, off, s[20:23], 0 offset:392 ; 4-byte Folded Reload
	buffer_load_dword v108, off, s[20:23], 0 offset:396 ; 4-byte Folded Reload
	s_waitcnt lgkmcnt(0)
	v_mul_f64 v[103:104], v[101:102], v[109:110]
	v_fma_f64 v[103:104], v[99:100], v[97:98], -v[103:104]
	v_mul_f64 v[99:100], v[99:100], v[109:110]
	v_fma_f64 v[99:100], v[101:102], v[97:98], v[99:100]
	s_waitcnt vmcnt(2)
	v_add_f64 v[105:106], v[105:106], -v[103:104]
	s_waitcnt vmcnt(0)
	v_add_f64 v[107:108], v[107:108], -v[99:100]
	buffer_store_dword v105, off, s[20:23], 0 offset:384 ; 4-byte Folded Spill
	s_nop 0
	buffer_store_dword v106, off, s[20:23], 0 offset:388 ; 4-byte Folded Spill
	buffer_store_dword v107, off, s[20:23], 0 offset:392 ; 4-byte Folded Spill
	buffer_store_dword v108, off, s[20:23], 0 offset:396 ; 4-byte Folded Spill
	ds_read2_b64 v[99:102], v125 offset0:40 offset1:41
	buffer_load_dword v105, off, s[20:23], 0 offset:368 ; 4-byte Folded Reload
	buffer_load_dword v106, off, s[20:23], 0 offset:372 ; 4-byte Folded Reload
	buffer_load_dword v107, off, s[20:23], 0 offset:376 ; 4-byte Folded Reload
	buffer_load_dword v108, off, s[20:23], 0 offset:380 ; 4-byte Folded Reload
	s_waitcnt lgkmcnt(0)
	v_mul_f64 v[103:104], v[101:102], v[109:110]
	v_fma_f64 v[103:104], v[99:100], v[97:98], -v[103:104]
	v_mul_f64 v[99:100], v[99:100], v[109:110]
	v_fma_f64 v[99:100], v[101:102], v[97:98], v[99:100]
	s_waitcnt vmcnt(2)
	v_add_f64 v[105:106], v[105:106], -v[103:104]
	s_waitcnt vmcnt(0)
	v_add_f64 v[107:108], v[107:108], -v[99:100]
	buffer_store_dword v105, off, s[20:23], 0 offset:368 ; 4-byte Folded Spill
	s_nop 0
	buffer_store_dword v106, off, s[20:23], 0 offset:372 ; 4-byte Folded Spill
	buffer_store_dword v107, off, s[20:23], 0 offset:376 ; 4-byte Folded Spill
	buffer_store_dword v108, off, s[20:23], 0 offset:380 ; 4-byte Folded Spill
	ds_read2_b64 v[99:102], v125 offset0:42 offset1:43
	buffer_load_dword v105, off, s[20:23], 0 offset:352 ; 4-byte Folded Reload
	buffer_load_dword v106, off, s[20:23], 0 offset:356 ; 4-byte Folded Reload
	buffer_load_dword v107, off, s[20:23], 0 offset:360 ; 4-byte Folded Reload
	buffer_load_dword v108, off, s[20:23], 0 offset:364 ; 4-byte Folded Reload
	s_waitcnt lgkmcnt(0)
	v_mul_f64 v[103:104], v[101:102], v[109:110]
	v_fma_f64 v[103:104], v[99:100], v[97:98], -v[103:104]
	v_mul_f64 v[99:100], v[99:100], v[109:110]
	v_fma_f64 v[99:100], v[101:102], v[97:98], v[99:100]
	s_waitcnt vmcnt(2)
	v_add_f64 v[105:106], v[105:106], -v[103:104]
	s_waitcnt vmcnt(0)
	v_add_f64 v[107:108], v[107:108], -v[99:100]
	buffer_store_dword v105, off, s[20:23], 0 offset:352 ; 4-byte Folded Spill
	s_nop 0
	buffer_store_dword v106, off, s[20:23], 0 offset:356 ; 4-byte Folded Spill
	buffer_store_dword v107, off, s[20:23], 0 offset:360 ; 4-byte Folded Spill
	buffer_store_dword v108, off, s[20:23], 0 offset:364 ; 4-byte Folded Spill
	ds_read2_b64 v[99:102], v125 offset0:44 offset1:45
	buffer_load_dword v105, off, s[20:23], 0 offset:336 ; 4-byte Folded Reload
	buffer_load_dword v106, off, s[20:23], 0 offset:340 ; 4-byte Folded Reload
	buffer_load_dword v107, off, s[20:23], 0 offset:344 ; 4-byte Folded Reload
	buffer_load_dword v108, off, s[20:23], 0 offset:348 ; 4-byte Folded Reload
	s_waitcnt lgkmcnt(0)
	v_mul_f64 v[103:104], v[101:102], v[109:110]
	v_fma_f64 v[103:104], v[99:100], v[97:98], -v[103:104]
	v_mul_f64 v[99:100], v[99:100], v[109:110]
	v_fma_f64 v[99:100], v[101:102], v[97:98], v[99:100]
	s_waitcnt vmcnt(2)
	v_add_f64 v[105:106], v[105:106], -v[103:104]
	s_waitcnt vmcnt(0)
	v_add_f64 v[107:108], v[107:108], -v[99:100]
	buffer_store_dword v105, off, s[20:23], 0 offset:336 ; 4-byte Folded Spill
	s_nop 0
	buffer_store_dword v106, off, s[20:23], 0 offset:340 ; 4-byte Folded Spill
	buffer_store_dword v107, off, s[20:23], 0 offset:344 ; 4-byte Folded Spill
	buffer_store_dword v108, off, s[20:23], 0 offset:348 ; 4-byte Folded Spill
	ds_read2_b64 v[99:102], v125 offset0:46 offset1:47
	buffer_load_dword v105, off, s[20:23], 0 offset:320 ; 4-byte Folded Reload
	buffer_load_dword v106, off, s[20:23], 0 offset:324 ; 4-byte Folded Reload
	buffer_load_dword v107, off, s[20:23], 0 offset:328 ; 4-byte Folded Reload
	buffer_load_dword v108, off, s[20:23], 0 offset:332 ; 4-byte Folded Reload
	s_waitcnt lgkmcnt(0)
	v_mul_f64 v[103:104], v[101:102], v[109:110]
	v_fma_f64 v[103:104], v[99:100], v[97:98], -v[103:104]
	v_mul_f64 v[99:100], v[99:100], v[109:110]
	v_fma_f64 v[99:100], v[101:102], v[97:98], v[99:100]
	s_waitcnt vmcnt(2)
	v_add_f64 v[105:106], v[105:106], -v[103:104]
	s_waitcnt vmcnt(0)
	v_add_f64 v[107:108], v[107:108], -v[99:100]
	buffer_store_dword v105, off, s[20:23], 0 offset:320 ; 4-byte Folded Spill
	s_nop 0
	buffer_store_dword v106, off, s[20:23], 0 offset:324 ; 4-byte Folded Spill
	buffer_store_dword v107, off, s[20:23], 0 offset:328 ; 4-byte Folded Spill
	buffer_store_dword v108, off, s[20:23], 0 offset:332 ; 4-byte Folded Spill
	ds_read2_b64 v[99:102], v125 offset0:48 offset1:49
	buffer_load_dword v105, off, s[20:23], 0 offset:304 ; 4-byte Folded Reload
	buffer_load_dword v106, off, s[20:23], 0 offset:308 ; 4-byte Folded Reload
	buffer_load_dword v107, off, s[20:23], 0 offset:312 ; 4-byte Folded Reload
	buffer_load_dword v108, off, s[20:23], 0 offset:316 ; 4-byte Folded Reload
	s_waitcnt lgkmcnt(0)
	v_mul_f64 v[103:104], v[101:102], v[109:110]
	v_fma_f64 v[103:104], v[99:100], v[97:98], -v[103:104]
	v_mul_f64 v[99:100], v[99:100], v[109:110]
	v_fma_f64 v[99:100], v[101:102], v[97:98], v[99:100]
	s_waitcnt vmcnt(2)
	v_add_f64 v[105:106], v[105:106], -v[103:104]
	s_waitcnt vmcnt(0)
	v_add_f64 v[107:108], v[107:108], -v[99:100]
	buffer_store_dword v105, off, s[20:23], 0 offset:304 ; 4-byte Folded Spill
	s_nop 0
	buffer_store_dword v106, off, s[20:23], 0 offset:308 ; 4-byte Folded Spill
	buffer_store_dword v107, off, s[20:23], 0 offset:312 ; 4-byte Folded Spill
	buffer_store_dword v108, off, s[20:23], 0 offset:316 ; 4-byte Folded Spill
	ds_read2_b64 v[99:102], v125 offset0:50 offset1:51
	buffer_load_dword v105, off, s[20:23], 0 offset:288 ; 4-byte Folded Reload
	buffer_load_dword v106, off, s[20:23], 0 offset:292 ; 4-byte Folded Reload
	buffer_load_dword v107, off, s[20:23], 0 offset:296 ; 4-byte Folded Reload
	buffer_load_dword v108, off, s[20:23], 0 offset:300 ; 4-byte Folded Reload
	s_waitcnt lgkmcnt(0)
	v_mul_f64 v[103:104], v[101:102], v[109:110]
	v_fma_f64 v[103:104], v[99:100], v[97:98], -v[103:104]
	v_mul_f64 v[99:100], v[99:100], v[109:110]
	v_fma_f64 v[99:100], v[101:102], v[97:98], v[99:100]
	s_waitcnt vmcnt(2)
	v_add_f64 v[105:106], v[105:106], -v[103:104]
	s_waitcnt vmcnt(0)
	v_add_f64 v[107:108], v[107:108], -v[99:100]
	buffer_store_dword v105, off, s[20:23], 0 offset:288 ; 4-byte Folded Spill
	s_nop 0
	buffer_store_dword v106, off, s[20:23], 0 offset:292 ; 4-byte Folded Spill
	buffer_store_dword v107, off, s[20:23], 0 offset:296 ; 4-byte Folded Spill
	buffer_store_dword v108, off, s[20:23], 0 offset:300 ; 4-byte Folded Spill
	ds_read2_b64 v[99:102], v125 offset0:52 offset1:53
	buffer_load_dword v105, off, s[20:23], 0 offset:272 ; 4-byte Folded Reload
	buffer_load_dword v106, off, s[20:23], 0 offset:276 ; 4-byte Folded Reload
	buffer_load_dword v107, off, s[20:23], 0 offset:280 ; 4-byte Folded Reload
	buffer_load_dword v108, off, s[20:23], 0 offset:284 ; 4-byte Folded Reload
	s_waitcnt lgkmcnt(0)
	v_mul_f64 v[103:104], v[101:102], v[109:110]
	v_fma_f64 v[103:104], v[99:100], v[97:98], -v[103:104]
	v_mul_f64 v[99:100], v[99:100], v[109:110]
	v_fma_f64 v[99:100], v[101:102], v[97:98], v[99:100]
	s_waitcnt vmcnt(2)
	v_add_f64 v[105:106], v[105:106], -v[103:104]
	s_waitcnt vmcnt(0)
	v_add_f64 v[107:108], v[107:108], -v[99:100]
	buffer_store_dword v105, off, s[20:23], 0 offset:272 ; 4-byte Folded Spill
	s_nop 0
	buffer_store_dword v106, off, s[20:23], 0 offset:276 ; 4-byte Folded Spill
	buffer_store_dword v107, off, s[20:23], 0 offset:280 ; 4-byte Folded Spill
	buffer_store_dword v108, off, s[20:23], 0 offset:284 ; 4-byte Folded Spill
	ds_read2_b64 v[99:102], v125 offset0:54 offset1:55
	buffer_load_dword v105, off, s[20:23], 0 offset:256 ; 4-byte Folded Reload
	buffer_load_dword v106, off, s[20:23], 0 offset:260 ; 4-byte Folded Reload
	buffer_load_dword v107, off, s[20:23], 0 offset:264 ; 4-byte Folded Reload
	buffer_load_dword v108, off, s[20:23], 0 offset:268 ; 4-byte Folded Reload
	s_waitcnt lgkmcnt(0)
	v_mul_f64 v[103:104], v[101:102], v[109:110]
	v_fma_f64 v[103:104], v[99:100], v[97:98], -v[103:104]
	v_mul_f64 v[99:100], v[99:100], v[109:110]
	v_fma_f64 v[99:100], v[101:102], v[97:98], v[99:100]
	s_waitcnt vmcnt(2)
	v_add_f64 v[105:106], v[105:106], -v[103:104]
	s_waitcnt vmcnt(0)
	v_add_f64 v[107:108], v[107:108], -v[99:100]
	buffer_store_dword v105, off, s[20:23], 0 offset:256 ; 4-byte Folded Spill
	s_nop 0
	buffer_store_dword v106, off, s[20:23], 0 offset:260 ; 4-byte Folded Spill
	buffer_store_dword v107, off, s[20:23], 0 offset:264 ; 4-byte Folded Spill
	buffer_store_dword v108, off, s[20:23], 0 offset:268 ; 4-byte Folded Spill
	ds_read2_b64 v[99:102], v125 offset0:56 offset1:57
	buffer_load_dword v105, off, s[20:23], 0 offset:240 ; 4-byte Folded Reload
	buffer_load_dword v106, off, s[20:23], 0 offset:244 ; 4-byte Folded Reload
	buffer_load_dword v107, off, s[20:23], 0 offset:248 ; 4-byte Folded Reload
	buffer_load_dword v108, off, s[20:23], 0 offset:252 ; 4-byte Folded Reload
	s_waitcnt lgkmcnt(0)
	v_mul_f64 v[103:104], v[101:102], v[109:110]
	v_fma_f64 v[103:104], v[99:100], v[97:98], -v[103:104]
	v_mul_f64 v[99:100], v[99:100], v[109:110]
	v_fma_f64 v[99:100], v[101:102], v[97:98], v[99:100]
	s_waitcnt vmcnt(2)
	v_add_f64 v[105:106], v[105:106], -v[103:104]
	s_waitcnt vmcnt(0)
	v_add_f64 v[107:108], v[107:108], -v[99:100]
	buffer_store_dword v105, off, s[20:23], 0 offset:240 ; 4-byte Folded Spill
	s_nop 0
	buffer_store_dword v106, off, s[20:23], 0 offset:244 ; 4-byte Folded Spill
	buffer_store_dword v107, off, s[20:23], 0 offset:248 ; 4-byte Folded Spill
	buffer_store_dword v108, off, s[20:23], 0 offset:252 ; 4-byte Folded Spill
	ds_read2_b64 v[99:102], v125 offset0:58 offset1:59
	buffer_load_dword v105, off, s[20:23], 0 offset:224 ; 4-byte Folded Reload
	buffer_load_dword v106, off, s[20:23], 0 offset:228 ; 4-byte Folded Reload
	buffer_load_dword v107, off, s[20:23], 0 offset:232 ; 4-byte Folded Reload
	buffer_load_dword v108, off, s[20:23], 0 offset:236 ; 4-byte Folded Reload
	s_waitcnt lgkmcnt(0)
	v_mul_f64 v[103:104], v[101:102], v[109:110]
	v_fma_f64 v[103:104], v[99:100], v[97:98], -v[103:104]
	v_mul_f64 v[99:100], v[99:100], v[109:110]
	v_fma_f64 v[99:100], v[101:102], v[97:98], v[99:100]
	s_waitcnt vmcnt(2)
	v_add_f64 v[105:106], v[105:106], -v[103:104]
	s_waitcnt vmcnt(0)
	v_add_f64 v[107:108], v[107:108], -v[99:100]
	buffer_store_dword v105, off, s[20:23], 0 offset:224 ; 4-byte Folded Spill
	s_nop 0
	buffer_store_dword v106, off, s[20:23], 0 offset:228 ; 4-byte Folded Spill
	buffer_store_dword v107, off, s[20:23], 0 offset:232 ; 4-byte Folded Spill
	buffer_store_dword v108, off, s[20:23], 0 offset:236 ; 4-byte Folded Spill
	ds_read2_b64 v[99:102], v125 offset0:60 offset1:61
	buffer_load_dword v105, off, s[20:23], 0 offset:208 ; 4-byte Folded Reload
	buffer_load_dword v106, off, s[20:23], 0 offset:212 ; 4-byte Folded Reload
	buffer_load_dword v107, off, s[20:23], 0 offset:216 ; 4-byte Folded Reload
	buffer_load_dword v108, off, s[20:23], 0 offset:220 ; 4-byte Folded Reload
	s_waitcnt lgkmcnt(0)
	v_mul_f64 v[103:104], v[101:102], v[109:110]
	v_fma_f64 v[103:104], v[99:100], v[97:98], -v[103:104]
	v_mul_f64 v[99:100], v[99:100], v[109:110]
	v_fma_f64 v[99:100], v[101:102], v[97:98], v[99:100]
	s_waitcnt vmcnt(2)
	v_add_f64 v[105:106], v[105:106], -v[103:104]
	s_waitcnt vmcnt(0)
	v_add_f64 v[107:108], v[107:108], -v[99:100]
	buffer_store_dword v105, off, s[20:23], 0 offset:208 ; 4-byte Folded Spill
	s_nop 0
	buffer_store_dword v106, off, s[20:23], 0 offset:212 ; 4-byte Folded Spill
	buffer_store_dword v107, off, s[20:23], 0 offset:216 ; 4-byte Folded Spill
	buffer_store_dword v108, off, s[20:23], 0 offset:220 ; 4-byte Folded Spill
	ds_read2_b64 v[99:102], v125 offset0:62 offset1:63
	buffer_load_dword v105, off, s[20:23], 0 offset:192 ; 4-byte Folded Reload
	buffer_load_dword v106, off, s[20:23], 0 offset:196 ; 4-byte Folded Reload
	buffer_load_dword v107, off, s[20:23], 0 offset:200 ; 4-byte Folded Reload
	buffer_load_dword v108, off, s[20:23], 0 offset:204 ; 4-byte Folded Reload
	s_waitcnt lgkmcnt(0)
	v_mul_f64 v[103:104], v[101:102], v[109:110]
	v_fma_f64 v[103:104], v[99:100], v[97:98], -v[103:104]
	v_mul_f64 v[99:100], v[99:100], v[109:110]
	v_fma_f64 v[99:100], v[101:102], v[97:98], v[99:100]
	s_waitcnt vmcnt(2)
	v_add_f64 v[105:106], v[105:106], -v[103:104]
	s_waitcnt vmcnt(0)
	v_add_f64 v[107:108], v[107:108], -v[99:100]
	buffer_store_dword v105, off, s[20:23], 0 offset:192 ; 4-byte Folded Spill
	s_nop 0
	buffer_store_dword v106, off, s[20:23], 0 offset:196 ; 4-byte Folded Spill
	buffer_store_dword v107, off, s[20:23], 0 offset:200 ; 4-byte Folded Spill
	buffer_store_dword v108, off, s[20:23], 0 offset:204 ; 4-byte Folded Spill
	ds_read2_b64 v[99:102], v125 offset0:64 offset1:65
	buffer_load_dword v105, off, s[20:23], 0 offset:176 ; 4-byte Folded Reload
	buffer_load_dword v106, off, s[20:23], 0 offset:180 ; 4-byte Folded Reload
	buffer_load_dword v107, off, s[20:23], 0 offset:184 ; 4-byte Folded Reload
	buffer_load_dword v108, off, s[20:23], 0 offset:188 ; 4-byte Folded Reload
	s_waitcnt lgkmcnt(0)
	v_mul_f64 v[103:104], v[101:102], v[109:110]
	v_fma_f64 v[103:104], v[99:100], v[97:98], -v[103:104]
	v_mul_f64 v[99:100], v[99:100], v[109:110]
	v_fma_f64 v[99:100], v[101:102], v[97:98], v[99:100]
	s_waitcnt vmcnt(2)
	v_add_f64 v[105:106], v[105:106], -v[103:104]
	s_waitcnt vmcnt(0)
	v_add_f64 v[107:108], v[107:108], -v[99:100]
	buffer_store_dword v105, off, s[20:23], 0 offset:176 ; 4-byte Folded Spill
	s_nop 0
	buffer_store_dword v106, off, s[20:23], 0 offset:180 ; 4-byte Folded Spill
	buffer_store_dword v107, off, s[20:23], 0 offset:184 ; 4-byte Folded Spill
	buffer_store_dword v108, off, s[20:23], 0 offset:188 ; 4-byte Folded Spill
	ds_read2_b64 v[99:102], v125 offset0:66 offset1:67
	v_mov_b32_e32 v108, v98
	v_mov_b32_e32 v107, v97
	s_waitcnt lgkmcnt(0)
	v_mul_f64 v[103:104], v[101:102], v[109:110]
	v_fma_f64 v[103:104], v[99:100], v[97:98], -v[103:104]
	v_mul_f64 v[99:100], v[99:100], v[109:110]
	v_add_f64 v[91:92], v[91:92], -v[103:104]
	v_fma_f64 v[99:100], v[101:102], v[97:98], v[99:100]
	v_add_f64 v[93:94], v[93:94], -v[99:100]
	ds_read2_b64 v[99:102], v125 offset0:68 offset1:69
	buffer_load_dword v77, off, s[20:23], 0 offset:160 ; 4-byte Folded Reload
	buffer_load_dword v78, off, s[20:23], 0 offset:164 ; 4-byte Folded Reload
	buffer_load_dword v79, off, s[20:23], 0 offset:168 ; 4-byte Folded Reload
	buffer_load_dword v80, off, s[20:23], 0 offset:172 ; 4-byte Folded Reload
	s_waitcnt lgkmcnt(0)
	v_mul_f64 v[103:104], v[101:102], v[109:110]
	v_fma_f64 v[103:104], v[99:100], v[97:98], -v[103:104]
	v_mul_f64 v[99:100], v[99:100], v[109:110]
	v_fma_f64 v[99:100], v[101:102], v[97:98], v[99:100]
	s_waitcnt vmcnt(2)
	v_add_f64 v[77:78], v[77:78], -v[103:104]
	s_waitcnt vmcnt(0)
	v_add_f64 v[79:80], v[79:80], -v[99:100]
	buffer_store_dword v77, off, s[20:23], 0 offset:160 ; 4-byte Folded Spill
	s_nop 0
	buffer_store_dword v78, off, s[20:23], 0 offset:164 ; 4-byte Folded Spill
	buffer_store_dword v79, off, s[20:23], 0 offset:168 ; 4-byte Folded Spill
	buffer_store_dword v80, off, s[20:23], 0 offset:172 ; 4-byte Folded Spill
	ds_read2_b64 v[99:102], v125 offset0:70 offset1:71
	buffer_load_dword v77, off, s[20:23], 0 offset:144 ; 4-byte Folded Reload
	buffer_load_dword v78, off, s[20:23], 0 offset:148 ; 4-byte Folded Reload
	buffer_load_dword v79, off, s[20:23], 0 offset:152 ; 4-byte Folded Reload
	buffer_load_dword v80, off, s[20:23], 0 offset:156 ; 4-byte Folded Reload
	s_waitcnt lgkmcnt(0)
	v_mul_f64 v[103:104], v[101:102], v[109:110]
	v_fma_f64 v[103:104], v[99:100], v[97:98], -v[103:104]
	v_mul_f64 v[99:100], v[99:100], v[109:110]
	v_fma_f64 v[99:100], v[101:102], v[97:98], v[99:100]
	s_waitcnt vmcnt(2)
	v_add_f64 v[77:78], v[77:78], -v[103:104]
	s_waitcnt vmcnt(0)
	v_add_f64 v[79:80], v[79:80], -v[99:100]
	buffer_store_dword v77, off, s[20:23], 0 offset:144 ; 4-byte Folded Spill
	s_nop 0
	buffer_store_dword v78, off, s[20:23], 0 offset:148 ; 4-byte Folded Spill
	buffer_store_dword v79, off, s[20:23], 0 offset:152 ; 4-byte Folded Spill
	buffer_store_dword v80, off, s[20:23], 0 offset:156 ; 4-byte Folded Spill
	;; [unrolled: 19-line block ×10, first 2 shown]
	ds_read2_b64 v[99:102], v125 offset0:88 offset1:89
	buffer_load_dword v41, off, s[20:23], 0 ; 4-byte Folded Reload
	buffer_load_dword v42, off, s[20:23], 0 offset:4 ; 4-byte Folded Reload
	buffer_load_dword v43, off, s[20:23], 0 offset:8 ; 4-byte Folded Reload
	;; [unrolled: 1-line block ×3, first 2 shown]
	s_waitcnt lgkmcnt(0)
	v_mul_f64 v[103:104], v[101:102], v[109:110]
	v_fma_f64 v[103:104], v[99:100], v[97:98], -v[103:104]
	v_mul_f64 v[99:100], v[99:100], v[109:110]
	v_fma_f64 v[99:100], v[101:102], v[97:98], v[99:100]
	s_waitcnt vmcnt(2)
	v_add_f64 v[41:42], v[41:42], -v[103:104]
	s_waitcnt vmcnt(0)
	v_add_f64 v[43:44], v[43:44], -v[99:100]
	buffer_store_dword v41, off, s[20:23], 0 ; 4-byte Folded Spill
	s_nop 0
	buffer_store_dword v42, off, s[20:23], 0 offset:4 ; 4-byte Folded Spill
	buffer_store_dword v43, off, s[20:23], 0 offset:8 ; 4-byte Folded Spill
	;; [unrolled: 1-line block ×3, first 2 shown]
	ds_read2_b64 v[99:102], v125 offset0:90 offset1:91
	s_waitcnt lgkmcnt(0)
	v_mul_f64 v[103:104], v[101:102], v[109:110]
	v_fma_f64 v[103:104], v[99:100], v[97:98], -v[103:104]
	v_mul_f64 v[99:100], v[99:100], v[109:110]
	v_add_f64 v[37:38], v[37:38], -v[103:104]
	v_fma_f64 v[99:100], v[101:102], v[97:98], v[99:100]
	v_add_f64 v[39:40], v[39:40], -v[99:100]
	ds_read2_b64 v[99:102], v125 offset0:92 offset1:93
	s_waitcnt lgkmcnt(0)
	v_mul_f64 v[103:104], v[101:102], v[109:110]
	v_fma_f64 v[103:104], v[99:100], v[97:98], -v[103:104]
	v_mul_f64 v[99:100], v[99:100], v[109:110]
	v_add_f64 v[33:34], v[33:34], -v[103:104]
	v_fma_f64 v[99:100], v[101:102], v[97:98], v[99:100]
	v_add_f64 v[35:36], v[35:36], -v[99:100]
	;; [unrolled: 8-line block ×9, first 2 shown]
	ds_read2_b64 v[99:102], v125 offset0:108 offset1:109
	s_waitcnt lgkmcnt(0)
	v_mul_f64 v[103:104], v[101:102], v[109:110]
	v_fma_f64 v[103:104], v[99:100], v[97:98], -v[103:104]
	v_mul_f64 v[99:100], v[99:100], v[109:110]
	v_add_f64 v[1:2], v[1:2], -v[103:104]
	v_fma_f64 v[99:100], v[101:102], v[97:98], v[99:100]
	ds_read2_b64 v[101:104], v125 offset0:110 offset1:111
	v_add_f64 v[3:4], v[3:4], -v[99:100]
	s_waitcnt lgkmcnt(0)
	v_mul_f64 v[99:100], v[103:104], v[109:110]
	v_fma_f64 v[99:100], v[101:102], v[97:98], -v[99:100]
	v_mul_f64 v[101:102], v[101:102], v[109:110]
	buffer_store_dword v107, off, s[20:23], 0 offset:512 ; 4-byte Folded Spill
	s_nop 0
	buffer_store_dword v108, off, s[20:23], 0 offset:516 ; 4-byte Folded Spill
	buffer_store_dword v109, off, s[20:23], 0 offset:520 ; 4-byte Folded Spill
	;; [unrolled: 1-line block ×3, first 2 shown]
	v_add_f64 v[121:122], v[121:122], -v[99:100]
	v_fma_f64 v[101:102], v[103:104], v[97:98], v[101:102]
	v_add_f64 v[123:124], v[123:124], -v[101:102]
.LBB111_109:
	s_or_b64 exec, exec, s[2:3]
	v_cmp_eq_u32_e32 vcc, 12, v0
	s_waitcnt vmcnt(0)
	s_barrier
	s_and_saveexec_b64 s[4:5], vcc
	s_cbranch_execz .LBB111_116
; %bb.110:
	buffer_load_dword v95, off, s[20:23], 0 offset:496 ; 4-byte Folded Reload
	buffer_load_dword v96, off, s[20:23], 0 offset:500 ; 4-byte Folded Reload
	;; [unrolled: 1-line block ×4, first 2 shown]
	s_waitcnt vmcnt(0)
	ds_write2_b64 v127, v[95:96], v[97:98] offset1:1
	buffer_load_dword v95, off, s[20:23], 0 offset:480 ; 4-byte Folded Reload
	buffer_load_dword v96, off, s[20:23], 0 offset:484 ; 4-byte Folded Reload
	buffer_load_dword v97, off, s[20:23], 0 offset:488 ; 4-byte Folded Reload
	buffer_load_dword v98, off, s[20:23], 0 offset:492 ; 4-byte Folded Reload
	s_waitcnt vmcnt(0)
	ds_write2_b64 v125, v[95:96], v[97:98] offset0:26 offset1:27
	buffer_load_dword v95, off, s[20:23], 0 offset:464 ; 4-byte Folded Reload
	buffer_load_dword v96, off, s[20:23], 0 offset:468 ; 4-byte Folded Reload
	buffer_load_dword v97, off, s[20:23], 0 offset:472 ; 4-byte Folded Reload
	buffer_load_dword v98, off, s[20:23], 0 offset:476 ; 4-byte Folded Reload
	s_waitcnt vmcnt(0)
	ds_write2_b64 v125, v[95:96], v[97:98] offset0:28 offset1:29
	;; [unrolled: 6-line block ×20, first 2 shown]
	ds_write2_b64 v125, v[91:92], v[93:94] offset0:66 offset1:67
	buffer_load_dword v77, off, s[20:23], 0 offset:160 ; 4-byte Folded Reload
	buffer_load_dword v78, off, s[20:23], 0 offset:164 ; 4-byte Folded Reload
	buffer_load_dword v79, off, s[20:23], 0 offset:168 ; 4-byte Folded Reload
	buffer_load_dword v80, off, s[20:23], 0 offset:172 ; 4-byte Folded Reload
	s_waitcnt vmcnt(0)
	ds_write2_b64 v125, v[77:78], v[79:80] offset0:68 offset1:69
	buffer_load_dword v77, off, s[20:23], 0 offset:144 ; 4-byte Folded Reload
	buffer_load_dword v78, off, s[20:23], 0 offset:148 ; 4-byte Folded Reload
	buffer_load_dword v79, off, s[20:23], 0 offset:152 ; 4-byte Folded Reload
	buffer_load_dword v80, off, s[20:23], 0 offset:156 ; 4-byte Folded Reload
	s_waitcnt vmcnt(0)
	ds_write2_b64 v125, v[77:78], v[79:80] offset0:70 offset1:71
	buffer_load_dword v73, off, s[20:23], 0 offset:128 ; 4-byte Folded Reload
	buffer_load_dword v74, off, s[20:23], 0 offset:132 ; 4-byte Folded Reload
	buffer_load_dword v75, off, s[20:23], 0 offset:136 ; 4-byte Folded Reload
	buffer_load_dword v76, off, s[20:23], 0 offset:140 ; 4-byte Folded Reload
	s_waitcnt vmcnt(0)
	ds_write2_b64 v125, v[73:74], v[75:76] offset0:72 offset1:73
	buffer_load_dword v69, off, s[20:23], 0 offset:112 ; 4-byte Folded Reload
	buffer_load_dword v70, off, s[20:23], 0 offset:116 ; 4-byte Folded Reload
	buffer_load_dword v71, off, s[20:23], 0 offset:120 ; 4-byte Folded Reload
	buffer_load_dword v72, off, s[20:23], 0 offset:124 ; 4-byte Folded Reload
	s_waitcnt vmcnt(0)
	ds_write2_b64 v125, v[69:70], v[71:72] offset0:74 offset1:75
	buffer_load_dword v65, off, s[20:23], 0 offset:96 ; 4-byte Folded Reload
	buffer_load_dword v66, off, s[20:23], 0 offset:100 ; 4-byte Folded Reload
	buffer_load_dword v67, off, s[20:23], 0 offset:104 ; 4-byte Folded Reload
	buffer_load_dword v68, off, s[20:23], 0 offset:108 ; 4-byte Folded Reload
	s_waitcnt vmcnt(0)
	ds_write2_b64 v125, v[65:66], v[67:68] offset0:76 offset1:77
	buffer_load_dword v61, off, s[20:23], 0 offset:80 ; 4-byte Folded Reload
	buffer_load_dword v62, off, s[20:23], 0 offset:84 ; 4-byte Folded Reload
	buffer_load_dword v63, off, s[20:23], 0 offset:88 ; 4-byte Folded Reload
	buffer_load_dword v64, off, s[20:23], 0 offset:92 ; 4-byte Folded Reload
	s_waitcnt vmcnt(0)
	ds_write2_b64 v125, v[61:62], v[63:64] offset0:78 offset1:79
	buffer_load_dword v57, off, s[20:23], 0 offset:64 ; 4-byte Folded Reload
	buffer_load_dword v58, off, s[20:23], 0 offset:68 ; 4-byte Folded Reload
	buffer_load_dword v59, off, s[20:23], 0 offset:72 ; 4-byte Folded Reload
	buffer_load_dword v60, off, s[20:23], 0 offset:76 ; 4-byte Folded Reload
	s_waitcnt vmcnt(0)
	ds_write2_b64 v125, v[57:58], v[59:60] offset0:80 offset1:81
	buffer_load_dword v53, off, s[20:23], 0 offset:48 ; 4-byte Folded Reload
	buffer_load_dword v54, off, s[20:23], 0 offset:52 ; 4-byte Folded Reload
	buffer_load_dword v55, off, s[20:23], 0 offset:56 ; 4-byte Folded Reload
	buffer_load_dword v56, off, s[20:23], 0 offset:60 ; 4-byte Folded Reload
	s_waitcnt vmcnt(0)
	ds_write2_b64 v125, v[53:54], v[55:56] offset0:82 offset1:83
	buffer_load_dword v49, off, s[20:23], 0 offset:32 ; 4-byte Folded Reload
	buffer_load_dword v50, off, s[20:23], 0 offset:36 ; 4-byte Folded Reload
	buffer_load_dword v51, off, s[20:23], 0 offset:40 ; 4-byte Folded Reload
	buffer_load_dword v52, off, s[20:23], 0 offset:44 ; 4-byte Folded Reload
	s_waitcnt vmcnt(0)
	ds_write2_b64 v125, v[49:50], v[51:52] offset0:84 offset1:85
	buffer_load_dword v45, off, s[20:23], 0 offset:16 ; 4-byte Folded Reload
	buffer_load_dword v46, off, s[20:23], 0 offset:20 ; 4-byte Folded Reload
	buffer_load_dword v47, off, s[20:23], 0 offset:24 ; 4-byte Folded Reload
	buffer_load_dword v48, off, s[20:23], 0 offset:28 ; 4-byte Folded Reload
	s_waitcnt vmcnt(0)
	ds_write2_b64 v125, v[45:46], v[47:48] offset0:86 offset1:87
	buffer_load_dword v41, off, s[20:23], 0 ; 4-byte Folded Reload
	buffer_load_dword v42, off, s[20:23], 0 offset:4 ; 4-byte Folded Reload
	buffer_load_dword v43, off, s[20:23], 0 offset:8 ; 4-byte Folded Reload
	;; [unrolled: 1-line block ×3, first 2 shown]
	s_waitcnt vmcnt(0)
	ds_write2_b64 v125, v[41:42], v[43:44] offset0:88 offset1:89
	ds_write2_b64 v125, v[37:38], v[39:40] offset0:90 offset1:91
	;; [unrolled: 1-line block ×12, first 2 shown]
	ds_read2_b64 v[97:100], v127 offset1:1
	s_waitcnt lgkmcnt(0)
	v_cmp_neq_f64_e32 vcc, 0, v[97:98]
	v_cmp_neq_f64_e64 s[2:3], 0, v[99:100]
	s_or_b64 s[2:3], vcc, s[2:3]
	s_and_b64 exec, exec, s[2:3]
	s_cbranch_execz .LBB111_116
; %bb.111:
	v_cmp_ngt_f64_e64 s[2:3], |v[97:98]|, |v[99:100]|
                                        ; implicit-def: $vgpr101_vgpr102
	s_and_saveexec_b64 s[6:7], s[2:3]
	s_xor_b64 s[2:3], exec, s[6:7]
                                        ; implicit-def: $vgpr103_vgpr104
	s_cbranch_execz .LBB111_113
; %bb.112:
	v_div_scale_f64 v[101:102], s[6:7], v[99:100], v[99:100], v[97:98]
	v_rcp_f64_e32 v[103:104], v[101:102]
	v_fma_f64 v[105:106], -v[101:102], v[103:104], 1.0
	v_fma_f64 v[103:104], v[103:104], v[105:106], v[103:104]
	v_div_scale_f64 v[105:106], vcc, v[97:98], v[99:100], v[97:98]
	v_fma_f64 v[107:108], -v[101:102], v[103:104], 1.0
	v_fma_f64 v[103:104], v[103:104], v[107:108], v[103:104]
	v_mul_f64 v[107:108], v[105:106], v[103:104]
	v_fma_f64 v[101:102], -v[101:102], v[107:108], v[105:106]
	v_div_fmas_f64 v[101:102], v[101:102], v[103:104], v[107:108]
	v_div_fixup_f64 v[101:102], v[101:102], v[99:100], v[97:98]
	v_fma_f64 v[97:98], v[97:98], v[101:102], v[99:100]
	v_div_scale_f64 v[99:100], s[6:7], v[97:98], v[97:98], 1.0
	v_div_scale_f64 v[107:108], vcc, 1.0, v[97:98], 1.0
	v_rcp_f64_e32 v[103:104], v[99:100]
	v_fma_f64 v[105:106], -v[99:100], v[103:104], 1.0
	v_fma_f64 v[103:104], v[103:104], v[105:106], v[103:104]
	v_fma_f64 v[105:106], -v[99:100], v[103:104], 1.0
	v_fma_f64 v[103:104], v[103:104], v[105:106], v[103:104]
	v_mul_f64 v[105:106], v[107:108], v[103:104]
	v_fma_f64 v[99:100], -v[99:100], v[105:106], v[107:108]
	v_div_fmas_f64 v[99:100], v[99:100], v[103:104], v[105:106]
	v_div_fixup_f64 v[103:104], v[99:100], v[97:98], 1.0
                                        ; implicit-def: $vgpr97_vgpr98
	v_mul_f64 v[101:102], v[101:102], v[103:104]
	v_xor_b32_e32 v104, 0x80000000, v104
.LBB111_113:
	s_andn2_saveexec_b64 s[2:3], s[2:3]
	s_cbranch_execz .LBB111_115
; %bb.114:
	v_div_scale_f64 v[101:102], s[6:7], v[97:98], v[97:98], v[99:100]
	v_rcp_f64_e32 v[103:104], v[101:102]
	v_fma_f64 v[105:106], -v[101:102], v[103:104], 1.0
	v_fma_f64 v[103:104], v[103:104], v[105:106], v[103:104]
	v_div_scale_f64 v[105:106], vcc, v[99:100], v[97:98], v[99:100]
	v_fma_f64 v[107:108], -v[101:102], v[103:104], 1.0
	v_fma_f64 v[103:104], v[103:104], v[107:108], v[103:104]
	v_mul_f64 v[107:108], v[105:106], v[103:104]
	v_fma_f64 v[101:102], -v[101:102], v[107:108], v[105:106]
	v_div_fmas_f64 v[101:102], v[101:102], v[103:104], v[107:108]
	v_div_fixup_f64 v[103:104], v[101:102], v[97:98], v[99:100]
	v_fma_f64 v[97:98], v[99:100], v[103:104], v[97:98]
	v_div_scale_f64 v[99:100], s[6:7], v[97:98], v[97:98], 1.0
	v_div_scale_f64 v[107:108], vcc, 1.0, v[97:98], 1.0
	v_rcp_f64_e32 v[101:102], v[99:100]
	v_fma_f64 v[105:106], -v[99:100], v[101:102], 1.0
	v_fma_f64 v[101:102], v[101:102], v[105:106], v[101:102]
	v_fma_f64 v[105:106], -v[99:100], v[101:102], 1.0
	v_fma_f64 v[101:102], v[101:102], v[105:106], v[101:102]
	v_mul_f64 v[105:106], v[107:108], v[101:102]
	v_fma_f64 v[99:100], -v[99:100], v[105:106], v[107:108]
	v_div_fmas_f64 v[99:100], v[99:100], v[101:102], v[105:106]
	v_div_fixup_f64 v[101:102], v[99:100], v[97:98], 1.0
	v_mul_f64 v[103:104], v[103:104], -v[101:102]
.LBB111_115:
	s_or_b64 exec, exec, s[2:3]
	ds_write2_b64 v127, v[101:102], v[103:104] offset1:1
.LBB111_116:
	s_or_b64 exec, exec, s[4:5]
	s_waitcnt lgkmcnt(0)
	s_barrier
	ds_read2_b64 v[87:90], v127 offset1:1
	v_cmp_lt_u32_e32 vcc, 12, v0
	s_waitcnt lgkmcnt(0)
	buffer_store_dword v87, off, s[20:23], 0 offset:1336 ; 4-byte Folded Spill
	s_nop 0
	buffer_store_dword v88, off, s[20:23], 0 offset:1340 ; 4-byte Folded Spill
	buffer_store_dword v89, off, s[20:23], 0 offset:1344 ; 4-byte Folded Spill
	;; [unrolled: 1-line block ×3, first 2 shown]
	s_and_saveexec_b64 s[2:3], vcc
	s_cbranch_execz .LBB111_118
; %bb.117:
	buffer_load_dword v107, off, s[20:23], 0 offset:496 ; 4-byte Folded Reload
	buffer_load_dword v108, off, s[20:23], 0 offset:500 ; 4-byte Folded Reload
	;; [unrolled: 1-line block ×8, first 2 shown]
	s_waitcnt vmcnt(2)
	v_mul_f64 v[99:100], v[87:88], v[109:110]
	s_waitcnt vmcnt(0)
	v_mul_f64 v[97:98], v[89:90], v[109:110]
	v_fma_f64 v[109:110], v[89:90], v[107:108], v[99:100]
	ds_read2_b64 v[99:102], v125 offset0:26 offset1:27
	v_fma_f64 v[97:98], v[87:88], v[107:108], -v[97:98]
	buffer_load_dword v105, off, s[20:23], 0 offset:480 ; 4-byte Folded Reload
	buffer_load_dword v106, off, s[20:23], 0 offset:484 ; 4-byte Folded Reload
	buffer_load_dword v107, off, s[20:23], 0 offset:488 ; 4-byte Folded Reload
	buffer_load_dword v108, off, s[20:23], 0 offset:492 ; 4-byte Folded Reload
	s_waitcnt lgkmcnt(0)
	v_mul_f64 v[103:104], v[101:102], v[109:110]
	v_fma_f64 v[103:104], v[99:100], v[97:98], -v[103:104]
	v_mul_f64 v[99:100], v[99:100], v[109:110]
	v_fma_f64 v[99:100], v[101:102], v[97:98], v[99:100]
	s_waitcnt vmcnt(2)
	v_add_f64 v[105:106], v[105:106], -v[103:104]
	s_waitcnt vmcnt(0)
	v_add_f64 v[107:108], v[107:108], -v[99:100]
	buffer_store_dword v105, off, s[20:23], 0 offset:480 ; 4-byte Folded Spill
	s_nop 0
	buffer_store_dword v106, off, s[20:23], 0 offset:484 ; 4-byte Folded Spill
	buffer_store_dword v107, off, s[20:23], 0 offset:488 ; 4-byte Folded Spill
	buffer_store_dword v108, off, s[20:23], 0 offset:492 ; 4-byte Folded Spill
	ds_read2_b64 v[99:102], v125 offset0:28 offset1:29
	buffer_load_dword v105, off, s[20:23], 0 offset:464 ; 4-byte Folded Reload
	buffer_load_dword v106, off, s[20:23], 0 offset:468 ; 4-byte Folded Reload
	buffer_load_dword v107, off, s[20:23], 0 offset:472 ; 4-byte Folded Reload
	buffer_load_dword v108, off, s[20:23], 0 offset:476 ; 4-byte Folded Reload
	s_waitcnt lgkmcnt(0)
	v_mul_f64 v[103:104], v[101:102], v[109:110]
	v_fma_f64 v[103:104], v[99:100], v[97:98], -v[103:104]
	v_mul_f64 v[99:100], v[99:100], v[109:110]
	v_fma_f64 v[99:100], v[101:102], v[97:98], v[99:100]
	s_waitcnt vmcnt(2)
	v_add_f64 v[105:106], v[105:106], -v[103:104]
	s_waitcnt vmcnt(0)
	v_add_f64 v[107:108], v[107:108], -v[99:100]
	buffer_store_dword v105, off, s[20:23], 0 offset:464 ; 4-byte Folded Spill
	s_nop 0
	buffer_store_dword v106, off, s[20:23], 0 offset:468 ; 4-byte Folded Spill
	buffer_store_dword v107, off, s[20:23], 0 offset:472 ; 4-byte Folded Spill
	buffer_store_dword v108, off, s[20:23], 0 offset:476 ; 4-byte Folded Spill
	ds_read2_b64 v[99:102], v125 offset0:30 offset1:31
	;; [unrolled: 19-line block ×20, first 2 shown]
	v_mov_b32_e32 v108, v98
	v_mov_b32_e32 v107, v97
	s_waitcnt lgkmcnt(0)
	v_mul_f64 v[103:104], v[101:102], v[109:110]
	v_fma_f64 v[103:104], v[99:100], v[97:98], -v[103:104]
	v_mul_f64 v[99:100], v[99:100], v[109:110]
	v_add_f64 v[91:92], v[91:92], -v[103:104]
	v_fma_f64 v[99:100], v[101:102], v[97:98], v[99:100]
	v_add_f64 v[93:94], v[93:94], -v[99:100]
	ds_read2_b64 v[99:102], v125 offset0:68 offset1:69
	buffer_load_dword v77, off, s[20:23], 0 offset:160 ; 4-byte Folded Reload
	buffer_load_dword v78, off, s[20:23], 0 offset:164 ; 4-byte Folded Reload
	buffer_load_dword v79, off, s[20:23], 0 offset:168 ; 4-byte Folded Reload
	buffer_load_dword v80, off, s[20:23], 0 offset:172 ; 4-byte Folded Reload
	s_waitcnt lgkmcnt(0)
	v_mul_f64 v[103:104], v[101:102], v[109:110]
	v_fma_f64 v[103:104], v[99:100], v[97:98], -v[103:104]
	v_mul_f64 v[99:100], v[99:100], v[109:110]
	v_fma_f64 v[99:100], v[101:102], v[97:98], v[99:100]
	s_waitcnt vmcnt(2)
	v_add_f64 v[77:78], v[77:78], -v[103:104]
	s_waitcnt vmcnt(0)
	v_add_f64 v[79:80], v[79:80], -v[99:100]
	buffer_store_dword v77, off, s[20:23], 0 offset:160 ; 4-byte Folded Spill
	s_nop 0
	buffer_store_dword v78, off, s[20:23], 0 offset:164 ; 4-byte Folded Spill
	buffer_store_dword v79, off, s[20:23], 0 offset:168 ; 4-byte Folded Spill
	buffer_store_dword v80, off, s[20:23], 0 offset:172 ; 4-byte Folded Spill
	ds_read2_b64 v[99:102], v125 offset0:70 offset1:71
	buffer_load_dword v77, off, s[20:23], 0 offset:144 ; 4-byte Folded Reload
	buffer_load_dword v78, off, s[20:23], 0 offset:148 ; 4-byte Folded Reload
	buffer_load_dword v79, off, s[20:23], 0 offset:152 ; 4-byte Folded Reload
	buffer_load_dword v80, off, s[20:23], 0 offset:156 ; 4-byte Folded Reload
	s_waitcnt lgkmcnt(0)
	v_mul_f64 v[103:104], v[101:102], v[109:110]
	v_fma_f64 v[103:104], v[99:100], v[97:98], -v[103:104]
	v_mul_f64 v[99:100], v[99:100], v[109:110]
	v_fma_f64 v[99:100], v[101:102], v[97:98], v[99:100]
	s_waitcnt vmcnt(2)
	v_add_f64 v[77:78], v[77:78], -v[103:104]
	s_waitcnt vmcnt(0)
	v_add_f64 v[79:80], v[79:80], -v[99:100]
	buffer_store_dword v77, off, s[20:23], 0 offset:144 ; 4-byte Folded Spill
	s_nop 0
	buffer_store_dword v78, off, s[20:23], 0 offset:148 ; 4-byte Folded Spill
	buffer_store_dword v79, off, s[20:23], 0 offset:152 ; 4-byte Folded Spill
	buffer_store_dword v80, off, s[20:23], 0 offset:156 ; 4-byte Folded Spill
	ds_read2_b64 v[99:102], v125 offset0:72 offset1:73
	buffer_load_dword v73, off, s[20:23], 0 offset:128 ; 4-byte Folded Reload
	buffer_load_dword v74, off, s[20:23], 0 offset:132 ; 4-byte Folded Reload
	buffer_load_dword v75, off, s[20:23], 0 offset:136 ; 4-byte Folded Reload
	buffer_load_dword v76, off, s[20:23], 0 offset:140 ; 4-byte Folded Reload
	s_waitcnt lgkmcnt(0)
	v_mul_f64 v[103:104], v[101:102], v[109:110]
	v_fma_f64 v[103:104], v[99:100], v[97:98], -v[103:104]
	v_mul_f64 v[99:100], v[99:100], v[109:110]
	v_fma_f64 v[99:100], v[101:102], v[97:98], v[99:100]
	s_waitcnt vmcnt(2)
	v_add_f64 v[73:74], v[73:74], -v[103:104]
	s_waitcnt vmcnt(0)
	v_add_f64 v[75:76], v[75:76], -v[99:100]
	buffer_store_dword v73, off, s[20:23], 0 offset:128 ; 4-byte Folded Spill
	s_nop 0
	buffer_store_dword v74, off, s[20:23], 0 offset:132 ; 4-byte Folded Spill
	buffer_store_dword v75, off, s[20:23], 0 offset:136 ; 4-byte Folded Spill
	buffer_store_dword v76, off, s[20:23], 0 offset:140 ; 4-byte Folded Spill
	ds_read2_b64 v[99:102], v125 offset0:74 offset1:75
	buffer_load_dword v69, off, s[20:23], 0 offset:112 ; 4-byte Folded Reload
	buffer_load_dword v70, off, s[20:23], 0 offset:116 ; 4-byte Folded Reload
	buffer_load_dword v71, off, s[20:23], 0 offset:120 ; 4-byte Folded Reload
	buffer_load_dword v72, off, s[20:23], 0 offset:124 ; 4-byte Folded Reload
	s_waitcnt lgkmcnt(0)
	v_mul_f64 v[103:104], v[101:102], v[109:110]
	v_fma_f64 v[103:104], v[99:100], v[97:98], -v[103:104]
	v_mul_f64 v[99:100], v[99:100], v[109:110]
	v_fma_f64 v[99:100], v[101:102], v[97:98], v[99:100]
	s_waitcnt vmcnt(2)
	v_add_f64 v[69:70], v[69:70], -v[103:104]
	s_waitcnt vmcnt(0)
	v_add_f64 v[71:72], v[71:72], -v[99:100]
	buffer_store_dword v69, off, s[20:23], 0 offset:112 ; 4-byte Folded Spill
	s_nop 0
	buffer_store_dword v70, off, s[20:23], 0 offset:116 ; 4-byte Folded Spill
	buffer_store_dword v71, off, s[20:23], 0 offset:120 ; 4-byte Folded Spill
	buffer_store_dword v72, off, s[20:23], 0 offset:124 ; 4-byte Folded Spill
	ds_read2_b64 v[99:102], v125 offset0:76 offset1:77
	buffer_load_dword v65, off, s[20:23], 0 offset:96 ; 4-byte Folded Reload
	buffer_load_dword v66, off, s[20:23], 0 offset:100 ; 4-byte Folded Reload
	buffer_load_dword v67, off, s[20:23], 0 offset:104 ; 4-byte Folded Reload
	buffer_load_dword v68, off, s[20:23], 0 offset:108 ; 4-byte Folded Reload
	s_waitcnt lgkmcnt(0)
	v_mul_f64 v[103:104], v[101:102], v[109:110]
	v_fma_f64 v[103:104], v[99:100], v[97:98], -v[103:104]
	v_mul_f64 v[99:100], v[99:100], v[109:110]
	v_fma_f64 v[99:100], v[101:102], v[97:98], v[99:100]
	s_waitcnt vmcnt(2)
	v_add_f64 v[65:66], v[65:66], -v[103:104]
	s_waitcnt vmcnt(0)
	v_add_f64 v[67:68], v[67:68], -v[99:100]
	buffer_store_dword v65, off, s[20:23], 0 offset:96 ; 4-byte Folded Spill
	s_nop 0
	buffer_store_dword v66, off, s[20:23], 0 offset:100 ; 4-byte Folded Spill
	buffer_store_dword v67, off, s[20:23], 0 offset:104 ; 4-byte Folded Spill
	buffer_store_dword v68, off, s[20:23], 0 offset:108 ; 4-byte Folded Spill
	ds_read2_b64 v[99:102], v125 offset0:78 offset1:79
	buffer_load_dword v61, off, s[20:23], 0 offset:80 ; 4-byte Folded Reload
	buffer_load_dword v62, off, s[20:23], 0 offset:84 ; 4-byte Folded Reload
	buffer_load_dword v63, off, s[20:23], 0 offset:88 ; 4-byte Folded Reload
	buffer_load_dword v64, off, s[20:23], 0 offset:92 ; 4-byte Folded Reload
	s_waitcnt lgkmcnt(0)
	v_mul_f64 v[103:104], v[101:102], v[109:110]
	v_fma_f64 v[103:104], v[99:100], v[97:98], -v[103:104]
	v_mul_f64 v[99:100], v[99:100], v[109:110]
	v_fma_f64 v[99:100], v[101:102], v[97:98], v[99:100]
	s_waitcnt vmcnt(2)
	v_add_f64 v[61:62], v[61:62], -v[103:104]
	s_waitcnt vmcnt(0)
	v_add_f64 v[63:64], v[63:64], -v[99:100]
	buffer_store_dword v61, off, s[20:23], 0 offset:80 ; 4-byte Folded Spill
	s_nop 0
	buffer_store_dword v62, off, s[20:23], 0 offset:84 ; 4-byte Folded Spill
	buffer_store_dword v63, off, s[20:23], 0 offset:88 ; 4-byte Folded Spill
	buffer_store_dword v64, off, s[20:23], 0 offset:92 ; 4-byte Folded Spill
	ds_read2_b64 v[99:102], v125 offset0:80 offset1:81
	buffer_load_dword v57, off, s[20:23], 0 offset:64 ; 4-byte Folded Reload
	buffer_load_dword v58, off, s[20:23], 0 offset:68 ; 4-byte Folded Reload
	buffer_load_dword v59, off, s[20:23], 0 offset:72 ; 4-byte Folded Reload
	buffer_load_dword v60, off, s[20:23], 0 offset:76 ; 4-byte Folded Reload
	s_waitcnt lgkmcnt(0)
	v_mul_f64 v[103:104], v[101:102], v[109:110]
	v_fma_f64 v[103:104], v[99:100], v[97:98], -v[103:104]
	v_mul_f64 v[99:100], v[99:100], v[109:110]
	v_fma_f64 v[99:100], v[101:102], v[97:98], v[99:100]
	s_waitcnt vmcnt(2)
	v_add_f64 v[57:58], v[57:58], -v[103:104]
	s_waitcnt vmcnt(0)
	v_add_f64 v[59:60], v[59:60], -v[99:100]
	buffer_store_dword v57, off, s[20:23], 0 offset:64 ; 4-byte Folded Spill
	s_nop 0
	buffer_store_dword v58, off, s[20:23], 0 offset:68 ; 4-byte Folded Spill
	buffer_store_dword v59, off, s[20:23], 0 offset:72 ; 4-byte Folded Spill
	buffer_store_dword v60, off, s[20:23], 0 offset:76 ; 4-byte Folded Spill
	ds_read2_b64 v[99:102], v125 offset0:82 offset1:83
	buffer_load_dword v53, off, s[20:23], 0 offset:48 ; 4-byte Folded Reload
	buffer_load_dword v54, off, s[20:23], 0 offset:52 ; 4-byte Folded Reload
	buffer_load_dword v55, off, s[20:23], 0 offset:56 ; 4-byte Folded Reload
	buffer_load_dword v56, off, s[20:23], 0 offset:60 ; 4-byte Folded Reload
	s_waitcnt lgkmcnt(0)
	v_mul_f64 v[103:104], v[101:102], v[109:110]
	v_fma_f64 v[103:104], v[99:100], v[97:98], -v[103:104]
	v_mul_f64 v[99:100], v[99:100], v[109:110]
	v_fma_f64 v[99:100], v[101:102], v[97:98], v[99:100]
	s_waitcnt vmcnt(2)
	v_add_f64 v[53:54], v[53:54], -v[103:104]
	s_waitcnt vmcnt(0)
	v_add_f64 v[55:56], v[55:56], -v[99:100]
	buffer_store_dword v53, off, s[20:23], 0 offset:48 ; 4-byte Folded Spill
	s_nop 0
	buffer_store_dword v54, off, s[20:23], 0 offset:52 ; 4-byte Folded Spill
	buffer_store_dword v55, off, s[20:23], 0 offset:56 ; 4-byte Folded Spill
	buffer_store_dword v56, off, s[20:23], 0 offset:60 ; 4-byte Folded Spill
	ds_read2_b64 v[99:102], v125 offset0:84 offset1:85
	buffer_load_dword v49, off, s[20:23], 0 offset:32 ; 4-byte Folded Reload
	buffer_load_dword v50, off, s[20:23], 0 offset:36 ; 4-byte Folded Reload
	buffer_load_dword v51, off, s[20:23], 0 offset:40 ; 4-byte Folded Reload
	buffer_load_dword v52, off, s[20:23], 0 offset:44 ; 4-byte Folded Reload
	s_waitcnt lgkmcnt(0)
	v_mul_f64 v[103:104], v[101:102], v[109:110]
	v_fma_f64 v[103:104], v[99:100], v[97:98], -v[103:104]
	v_mul_f64 v[99:100], v[99:100], v[109:110]
	v_fma_f64 v[99:100], v[101:102], v[97:98], v[99:100]
	s_waitcnt vmcnt(2)
	v_add_f64 v[49:50], v[49:50], -v[103:104]
	s_waitcnt vmcnt(0)
	v_add_f64 v[51:52], v[51:52], -v[99:100]
	buffer_store_dword v49, off, s[20:23], 0 offset:32 ; 4-byte Folded Spill
	s_nop 0
	buffer_store_dword v50, off, s[20:23], 0 offset:36 ; 4-byte Folded Spill
	buffer_store_dword v51, off, s[20:23], 0 offset:40 ; 4-byte Folded Spill
	buffer_store_dword v52, off, s[20:23], 0 offset:44 ; 4-byte Folded Spill
	ds_read2_b64 v[99:102], v125 offset0:86 offset1:87
	buffer_load_dword v45, off, s[20:23], 0 offset:16 ; 4-byte Folded Reload
	buffer_load_dword v46, off, s[20:23], 0 offset:20 ; 4-byte Folded Reload
	buffer_load_dword v47, off, s[20:23], 0 offset:24 ; 4-byte Folded Reload
	buffer_load_dword v48, off, s[20:23], 0 offset:28 ; 4-byte Folded Reload
	s_waitcnt lgkmcnt(0)
	v_mul_f64 v[103:104], v[101:102], v[109:110]
	v_fma_f64 v[103:104], v[99:100], v[97:98], -v[103:104]
	v_mul_f64 v[99:100], v[99:100], v[109:110]
	v_fma_f64 v[99:100], v[101:102], v[97:98], v[99:100]
	s_waitcnt vmcnt(2)
	v_add_f64 v[45:46], v[45:46], -v[103:104]
	s_waitcnt vmcnt(0)
	v_add_f64 v[47:48], v[47:48], -v[99:100]
	buffer_store_dword v45, off, s[20:23], 0 offset:16 ; 4-byte Folded Spill
	s_nop 0
	buffer_store_dword v46, off, s[20:23], 0 offset:20 ; 4-byte Folded Spill
	buffer_store_dword v47, off, s[20:23], 0 offset:24 ; 4-byte Folded Spill
	buffer_store_dword v48, off, s[20:23], 0 offset:28 ; 4-byte Folded Spill
	ds_read2_b64 v[99:102], v125 offset0:88 offset1:89
	buffer_load_dword v41, off, s[20:23], 0 ; 4-byte Folded Reload
	buffer_load_dword v42, off, s[20:23], 0 offset:4 ; 4-byte Folded Reload
	buffer_load_dword v43, off, s[20:23], 0 offset:8 ; 4-byte Folded Reload
	;; [unrolled: 1-line block ×3, first 2 shown]
	s_waitcnt lgkmcnt(0)
	v_mul_f64 v[103:104], v[101:102], v[109:110]
	v_fma_f64 v[103:104], v[99:100], v[97:98], -v[103:104]
	v_mul_f64 v[99:100], v[99:100], v[109:110]
	v_fma_f64 v[99:100], v[101:102], v[97:98], v[99:100]
	s_waitcnt vmcnt(2)
	v_add_f64 v[41:42], v[41:42], -v[103:104]
	s_waitcnt vmcnt(0)
	v_add_f64 v[43:44], v[43:44], -v[99:100]
	buffer_store_dword v41, off, s[20:23], 0 ; 4-byte Folded Spill
	s_nop 0
	buffer_store_dword v42, off, s[20:23], 0 offset:4 ; 4-byte Folded Spill
	buffer_store_dword v43, off, s[20:23], 0 offset:8 ; 4-byte Folded Spill
	;; [unrolled: 1-line block ×3, first 2 shown]
	ds_read2_b64 v[99:102], v125 offset0:90 offset1:91
	s_waitcnt lgkmcnt(0)
	v_mul_f64 v[103:104], v[101:102], v[109:110]
	v_fma_f64 v[103:104], v[99:100], v[97:98], -v[103:104]
	v_mul_f64 v[99:100], v[99:100], v[109:110]
	v_add_f64 v[37:38], v[37:38], -v[103:104]
	v_fma_f64 v[99:100], v[101:102], v[97:98], v[99:100]
	v_add_f64 v[39:40], v[39:40], -v[99:100]
	ds_read2_b64 v[99:102], v125 offset0:92 offset1:93
	s_waitcnt lgkmcnt(0)
	v_mul_f64 v[103:104], v[101:102], v[109:110]
	v_fma_f64 v[103:104], v[99:100], v[97:98], -v[103:104]
	v_mul_f64 v[99:100], v[99:100], v[109:110]
	v_add_f64 v[33:34], v[33:34], -v[103:104]
	v_fma_f64 v[99:100], v[101:102], v[97:98], v[99:100]
	v_add_f64 v[35:36], v[35:36], -v[99:100]
	;; [unrolled: 8-line block ×9, first 2 shown]
	ds_read2_b64 v[99:102], v125 offset0:108 offset1:109
	s_waitcnt lgkmcnt(0)
	v_mul_f64 v[103:104], v[101:102], v[109:110]
	v_fma_f64 v[103:104], v[99:100], v[97:98], -v[103:104]
	v_mul_f64 v[99:100], v[99:100], v[109:110]
	v_add_f64 v[1:2], v[1:2], -v[103:104]
	v_fma_f64 v[99:100], v[101:102], v[97:98], v[99:100]
	ds_read2_b64 v[101:104], v125 offset0:110 offset1:111
	v_add_f64 v[3:4], v[3:4], -v[99:100]
	s_waitcnt lgkmcnt(0)
	v_mul_f64 v[99:100], v[103:104], v[109:110]
	v_fma_f64 v[99:100], v[101:102], v[97:98], -v[99:100]
	v_mul_f64 v[101:102], v[101:102], v[109:110]
	buffer_store_dword v107, off, s[20:23], 0 offset:496 ; 4-byte Folded Spill
	s_nop 0
	buffer_store_dword v108, off, s[20:23], 0 offset:500 ; 4-byte Folded Spill
	buffer_store_dword v109, off, s[20:23], 0 offset:504 ; 4-byte Folded Spill
	;; [unrolled: 1-line block ×3, first 2 shown]
	v_add_f64 v[121:122], v[121:122], -v[99:100]
	v_fma_f64 v[101:102], v[103:104], v[97:98], v[101:102]
	v_add_f64 v[123:124], v[123:124], -v[101:102]
.LBB111_118:
	s_or_b64 exec, exec, s[2:3]
	v_cmp_eq_u32_e32 vcc, 13, v0
	s_waitcnt vmcnt(0)
	s_barrier
	s_and_saveexec_b64 s[4:5], vcc
	s_cbranch_execz .LBB111_125
; %bb.119:
	buffer_load_dword v95, off, s[20:23], 0 offset:480 ; 4-byte Folded Reload
	buffer_load_dword v96, off, s[20:23], 0 offset:484 ; 4-byte Folded Reload
	;; [unrolled: 1-line block ×4, first 2 shown]
	s_waitcnt vmcnt(0)
	ds_write2_b64 v127, v[95:96], v[97:98] offset1:1
	buffer_load_dword v95, off, s[20:23], 0 offset:464 ; 4-byte Folded Reload
	buffer_load_dword v96, off, s[20:23], 0 offset:468 ; 4-byte Folded Reload
	buffer_load_dword v97, off, s[20:23], 0 offset:472 ; 4-byte Folded Reload
	buffer_load_dword v98, off, s[20:23], 0 offset:476 ; 4-byte Folded Reload
	s_waitcnt vmcnt(0)
	ds_write2_b64 v125, v[95:96], v[97:98] offset0:28 offset1:29
	buffer_load_dword v95, off, s[20:23], 0 offset:448 ; 4-byte Folded Reload
	buffer_load_dword v96, off, s[20:23], 0 offset:452 ; 4-byte Folded Reload
	buffer_load_dword v97, off, s[20:23], 0 offset:456 ; 4-byte Folded Reload
	buffer_load_dword v98, off, s[20:23], 0 offset:460 ; 4-byte Folded Reload
	s_waitcnt vmcnt(0)
	ds_write2_b64 v125, v[95:96], v[97:98] offset0:30 offset1:31
	buffer_load_dword v95, off, s[20:23], 0 offset:432 ; 4-byte Folded Reload
	buffer_load_dword v96, off, s[20:23], 0 offset:436 ; 4-byte Folded Reload
	buffer_load_dword v97, off, s[20:23], 0 offset:440 ; 4-byte Folded Reload
	buffer_load_dword v98, off, s[20:23], 0 offset:444 ; 4-byte Folded Reload
	s_waitcnt vmcnt(0)
	ds_write2_b64 v125, v[95:96], v[97:98] offset0:32 offset1:33
	buffer_load_dword v95, off, s[20:23], 0 offset:416 ; 4-byte Folded Reload
	buffer_load_dword v96, off, s[20:23], 0 offset:420 ; 4-byte Folded Reload
	buffer_load_dword v97, off, s[20:23], 0 offset:424 ; 4-byte Folded Reload
	buffer_load_dword v98, off, s[20:23], 0 offset:428 ; 4-byte Folded Reload
	s_waitcnt vmcnt(0)
	ds_write2_b64 v125, v[95:96], v[97:98] offset0:34 offset1:35
	buffer_load_dword v95, off, s[20:23], 0 offset:400 ; 4-byte Folded Reload
	buffer_load_dword v96, off, s[20:23], 0 offset:404 ; 4-byte Folded Reload
	buffer_load_dword v97, off, s[20:23], 0 offset:408 ; 4-byte Folded Reload
	buffer_load_dword v98, off, s[20:23], 0 offset:412 ; 4-byte Folded Reload
	s_waitcnt vmcnt(0)
	ds_write2_b64 v125, v[95:96], v[97:98] offset0:36 offset1:37
	buffer_load_dword v95, off, s[20:23], 0 offset:384 ; 4-byte Folded Reload
	buffer_load_dword v96, off, s[20:23], 0 offset:388 ; 4-byte Folded Reload
	buffer_load_dword v97, off, s[20:23], 0 offset:392 ; 4-byte Folded Reload
	buffer_load_dword v98, off, s[20:23], 0 offset:396 ; 4-byte Folded Reload
	s_waitcnt vmcnt(0)
	ds_write2_b64 v125, v[95:96], v[97:98] offset0:38 offset1:39
	buffer_load_dword v95, off, s[20:23], 0 offset:368 ; 4-byte Folded Reload
	buffer_load_dword v96, off, s[20:23], 0 offset:372 ; 4-byte Folded Reload
	buffer_load_dword v97, off, s[20:23], 0 offset:376 ; 4-byte Folded Reload
	buffer_load_dword v98, off, s[20:23], 0 offset:380 ; 4-byte Folded Reload
	s_waitcnt vmcnt(0)
	ds_write2_b64 v125, v[95:96], v[97:98] offset0:40 offset1:41
	buffer_load_dword v95, off, s[20:23], 0 offset:352 ; 4-byte Folded Reload
	buffer_load_dword v96, off, s[20:23], 0 offset:356 ; 4-byte Folded Reload
	buffer_load_dword v97, off, s[20:23], 0 offset:360 ; 4-byte Folded Reload
	buffer_load_dword v98, off, s[20:23], 0 offset:364 ; 4-byte Folded Reload
	s_waitcnt vmcnt(0)
	ds_write2_b64 v125, v[95:96], v[97:98] offset0:42 offset1:43
	buffer_load_dword v95, off, s[20:23], 0 offset:336 ; 4-byte Folded Reload
	buffer_load_dword v96, off, s[20:23], 0 offset:340 ; 4-byte Folded Reload
	buffer_load_dword v97, off, s[20:23], 0 offset:344 ; 4-byte Folded Reload
	buffer_load_dword v98, off, s[20:23], 0 offset:348 ; 4-byte Folded Reload
	s_waitcnt vmcnt(0)
	ds_write2_b64 v125, v[95:96], v[97:98] offset0:44 offset1:45
	buffer_load_dword v95, off, s[20:23], 0 offset:320 ; 4-byte Folded Reload
	buffer_load_dword v96, off, s[20:23], 0 offset:324 ; 4-byte Folded Reload
	buffer_load_dword v97, off, s[20:23], 0 offset:328 ; 4-byte Folded Reload
	buffer_load_dword v98, off, s[20:23], 0 offset:332 ; 4-byte Folded Reload
	s_waitcnt vmcnt(0)
	ds_write2_b64 v125, v[95:96], v[97:98] offset0:46 offset1:47
	buffer_load_dword v95, off, s[20:23], 0 offset:304 ; 4-byte Folded Reload
	buffer_load_dword v96, off, s[20:23], 0 offset:308 ; 4-byte Folded Reload
	buffer_load_dword v97, off, s[20:23], 0 offset:312 ; 4-byte Folded Reload
	buffer_load_dword v98, off, s[20:23], 0 offset:316 ; 4-byte Folded Reload
	s_waitcnt vmcnt(0)
	ds_write2_b64 v125, v[95:96], v[97:98] offset0:48 offset1:49
	buffer_load_dword v95, off, s[20:23], 0 offset:288 ; 4-byte Folded Reload
	buffer_load_dword v96, off, s[20:23], 0 offset:292 ; 4-byte Folded Reload
	buffer_load_dword v97, off, s[20:23], 0 offset:296 ; 4-byte Folded Reload
	buffer_load_dword v98, off, s[20:23], 0 offset:300 ; 4-byte Folded Reload
	s_waitcnt vmcnt(0)
	ds_write2_b64 v125, v[95:96], v[97:98] offset0:50 offset1:51
	buffer_load_dword v95, off, s[20:23], 0 offset:272 ; 4-byte Folded Reload
	buffer_load_dword v96, off, s[20:23], 0 offset:276 ; 4-byte Folded Reload
	buffer_load_dword v97, off, s[20:23], 0 offset:280 ; 4-byte Folded Reload
	buffer_load_dword v98, off, s[20:23], 0 offset:284 ; 4-byte Folded Reload
	s_waitcnt vmcnt(0)
	ds_write2_b64 v125, v[95:96], v[97:98] offset0:52 offset1:53
	buffer_load_dword v95, off, s[20:23], 0 offset:256 ; 4-byte Folded Reload
	buffer_load_dword v96, off, s[20:23], 0 offset:260 ; 4-byte Folded Reload
	buffer_load_dword v97, off, s[20:23], 0 offset:264 ; 4-byte Folded Reload
	buffer_load_dword v98, off, s[20:23], 0 offset:268 ; 4-byte Folded Reload
	s_waitcnt vmcnt(0)
	ds_write2_b64 v125, v[95:96], v[97:98] offset0:54 offset1:55
	buffer_load_dword v95, off, s[20:23], 0 offset:240 ; 4-byte Folded Reload
	buffer_load_dword v96, off, s[20:23], 0 offset:244 ; 4-byte Folded Reload
	buffer_load_dword v97, off, s[20:23], 0 offset:248 ; 4-byte Folded Reload
	buffer_load_dword v98, off, s[20:23], 0 offset:252 ; 4-byte Folded Reload
	s_waitcnt vmcnt(0)
	ds_write2_b64 v125, v[95:96], v[97:98] offset0:56 offset1:57
	buffer_load_dword v95, off, s[20:23], 0 offset:224 ; 4-byte Folded Reload
	buffer_load_dword v96, off, s[20:23], 0 offset:228 ; 4-byte Folded Reload
	buffer_load_dword v97, off, s[20:23], 0 offset:232 ; 4-byte Folded Reload
	buffer_load_dword v98, off, s[20:23], 0 offset:236 ; 4-byte Folded Reload
	s_waitcnt vmcnt(0)
	ds_write2_b64 v125, v[95:96], v[97:98] offset0:58 offset1:59
	buffer_load_dword v95, off, s[20:23], 0 offset:208 ; 4-byte Folded Reload
	buffer_load_dword v96, off, s[20:23], 0 offset:212 ; 4-byte Folded Reload
	buffer_load_dword v97, off, s[20:23], 0 offset:216 ; 4-byte Folded Reload
	buffer_load_dword v98, off, s[20:23], 0 offset:220 ; 4-byte Folded Reload
	s_waitcnt vmcnt(0)
	ds_write2_b64 v125, v[95:96], v[97:98] offset0:60 offset1:61
	buffer_load_dword v95, off, s[20:23], 0 offset:192 ; 4-byte Folded Reload
	buffer_load_dword v96, off, s[20:23], 0 offset:196 ; 4-byte Folded Reload
	buffer_load_dword v97, off, s[20:23], 0 offset:200 ; 4-byte Folded Reload
	buffer_load_dword v98, off, s[20:23], 0 offset:204 ; 4-byte Folded Reload
	s_waitcnt vmcnt(0)
	ds_write2_b64 v125, v[95:96], v[97:98] offset0:62 offset1:63
	buffer_load_dword v95, off, s[20:23], 0 offset:176 ; 4-byte Folded Reload
	buffer_load_dword v96, off, s[20:23], 0 offset:180 ; 4-byte Folded Reload
	buffer_load_dword v97, off, s[20:23], 0 offset:184 ; 4-byte Folded Reload
	buffer_load_dword v98, off, s[20:23], 0 offset:188 ; 4-byte Folded Reload
	s_waitcnt vmcnt(0)
	ds_write2_b64 v125, v[95:96], v[97:98] offset0:64 offset1:65
	ds_write2_b64 v125, v[91:92], v[93:94] offset0:66 offset1:67
	buffer_load_dword v77, off, s[20:23], 0 offset:160 ; 4-byte Folded Reload
	buffer_load_dword v78, off, s[20:23], 0 offset:164 ; 4-byte Folded Reload
	buffer_load_dword v79, off, s[20:23], 0 offset:168 ; 4-byte Folded Reload
	buffer_load_dword v80, off, s[20:23], 0 offset:172 ; 4-byte Folded Reload
	s_waitcnt vmcnt(0)
	ds_write2_b64 v125, v[77:78], v[79:80] offset0:68 offset1:69
	buffer_load_dword v77, off, s[20:23], 0 offset:144 ; 4-byte Folded Reload
	buffer_load_dword v78, off, s[20:23], 0 offset:148 ; 4-byte Folded Reload
	buffer_load_dword v79, off, s[20:23], 0 offset:152 ; 4-byte Folded Reload
	buffer_load_dword v80, off, s[20:23], 0 offset:156 ; 4-byte Folded Reload
	s_waitcnt vmcnt(0)
	;; [unrolled: 6-line block ×10, first 2 shown]
	ds_write2_b64 v125, v[45:46], v[47:48] offset0:86 offset1:87
	buffer_load_dword v41, off, s[20:23], 0 ; 4-byte Folded Reload
	buffer_load_dword v42, off, s[20:23], 0 offset:4 ; 4-byte Folded Reload
	buffer_load_dword v43, off, s[20:23], 0 offset:8 ; 4-byte Folded Reload
	;; [unrolled: 1-line block ×3, first 2 shown]
	s_waitcnt vmcnt(0)
	ds_write2_b64 v125, v[41:42], v[43:44] offset0:88 offset1:89
	ds_write2_b64 v125, v[37:38], v[39:40] offset0:90 offset1:91
	;; [unrolled: 1-line block ×12, first 2 shown]
	ds_read2_b64 v[97:100], v127 offset1:1
	s_waitcnt lgkmcnt(0)
	v_cmp_neq_f64_e32 vcc, 0, v[97:98]
	v_cmp_neq_f64_e64 s[2:3], 0, v[99:100]
	s_or_b64 s[2:3], vcc, s[2:3]
	s_and_b64 exec, exec, s[2:3]
	s_cbranch_execz .LBB111_125
; %bb.120:
	v_cmp_ngt_f64_e64 s[2:3], |v[97:98]|, |v[99:100]|
                                        ; implicit-def: $vgpr101_vgpr102
	s_and_saveexec_b64 s[6:7], s[2:3]
	s_xor_b64 s[2:3], exec, s[6:7]
                                        ; implicit-def: $vgpr103_vgpr104
	s_cbranch_execz .LBB111_122
; %bb.121:
	v_div_scale_f64 v[101:102], s[6:7], v[99:100], v[99:100], v[97:98]
	v_rcp_f64_e32 v[103:104], v[101:102]
	v_fma_f64 v[105:106], -v[101:102], v[103:104], 1.0
	v_fma_f64 v[103:104], v[103:104], v[105:106], v[103:104]
	v_div_scale_f64 v[105:106], vcc, v[97:98], v[99:100], v[97:98]
	v_fma_f64 v[107:108], -v[101:102], v[103:104], 1.0
	v_fma_f64 v[103:104], v[103:104], v[107:108], v[103:104]
	v_mul_f64 v[107:108], v[105:106], v[103:104]
	v_fma_f64 v[101:102], -v[101:102], v[107:108], v[105:106]
	v_div_fmas_f64 v[101:102], v[101:102], v[103:104], v[107:108]
	v_div_fixup_f64 v[101:102], v[101:102], v[99:100], v[97:98]
	v_fma_f64 v[97:98], v[97:98], v[101:102], v[99:100]
	v_div_scale_f64 v[99:100], s[6:7], v[97:98], v[97:98], 1.0
	v_div_scale_f64 v[107:108], vcc, 1.0, v[97:98], 1.0
	v_rcp_f64_e32 v[103:104], v[99:100]
	v_fma_f64 v[105:106], -v[99:100], v[103:104], 1.0
	v_fma_f64 v[103:104], v[103:104], v[105:106], v[103:104]
	v_fma_f64 v[105:106], -v[99:100], v[103:104], 1.0
	v_fma_f64 v[103:104], v[103:104], v[105:106], v[103:104]
	v_mul_f64 v[105:106], v[107:108], v[103:104]
	v_fma_f64 v[99:100], -v[99:100], v[105:106], v[107:108]
	v_div_fmas_f64 v[99:100], v[99:100], v[103:104], v[105:106]
	v_div_fixup_f64 v[103:104], v[99:100], v[97:98], 1.0
                                        ; implicit-def: $vgpr97_vgpr98
	v_mul_f64 v[101:102], v[101:102], v[103:104]
	v_xor_b32_e32 v104, 0x80000000, v104
.LBB111_122:
	s_andn2_saveexec_b64 s[2:3], s[2:3]
	s_cbranch_execz .LBB111_124
; %bb.123:
	v_div_scale_f64 v[101:102], s[6:7], v[97:98], v[97:98], v[99:100]
	v_rcp_f64_e32 v[103:104], v[101:102]
	v_fma_f64 v[105:106], -v[101:102], v[103:104], 1.0
	v_fma_f64 v[103:104], v[103:104], v[105:106], v[103:104]
	v_div_scale_f64 v[105:106], vcc, v[99:100], v[97:98], v[99:100]
	v_fma_f64 v[107:108], -v[101:102], v[103:104], 1.0
	v_fma_f64 v[103:104], v[103:104], v[107:108], v[103:104]
	v_mul_f64 v[107:108], v[105:106], v[103:104]
	v_fma_f64 v[101:102], -v[101:102], v[107:108], v[105:106]
	v_div_fmas_f64 v[101:102], v[101:102], v[103:104], v[107:108]
	v_div_fixup_f64 v[103:104], v[101:102], v[97:98], v[99:100]
	v_fma_f64 v[97:98], v[99:100], v[103:104], v[97:98]
	v_div_scale_f64 v[99:100], s[6:7], v[97:98], v[97:98], 1.0
	v_div_scale_f64 v[107:108], vcc, 1.0, v[97:98], 1.0
	v_rcp_f64_e32 v[101:102], v[99:100]
	v_fma_f64 v[105:106], -v[99:100], v[101:102], 1.0
	v_fma_f64 v[101:102], v[101:102], v[105:106], v[101:102]
	v_fma_f64 v[105:106], -v[99:100], v[101:102], 1.0
	v_fma_f64 v[101:102], v[101:102], v[105:106], v[101:102]
	v_mul_f64 v[105:106], v[107:108], v[101:102]
	v_fma_f64 v[99:100], -v[99:100], v[105:106], v[107:108]
	v_div_fmas_f64 v[99:100], v[99:100], v[101:102], v[105:106]
	v_div_fixup_f64 v[101:102], v[99:100], v[97:98], 1.0
	v_mul_f64 v[103:104], v[103:104], -v[101:102]
.LBB111_124:
	s_or_b64 exec, exec, s[2:3]
	ds_write2_b64 v127, v[101:102], v[103:104] offset1:1
.LBB111_125:
	s_or_b64 exec, exec, s[4:5]
	s_waitcnt lgkmcnt(0)
	s_barrier
	ds_read2_b64 v[87:90], v127 offset1:1
	v_cmp_lt_u32_e32 vcc, 13, v0
	s_waitcnt lgkmcnt(0)
	buffer_store_dword v87, off, s[20:23], 0 offset:1352 ; 4-byte Folded Spill
	s_nop 0
	buffer_store_dword v88, off, s[20:23], 0 offset:1356 ; 4-byte Folded Spill
	buffer_store_dword v89, off, s[20:23], 0 offset:1360 ; 4-byte Folded Spill
	;; [unrolled: 1-line block ×3, first 2 shown]
	s_and_saveexec_b64 s[2:3], vcc
	s_cbranch_execz .LBB111_127
; %bb.126:
	buffer_load_dword v107, off, s[20:23], 0 offset:480 ; 4-byte Folded Reload
	buffer_load_dword v108, off, s[20:23], 0 offset:484 ; 4-byte Folded Reload
	buffer_load_dword v109, off, s[20:23], 0 offset:488 ; 4-byte Folded Reload
	buffer_load_dword v110, off, s[20:23], 0 offset:492 ; 4-byte Folded Reload
	buffer_load_dword v87, off, s[20:23], 0 offset:1352 ; 4-byte Folded Reload
	buffer_load_dword v88, off, s[20:23], 0 offset:1356 ; 4-byte Folded Reload
	buffer_load_dword v89, off, s[20:23], 0 offset:1360 ; 4-byte Folded Reload
	buffer_load_dword v90, off, s[20:23], 0 offset:1364 ; 4-byte Folded Reload
	s_waitcnt vmcnt(2)
	v_mul_f64 v[99:100], v[87:88], v[109:110]
	s_waitcnt vmcnt(0)
	v_mul_f64 v[97:98], v[89:90], v[109:110]
	v_fma_f64 v[109:110], v[89:90], v[107:108], v[99:100]
	ds_read2_b64 v[99:102], v125 offset0:28 offset1:29
	v_fma_f64 v[97:98], v[87:88], v[107:108], -v[97:98]
	buffer_load_dword v105, off, s[20:23], 0 offset:464 ; 4-byte Folded Reload
	buffer_load_dword v106, off, s[20:23], 0 offset:468 ; 4-byte Folded Reload
	buffer_load_dword v107, off, s[20:23], 0 offset:472 ; 4-byte Folded Reload
	buffer_load_dword v108, off, s[20:23], 0 offset:476 ; 4-byte Folded Reload
	s_waitcnt lgkmcnt(0)
	v_mul_f64 v[103:104], v[101:102], v[109:110]
	v_fma_f64 v[103:104], v[99:100], v[97:98], -v[103:104]
	v_mul_f64 v[99:100], v[99:100], v[109:110]
	v_fma_f64 v[99:100], v[101:102], v[97:98], v[99:100]
	s_waitcnt vmcnt(2)
	v_add_f64 v[105:106], v[105:106], -v[103:104]
	s_waitcnt vmcnt(0)
	v_add_f64 v[107:108], v[107:108], -v[99:100]
	buffer_store_dword v105, off, s[20:23], 0 offset:464 ; 4-byte Folded Spill
	s_nop 0
	buffer_store_dword v106, off, s[20:23], 0 offset:468 ; 4-byte Folded Spill
	buffer_store_dword v107, off, s[20:23], 0 offset:472 ; 4-byte Folded Spill
	buffer_store_dword v108, off, s[20:23], 0 offset:476 ; 4-byte Folded Spill
	ds_read2_b64 v[99:102], v125 offset0:30 offset1:31
	buffer_load_dword v105, off, s[20:23], 0 offset:448 ; 4-byte Folded Reload
	buffer_load_dword v106, off, s[20:23], 0 offset:452 ; 4-byte Folded Reload
	buffer_load_dword v107, off, s[20:23], 0 offset:456 ; 4-byte Folded Reload
	buffer_load_dword v108, off, s[20:23], 0 offset:460 ; 4-byte Folded Reload
	s_waitcnt lgkmcnt(0)
	v_mul_f64 v[103:104], v[101:102], v[109:110]
	v_fma_f64 v[103:104], v[99:100], v[97:98], -v[103:104]
	v_mul_f64 v[99:100], v[99:100], v[109:110]
	v_fma_f64 v[99:100], v[101:102], v[97:98], v[99:100]
	s_waitcnt vmcnt(2)
	v_add_f64 v[105:106], v[105:106], -v[103:104]
	s_waitcnt vmcnt(0)
	v_add_f64 v[107:108], v[107:108], -v[99:100]
	buffer_store_dword v105, off, s[20:23], 0 offset:448 ; 4-byte Folded Spill
	s_nop 0
	buffer_store_dword v106, off, s[20:23], 0 offset:452 ; 4-byte Folded Spill
	buffer_store_dword v107, off, s[20:23], 0 offset:456 ; 4-byte Folded Spill
	buffer_store_dword v108, off, s[20:23], 0 offset:460 ; 4-byte Folded Spill
	ds_read2_b64 v[99:102], v125 offset0:32 offset1:33
	;; [unrolled: 19-line block ×19, first 2 shown]
	v_mov_b32_e32 v108, v98
	v_mov_b32_e32 v107, v97
	s_waitcnt lgkmcnt(0)
	v_mul_f64 v[103:104], v[101:102], v[109:110]
	v_fma_f64 v[103:104], v[99:100], v[97:98], -v[103:104]
	v_mul_f64 v[99:100], v[99:100], v[109:110]
	v_add_f64 v[91:92], v[91:92], -v[103:104]
	v_fma_f64 v[99:100], v[101:102], v[97:98], v[99:100]
	v_add_f64 v[93:94], v[93:94], -v[99:100]
	ds_read2_b64 v[99:102], v125 offset0:68 offset1:69
	buffer_load_dword v77, off, s[20:23], 0 offset:160 ; 4-byte Folded Reload
	buffer_load_dword v78, off, s[20:23], 0 offset:164 ; 4-byte Folded Reload
	buffer_load_dword v79, off, s[20:23], 0 offset:168 ; 4-byte Folded Reload
	buffer_load_dword v80, off, s[20:23], 0 offset:172 ; 4-byte Folded Reload
	s_waitcnt lgkmcnt(0)
	v_mul_f64 v[103:104], v[101:102], v[109:110]
	v_fma_f64 v[103:104], v[99:100], v[97:98], -v[103:104]
	v_mul_f64 v[99:100], v[99:100], v[109:110]
	v_fma_f64 v[99:100], v[101:102], v[97:98], v[99:100]
	s_waitcnt vmcnt(2)
	v_add_f64 v[77:78], v[77:78], -v[103:104]
	s_waitcnt vmcnt(0)
	v_add_f64 v[79:80], v[79:80], -v[99:100]
	buffer_store_dword v77, off, s[20:23], 0 offset:160 ; 4-byte Folded Spill
	s_nop 0
	buffer_store_dword v78, off, s[20:23], 0 offset:164 ; 4-byte Folded Spill
	buffer_store_dword v79, off, s[20:23], 0 offset:168 ; 4-byte Folded Spill
	buffer_store_dword v80, off, s[20:23], 0 offset:172 ; 4-byte Folded Spill
	ds_read2_b64 v[99:102], v125 offset0:70 offset1:71
	buffer_load_dword v77, off, s[20:23], 0 offset:144 ; 4-byte Folded Reload
	buffer_load_dword v78, off, s[20:23], 0 offset:148 ; 4-byte Folded Reload
	buffer_load_dword v79, off, s[20:23], 0 offset:152 ; 4-byte Folded Reload
	buffer_load_dword v80, off, s[20:23], 0 offset:156 ; 4-byte Folded Reload
	s_waitcnt lgkmcnt(0)
	v_mul_f64 v[103:104], v[101:102], v[109:110]
	v_fma_f64 v[103:104], v[99:100], v[97:98], -v[103:104]
	v_mul_f64 v[99:100], v[99:100], v[109:110]
	v_fma_f64 v[99:100], v[101:102], v[97:98], v[99:100]
	s_waitcnt vmcnt(2)
	v_add_f64 v[77:78], v[77:78], -v[103:104]
	s_waitcnt vmcnt(0)
	v_add_f64 v[79:80], v[79:80], -v[99:100]
	buffer_store_dword v77, off, s[20:23], 0 offset:144 ; 4-byte Folded Spill
	s_nop 0
	buffer_store_dword v78, off, s[20:23], 0 offset:148 ; 4-byte Folded Spill
	buffer_store_dword v79, off, s[20:23], 0 offset:152 ; 4-byte Folded Spill
	buffer_store_dword v80, off, s[20:23], 0 offset:156 ; 4-byte Folded Spill
	;; [unrolled: 19-line block ×10, first 2 shown]
	ds_read2_b64 v[99:102], v125 offset0:88 offset1:89
	buffer_load_dword v41, off, s[20:23], 0 ; 4-byte Folded Reload
	buffer_load_dword v42, off, s[20:23], 0 offset:4 ; 4-byte Folded Reload
	buffer_load_dword v43, off, s[20:23], 0 offset:8 ; 4-byte Folded Reload
	;; [unrolled: 1-line block ×3, first 2 shown]
	s_waitcnt lgkmcnt(0)
	v_mul_f64 v[103:104], v[101:102], v[109:110]
	v_fma_f64 v[103:104], v[99:100], v[97:98], -v[103:104]
	v_mul_f64 v[99:100], v[99:100], v[109:110]
	v_fma_f64 v[99:100], v[101:102], v[97:98], v[99:100]
	s_waitcnt vmcnt(2)
	v_add_f64 v[41:42], v[41:42], -v[103:104]
	s_waitcnt vmcnt(0)
	v_add_f64 v[43:44], v[43:44], -v[99:100]
	buffer_store_dword v41, off, s[20:23], 0 ; 4-byte Folded Spill
	s_nop 0
	buffer_store_dword v42, off, s[20:23], 0 offset:4 ; 4-byte Folded Spill
	buffer_store_dword v43, off, s[20:23], 0 offset:8 ; 4-byte Folded Spill
	;; [unrolled: 1-line block ×3, first 2 shown]
	ds_read2_b64 v[99:102], v125 offset0:90 offset1:91
	s_waitcnt lgkmcnt(0)
	v_mul_f64 v[103:104], v[101:102], v[109:110]
	v_fma_f64 v[103:104], v[99:100], v[97:98], -v[103:104]
	v_mul_f64 v[99:100], v[99:100], v[109:110]
	v_add_f64 v[37:38], v[37:38], -v[103:104]
	v_fma_f64 v[99:100], v[101:102], v[97:98], v[99:100]
	v_add_f64 v[39:40], v[39:40], -v[99:100]
	ds_read2_b64 v[99:102], v125 offset0:92 offset1:93
	s_waitcnt lgkmcnt(0)
	v_mul_f64 v[103:104], v[101:102], v[109:110]
	v_fma_f64 v[103:104], v[99:100], v[97:98], -v[103:104]
	v_mul_f64 v[99:100], v[99:100], v[109:110]
	v_add_f64 v[33:34], v[33:34], -v[103:104]
	v_fma_f64 v[99:100], v[101:102], v[97:98], v[99:100]
	v_add_f64 v[35:36], v[35:36], -v[99:100]
	;; [unrolled: 8-line block ×10, first 2 shown]
	ds_read2_b64 v[99:102], v125 offset0:110 offset1:111
	s_waitcnt lgkmcnt(0)
	v_mul_f64 v[103:104], v[101:102], v[109:110]
	v_fma_f64 v[103:104], v[99:100], v[97:98], -v[103:104]
	v_mul_f64 v[99:100], v[99:100], v[109:110]
	buffer_store_dword v107, off, s[20:23], 0 offset:480 ; 4-byte Folded Spill
	s_nop 0
	buffer_store_dword v108, off, s[20:23], 0 offset:484 ; 4-byte Folded Spill
	buffer_store_dword v109, off, s[20:23], 0 offset:488 ; 4-byte Folded Spill
	;; [unrolled: 1-line block ×3, first 2 shown]
	v_add_f64 v[121:122], v[121:122], -v[103:104]
	v_fma_f64 v[99:100], v[101:102], v[97:98], v[99:100]
	v_add_f64 v[123:124], v[123:124], -v[99:100]
.LBB111_127:
	s_or_b64 exec, exec, s[2:3]
	v_cmp_eq_u32_e32 vcc, 14, v0
	s_waitcnt vmcnt(0)
	s_barrier
	s_and_saveexec_b64 s[4:5], vcc
	s_cbranch_execz .LBB111_134
; %bb.128:
	buffer_load_dword v95, off, s[20:23], 0 offset:464 ; 4-byte Folded Reload
	buffer_load_dword v96, off, s[20:23], 0 offset:468 ; 4-byte Folded Reload
	;; [unrolled: 1-line block ×4, first 2 shown]
	s_waitcnt vmcnt(0)
	ds_write2_b64 v127, v[95:96], v[97:98] offset1:1
	buffer_load_dword v95, off, s[20:23], 0 offset:448 ; 4-byte Folded Reload
	buffer_load_dword v96, off, s[20:23], 0 offset:452 ; 4-byte Folded Reload
	buffer_load_dword v97, off, s[20:23], 0 offset:456 ; 4-byte Folded Reload
	buffer_load_dword v98, off, s[20:23], 0 offset:460 ; 4-byte Folded Reload
	s_waitcnt vmcnt(0)
	ds_write2_b64 v125, v[95:96], v[97:98] offset0:30 offset1:31
	buffer_load_dword v95, off, s[20:23], 0 offset:432 ; 4-byte Folded Reload
	buffer_load_dword v96, off, s[20:23], 0 offset:436 ; 4-byte Folded Reload
	buffer_load_dword v97, off, s[20:23], 0 offset:440 ; 4-byte Folded Reload
	buffer_load_dword v98, off, s[20:23], 0 offset:444 ; 4-byte Folded Reload
	s_waitcnt vmcnt(0)
	ds_write2_b64 v125, v[95:96], v[97:98] offset0:32 offset1:33
	;; [unrolled: 6-line block ×18, first 2 shown]
	ds_write2_b64 v125, v[91:92], v[93:94] offset0:66 offset1:67
	buffer_load_dword v77, off, s[20:23], 0 offset:160 ; 4-byte Folded Reload
	buffer_load_dword v78, off, s[20:23], 0 offset:164 ; 4-byte Folded Reload
	buffer_load_dword v79, off, s[20:23], 0 offset:168 ; 4-byte Folded Reload
	buffer_load_dword v80, off, s[20:23], 0 offset:172 ; 4-byte Folded Reload
	s_waitcnt vmcnt(0)
	ds_write2_b64 v125, v[77:78], v[79:80] offset0:68 offset1:69
	buffer_load_dword v77, off, s[20:23], 0 offset:144 ; 4-byte Folded Reload
	buffer_load_dword v78, off, s[20:23], 0 offset:148 ; 4-byte Folded Reload
	buffer_load_dword v79, off, s[20:23], 0 offset:152 ; 4-byte Folded Reload
	buffer_load_dword v80, off, s[20:23], 0 offset:156 ; 4-byte Folded Reload
	s_waitcnt vmcnt(0)
	;; [unrolled: 6-line block ×10, first 2 shown]
	ds_write2_b64 v125, v[45:46], v[47:48] offset0:86 offset1:87
	buffer_load_dword v41, off, s[20:23], 0 ; 4-byte Folded Reload
	buffer_load_dword v42, off, s[20:23], 0 offset:4 ; 4-byte Folded Reload
	buffer_load_dword v43, off, s[20:23], 0 offset:8 ; 4-byte Folded Reload
	;; [unrolled: 1-line block ×3, first 2 shown]
	s_waitcnt vmcnt(0)
	ds_write2_b64 v125, v[41:42], v[43:44] offset0:88 offset1:89
	ds_write2_b64 v125, v[37:38], v[39:40] offset0:90 offset1:91
	;; [unrolled: 1-line block ×12, first 2 shown]
	ds_read2_b64 v[97:100], v127 offset1:1
	s_waitcnt lgkmcnt(0)
	v_cmp_neq_f64_e32 vcc, 0, v[97:98]
	v_cmp_neq_f64_e64 s[2:3], 0, v[99:100]
	s_or_b64 s[2:3], vcc, s[2:3]
	s_and_b64 exec, exec, s[2:3]
	s_cbranch_execz .LBB111_134
; %bb.129:
	v_cmp_ngt_f64_e64 s[2:3], |v[97:98]|, |v[99:100]|
                                        ; implicit-def: $vgpr101_vgpr102
	s_and_saveexec_b64 s[6:7], s[2:3]
	s_xor_b64 s[2:3], exec, s[6:7]
                                        ; implicit-def: $vgpr103_vgpr104
	s_cbranch_execz .LBB111_131
; %bb.130:
	v_div_scale_f64 v[101:102], s[6:7], v[99:100], v[99:100], v[97:98]
	v_rcp_f64_e32 v[103:104], v[101:102]
	v_fma_f64 v[105:106], -v[101:102], v[103:104], 1.0
	v_fma_f64 v[103:104], v[103:104], v[105:106], v[103:104]
	v_div_scale_f64 v[105:106], vcc, v[97:98], v[99:100], v[97:98]
	v_fma_f64 v[107:108], -v[101:102], v[103:104], 1.0
	v_fma_f64 v[103:104], v[103:104], v[107:108], v[103:104]
	v_mul_f64 v[107:108], v[105:106], v[103:104]
	v_fma_f64 v[101:102], -v[101:102], v[107:108], v[105:106]
	v_div_fmas_f64 v[101:102], v[101:102], v[103:104], v[107:108]
	v_div_fixup_f64 v[101:102], v[101:102], v[99:100], v[97:98]
	v_fma_f64 v[97:98], v[97:98], v[101:102], v[99:100]
	v_div_scale_f64 v[99:100], s[6:7], v[97:98], v[97:98], 1.0
	v_div_scale_f64 v[107:108], vcc, 1.0, v[97:98], 1.0
	v_rcp_f64_e32 v[103:104], v[99:100]
	v_fma_f64 v[105:106], -v[99:100], v[103:104], 1.0
	v_fma_f64 v[103:104], v[103:104], v[105:106], v[103:104]
	v_fma_f64 v[105:106], -v[99:100], v[103:104], 1.0
	v_fma_f64 v[103:104], v[103:104], v[105:106], v[103:104]
	v_mul_f64 v[105:106], v[107:108], v[103:104]
	v_fma_f64 v[99:100], -v[99:100], v[105:106], v[107:108]
	v_div_fmas_f64 v[99:100], v[99:100], v[103:104], v[105:106]
	v_div_fixup_f64 v[103:104], v[99:100], v[97:98], 1.0
                                        ; implicit-def: $vgpr97_vgpr98
	v_mul_f64 v[101:102], v[101:102], v[103:104]
	v_xor_b32_e32 v104, 0x80000000, v104
.LBB111_131:
	s_andn2_saveexec_b64 s[2:3], s[2:3]
	s_cbranch_execz .LBB111_133
; %bb.132:
	v_div_scale_f64 v[101:102], s[6:7], v[97:98], v[97:98], v[99:100]
	v_rcp_f64_e32 v[103:104], v[101:102]
	v_fma_f64 v[105:106], -v[101:102], v[103:104], 1.0
	v_fma_f64 v[103:104], v[103:104], v[105:106], v[103:104]
	v_div_scale_f64 v[105:106], vcc, v[99:100], v[97:98], v[99:100]
	v_fma_f64 v[107:108], -v[101:102], v[103:104], 1.0
	v_fma_f64 v[103:104], v[103:104], v[107:108], v[103:104]
	v_mul_f64 v[107:108], v[105:106], v[103:104]
	v_fma_f64 v[101:102], -v[101:102], v[107:108], v[105:106]
	v_div_fmas_f64 v[101:102], v[101:102], v[103:104], v[107:108]
	v_div_fixup_f64 v[103:104], v[101:102], v[97:98], v[99:100]
	v_fma_f64 v[97:98], v[99:100], v[103:104], v[97:98]
	v_div_scale_f64 v[99:100], s[6:7], v[97:98], v[97:98], 1.0
	v_div_scale_f64 v[107:108], vcc, 1.0, v[97:98], 1.0
	v_rcp_f64_e32 v[101:102], v[99:100]
	v_fma_f64 v[105:106], -v[99:100], v[101:102], 1.0
	v_fma_f64 v[101:102], v[101:102], v[105:106], v[101:102]
	v_fma_f64 v[105:106], -v[99:100], v[101:102], 1.0
	v_fma_f64 v[101:102], v[101:102], v[105:106], v[101:102]
	v_mul_f64 v[105:106], v[107:108], v[101:102]
	v_fma_f64 v[99:100], -v[99:100], v[105:106], v[107:108]
	v_div_fmas_f64 v[99:100], v[99:100], v[101:102], v[105:106]
	v_div_fixup_f64 v[101:102], v[99:100], v[97:98], 1.0
	v_mul_f64 v[103:104], v[103:104], -v[101:102]
.LBB111_133:
	s_or_b64 exec, exec, s[2:3]
	ds_write2_b64 v127, v[101:102], v[103:104] offset1:1
.LBB111_134:
	s_or_b64 exec, exec, s[4:5]
	s_waitcnt lgkmcnt(0)
	s_barrier
	ds_read2_b64 v[87:90], v127 offset1:1
	v_cmp_lt_u32_e32 vcc, 14, v0
	s_waitcnt lgkmcnt(0)
	buffer_store_dword v87, off, s[20:23], 0 offset:1368 ; 4-byte Folded Spill
	s_nop 0
	buffer_store_dword v88, off, s[20:23], 0 offset:1372 ; 4-byte Folded Spill
	buffer_store_dword v89, off, s[20:23], 0 offset:1376 ; 4-byte Folded Spill
	;; [unrolled: 1-line block ×3, first 2 shown]
	s_and_saveexec_b64 s[2:3], vcc
	s_cbranch_execz .LBB111_136
; %bb.135:
	buffer_load_dword v107, off, s[20:23], 0 offset:464 ; 4-byte Folded Reload
	buffer_load_dword v108, off, s[20:23], 0 offset:468 ; 4-byte Folded Reload
	;; [unrolled: 1-line block ×8, first 2 shown]
	s_waitcnt vmcnt(2)
	v_mul_f64 v[99:100], v[87:88], v[109:110]
	s_waitcnt vmcnt(0)
	v_mul_f64 v[97:98], v[89:90], v[109:110]
	v_fma_f64 v[109:110], v[89:90], v[107:108], v[99:100]
	ds_read2_b64 v[99:102], v125 offset0:30 offset1:31
	v_fma_f64 v[97:98], v[87:88], v[107:108], -v[97:98]
	buffer_load_dword v105, off, s[20:23], 0 offset:448 ; 4-byte Folded Reload
	buffer_load_dword v106, off, s[20:23], 0 offset:452 ; 4-byte Folded Reload
	buffer_load_dword v107, off, s[20:23], 0 offset:456 ; 4-byte Folded Reload
	buffer_load_dword v108, off, s[20:23], 0 offset:460 ; 4-byte Folded Reload
	s_waitcnt lgkmcnt(0)
	v_mul_f64 v[103:104], v[101:102], v[109:110]
	v_fma_f64 v[103:104], v[99:100], v[97:98], -v[103:104]
	v_mul_f64 v[99:100], v[99:100], v[109:110]
	v_fma_f64 v[99:100], v[101:102], v[97:98], v[99:100]
	s_waitcnt vmcnt(2)
	v_add_f64 v[105:106], v[105:106], -v[103:104]
	s_waitcnt vmcnt(0)
	v_add_f64 v[107:108], v[107:108], -v[99:100]
	buffer_store_dword v105, off, s[20:23], 0 offset:448 ; 4-byte Folded Spill
	s_nop 0
	buffer_store_dword v106, off, s[20:23], 0 offset:452 ; 4-byte Folded Spill
	buffer_store_dword v107, off, s[20:23], 0 offset:456 ; 4-byte Folded Spill
	buffer_store_dword v108, off, s[20:23], 0 offset:460 ; 4-byte Folded Spill
	ds_read2_b64 v[99:102], v125 offset0:32 offset1:33
	buffer_load_dword v105, off, s[20:23], 0 offset:432 ; 4-byte Folded Reload
	buffer_load_dword v106, off, s[20:23], 0 offset:436 ; 4-byte Folded Reload
	buffer_load_dword v107, off, s[20:23], 0 offset:440 ; 4-byte Folded Reload
	buffer_load_dword v108, off, s[20:23], 0 offset:444 ; 4-byte Folded Reload
	s_waitcnt lgkmcnt(0)
	v_mul_f64 v[103:104], v[101:102], v[109:110]
	v_fma_f64 v[103:104], v[99:100], v[97:98], -v[103:104]
	v_mul_f64 v[99:100], v[99:100], v[109:110]
	v_fma_f64 v[99:100], v[101:102], v[97:98], v[99:100]
	s_waitcnt vmcnt(2)
	v_add_f64 v[105:106], v[105:106], -v[103:104]
	s_waitcnt vmcnt(0)
	v_add_f64 v[107:108], v[107:108], -v[99:100]
	buffer_store_dword v105, off, s[20:23], 0 offset:432 ; 4-byte Folded Spill
	s_nop 0
	buffer_store_dword v106, off, s[20:23], 0 offset:436 ; 4-byte Folded Spill
	buffer_store_dword v107, off, s[20:23], 0 offset:440 ; 4-byte Folded Spill
	buffer_store_dword v108, off, s[20:23], 0 offset:444 ; 4-byte Folded Spill
	ds_read2_b64 v[99:102], v125 offset0:34 offset1:35
	;; [unrolled: 19-line block ×18, first 2 shown]
	v_mov_b32_e32 v108, v98
	v_mov_b32_e32 v107, v97
	s_waitcnt lgkmcnt(0)
	v_mul_f64 v[103:104], v[101:102], v[109:110]
	v_fma_f64 v[103:104], v[99:100], v[97:98], -v[103:104]
	v_mul_f64 v[99:100], v[99:100], v[109:110]
	v_add_f64 v[91:92], v[91:92], -v[103:104]
	v_fma_f64 v[99:100], v[101:102], v[97:98], v[99:100]
	v_add_f64 v[93:94], v[93:94], -v[99:100]
	ds_read2_b64 v[99:102], v125 offset0:68 offset1:69
	buffer_load_dword v77, off, s[20:23], 0 offset:160 ; 4-byte Folded Reload
	buffer_load_dword v78, off, s[20:23], 0 offset:164 ; 4-byte Folded Reload
	buffer_load_dword v79, off, s[20:23], 0 offset:168 ; 4-byte Folded Reload
	buffer_load_dword v80, off, s[20:23], 0 offset:172 ; 4-byte Folded Reload
	s_waitcnt lgkmcnt(0)
	v_mul_f64 v[103:104], v[101:102], v[109:110]
	v_fma_f64 v[103:104], v[99:100], v[97:98], -v[103:104]
	v_mul_f64 v[99:100], v[99:100], v[109:110]
	v_fma_f64 v[99:100], v[101:102], v[97:98], v[99:100]
	s_waitcnt vmcnt(2)
	v_add_f64 v[77:78], v[77:78], -v[103:104]
	s_waitcnt vmcnt(0)
	v_add_f64 v[79:80], v[79:80], -v[99:100]
	buffer_store_dword v77, off, s[20:23], 0 offset:160 ; 4-byte Folded Spill
	s_nop 0
	buffer_store_dword v78, off, s[20:23], 0 offset:164 ; 4-byte Folded Spill
	buffer_store_dword v79, off, s[20:23], 0 offset:168 ; 4-byte Folded Spill
	buffer_store_dword v80, off, s[20:23], 0 offset:172 ; 4-byte Folded Spill
	ds_read2_b64 v[99:102], v125 offset0:70 offset1:71
	buffer_load_dword v77, off, s[20:23], 0 offset:144 ; 4-byte Folded Reload
	buffer_load_dword v78, off, s[20:23], 0 offset:148 ; 4-byte Folded Reload
	buffer_load_dword v79, off, s[20:23], 0 offset:152 ; 4-byte Folded Reload
	buffer_load_dword v80, off, s[20:23], 0 offset:156 ; 4-byte Folded Reload
	s_waitcnt lgkmcnt(0)
	v_mul_f64 v[103:104], v[101:102], v[109:110]
	v_fma_f64 v[103:104], v[99:100], v[97:98], -v[103:104]
	v_mul_f64 v[99:100], v[99:100], v[109:110]
	v_fma_f64 v[99:100], v[101:102], v[97:98], v[99:100]
	s_waitcnt vmcnt(2)
	v_add_f64 v[77:78], v[77:78], -v[103:104]
	s_waitcnt vmcnt(0)
	v_add_f64 v[79:80], v[79:80], -v[99:100]
	buffer_store_dword v77, off, s[20:23], 0 offset:144 ; 4-byte Folded Spill
	s_nop 0
	buffer_store_dword v78, off, s[20:23], 0 offset:148 ; 4-byte Folded Spill
	buffer_store_dword v79, off, s[20:23], 0 offset:152 ; 4-byte Folded Spill
	buffer_store_dword v80, off, s[20:23], 0 offset:156 ; 4-byte Folded Spill
	;; [unrolled: 19-line block ×10, first 2 shown]
	ds_read2_b64 v[99:102], v125 offset0:88 offset1:89
	buffer_load_dword v41, off, s[20:23], 0 ; 4-byte Folded Reload
	buffer_load_dword v42, off, s[20:23], 0 offset:4 ; 4-byte Folded Reload
	buffer_load_dword v43, off, s[20:23], 0 offset:8 ; 4-byte Folded Reload
	;; [unrolled: 1-line block ×3, first 2 shown]
	s_waitcnt lgkmcnt(0)
	v_mul_f64 v[103:104], v[101:102], v[109:110]
	v_fma_f64 v[103:104], v[99:100], v[97:98], -v[103:104]
	v_mul_f64 v[99:100], v[99:100], v[109:110]
	v_fma_f64 v[99:100], v[101:102], v[97:98], v[99:100]
	s_waitcnt vmcnt(2)
	v_add_f64 v[41:42], v[41:42], -v[103:104]
	s_waitcnt vmcnt(0)
	v_add_f64 v[43:44], v[43:44], -v[99:100]
	buffer_store_dword v41, off, s[20:23], 0 ; 4-byte Folded Spill
	s_nop 0
	buffer_store_dword v42, off, s[20:23], 0 offset:4 ; 4-byte Folded Spill
	buffer_store_dword v43, off, s[20:23], 0 offset:8 ; 4-byte Folded Spill
	buffer_store_dword v44, off, s[20:23], 0 offset:12 ; 4-byte Folded Spill
	ds_read2_b64 v[99:102], v125 offset0:90 offset1:91
	s_waitcnt lgkmcnt(0)
	v_mul_f64 v[103:104], v[101:102], v[109:110]
	v_fma_f64 v[103:104], v[99:100], v[97:98], -v[103:104]
	v_mul_f64 v[99:100], v[99:100], v[109:110]
	v_add_f64 v[37:38], v[37:38], -v[103:104]
	v_fma_f64 v[99:100], v[101:102], v[97:98], v[99:100]
	v_add_f64 v[39:40], v[39:40], -v[99:100]
	ds_read2_b64 v[99:102], v125 offset0:92 offset1:93
	s_waitcnt lgkmcnt(0)
	v_mul_f64 v[103:104], v[101:102], v[109:110]
	v_fma_f64 v[103:104], v[99:100], v[97:98], -v[103:104]
	v_mul_f64 v[99:100], v[99:100], v[109:110]
	v_add_f64 v[33:34], v[33:34], -v[103:104]
	v_fma_f64 v[99:100], v[101:102], v[97:98], v[99:100]
	v_add_f64 v[35:36], v[35:36], -v[99:100]
	;; [unrolled: 8-line block ×10, first 2 shown]
	ds_read2_b64 v[99:102], v125 offset0:110 offset1:111
	s_waitcnt lgkmcnt(0)
	v_mul_f64 v[103:104], v[101:102], v[109:110]
	v_fma_f64 v[103:104], v[99:100], v[97:98], -v[103:104]
	v_mul_f64 v[99:100], v[99:100], v[109:110]
	buffer_store_dword v107, off, s[20:23], 0 offset:464 ; 4-byte Folded Spill
	s_nop 0
	buffer_store_dword v108, off, s[20:23], 0 offset:468 ; 4-byte Folded Spill
	buffer_store_dword v109, off, s[20:23], 0 offset:472 ; 4-byte Folded Spill
	;; [unrolled: 1-line block ×3, first 2 shown]
	v_add_f64 v[121:122], v[121:122], -v[103:104]
	v_fma_f64 v[99:100], v[101:102], v[97:98], v[99:100]
	v_add_f64 v[123:124], v[123:124], -v[99:100]
.LBB111_136:
	s_or_b64 exec, exec, s[2:3]
	v_cmp_eq_u32_e32 vcc, 15, v0
	s_waitcnt vmcnt(0)
	s_barrier
	s_and_saveexec_b64 s[4:5], vcc
	s_cbranch_execz .LBB111_143
; %bb.137:
	buffer_load_dword v95, off, s[20:23], 0 offset:448 ; 4-byte Folded Reload
	buffer_load_dword v96, off, s[20:23], 0 offset:452 ; 4-byte Folded Reload
	;; [unrolled: 1-line block ×4, first 2 shown]
	s_waitcnt vmcnt(0)
	ds_write2_b64 v127, v[95:96], v[97:98] offset1:1
	buffer_load_dword v95, off, s[20:23], 0 offset:432 ; 4-byte Folded Reload
	buffer_load_dword v96, off, s[20:23], 0 offset:436 ; 4-byte Folded Reload
	buffer_load_dword v97, off, s[20:23], 0 offset:440 ; 4-byte Folded Reload
	buffer_load_dword v98, off, s[20:23], 0 offset:444 ; 4-byte Folded Reload
	s_waitcnt vmcnt(0)
	ds_write2_b64 v125, v[95:96], v[97:98] offset0:32 offset1:33
	buffer_load_dword v95, off, s[20:23], 0 offset:416 ; 4-byte Folded Reload
	buffer_load_dword v96, off, s[20:23], 0 offset:420 ; 4-byte Folded Reload
	buffer_load_dword v97, off, s[20:23], 0 offset:424 ; 4-byte Folded Reload
	buffer_load_dword v98, off, s[20:23], 0 offset:428 ; 4-byte Folded Reload
	s_waitcnt vmcnt(0)
	ds_write2_b64 v125, v[95:96], v[97:98] offset0:34 offset1:35
	;; [unrolled: 6-line block ×17, first 2 shown]
	ds_write2_b64 v125, v[91:92], v[93:94] offset0:66 offset1:67
	buffer_load_dword v77, off, s[20:23], 0 offset:160 ; 4-byte Folded Reload
	buffer_load_dword v78, off, s[20:23], 0 offset:164 ; 4-byte Folded Reload
	buffer_load_dword v79, off, s[20:23], 0 offset:168 ; 4-byte Folded Reload
	buffer_load_dword v80, off, s[20:23], 0 offset:172 ; 4-byte Folded Reload
	s_waitcnt vmcnt(0)
	ds_write2_b64 v125, v[77:78], v[79:80] offset0:68 offset1:69
	buffer_load_dword v77, off, s[20:23], 0 offset:144 ; 4-byte Folded Reload
	buffer_load_dword v78, off, s[20:23], 0 offset:148 ; 4-byte Folded Reload
	buffer_load_dword v79, off, s[20:23], 0 offset:152 ; 4-byte Folded Reload
	buffer_load_dword v80, off, s[20:23], 0 offset:156 ; 4-byte Folded Reload
	s_waitcnt vmcnt(0)
	;; [unrolled: 6-line block ×10, first 2 shown]
	ds_write2_b64 v125, v[45:46], v[47:48] offset0:86 offset1:87
	buffer_load_dword v41, off, s[20:23], 0 ; 4-byte Folded Reload
	buffer_load_dword v42, off, s[20:23], 0 offset:4 ; 4-byte Folded Reload
	buffer_load_dword v43, off, s[20:23], 0 offset:8 ; 4-byte Folded Reload
	;; [unrolled: 1-line block ×3, first 2 shown]
	s_waitcnt vmcnt(0)
	ds_write2_b64 v125, v[41:42], v[43:44] offset0:88 offset1:89
	ds_write2_b64 v125, v[37:38], v[39:40] offset0:90 offset1:91
	;; [unrolled: 1-line block ×12, first 2 shown]
	ds_read2_b64 v[97:100], v127 offset1:1
	s_waitcnt lgkmcnt(0)
	v_cmp_neq_f64_e32 vcc, 0, v[97:98]
	v_cmp_neq_f64_e64 s[2:3], 0, v[99:100]
	s_or_b64 s[2:3], vcc, s[2:3]
	s_and_b64 exec, exec, s[2:3]
	s_cbranch_execz .LBB111_143
; %bb.138:
	v_cmp_ngt_f64_e64 s[2:3], |v[97:98]|, |v[99:100]|
                                        ; implicit-def: $vgpr101_vgpr102
	s_and_saveexec_b64 s[6:7], s[2:3]
	s_xor_b64 s[2:3], exec, s[6:7]
                                        ; implicit-def: $vgpr103_vgpr104
	s_cbranch_execz .LBB111_140
; %bb.139:
	v_div_scale_f64 v[101:102], s[6:7], v[99:100], v[99:100], v[97:98]
	v_rcp_f64_e32 v[103:104], v[101:102]
	v_fma_f64 v[105:106], -v[101:102], v[103:104], 1.0
	v_fma_f64 v[103:104], v[103:104], v[105:106], v[103:104]
	v_div_scale_f64 v[105:106], vcc, v[97:98], v[99:100], v[97:98]
	v_fma_f64 v[107:108], -v[101:102], v[103:104], 1.0
	v_fma_f64 v[103:104], v[103:104], v[107:108], v[103:104]
	v_mul_f64 v[107:108], v[105:106], v[103:104]
	v_fma_f64 v[101:102], -v[101:102], v[107:108], v[105:106]
	v_div_fmas_f64 v[101:102], v[101:102], v[103:104], v[107:108]
	v_div_fixup_f64 v[101:102], v[101:102], v[99:100], v[97:98]
	v_fma_f64 v[97:98], v[97:98], v[101:102], v[99:100]
	v_div_scale_f64 v[99:100], s[6:7], v[97:98], v[97:98], 1.0
	v_div_scale_f64 v[107:108], vcc, 1.0, v[97:98], 1.0
	v_rcp_f64_e32 v[103:104], v[99:100]
	v_fma_f64 v[105:106], -v[99:100], v[103:104], 1.0
	v_fma_f64 v[103:104], v[103:104], v[105:106], v[103:104]
	v_fma_f64 v[105:106], -v[99:100], v[103:104], 1.0
	v_fma_f64 v[103:104], v[103:104], v[105:106], v[103:104]
	v_mul_f64 v[105:106], v[107:108], v[103:104]
	v_fma_f64 v[99:100], -v[99:100], v[105:106], v[107:108]
	v_div_fmas_f64 v[99:100], v[99:100], v[103:104], v[105:106]
	v_div_fixup_f64 v[103:104], v[99:100], v[97:98], 1.0
                                        ; implicit-def: $vgpr97_vgpr98
	v_mul_f64 v[101:102], v[101:102], v[103:104]
	v_xor_b32_e32 v104, 0x80000000, v104
.LBB111_140:
	s_andn2_saveexec_b64 s[2:3], s[2:3]
	s_cbranch_execz .LBB111_142
; %bb.141:
	v_div_scale_f64 v[101:102], s[6:7], v[97:98], v[97:98], v[99:100]
	v_rcp_f64_e32 v[103:104], v[101:102]
	v_fma_f64 v[105:106], -v[101:102], v[103:104], 1.0
	v_fma_f64 v[103:104], v[103:104], v[105:106], v[103:104]
	v_div_scale_f64 v[105:106], vcc, v[99:100], v[97:98], v[99:100]
	v_fma_f64 v[107:108], -v[101:102], v[103:104], 1.0
	v_fma_f64 v[103:104], v[103:104], v[107:108], v[103:104]
	v_mul_f64 v[107:108], v[105:106], v[103:104]
	v_fma_f64 v[101:102], -v[101:102], v[107:108], v[105:106]
	v_div_fmas_f64 v[101:102], v[101:102], v[103:104], v[107:108]
	v_div_fixup_f64 v[103:104], v[101:102], v[97:98], v[99:100]
	v_fma_f64 v[97:98], v[99:100], v[103:104], v[97:98]
	v_div_scale_f64 v[99:100], s[6:7], v[97:98], v[97:98], 1.0
	v_div_scale_f64 v[107:108], vcc, 1.0, v[97:98], 1.0
	v_rcp_f64_e32 v[101:102], v[99:100]
	v_fma_f64 v[105:106], -v[99:100], v[101:102], 1.0
	v_fma_f64 v[101:102], v[101:102], v[105:106], v[101:102]
	v_fma_f64 v[105:106], -v[99:100], v[101:102], 1.0
	v_fma_f64 v[101:102], v[101:102], v[105:106], v[101:102]
	v_mul_f64 v[105:106], v[107:108], v[101:102]
	v_fma_f64 v[99:100], -v[99:100], v[105:106], v[107:108]
	v_div_fmas_f64 v[99:100], v[99:100], v[101:102], v[105:106]
	v_div_fixup_f64 v[101:102], v[99:100], v[97:98], 1.0
	v_mul_f64 v[103:104], v[103:104], -v[101:102]
.LBB111_142:
	s_or_b64 exec, exec, s[2:3]
	ds_write2_b64 v127, v[101:102], v[103:104] offset1:1
.LBB111_143:
	s_or_b64 exec, exec, s[4:5]
	s_waitcnt lgkmcnt(0)
	s_barrier
	ds_read2_b64 v[87:90], v127 offset1:1
	v_cmp_lt_u32_e32 vcc, 15, v0
	s_waitcnt lgkmcnt(0)
	buffer_store_dword v87, off, s[20:23], 0 offset:1384 ; 4-byte Folded Spill
	s_nop 0
	buffer_store_dword v88, off, s[20:23], 0 offset:1388 ; 4-byte Folded Spill
	buffer_store_dword v89, off, s[20:23], 0 offset:1392 ; 4-byte Folded Spill
	;; [unrolled: 1-line block ×3, first 2 shown]
	s_and_saveexec_b64 s[2:3], vcc
	s_cbranch_execz .LBB111_145
; %bb.144:
	buffer_load_dword v107, off, s[20:23], 0 offset:448 ; 4-byte Folded Reload
	buffer_load_dword v108, off, s[20:23], 0 offset:452 ; 4-byte Folded Reload
	;; [unrolled: 1-line block ×8, first 2 shown]
	s_waitcnt vmcnt(2)
	v_mul_f64 v[99:100], v[87:88], v[109:110]
	s_waitcnt vmcnt(0)
	v_mul_f64 v[97:98], v[89:90], v[109:110]
	v_fma_f64 v[109:110], v[89:90], v[107:108], v[99:100]
	ds_read2_b64 v[99:102], v125 offset0:32 offset1:33
	v_fma_f64 v[97:98], v[87:88], v[107:108], -v[97:98]
	buffer_load_dword v105, off, s[20:23], 0 offset:432 ; 4-byte Folded Reload
	buffer_load_dword v106, off, s[20:23], 0 offset:436 ; 4-byte Folded Reload
	buffer_load_dword v107, off, s[20:23], 0 offset:440 ; 4-byte Folded Reload
	buffer_load_dword v108, off, s[20:23], 0 offset:444 ; 4-byte Folded Reload
	s_waitcnt lgkmcnt(0)
	v_mul_f64 v[103:104], v[101:102], v[109:110]
	v_fma_f64 v[103:104], v[99:100], v[97:98], -v[103:104]
	v_mul_f64 v[99:100], v[99:100], v[109:110]
	v_fma_f64 v[99:100], v[101:102], v[97:98], v[99:100]
	s_waitcnt vmcnt(2)
	v_add_f64 v[105:106], v[105:106], -v[103:104]
	s_waitcnt vmcnt(0)
	v_add_f64 v[107:108], v[107:108], -v[99:100]
	buffer_store_dword v105, off, s[20:23], 0 offset:432 ; 4-byte Folded Spill
	s_nop 0
	buffer_store_dword v106, off, s[20:23], 0 offset:436 ; 4-byte Folded Spill
	buffer_store_dword v107, off, s[20:23], 0 offset:440 ; 4-byte Folded Spill
	buffer_store_dword v108, off, s[20:23], 0 offset:444 ; 4-byte Folded Spill
	ds_read2_b64 v[99:102], v125 offset0:34 offset1:35
	buffer_load_dword v105, off, s[20:23], 0 offset:416 ; 4-byte Folded Reload
	buffer_load_dword v106, off, s[20:23], 0 offset:420 ; 4-byte Folded Reload
	buffer_load_dword v107, off, s[20:23], 0 offset:424 ; 4-byte Folded Reload
	buffer_load_dword v108, off, s[20:23], 0 offset:428 ; 4-byte Folded Reload
	s_waitcnt lgkmcnt(0)
	v_mul_f64 v[103:104], v[101:102], v[109:110]
	v_fma_f64 v[103:104], v[99:100], v[97:98], -v[103:104]
	v_mul_f64 v[99:100], v[99:100], v[109:110]
	v_fma_f64 v[99:100], v[101:102], v[97:98], v[99:100]
	s_waitcnt vmcnt(2)
	v_add_f64 v[105:106], v[105:106], -v[103:104]
	s_waitcnt vmcnt(0)
	v_add_f64 v[107:108], v[107:108], -v[99:100]
	buffer_store_dword v105, off, s[20:23], 0 offset:416 ; 4-byte Folded Spill
	s_nop 0
	buffer_store_dword v106, off, s[20:23], 0 offset:420 ; 4-byte Folded Spill
	buffer_store_dword v107, off, s[20:23], 0 offset:424 ; 4-byte Folded Spill
	buffer_store_dword v108, off, s[20:23], 0 offset:428 ; 4-byte Folded Spill
	ds_read2_b64 v[99:102], v125 offset0:36 offset1:37
	;; [unrolled: 19-line block ×17, first 2 shown]
	v_mov_b32_e32 v108, v98
	v_mov_b32_e32 v107, v97
	s_waitcnt lgkmcnt(0)
	v_mul_f64 v[103:104], v[101:102], v[109:110]
	v_fma_f64 v[103:104], v[99:100], v[97:98], -v[103:104]
	v_mul_f64 v[99:100], v[99:100], v[109:110]
	v_add_f64 v[91:92], v[91:92], -v[103:104]
	v_fma_f64 v[99:100], v[101:102], v[97:98], v[99:100]
	v_add_f64 v[93:94], v[93:94], -v[99:100]
	ds_read2_b64 v[99:102], v125 offset0:68 offset1:69
	buffer_load_dword v77, off, s[20:23], 0 offset:160 ; 4-byte Folded Reload
	buffer_load_dword v78, off, s[20:23], 0 offset:164 ; 4-byte Folded Reload
	buffer_load_dword v79, off, s[20:23], 0 offset:168 ; 4-byte Folded Reload
	buffer_load_dword v80, off, s[20:23], 0 offset:172 ; 4-byte Folded Reload
	s_waitcnt lgkmcnt(0)
	v_mul_f64 v[103:104], v[101:102], v[109:110]
	v_fma_f64 v[103:104], v[99:100], v[97:98], -v[103:104]
	v_mul_f64 v[99:100], v[99:100], v[109:110]
	v_fma_f64 v[99:100], v[101:102], v[97:98], v[99:100]
	s_waitcnt vmcnt(2)
	v_add_f64 v[77:78], v[77:78], -v[103:104]
	s_waitcnt vmcnt(0)
	v_add_f64 v[79:80], v[79:80], -v[99:100]
	buffer_store_dword v77, off, s[20:23], 0 offset:160 ; 4-byte Folded Spill
	s_nop 0
	buffer_store_dword v78, off, s[20:23], 0 offset:164 ; 4-byte Folded Spill
	buffer_store_dword v79, off, s[20:23], 0 offset:168 ; 4-byte Folded Spill
	buffer_store_dword v80, off, s[20:23], 0 offset:172 ; 4-byte Folded Spill
	ds_read2_b64 v[99:102], v125 offset0:70 offset1:71
	buffer_load_dword v77, off, s[20:23], 0 offset:144 ; 4-byte Folded Reload
	buffer_load_dword v78, off, s[20:23], 0 offset:148 ; 4-byte Folded Reload
	buffer_load_dword v79, off, s[20:23], 0 offset:152 ; 4-byte Folded Reload
	buffer_load_dword v80, off, s[20:23], 0 offset:156 ; 4-byte Folded Reload
	s_waitcnt lgkmcnt(0)
	v_mul_f64 v[103:104], v[101:102], v[109:110]
	v_fma_f64 v[103:104], v[99:100], v[97:98], -v[103:104]
	v_mul_f64 v[99:100], v[99:100], v[109:110]
	v_fma_f64 v[99:100], v[101:102], v[97:98], v[99:100]
	s_waitcnt vmcnt(2)
	v_add_f64 v[77:78], v[77:78], -v[103:104]
	s_waitcnt vmcnt(0)
	v_add_f64 v[79:80], v[79:80], -v[99:100]
	buffer_store_dword v77, off, s[20:23], 0 offset:144 ; 4-byte Folded Spill
	s_nop 0
	buffer_store_dword v78, off, s[20:23], 0 offset:148 ; 4-byte Folded Spill
	buffer_store_dword v79, off, s[20:23], 0 offset:152 ; 4-byte Folded Spill
	buffer_store_dword v80, off, s[20:23], 0 offset:156 ; 4-byte Folded Spill
	;; [unrolled: 19-line block ×10, first 2 shown]
	ds_read2_b64 v[99:102], v125 offset0:88 offset1:89
	buffer_load_dword v41, off, s[20:23], 0 ; 4-byte Folded Reload
	buffer_load_dword v42, off, s[20:23], 0 offset:4 ; 4-byte Folded Reload
	buffer_load_dword v43, off, s[20:23], 0 offset:8 ; 4-byte Folded Reload
	;; [unrolled: 1-line block ×3, first 2 shown]
	s_waitcnt lgkmcnt(0)
	v_mul_f64 v[103:104], v[101:102], v[109:110]
	v_fma_f64 v[103:104], v[99:100], v[97:98], -v[103:104]
	v_mul_f64 v[99:100], v[99:100], v[109:110]
	v_fma_f64 v[99:100], v[101:102], v[97:98], v[99:100]
	s_waitcnt vmcnt(2)
	v_add_f64 v[41:42], v[41:42], -v[103:104]
	s_waitcnt vmcnt(0)
	v_add_f64 v[43:44], v[43:44], -v[99:100]
	buffer_store_dword v41, off, s[20:23], 0 ; 4-byte Folded Spill
	s_nop 0
	buffer_store_dword v42, off, s[20:23], 0 offset:4 ; 4-byte Folded Spill
	buffer_store_dword v43, off, s[20:23], 0 offset:8 ; 4-byte Folded Spill
	;; [unrolled: 1-line block ×3, first 2 shown]
	ds_read2_b64 v[99:102], v125 offset0:90 offset1:91
	s_waitcnt lgkmcnt(0)
	v_mul_f64 v[103:104], v[101:102], v[109:110]
	v_fma_f64 v[103:104], v[99:100], v[97:98], -v[103:104]
	v_mul_f64 v[99:100], v[99:100], v[109:110]
	v_add_f64 v[37:38], v[37:38], -v[103:104]
	v_fma_f64 v[99:100], v[101:102], v[97:98], v[99:100]
	v_add_f64 v[39:40], v[39:40], -v[99:100]
	ds_read2_b64 v[99:102], v125 offset0:92 offset1:93
	s_waitcnt lgkmcnt(0)
	v_mul_f64 v[103:104], v[101:102], v[109:110]
	v_fma_f64 v[103:104], v[99:100], v[97:98], -v[103:104]
	v_mul_f64 v[99:100], v[99:100], v[109:110]
	v_add_f64 v[33:34], v[33:34], -v[103:104]
	v_fma_f64 v[99:100], v[101:102], v[97:98], v[99:100]
	v_add_f64 v[35:36], v[35:36], -v[99:100]
	;; [unrolled: 8-line block ×10, first 2 shown]
	ds_read2_b64 v[99:102], v125 offset0:110 offset1:111
	s_waitcnt lgkmcnt(0)
	v_mul_f64 v[103:104], v[101:102], v[109:110]
	v_fma_f64 v[103:104], v[99:100], v[97:98], -v[103:104]
	v_mul_f64 v[99:100], v[99:100], v[109:110]
	buffer_store_dword v107, off, s[20:23], 0 offset:448 ; 4-byte Folded Spill
	s_nop 0
	buffer_store_dword v108, off, s[20:23], 0 offset:452 ; 4-byte Folded Spill
	buffer_store_dword v109, off, s[20:23], 0 offset:456 ; 4-byte Folded Spill
	;; [unrolled: 1-line block ×3, first 2 shown]
	v_add_f64 v[121:122], v[121:122], -v[103:104]
	v_fma_f64 v[99:100], v[101:102], v[97:98], v[99:100]
	v_add_f64 v[123:124], v[123:124], -v[99:100]
.LBB111_145:
	s_or_b64 exec, exec, s[2:3]
	v_cmp_eq_u32_e32 vcc, 16, v0
	s_waitcnt vmcnt(0)
	s_barrier
	s_and_saveexec_b64 s[4:5], vcc
	s_cbranch_execz .LBB111_152
; %bb.146:
	buffer_load_dword v95, off, s[20:23], 0 offset:432 ; 4-byte Folded Reload
	buffer_load_dword v96, off, s[20:23], 0 offset:436 ; 4-byte Folded Reload
	;; [unrolled: 1-line block ×4, first 2 shown]
	s_waitcnt vmcnt(0)
	ds_write2_b64 v127, v[95:96], v[97:98] offset1:1
	buffer_load_dword v95, off, s[20:23], 0 offset:416 ; 4-byte Folded Reload
	buffer_load_dword v96, off, s[20:23], 0 offset:420 ; 4-byte Folded Reload
	buffer_load_dword v97, off, s[20:23], 0 offset:424 ; 4-byte Folded Reload
	buffer_load_dword v98, off, s[20:23], 0 offset:428 ; 4-byte Folded Reload
	s_waitcnt vmcnt(0)
	ds_write2_b64 v125, v[95:96], v[97:98] offset0:34 offset1:35
	buffer_load_dword v95, off, s[20:23], 0 offset:400 ; 4-byte Folded Reload
	buffer_load_dword v96, off, s[20:23], 0 offset:404 ; 4-byte Folded Reload
	buffer_load_dword v97, off, s[20:23], 0 offset:408 ; 4-byte Folded Reload
	buffer_load_dword v98, off, s[20:23], 0 offset:412 ; 4-byte Folded Reload
	s_waitcnt vmcnt(0)
	ds_write2_b64 v125, v[95:96], v[97:98] offset0:36 offset1:37
	;; [unrolled: 6-line block ×16, first 2 shown]
	ds_write2_b64 v125, v[91:92], v[93:94] offset0:66 offset1:67
	buffer_load_dword v77, off, s[20:23], 0 offset:160 ; 4-byte Folded Reload
	buffer_load_dword v78, off, s[20:23], 0 offset:164 ; 4-byte Folded Reload
	buffer_load_dword v79, off, s[20:23], 0 offset:168 ; 4-byte Folded Reload
	buffer_load_dword v80, off, s[20:23], 0 offset:172 ; 4-byte Folded Reload
	s_waitcnt vmcnt(0)
	ds_write2_b64 v125, v[77:78], v[79:80] offset0:68 offset1:69
	buffer_load_dword v77, off, s[20:23], 0 offset:144 ; 4-byte Folded Reload
	buffer_load_dword v78, off, s[20:23], 0 offset:148 ; 4-byte Folded Reload
	buffer_load_dword v79, off, s[20:23], 0 offset:152 ; 4-byte Folded Reload
	buffer_load_dword v80, off, s[20:23], 0 offset:156 ; 4-byte Folded Reload
	s_waitcnt vmcnt(0)
	;; [unrolled: 6-line block ×10, first 2 shown]
	ds_write2_b64 v125, v[45:46], v[47:48] offset0:86 offset1:87
	buffer_load_dword v41, off, s[20:23], 0 ; 4-byte Folded Reload
	buffer_load_dword v42, off, s[20:23], 0 offset:4 ; 4-byte Folded Reload
	buffer_load_dword v43, off, s[20:23], 0 offset:8 ; 4-byte Folded Reload
	;; [unrolled: 1-line block ×3, first 2 shown]
	s_waitcnt vmcnt(0)
	ds_write2_b64 v125, v[41:42], v[43:44] offset0:88 offset1:89
	ds_write2_b64 v125, v[37:38], v[39:40] offset0:90 offset1:91
	;; [unrolled: 1-line block ×12, first 2 shown]
	ds_read2_b64 v[97:100], v127 offset1:1
	s_waitcnt lgkmcnt(0)
	v_cmp_neq_f64_e32 vcc, 0, v[97:98]
	v_cmp_neq_f64_e64 s[2:3], 0, v[99:100]
	s_or_b64 s[2:3], vcc, s[2:3]
	s_and_b64 exec, exec, s[2:3]
	s_cbranch_execz .LBB111_152
; %bb.147:
	v_cmp_ngt_f64_e64 s[2:3], |v[97:98]|, |v[99:100]|
                                        ; implicit-def: $vgpr101_vgpr102
	s_and_saveexec_b64 s[6:7], s[2:3]
	s_xor_b64 s[2:3], exec, s[6:7]
                                        ; implicit-def: $vgpr103_vgpr104
	s_cbranch_execz .LBB111_149
; %bb.148:
	v_div_scale_f64 v[101:102], s[6:7], v[99:100], v[99:100], v[97:98]
	v_rcp_f64_e32 v[103:104], v[101:102]
	v_fma_f64 v[105:106], -v[101:102], v[103:104], 1.0
	v_fma_f64 v[103:104], v[103:104], v[105:106], v[103:104]
	v_div_scale_f64 v[105:106], vcc, v[97:98], v[99:100], v[97:98]
	v_fma_f64 v[107:108], -v[101:102], v[103:104], 1.0
	v_fma_f64 v[103:104], v[103:104], v[107:108], v[103:104]
	v_mul_f64 v[107:108], v[105:106], v[103:104]
	v_fma_f64 v[101:102], -v[101:102], v[107:108], v[105:106]
	v_div_fmas_f64 v[101:102], v[101:102], v[103:104], v[107:108]
	v_div_fixup_f64 v[101:102], v[101:102], v[99:100], v[97:98]
	v_fma_f64 v[97:98], v[97:98], v[101:102], v[99:100]
	v_div_scale_f64 v[99:100], s[6:7], v[97:98], v[97:98], 1.0
	v_div_scale_f64 v[107:108], vcc, 1.0, v[97:98], 1.0
	v_rcp_f64_e32 v[103:104], v[99:100]
	v_fma_f64 v[105:106], -v[99:100], v[103:104], 1.0
	v_fma_f64 v[103:104], v[103:104], v[105:106], v[103:104]
	v_fma_f64 v[105:106], -v[99:100], v[103:104], 1.0
	v_fma_f64 v[103:104], v[103:104], v[105:106], v[103:104]
	v_mul_f64 v[105:106], v[107:108], v[103:104]
	v_fma_f64 v[99:100], -v[99:100], v[105:106], v[107:108]
	v_div_fmas_f64 v[99:100], v[99:100], v[103:104], v[105:106]
	v_div_fixup_f64 v[103:104], v[99:100], v[97:98], 1.0
                                        ; implicit-def: $vgpr97_vgpr98
	v_mul_f64 v[101:102], v[101:102], v[103:104]
	v_xor_b32_e32 v104, 0x80000000, v104
.LBB111_149:
	s_andn2_saveexec_b64 s[2:3], s[2:3]
	s_cbranch_execz .LBB111_151
; %bb.150:
	v_div_scale_f64 v[101:102], s[6:7], v[97:98], v[97:98], v[99:100]
	v_rcp_f64_e32 v[103:104], v[101:102]
	v_fma_f64 v[105:106], -v[101:102], v[103:104], 1.0
	v_fma_f64 v[103:104], v[103:104], v[105:106], v[103:104]
	v_div_scale_f64 v[105:106], vcc, v[99:100], v[97:98], v[99:100]
	v_fma_f64 v[107:108], -v[101:102], v[103:104], 1.0
	v_fma_f64 v[103:104], v[103:104], v[107:108], v[103:104]
	v_mul_f64 v[107:108], v[105:106], v[103:104]
	v_fma_f64 v[101:102], -v[101:102], v[107:108], v[105:106]
	v_div_fmas_f64 v[101:102], v[101:102], v[103:104], v[107:108]
	v_div_fixup_f64 v[103:104], v[101:102], v[97:98], v[99:100]
	v_fma_f64 v[97:98], v[99:100], v[103:104], v[97:98]
	v_div_scale_f64 v[99:100], s[6:7], v[97:98], v[97:98], 1.0
	v_div_scale_f64 v[107:108], vcc, 1.0, v[97:98], 1.0
	v_rcp_f64_e32 v[101:102], v[99:100]
	v_fma_f64 v[105:106], -v[99:100], v[101:102], 1.0
	v_fma_f64 v[101:102], v[101:102], v[105:106], v[101:102]
	v_fma_f64 v[105:106], -v[99:100], v[101:102], 1.0
	v_fma_f64 v[101:102], v[101:102], v[105:106], v[101:102]
	v_mul_f64 v[105:106], v[107:108], v[101:102]
	v_fma_f64 v[99:100], -v[99:100], v[105:106], v[107:108]
	v_div_fmas_f64 v[99:100], v[99:100], v[101:102], v[105:106]
	v_div_fixup_f64 v[101:102], v[99:100], v[97:98], 1.0
	v_mul_f64 v[103:104], v[103:104], -v[101:102]
.LBB111_151:
	s_or_b64 exec, exec, s[2:3]
	ds_write2_b64 v127, v[101:102], v[103:104] offset1:1
.LBB111_152:
	s_or_b64 exec, exec, s[4:5]
	s_waitcnt lgkmcnt(0)
	s_barrier
	ds_read2_b64 v[87:90], v127 offset1:1
	v_cmp_lt_u32_e32 vcc, 16, v0
	s_waitcnt lgkmcnt(0)
	buffer_store_dword v87, off, s[20:23], 0 offset:1400 ; 4-byte Folded Spill
	s_nop 0
	buffer_store_dword v88, off, s[20:23], 0 offset:1404 ; 4-byte Folded Spill
	buffer_store_dword v89, off, s[20:23], 0 offset:1408 ; 4-byte Folded Spill
	;; [unrolled: 1-line block ×3, first 2 shown]
	s_and_saveexec_b64 s[2:3], vcc
	s_cbranch_execz .LBB111_154
; %bb.153:
	buffer_load_dword v107, off, s[20:23], 0 offset:432 ; 4-byte Folded Reload
	buffer_load_dword v108, off, s[20:23], 0 offset:436 ; 4-byte Folded Reload
	;; [unrolled: 1-line block ×8, first 2 shown]
	s_waitcnt vmcnt(2)
	v_mul_f64 v[99:100], v[87:88], v[109:110]
	s_waitcnt vmcnt(0)
	v_mul_f64 v[97:98], v[89:90], v[109:110]
	v_fma_f64 v[109:110], v[89:90], v[107:108], v[99:100]
	ds_read2_b64 v[99:102], v125 offset0:34 offset1:35
	v_fma_f64 v[97:98], v[87:88], v[107:108], -v[97:98]
	buffer_load_dword v105, off, s[20:23], 0 offset:416 ; 4-byte Folded Reload
	buffer_load_dword v106, off, s[20:23], 0 offset:420 ; 4-byte Folded Reload
	buffer_load_dword v107, off, s[20:23], 0 offset:424 ; 4-byte Folded Reload
	buffer_load_dword v108, off, s[20:23], 0 offset:428 ; 4-byte Folded Reload
	s_waitcnt lgkmcnt(0)
	v_mul_f64 v[103:104], v[101:102], v[109:110]
	v_fma_f64 v[103:104], v[99:100], v[97:98], -v[103:104]
	v_mul_f64 v[99:100], v[99:100], v[109:110]
	v_fma_f64 v[99:100], v[101:102], v[97:98], v[99:100]
	s_waitcnt vmcnt(2)
	v_add_f64 v[105:106], v[105:106], -v[103:104]
	s_waitcnt vmcnt(0)
	v_add_f64 v[107:108], v[107:108], -v[99:100]
	buffer_store_dword v105, off, s[20:23], 0 offset:416 ; 4-byte Folded Spill
	s_nop 0
	buffer_store_dword v106, off, s[20:23], 0 offset:420 ; 4-byte Folded Spill
	buffer_store_dword v107, off, s[20:23], 0 offset:424 ; 4-byte Folded Spill
	buffer_store_dword v108, off, s[20:23], 0 offset:428 ; 4-byte Folded Spill
	ds_read2_b64 v[99:102], v125 offset0:36 offset1:37
	buffer_load_dword v105, off, s[20:23], 0 offset:400 ; 4-byte Folded Reload
	buffer_load_dword v106, off, s[20:23], 0 offset:404 ; 4-byte Folded Reload
	buffer_load_dword v107, off, s[20:23], 0 offset:408 ; 4-byte Folded Reload
	buffer_load_dword v108, off, s[20:23], 0 offset:412 ; 4-byte Folded Reload
	s_waitcnt lgkmcnt(0)
	v_mul_f64 v[103:104], v[101:102], v[109:110]
	v_fma_f64 v[103:104], v[99:100], v[97:98], -v[103:104]
	v_mul_f64 v[99:100], v[99:100], v[109:110]
	v_fma_f64 v[99:100], v[101:102], v[97:98], v[99:100]
	s_waitcnt vmcnt(2)
	v_add_f64 v[105:106], v[105:106], -v[103:104]
	s_waitcnt vmcnt(0)
	v_add_f64 v[107:108], v[107:108], -v[99:100]
	buffer_store_dword v105, off, s[20:23], 0 offset:400 ; 4-byte Folded Spill
	s_nop 0
	buffer_store_dword v106, off, s[20:23], 0 offset:404 ; 4-byte Folded Spill
	buffer_store_dword v107, off, s[20:23], 0 offset:408 ; 4-byte Folded Spill
	buffer_store_dword v108, off, s[20:23], 0 offset:412 ; 4-byte Folded Spill
	ds_read2_b64 v[99:102], v125 offset0:38 offset1:39
	;; [unrolled: 19-line block ×16, first 2 shown]
	v_mov_b32_e32 v108, v98
	v_mov_b32_e32 v107, v97
	s_waitcnt lgkmcnt(0)
	v_mul_f64 v[103:104], v[101:102], v[109:110]
	v_fma_f64 v[103:104], v[99:100], v[97:98], -v[103:104]
	v_mul_f64 v[99:100], v[99:100], v[109:110]
	v_add_f64 v[91:92], v[91:92], -v[103:104]
	v_fma_f64 v[99:100], v[101:102], v[97:98], v[99:100]
	v_add_f64 v[93:94], v[93:94], -v[99:100]
	ds_read2_b64 v[99:102], v125 offset0:68 offset1:69
	buffer_load_dword v77, off, s[20:23], 0 offset:160 ; 4-byte Folded Reload
	buffer_load_dword v78, off, s[20:23], 0 offset:164 ; 4-byte Folded Reload
	buffer_load_dword v79, off, s[20:23], 0 offset:168 ; 4-byte Folded Reload
	buffer_load_dword v80, off, s[20:23], 0 offset:172 ; 4-byte Folded Reload
	s_waitcnt lgkmcnt(0)
	v_mul_f64 v[103:104], v[101:102], v[109:110]
	v_fma_f64 v[103:104], v[99:100], v[97:98], -v[103:104]
	v_mul_f64 v[99:100], v[99:100], v[109:110]
	v_fma_f64 v[99:100], v[101:102], v[97:98], v[99:100]
	s_waitcnt vmcnt(2)
	v_add_f64 v[77:78], v[77:78], -v[103:104]
	s_waitcnt vmcnt(0)
	v_add_f64 v[79:80], v[79:80], -v[99:100]
	buffer_store_dword v77, off, s[20:23], 0 offset:160 ; 4-byte Folded Spill
	s_nop 0
	buffer_store_dword v78, off, s[20:23], 0 offset:164 ; 4-byte Folded Spill
	buffer_store_dword v79, off, s[20:23], 0 offset:168 ; 4-byte Folded Spill
	buffer_store_dword v80, off, s[20:23], 0 offset:172 ; 4-byte Folded Spill
	ds_read2_b64 v[99:102], v125 offset0:70 offset1:71
	buffer_load_dword v77, off, s[20:23], 0 offset:144 ; 4-byte Folded Reload
	buffer_load_dword v78, off, s[20:23], 0 offset:148 ; 4-byte Folded Reload
	buffer_load_dword v79, off, s[20:23], 0 offset:152 ; 4-byte Folded Reload
	buffer_load_dword v80, off, s[20:23], 0 offset:156 ; 4-byte Folded Reload
	s_waitcnt lgkmcnt(0)
	v_mul_f64 v[103:104], v[101:102], v[109:110]
	v_fma_f64 v[103:104], v[99:100], v[97:98], -v[103:104]
	v_mul_f64 v[99:100], v[99:100], v[109:110]
	v_fma_f64 v[99:100], v[101:102], v[97:98], v[99:100]
	s_waitcnt vmcnt(2)
	v_add_f64 v[77:78], v[77:78], -v[103:104]
	s_waitcnt vmcnt(0)
	v_add_f64 v[79:80], v[79:80], -v[99:100]
	buffer_store_dword v77, off, s[20:23], 0 offset:144 ; 4-byte Folded Spill
	s_nop 0
	buffer_store_dword v78, off, s[20:23], 0 offset:148 ; 4-byte Folded Spill
	buffer_store_dword v79, off, s[20:23], 0 offset:152 ; 4-byte Folded Spill
	buffer_store_dword v80, off, s[20:23], 0 offset:156 ; 4-byte Folded Spill
	;; [unrolled: 19-line block ×10, first 2 shown]
	ds_read2_b64 v[99:102], v125 offset0:88 offset1:89
	buffer_load_dword v41, off, s[20:23], 0 ; 4-byte Folded Reload
	buffer_load_dword v42, off, s[20:23], 0 offset:4 ; 4-byte Folded Reload
	buffer_load_dword v43, off, s[20:23], 0 offset:8 ; 4-byte Folded Reload
	;; [unrolled: 1-line block ×3, first 2 shown]
	s_waitcnt lgkmcnt(0)
	v_mul_f64 v[103:104], v[101:102], v[109:110]
	v_fma_f64 v[103:104], v[99:100], v[97:98], -v[103:104]
	v_mul_f64 v[99:100], v[99:100], v[109:110]
	v_fma_f64 v[99:100], v[101:102], v[97:98], v[99:100]
	s_waitcnt vmcnt(2)
	v_add_f64 v[41:42], v[41:42], -v[103:104]
	s_waitcnt vmcnt(0)
	v_add_f64 v[43:44], v[43:44], -v[99:100]
	buffer_store_dword v41, off, s[20:23], 0 ; 4-byte Folded Spill
	s_nop 0
	buffer_store_dword v42, off, s[20:23], 0 offset:4 ; 4-byte Folded Spill
	buffer_store_dword v43, off, s[20:23], 0 offset:8 ; 4-byte Folded Spill
	;; [unrolled: 1-line block ×3, first 2 shown]
	ds_read2_b64 v[99:102], v125 offset0:90 offset1:91
	s_waitcnt lgkmcnt(0)
	v_mul_f64 v[103:104], v[101:102], v[109:110]
	v_fma_f64 v[103:104], v[99:100], v[97:98], -v[103:104]
	v_mul_f64 v[99:100], v[99:100], v[109:110]
	v_add_f64 v[37:38], v[37:38], -v[103:104]
	v_fma_f64 v[99:100], v[101:102], v[97:98], v[99:100]
	v_add_f64 v[39:40], v[39:40], -v[99:100]
	ds_read2_b64 v[99:102], v125 offset0:92 offset1:93
	s_waitcnt lgkmcnt(0)
	v_mul_f64 v[103:104], v[101:102], v[109:110]
	v_fma_f64 v[103:104], v[99:100], v[97:98], -v[103:104]
	v_mul_f64 v[99:100], v[99:100], v[109:110]
	v_add_f64 v[33:34], v[33:34], -v[103:104]
	v_fma_f64 v[99:100], v[101:102], v[97:98], v[99:100]
	v_add_f64 v[35:36], v[35:36], -v[99:100]
	;; [unrolled: 8-line block ×10, first 2 shown]
	ds_read2_b64 v[99:102], v125 offset0:110 offset1:111
	s_waitcnt lgkmcnt(0)
	v_mul_f64 v[103:104], v[101:102], v[109:110]
	v_fma_f64 v[103:104], v[99:100], v[97:98], -v[103:104]
	v_mul_f64 v[99:100], v[99:100], v[109:110]
	buffer_store_dword v107, off, s[20:23], 0 offset:432 ; 4-byte Folded Spill
	s_nop 0
	buffer_store_dword v108, off, s[20:23], 0 offset:436 ; 4-byte Folded Spill
	buffer_store_dword v109, off, s[20:23], 0 offset:440 ; 4-byte Folded Spill
	;; [unrolled: 1-line block ×3, first 2 shown]
	v_add_f64 v[121:122], v[121:122], -v[103:104]
	v_fma_f64 v[99:100], v[101:102], v[97:98], v[99:100]
	v_add_f64 v[123:124], v[123:124], -v[99:100]
.LBB111_154:
	s_or_b64 exec, exec, s[2:3]
	v_cmp_eq_u32_e32 vcc, 17, v0
	s_waitcnt vmcnt(0)
	s_barrier
	s_and_saveexec_b64 s[4:5], vcc
	s_cbranch_execz .LBB111_161
; %bb.155:
	buffer_load_dword v95, off, s[20:23], 0 offset:416 ; 4-byte Folded Reload
	buffer_load_dword v96, off, s[20:23], 0 offset:420 ; 4-byte Folded Reload
	;; [unrolled: 1-line block ×4, first 2 shown]
	s_waitcnt vmcnt(0)
	ds_write2_b64 v127, v[95:96], v[97:98] offset1:1
	buffer_load_dword v95, off, s[20:23], 0 offset:400 ; 4-byte Folded Reload
	buffer_load_dword v96, off, s[20:23], 0 offset:404 ; 4-byte Folded Reload
	buffer_load_dword v97, off, s[20:23], 0 offset:408 ; 4-byte Folded Reload
	buffer_load_dword v98, off, s[20:23], 0 offset:412 ; 4-byte Folded Reload
	s_waitcnt vmcnt(0)
	ds_write2_b64 v125, v[95:96], v[97:98] offset0:36 offset1:37
	buffer_load_dword v95, off, s[20:23], 0 offset:384 ; 4-byte Folded Reload
	buffer_load_dword v96, off, s[20:23], 0 offset:388 ; 4-byte Folded Reload
	buffer_load_dword v97, off, s[20:23], 0 offset:392 ; 4-byte Folded Reload
	buffer_load_dword v98, off, s[20:23], 0 offset:396 ; 4-byte Folded Reload
	s_waitcnt vmcnt(0)
	ds_write2_b64 v125, v[95:96], v[97:98] offset0:38 offset1:39
	;; [unrolled: 6-line block ×15, first 2 shown]
	ds_write2_b64 v125, v[91:92], v[93:94] offset0:66 offset1:67
	buffer_load_dword v77, off, s[20:23], 0 offset:160 ; 4-byte Folded Reload
	buffer_load_dword v78, off, s[20:23], 0 offset:164 ; 4-byte Folded Reload
	buffer_load_dword v79, off, s[20:23], 0 offset:168 ; 4-byte Folded Reload
	buffer_load_dword v80, off, s[20:23], 0 offset:172 ; 4-byte Folded Reload
	s_waitcnt vmcnt(0)
	ds_write2_b64 v125, v[77:78], v[79:80] offset0:68 offset1:69
	buffer_load_dword v77, off, s[20:23], 0 offset:144 ; 4-byte Folded Reload
	buffer_load_dword v78, off, s[20:23], 0 offset:148 ; 4-byte Folded Reload
	buffer_load_dword v79, off, s[20:23], 0 offset:152 ; 4-byte Folded Reload
	buffer_load_dword v80, off, s[20:23], 0 offset:156 ; 4-byte Folded Reload
	s_waitcnt vmcnt(0)
	;; [unrolled: 6-line block ×10, first 2 shown]
	ds_write2_b64 v125, v[45:46], v[47:48] offset0:86 offset1:87
	buffer_load_dword v41, off, s[20:23], 0 ; 4-byte Folded Reload
	buffer_load_dword v42, off, s[20:23], 0 offset:4 ; 4-byte Folded Reload
	buffer_load_dword v43, off, s[20:23], 0 offset:8 ; 4-byte Folded Reload
	;; [unrolled: 1-line block ×3, first 2 shown]
	s_waitcnt vmcnt(0)
	ds_write2_b64 v125, v[41:42], v[43:44] offset0:88 offset1:89
	ds_write2_b64 v125, v[37:38], v[39:40] offset0:90 offset1:91
	;; [unrolled: 1-line block ×12, first 2 shown]
	ds_read2_b64 v[97:100], v127 offset1:1
	s_waitcnt lgkmcnt(0)
	v_cmp_neq_f64_e32 vcc, 0, v[97:98]
	v_cmp_neq_f64_e64 s[2:3], 0, v[99:100]
	s_or_b64 s[2:3], vcc, s[2:3]
	s_and_b64 exec, exec, s[2:3]
	s_cbranch_execz .LBB111_161
; %bb.156:
	v_cmp_ngt_f64_e64 s[2:3], |v[97:98]|, |v[99:100]|
                                        ; implicit-def: $vgpr101_vgpr102
	s_and_saveexec_b64 s[6:7], s[2:3]
	s_xor_b64 s[2:3], exec, s[6:7]
                                        ; implicit-def: $vgpr103_vgpr104
	s_cbranch_execz .LBB111_158
; %bb.157:
	v_div_scale_f64 v[101:102], s[6:7], v[99:100], v[99:100], v[97:98]
	v_rcp_f64_e32 v[103:104], v[101:102]
	v_fma_f64 v[105:106], -v[101:102], v[103:104], 1.0
	v_fma_f64 v[103:104], v[103:104], v[105:106], v[103:104]
	v_div_scale_f64 v[105:106], vcc, v[97:98], v[99:100], v[97:98]
	v_fma_f64 v[107:108], -v[101:102], v[103:104], 1.0
	v_fma_f64 v[103:104], v[103:104], v[107:108], v[103:104]
	v_mul_f64 v[107:108], v[105:106], v[103:104]
	v_fma_f64 v[101:102], -v[101:102], v[107:108], v[105:106]
	v_div_fmas_f64 v[101:102], v[101:102], v[103:104], v[107:108]
	v_div_fixup_f64 v[101:102], v[101:102], v[99:100], v[97:98]
	v_fma_f64 v[97:98], v[97:98], v[101:102], v[99:100]
	v_div_scale_f64 v[99:100], s[6:7], v[97:98], v[97:98], 1.0
	v_div_scale_f64 v[107:108], vcc, 1.0, v[97:98], 1.0
	v_rcp_f64_e32 v[103:104], v[99:100]
	v_fma_f64 v[105:106], -v[99:100], v[103:104], 1.0
	v_fma_f64 v[103:104], v[103:104], v[105:106], v[103:104]
	v_fma_f64 v[105:106], -v[99:100], v[103:104], 1.0
	v_fma_f64 v[103:104], v[103:104], v[105:106], v[103:104]
	v_mul_f64 v[105:106], v[107:108], v[103:104]
	v_fma_f64 v[99:100], -v[99:100], v[105:106], v[107:108]
	v_div_fmas_f64 v[99:100], v[99:100], v[103:104], v[105:106]
	v_div_fixup_f64 v[103:104], v[99:100], v[97:98], 1.0
                                        ; implicit-def: $vgpr97_vgpr98
	v_mul_f64 v[101:102], v[101:102], v[103:104]
	v_xor_b32_e32 v104, 0x80000000, v104
.LBB111_158:
	s_andn2_saveexec_b64 s[2:3], s[2:3]
	s_cbranch_execz .LBB111_160
; %bb.159:
	v_div_scale_f64 v[101:102], s[6:7], v[97:98], v[97:98], v[99:100]
	v_rcp_f64_e32 v[103:104], v[101:102]
	v_fma_f64 v[105:106], -v[101:102], v[103:104], 1.0
	v_fma_f64 v[103:104], v[103:104], v[105:106], v[103:104]
	v_div_scale_f64 v[105:106], vcc, v[99:100], v[97:98], v[99:100]
	v_fma_f64 v[107:108], -v[101:102], v[103:104], 1.0
	v_fma_f64 v[103:104], v[103:104], v[107:108], v[103:104]
	v_mul_f64 v[107:108], v[105:106], v[103:104]
	v_fma_f64 v[101:102], -v[101:102], v[107:108], v[105:106]
	v_div_fmas_f64 v[101:102], v[101:102], v[103:104], v[107:108]
	v_div_fixup_f64 v[103:104], v[101:102], v[97:98], v[99:100]
	v_fma_f64 v[97:98], v[99:100], v[103:104], v[97:98]
	v_div_scale_f64 v[99:100], s[6:7], v[97:98], v[97:98], 1.0
	v_div_scale_f64 v[107:108], vcc, 1.0, v[97:98], 1.0
	v_rcp_f64_e32 v[101:102], v[99:100]
	v_fma_f64 v[105:106], -v[99:100], v[101:102], 1.0
	v_fma_f64 v[101:102], v[101:102], v[105:106], v[101:102]
	v_fma_f64 v[105:106], -v[99:100], v[101:102], 1.0
	v_fma_f64 v[101:102], v[101:102], v[105:106], v[101:102]
	v_mul_f64 v[105:106], v[107:108], v[101:102]
	v_fma_f64 v[99:100], -v[99:100], v[105:106], v[107:108]
	v_div_fmas_f64 v[99:100], v[99:100], v[101:102], v[105:106]
	v_div_fixup_f64 v[101:102], v[99:100], v[97:98], 1.0
	v_mul_f64 v[103:104], v[103:104], -v[101:102]
.LBB111_160:
	s_or_b64 exec, exec, s[2:3]
	ds_write2_b64 v127, v[101:102], v[103:104] offset1:1
.LBB111_161:
	s_or_b64 exec, exec, s[4:5]
	s_waitcnt lgkmcnt(0)
	s_barrier
	ds_read2_b64 v[87:90], v127 offset1:1
	v_cmp_lt_u32_e32 vcc, 17, v0
	s_waitcnt lgkmcnt(0)
	buffer_store_dword v87, off, s[20:23], 0 offset:1416 ; 4-byte Folded Spill
	s_nop 0
	buffer_store_dword v88, off, s[20:23], 0 offset:1420 ; 4-byte Folded Spill
	buffer_store_dword v89, off, s[20:23], 0 offset:1424 ; 4-byte Folded Spill
	;; [unrolled: 1-line block ×3, first 2 shown]
	s_and_saveexec_b64 s[2:3], vcc
	s_cbranch_execz .LBB111_163
; %bb.162:
	buffer_load_dword v107, off, s[20:23], 0 offset:416 ; 4-byte Folded Reload
	buffer_load_dword v108, off, s[20:23], 0 offset:420 ; 4-byte Folded Reload
	;; [unrolled: 1-line block ×8, first 2 shown]
	s_waitcnt vmcnt(2)
	v_mul_f64 v[99:100], v[87:88], v[109:110]
	s_waitcnt vmcnt(0)
	v_mul_f64 v[97:98], v[89:90], v[109:110]
	v_fma_f64 v[109:110], v[89:90], v[107:108], v[99:100]
	ds_read2_b64 v[99:102], v125 offset0:36 offset1:37
	v_fma_f64 v[97:98], v[87:88], v[107:108], -v[97:98]
	buffer_load_dword v105, off, s[20:23], 0 offset:400 ; 4-byte Folded Reload
	buffer_load_dword v106, off, s[20:23], 0 offset:404 ; 4-byte Folded Reload
	buffer_load_dword v107, off, s[20:23], 0 offset:408 ; 4-byte Folded Reload
	buffer_load_dword v108, off, s[20:23], 0 offset:412 ; 4-byte Folded Reload
	s_waitcnt lgkmcnt(0)
	v_mul_f64 v[103:104], v[101:102], v[109:110]
	v_fma_f64 v[103:104], v[99:100], v[97:98], -v[103:104]
	v_mul_f64 v[99:100], v[99:100], v[109:110]
	v_fma_f64 v[99:100], v[101:102], v[97:98], v[99:100]
	s_waitcnt vmcnt(2)
	v_add_f64 v[105:106], v[105:106], -v[103:104]
	s_waitcnt vmcnt(0)
	v_add_f64 v[107:108], v[107:108], -v[99:100]
	buffer_store_dword v105, off, s[20:23], 0 offset:400 ; 4-byte Folded Spill
	s_nop 0
	buffer_store_dword v106, off, s[20:23], 0 offset:404 ; 4-byte Folded Spill
	buffer_store_dword v107, off, s[20:23], 0 offset:408 ; 4-byte Folded Spill
	buffer_store_dword v108, off, s[20:23], 0 offset:412 ; 4-byte Folded Spill
	ds_read2_b64 v[99:102], v125 offset0:38 offset1:39
	buffer_load_dword v105, off, s[20:23], 0 offset:384 ; 4-byte Folded Reload
	buffer_load_dword v106, off, s[20:23], 0 offset:388 ; 4-byte Folded Reload
	buffer_load_dword v107, off, s[20:23], 0 offset:392 ; 4-byte Folded Reload
	buffer_load_dword v108, off, s[20:23], 0 offset:396 ; 4-byte Folded Reload
	s_waitcnt lgkmcnt(0)
	v_mul_f64 v[103:104], v[101:102], v[109:110]
	v_fma_f64 v[103:104], v[99:100], v[97:98], -v[103:104]
	v_mul_f64 v[99:100], v[99:100], v[109:110]
	v_fma_f64 v[99:100], v[101:102], v[97:98], v[99:100]
	s_waitcnt vmcnt(2)
	v_add_f64 v[105:106], v[105:106], -v[103:104]
	s_waitcnt vmcnt(0)
	v_add_f64 v[107:108], v[107:108], -v[99:100]
	buffer_store_dword v105, off, s[20:23], 0 offset:384 ; 4-byte Folded Spill
	s_nop 0
	buffer_store_dword v106, off, s[20:23], 0 offset:388 ; 4-byte Folded Spill
	buffer_store_dword v107, off, s[20:23], 0 offset:392 ; 4-byte Folded Spill
	buffer_store_dword v108, off, s[20:23], 0 offset:396 ; 4-byte Folded Spill
	ds_read2_b64 v[99:102], v125 offset0:40 offset1:41
	;; [unrolled: 19-line block ×15, first 2 shown]
	v_mov_b32_e32 v108, v98
	v_mov_b32_e32 v107, v97
	s_waitcnt lgkmcnt(0)
	v_mul_f64 v[103:104], v[101:102], v[109:110]
	v_fma_f64 v[103:104], v[99:100], v[97:98], -v[103:104]
	v_mul_f64 v[99:100], v[99:100], v[109:110]
	v_add_f64 v[91:92], v[91:92], -v[103:104]
	v_fma_f64 v[99:100], v[101:102], v[97:98], v[99:100]
	v_add_f64 v[93:94], v[93:94], -v[99:100]
	ds_read2_b64 v[99:102], v125 offset0:68 offset1:69
	buffer_load_dword v77, off, s[20:23], 0 offset:160 ; 4-byte Folded Reload
	buffer_load_dword v78, off, s[20:23], 0 offset:164 ; 4-byte Folded Reload
	buffer_load_dword v79, off, s[20:23], 0 offset:168 ; 4-byte Folded Reload
	buffer_load_dword v80, off, s[20:23], 0 offset:172 ; 4-byte Folded Reload
	s_waitcnt lgkmcnt(0)
	v_mul_f64 v[103:104], v[101:102], v[109:110]
	v_fma_f64 v[103:104], v[99:100], v[97:98], -v[103:104]
	v_mul_f64 v[99:100], v[99:100], v[109:110]
	v_fma_f64 v[99:100], v[101:102], v[97:98], v[99:100]
	s_waitcnt vmcnt(2)
	v_add_f64 v[77:78], v[77:78], -v[103:104]
	s_waitcnt vmcnt(0)
	v_add_f64 v[79:80], v[79:80], -v[99:100]
	buffer_store_dword v77, off, s[20:23], 0 offset:160 ; 4-byte Folded Spill
	s_nop 0
	buffer_store_dword v78, off, s[20:23], 0 offset:164 ; 4-byte Folded Spill
	buffer_store_dword v79, off, s[20:23], 0 offset:168 ; 4-byte Folded Spill
	buffer_store_dword v80, off, s[20:23], 0 offset:172 ; 4-byte Folded Spill
	ds_read2_b64 v[99:102], v125 offset0:70 offset1:71
	buffer_load_dword v77, off, s[20:23], 0 offset:144 ; 4-byte Folded Reload
	buffer_load_dword v78, off, s[20:23], 0 offset:148 ; 4-byte Folded Reload
	buffer_load_dword v79, off, s[20:23], 0 offset:152 ; 4-byte Folded Reload
	buffer_load_dword v80, off, s[20:23], 0 offset:156 ; 4-byte Folded Reload
	s_waitcnt lgkmcnt(0)
	v_mul_f64 v[103:104], v[101:102], v[109:110]
	v_fma_f64 v[103:104], v[99:100], v[97:98], -v[103:104]
	v_mul_f64 v[99:100], v[99:100], v[109:110]
	v_fma_f64 v[99:100], v[101:102], v[97:98], v[99:100]
	s_waitcnt vmcnt(2)
	v_add_f64 v[77:78], v[77:78], -v[103:104]
	s_waitcnt vmcnt(0)
	v_add_f64 v[79:80], v[79:80], -v[99:100]
	buffer_store_dword v77, off, s[20:23], 0 offset:144 ; 4-byte Folded Spill
	s_nop 0
	buffer_store_dword v78, off, s[20:23], 0 offset:148 ; 4-byte Folded Spill
	buffer_store_dword v79, off, s[20:23], 0 offset:152 ; 4-byte Folded Spill
	buffer_store_dword v80, off, s[20:23], 0 offset:156 ; 4-byte Folded Spill
	;; [unrolled: 19-line block ×10, first 2 shown]
	ds_read2_b64 v[99:102], v125 offset0:88 offset1:89
	buffer_load_dword v41, off, s[20:23], 0 ; 4-byte Folded Reload
	buffer_load_dword v42, off, s[20:23], 0 offset:4 ; 4-byte Folded Reload
	buffer_load_dword v43, off, s[20:23], 0 offset:8 ; 4-byte Folded Reload
	;; [unrolled: 1-line block ×3, first 2 shown]
	s_waitcnt lgkmcnt(0)
	v_mul_f64 v[103:104], v[101:102], v[109:110]
	v_fma_f64 v[103:104], v[99:100], v[97:98], -v[103:104]
	v_mul_f64 v[99:100], v[99:100], v[109:110]
	v_fma_f64 v[99:100], v[101:102], v[97:98], v[99:100]
	s_waitcnt vmcnt(2)
	v_add_f64 v[41:42], v[41:42], -v[103:104]
	s_waitcnt vmcnt(0)
	v_add_f64 v[43:44], v[43:44], -v[99:100]
	buffer_store_dword v41, off, s[20:23], 0 ; 4-byte Folded Spill
	s_nop 0
	buffer_store_dword v42, off, s[20:23], 0 offset:4 ; 4-byte Folded Spill
	buffer_store_dword v43, off, s[20:23], 0 offset:8 ; 4-byte Folded Spill
	;; [unrolled: 1-line block ×3, first 2 shown]
	ds_read2_b64 v[99:102], v125 offset0:90 offset1:91
	s_waitcnt lgkmcnt(0)
	v_mul_f64 v[103:104], v[101:102], v[109:110]
	v_fma_f64 v[103:104], v[99:100], v[97:98], -v[103:104]
	v_mul_f64 v[99:100], v[99:100], v[109:110]
	v_add_f64 v[37:38], v[37:38], -v[103:104]
	v_fma_f64 v[99:100], v[101:102], v[97:98], v[99:100]
	v_add_f64 v[39:40], v[39:40], -v[99:100]
	ds_read2_b64 v[99:102], v125 offset0:92 offset1:93
	s_waitcnt lgkmcnt(0)
	v_mul_f64 v[103:104], v[101:102], v[109:110]
	v_fma_f64 v[103:104], v[99:100], v[97:98], -v[103:104]
	v_mul_f64 v[99:100], v[99:100], v[109:110]
	v_add_f64 v[33:34], v[33:34], -v[103:104]
	v_fma_f64 v[99:100], v[101:102], v[97:98], v[99:100]
	v_add_f64 v[35:36], v[35:36], -v[99:100]
	;; [unrolled: 8-line block ×10, first 2 shown]
	ds_read2_b64 v[99:102], v125 offset0:110 offset1:111
	s_waitcnt lgkmcnt(0)
	v_mul_f64 v[103:104], v[101:102], v[109:110]
	v_fma_f64 v[103:104], v[99:100], v[97:98], -v[103:104]
	v_mul_f64 v[99:100], v[99:100], v[109:110]
	buffer_store_dword v107, off, s[20:23], 0 offset:416 ; 4-byte Folded Spill
	s_nop 0
	buffer_store_dword v108, off, s[20:23], 0 offset:420 ; 4-byte Folded Spill
	buffer_store_dword v109, off, s[20:23], 0 offset:424 ; 4-byte Folded Spill
	;; [unrolled: 1-line block ×3, first 2 shown]
	v_add_f64 v[121:122], v[121:122], -v[103:104]
	v_fma_f64 v[99:100], v[101:102], v[97:98], v[99:100]
	v_add_f64 v[123:124], v[123:124], -v[99:100]
.LBB111_163:
	s_or_b64 exec, exec, s[2:3]
	v_cmp_eq_u32_e32 vcc, 18, v0
	s_waitcnt vmcnt(0)
	s_barrier
	s_and_saveexec_b64 s[4:5], vcc
	s_cbranch_execz .LBB111_170
; %bb.164:
	buffer_load_dword v95, off, s[20:23], 0 offset:400 ; 4-byte Folded Reload
	buffer_load_dword v96, off, s[20:23], 0 offset:404 ; 4-byte Folded Reload
	buffer_load_dword v97, off, s[20:23], 0 offset:408 ; 4-byte Folded Reload
	buffer_load_dword v98, off, s[20:23], 0 offset:412 ; 4-byte Folded Reload
	s_waitcnt vmcnt(0)
	ds_write2_b64 v127, v[95:96], v[97:98] offset1:1
	buffer_load_dword v95, off, s[20:23], 0 offset:384 ; 4-byte Folded Reload
	buffer_load_dword v96, off, s[20:23], 0 offset:388 ; 4-byte Folded Reload
	buffer_load_dword v97, off, s[20:23], 0 offset:392 ; 4-byte Folded Reload
	buffer_load_dword v98, off, s[20:23], 0 offset:396 ; 4-byte Folded Reload
	s_waitcnt vmcnt(0)
	ds_write2_b64 v125, v[95:96], v[97:98] offset0:38 offset1:39
	buffer_load_dword v95, off, s[20:23], 0 offset:368 ; 4-byte Folded Reload
	buffer_load_dword v96, off, s[20:23], 0 offset:372 ; 4-byte Folded Reload
	buffer_load_dword v97, off, s[20:23], 0 offset:376 ; 4-byte Folded Reload
	buffer_load_dword v98, off, s[20:23], 0 offset:380 ; 4-byte Folded Reload
	s_waitcnt vmcnt(0)
	ds_write2_b64 v125, v[95:96], v[97:98] offset0:40 offset1:41
	;; [unrolled: 6-line block ×14, first 2 shown]
	ds_write2_b64 v125, v[91:92], v[93:94] offset0:66 offset1:67
	buffer_load_dword v77, off, s[20:23], 0 offset:160 ; 4-byte Folded Reload
	buffer_load_dword v78, off, s[20:23], 0 offset:164 ; 4-byte Folded Reload
	buffer_load_dword v79, off, s[20:23], 0 offset:168 ; 4-byte Folded Reload
	buffer_load_dword v80, off, s[20:23], 0 offset:172 ; 4-byte Folded Reload
	s_waitcnt vmcnt(0)
	ds_write2_b64 v125, v[77:78], v[79:80] offset0:68 offset1:69
	buffer_load_dword v77, off, s[20:23], 0 offset:144 ; 4-byte Folded Reload
	buffer_load_dword v78, off, s[20:23], 0 offset:148 ; 4-byte Folded Reload
	buffer_load_dword v79, off, s[20:23], 0 offset:152 ; 4-byte Folded Reload
	buffer_load_dword v80, off, s[20:23], 0 offset:156 ; 4-byte Folded Reload
	s_waitcnt vmcnt(0)
	;; [unrolled: 6-line block ×10, first 2 shown]
	ds_write2_b64 v125, v[45:46], v[47:48] offset0:86 offset1:87
	buffer_load_dword v41, off, s[20:23], 0 ; 4-byte Folded Reload
	buffer_load_dword v42, off, s[20:23], 0 offset:4 ; 4-byte Folded Reload
	buffer_load_dword v43, off, s[20:23], 0 offset:8 ; 4-byte Folded Reload
	;; [unrolled: 1-line block ×3, first 2 shown]
	s_waitcnt vmcnt(0)
	ds_write2_b64 v125, v[41:42], v[43:44] offset0:88 offset1:89
	ds_write2_b64 v125, v[37:38], v[39:40] offset0:90 offset1:91
	;; [unrolled: 1-line block ×12, first 2 shown]
	ds_read2_b64 v[97:100], v127 offset1:1
	s_waitcnt lgkmcnt(0)
	v_cmp_neq_f64_e32 vcc, 0, v[97:98]
	v_cmp_neq_f64_e64 s[2:3], 0, v[99:100]
	s_or_b64 s[2:3], vcc, s[2:3]
	s_and_b64 exec, exec, s[2:3]
	s_cbranch_execz .LBB111_170
; %bb.165:
	v_cmp_ngt_f64_e64 s[2:3], |v[97:98]|, |v[99:100]|
                                        ; implicit-def: $vgpr101_vgpr102
	s_and_saveexec_b64 s[6:7], s[2:3]
	s_xor_b64 s[2:3], exec, s[6:7]
                                        ; implicit-def: $vgpr103_vgpr104
	s_cbranch_execz .LBB111_167
; %bb.166:
	v_div_scale_f64 v[101:102], s[6:7], v[99:100], v[99:100], v[97:98]
	v_rcp_f64_e32 v[103:104], v[101:102]
	v_fma_f64 v[105:106], -v[101:102], v[103:104], 1.0
	v_fma_f64 v[103:104], v[103:104], v[105:106], v[103:104]
	v_div_scale_f64 v[105:106], vcc, v[97:98], v[99:100], v[97:98]
	v_fma_f64 v[107:108], -v[101:102], v[103:104], 1.0
	v_fma_f64 v[103:104], v[103:104], v[107:108], v[103:104]
	v_mul_f64 v[107:108], v[105:106], v[103:104]
	v_fma_f64 v[101:102], -v[101:102], v[107:108], v[105:106]
	v_div_fmas_f64 v[101:102], v[101:102], v[103:104], v[107:108]
	v_div_fixup_f64 v[101:102], v[101:102], v[99:100], v[97:98]
	v_fma_f64 v[97:98], v[97:98], v[101:102], v[99:100]
	v_div_scale_f64 v[99:100], s[6:7], v[97:98], v[97:98], 1.0
	v_div_scale_f64 v[107:108], vcc, 1.0, v[97:98], 1.0
	v_rcp_f64_e32 v[103:104], v[99:100]
	v_fma_f64 v[105:106], -v[99:100], v[103:104], 1.0
	v_fma_f64 v[103:104], v[103:104], v[105:106], v[103:104]
	v_fma_f64 v[105:106], -v[99:100], v[103:104], 1.0
	v_fma_f64 v[103:104], v[103:104], v[105:106], v[103:104]
	v_mul_f64 v[105:106], v[107:108], v[103:104]
	v_fma_f64 v[99:100], -v[99:100], v[105:106], v[107:108]
	v_div_fmas_f64 v[99:100], v[99:100], v[103:104], v[105:106]
	v_div_fixup_f64 v[103:104], v[99:100], v[97:98], 1.0
                                        ; implicit-def: $vgpr97_vgpr98
	v_mul_f64 v[101:102], v[101:102], v[103:104]
	v_xor_b32_e32 v104, 0x80000000, v104
.LBB111_167:
	s_andn2_saveexec_b64 s[2:3], s[2:3]
	s_cbranch_execz .LBB111_169
; %bb.168:
	v_div_scale_f64 v[101:102], s[6:7], v[97:98], v[97:98], v[99:100]
	v_rcp_f64_e32 v[103:104], v[101:102]
	v_fma_f64 v[105:106], -v[101:102], v[103:104], 1.0
	v_fma_f64 v[103:104], v[103:104], v[105:106], v[103:104]
	v_div_scale_f64 v[105:106], vcc, v[99:100], v[97:98], v[99:100]
	v_fma_f64 v[107:108], -v[101:102], v[103:104], 1.0
	v_fma_f64 v[103:104], v[103:104], v[107:108], v[103:104]
	v_mul_f64 v[107:108], v[105:106], v[103:104]
	v_fma_f64 v[101:102], -v[101:102], v[107:108], v[105:106]
	v_div_fmas_f64 v[101:102], v[101:102], v[103:104], v[107:108]
	v_div_fixup_f64 v[103:104], v[101:102], v[97:98], v[99:100]
	v_fma_f64 v[97:98], v[99:100], v[103:104], v[97:98]
	v_div_scale_f64 v[99:100], s[6:7], v[97:98], v[97:98], 1.0
	v_div_scale_f64 v[107:108], vcc, 1.0, v[97:98], 1.0
	v_rcp_f64_e32 v[101:102], v[99:100]
	v_fma_f64 v[105:106], -v[99:100], v[101:102], 1.0
	v_fma_f64 v[101:102], v[101:102], v[105:106], v[101:102]
	v_fma_f64 v[105:106], -v[99:100], v[101:102], 1.0
	v_fma_f64 v[101:102], v[101:102], v[105:106], v[101:102]
	v_mul_f64 v[105:106], v[107:108], v[101:102]
	v_fma_f64 v[99:100], -v[99:100], v[105:106], v[107:108]
	v_div_fmas_f64 v[99:100], v[99:100], v[101:102], v[105:106]
	v_div_fixup_f64 v[101:102], v[99:100], v[97:98], 1.0
	v_mul_f64 v[103:104], v[103:104], -v[101:102]
.LBB111_169:
	s_or_b64 exec, exec, s[2:3]
	ds_write2_b64 v127, v[101:102], v[103:104] offset1:1
.LBB111_170:
	s_or_b64 exec, exec, s[4:5]
	s_waitcnt lgkmcnt(0)
	s_barrier
	ds_read2_b64 v[87:90], v127 offset1:1
	v_cmp_lt_u32_e32 vcc, 18, v0
	s_waitcnt lgkmcnt(0)
	buffer_store_dword v87, off, s[20:23], 0 offset:1432 ; 4-byte Folded Spill
	s_nop 0
	buffer_store_dword v88, off, s[20:23], 0 offset:1436 ; 4-byte Folded Spill
	buffer_store_dword v89, off, s[20:23], 0 offset:1440 ; 4-byte Folded Spill
	;; [unrolled: 1-line block ×3, first 2 shown]
	s_and_saveexec_b64 s[2:3], vcc
	s_cbranch_execz .LBB111_172
; %bb.171:
	buffer_load_dword v107, off, s[20:23], 0 offset:400 ; 4-byte Folded Reload
	buffer_load_dword v108, off, s[20:23], 0 offset:404 ; 4-byte Folded Reload
	buffer_load_dword v109, off, s[20:23], 0 offset:408 ; 4-byte Folded Reload
	buffer_load_dword v110, off, s[20:23], 0 offset:412 ; 4-byte Folded Reload
	buffer_load_dword v87, off, s[20:23], 0 offset:1432 ; 4-byte Folded Reload
	buffer_load_dword v88, off, s[20:23], 0 offset:1436 ; 4-byte Folded Reload
	buffer_load_dword v89, off, s[20:23], 0 offset:1440 ; 4-byte Folded Reload
	buffer_load_dword v90, off, s[20:23], 0 offset:1444 ; 4-byte Folded Reload
	s_waitcnt vmcnt(2)
	v_mul_f64 v[99:100], v[87:88], v[109:110]
	s_waitcnt vmcnt(0)
	v_mul_f64 v[97:98], v[89:90], v[109:110]
	v_fma_f64 v[109:110], v[89:90], v[107:108], v[99:100]
	ds_read2_b64 v[99:102], v125 offset0:38 offset1:39
	v_fma_f64 v[97:98], v[87:88], v[107:108], -v[97:98]
	buffer_load_dword v105, off, s[20:23], 0 offset:384 ; 4-byte Folded Reload
	buffer_load_dword v106, off, s[20:23], 0 offset:388 ; 4-byte Folded Reload
	buffer_load_dword v107, off, s[20:23], 0 offset:392 ; 4-byte Folded Reload
	buffer_load_dword v108, off, s[20:23], 0 offset:396 ; 4-byte Folded Reload
	s_waitcnt lgkmcnt(0)
	v_mul_f64 v[103:104], v[101:102], v[109:110]
	v_fma_f64 v[103:104], v[99:100], v[97:98], -v[103:104]
	v_mul_f64 v[99:100], v[99:100], v[109:110]
	v_fma_f64 v[99:100], v[101:102], v[97:98], v[99:100]
	s_waitcnt vmcnt(2)
	v_add_f64 v[105:106], v[105:106], -v[103:104]
	s_waitcnt vmcnt(0)
	v_add_f64 v[107:108], v[107:108], -v[99:100]
	buffer_store_dword v105, off, s[20:23], 0 offset:384 ; 4-byte Folded Spill
	s_nop 0
	buffer_store_dword v106, off, s[20:23], 0 offset:388 ; 4-byte Folded Spill
	buffer_store_dword v107, off, s[20:23], 0 offset:392 ; 4-byte Folded Spill
	buffer_store_dword v108, off, s[20:23], 0 offset:396 ; 4-byte Folded Spill
	ds_read2_b64 v[99:102], v125 offset0:40 offset1:41
	buffer_load_dword v105, off, s[20:23], 0 offset:368 ; 4-byte Folded Reload
	buffer_load_dword v106, off, s[20:23], 0 offset:372 ; 4-byte Folded Reload
	buffer_load_dword v107, off, s[20:23], 0 offset:376 ; 4-byte Folded Reload
	buffer_load_dword v108, off, s[20:23], 0 offset:380 ; 4-byte Folded Reload
	s_waitcnt lgkmcnt(0)
	v_mul_f64 v[103:104], v[101:102], v[109:110]
	v_fma_f64 v[103:104], v[99:100], v[97:98], -v[103:104]
	v_mul_f64 v[99:100], v[99:100], v[109:110]
	v_fma_f64 v[99:100], v[101:102], v[97:98], v[99:100]
	s_waitcnt vmcnt(2)
	v_add_f64 v[105:106], v[105:106], -v[103:104]
	s_waitcnt vmcnt(0)
	v_add_f64 v[107:108], v[107:108], -v[99:100]
	buffer_store_dword v105, off, s[20:23], 0 offset:368 ; 4-byte Folded Spill
	s_nop 0
	buffer_store_dword v106, off, s[20:23], 0 offset:372 ; 4-byte Folded Spill
	buffer_store_dword v107, off, s[20:23], 0 offset:376 ; 4-byte Folded Spill
	buffer_store_dword v108, off, s[20:23], 0 offset:380 ; 4-byte Folded Spill
	ds_read2_b64 v[99:102], v125 offset0:42 offset1:43
	;; [unrolled: 19-line block ×14, first 2 shown]
	v_mov_b32_e32 v108, v98
	v_mov_b32_e32 v107, v97
	s_waitcnt lgkmcnt(0)
	v_mul_f64 v[103:104], v[101:102], v[109:110]
	v_fma_f64 v[103:104], v[99:100], v[97:98], -v[103:104]
	v_mul_f64 v[99:100], v[99:100], v[109:110]
	v_add_f64 v[91:92], v[91:92], -v[103:104]
	v_fma_f64 v[99:100], v[101:102], v[97:98], v[99:100]
	v_add_f64 v[93:94], v[93:94], -v[99:100]
	ds_read2_b64 v[99:102], v125 offset0:68 offset1:69
	buffer_load_dword v77, off, s[20:23], 0 offset:160 ; 4-byte Folded Reload
	buffer_load_dword v78, off, s[20:23], 0 offset:164 ; 4-byte Folded Reload
	buffer_load_dword v79, off, s[20:23], 0 offset:168 ; 4-byte Folded Reload
	buffer_load_dword v80, off, s[20:23], 0 offset:172 ; 4-byte Folded Reload
	s_waitcnt lgkmcnt(0)
	v_mul_f64 v[103:104], v[101:102], v[109:110]
	v_fma_f64 v[103:104], v[99:100], v[97:98], -v[103:104]
	v_mul_f64 v[99:100], v[99:100], v[109:110]
	v_fma_f64 v[99:100], v[101:102], v[97:98], v[99:100]
	s_waitcnt vmcnt(2)
	v_add_f64 v[77:78], v[77:78], -v[103:104]
	s_waitcnt vmcnt(0)
	v_add_f64 v[79:80], v[79:80], -v[99:100]
	buffer_store_dword v77, off, s[20:23], 0 offset:160 ; 4-byte Folded Spill
	s_nop 0
	buffer_store_dword v78, off, s[20:23], 0 offset:164 ; 4-byte Folded Spill
	buffer_store_dword v79, off, s[20:23], 0 offset:168 ; 4-byte Folded Spill
	buffer_store_dword v80, off, s[20:23], 0 offset:172 ; 4-byte Folded Spill
	ds_read2_b64 v[99:102], v125 offset0:70 offset1:71
	buffer_load_dword v77, off, s[20:23], 0 offset:144 ; 4-byte Folded Reload
	buffer_load_dword v78, off, s[20:23], 0 offset:148 ; 4-byte Folded Reload
	buffer_load_dword v79, off, s[20:23], 0 offset:152 ; 4-byte Folded Reload
	buffer_load_dword v80, off, s[20:23], 0 offset:156 ; 4-byte Folded Reload
	s_waitcnt lgkmcnt(0)
	v_mul_f64 v[103:104], v[101:102], v[109:110]
	v_fma_f64 v[103:104], v[99:100], v[97:98], -v[103:104]
	v_mul_f64 v[99:100], v[99:100], v[109:110]
	v_fma_f64 v[99:100], v[101:102], v[97:98], v[99:100]
	s_waitcnt vmcnt(2)
	v_add_f64 v[77:78], v[77:78], -v[103:104]
	s_waitcnt vmcnt(0)
	v_add_f64 v[79:80], v[79:80], -v[99:100]
	buffer_store_dword v77, off, s[20:23], 0 offset:144 ; 4-byte Folded Spill
	s_nop 0
	buffer_store_dword v78, off, s[20:23], 0 offset:148 ; 4-byte Folded Spill
	buffer_store_dword v79, off, s[20:23], 0 offset:152 ; 4-byte Folded Spill
	buffer_store_dword v80, off, s[20:23], 0 offset:156 ; 4-byte Folded Spill
	;; [unrolled: 19-line block ×10, first 2 shown]
	ds_read2_b64 v[99:102], v125 offset0:88 offset1:89
	buffer_load_dword v41, off, s[20:23], 0 ; 4-byte Folded Reload
	buffer_load_dword v42, off, s[20:23], 0 offset:4 ; 4-byte Folded Reload
	buffer_load_dword v43, off, s[20:23], 0 offset:8 ; 4-byte Folded Reload
	;; [unrolled: 1-line block ×3, first 2 shown]
	s_waitcnt lgkmcnt(0)
	v_mul_f64 v[103:104], v[101:102], v[109:110]
	v_fma_f64 v[103:104], v[99:100], v[97:98], -v[103:104]
	v_mul_f64 v[99:100], v[99:100], v[109:110]
	v_fma_f64 v[99:100], v[101:102], v[97:98], v[99:100]
	s_waitcnt vmcnt(2)
	v_add_f64 v[41:42], v[41:42], -v[103:104]
	s_waitcnt vmcnt(0)
	v_add_f64 v[43:44], v[43:44], -v[99:100]
	buffer_store_dword v41, off, s[20:23], 0 ; 4-byte Folded Spill
	s_nop 0
	buffer_store_dword v42, off, s[20:23], 0 offset:4 ; 4-byte Folded Spill
	buffer_store_dword v43, off, s[20:23], 0 offset:8 ; 4-byte Folded Spill
	;; [unrolled: 1-line block ×3, first 2 shown]
	ds_read2_b64 v[99:102], v125 offset0:90 offset1:91
	s_waitcnt lgkmcnt(0)
	v_mul_f64 v[103:104], v[101:102], v[109:110]
	v_fma_f64 v[103:104], v[99:100], v[97:98], -v[103:104]
	v_mul_f64 v[99:100], v[99:100], v[109:110]
	v_add_f64 v[37:38], v[37:38], -v[103:104]
	v_fma_f64 v[99:100], v[101:102], v[97:98], v[99:100]
	v_add_f64 v[39:40], v[39:40], -v[99:100]
	ds_read2_b64 v[99:102], v125 offset0:92 offset1:93
	s_waitcnt lgkmcnt(0)
	v_mul_f64 v[103:104], v[101:102], v[109:110]
	v_fma_f64 v[103:104], v[99:100], v[97:98], -v[103:104]
	v_mul_f64 v[99:100], v[99:100], v[109:110]
	v_add_f64 v[33:34], v[33:34], -v[103:104]
	v_fma_f64 v[99:100], v[101:102], v[97:98], v[99:100]
	v_add_f64 v[35:36], v[35:36], -v[99:100]
	;; [unrolled: 8-line block ×10, first 2 shown]
	ds_read2_b64 v[99:102], v125 offset0:110 offset1:111
	s_waitcnt lgkmcnt(0)
	v_mul_f64 v[103:104], v[101:102], v[109:110]
	v_fma_f64 v[103:104], v[99:100], v[97:98], -v[103:104]
	v_mul_f64 v[99:100], v[99:100], v[109:110]
	buffer_store_dword v107, off, s[20:23], 0 offset:400 ; 4-byte Folded Spill
	s_nop 0
	buffer_store_dword v108, off, s[20:23], 0 offset:404 ; 4-byte Folded Spill
	buffer_store_dword v109, off, s[20:23], 0 offset:408 ; 4-byte Folded Spill
	;; [unrolled: 1-line block ×3, first 2 shown]
	v_add_f64 v[121:122], v[121:122], -v[103:104]
	v_fma_f64 v[99:100], v[101:102], v[97:98], v[99:100]
	v_add_f64 v[123:124], v[123:124], -v[99:100]
.LBB111_172:
	s_or_b64 exec, exec, s[2:3]
	v_cmp_eq_u32_e32 vcc, 19, v0
	s_waitcnt vmcnt(0)
	s_barrier
	s_and_saveexec_b64 s[4:5], vcc
	s_cbranch_execz .LBB111_179
; %bb.173:
	buffer_load_dword v95, off, s[20:23], 0 offset:384 ; 4-byte Folded Reload
	buffer_load_dword v96, off, s[20:23], 0 offset:388 ; 4-byte Folded Reload
	;; [unrolled: 1-line block ×4, first 2 shown]
	s_waitcnt vmcnt(0)
	ds_write2_b64 v127, v[95:96], v[97:98] offset1:1
	buffer_load_dword v95, off, s[20:23], 0 offset:368 ; 4-byte Folded Reload
	buffer_load_dword v96, off, s[20:23], 0 offset:372 ; 4-byte Folded Reload
	buffer_load_dword v97, off, s[20:23], 0 offset:376 ; 4-byte Folded Reload
	buffer_load_dword v98, off, s[20:23], 0 offset:380 ; 4-byte Folded Reload
	s_waitcnt vmcnt(0)
	ds_write2_b64 v125, v[95:96], v[97:98] offset0:40 offset1:41
	buffer_load_dword v95, off, s[20:23], 0 offset:352 ; 4-byte Folded Reload
	buffer_load_dword v96, off, s[20:23], 0 offset:356 ; 4-byte Folded Reload
	buffer_load_dword v97, off, s[20:23], 0 offset:360 ; 4-byte Folded Reload
	buffer_load_dword v98, off, s[20:23], 0 offset:364 ; 4-byte Folded Reload
	s_waitcnt vmcnt(0)
	ds_write2_b64 v125, v[95:96], v[97:98] offset0:42 offset1:43
	;; [unrolled: 6-line block ×13, first 2 shown]
	ds_write2_b64 v125, v[91:92], v[93:94] offset0:66 offset1:67
	buffer_load_dword v77, off, s[20:23], 0 offset:160 ; 4-byte Folded Reload
	buffer_load_dword v78, off, s[20:23], 0 offset:164 ; 4-byte Folded Reload
	buffer_load_dword v79, off, s[20:23], 0 offset:168 ; 4-byte Folded Reload
	buffer_load_dword v80, off, s[20:23], 0 offset:172 ; 4-byte Folded Reload
	s_waitcnt vmcnt(0)
	ds_write2_b64 v125, v[77:78], v[79:80] offset0:68 offset1:69
	buffer_load_dword v77, off, s[20:23], 0 offset:144 ; 4-byte Folded Reload
	buffer_load_dword v78, off, s[20:23], 0 offset:148 ; 4-byte Folded Reload
	buffer_load_dword v79, off, s[20:23], 0 offset:152 ; 4-byte Folded Reload
	buffer_load_dword v80, off, s[20:23], 0 offset:156 ; 4-byte Folded Reload
	s_waitcnt vmcnt(0)
	;; [unrolled: 6-line block ×10, first 2 shown]
	ds_write2_b64 v125, v[45:46], v[47:48] offset0:86 offset1:87
	buffer_load_dword v41, off, s[20:23], 0 ; 4-byte Folded Reload
	buffer_load_dword v42, off, s[20:23], 0 offset:4 ; 4-byte Folded Reload
	buffer_load_dword v43, off, s[20:23], 0 offset:8 ; 4-byte Folded Reload
	;; [unrolled: 1-line block ×3, first 2 shown]
	s_waitcnt vmcnt(0)
	ds_write2_b64 v125, v[41:42], v[43:44] offset0:88 offset1:89
	ds_write2_b64 v125, v[37:38], v[39:40] offset0:90 offset1:91
	;; [unrolled: 1-line block ×12, first 2 shown]
	ds_read2_b64 v[97:100], v127 offset1:1
	s_waitcnt lgkmcnt(0)
	v_cmp_neq_f64_e32 vcc, 0, v[97:98]
	v_cmp_neq_f64_e64 s[2:3], 0, v[99:100]
	s_or_b64 s[2:3], vcc, s[2:3]
	s_and_b64 exec, exec, s[2:3]
	s_cbranch_execz .LBB111_179
; %bb.174:
	v_cmp_ngt_f64_e64 s[2:3], |v[97:98]|, |v[99:100]|
                                        ; implicit-def: $vgpr101_vgpr102
	s_and_saveexec_b64 s[6:7], s[2:3]
	s_xor_b64 s[2:3], exec, s[6:7]
                                        ; implicit-def: $vgpr103_vgpr104
	s_cbranch_execz .LBB111_176
; %bb.175:
	v_div_scale_f64 v[101:102], s[6:7], v[99:100], v[99:100], v[97:98]
	v_rcp_f64_e32 v[103:104], v[101:102]
	v_fma_f64 v[105:106], -v[101:102], v[103:104], 1.0
	v_fma_f64 v[103:104], v[103:104], v[105:106], v[103:104]
	v_div_scale_f64 v[105:106], vcc, v[97:98], v[99:100], v[97:98]
	v_fma_f64 v[107:108], -v[101:102], v[103:104], 1.0
	v_fma_f64 v[103:104], v[103:104], v[107:108], v[103:104]
	v_mul_f64 v[107:108], v[105:106], v[103:104]
	v_fma_f64 v[101:102], -v[101:102], v[107:108], v[105:106]
	v_div_fmas_f64 v[101:102], v[101:102], v[103:104], v[107:108]
	v_div_fixup_f64 v[101:102], v[101:102], v[99:100], v[97:98]
	v_fma_f64 v[97:98], v[97:98], v[101:102], v[99:100]
	v_div_scale_f64 v[99:100], s[6:7], v[97:98], v[97:98], 1.0
	v_div_scale_f64 v[107:108], vcc, 1.0, v[97:98], 1.0
	v_rcp_f64_e32 v[103:104], v[99:100]
	v_fma_f64 v[105:106], -v[99:100], v[103:104], 1.0
	v_fma_f64 v[103:104], v[103:104], v[105:106], v[103:104]
	v_fma_f64 v[105:106], -v[99:100], v[103:104], 1.0
	v_fma_f64 v[103:104], v[103:104], v[105:106], v[103:104]
	v_mul_f64 v[105:106], v[107:108], v[103:104]
	v_fma_f64 v[99:100], -v[99:100], v[105:106], v[107:108]
	v_div_fmas_f64 v[99:100], v[99:100], v[103:104], v[105:106]
	v_div_fixup_f64 v[103:104], v[99:100], v[97:98], 1.0
                                        ; implicit-def: $vgpr97_vgpr98
	v_mul_f64 v[101:102], v[101:102], v[103:104]
	v_xor_b32_e32 v104, 0x80000000, v104
.LBB111_176:
	s_andn2_saveexec_b64 s[2:3], s[2:3]
	s_cbranch_execz .LBB111_178
; %bb.177:
	v_div_scale_f64 v[101:102], s[6:7], v[97:98], v[97:98], v[99:100]
	v_rcp_f64_e32 v[103:104], v[101:102]
	v_fma_f64 v[105:106], -v[101:102], v[103:104], 1.0
	v_fma_f64 v[103:104], v[103:104], v[105:106], v[103:104]
	v_div_scale_f64 v[105:106], vcc, v[99:100], v[97:98], v[99:100]
	v_fma_f64 v[107:108], -v[101:102], v[103:104], 1.0
	v_fma_f64 v[103:104], v[103:104], v[107:108], v[103:104]
	v_mul_f64 v[107:108], v[105:106], v[103:104]
	v_fma_f64 v[101:102], -v[101:102], v[107:108], v[105:106]
	v_div_fmas_f64 v[101:102], v[101:102], v[103:104], v[107:108]
	v_div_fixup_f64 v[103:104], v[101:102], v[97:98], v[99:100]
	v_fma_f64 v[97:98], v[99:100], v[103:104], v[97:98]
	v_div_scale_f64 v[99:100], s[6:7], v[97:98], v[97:98], 1.0
	v_div_scale_f64 v[107:108], vcc, 1.0, v[97:98], 1.0
	v_rcp_f64_e32 v[101:102], v[99:100]
	v_fma_f64 v[105:106], -v[99:100], v[101:102], 1.0
	v_fma_f64 v[101:102], v[101:102], v[105:106], v[101:102]
	v_fma_f64 v[105:106], -v[99:100], v[101:102], 1.0
	v_fma_f64 v[101:102], v[101:102], v[105:106], v[101:102]
	v_mul_f64 v[105:106], v[107:108], v[101:102]
	v_fma_f64 v[99:100], -v[99:100], v[105:106], v[107:108]
	v_div_fmas_f64 v[99:100], v[99:100], v[101:102], v[105:106]
	v_div_fixup_f64 v[101:102], v[99:100], v[97:98], 1.0
	v_mul_f64 v[103:104], v[103:104], -v[101:102]
.LBB111_178:
	s_or_b64 exec, exec, s[2:3]
	ds_write2_b64 v127, v[101:102], v[103:104] offset1:1
.LBB111_179:
	s_or_b64 exec, exec, s[4:5]
	s_waitcnt lgkmcnt(0)
	s_barrier
	ds_read2_b64 v[87:90], v127 offset1:1
	v_cmp_lt_u32_e32 vcc, 19, v0
	s_waitcnt lgkmcnt(0)
	buffer_store_dword v87, off, s[20:23], 0 offset:1448 ; 4-byte Folded Spill
	s_nop 0
	buffer_store_dword v88, off, s[20:23], 0 offset:1452 ; 4-byte Folded Spill
	buffer_store_dword v89, off, s[20:23], 0 offset:1456 ; 4-byte Folded Spill
	;; [unrolled: 1-line block ×3, first 2 shown]
	s_and_saveexec_b64 s[2:3], vcc
	s_cbranch_execz .LBB111_181
; %bb.180:
	buffer_load_dword v107, off, s[20:23], 0 offset:384 ; 4-byte Folded Reload
	buffer_load_dword v108, off, s[20:23], 0 offset:388 ; 4-byte Folded Reload
	buffer_load_dword v109, off, s[20:23], 0 offset:392 ; 4-byte Folded Reload
	buffer_load_dword v110, off, s[20:23], 0 offset:396 ; 4-byte Folded Reload
	buffer_load_dword v87, off, s[20:23], 0 offset:1448 ; 4-byte Folded Reload
	buffer_load_dword v88, off, s[20:23], 0 offset:1452 ; 4-byte Folded Reload
	buffer_load_dword v89, off, s[20:23], 0 offset:1456 ; 4-byte Folded Reload
	buffer_load_dword v90, off, s[20:23], 0 offset:1460 ; 4-byte Folded Reload
	s_waitcnt vmcnt(2)
	v_mul_f64 v[99:100], v[87:88], v[109:110]
	s_waitcnt vmcnt(0)
	v_mul_f64 v[97:98], v[89:90], v[109:110]
	v_fma_f64 v[109:110], v[89:90], v[107:108], v[99:100]
	ds_read2_b64 v[99:102], v125 offset0:40 offset1:41
	v_fma_f64 v[97:98], v[87:88], v[107:108], -v[97:98]
	buffer_load_dword v105, off, s[20:23], 0 offset:368 ; 4-byte Folded Reload
	buffer_load_dword v106, off, s[20:23], 0 offset:372 ; 4-byte Folded Reload
	buffer_load_dword v107, off, s[20:23], 0 offset:376 ; 4-byte Folded Reload
	buffer_load_dword v108, off, s[20:23], 0 offset:380 ; 4-byte Folded Reload
	s_waitcnt lgkmcnt(0)
	v_mul_f64 v[103:104], v[101:102], v[109:110]
	v_fma_f64 v[103:104], v[99:100], v[97:98], -v[103:104]
	v_mul_f64 v[99:100], v[99:100], v[109:110]
	v_fma_f64 v[99:100], v[101:102], v[97:98], v[99:100]
	s_waitcnt vmcnt(2)
	v_add_f64 v[105:106], v[105:106], -v[103:104]
	s_waitcnt vmcnt(0)
	v_add_f64 v[107:108], v[107:108], -v[99:100]
	buffer_store_dword v105, off, s[20:23], 0 offset:368 ; 4-byte Folded Spill
	s_nop 0
	buffer_store_dword v106, off, s[20:23], 0 offset:372 ; 4-byte Folded Spill
	buffer_store_dword v107, off, s[20:23], 0 offset:376 ; 4-byte Folded Spill
	buffer_store_dword v108, off, s[20:23], 0 offset:380 ; 4-byte Folded Spill
	ds_read2_b64 v[99:102], v125 offset0:42 offset1:43
	buffer_load_dword v105, off, s[20:23], 0 offset:352 ; 4-byte Folded Reload
	buffer_load_dword v106, off, s[20:23], 0 offset:356 ; 4-byte Folded Reload
	buffer_load_dword v107, off, s[20:23], 0 offset:360 ; 4-byte Folded Reload
	buffer_load_dword v108, off, s[20:23], 0 offset:364 ; 4-byte Folded Reload
	s_waitcnt lgkmcnt(0)
	v_mul_f64 v[103:104], v[101:102], v[109:110]
	v_fma_f64 v[103:104], v[99:100], v[97:98], -v[103:104]
	v_mul_f64 v[99:100], v[99:100], v[109:110]
	v_fma_f64 v[99:100], v[101:102], v[97:98], v[99:100]
	s_waitcnt vmcnt(2)
	v_add_f64 v[105:106], v[105:106], -v[103:104]
	s_waitcnt vmcnt(0)
	v_add_f64 v[107:108], v[107:108], -v[99:100]
	buffer_store_dword v105, off, s[20:23], 0 offset:352 ; 4-byte Folded Spill
	s_nop 0
	buffer_store_dword v106, off, s[20:23], 0 offset:356 ; 4-byte Folded Spill
	buffer_store_dword v107, off, s[20:23], 0 offset:360 ; 4-byte Folded Spill
	buffer_store_dword v108, off, s[20:23], 0 offset:364 ; 4-byte Folded Spill
	ds_read2_b64 v[99:102], v125 offset0:44 offset1:45
	;; [unrolled: 19-line block ×13, first 2 shown]
	v_mov_b32_e32 v108, v98
	v_mov_b32_e32 v107, v97
	s_waitcnt lgkmcnt(0)
	v_mul_f64 v[103:104], v[101:102], v[109:110]
	v_fma_f64 v[103:104], v[99:100], v[97:98], -v[103:104]
	v_mul_f64 v[99:100], v[99:100], v[109:110]
	v_add_f64 v[91:92], v[91:92], -v[103:104]
	v_fma_f64 v[99:100], v[101:102], v[97:98], v[99:100]
	v_add_f64 v[93:94], v[93:94], -v[99:100]
	ds_read2_b64 v[99:102], v125 offset0:68 offset1:69
	buffer_load_dword v77, off, s[20:23], 0 offset:160 ; 4-byte Folded Reload
	buffer_load_dword v78, off, s[20:23], 0 offset:164 ; 4-byte Folded Reload
	buffer_load_dword v79, off, s[20:23], 0 offset:168 ; 4-byte Folded Reload
	buffer_load_dword v80, off, s[20:23], 0 offset:172 ; 4-byte Folded Reload
	s_waitcnt lgkmcnt(0)
	v_mul_f64 v[103:104], v[101:102], v[109:110]
	v_fma_f64 v[103:104], v[99:100], v[97:98], -v[103:104]
	v_mul_f64 v[99:100], v[99:100], v[109:110]
	v_fma_f64 v[99:100], v[101:102], v[97:98], v[99:100]
	s_waitcnt vmcnt(2)
	v_add_f64 v[77:78], v[77:78], -v[103:104]
	s_waitcnt vmcnt(0)
	v_add_f64 v[79:80], v[79:80], -v[99:100]
	buffer_store_dword v77, off, s[20:23], 0 offset:160 ; 4-byte Folded Spill
	s_nop 0
	buffer_store_dword v78, off, s[20:23], 0 offset:164 ; 4-byte Folded Spill
	buffer_store_dword v79, off, s[20:23], 0 offset:168 ; 4-byte Folded Spill
	buffer_store_dword v80, off, s[20:23], 0 offset:172 ; 4-byte Folded Spill
	ds_read2_b64 v[99:102], v125 offset0:70 offset1:71
	buffer_load_dword v77, off, s[20:23], 0 offset:144 ; 4-byte Folded Reload
	buffer_load_dword v78, off, s[20:23], 0 offset:148 ; 4-byte Folded Reload
	buffer_load_dword v79, off, s[20:23], 0 offset:152 ; 4-byte Folded Reload
	buffer_load_dword v80, off, s[20:23], 0 offset:156 ; 4-byte Folded Reload
	s_waitcnt lgkmcnt(0)
	v_mul_f64 v[103:104], v[101:102], v[109:110]
	v_fma_f64 v[103:104], v[99:100], v[97:98], -v[103:104]
	v_mul_f64 v[99:100], v[99:100], v[109:110]
	v_fma_f64 v[99:100], v[101:102], v[97:98], v[99:100]
	s_waitcnt vmcnt(2)
	v_add_f64 v[77:78], v[77:78], -v[103:104]
	s_waitcnt vmcnt(0)
	v_add_f64 v[79:80], v[79:80], -v[99:100]
	buffer_store_dword v77, off, s[20:23], 0 offset:144 ; 4-byte Folded Spill
	s_nop 0
	buffer_store_dword v78, off, s[20:23], 0 offset:148 ; 4-byte Folded Spill
	buffer_store_dword v79, off, s[20:23], 0 offset:152 ; 4-byte Folded Spill
	buffer_store_dword v80, off, s[20:23], 0 offset:156 ; 4-byte Folded Spill
	;; [unrolled: 19-line block ×10, first 2 shown]
	ds_read2_b64 v[99:102], v125 offset0:88 offset1:89
	buffer_load_dword v41, off, s[20:23], 0 ; 4-byte Folded Reload
	buffer_load_dword v42, off, s[20:23], 0 offset:4 ; 4-byte Folded Reload
	buffer_load_dword v43, off, s[20:23], 0 offset:8 ; 4-byte Folded Reload
	;; [unrolled: 1-line block ×3, first 2 shown]
	s_waitcnt lgkmcnt(0)
	v_mul_f64 v[103:104], v[101:102], v[109:110]
	v_fma_f64 v[103:104], v[99:100], v[97:98], -v[103:104]
	v_mul_f64 v[99:100], v[99:100], v[109:110]
	v_fma_f64 v[99:100], v[101:102], v[97:98], v[99:100]
	s_waitcnt vmcnt(2)
	v_add_f64 v[41:42], v[41:42], -v[103:104]
	s_waitcnt vmcnt(0)
	v_add_f64 v[43:44], v[43:44], -v[99:100]
	buffer_store_dword v41, off, s[20:23], 0 ; 4-byte Folded Spill
	s_nop 0
	buffer_store_dword v42, off, s[20:23], 0 offset:4 ; 4-byte Folded Spill
	buffer_store_dword v43, off, s[20:23], 0 offset:8 ; 4-byte Folded Spill
	;; [unrolled: 1-line block ×3, first 2 shown]
	ds_read2_b64 v[99:102], v125 offset0:90 offset1:91
	s_waitcnt lgkmcnt(0)
	v_mul_f64 v[103:104], v[101:102], v[109:110]
	v_fma_f64 v[103:104], v[99:100], v[97:98], -v[103:104]
	v_mul_f64 v[99:100], v[99:100], v[109:110]
	v_add_f64 v[37:38], v[37:38], -v[103:104]
	v_fma_f64 v[99:100], v[101:102], v[97:98], v[99:100]
	v_add_f64 v[39:40], v[39:40], -v[99:100]
	ds_read2_b64 v[99:102], v125 offset0:92 offset1:93
	s_waitcnt lgkmcnt(0)
	v_mul_f64 v[103:104], v[101:102], v[109:110]
	v_fma_f64 v[103:104], v[99:100], v[97:98], -v[103:104]
	v_mul_f64 v[99:100], v[99:100], v[109:110]
	v_add_f64 v[33:34], v[33:34], -v[103:104]
	v_fma_f64 v[99:100], v[101:102], v[97:98], v[99:100]
	v_add_f64 v[35:36], v[35:36], -v[99:100]
	;; [unrolled: 8-line block ×10, first 2 shown]
	ds_read2_b64 v[99:102], v125 offset0:110 offset1:111
	s_waitcnt lgkmcnt(0)
	v_mul_f64 v[103:104], v[101:102], v[109:110]
	v_fma_f64 v[103:104], v[99:100], v[97:98], -v[103:104]
	v_mul_f64 v[99:100], v[99:100], v[109:110]
	buffer_store_dword v107, off, s[20:23], 0 offset:384 ; 4-byte Folded Spill
	s_nop 0
	buffer_store_dword v108, off, s[20:23], 0 offset:388 ; 4-byte Folded Spill
	buffer_store_dword v109, off, s[20:23], 0 offset:392 ; 4-byte Folded Spill
	;; [unrolled: 1-line block ×3, first 2 shown]
	v_add_f64 v[121:122], v[121:122], -v[103:104]
	v_fma_f64 v[99:100], v[101:102], v[97:98], v[99:100]
	v_add_f64 v[123:124], v[123:124], -v[99:100]
.LBB111_181:
	s_or_b64 exec, exec, s[2:3]
	v_cmp_eq_u32_e32 vcc, 20, v0
	s_waitcnt vmcnt(0)
	s_barrier
	s_and_saveexec_b64 s[4:5], vcc
	s_cbranch_execz .LBB111_188
; %bb.182:
	buffer_load_dword v95, off, s[20:23], 0 offset:368 ; 4-byte Folded Reload
	buffer_load_dword v96, off, s[20:23], 0 offset:372 ; 4-byte Folded Reload
	;; [unrolled: 1-line block ×4, first 2 shown]
	s_waitcnt vmcnt(0)
	ds_write2_b64 v127, v[95:96], v[97:98] offset1:1
	buffer_load_dword v95, off, s[20:23], 0 offset:352 ; 4-byte Folded Reload
	buffer_load_dword v96, off, s[20:23], 0 offset:356 ; 4-byte Folded Reload
	buffer_load_dword v97, off, s[20:23], 0 offset:360 ; 4-byte Folded Reload
	buffer_load_dword v98, off, s[20:23], 0 offset:364 ; 4-byte Folded Reload
	s_waitcnt vmcnt(0)
	ds_write2_b64 v125, v[95:96], v[97:98] offset0:42 offset1:43
	buffer_load_dword v95, off, s[20:23], 0 offset:336 ; 4-byte Folded Reload
	buffer_load_dword v96, off, s[20:23], 0 offset:340 ; 4-byte Folded Reload
	buffer_load_dword v97, off, s[20:23], 0 offset:344 ; 4-byte Folded Reload
	buffer_load_dword v98, off, s[20:23], 0 offset:348 ; 4-byte Folded Reload
	s_waitcnt vmcnt(0)
	ds_write2_b64 v125, v[95:96], v[97:98] offset0:44 offset1:45
	;; [unrolled: 6-line block ×12, first 2 shown]
	ds_write2_b64 v125, v[91:92], v[93:94] offset0:66 offset1:67
	buffer_load_dword v77, off, s[20:23], 0 offset:160 ; 4-byte Folded Reload
	buffer_load_dword v78, off, s[20:23], 0 offset:164 ; 4-byte Folded Reload
	buffer_load_dword v79, off, s[20:23], 0 offset:168 ; 4-byte Folded Reload
	buffer_load_dword v80, off, s[20:23], 0 offset:172 ; 4-byte Folded Reload
	s_waitcnt vmcnt(0)
	ds_write2_b64 v125, v[77:78], v[79:80] offset0:68 offset1:69
	buffer_load_dword v77, off, s[20:23], 0 offset:144 ; 4-byte Folded Reload
	buffer_load_dword v78, off, s[20:23], 0 offset:148 ; 4-byte Folded Reload
	buffer_load_dword v79, off, s[20:23], 0 offset:152 ; 4-byte Folded Reload
	buffer_load_dword v80, off, s[20:23], 0 offset:156 ; 4-byte Folded Reload
	s_waitcnt vmcnt(0)
	;; [unrolled: 6-line block ×10, first 2 shown]
	ds_write2_b64 v125, v[45:46], v[47:48] offset0:86 offset1:87
	buffer_load_dword v41, off, s[20:23], 0 ; 4-byte Folded Reload
	buffer_load_dword v42, off, s[20:23], 0 offset:4 ; 4-byte Folded Reload
	buffer_load_dword v43, off, s[20:23], 0 offset:8 ; 4-byte Folded Reload
	;; [unrolled: 1-line block ×3, first 2 shown]
	s_waitcnt vmcnt(0)
	ds_write2_b64 v125, v[41:42], v[43:44] offset0:88 offset1:89
	ds_write2_b64 v125, v[37:38], v[39:40] offset0:90 offset1:91
	;; [unrolled: 1-line block ×12, first 2 shown]
	ds_read2_b64 v[97:100], v127 offset1:1
	s_waitcnt lgkmcnt(0)
	v_cmp_neq_f64_e32 vcc, 0, v[97:98]
	v_cmp_neq_f64_e64 s[2:3], 0, v[99:100]
	s_or_b64 s[2:3], vcc, s[2:3]
	s_and_b64 exec, exec, s[2:3]
	s_cbranch_execz .LBB111_188
; %bb.183:
	v_cmp_ngt_f64_e64 s[2:3], |v[97:98]|, |v[99:100]|
                                        ; implicit-def: $vgpr101_vgpr102
	s_and_saveexec_b64 s[6:7], s[2:3]
	s_xor_b64 s[2:3], exec, s[6:7]
                                        ; implicit-def: $vgpr103_vgpr104
	s_cbranch_execz .LBB111_185
; %bb.184:
	v_div_scale_f64 v[101:102], s[6:7], v[99:100], v[99:100], v[97:98]
	v_rcp_f64_e32 v[103:104], v[101:102]
	v_fma_f64 v[105:106], -v[101:102], v[103:104], 1.0
	v_fma_f64 v[103:104], v[103:104], v[105:106], v[103:104]
	v_div_scale_f64 v[105:106], vcc, v[97:98], v[99:100], v[97:98]
	v_fma_f64 v[107:108], -v[101:102], v[103:104], 1.0
	v_fma_f64 v[103:104], v[103:104], v[107:108], v[103:104]
	v_mul_f64 v[107:108], v[105:106], v[103:104]
	v_fma_f64 v[101:102], -v[101:102], v[107:108], v[105:106]
	v_div_fmas_f64 v[101:102], v[101:102], v[103:104], v[107:108]
	v_div_fixup_f64 v[101:102], v[101:102], v[99:100], v[97:98]
	v_fma_f64 v[97:98], v[97:98], v[101:102], v[99:100]
	v_div_scale_f64 v[99:100], s[6:7], v[97:98], v[97:98], 1.0
	v_div_scale_f64 v[107:108], vcc, 1.0, v[97:98], 1.0
	v_rcp_f64_e32 v[103:104], v[99:100]
	v_fma_f64 v[105:106], -v[99:100], v[103:104], 1.0
	v_fma_f64 v[103:104], v[103:104], v[105:106], v[103:104]
	v_fma_f64 v[105:106], -v[99:100], v[103:104], 1.0
	v_fma_f64 v[103:104], v[103:104], v[105:106], v[103:104]
	v_mul_f64 v[105:106], v[107:108], v[103:104]
	v_fma_f64 v[99:100], -v[99:100], v[105:106], v[107:108]
	v_div_fmas_f64 v[99:100], v[99:100], v[103:104], v[105:106]
	v_div_fixup_f64 v[103:104], v[99:100], v[97:98], 1.0
                                        ; implicit-def: $vgpr97_vgpr98
	v_mul_f64 v[101:102], v[101:102], v[103:104]
	v_xor_b32_e32 v104, 0x80000000, v104
.LBB111_185:
	s_andn2_saveexec_b64 s[2:3], s[2:3]
	s_cbranch_execz .LBB111_187
; %bb.186:
	v_div_scale_f64 v[101:102], s[6:7], v[97:98], v[97:98], v[99:100]
	v_rcp_f64_e32 v[103:104], v[101:102]
	v_fma_f64 v[105:106], -v[101:102], v[103:104], 1.0
	v_fma_f64 v[103:104], v[103:104], v[105:106], v[103:104]
	v_div_scale_f64 v[105:106], vcc, v[99:100], v[97:98], v[99:100]
	v_fma_f64 v[107:108], -v[101:102], v[103:104], 1.0
	v_fma_f64 v[103:104], v[103:104], v[107:108], v[103:104]
	v_mul_f64 v[107:108], v[105:106], v[103:104]
	v_fma_f64 v[101:102], -v[101:102], v[107:108], v[105:106]
	v_div_fmas_f64 v[101:102], v[101:102], v[103:104], v[107:108]
	v_div_fixup_f64 v[103:104], v[101:102], v[97:98], v[99:100]
	v_fma_f64 v[97:98], v[99:100], v[103:104], v[97:98]
	v_div_scale_f64 v[99:100], s[6:7], v[97:98], v[97:98], 1.0
	v_div_scale_f64 v[107:108], vcc, 1.0, v[97:98], 1.0
	v_rcp_f64_e32 v[101:102], v[99:100]
	v_fma_f64 v[105:106], -v[99:100], v[101:102], 1.0
	v_fma_f64 v[101:102], v[101:102], v[105:106], v[101:102]
	v_fma_f64 v[105:106], -v[99:100], v[101:102], 1.0
	v_fma_f64 v[101:102], v[101:102], v[105:106], v[101:102]
	v_mul_f64 v[105:106], v[107:108], v[101:102]
	v_fma_f64 v[99:100], -v[99:100], v[105:106], v[107:108]
	v_div_fmas_f64 v[99:100], v[99:100], v[101:102], v[105:106]
	v_div_fixup_f64 v[101:102], v[99:100], v[97:98], 1.0
	v_mul_f64 v[103:104], v[103:104], -v[101:102]
.LBB111_187:
	s_or_b64 exec, exec, s[2:3]
	ds_write2_b64 v127, v[101:102], v[103:104] offset1:1
.LBB111_188:
	s_or_b64 exec, exec, s[4:5]
	s_waitcnt lgkmcnt(0)
	s_barrier
	ds_read2_b64 v[87:90], v127 offset1:1
	v_cmp_lt_u32_e32 vcc, 20, v0
	s_waitcnt lgkmcnt(0)
	buffer_store_dword v87, off, s[20:23], 0 offset:1464 ; 4-byte Folded Spill
	s_nop 0
	buffer_store_dword v88, off, s[20:23], 0 offset:1468 ; 4-byte Folded Spill
	buffer_store_dword v89, off, s[20:23], 0 offset:1472 ; 4-byte Folded Spill
	;; [unrolled: 1-line block ×3, first 2 shown]
	s_and_saveexec_b64 s[2:3], vcc
	s_cbranch_execz .LBB111_190
; %bb.189:
	buffer_load_dword v107, off, s[20:23], 0 offset:368 ; 4-byte Folded Reload
	buffer_load_dword v108, off, s[20:23], 0 offset:372 ; 4-byte Folded Reload
	;; [unrolled: 1-line block ×8, first 2 shown]
	s_waitcnt vmcnt(2)
	v_mul_f64 v[99:100], v[87:88], v[109:110]
	s_waitcnt vmcnt(0)
	v_mul_f64 v[97:98], v[89:90], v[109:110]
	v_fma_f64 v[109:110], v[89:90], v[107:108], v[99:100]
	ds_read2_b64 v[99:102], v125 offset0:42 offset1:43
	v_fma_f64 v[97:98], v[87:88], v[107:108], -v[97:98]
	buffer_load_dword v105, off, s[20:23], 0 offset:352 ; 4-byte Folded Reload
	buffer_load_dword v106, off, s[20:23], 0 offset:356 ; 4-byte Folded Reload
	buffer_load_dword v107, off, s[20:23], 0 offset:360 ; 4-byte Folded Reload
	buffer_load_dword v108, off, s[20:23], 0 offset:364 ; 4-byte Folded Reload
	s_waitcnt lgkmcnt(0)
	v_mul_f64 v[103:104], v[101:102], v[109:110]
	v_fma_f64 v[103:104], v[99:100], v[97:98], -v[103:104]
	v_mul_f64 v[99:100], v[99:100], v[109:110]
	v_fma_f64 v[99:100], v[101:102], v[97:98], v[99:100]
	s_waitcnt vmcnt(2)
	v_add_f64 v[105:106], v[105:106], -v[103:104]
	s_waitcnt vmcnt(0)
	v_add_f64 v[107:108], v[107:108], -v[99:100]
	buffer_store_dword v105, off, s[20:23], 0 offset:352 ; 4-byte Folded Spill
	s_nop 0
	buffer_store_dword v106, off, s[20:23], 0 offset:356 ; 4-byte Folded Spill
	buffer_store_dword v107, off, s[20:23], 0 offset:360 ; 4-byte Folded Spill
	buffer_store_dword v108, off, s[20:23], 0 offset:364 ; 4-byte Folded Spill
	ds_read2_b64 v[99:102], v125 offset0:44 offset1:45
	buffer_load_dword v105, off, s[20:23], 0 offset:336 ; 4-byte Folded Reload
	buffer_load_dword v106, off, s[20:23], 0 offset:340 ; 4-byte Folded Reload
	buffer_load_dword v107, off, s[20:23], 0 offset:344 ; 4-byte Folded Reload
	buffer_load_dword v108, off, s[20:23], 0 offset:348 ; 4-byte Folded Reload
	s_waitcnt lgkmcnt(0)
	v_mul_f64 v[103:104], v[101:102], v[109:110]
	v_fma_f64 v[103:104], v[99:100], v[97:98], -v[103:104]
	v_mul_f64 v[99:100], v[99:100], v[109:110]
	v_fma_f64 v[99:100], v[101:102], v[97:98], v[99:100]
	s_waitcnt vmcnt(2)
	v_add_f64 v[105:106], v[105:106], -v[103:104]
	s_waitcnt vmcnt(0)
	v_add_f64 v[107:108], v[107:108], -v[99:100]
	buffer_store_dword v105, off, s[20:23], 0 offset:336 ; 4-byte Folded Spill
	s_nop 0
	buffer_store_dword v106, off, s[20:23], 0 offset:340 ; 4-byte Folded Spill
	buffer_store_dword v107, off, s[20:23], 0 offset:344 ; 4-byte Folded Spill
	buffer_store_dword v108, off, s[20:23], 0 offset:348 ; 4-byte Folded Spill
	ds_read2_b64 v[99:102], v125 offset0:46 offset1:47
	;; [unrolled: 19-line block ×12, first 2 shown]
	v_mov_b32_e32 v108, v98
	v_mov_b32_e32 v107, v97
	s_waitcnt lgkmcnt(0)
	v_mul_f64 v[103:104], v[101:102], v[109:110]
	v_fma_f64 v[103:104], v[99:100], v[97:98], -v[103:104]
	v_mul_f64 v[99:100], v[99:100], v[109:110]
	v_add_f64 v[91:92], v[91:92], -v[103:104]
	v_fma_f64 v[99:100], v[101:102], v[97:98], v[99:100]
	v_add_f64 v[93:94], v[93:94], -v[99:100]
	ds_read2_b64 v[99:102], v125 offset0:68 offset1:69
	buffer_load_dword v77, off, s[20:23], 0 offset:160 ; 4-byte Folded Reload
	buffer_load_dword v78, off, s[20:23], 0 offset:164 ; 4-byte Folded Reload
	buffer_load_dword v79, off, s[20:23], 0 offset:168 ; 4-byte Folded Reload
	buffer_load_dword v80, off, s[20:23], 0 offset:172 ; 4-byte Folded Reload
	s_waitcnt lgkmcnt(0)
	v_mul_f64 v[103:104], v[101:102], v[109:110]
	v_fma_f64 v[103:104], v[99:100], v[97:98], -v[103:104]
	v_mul_f64 v[99:100], v[99:100], v[109:110]
	v_fma_f64 v[99:100], v[101:102], v[97:98], v[99:100]
	s_waitcnt vmcnt(2)
	v_add_f64 v[77:78], v[77:78], -v[103:104]
	s_waitcnt vmcnt(0)
	v_add_f64 v[79:80], v[79:80], -v[99:100]
	buffer_store_dword v77, off, s[20:23], 0 offset:160 ; 4-byte Folded Spill
	s_nop 0
	buffer_store_dword v78, off, s[20:23], 0 offset:164 ; 4-byte Folded Spill
	buffer_store_dword v79, off, s[20:23], 0 offset:168 ; 4-byte Folded Spill
	buffer_store_dword v80, off, s[20:23], 0 offset:172 ; 4-byte Folded Spill
	ds_read2_b64 v[99:102], v125 offset0:70 offset1:71
	buffer_load_dword v77, off, s[20:23], 0 offset:144 ; 4-byte Folded Reload
	buffer_load_dword v78, off, s[20:23], 0 offset:148 ; 4-byte Folded Reload
	buffer_load_dword v79, off, s[20:23], 0 offset:152 ; 4-byte Folded Reload
	buffer_load_dword v80, off, s[20:23], 0 offset:156 ; 4-byte Folded Reload
	s_waitcnt lgkmcnt(0)
	v_mul_f64 v[103:104], v[101:102], v[109:110]
	v_fma_f64 v[103:104], v[99:100], v[97:98], -v[103:104]
	v_mul_f64 v[99:100], v[99:100], v[109:110]
	v_fma_f64 v[99:100], v[101:102], v[97:98], v[99:100]
	s_waitcnt vmcnt(2)
	v_add_f64 v[77:78], v[77:78], -v[103:104]
	s_waitcnt vmcnt(0)
	v_add_f64 v[79:80], v[79:80], -v[99:100]
	buffer_store_dword v77, off, s[20:23], 0 offset:144 ; 4-byte Folded Spill
	s_nop 0
	buffer_store_dword v78, off, s[20:23], 0 offset:148 ; 4-byte Folded Spill
	buffer_store_dword v79, off, s[20:23], 0 offset:152 ; 4-byte Folded Spill
	buffer_store_dword v80, off, s[20:23], 0 offset:156 ; 4-byte Folded Spill
	;; [unrolled: 19-line block ×10, first 2 shown]
	ds_read2_b64 v[99:102], v125 offset0:88 offset1:89
	buffer_load_dword v41, off, s[20:23], 0 ; 4-byte Folded Reload
	buffer_load_dword v42, off, s[20:23], 0 offset:4 ; 4-byte Folded Reload
	buffer_load_dword v43, off, s[20:23], 0 offset:8 ; 4-byte Folded Reload
	;; [unrolled: 1-line block ×3, first 2 shown]
	s_waitcnt lgkmcnt(0)
	v_mul_f64 v[103:104], v[101:102], v[109:110]
	v_fma_f64 v[103:104], v[99:100], v[97:98], -v[103:104]
	v_mul_f64 v[99:100], v[99:100], v[109:110]
	v_fma_f64 v[99:100], v[101:102], v[97:98], v[99:100]
	s_waitcnt vmcnt(2)
	v_add_f64 v[41:42], v[41:42], -v[103:104]
	s_waitcnt vmcnt(0)
	v_add_f64 v[43:44], v[43:44], -v[99:100]
	buffer_store_dword v41, off, s[20:23], 0 ; 4-byte Folded Spill
	s_nop 0
	buffer_store_dword v42, off, s[20:23], 0 offset:4 ; 4-byte Folded Spill
	buffer_store_dword v43, off, s[20:23], 0 offset:8 ; 4-byte Folded Spill
	;; [unrolled: 1-line block ×3, first 2 shown]
	ds_read2_b64 v[99:102], v125 offset0:90 offset1:91
	s_waitcnt lgkmcnt(0)
	v_mul_f64 v[103:104], v[101:102], v[109:110]
	v_fma_f64 v[103:104], v[99:100], v[97:98], -v[103:104]
	v_mul_f64 v[99:100], v[99:100], v[109:110]
	v_add_f64 v[37:38], v[37:38], -v[103:104]
	v_fma_f64 v[99:100], v[101:102], v[97:98], v[99:100]
	v_add_f64 v[39:40], v[39:40], -v[99:100]
	ds_read2_b64 v[99:102], v125 offset0:92 offset1:93
	s_waitcnt lgkmcnt(0)
	v_mul_f64 v[103:104], v[101:102], v[109:110]
	v_fma_f64 v[103:104], v[99:100], v[97:98], -v[103:104]
	v_mul_f64 v[99:100], v[99:100], v[109:110]
	v_add_f64 v[33:34], v[33:34], -v[103:104]
	v_fma_f64 v[99:100], v[101:102], v[97:98], v[99:100]
	v_add_f64 v[35:36], v[35:36], -v[99:100]
	;; [unrolled: 8-line block ×10, first 2 shown]
	ds_read2_b64 v[99:102], v125 offset0:110 offset1:111
	s_waitcnt lgkmcnt(0)
	v_mul_f64 v[103:104], v[101:102], v[109:110]
	v_fma_f64 v[103:104], v[99:100], v[97:98], -v[103:104]
	v_mul_f64 v[99:100], v[99:100], v[109:110]
	buffer_store_dword v107, off, s[20:23], 0 offset:368 ; 4-byte Folded Spill
	s_nop 0
	buffer_store_dword v108, off, s[20:23], 0 offset:372 ; 4-byte Folded Spill
	buffer_store_dword v109, off, s[20:23], 0 offset:376 ; 4-byte Folded Spill
	;; [unrolled: 1-line block ×3, first 2 shown]
	v_add_f64 v[121:122], v[121:122], -v[103:104]
	v_fma_f64 v[99:100], v[101:102], v[97:98], v[99:100]
	v_add_f64 v[123:124], v[123:124], -v[99:100]
.LBB111_190:
	s_or_b64 exec, exec, s[2:3]
	v_cmp_eq_u32_e32 vcc, 21, v0
	s_waitcnt vmcnt(0)
	s_barrier
	s_and_saveexec_b64 s[4:5], vcc
	s_cbranch_execz .LBB111_197
; %bb.191:
	buffer_load_dword v95, off, s[20:23], 0 offset:352 ; 4-byte Folded Reload
	buffer_load_dword v96, off, s[20:23], 0 offset:356 ; 4-byte Folded Reload
	buffer_load_dword v97, off, s[20:23], 0 offset:360 ; 4-byte Folded Reload
	buffer_load_dword v98, off, s[20:23], 0 offset:364 ; 4-byte Folded Reload
	s_waitcnt vmcnt(0)
	ds_write2_b64 v127, v[95:96], v[97:98] offset1:1
	buffer_load_dword v95, off, s[20:23], 0 offset:336 ; 4-byte Folded Reload
	buffer_load_dword v96, off, s[20:23], 0 offset:340 ; 4-byte Folded Reload
	buffer_load_dword v97, off, s[20:23], 0 offset:344 ; 4-byte Folded Reload
	buffer_load_dword v98, off, s[20:23], 0 offset:348 ; 4-byte Folded Reload
	s_waitcnt vmcnt(0)
	ds_write2_b64 v125, v[95:96], v[97:98] offset0:44 offset1:45
	buffer_load_dword v95, off, s[20:23], 0 offset:320 ; 4-byte Folded Reload
	buffer_load_dword v96, off, s[20:23], 0 offset:324 ; 4-byte Folded Reload
	buffer_load_dword v97, off, s[20:23], 0 offset:328 ; 4-byte Folded Reload
	buffer_load_dword v98, off, s[20:23], 0 offset:332 ; 4-byte Folded Reload
	s_waitcnt vmcnt(0)
	ds_write2_b64 v125, v[95:96], v[97:98] offset0:46 offset1:47
	;; [unrolled: 6-line block ×11, first 2 shown]
	ds_write2_b64 v125, v[91:92], v[93:94] offset0:66 offset1:67
	buffer_load_dword v77, off, s[20:23], 0 offset:160 ; 4-byte Folded Reload
	buffer_load_dword v78, off, s[20:23], 0 offset:164 ; 4-byte Folded Reload
	buffer_load_dword v79, off, s[20:23], 0 offset:168 ; 4-byte Folded Reload
	buffer_load_dword v80, off, s[20:23], 0 offset:172 ; 4-byte Folded Reload
	s_waitcnt vmcnt(0)
	ds_write2_b64 v125, v[77:78], v[79:80] offset0:68 offset1:69
	buffer_load_dword v77, off, s[20:23], 0 offset:144 ; 4-byte Folded Reload
	buffer_load_dword v78, off, s[20:23], 0 offset:148 ; 4-byte Folded Reload
	buffer_load_dword v79, off, s[20:23], 0 offset:152 ; 4-byte Folded Reload
	buffer_load_dword v80, off, s[20:23], 0 offset:156 ; 4-byte Folded Reload
	s_waitcnt vmcnt(0)
	;; [unrolled: 6-line block ×10, first 2 shown]
	ds_write2_b64 v125, v[45:46], v[47:48] offset0:86 offset1:87
	buffer_load_dword v41, off, s[20:23], 0 ; 4-byte Folded Reload
	buffer_load_dword v42, off, s[20:23], 0 offset:4 ; 4-byte Folded Reload
	buffer_load_dword v43, off, s[20:23], 0 offset:8 ; 4-byte Folded Reload
	;; [unrolled: 1-line block ×3, first 2 shown]
	s_waitcnt vmcnt(0)
	ds_write2_b64 v125, v[41:42], v[43:44] offset0:88 offset1:89
	ds_write2_b64 v125, v[37:38], v[39:40] offset0:90 offset1:91
	;; [unrolled: 1-line block ×12, first 2 shown]
	ds_read2_b64 v[97:100], v127 offset1:1
	s_waitcnt lgkmcnt(0)
	v_cmp_neq_f64_e32 vcc, 0, v[97:98]
	v_cmp_neq_f64_e64 s[2:3], 0, v[99:100]
	s_or_b64 s[2:3], vcc, s[2:3]
	s_and_b64 exec, exec, s[2:3]
	s_cbranch_execz .LBB111_197
; %bb.192:
	v_cmp_ngt_f64_e64 s[2:3], |v[97:98]|, |v[99:100]|
                                        ; implicit-def: $vgpr101_vgpr102
	s_and_saveexec_b64 s[6:7], s[2:3]
	s_xor_b64 s[2:3], exec, s[6:7]
                                        ; implicit-def: $vgpr103_vgpr104
	s_cbranch_execz .LBB111_194
; %bb.193:
	v_div_scale_f64 v[101:102], s[6:7], v[99:100], v[99:100], v[97:98]
	v_rcp_f64_e32 v[103:104], v[101:102]
	v_fma_f64 v[105:106], -v[101:102], v[103:104], 1.0
	v_fma_f64 v[103:104], v[103:104], v[105:106], v[103:104]
	v_div_scale_f64 v[105:106], vcc, v[97:98], v[99:100], v[97:98]
	v_fma_f64 v[107:108], -v[101:102], v[103:104], 1.0
	v_fma_f64 v[103:104], v[103:104], v[107:108], v[103:104]
	v_mul_f64 v[107:108], v[105:106], v[103:104]
	v_fma_f64 v[101:102], -v[101:102], v[107:108], v[105:106]
	v_div_fmas_f64 v[101:102], v[101:102], v[103:104], v[107:108]
	v_div_fixup_f64 v[101:102], v[101:102], v[99:100], v[97:98]
	v_fma_f64 v[97:98], v[97:98], v[101:102], v[99:100]
	v_div_scale_f64 v[99:100], s[6:7], v[97:98], v[97:98], 1.0
	v_div_scale_f64 v[107:108], vcc, 1.0, v[97:98], 1.0
	v_rcp_f64_e32 v[103:104], v[99:100]
	v_fma_f64 v[105:106], -v[99:100], v[103:104], 1.0
	v_fma_f64 v[103:104], v[103:104], v[105:106], v[103:104]
	v_fma_f64 v[105:106], -v[99:100], v[103:104], 1.0
	v_fma_f64 v[103:104], v[103:104], v[105:106], v[103:104]
	v_mul_f64 v[105:106], v[107:108], v[103:104]
	v_fma_f64 v[99:100], -v[99:100], v[105:106], v[107:108]
	v_div_fmas_f64 v[99:100], v[99:100], v[103:104], v[105:106]
	v_div_fixup_f64 v[103:104], v[99:100], v[97:98], 1.0
                                        ; implicit-def: $vgpr97_vgpr98
	v_mul_f64 v[101:102], v[101:102], v[103:104]
	v_xor_b32_e32 v104, 0x80000000, v104
.LBB111_194:
	s_andn2_saveexec_b64 s[2:3], s[2:3]
	s_cbranch_execz .LBB111_196
; %bb.195:
	v_div_scale_f64 v[101:102], s[6:7], v[97:98], v[97:98], v[99:100]
	v_rcp_f64_e32 v[103:104], v[101:102]
	v_fma_f64 v[105:106], -v[101:102], v[103:104], 1.0
	v_fma_f64 v[103:104], v[103:104], v[105:106], v[103:104]
	v_div_scale_f64 v[105:106], vcc, v[99:100], v[97:98], v[99:100]
	v_fma_f64 v[107:108], -v[101:102], v[103:104], 1.0
	v_fma_f64 v[103:104], v[103:104], v[107:108], v[103:104]
	v_mul_f64 v[107:108], v[105:106], v[103:104]
	v_fma_f64 v[101:102], -v[101:102], v[107:108], v[105:106]
	v_div_fmas_f64 v[101:102], v[101:102], v[103:104], v[107:108]
	v_div_fixup_f64 v[103:104], v[101:102], v[97:98], v[99:100]
	v_fma_f64 v[97:98], v[99:100], v[103:104], v[97:98]
	v_div_scale_f64 v[99:100], s[6:7], v[97:98], v[97:98], 1.0
	v_div_scale_f64 v[107:108], vcc, 1.0, v[97:98], 1.0
	v_rcp_f64_e32 v[101:102], v[99:100]
	v_fma_f64 v[105:106], -v[99:100], v[101:102], 1.0
	v_fma_f64 v[101:102], v[101:102], v[105:106], v[101:102]
	v_fma_f64 v[105:106], -v[99:100], v[101:102], 1.0
	v_fma_f64 v[101:102], v[101:102], v[105:106], v[101:102]
	v_mul_f64 v[105:106], v[107:108], v[101:102]
	v_fma_f64 v[99:100], -v[99:100], v[105:106], v[107:108]
	v_div_fmas_f64 v[99:100], v[99:100], v[101:102], v[105:106]
	v_div_fixup_f64 v[101:102], v[99:100], v[97:98], 1.0
	v_mul_f64 v[103:104], v[103:104], -v[101:102]
.LBB111_196:
	s_or_b64 exec, exec, s[2:3]
	ds_write2_b64 v127, v[101:102], v[103:104] offset1:1
.LBB111_197:
	s_or_b64 exec, exec, s[4:5]
	s_waitcnt lgkmcnt(0)
	s_barrier
	ds_read2_b64 v[87:90], v127 offset1:1
	v_cmp_lt_u32_e32 vcc, 21, v0
	s_waitcnt lgkmcnt(0)
	buffer_store_dword v87, off, s[20:23], 0 offset:1480 ; 4-byte Folded Spill
	s_nop 0
	buffer_store_dword v88, off, s[20:23], 0 offset:1484 ; 4-byte Folded Spill
	buffer_store_dword v89, off, s[20:23], 0 offset:1488 ; 4-byte Folded Spill
	;; [unrolled: 1-line block ×3, first 2 shown]
	s_and_saveexec_b64 s[2:3], vcc
	s_cbranch_execz .LBB111_199
; %bb.198:
	buffer_load_dword v107, off, s[20:23], 0 offset:352 ; 4-byte Folded Reload
	buffer_load_dword v108, off, s[20:23], 0 offset:356 ; 4-byte Folded Reload
	;; [unrolled: 1-line block ×8, first 2 shown]
	s_waitcnt vmcnt(2)
	v_mul_f64 v[99:100], v[87:88], v[109:110]
	s_waitcnt vmcnt(0)
	v_mul_f64 v[97:98], v[89:90], v[109:110]
	v_fma_f64 v[109:110], v[89:90], v[107:108], v[99:100]
	ds_read2_b64 v[99:102], v125 offset0:44 offset1:45
	v_fma_f64 v[97:98], v[87:88], v[107:108], -v[97:98]
	buffer_load_dword v105, off, s[20:23], 0 offset:336 ; 4-byte Folded Reload
	buffer_load_dword v106, off, s[20:23], 0 offset:340 ; 4-byte Folded Reload
	buffer_load_dword v107, off, s[20:23], 0 offset:344 ; 4-byte Folded Reload
	buffer_load_dword v108, off, s[20:23], 0 offset:348 ; 4-byte Folded Reload
	s_waitcnt lgkmcnt(0)
	v_mul_f64 v[103:104], v[101:102], v[109:110]
	v_fma_f64 v[103:104], v[99:100], v[97:98], -v[103:104]
	v_mul_f64 v[99:100], v[99:100], v[109:110]
	v_fma_f64 v[99:100], v[101:102], v[97:98], v[99:100]
	s_waitcnt vmcnt(2)
	v_add_f64 v[105:106], v[105:106], -v[103:104]
	s_waitcnt vmcnt(0)
	v_add_f64 v[107:108], v[107:108], -v[99:100]
	buffer_store_dword v105, off, s[20:23], 0 offset:336 ; 4-byte Folded Spill
	s_nop 0
	buffer_store_dword v106, off, s[20:23], 0 offset:340 ; 4-byte Folded Spill
	buffer_store_dword v107, off, s[20:23], 0 offset:344 ; 4-byte Folded Spill
	buffer_store_dword v108, off, s[20:23], 0 offset:348 ; 4-byte Folded Spill
	ds_read2_b64 v[99:102], v125 offset0:46 offset1:47
	buffer_load_dword v105, off, s[20:23], 0 offset:320 ; 4-byte Folded Reload
	buffer_load_dword v106, off, s[20:23], 0 offset:324 ; 4-byte Folded Reload
	buffer_load_dword v107, off, s[20:23], 0 offset:328 ; 4-byte Folded Reload
	buffer_load_dword v108, off, s[20:23], 0 offset:332 ; 4-byte Folded Reload
	s_waitcnt lgkmcnt(0)
	v_mul_f64 v[103:104], v[101:102], v[109:110]
	v_fma_f64 v[103:104], v[99:100], v[97:98], -v[103:104]
	v_mul_f64 v[99:100], v[99:100], v[109:110]
	v_fma_f64 v[99:100], v[101:102], v[97:98], v[99:100]
	s_waitcnt vmcnt(2)
	v_add_f64 v[105:106], v[105:106], -v[103:104]
	s_waitcnt vmcnt(0)
	v_add_f64 v[107:108], v[107:108], -v[99:100]
	buffer_store_dword v105, off, s[20:23], 0 offset:320 ; 4-byte Folded Spill
	s_nop 0
	buffer_store_dword v106, off, s[20:23], 0 offset:324 ; 4-byte Folded Spill
	buffer_store_dword v107, off, s[20:23], 0 offset:328 ; 4-byte Folded Spill
	buffer_store_dword v108, off, s[20:23], 0 offset:332 ; 4-byte Folded Spill
	ds_read2_b64 v[99:102], v125 offset0:48 offset1:49
	;; [unrolled: 19-line block ×11, first 2 shown]
	v_mov_b32_e32 v108, v98
	v_mov_b32_e32 v107, v97
	s_waitcnt lgkmcnt(0)
	v_mul_f64 v[103:104], v[101:102], v[109:110]
	v_fma_f64 v[103:104], v[99:100], v[97:98], -v[103:104]
	v_mul_f64 v[99:100], v[99:100], v[109:110]
	v_add_f64 v[91:92], v[91:92], -v[103:104]
	v_fma_f64 v[99:100], v[101:102], v[97:98], v[99:100]
	v_add_f64 v[93:94], v[93:94], -v[99:100]
	ds_read2_b64 v[99:102], v125 offset0:68 offset1:69
	buffer_load_dword v77, off, s[20:23], 0 offset:160 ; 4-byte Folded Reload
	buffer_load_dword v78, off, s[20:23], 0 offset:164 ; 4-byte Folded Reload
	buffer_load_dword v79, off, s[20:23], 0 offset:168 ; 4-byte Folded Reload
	buffer_load_dword v80, off, s[20:23], 0 offset:172 ; 4-byte Folded Reload
	s_waitcnt lgkmcnt(0)
	v_mul_f64 v[103:104], v[101:102], v[109:110]
	v_fma_f64 v[103:104], v[99:100], v[97:98], -v[103:104]
	v_mul_f64 v[99:100], v[99:100], v[109:110]
	v_fma_f64 v[99:100], v[101:102], v[97:98], v[99:100]
	s_waitcnt vmcnt(2)
	v_add_f64 v[77:78], v[77:78], -v[103:104]
	s_waitcnt vmcnt(0)
	v_add_f64 v[79:80], v[79:80], -v[99:100]
	buffer_store_dword v77, off, s[20:23], 0 offset:160 ; 4-byte Folded Spill
	s_nop 0
	buffer_store_dword v78, off, s[20:23], 0 offset:164 ; 4-byte Folded Spill
	buffer_store_dword v79, off, s[20:23], 0 offset:168 ; 4-byte Folded Spill
	buffer_store_dword v80, off, s[20:23], 0 offset:172 ; 4-byte Folded Spill
	ds_read2_b64 v[99:102], v125 offset0:70 offset1:71
	buffer_load_dword v77, off, s[20:23], 0 offset:144 ; 4-byte Folded Reload
	buffer_load_dword v78, off, s[20:23], 0 offset:148 ; 4-byte Folded Reload
	buffer_load_dword v79, off, s[20:23], 0 offset:152 ; 4-byte Folded Reload
	buffer_load_dword v80, off, s[20:23], 0 offset:156 ; 4-byte Folded Reload
	s_waitcnt lgkmcnt(0)
	v_mul_f64 v[103:104], v[101:102], v[109:110]
	v_fma_f64 v[103:104], v[99:100], v[97:98], -v[103:104]
	v_mul_f64 v[99:100], v[99:100], v[109:110]
	v_fma_f64 v[99:100], v[101:102], v[97:98], v[99:100]
	s_waitcnt vmcnt(2)
	v_add_f64 v[77:78], v[77:78], -v[103:104]
	s_waitcnt vmcnt(0)
	v_add_f64 v[79:80], v[79:80], -v[99:100]
	buffer_store_dword v77, off, s[20:23], 0 offset:144 ; 4-byte Folded Spill
	s_nop 0
	buffer_store_dword v78, off, s[20:23], 0 offset:148 ; 4-byte Folded Spill
	buffer_store_dword v79, off, s[20:23], 0 offset:152 ; 4-byte Folded Spill
	buffer_store_dword v80, off, s[20:23], 0 offset:156 ; 4-byte Folded Spill
	;; [unrolled: 19-line block ×10, first 2 shown]
	ds_read2_b64 v[99:102], v125 offset0:88 offset1:89
	buffer_load_dword v41, off, s[20:23], 0 ; 4-byte Folded Reload
	buffer_load_dword v42, off, s[20:23], 0 offset:4 ; 4-byte Folded Reload
	buffer_load_dword v43, off, s[20:23], 0 offset:8 ; 4-byte Folded Reload
	buffer_load_dword v44, off, s[20:23], 0 offset:12 ; 4-byte Folded Reload
	s_waitcnt lgkmcnt(0)
	v_mul_f64 v[103:104], v[101:102], v[109:110]
	v_fma_f64 v[103:104], v[99:100], v[97:98], -v[103:104]
	v_mul_f64 v[99:100], v[99:100], v[109:110]
	v_fma_f64 v[99:100], v[101:102], v[97:98], v[99:100]
	s_waitcnt vmcnt(2)
	v_add_f64 v[41:42], v[41:42], -v[103:104]
	s_waitcnt vmcnt(0)
	v_add_f64 v[43:44], v[43:44], -v[99:100]
	buffer_store_dword v41, off, s[20:23], 0 ; 4-byte Folded Spill
	s_nop 0
	buffer_store_dword v42, off, s[20:23], 0 offset:4 ; 4-byte Folded Spill
	buffer_store_dword v43, off, s[20:23], 0 offset:8 ; 4-byte Folded Spill
	;; [unrolled: 1-line block ×3, first 2 shown]
	ds_read2_b64 v[99:102], v125 offset0:90 offset1:91
	s_waitcnt lgkmcnt(0)
	v_mul_f64 v[103:104], v[101:102], v[109:110]
	v_fma_f64 v[103:104], v[99:100], v[97:98], -v[103:104]
	v_mul_f64 v[99:100], v[99:100], v[109:110]
	v_add_f64 v[37:38], v[37:38], -v[103:104]
	v_fma_f64 v[99:100], v[101:102], v[97:98], v[99:100]
	v_add_f64 v[39:40], v[39:40], -v[99:100]
	ds_read2_b64 v[99:102], v125 offset0:92 offset1:93
	s_waitcnt lgkmcnt(0)
	v_mul_f64 v[103:104], v[101:102], v[109:110]
	v_fma_f64 v[103:104], v[99:100], v[97:98], -v[103:104]
	v_mul_f64 v[99:100], v[99:100], v[109:110]
	v_add_f64 v[33:34], v[33:34], -v[103:104]
	v_fma_f64 v[99:100], v[101:102], v[97:98], v[99:100]
	v_add_f64 v[35:36], v[35:36], -v[99:100]
	;; [unrolled: 8-line block ×10, first 2 shown]
	ds_read2_b64 v[99:102], v125 offset0:110 offset1:111
	s_waitcnt lgkmcnt(0)
	v_mul_f64 v[103:104], v[101:102], v[109:110]
	v_fma_f64 v[103:104], v[99:100], v[97:98], -v[103:104]
	v_mul_f64 v[99:100], v[99:100], v[109:110]
	buffer_store_dword v107, off, s[20:23], 0 offset:352 ; 4-byte Folded Spill
	s_nop 0
	buffer_store_dword v108, off, s[20:23], 0 offset:356 ; 4-byte Folded Spill
	buffer_store_dword v109, off, s[20:23], 0 offset:360 ; 4-byte Folded Spill
	;; [unrolled: 1-line block ×3, first 2 shown]
	v_add_f64 v[121:122], v[121:122], -v[103:104]
	v_fma_f64 v[99:100], v[101:102], v[97:98], v[99:100]
	v_add_f64 v[123:124], v[123:124], -v[99:100]
.LBB111_199:
	s_or_b64 exec, exec, s[2:3]
	v_cmp_eq_u32_e32 vcc, 22, v0
	s_waitcnt vmcnt(0)
	s_barrier
	s_and_saveexec_b64 s[4:5], vcc
	s_cbranch_execz .LBB111_206
; %bb.200:
	buffer_load_dword v95, off, s[20:23], 0 offset:336 ; 4-byte Folded Reload
	buffer_load_dword v96, off, s[20:23], 0 offset:340 ; 4-byte Folded Reload
	;; [unrolled: 1-line block ×4, first 2 shown]
	s_waitcnt vmcnt(0)
	ds_write2_b64 v127, v[95:96], v[97:98] offset1:1
	buffer_load_dword v95, off, s[20:23], 0 offset:320 ; 4-byte Folded Reload
	buffer_load_dword v96, off, s[20:23], 0 offset:324 ; 4-byte Folded Reload
	buffer_load_dword v97, off, s[20:23], 0 offset:328 ; 4-byte Folded Reload
	buffer_load_dword v98, off, s[20:23], 0 offset:332 ; 4-byte Folded Reload
	s_waitcnt vmcnt(0)
	ds_write2_b64 v125, v[95:96], v[97:98] offset0:46 offset1:47
	buffer_load_dword v95, off, s[20:23], 0 offset:304 ; 4-byte Folded Reload
	buffer_load_dword v96, off, s[20:23], 0 offset:308 ; 4-byte Folded Reload
	buffer_load_dword v97, off, s[20:23], 0 offset:312 ; 4-byte Folded Reload
	buffer_load_dword v98, off, s[20:23], 0 offset:316 ; 4-byte Folded Reload
	s_waitcnt vmcnt(0)
	ds_write2_b64 v125, v[95:96], v[97:98] offset0:48 offset1:49
	;; [unrolled: 6-line block ×10, first 2 shown]
	ds_write2_b64 v125, v[91:92], v[93:94] offset0:66 offset1:67
	buffer_load_dword v77, off, s[20:23], 0 offset:160 ; 4-byte Folded Reload
	buffer_load_dword v78, off, s[20:23], 0 offset:164 ; 4-byte Folded Reload
	buffer_load_dword v79, off, s[20:23], 0 offset:168 ; 4-byte Folded Reload
	buffer_load_dword v80, off, s[20:23], 0 offset:172 ; 4-byte Folded Reload
	s_waitcnt vmcnt(0)
	ds_write2_b64 v125, v[77:78], v[79:80] offset0:68 offset1:69
	buffer_load_dword v77, off, s[20:23], 0 offset:144 ; 4-byte Folded Reload
	buffer_load_dword v78, off, s[20:23], 0 offset:148 ; 4-byte Folded Reload
	buffer_load_dword v79, off, s[20:23], 0 offset:152 ; 4-byte Folded Reload
	buffer_load_dword v80, off, s[20:23], 0 offset:156 ; 4-byte Folded Reload
	s_waitcnt vmcnt(0)
	;; [unrolled: 6-line block ×10, first 2 shown]
	ds_write2_b64 v125, v[45:46], v[47:48] offset0:86 offset1:87
	buffer_load_dword v41, off, s[20:23], 0 ; 4-byte Folded Reload
	buffer_load_dword v42, off, s[20:23], 0 offset:4 ; 4-byte Folded Reload
	buffer_load_dword v43, off, s[20:23], 0 offset:8 ; 4-byte Folded Reload
	;; [unrolled: 1-line block ×3, first 2 shown]
	s_waitcnt vmcnt(0)
	ds_write2_b64 v125, v[41:42], v[43:44] offset0:88 offset1:89
	ds_write2_b64 v125, v[37:38], v[39:40] offset0:90 offset1:91
	;; [unrolled: 1-line block ×12, first 2 shown]
	ds_read2_b64 v[97:100], v127 offset1:1
	s_waitcnt lgkmcnt(0)
	v_cmp_neq_f64_e32 vcc, 0, v[97:98]
	v_cmp_neq_f64_e64 s[2:3], 0, v[99:100]
	s_or_b64 s[2:3], vcc, s[2:3]
	s_and_b64 exec, exec, s[2:3]
	s_cbranch_execz .LBB111_206
; %bb.201:
	v_cmp_ngt_f64_e64 s[2:3], |v[97:98]|, |v[99:100]|
                                        ; implicit-def: $vgpr101_vgpr102
	s_and_saveexec_b64 s[6:7], s[2:3]
	s_xor_b64 s[2:3], exec, s[6:7]
                                        ; implicit-def: $vgpr103_vgpr104
	s_cbranch_execz .LBB111_203
; %bb.202:
	v_div_scale_f64 v[101:102], s[6:7], v[99:100], v[99:100], v[97:98]
	v_rcp_f64_e32 v[103:104], v[101:102]
	v_fma_f64 v[105:106], -v[101:102], v[103:104], 1.0
	v_fma_f64 v[103:104], v[103:104], v[105:106], v[103:104]
	v_div_scale_f64 v[105:106], vcc, v[97:98], v[99:100], v[97:98]
	v_fma_f64 v[107:108], -v[101:102], v[103:104], 1.0
	v_fma_f64 v[103:104], v[103:104], v[107:108], v[103:104]
	v_mul_f64 v[107:108], v[105:106], v[103:104]
	v_fma_f64 v[101:102], -v[101:102], v[107:108], v[105:106]
	v_div_fmas_f64 v[101:102], v[101:102], v[103:104], v[107:108]
	v_div_fixup_f64 v[101:102], v[101:102], v[99:100], v[97:98]
	v_fma_f64 v[97:98], v[97:98], v[101:102], v[99:100]
	v_div_scale_f64 v[99:100], s[6:7], v[97:98], v[97:98], 1.0
	v_div_scale_f64 v[107:108], vcc, 1.0, v[97:98], 1.0
	v_rcp_f64_e32 v[103:104], v[99:100]
	v_fma_f64 v[105:106], -v[99:100], v[103:104], 1.0
	v_fma_f64 v[103:104], v[103:104], v[105:106], v[103:104]
	v_fma_f64 v[105:106], -v[99:100], v[103:104], 1.0
	v_fma_f64 v[103:104], v[103:104], v[105:106], v[103:104]
	v_mul_f64 v[105:106], v[107:108], v[103:104]
	v_fma_f64 v[99:100], -v[99:100], v[105:106], v[107:108]
	v_div_fmas_f64 v[99:100], v[99:100], v[103:104], v[105:106]
	v_div_fixup_f64 v[103:104], v[99:100], v[97:98], 1.0
                                        ; implicit-def: $vgpr97_vgpr98
	v_mul_f64 v[101:102], v[101:102], v[103:104]
	v_xor_b32_e32 v104, 0x80000000, v104
.LBB111_203:
	s_andn2_saveexec_b64 s[2:3], s[2:3]
	s_cbranch_execz .LBB111_205
; %bb.204:
	v_div_scale_f64 v[101:102], s[6:7], v[97:98], v[97:98], v[99:100]
	v_rcp_f64_e32 v[103:104], v[101:102]
	v_fma_f64 v[105:106], -v[101:102], v[103:104], 1.0
	v_fma_f64 v[103:104], v[103:104], v[105:106], v[103:104]
	v_div_scale_f64 v[105:106], vcc, v[99:100], v[97:98], v[99:100]
	v_fma_f64 v[107:108], -v[101:102], v[103:104], 1.0
	v_fma_f64 v[103:104], v[103:104], v[107:108], v[103:104]
	v_mul_f64 v[107:108], v[105:106], v[103:104]
	v_fma_f64 v[101:102], -v[101:102], v[107:108], v[105:106]
	v_div_fmas_f64 v[101:102], v[101:102], v[103:104], v[107:108]
	v_div_fixup_f64 v[103:104], v[101:102], v[97:98], v[99:100]
	v_fma_f64 v[97:98], v[99:100], v[103:104], v[97:98]
	v_div_scale_f64 v[99:100], s[6:7], v[97:98], v[97:98], 1.0
	v_div_scale_f64 v[107:108], vcc, 1.0, v[97:98], 1.0
	v_rcp_f64_e32 v[101:102], v[99:100]
	v_fma_f64 v[105:106], -v[99:100], v[101:102], 1.0
	v_fma_f64 v[101:102], v[101:102], v[105:106], v[101:102]
	v_fma_f64 v[105:106], -v[99:100], v[101:102], 1.0
	v_fma_f64 v[101:102], v[101:102], v[105:106], v[101:102]
	v_mul_f64 v[105:106], v[107:108], v[101:102]
	v_fma_f64 v[99:100], -v[99:100], v[105:106], v[107:108]
	v_div_fmas_f64 v[99:100], v[99:100], v[101:102], v[105:106]
	v_div_fixup_f64 v[101:102], v[99:100], v[97:98], 1.0
	v_mul_f64 v[103:104], v[103:104], -v[101:102]
.LBB111_205:
	s_or_b64 exec, exec, s[2:3]
	ds_write2_b64 v127, v[101:102], v[103:104] offset1:1
.LBB111_206:
	s_or_b64 exec, exec, s[4:5]
	s_waitcnt lgkmcnt(0)
	s_barrier
	ds_read2_b64 v[87:90], v127 offset1:1
	v_cmp_lt_u32_e32 vcc, 22, v0
	s_waitcnt lgkmcnt(0)
	buffer_store_dword v87, off, s[20:23], 0 offset:1496 ; 4-byte Folded Spill
	s_nop 0
	buffer_store_dword v88, off, s[20:23], 0 offset:1500 ; 4-byte Folded Spill
	buffer_store_dword v89, off, s[20:23], 0 offset:1504 ; 4-byte Folded Spill
	;; [unrolled: 1-line block ×3, first 2 shown]
	s_and_saveexec_b64 s[2:3], vcc
	s_cbranch_execz .LBB111_208
; %bb.207:
	buffer_load_dword v107, off, s[20:23], 0 offset:336 ; 4-byte Folded Reload
	buffer_load_dword v108, off, s[20:23], 0 offset:340 ; 4-byte Folded Reload
	;; [unrolled: 1-line block ×8, first 2 shown]
	s_waitcnt vmcnt(2)
	v_mul_f64 v[99:100], v[87:88], v[109:110]
	s_waitcnt vmcnt(0)
	v_mul_f64 v[97:98], v[89:90], v[109:110]
	v_fma_f64 v[109:110], v[89:90], v[107:108], v[99:100]
	ds_read2_b64 v[99:102], v125 offset0:46 offset1:47
	v_fma_f64 v[97:98], v[87:88], v[107:108], -v[97:98]
	buffer_load_dword v105, off, s[20:23], 0 offset:320 ; 4-byte Folded Reload
	buffer_load_dword v106, off, s[20:23], 0 offset:324 ; 4-byte Folded Reload
	buffer_load_dword v107, off, s[20:23], 0 offset:328 ; 4-byte Folded Reload
	buffer_load_dword v108, off, s[20:23], 0 offset:332 ; 4-byte Folded Reload
	s_waitcnt lgkmcnt(0)
	v_mul_f64 v[103:104], v[101:102], v[109:110]
	v_fma_f64 v[103:104], v[99:100], v[97:98], -v[103:104]
	v_mul_f64 v[99:100], v[99:100], v[109:110]
	v_fma_f64 v[99:100], v[101:102], v[97:98], v[99:100]
	s_waitcnt vmcnt(2)
	v_add_f64 v[105:106], v[105:106], -v[103:104]
	s_waitcnt vmcnt(0)
	v_add_f64 v[107:108], v[107:108], -v[99:100]
	buffer_store_dword v105, off, s[20:23], 0 offset:320 ; 4-byte Folded Spill
	s_nop 0
	buffer_store_dword v106, off, s[20:23], 0 offset:324 ; 4-byte Folded Spill
	buffer_store_dword v107, off, s[20:23], 0 offset:328 ; 4-byte Folded Spill
	buffer_store_dword v108, off, s[20:23], 0 offset:332 ; 4-byte Folded Spill
	ds_read2_b64 v[99:102], v125 offset0:48 offset1:49
	buffer_load_dword v105, off, s[20:23], 0 offset:304 ; 4-byte Folded Reload
	buffer_load_dword v106, off, s[20:23], 0 offset:308 ; 4-byte Folded Reload
	buffer_load_dword v107, off, s[20:23], 0 offset:312 ; 4-byte Folded Reload
	buffer_load_dword v108, off, s[20:23], 0 offset:316 ; 4-byte Folded Reload
	s_waitcnt lgkmcnt(0)
	v_mul_f64 v[103:104], v[101:102], v[109:110]
	v_fma_f64 v[103:104], v[99:100], v[97:98], -v[103:104]
	v_mul_f64 v[99:100], v[99:100], v[109:110]
	v_fma_f64 v[99:100], v[101:102], v[97:98], v[99:100]
	s_waitcnt vmcnt(2)
	v_add_f64 v[105:106], v[105:106], -v[103:104]
	s_waitcnt vmcnt(0)
	v_add_f64 v[107:108], v[107:108], -v[99:100]
	buffer_store_dword v105, off, s[20:23], 0 offset:304 ; 4-byte Folded Spill
	s_nop 0
	buffer_store_dword v106, off, s[20:23], 0 offset:308 ; 4-byte Folded Spill
	buffer_store_dword v107, off, s[20:23], 0 offset:312 ; 4-byte Folded Spill
	buffer_store_dword v108, off, s[20:23], 0 offset:316 ; 4-byte Folded Spill
	ds_read2_b64 v[99:102], v125 offset0:50 offset1:51
	;; [unrolled: 19-line block ×10, first 2 shown]
	v_mov_b32_e32 v108, v98
	v_mov_b32_e32 v107, v97
	s_waitcnt lgkmcnt(0)
	v_mul_f64 v[103:104], v[101:102], v[109:110]
	v_fma_f64 v[103:104], v[99:100], v[97:98], -v[103:104]
	v_mul_f64 v[99:100], v[99:100], v[109:110]
	v_add_f64 v[91:92], v[91:92], -v[103:104]
	v_fma_f64 v[99:100], v[101:102], v[97:98], v[99:100]
	v_add_f64 v[93:94], v[93:94], -v[99:100]
	ds_read2_b64 v[99:102], v125 offset0:68 offset1:69
	buffer_load_dword v77, off, s[20:23], 0 offset:160 ; 4-byte Folded Reload
	buffer_load_dword v78, off, s[20:23], 0 offset:164 ; 4-byte Folded Reload
	buffer_load_dword v79, off, s[20:23], 0 offset:168 ; 4-byte Folded Reload
	buffer_load_dword v80, off, s[20:23], 0 offset:172 ; 4-byte Folded Reload
	s_waitcnt lgkmcnt(0)
	v_mul_f64 v[103:104], v[101:102], v[109:110]
	v_fma_f64 v[103:104], v[99:100], v[97:98], -v[103:104]
	v_mul_f64 v[99:100], v[99:100], v[109:110]
	v_fma_f64 v[99:100], v[101:102], v[97:98], v[99:100]
	s_waitcnt vmcnt(2)
	v_add_f64 v[77:78], v[77:78], -v[103:104]
	s_waitcnt vmcnt(0)
	v_add_f64 v[79:80], v[79:80], -v[99:100]
	buffer_store_dword v77, off, s[20:23], 0 offset:160 ; 4-byte Folded Spill
	s_nop 0
	buffer_store_dword v78, off, s[20:23], 0 offset:164 ; 4-byte Folded Spill
	buffer_store_dword v79, off, s[20:23], 0 offset:168 ; 4-byte Folded Spill
	buffer_store_dword v80, off, s[20:23], 0 offset:172 ; 4-byte Folded Spill
	ds_read2_b64 v[99:102], v125 offset0:70 offset1:71
	buffer_load_dword v77, off, s[20:23], 0 offset:144 ; 4-byte Folded Reload
	buffer_load_dword v78, off, s[20:23], 0 offset:148 ; 4-byte Folded Reload
	buffer_load_dword v79, off, s[20:23], 0 offset:152 ; 4-byte Folded Reload
	buffer_load_dword v80, off, s[20:23], 0 offset:156 ; 4-byte Folded Reload
	s_waitcnt lgkmcnt(0)
	v_mul_f64 v[103:104], v[101:102], v[109:110]
	v_fma_f64 v[103:104], v[99:100], v[97:98], -v[103:104]
	v_mul_f64 v[99:100], v[99:100], v[109:110]
	v_fma_f64 v[99:100], v[101:102], v[97:98], v[99:100]
	s_waitcnt vmcnt(2)
	v_add_f64 v[77:78], v[77:78], -v[103:104]
	s_waitcnt vmcnt(0)
	v_add_f64 v[79:80], v[79:80], -v[99:100]
	buffer_store_dword v77, off, s[20:23], 0 offset:144 ; 4-byte Folded Spill
	s_nop 0
	buffer_store_dword v78, off, s[20:23], 0 offset:148 ; 4-byte Folded Spill
	buffer_store_dword v79, off, s[20:23], 0 offset:152 ; 4-byte Folded Spill
	buffer_store_dword v80, off, s[20:23], 0 offset:156 ; 4-byte Folded Spill
	;; [unrolled: 19-line block ×10, first 2 shown]
	ds_read2_b64 v[99:102], v125 offset0:88 offset1:89
	buffer_load_dword v41, off, s[20:23], 0 ; 4-byte Folded Reload
	buffer_load_dword v42, off, s[20:23], 0 offset:4 ; 4-byte Folded Reload
	buffer_load_dword v43, off, s[20:23], 0 offset:8 ; 4-byte Folded Reload
	;; [unrolled: 1-line block ×3, first 2 shown]
	s_waitcnt lgkmcnt(0)
	v_mul_f64 v[103:104], v[101:102], v[109:110]
	v_fma_f64 v[103:104], v[99:100], v[97:98], -v[103:104]
	v_mul_f64 v[99:100], v[99:100], v[109:110]
	v_fma_f64 v[99:100], v[101:102], v[97:98], v[99:100]
	s_waitcnt vmcnt(2)
	v_add_f64 v[41:42], v[41:42], -v[103:104]
	s_waitcnt vmcnt(0)
	v_add_f64 v[43:44], v[43:44], -v[99:100]
	buffer_store_dword v41, off, s[20:23], 0 ; 4-byte Folded Spill
	s_nop 0
	buffer_store_dword v42, off, s[20:23], 0 offset:4 ; 4-byte Folded Spill
	buffer_store_dword v43, off, s[20:23], 0 offset:8 ; 4-byte Folded Spill
	;; [unrolled: 1-line block ×3, first 2 shown]
	ds_read2_b64 v[99:102], v125 offset0:90 offset1:91
	s_waitcnt lgkmcnt(0)
	v_mul_f64 v[103:104], v[101:102], v[109:110]
	v_fma_f64 v[103:104], v[99:100], v[97:98], -v[103:104]
	v_mul_f64 v[99:100], v[99:100], v[109:110]
	v_add_f64 v[37:38], v[37:38], -v[103:104]
	v_fma_f64 v[99:100], v[101:102], v[97:98], v[99:100]
	v_add_f64 v[39:40], v[39:40], -v[99:100]
	ds_read2_b64 v[99:102], v125 offset0:92 offset1:93
	s_waitcnt lgkmcnt(0)
	v_mul_f64 v[103:104], v[101:102], v[109:110]
	v_fma_f64 v[103:104], v[99:100], v[97:98], -v[103:104]
	v_mul_f64 v[99:100], v[99:100], v[109:110]
	v_add_f64 v[33:34], v[33:34], -v[103:104]
	v_fma_f64 v[99:100], v[101:102], v[97:98], v[99:100]
	v_add_f64 v[35:36], v[35:36], -v[99:100]
	;; [unrolled: 8-line block ×10, first 2 shown]
	ds_read2_b64 v[99:102], v125 offset0:110 offset1:111
	s_waitcnt lgkmcnt(0)
	v_mul_f64 v[103:104], v[101:102], v[109:110]
	v_fma_f64 v[103:104], v[99:100], v[97:98], -v[103:104]
	v_mul_f64 v[99:100], v[99:100], v[109:110]
	buffer_store_dword v107, off, s[20:23], 0 offset:336 ; 4-byte Folded Spill
	s_nop 0
	buffer_store_dword v108, off, s[20:23], 0 offset:340 ; 4-byte Folded Spill
	buffer_store_dword v109, off, s[20:23], 0 offset:344 ; 4-byte Folded Spill
	buffer_store_dword v110, off, s[20:23], 0 offset:348 ; 4-byte Folded Spill
	v_add_f64 v[121:122], v[121:122], -v[103:104]
	v_fma_f64 v[99:100], v[101:102], v[97:98], v[99:100]
	v_add_f64 v[123:124], v[123:124], -v[99:100]
.LBB111_208:
	s_or_b64 exec, exec, s[2:3]
	v_cmp_eq_u32_e32 vcc, 23, v0
	s_waitcnt vmcnt(0)
	s_barrier
	s_and_saveexec_b64 s[4:5], vcc
	s_cbranch_execz .LBB111_215
; %bb.209:
	buffer_load_dword v95, off, s[20:23], 0 offset:320 ; 4-byte Folded Reload
	buffer_load_dword v96, off, s[20:23], 0 offset:324 ; 4-byte Folded Reload
	;; [unrolled: 1-line block ×4, first 2 shown]
	s_waitcnt vmcnt(0)
	ds_write2_b64 v127, v[95:96], v[97:98] offset1:1
	buffer_load_dword v95, off, s[20:23], 0 offset:304 ; 4-byte Folded Reload
	buffer_load_dword v96, off, s[20:23], 0 offset:308 ; 4-byte Folded Reload
	buffer_load_dword v97, off, s[20:23], 0 offset:312 ; 4-byte Folded Reload
	buffer_load_dword v98, off, s[20:23], 0 offset:316 ; 4-byte Folded Reload
	s_waitcnt vmcnt(0)
	ds_write2_b64 v125, v[95:96], v[97:98] offset0:48 offset1:49
	buffer_load_dword v95, off, s[20:23], 0 offset:288 ; 4-byte Folded Reload
	buffer_load_dword v96, off, s[20:23], 0 offset:292 ; 4-byte Folded Reload
	buffer_load_dword v97, off, s[20:23], 0 offset:296 ; 4-byte Folded Reload
	buffer_load_dword v98, off, s[20:23], 0 offset:300 ; 4-byte Folded Reload
	s_waitcnt vmcnt(0)
	ds_write2_b64 v125, v[95:96], v[97:98] offset0:50 offset1:51
	;; [unrolled: 6-line block ×9, first 2 shown]
	ds_write2_b64 v125, v[91:92], v[93:94] offset0:66 offset1:67
	buffer_load_dword v77, off, s[20:23], 0 offset:160 ; 4-byte Folded Reload
	buffer_load_dword v78, off, s[20:23], 0 offset:164 ; 4-byte Folded Reload
	buffer_load_dword v79, off, s[20:23], 0 offset:168 ; 4-byte Folded Reload
	buffer_load_dword v80, off, s[20:23], 0 offset:172 ; 4-byte Folded Reload
	s_waitcnt vmcnt(0)
	ds_write2_b64 v125, v[77:78], v[79:80] offset0:68 offset1:69
	buffer_load_dword v77, off, s[20:23], 0 offset:144 ; 4-byte Folded Reload
	buffer_load_dword v78, off, s[20:23], 0 offset:148 ; 4-byte Folded Reload
	buffer_load_dword v79, off, s[20:23], 0 offset:152 ; 4-byte Folded Reload
	buffer_load_dword v80, off, s[20:23], 0 offset:156 ; 4-byte Folded Reload
	s_waitcnt vmcnt(0)
	;; [unrolled: 6-line block ×10, first 2 shown]
	ds_write2_b64 v125, v[45:46], v[47:48] offset0:86 offset1:87
	buffer_load_dword v41, off, s[20:23], 0 ; 4-byte Folded Reload
	buffer_load_dword v42, off, s[20:23], 0 offset:4 ; 4-byte Folded Reload
	buffer_load_dword v43, off, s[20:23], 0 offset:8 ; 4-byte Folded Reload
	;; [unrolled: 1-line block ×3, first 2 shown]
	s_waitcnt vmcnt(0)
	ds_write2_b64 v125, v[41:42], v[43:44] offset0:88 offset1:89
	ds_write2_b64 v125, v[37:38], v[39:40] offset0:90 offset1:91
	;; [unrolled: 1-line block ×12, first 2 shown]
	ds_read2_b64 v[97:100], v127 offset1:1
	s_waitcnt lgkmcnt(0)
	v_cmp_neq_f64_e32 vcc, 0, v[97:98]
	v_cmp_neq_f64_e64 s[2:3], 0, v[99:100]
	s_or_b64 s[2:3], vcc, s[2:3]
	s_and_b64 exec, exec, s[2:3]
	s_cbranch_execz .LBB111_215
; %bb.210:
	v_cmp_ngt_f64_e64 s[2:3], |v[97:98]|, |v[99:100]|
                                        ; implicit-def: $vgpr101_vgpr102
	s_and_saveexec_b64 s[6:7], s[2:3]
	s_xor_b64 s[2:3], exec, s[6:7]
                                        ; implicit-def: $vgpr103_vgpr104
	s_cbranch_execz .LBB111_212
; %bb.211:
	v_div_scale_f64 v[101:102], s[6:7], v[99:100], v[99:100], v[97:98]
	v_rcp_f64_e32 v[103:104], v[101:102]
	v_fma_f64 v[105:106], -v[101:102], v[103:104], 1.0
	v_fma_f64 v[103:104], v[103:104], v[105:106], v[103:104]
	v_div_scale_f64 v[105:106], vcc, v[97:98], v[99:100], v[97:98]
	v_fma_f64 v[107:108], -v[101:102], v[103:104], 1.0
	v_fma_f64 v[103:104], v[103:104], v[107:108], v[103:104]
	v_mul_f64 v[107:108], v[105:106], v[103:104]
	v_fma_f64 v[101:102], -v[101:102], v[107:108], v[105:106]
	v_div_fmas_f64 v[101:102], v[101:102], v[103:104], v[107:108]
	v_div_fixup_f64 v[101:102], v[101:102], v[99:100], v[97:98]
	v_fma_f64 v[97:98], v[97:98], v[101:102], v[99:100]
	v_div_scale_f64 v[99:100], s[6:7], v[97:98], v[97:98], 1.0
	v_div_scale_f64 v[107:108], vcc, 1.0, v[97:98], 1.0
	v_rcp_f64_e32 v[103:104], v[99:100]
	v_fma_f64 v[105:106], -v[99:100], v[103:104], 1.0
	v_fma_f64 v[103:104], v[103:104], v[105:106], v[103:104]
	v_fma_f64 v[105:106], -v[99:100], v[103:104], 1.0
	v_fma_f64 v[103:104], v[103:104], v[105:106], v[103:104]
	v_mul_f64 v[105:106], v[107:108], v[103:104]
	v_fma_f64 v[99:100], -v[99:100], v[105:106], v[107:108]
	v_div_fmas_f64 v[99:100], v[99:100], v[103:104], v[105:106]
	v_div_fixup_f64 v[103:104], v[99:100], v[97:98], 1.0
                                        ; implicit-def: $vgpr97_vgpr98
	v_mul_f64 v[101:102], v[101:102], v[103:104]
	v_xor_b32_e32 v104, 0x80000000, v104
.LBB111_212:
	s_andn2_saveexec_b64 s[2:3], s[2:3]
	s_cbranch_execz .LBB111_214
; %bb.213:
	v_div_scale_f64 v[101:102], s[6:7], v[97:98], v[97:98], v[99:100]
	v_rcp_f64_e32 v[103:104], v[101:102]
	v_fma_f64 v[105:106], -v[101:102], v[103:104], 1.0
	v_fma_f64 v[103:104], v[103:104], v[105:106], v[103:104]
	v_div_scale_f64 v[105:106], vcc, v[99:100], v[97:98], v[99:100]
	v_fma_f64 v[107:108], -v[101:102], v[103:104], 1.0
	v_fma_f64 v[103:104], v[103:104], v[107:108], v[103:104]
	v_mul_f64 v[107:108], v[105:106], v[103:104]
	v_fma_f64 v[101:102], -v[101:102], v[107:108], v[105:106]
	v_div_fmas_f64 v[101:102], v[101:102], v[103:104], v[107:108]
	v_div_fixup_f64 v[103:104], v[101:102], v[97:98], v[99:100]
	v_fma_f64 v[97:98], v[99:100], v[103:104], v[97:98]
	v_div_scale_f64 v[99:100], s[6:7], v[97:98], v[97:98], 1.0
	v_div_scale_f64 v[107:108], vcc, 1.0, v[97:98], 1.0
	v_rcp_f64_e32 v[101:102], v[99:100]
	v_fma_f64 v[105:106], -v[99:100], v[101:102], 1.0
	v_fma_f64 v[101:102], v[101:102], v[105:106], v[101:102]
	v_fma_f64 v[105:106], -v[99:100], v[101:102], 1.0
	v_fma_f64 v[101:102], v[101:102], v[105:106], v[101:102]
	v_mul_f64 v[105:106], v[107:108], v[101:102]
	v_fma_f64 v[99:100], -v[99:100], v[105:106], v[107:108]
	v_div_fmas_f64 v[99:100], v[99:100], v[101:102], v[105:106]
	v_div_fixup_f64 v[101:102], v[99:100], v[97:98], 1.0
	v_mul_f64 v[103:104], v[103:104], -v[101:102]
.LBB111_214:
	s_or_b64 exec, exec, s[2:3]
	ds_write2_b64 v127, v[101:102], v[103:104] offset1:1
.LBB111_215:
	s_or_b64 exec, exec, s[4:5]
	s_waitcnt lgkmcnt(0)
	s_barrier
	ds_read2_b64 v[87:90], v127 offset1:1
	v_cmp_lt_u32_e32 vcc, 23, v0
	s_waitcnt lgkmcnt(0)
	buffer_store_dword v87, off, s[20:23], 0 offset:1512 ; 4-byte Folded Spill
	s_nop 0
	buffer_store_dword v88, off, s[20:23], 0 offset:1516 ; 4-byte Folded Spill
	buffer_store_dword v89, off, s[20:23], 0 offset:1520 ; 4-byte Folded Spill
	;; [unrolled: 1-line block ×3, first 2 shown]
	s_and_saveexec_b64 s[2:3], vcc
	s_cbranch_execz .LBB111_217
; %bb.216:
	buffer_load_dword v107, off, s[20:23], 0 offset:320 ; 4-byte Folded Reload
	buffer_load_dword v108, off, s[20:23], 0 offset:324 ; 4-byte Folded Reload
	;; [unrolled: 1-line block ×8, first 2 shown]
	s_waitcnt vmcnt(2)
	v_mul_f64 v[99:100], v[87:88], v[109:110]
	s_waitcnt vmcnt(0)
	v_mul_f64 v[97:98], v[89:90], v[109:110]
	v_fma_f64 v[109:110], v[89:90], v[107:108], v[99:100]
	ds_read2_b64 v[99:102], v125 offset0:48 offset1:49
	v_fma_f64 v[97:98], v[87:88], v[107:108], -v[97:98]
	buffer_load_dword v105, off, s[20:23], 0 offset:304 ; 4-byte Folded Reload
	buffer_load_dword v106, off, s[20:23], 0 offset:308 ; 4-byte Folded Reload
	buffer_load_dword v107, off, s[20:23], 0 offset:312 ; 4-byte Folded Reload
	buffer_load_dword v108, off, s[20:23], 0 offset:316 ; 4-byte Folded Reload
	s_waitcnt lgkmcnt(0)
	v_mul_f64 v[103:104], v[101:102], v[109:110]
	v_fma_f64 v[103:104], v[99:100], v[97:98], -v[103:104]
	v_mul_f64 v[99:100], v[99:100], v[109:110]
	v_fma_f64 v[99:100], v[101:102], v[97:98], v[99:100]
	s_waitcnt vmcnt(2)
	v_add_f64 v[105:106], v[105:106], -v[103:104]
	s_waitcnt vmcnt(0)
	v_add_f64 v[107:108], v[107:108], -v[99:100]
	buffer_store_dword v105, off, s[20:23], 0 offset:304 ; 4-byte Folded Spill
	s_nop 0
	buffer_store_dword v106, off, s[20:23], 0 offset:308 ; 4-byte Folded Spill
	buffer_store_dword v107, off, s[20:23], 0 offset:312 ; 4-byte Folded Spill
	buffer_store_dword v108, off, s[20:23], 0 offset:316 ; 4-byte Folded Spill
	ds_read2_b64 v[99:102], v125 offset0:50 offset1:51
	buffer_load_dword v105, off, s[20:23], 0 offset:288 ; 4-byte Folded Reload
	buffer_load_dword v106, off, s[20:23], 0 offset:292 ; 4-byte Folded Reload
	buffer_load_dword v107, off, s[20:23], 0 offset:296 ; 4-byte Folded Reload
	buffer_load_dword v108, off, s[20:23], 0 offset:300 ; 4-byte Folded Reload
	s_waitcnt lgkmcnt(0)
	v_mul_f64 v[103:104], v[101:102], v[109:110]
	v_fma_f64 v[103:104], v[99:100], v[97:98], -v[103:104]
	v_mul_f64 v[99:100], v[99:100], v[109:110]
	v_fma_f64 v[99:100], v[101:102], v[97:98], v[99:100]
	s_waitcnt vmcnt(2)
	v_add_f64 v[105:106], v[105:106], -v[103:104]
	s_waitcnt vmcnt(0)
	v_add_f64 v[107:108], v[107:108], -v[99:100]
	buffer_store_dword v105, off, s[20:23], 0 offset:288 ; 4-byte Folded Spill
	s_nop 0
	buffer_store_dword v106, off, s[20:23], 0 offset:292 ; 4-byte Folded Spill
	buffer_store_dword v107, off, s[20:23], 0 offset:296 ; 4-byte Folded Spill
	buffer_store_dword v108, off, s[20:23], 0 offset:300 ; 4-byte Folded Spill
	ds_read2_b64 v[99:102], v125 offset0:52 offset1:53
	buffer_load_dword v105, off, s[20:23], 0 offset:272 ; 4-byte Folded Reload
	buffer_load_dword v106, off, s[20:23], 0 offset:276 ; 4-byte Folded Reload
	buffer_load_dword v107, off, s[20:23], 0 offset:280 ; 4-byte Folded Reload
	buffer_load_dword v108, off, s[20:23], 0 offset:284 ; 4-byte Folded Reload
	s_waitcnt lgkmcnt(0)
	v_mul_f64 v[103:104], v[101:102], v[109:110]
	v_fma_f64 v[103:104], v[99:100], v[97:98], -v[103:104]
	v_mul_f64 v[99:100], v[99:100], v[109:110]
	v_fma_f64 v[99:100], v[101:102], v[97:98], v[99:100]
	s_waitcnt vmcnt(2)
	v_add_f64 v[105:106], v[105:106], -v[103:104]
	s_waitcnt vmcnt(0)
	v_add_f64 v[107:108], v[107:108], -v[99:100]
	buffer_store_dword v105, off, s[20:23], 0 offset:272 ; 4-byte Folded Spill
	s_nop 0
	buffer_store_dword v106, off, s[20:23], 0 offset:276 ; 4-byte Folded Spill
	buffer_store_dword v107, off, s[20:23], 0 offset:280 ; 4-byte Folded Spill
	buffer_store_dword v108, off, s[20:23], 0 offset:284 ; 4-byte Folded Spill
	ds_read2_b64 v[99:102], v125 offset0:54 offset1:55
	buffer_load_dword v105, off, s[20:23], 0 offset:256 ; 4-byte Folded Reload
	buffer_load_dword v106, off, s[20:23], 0 offset:260 ; 4-byte Folded Reload
	buffer_load_dword v107, off, s[20:23], 0 offset:264 ; 4-byte Folded Reload
	buffer_load_dword v108, off, s[20:23], 0 offset:268 ; 4-byte Folded Reload
	s_waitcnt lgkmcnt(0)
	v_mul_f64 v[103:104], v[101:102], v[109:110]
	v_fma_f64 v[103:104], v[99:100], v[97:98], -v[103:104]
	v_mul_f64 v[99:100], v[99:100], v[109:110]
	v_fma_f64 v[99:100], v[101:102], v[97:98], v[99:100]
	s_waitcnt vmcnt(2)
	v_add_f64 v[105:106], v[105:106], -v[103:104]
	s_waitcnt vmcnt(0)
	v_add_f64 v[107:108], v[107:108], -v[99:100]
	buffer_store_dword v105, off, s[20:23], 0 offset:256 ; 4-byte Folded Spill
	s_nop 0
	buffer_store_dword v106, off, s[20:23], 0 offset:260 ; 4-byte Folded Spill
	buffer_store_dword v107, off, s[20:23], 0 offset:264 ; 4-byte Folded Spill
	buffer_store_dword v108, off, s[20:23], 0 offset:268 ; 4-byte Folded Spill
	ds_read2_b64 v[99:102], v125 offset0:56 offset1:57
	buffer_load_dword v105, off, s[20:23], 0 offset:240 ; 4-byte Folded Reload
	buffer_load_dword v106, off, s[20:23], 0 offset:244 ; 4-byte Folded Reload
	buffer_load_dword v107, off, s[20:23], 0 offset:248 ; 4-byte Folded Reload
	buffer_load_dword v108, off, s[20:23], 0 offset:252 ; 4-byte Folded Reload
	s_waitcnt lgkmcnt(0)
	v_mul_f64 v[103:104], v[101:102], v[109:110]
	v_fma_f64 v[103:104], v[99:100], v[97:98], -v[103:104]
	v_mul_f64 v[99:100], v[99:100], v[109:110]
	v_fma_f64 v[99:100], v[101:102], v[97:98], v[99:100]
	s_waitcnt vmcnt(2)
	v_add_f64 v[105:106], v[105:106], -v[103:104]
	s_waitcnt vmcnt(0)
	v_add_f64 v[107:108], v[107:108], -v[99:100]
	buffer_store_dword v105, off, s[20:23], 0 offset:240 ; 4-byte Folded Spill
	s_nop 0
	buffer_store_dword v106, off, s[20:23], 0 offset:244 ; 4-byte Folded Spill
	buffer_store_dword v107, off, s[20:23], 0 offset:248 ; 4-byte Folded Spill
	buffer_store_dword v108, off, s[20:23], 0 offset:252 ; 4-byte Folded Spill
	ds_read2_b64 v[99:102], v125 offset0:58 offset1:59
	buffer_load_dword v105, off, s[20:23], 0 offset:224 ; 4-byte Folded Reload
	buffer_load_dword v106, off, s[20:23], 0 offset:228 ; 4-byte Folded Reload
	buffer_load_dword v107, off, s[20:23], 0 offset:232 ; 4-byte Folded Reload
	buffer_load_dword v108, off, s[20:23], 0 offset:236 ; 4-byte Folded Reload
	s_waitcnt lgkmcnt(0)
	v_mul_f64 v[103:104], v[101:102], v[109:110]
	v_fma_f64 v[103:104], v[99:100], v[97:98], -v[103:104]
	v_mul_f64 v[99:100], v[99:100], v[109:110]
	v_fma_f64 v[99:100], v[101:102], v[97:98], v[99:100]
	s_waitcnt vmcnt(2)
	v_add_f64 v[105:106], v[105:106], -v[103:104]
	s_waitcnt vmcnt(0)
	v_add_f64 v[107:108], v[107:108], -v[99:100]
	buffer_store_dword v105, off, s[20:23], 0 offset:224 ; 4-byte Folded Spill
	s_nop 0
	buffer_store_dword v106, off, s[20:23], 0 offset:228 ; 4-byte Folded Spill
	buffer_store_dword v107, off, s[20:23], 0 offset:232 ; 4-byte Folded Spill
	buffer_store_dword v108, off, s[20:23], 0 offset:236 ; 4-byte Folded Spill
	ds_read2_b64 v[99:102], v125 offset0:60 offset1:61
	buffer_load_dword v105, off, s[20:23], 0 offset:208 ; 4-byte Folded Reload
	buffer_load_dword v106, off, s[20:23], 0 offset:212 ; 4-byte Folded Reload
	buffer_load_dword v107, off, s[20:23], 0 offset:216 ; 4-byte Folded Reload
	buffer_load_dword v108, off, s[20:23], 0 offset:220 ; 4-byte Folded Reload
	s_waitcnt lgkmcnt(0)
	v_mul_f64 v[103:104], v[101:102], v[109:110]
	v_fma_f64 v[103:104], v[99:100], v[97:98], -v[103:104]
	v_mul_f64 v[99:100], v[99:100], v[109:110]
	v_fma_f64 v[99:100], v[101:102], v[97:98], v[99:100]
	s_waitcnt vmcnt(2)
	v_add_f64 v[105:106], v[105:106], -v[103:104]
	s_waitcnt vmcnt(0)
	v_add_f64 v[107:108], v[107:108], -v[99:100]
	buffer_store_dword v105, off, s[20:23], 0 offset:208 ; 4-byte Folded Spill
	s_nop 0
	buffer_store_dword v106, off, s[20:23], 0 offset:212 ; 4-byte Folded Spill
	buffer_store_dword v107, off, s[20:23], 0 offset:216 ; 4-byte Folded Spill
	buffer_store_dword v108, off, s[20:23], 0 offset:220 ; 4-byte Folded Spill
	ds_read2_b64 v[99:102], v125 offset0:62 offset1:63
	buffer_load_dword v105, off, s[20:23], 0 offset:192 ; 4-byte Folded Reload
	buffer_load_dword v106, off, s[20:23], 0 offset:196 ; 4-byte Folded Reload
	buffer_load_dword v107, off, s[20:23], 0 offset:200 ; 4-byte Folded Reload
	buffer_load_dword v108, off, s[20:23], 0 offset:204 ; 4-byte Folded Reload
	s_waitcnt lgkmcnt(0)
	v_mul_f64 v[103:104], v[101:102], v[109:110]
	v_fma_f64 v[103:104], v[99:100], v[97:98], -v[103:104]
	v_mul_f64 v[99:100], v[99:100], v[109:110]
	v_fma_f64 v[99:100], v[101:102], v[97:98], v[99:100]
	s_waitcnt vmcnt(2)
	v_add_f64 v[105:106], v[105:106], -v[103:104]
	s_waitcnt vmcnt(0)
	v_add_f64 v[107:108], v[107:108], -v[99:100]
	buffer_store_dword v105, off, s[20:23], 0 offset:192 ; 4-byte Folded Spill
	s_nop 0
	buffer_store_dword v106, off, s[20:23], 0 offset:196 ; 4-byte Folded Spill
	buffer_store_dword v107, off, s[20:23], 0 offset:200 ; 4-byte Folded Spill
	buffer_store_dword v108, off, s[20:23], 0 offset:204 ; 4-byte Folded Spill
	ds_read2_b64 v[99:102], v125 offset0:64 offset1:65
	buffer_load_dword v105, off, s[20:23], 0 offset:176 ; 4-byte Folded Reload
	buffer_load_dword v106, off, s[20:23], 0 offset:180 ; 4-byte Folded Reload
	buffer_load_dword v107, off, s[20:23], 0 offset:184 ; 4-byte Folded Reload
	buffer_load_dword v108, off, s[20:23], 0 offset:188 ; 4-byte Folded Reload
	s_waitcnt lgkmcnt(0)
	v_mul_f64 v[103:104], v[101:102], v[109:110]
	v_fma_f64 v[103:104], v[99:100], v[97:98], -v[103:104]
	v_mul_f64 v[99:100], v[99:100], v[109:110]
	v_fma_f64 v[99:100], v[101:102], v[97:98], v[99:100]
	s_waitcnt vmcnt(2)
	v_add_f64 v[105:106], v[105:106], -v[103:104]
	s_waitcnt vmcnt(0)
	v_add_f64 v[107:108], v[107:108], -v[99:100]
	buffer_store_dword v105, off, s[20:23], 0 offset:176 ; 4-byte Folded Spill
	s_nop 0
	buffer_store_dword v106, off, s[20:23], 0 offset:180 ; 4-byte Folded Spill
	buffer_store_dword v107, off, s[20:23], 0 offset:184 ; 4-byte Folded Spill
	buffer_store_dword v108, off, s[20:23], 0 offset:188 ; 4-byte Folded Spill
	ds_read2_b64 v[99:102], v125 offset0:66 offset1:67
	v_mov_b32_e32 v108, v98
	v_mov_b32_e32 v107, v97
	s_waitcnt lgkmcnt(0)
	v_mul_f64 v[103:104], v[101:102], v[109:110]
	v_fma_f64 v[103:104], v[99:100], v[97:98], -v[103:104]
	v_mul_f64 v[99:100], v[99:100], v[109:110]
	v_add_f64 v[91:92], v[91:92], -v[103:104]
	v_fma_f64 v[99:100], v[101:102], v[97:98], v[99:100]
	v_add_f64 v[93:94], v[93:94], -v[99:100]
	ds_read2_b64 v[99:102], v125 offset0:68 offset1:69
	buffer_load_dword v77, off, s[20:23], 0 offset:160 ; 4-byte Folded Reload
	buffer_load_dword v78, off, s[20:23], 0 offset:164 ; 4-byte Folded Reload
	buffer_load_dword v79, off, s[20:23], 0 offset:168 ; 4-byte Folded Reload
	buffer_load_dword v80, off, s[20:23], 0 offset:172 ; 4-byte Folded Reload
	s_waitcnt lgkmcnt(0)
	v_mul_f64 v[103:104], v[101:102], v[109:110]
	v_fma_f64 v[103:104], v[99:100], v[97:98], -v[103:104]
	v_mul_f64 v[99:100], v[99:100], v[109:110]
	v_fma_f64 v[99:100], v[101:102], v[97:98], v[99:100]
	s_waitcnt vmcnt(2)
	v_add_f64 v[77:78], v[77:78], -v[103:104]
	s_waitcnt vmcnt(0)
	v_add_f64 v[79:80], v[79:80], -v[99:100]
	buffer_store_dword v77, off, s[20:23], 0 offset:160 ; 4-byte Folded Spill
	s_nop 0
	buffer_store_dword v78, off, s[20:23], 0 offset:164 ; 4-byte Folded Spill
	buffer_store_dword v79, off, s[20:23], 0 offset:168 ; 4-byte Folded Spill
	buffer_store_dword v80, off, s[20:23], 0 offset:172 ; 4-byte Folded Spill
	ds_read2_b64 v[99:102], v125 offset0:70 offset1:71
	buffer_load_dword v77, off, s[20:23], 0 offset:144 ; 4-byte Folded Reload
	buffer_load_dword v78, off, s[20:23], 0 offset:148 ; 4-byte Folded Reload
	buffer_load_dword v79, off, s[20:23], 0 offset:152 ; 4-byte Folded Reload
	buffer_load_dword v80, off, s[20:23], 0 offset:156 ; 4-byte Folded Reload
	s_waitcnt lgkmcnt(0)
	v_mul_f64 v[103:104], v[101:102], v[109:110]
	v_fma_f64 v[103:104], v[99:100], v[97:98], -v[103:104]
	v_mul_f64 v[99:100], v[99:100], v[109:110]
	v_fma_f64 v[99:100], v[101:102], v[97:98], v[99:100]
	s_waitcnt vmcnt(2)
	v_add_f64 v[77:78], v[77:78], -v[103:104]
	s_waitcnt vmcnt(0)
	v_add_f64 v[79:80], v[79:80], -v[99:100]
	buffer_store_dword v77, off, s[20:23], 0 offset:144 ; 4-byte Folded Spill
	s_nop 0
	buffer_store_dword v78, off, s[20:23], 0 offset:148 ; 4-byte Folded Spill
	buffer_store_dword v79, off, s[20:23], 0 offset:152 ; 4-byte Folded Spill
	buffer_store_dword v80, off, s[20:23], 0 offset:156 ; 4-byte Folded Spill
	;; [unrolled: 19-line block ×10, first 2 shown]
	ds_read2_b64 v[99:102], v125 offset0:88 offset1:89
	buffer_load_dword v41, off, s[20:23], 0 ; 4-byte Folded Reload
	buffer_load_dword v42, off, s[20:23], 0 offset:4 ; 4-byte Folded Reload
	buffer_load_dword v43, off, s[20:23], 0 offset:8 ; 4-byte Folded Reload
	;; [unrolled: 1-line block ×3, first 2 shown]
	s_waitcnt lgkmcnt(0)
	v_mul_f64 v[103:104], v[101:102], v[109:110]
	v_fma_f64 v[103:104], v[99:100], v[97:98], -v[103:104]
	v_mul_f64 v[99:100], v[99:100], v[109:110]
	v_fma_f64 v[99:100], v[101:102], v[97:98], v[99:100]
	s_waitcnt vmcnt(2)
	v_add_f64 v[41:42], v[41:42], -v[103:104]
	s_waitcnt vmcnt(0)
	v_add_f64 v[43:44], v[43:44], -v[99:100]
	buffer_store_dword v41, off, s[20:23], 0 ; 4-byte Folded Spill
	s_nop 0
	buffer_store_dword v42, off, s[20:23], 0 offset:4 ; 4-byte Folded Spill
	buffer_store_dword v43, off, s[20:23], 0 offset:8 ; 4-byte Folded Spill
	;; [unrolled: 1-line block ×3, first 2 shown]
	ds_read2_b64 v[99:102], v125 offset0:90 offset1:91
	s_waitcnt lgkmcnt(0)
	v_mul_f64 v[103:104], v[101:102], v[109:110]
	v_fma_f64 v[103:104], v[99:100], v[97:98], -v[103:104]
	v_mul_f64 v[99:100], v[99:100], v[109:110]
	v_add_f64 v[37:38], v[37:38], -v[103:104]
	v_fma_f64 v[99:100], v[101:102], v[97:98], v[99:100]
	v_add_f64 v[39:40], v[39:40], -v[99:100]
	ds_read2_b64 v[99:102], v125 offset0:92 offset1:93
	s_waitcnt lgkmcnt(0)
	v_mul_f64 v[103:104], v[101:102], v[109:110]
	v_fma_f64 v[103:104], v[99:100], v[97:98], -v[103:104]
	v_mul_f64 v[99:100], v[99:100], v[109:110]
	v_add_f64 v[33:34], v[33:34], -v[103:104]
	v_fma_f64 v[99:100], v[101:102], v[97:98], v[99:100]
	v_add_f64 v[35:36], v[35:36], -v[99:100]
	;; [unrolled: 8-line block ×10, first 2 shown]
	ds_read2_b64 v[99:102], v125 offset0:110 offset1:111
	s_waitcnt lgkmcnt(0)
	v_mul_f64 v[103:104], v[101:102], v[109:110]
	v_fma_f64 v[103:104], v[99:100], v[97:98], -v[103:104]
	v_mul_f64 v[99:100], v[99:100], v[109:110]
	buffer_store_dword v107, off, s[20:23], 0 offset:320 ; 4-byte Folded Spill
	s_nop 0
	buffer_store_dword v108, off, s[20:23], 0 offset:324 ; 4-byte Folded Spill
	buffer_store_dword v109, off, s[20:23], 0 offset:328 ; 4-byte Folded Spill
	buffer_store_dword v110, off, s[20:23], 0 offset:332 ; 4-byte Folded Spill
	v_add_f64 v[121:122], v[121:122], -v[103:104]
	v_fma_f64 v[99:100], v[101:102], v[97:98], v[99:100]
	v_add_f64 v[123:124], v[123:124], -v[99:100]
.LBB111_217:
	s_or_b64 exec, exec, s[2:3]
	v_cmp_eq_u32_e32 vcc, 24, v0
	s_waitcnt vmcnt(0)
	s_barrier
	s_and_saveexec_b64 s[4:5], vcc
	s_cbranch_execz .LBB111_224
; %bb.218:
	buffer_load_dword v95, off, s[20:23], 0 offset:304 ; 4-byte Folded Reload
	buffer_load_dword v96, off, s[20:23], 0 offset:308 ; 4-byte Folded Reload
	;; [unrolled: 1-line block ×4, first 2 shown]
	s_waitcnt vmcnt(0)
	ds_write2_b64 v127, v[95:96], v[97:98] offset1:1
	buffer_load_dword v95, off, s[20:23], 0 offset:288 ; 4-byte Folded Reload
	buffer_load_dword v96, off, s[20:23], 0 offset:292 ; 4-byte Folded Reload
	buffer_load_dword v97, off, s[20:23], 0 offset:296 ; 4-byte Folded Reload
	buffer_load_dword v98, off, s[20:23], 0 offset:300 ; 4-byte Folded Reload
	s_waitcnt vmcnt(0)
	ds_write2_b64 v125, v[95:96], v[97:98] offset0:50 offset1:51
	buffer_load_dword v95, off, s[20:23], 0 offset:272 ; 4-byte Folded Reload
	buffer_load_dword v96, off, s[20:23], 0 offset:276 ; 4-byte Folded Reload
	buffer_load_dword v97, off, s[20:23], 0 offset:280 ; 4-byte Folded Reload
	buffer_load_dword v98, off, s[20:23], 0 offset:284 ; 4-byte Folded Reload
	s_waitcnt vmcnt(0)
	ds_write2_b64 v125, v[95:96], v[97:98] offset0:52 offset1:53
	;; [unrolled: 6-line block ×8, first 2 shown]
	ds_write2_b64 v125, v[91:92], v[93:94] offset0:66 offset1:67
	buffer_load_dword v77, off, s[20:23], 0 offset:160 ; 4-byte Folded Reload
	buffer_load_dword v78, off, s[20:23], 0 offset:164 ; 4-byte Folded Reload
	buffer_load_dword v79, off, s[20:23], 0 offset:168 ; 4-byte Folded Reload
	buffer_load_dword v80, off, s[20:23], 0 offset:172 ; 4-byte Folded Reload
	s_waitcnt vmcnt(0)
	ds_write2_b64 v125, v[77:78], v[79:80] offset0:68 offset1:69
	buffer_load_dword v77, off, s[20:23], 0 offset:144 ; 4-byte Folded Reload
	buffer_load_dword v78, off, s[20:23], 0 offset:148 ; 4-byte Folded Reload
	buffer_load_dword v79, off, s[20:23], 0 offset:152 ; 4-byte Folded Reload
	buffer_load_dword v80, off, s[20:23], 0 offset:156 ; 4-byte Folded Reload
	s_waitcnt vmcnt(0)
	;; [unrolled: 6-line block ×10, first 2 shown]
	ds_write2_b64 v125, v[45:46], v[47:48] offset0:86 offset1:87
	buffer_load_dword v41, off, s[20:23], 0 ; 4-byte Folded Reload
	buffer_load_dword v42, off, s[20:23], 0 offset:4 ; 4-byte Folded Reload
	buffer_load_dword v43, off, s[20:23], 0 offset:8 ; 4-byte Folded Reload
	;; [unrolled: 1-line block ×3, first 2 shown]
	s_waitcnt vmcnt(0)
	ds_write2_b64 v125, v[41:42], v[43:44] offset0:88 offset1:89
	ds_write2_b64 v125, v[37:38], v[39:40] offset0:90 offset1:91
	;; [unrolled: 1-line block ×12, first 2 shown]
	ds_read2_b64 v[97:100], v127 offset1:1
	s_waitcnt lgkmcnt(0)
	v_cmp_neq_f64_e32 vcc, 0, v[97:98]
	v_cmp_neq_f64_e64 s[2:3], 0, v[99:100]
	s_or_b64 s[2:3], vcc, s[2:3]
	s_and_b64 exec, exec, s[2:3]
	s_cbranch_execz .LBB111_224
; %bb.219:
	v_cmp_ngt_f64_e64 s[2:3], |v[97:98]|, |v[99:100]|
                                        ; implicit-def: $vgpr101_vgpr102
	s_and_saveexec_b64 s[6:7], s[2:3]
	s_xor_b64 s[2:3], exec, s[6:7]
                                        ; implicit-def: $vgpr103_vgpr104
	s_cbranch_execz .LBB111_221
; %bb.220:
	v_div_scale_f64 v[101:102], s[6:7], v[99:100], v[99:100], v[97:98]
	v_rcp_f64_e32 v[103:104], v[101:102]
	v_fma_f64 v[105:106], -v[101:102], v[103:104], 1.0
	v_fma_f64 v[103:104], v[103:104], v[105:106], v[103:104]
	v_div_scale_f64 v[105:106], vcc, v[97:98], v[99:100], v[97:98]
	v_fma_f64 v[107:108], -v[101:102], v[103:104], 1.0
	v_fma_f64 v[103:104], v[103:104], v[107:108], v[103:104]
	v_mul_f64 v[107:108], v[105:106], v[103:104]
	v_fma_f64 v[101:102], -v[101:102], v[107:108], v[105:106]
	v_div_fmas_f64 v[101:102], v[101:102], v[103:104], v[107:108]
	v_div_fixup_f64 v[101:102], v[101:102], v[99:100], v[97:98]
	v_fma_f64 v[97:98], v[97:98], v[101:102], v[99:100]
	v_div_scale_f64 v[99:100], s[6:7], v[97:98], v[97:98], 1.0
	v_div_scale_f64 v[107:108], vcc, 1.0, v[97:98], 1.0
	v_rcp_f64_e32 v[103:104], v[99:100]
	v_fma_f64 v[105:106], -v[99:100], v[103:104], 1.0
	v_fma_f64 v[103:104], v[103:104], v[105:106], v[103:104]
	v_fma_f64 v[105:106], -v[99:100], v[103:104], 1.0
	v_fma_f64 v[103:104], v[103:104], v[105:106], v[103:104]
	v_mul_f64 v[105:106], v[107:108], v[103:104]
	v_fma_f64 v[99:100], -v[99:100], v[105:106], v[107:108]
	v_div_fmas_f64 v[99:100], v[99:100], v[103:104], v[105:106]
	v_div_fixup_f64 v[103:104], v[99:100], v[97:98], 1.0
                                        ; implicit-def: $vgpr97_vgpr98
	v_mul_f64 v[101:102], v[101:102], v[103:104]
	v_xor_b32_e32 v104, 0x80000000, v104
.LBB111_221:
	s_andn2_saveexec_b64 s[2:3], s[2:3]
	s_cbranch_execz .LBB111_223
; %bb.222:
	v_div_scale_f64 v[101:102], s[6:7], v[97:98], v[97:98], v[99:100]
	v_rcp_f64_e32 v[103:104], v[101:102]
	v_fma_f64 v[105:106], -v[101:102], v[103:104], 1.0
	v_fma_f64 v[103:104], v[103:104], v[105:106], v[103:104]
	v_div_scale_f64 v[105:106], vcc, v[99:100], v[97:98], v[99:100]
	v_fma_f64 v[107:108], -v[101:102], v[103:104], 1.0
	v_fma_f64 v[103:104], v[103:104], v[107:108], v[103:104]
	v_mul_f64 v[107:108], v[105:106], v[103:104]
	v_fma_f64 v[101:102], -v[101:102], v[107:108], v[105:106]
	v_div_fmas_f64 v[101:102], v[101:102], v[103:104], v[107:108]
	v_div_fixup_f64 v[103:104], v[101:102], v[97:98], v[99:100]
	v_fma_f64 v[97:98], v[99:100], v[103:104], v[97:98]
	v_div_scale_f64 v[99:100], s[6:7], v[97:98], v[97:98], 1.0
	v_div_scale_f64 v[107:108], vcc, 1.0, v[97:98], 1.0
	v_rcp_f64_e32 v[101:102], v[99:100]
	v_fma_f64 v[105:106], -v[99:100], v[101:102], 1.0
	v_fma_f64 v[101:102], v[101:102], v[105:106], v[101:102]
	v_fma_f64 v[105:106], -v[99:100], v[101:102], 1.0
	v_fma_f64 v[101:102], v[101:102], v[105:106], v[101:102]
	v_mul_f64 v[105:106], v[107:108], v[101:102]
	v_fma_f64 v[99:100], -v[99:100], v[105:106], v[107:108]
	v_div_fmas_f64 v[99:100], v[99:100], v[101:102], v[105:106]
	v_div_fixup_f64 v[101:102], v[99:100], v[97:98], 1.0
	v_mul_f64 v[103:104], v[103:104], -v[101:102]
.LBB111_223:
	s_or_b64 exec, exec, s[2:3]
	ds_write2_b64 v127, v[101:102], v[103:104] offset1:1
.LBB111_224:
	s_or_b64 exec, exec, s[4:5]
	s_waitcnt lgkmcnt(0)
	s_barrier
	ds_read2_b64 v[87:90], v127 offset1:1
	v_cmp_lt_u32_e32 vcc, 24, v0
	s_waitcnt lgkmcnt(0)
	buffer_store_dword v87, off, s[20:23], 0 offset:1528 ; 4-byte Folded Spill
	s_nop 0
	buffer_store_dword v88, off, s[20:23], 0 offset:1532 ; 4-byte Folded Spill
	buffer_store_dword v89, off, s[20:23], 0 offset:1536 ; 4-byte Folded Spill
	;; [unrolled: 1-line block ×3, first 2 shown]
	s_and_saveexec_b64 s[2:3], vcc
	s_cbranch_execz .LBB111_226
; %bb.225:
	buffer_load_dword v107, off, s[20:23], 0 offset:304 ; 4-byte Folded Reload
	buffer_load_dword v108, off, s[20:23], 0 offset:308 ; 4-byte Folded Reload
	;; [unrolled: 1-line block ×8, first 2 shown]
	s_waitcnt vmcnt(2)
	v_mul_f64 v[99:100], v[87:88], v[109:110]
	s_waitcnt vmcnt(0)
	v_mul_f64 v[97:98], v[89:90], v[109:110]
	v_fma_f64 v[109:110], v[89:90], v[107:108], v[99:100]
	ds_read2_b64 v[99:102], v125 offset0:50 offset1:51
	v_fma_f64 v[97:98], v[87:88], v[107:108], -v[97:98]
	buffer_load_dword v105, off, s[20:23], 0 offset:288 ; 4-byte Folded Reload
	buffer_load_dword v106, off, s[20:23], 0 offset:292 ; 4-byte Folded Reload
	buffer_load_dword v107, off, s[20:23], 0 offset:296 ; 4-byte Folded Reload
	buffer_load_dword v108, off, s[20:23], 0 offset:300 ; 4-byte Folded Reload
	s_waitcnt lgkmcnt(0)
	v_mul_f64 v[103:104], v[101:102], v[109:110]
	v_fma_f64 v[103:104], v[99:100], v[97:98], -v[103:104]
	v_mul_f64 v[99:100], v[99:100], v[109:110]
	v_fma_f64 v[99:100], v[101:102], v[97:98], v[99:100]
	s_waitcnt vmcnt(2)
	v_add_f64 v[105:106], v[105:106], -v[103:104]
	s_waitcnt vmcnt(0)
	v_add_f64 v[107:108], v[107:108], -v[99:100]
	buffer_store_dword v105, off, s[20:23], 0 offset:288 ; 4-byte Folded Spill
	s_nop 0
	buffer_store_dword v106, off, s[20:23], 0 offset:292 ; 4-byte Folded Spill
	buffer_store_dword v107, off, s[20:23], 0 offset:296 ; 4-byte Folded Spill
	buffer_store_dword v108, off, s[20:23], 0 offset:300 ; 4-byte Folded Spill
	ds_read2_b64 v[99:102], v125 offset0:52 offset1:53
	buffer_load_dword v105, off, s[20:23], 0 offset:272 ; 4-byte Folded Reload
	buffer_load_dword v106, off, s[20:23], 0 offset:276 ; 4-byte Folded Reload
	buffer_load_dword v107, off, s[20:23], 0 offset:280 ; 4-byte Folded Reload
	buffer_load_dword v108, off, s[20:23], 0 offset:284 ; 4-byte Folded Reload
	s_waitcnt lgkmcnt(0)
	v_mul_f64 v[103:104], v[101:102], v[109:110]
	v_fma_f64 v[103:104], v[99:100], v[97:98], -v[103:104]
	v_mul_f64 v[99:100], v[99:100], v[109:110]
	v_fma_f64 v[99:100], v[101:102], v[97:98], v[99:100]
	s_waitcnt vmcnt(2)
	v_add_f64 v[105:106], v[105:106], -v[103:104]
	s_waitcnt vmcnt(0)
	v_add_f64 v[107:108], v[107:108], -v[99:100]
	buffer_store_dword v105, off, s[20:23], 0 offset:272 ; 4-byte Folded Spill
	s_nop 0
	buffer_store_dword v106, off, s[20:23], 0 offset:276 ; 4-byte Folded Spill
	buffer_store_dword v107, off, s[20:23], 0 offset:280 ; 4-byte Folded Spill
	buffer_store_dword v108, off, s[20:23], 0 offset:284 ; 4-byte Folded Spill
	ds_read2_b64 v[99:102], v125 offset0:54 offset1:55
	;; [unrolled: 19-line block ×8, first 2 shown]
	v_mov_b32_e32 v108, v98
	v_mov_b32_e32 v107, v97
	s_waitcnt lgkmcnt(0)
	v_mul_f64 v[103:104], v[101:102], v[109:110]
	v_fma_f64 v[103:104], v[99:100], v[97:98], -v[103:104]
	v_mul_f64 v[99:100], v[99:100], v[109:110]
	v_add_f64 v[91:92], v[91:92], -v[103:104]
	v_fma_f64 v[99:100], v[101:102], v[97:98], v[99:100]
	v_add_f64 v[93:94], v[93:94], -v[99:100]
	ds_read2_b64 v[99:102], v125 offset0:68 offset1:69
	buffer_load_dword v77, off, s[20:23], 0 offset:160 ; 4-byte Folded Reload
	buffer_load_dword v78, off, s[20:23], 0 offset:164 ; 4-byte Folded Reload
	buffer_load_dword v79, off, s[20:23], 0 offset:168 ; 4-byte Folded Reload
	buffer_load_dword v80, off, s[20:23], 0 offset:172 ; 4-byte Folded Reload
	s_waitcnt lgkmcnt(0)
	v_mul_f64 v[103:104], v[101:102], v[109:110]
	v_fma_f64 v[103:104], v[99:100], v[97:98], -v[103:104]
	v_mul_f64 v[99:100], v[99:100], v[109:110]
	v_fma_f64 v[99:100], v[101:102], v[97:98], v[99:100]
	s_waitcnt vmcnt(2)
	v_add_f64 v[77:78], v[77:78], -v[103:104]
	s_waitcnt vmcnt(0)
	v_add_f64 v[79:80], v[79:80], -v[99:100]
	buffer_store_dword v77, off, s[20:23], 0 offset:160 ; 4-byte Folded Spill
	s_nop 0
	buffer_store_dword v78, off, s[20:23], 0 offset:164 ; 4-byte Folded Spill
	buffer_store_dword v79, off, s[20:23], 0 offset:168 ; 4-byte Folded Spill
	buffer_store_dword v80, off, s[20:23], 0 offset:172 ; 4-byte Folded Spill
	ds_read2_b64 v[99:102], v125 offset0:70 offset1:71
	buffer_load_dword v77, off, s[20:23], 0 offset:144 ; 4-byte Folded Reload
	buffer_load_dword v78, off, s[20:23], 0 offset:148 ; 4-byte Folded Reload
	buffer_load_dword v79, off, s[20:23], 0 offset:152 ; 4-byte Folded Reload
	buffer_load_dword v80, off, s[20:23], 0 offset:156 ; 4-byte Folded Reload
	s_waitcnt lgkmcnt(0)
	v_mul_f64 v[103:104], v[101:102], v[109:110]
	v_fma_f64 v[103:104], v[99:100], v[97:98], -v[103:104]
	v_mul_f64 v[99:100], v[99:100], v[109:110]
	v_fma_f64 v[99:100], v[101:102], v[97:98], v[99:100]
	s_waitcnt vmcnt(2)
	v_add_f64 v[77:78], v[77:78], -v[103:104]
	s_waitcnt vmcnt(0)
	v_add_f64 v[79:80], v[79:80], -v[99:100]
	buffer_store_dword v77, off, s[20:23], 0 offset:144 ; 4-byte Folded Spill
	s_nop 0
	buffer_store_dword v78, off, s[20:23], 0 offset:148 ; 4-byte Folded Spill
	buffer_store_dword v79, off, s[20:23], 0 offset:152 ; 4-byte Folded Spill
	buffer_store_dword v80, off, s[20:23], 0 offset:156 ; 4-byte Folded Spill
	;; [unrolled: 19-line block ×10, first 2 shown]
	ds_read2_b64 v[99:102], v125 offset0:88 offset1:89
	buffer_load_dword v41, off, s[20:23], 0 ; 4-byte Folded Reload
	buffer_load_dword v42, off, s[20:23], 0 offset:4 ; 4-byte Folded Reload
	buffer_load_dword v43, off, s[20:23], 0 offset:8 ; 4-byte Folded Reload
	;; [unrolled: 1-line block ×3, first 2 shown]
	s_waitcnt lgkmcnt(0)
	v_mul_f64 v[103:104], v[101:102], v[109:110]
	v_fma_f64 v[103:104], v[99:100], v[97:98], -v[103:104]
	v_mul_f64 v[99:100], v[99:100], v[109:110]
	v_fma_f64 v[99:100], v[101:102], v[97:98], v[99:100]
	s_waitcnt vmcnt(2)
	v_add_f64 v[41:42], v[41:42], -v[103:104]
	s_waitcnt vmcnt(0)
	v_add_f64 v[43:44], v[43:44], -v[99:100]
	buffer_store_dword v41, off, s[20:23], 0 ; 4-byte Folded Spill
	s_nop 0
	buffer_store_dword v42, off, s[20:23], 0 offset:4 ; 4-byte Folded Spill
	buffer_store_dword v43, off, s[20:23], 0 offset:8 ; 4-byte Folded Spill
	;; [unrolled: 1-line block ×3, first 2 shown]
	ds_read2_b64 v[99:102], v125 offset0:90 offset1:91
	s_waitcnt lgkmcnt(0)
	v_mul_f64 v[103:104], v[101:102], v[109:110]
	v_fma_f64 v[103:104], v[99:100], v[97:98], -v[103:104]
	v_mul_f64 v[99:100], v[99:100], v[109:110]
	v_add_f64 v[37:38], v[37:38], -v[103:104]
	v_fma_f64 v[99:100], v[101:102], v[97:98], v[99:100]
	v_add_f64 v[39:40], v[39:40], -v[99:100]
	ds_read2_b64 v[99:102], v125 offset0:92 offset1:93
	s_waitcnt lgkmcnt(0)
	v_mul_f64 v[103:104], v[101:102], v[109:110]
	v_fma_f64 v[103:104], v[99:100], v[97:98], -v[103:104]
	v_mul_f64 v[99:100], v[99:100], v[109:110]
	v_add_f64 v[33:34], v[33:34], -v[103:104]
	v_fma_f64 v[99:100], v[101:102], v[97:98], v[99:100]
	v_add_f64 v[35:36], v[35:36], -v[99:100]
	;; [unrolled: 8-line block ×10, first 2 shown]
	ds_read2_b64 v[99:102], v125 offset0:110 offset1:111
	s_waitcnt lgkmcnt(0)
	v_mul_f64 v[103:104], v[101:102], v[109:110]
	v_fma_f64 v[103:104], v[99:100], v[97:98], -v[103:104]
	v_mul_f64 v[99:100], v[99:100], v[109:110]
	buffer_store_dword v107, off, s[20:23], 0 offset:304 ; 4-byte Folded Spill
	s_nop 0
	buffer_store_dword v108, off, s[20:23], 0 offset:308 ; 4-byte Folded Spill
	buffer_store_dword v109, off, s[20:23], 0 offset:312 ; 4-byte Folded Spill
	;; [unrolled: 1-line block ×3, first 2 shown]
	v_add_f64 v[121:122], v[121:122], -v[103:104]
	v_fma_f64 v[99:100], v[101:102], v[97:98], v[99:100]
	v_add_f64 v[123:124], v[123:124], -v[99:100]
.LBB111_226:
	s_or_b64 exec, exec, s[2:3]
	v_cmp_eq_u32_e32 vcc, 25, v0
	s_waitcnt vmcnt(0)
	s_barrier
	s_and_saveexec_b64 s[4:5], vcc
	s_cbranch_execz .LBB111_233
; %bb.227:
	buffer_load_dword v95, off, s[20:23], 0 offset:288 ; 4-byte Folded Reload
	buffer_load_dword v96, off, s[20:23], 0 offset:292 ; 4-byte Folded Reload
	;; [unrolled: 1-line block ×4, first 2 shown]
	s_waitcnt vmcnt(0)
	ds_write2_b64 v127, v[95:96], v[97:98] offset1:1
	buffer_load_dword v95, off, s[20:23], 0 offset:272 ; 4-byte Folded Reload
	buffer_load_dword v96, off, s[20:23], 0 offset:276 ; 4-byte Folded Reload
	buffer_load_dword v97, off, s[20:23], 0 offset:280 ; 4-byte Folded Reload
	buffer_load_dword v98, off, s[20:23], 0 offset:284 ; 4-byte Folded Reload
	s_waitcnt vmcnt(0)
	ds_write2_b64 v125, v[95:96], v[97:98] offset0:52 offset1:53
	buffer_load_dword v95, off, s[20:23], 0 offset:256 ; 4-byte Folded Reload
	buffer_load_dword v96, off, s[20:23], 0 offset:260 ; 4-byte Folded Reload
	buffer_load_dword v97, off, s[20:23], 0 offset:264 ; 4-byte Folded Reload
	buffer_load_dword v98, off, s[20:23], 0 offset:268 ; 4-byte Folded Reload
	s_waitcnt vmcnt(0)
	ds_write2_b64 v125, v[95:96], v[97:98] offset0:54 offset1:55
	buffer_load_dword v95, off, s[20:23], 0 offset:240 ; 4-byte Folded Reload
	buffer_load_dword v96, off, s[20:23], 0 offset:244 ; 4-byte Folded Reload
	buffer_load_dword v97, off, s[20:23], 0 offset:248 ; 4-byte Folded Reload
	buffer_load_dword v98, off, s[20:23], 0 offset:252 ; 4-byte Folded Reload
	s_waitcnt vmcnt(0)
	ds_write2_b64 v125, v[95:96], v[97:98] offset0:56 offset1:57
	buffer_load_dword v95, off, s[20:23], 0 offset:224 ; 4-byte Folded Reload
	buffer_load_dword v96, off, s[20:23], 0 offset:228 ; 4-byte Folded Reload
	buffer_load_dword v97, off, s[20:23], 0 offset:232 ; 4-byte Folded Reload
	buffer_load_dword v98, off, s[20:23], 0 offset:236 ; 4-byte Folded Reload
	s_waitcnt vmcnt(0)
	ds_write2_b64 v125, v[95:96], v[97:98] offset0:58 offset1:59
	buffer_load_dword v95, off, s[20:23], 0 offset:208 ; 4-byte Folded Reload
	buffer_load_dword v96, off, s[20:23], 0 offset:212 ; 4-byte Folded Reload
	buffer_load_dword v97, off, s[20:23], 0 offset:216 ; 4-byte Folded Reload
	buffer_load_dword v98, off, s[20:23], 0 offset:220 ; 4-byte Folded Reload
	s_waitcnt vmcnt(0)
	ds_write2_b64 v125, v[95:96], v[97:98] offset0:60 offset1:61
	buffer_load_dword v95, off, s[20:23], 0 offset:192 ; 4-byte Folded Reload
	buffer_load_dword v96, off, s[20:23], 0 offset:196 ; 4-byte Folded Reload
	buffer_load_dword v97, off, s[20:23], 0 offset:200 ; 4-byte Folded Reload
	buffer_load_dword v98, off, s[20:23], 0 offset:204 ; 4-byte Folded Reload
	s_waitcnt vmcnt(0)
	ds_write2_b64 v125, v[95:96], v[97:98] offset0:62 offset1:63
	buffer_load_dword v95, off, s[20:23], 0 offset:176 ; 4-byte Folded Reload
	buffer_load_dword v96, off, s[20:23], 0 offset:180 ; 4-byte Folded Reload
	buffer_load_dword v97, off, s[20:23], 0 offset:184 ; 4-byte Folded Reload
	buffer_load_dword v98, off, s[20:23], 0 offset:188 ; 4-byte Folded Reload
	s_waitcnt vmcnt(0)
	ds_write2_b64 v125, v[95:96], v[97:98] offset0:64 offset1:65
	ds_write2_b64 v125, v[91:92], v[93:94] offset0:66 offset1:67
	buffer_load_dword v77, off, s[20:23], 0 offset:160 ; 4-byte Folded Reload
	buffer_load_dword v78, off, s[20:23], 0 offset:164 ; 4-byte Folded Reload
	buffer_load_dword v79, off, s[20:23], 0 offset:168 ; 4-byte Folded Reload
	buffer_load_dword v80, off, s[20:23], 0 offset:172 ; 4-byte Folded Reload
	s_waitcnt vmcnt(0)
	ds_write2_b64 v125, v[77:78], v[79:80] offset0:68 offset1:69
	buffer_load_dword v77, off, s[20:23], 0 offset:144 ; 4-byte Folded Reload
	buffer_load_dword v78, off, s[20:23], 0 offset:148 ; 4-byte Folded Reload
	buffer_load_dword v79, off, s[20:23], 0 offset:152 ; 4-byte Folded Reload
	buffer_load_dword v80, off, s[20:23], 0 offset:156 ; 4-byte Folded Reload
	s_waitcnt vmcnt(0)
	ds_write2_b64 v125, v[77:78], v[79:80] offset0:70 offset1:71
	buffer_load_dword v73, off, s[20:23], 0 offset:128 ; 4-byte Folded Reload
	buffer_load_dword v74, off, s[20:23], 0 offset:132 ; 4-byte Folded Reload
	buffer_load_dword v75, off, s[20:23], 0 offset:136 ; 4-byte Folded Reload
	buffer_load_dword v76, off, s[20:23], 0 offset:140 ; 4-byte Folded Reload
	s_waitcnt vmcnt(0)
	ds_write2_b64 v125, v[73:74], v[75:76] offset0:72 offset1:73
	buffer_load_dword v69, off, s[20:23], 0 offset:112 ; 4-byte Folded Reload
	buffer_load_dword v70, off, s[20:23], 0 offset:116 ; 4-byte Folded Reload
	buffer_load_dword v71, off, s[20:23], 0 offset:120 ; 4-byte Folded Reload
	buffer_load_dword v72, off, s[20:23], 0 offset:124 ; 4-byte Folded Reload
	s_waitcnt vmcnt(0)
	ds_write2_b64 v125, v[69:70], v[71:72] offset0:74 offset1:75
	buffer_load_dword v65, off, s[20:23], 0 offset:96 ; 4-byte Folded Reload
	buffer_load_dword v66, off, s[20:23], 0 offset:100 ; 4-byte Folded Reload
	buffer_load_dword v67, off, s[20:23], 0 offset:104 ; 4-byte Folded Reload
	buffer_load_dword v68, off, s[20:23], 0 offset:108 ; 4-byte Folded Reload
	s_waitcnt vmcnt(0)
	ds_write2_b64 v125, v[65:66], v[67:68] offset0:76 offset1:77
	buffer_load_dword v61, off, s[20:23], 0 offset:80 ; 4-byte Folded Reload
	buffer_load_dword v62, off, s[20:23], 0 offset:84 ; 4-byte Folded Reload
	buffer_load_dword v63, off, s[20:23], 0 offset:88 ; 4-byte Folded Reload
	buffer_load_dword v64, off, s[20:23], 0 offset:92 ; 4-byte Folded Reload
	s_waitcnt vmcnt(0)
	ds_write2_b64 v125, v[61:62], v[63:64] offset0:78 offset1:79
	buffer_load_dword v57, off, s[20:23], 0 offset:64 ; 4-byte Folded Reload
	buffer_load_dword v58, off, s[20:23], 0 offset:68 ; 4-byte Folded Reload
	buffer_load_dword v59, off, s[20:23], 0 offset:72 ; 4-byte Folded Reload
	buffer_load_dword v60, off, s[20:23], 0 offset:76 ; 4-byte Folded Reload
	s_waitcnt vmcnt(0)
	ds_write2_b64 v125, v[57:58], v[59:60] offset0:80 offset1:81
	buffer_load_dword v53, off, s[20:23], 0 offset:48 ; 4-byte Folded Reload
	buffer_load_dword v54, off, s[20:23], 0 offset:52 ; 4-byte Folded Reload
	buffer_load_dword v55, off, s[20:23], 0 offset:56 ; 4-byte Folded Reload
	buffer_load_dword v56, off, s[20:23], 0 offset:60 ; 4-byte Folded Reload
	s_waitcnt vmcnt(0)
	ds_write2_b64 v125, v[53:54], v[55:56] offset0:82 offset1:83
	buffer_load_dword v49, off, s[20:23], 0 offset:32 ; 4-byte Folded Reload
	buffer_load_dword v50, off, s[20:23], 0 offset:36 ; 4-byte Folded Reload
	buffer_load_dword v51, off, s[20:23], 0 offset:40 ; 4-byte Folded Reload
	buffer_load_dword v52, off, s[20:23], 0 offset:44 ; 4-byte Folded Reload
	s_waitcnt vmcnt(0)
	ds_write2_b64 v125, v[49:50], v[51:52] offset0:84 offset1:85
	buffer_load_dword v45, off, s[20:23], 0 offset:16 ; 4-byte Folded Reload
	buffer_load_dword v46, off, s[20:23], 0 offset:20 ; 4-byte Folded Reload
	buffer_load_dword v47, off, s[20:23], 0 offset:24 ; 4-byte Folded Reload
	buffer_load_dword v48, off, s[20:23], 0 offset:28 ; 4-byte Folded Reload
	s_waitcnt vmcnt(0)
	ds_write2_b64 v125, v[45:46], v[47:48] offset0:86 offset1:87
	buffer_load_dword v41, off, s[20:23], 0 ; 4-byte Folded Reload
	buffer_load_dword v42, off, s[20:23], 0 offset:4 ; 4-byte Folded Reload
	buffer_load_dword v43, off, s[20:23], 0 offset:8 ; 4-byte Folded Reload
	;; [unrolled: 1-line block ×3, first 2 shown]
	s_waitcnt vmcnt(0)
	ds_write2_b64 v125, v[41:42], v[43:44] offset0:88 offset1:89
	ds_write2_b64 v125, v[37:38], v[39:40] offset0:90 offset1:91
	;; [unrolled: 1-line block ×12, first 2 shown]
	ds_read2_b64 v[97:100], v127 offset1:1
	s_waitcnt lgkmcnt(0)
	v_cmp_neq_f64_e32 vcc, 0, v[97:98]
	v_cmp_neq_f64_e64 s[2:3], 0, v[99:100]
	s_or_b64 s[2:3], vcc, s[2:3]
	s_and_b64 exec, exec, s[2:3]
	s_cbranch_execz .LBB111_233
; %bb.228:
	v_cmp_ngt_f64_e64 s[2:3], |v[97:98]|, |v[99:100]|
                                        ; implicit-def: $vgpr101_vgpr102
	s_and_saveexec_b64 s[6:7], s[2:3]
	s_xor_b64 s[2:3], exec, s[6:7]
                                        ; implicit-def: $vgpr103_vgpr104
	s_cbranch_execz .LBB111_230
; %bb.229:
	v_div_scale_f64 v[101:102], s[6:7], v[99:100], v[99:100], v[97:98]
	v_rcp_f64_e32 v[103:104], v[101:102]
	v_fma_f64 v[105:106], -v[101:102], v[103:104], 1.0
	v_fma_f64 v[103:104], v[103:104], v[105:106], v[103:104]
	v_div_scale_f64 v[105:106], vcc, v[97:98], v[99:100], v[97:98]
	v_fma_f64 v[107:108], -v[101:102], v[103:104], 1.0
	v_fma_f64 v[103:104], v[103:104], v[107:108], v[103:104]
	v_mul_f64 v[107:108], v[105:106], v[103:104]
	v_fma_f64 v[101:102], -v[101:102], v[107:108], v[105:106]
	v_div_fmas_f64 v[101:102], v[101:102], v[103:104], v[107:108]
	v_div_fixup_f64 v[101:102], v[101:102], v[99:100], v[97:98]
	v_fma_f64 v[97:98], v[97:98], v[101:102], v[99:100]
	v_div_scale_f64 v[99:100], s[6:7], v[97:98], v[97:98], 1.0
	v_div_scale_f64 v[107:108], vcc, 1.0, v[97:98], 1.0
	v_rcp_f64_e32 v[103:104], v[99:100]
	v_fma_f64 v[105:106], -v[99:100], v[103:104], 1.0
	v_fma_f64 v[103:104], v[103:104], v[105:106], v[103:104]
	v_fma_f64 v[105:106], -v[99:100], v[103:104], 1.0
	v_fma_f64 v[103:104], v[103:104], v[105:106], v[103:104]
	v_mul_f64 v[105:106], v[107:108], v[103:104]
	v_fma_f64 v[99:100], -v[99:100], v[105:106], v[107:108]
	v_div_fmas_f64 v[99:100], v[99:100], v[103:104], v[105:106]
	v_div_fixup_f64 v[103:104], v[99:100], v[97:98], 1.0
                                        ; implicit-def: $vgpr97_vgpr98
	v_mul_f64 v[101:102], v[101:102], v[103:104]
	v_xor_b32_e32 v104, 0x80000000, v104
.LBB111_230:
	s_andn2_saveexec_b64 s[2:3], s[2:3]
	s_cbranch_execz .LBB111_232
; %bb.231:
	v_div_scale_f64 v[101:102], s[6:7], v[97:98], v[97:98], v[99:100]
	v_rcp_f64_e32 v[103:104], v[101:102]
	v_fma_f64 v[105:106], -v[101:102], v[103:104], 1.0
	v_fma_f64 v[103:104], v[103:104], v[105:106], v[103:104]
	v_div_scale_f64 v[105:106], vcc, v[99:100], v[97:98], v[99:100]
	v_fma_f64 v[107:108], -v[101:102], v[103:104], 1.0
	v_fma_f64 v[103:104], v[103:104], v[107:108], v[103:104]
	v_mul_f64 v[107:108], v[105:106], v[103:104]
	v_fma_f64 v[101:102], -v[101:102], v[107:108], v[105:106]
	v_div_fmas_f64 v[101:102], v[101:102], v[103:104], v[107:108]
	v_div_fixup_f64 v[103:104], v[101:102], v[97:98], v[99:100]
	v_fma_f64 v[97:98], v[99:100], v[103:104], v[97:98]
	v_div_scale_f64 v[99:100], s[6:7], v[97:98], v[97:98], 1.0
	v_div_scale_f64 v[107:108], vcc, 1.0, v[97:98], 1.0
	v_rcp_f64_e32 v[101:102], v[99:100]
	v_fma_f64 v[105:106], -v[99:100], v[101:102], 1.0
	v_fma_f64 v[101:102], v[101:102], v[105:106], v[101:102]
	v_fma_f64 v[105:106], -v[99:100], v[101:102], 1.0
	v_fma_f64 v[101:102], v[101:102], v[105:106], v[101:102]
	v_mul_f64 v[105:106], v[107:108], v[101:102]
	v_fma_f64 v[99:100], -v[99:100], v[105:106], v[107:108]
	v_div_fmas_f64 v[99:100], v[99:100], v[101:102], v[105:106]
	v_div_fixup_f64 v[101:102], v[99:100], v[97:98], 1.0
	v_mul_f64 v[103:104], v[103:104], -v[101:102]
.LBB111_232:
	s_or_b64 exec, exec, s[2:3]
	ds_write2_b64 v127, v[101:102], v[103:104] offset1:1
.LBB111_233:
	s_or_b64 exec, exec, s[4:5]
	s_waitcnt lgkmcnt(0)
	s_barrier
	ds_read2_b64 v[87:90], v127 offset1:1
	v_cmp_lt_u32_e32 vcc, 25, v0
	s_waitcnt lgkmcnt(0)
	buffer_store_dword v87, off, s[20:23], 0 offset:1544 ; 4-byte Folded Spill
	s_nop 0
	buffer_store_dword v88, off, s[20:23], 0 offset:1548 ; 4-byte Folded Spill
	buffer_store_dword v89, off, s[20:23], 0 offset:1552 ; 4-byte Folded Spill
	;; [unrolled: 1-line block ×3, first 2 shown]
	s_and_saveexec_b64 s[2:3], vcc
	s_cbranch_execz .LBB111_235
; %bb.234:
	buffer_load_dword v107, off, s[20:23], 0 offset:288 ; 4-byte Folded Reload
	buffer_load_dword v108, off, s[20:23], 0 offset:292 ; 4-byte Folded Reload
	buffer_load_dword v109, off, s[20:23], 0 offset:296 ; 4-byte Folded Reload
	buffer_load_dword v110, off, s[20:23], 0 offset:300 ; 4-byte Folded Reload
	buffer_load_dword v87, off, s[20:23], 0 offset:1544 ; 4-byte Folded Reload
	buffer_load_dword v88, off, s[20:23], 0 offset:1548 ; 4-byte Folded Reload
	buffer_load_dword v89, off, s[20:23], 0 offset:1552 ; 4-byte Folded Reload
	buffer_load_dword v90, off, s[20:23], 0 offset:1556 ; 4-byte Folded Reload
	s_waitcnt vmcnt(2)
	v_mul_f64 v[99:100], v[87:88], v[109:110]
	s_waitcnt vmcnt(0)
	v_mul_f64 v[97:98], v[89:90], v[109:110]
	v_fma_f64 v[109:110], v[89:90], v[107:108], v[99:100]
	ds_read2_b64 v[99:102], v125 offset0:52 offset1:53
	v_fma_f64 v[97:98], v[87:88], v[107:108], -v[97:98]
	buffer_load_dword v105, off, s[20:23], 0 offset:272 ; 4-byte Folded Reload
	buffer_load_dword v106, off, s[20:23], 0 offset:276 ; 4-byte Folded Reload
	buffer_load_dword v107, off, s[20:23], 0 offset:280 ; 4-byte Folded Reload
	buffer_load_dword v108, off, s[20:23], 0 offset:284 ; 4-byte Folded Reload
	s_waitcnt lgkmcnt(0)
	v_mul_f64 v[103:104], v[101:102], v[109:110]
	v_fma_f64 v[103:104], v[99:100], v[97:98], -v[103:104]
	v_mul_f64 v[99:100], v[99:100], v[109:110]
	v_fma_f64 v[99:100], v[101:102], v[97:98], v[99:100]
	s_waitcnt vmcnt(2)
	v_add_f64 v[105:106], v[105:106], -v[103:104]
	s_waitcnt vmcnt(0)
	v_add_f64 v[107:108], v[107:108], -v[99:100]
	buffer_store_dword v105, off, s[20:23], 0 offset:272 ; 4-byte Folded Spill
	s_nop 0
	buffer_store_dword v106, off, s[20:23], 0 offset:276 ; 4-byte Folded Spill
	buffer_store_dword v107, off, s[20:23], 0 offset:280 ; 4-byte Folded Spill
	buffer_store_dword v108, off, s[20:23], 0 offset:284 ; 4-byte Folded Spill
	ds_read2_b64 v[99:102], v125 offset0:54 offset1:55
	buffer_load_dword v105, off, s[20:23], 0 offset:256 ; 4-byte Folded Reload
	buffer_load_dword v106, off, s[20:23], 0 offset:260 ; 4-byte Folded Reload
	buffer_load_dword v107, off, s[20:23], 0 offset:264 ; 4-byte Folded Reload
	buffer_load_dword v108, off, s[20:23], 0 offset:268 ; 4-byte Folded Reload
	s_waitcnt lgkmcnt(0)
	v_mul_f64 v[103:104], v[101:102], v[109:110]
	v_fma_f64 v[103:104], v[99:100], v[97:98], -v[103:104]
	v_mul_f64 v[99:100], v[99:100], v[109:110]
	v_fma_f64 v[99:100], v[101:102], v[97:98], v[99:100]
	s_waitcnt vmcnt(2)
	v_add_f64 v[105:106], v[105:106], -v[103:104]
	s_waitcnt vmcnt(0)
	v_add_f64 v[107:108], v[107:108], -v[99:100]
	buffer_store_dword v105, off, s[20:23], 0 offset:256 ; 4-byte Folded Spill
	s_nop 0
	buffer_store_dword v106, off, s[20:23], 0 offset:260 ; 4-byte Folded Spill
	buffer_store_dword v107, off, s[20:23], 0 offset:264 ; 4-byte Folded Spill
	buffer_store_dword v108, off, s[20:23], 0 offset:268 ; 4-byte Folded Spill
	ds_read2_b64 v[99:102], v125 offset0:56 offset1:57
	;; [unrolled: 19-line block ×7, first 2 shown]
	v_mov_b32_e32 v108, v98
	v_mov_b32_e32 v107, v97
	s_waitcnt lgkmcnt(0)
	v_mul_f64 v[103:104], v[101:102], v[109:110]
	v_fma_f64 v[103:104], v[99:100], v[97:98], -v[103:104]
	v_mul_f64 v[99:100], v[99:100], v[109:110]
	v_add_f64 v[91:92], v[91:92], -v[103:104]
	v_fma_f64 v[99:100], v[101:102], v[97:98], v[99:100]
	v_add_f64 v[93:94], v[93:94], -v[99:100]
	ds_read2_b64 v[99:102], v125 offset0:68 offset1:69
	buffer_load_dword v77, off, s[20:23], 0 offset:160 ; 4-byte Folded Reload
	buffer_load_dword v78, off, s[20:23], 0 offset:164 ; 4-byte Folded Reload
	buffer_load_dword v79, off, s[20:23], 0 offset:168 ; 4-byte Folded Reload
	buffer_load_dword v80, off, s[20:23], 0 offset:172 ; 4-byte Folded Reload
	s_waitcnt lgkmcnt(0)
	v_mul_f64 v[103:104], v[101:102], v[109:110]
	v_fma_f64 v[103:104], v[99:100], v[97:98], -v[103:104]
	v_mul_f64 v[99:100], v[99:100], v[109:110]
	v_fma_f64 v[99:100], v[101:102], v[97:98], v[99:100]
	s_waitcnt vmcnt(2)
	v_add_f64 v[77:78], v[77:78], -v[103:104]
	s_waitcnt vmcnt(0)
	v_add_f64 v[79:80], v[79:80], -v[99:100]
	buffer_store_dword v77, off, s[20:23], 0 offset:160 ; 4-byte Folded Spill
	s_nop 0
	buffer_store_dword v78, off, s[20:23], 0 offset:164 ; 4-byte Folded Spill
	buffer_store_dword v79, off, s[20:23], 0 offset:168 ; 4-byte Folded Spill
	buffer_store_dword v80, off, s[20:23], 0 offset:172 ; 4-byte Folded Spill
	ds_read2_b64 v[99:102], v125 offset0:70 offset1:71
	buffer_load_dword v77, off, s[20:23], 0 offset:144 ; 4-byte Folded Reload
	buffer_load_dword v78, off, s[20:23], 0 offset:148 ; 4-byte Folded Reload
	buffer_load_dword v79, off, s[20:23], 0 offset:152 ; 4-byte Folded Reload
	buffer_load_dword v80, off, s[20:23], 0 offset:156 ; 4-byte Folded Reload
	s_waitcnt lgkmcnt(0)
	v_mul_f64 v[103:104], v[101:102], v[109:110]
	v_fma_f64 v[103:104], v[99:100], v[97:98], -v[103:104]
	v_mul_f64 v[99:100], v[99:100], v[109:110]
	v_fma_f64 v[99:100], v[101:102], v[97:98], v[99:100]
	s_waitcnt vmcnt(2)
	v_add_f64 v[77:78], v[77:78], -v[103:104]
	s_waitcnt vmcnt(0)
	v_add_f64 v[79:80], v[79:80], -v[99:100]
	buffer_store_dword v77, off, s[20:23], 0 offset:144 ; 4-byte Folded Spill
	s_nop 0
	buffer_store_dword v78, off, s[20:23], 0 offset:148 ; 4-byte Folded Spill
	buffer_store_dword v79, off, s[20:23], 0 offset:152 ; 4-byte Folded Spill
	buffer_store_dword v80, off, s[20:23], 0 offset:156 ; 4-byte Folded Spill
	;; [unrolled: 19-line block ×10, first 2 shown]
	ds_read2_b64 v[99:102], v125 offset0:88 offset1:89
	buffer_load_dword v41, off, s[20:23], 0 ; 4-byte Folded Reload
	buffer_load_dword v42, off, s[20:23], 0 offset:4 ; 4-byte Folded Reload
	buffer_load_dword v43, off, s[20:23], 0 offset:8 ; 4-byte Folded Reload
	;; [unrolled: 1-line block ×3, first 2 shown]
	s_waitcnt lgkmcnt(0)
	v_mul_f64 v[103:104], v[101:102], v[109:110]
	v_fma_f64 v[103:104], v[99:100], v[97:98], -v[103:104]
	v_mul_f64 v[99:100], v[99:100], v[109:110]
	v_fma_f64 v[99:100], v[101:102], v[97:98], v[99:100]
	s_waitcnt vmcnt(2)
	v_add_f64 v[41:42], v[41:42], -v[103:104]
	s_waitcnt vmcnt(0)
	v_add_f64 v[43:44], v[43:44], -v[99:100]
	buffer_store_dword v41, off, s[20:23], 0 ; 4-byte Folded Spill
	s_nop 0
	buffer_store_dword v42, off, s[20:23], 0 offset:4 ; 4-byte Folded Spill
	buffer_store_dword v43, off, s[20:23], 0 offset:8 ; 4-byte Folded Spill
	;; [unrolled: 1-line block ×3, first 2 shown]
	ds_read2_b64 v[99:102], v125 offset0:90 offset1:91
	s_waitcnt lgkmcnt(0)
	v_mul_f64 v[103:104], v[101:102], v[109:110]
	v_fma_f64 v[103:104], v[99:100], v[97:98], -v[103:104]
	v_mul_f64 v[99:100], v[99:100], v[109:110]
	v_add_f64 v[37:38], v[37:38], -v[103:104]
	v_fma_f64 v[99:100], v[101:102], v[97:98], v[99:100]
	v_add_f64 v[39:40], v[39:40], -v[99:100]
	ds_read2_b64 v[99:102], v125 offset0:92 offset1:93
	s_waitcnt lgkmcnt(0)
	v_mul_f64 v[103:104], v[101:102], v[109:110]
	v_fma_f64 v[103:104], v[99:100], v[97:98], -v[103:104]
	v_mul_f64 v[99:100], v[99:100], v[109:110]
	v_add_f64 v[33:34], v[33:34], -v[103:104]
	v_fma_f64 v[99:100], v[101:102], v[97:98], v[99:100]
	v_add_f64 v[35:36], v[35:36], -v[99:100]
	;; [unrolled: 8-line block ×10, first 2 shown]
	ds_read2_b64 v[99:102], v125 offset0:110 offset1:111
	s_waitcnt lgkmcnt(0)
	v_mul_f64 v[103:104], v[101:102], v[109:110]
	v_fma_f64 v[103:104], v[99:100], v[97:98], -v[103:104]
	v_mul_f64 v[99:100], v[99:100], v[109:110]
	buffer_store_dword v107, off, s[20:23], 0 offset:288 ; 4-byte Folded Spill
	s_nop 0
	buffer_store_dword v108, off, s[20:23], 0 offset:292 ; 4-byte Folded Spill
	buffer_store_dword v109, off, s[20:23], 0 offset:296 ; 4-byte Folded Spill
	;; [unrolled: 1-line block ×3, first 2 shown]
	v_add_f64 v[121:122], v[121:122], -v[103:104]
	v_fma_f64 v[99:100], v[101:102], v[97:98], v[99:100]
	v_add_f64 v[123:124], v[123:124], -v[99:100]
.LBB111_235:
	s_or_b64 exec, exec, s[2:3]
	v_cmp_eq_u32_e32 vcc, 26, v0
	s_waitcnt vmcnt(0)
	s_barrier
	s_and_saveexec_b64 s[4:5], vcc
	s_cbranch_execz .LBB111_242
; %bb.236:
	buffer_load_dword v95, off, s[20:23], 0 offset:272 ; 4-byte Folded Reload
	buffer_load_dword v96, off, s[20:23], 0 offset:276 ; 4-byte Folded Reload
	buffer_load_dword v97, off, s[20:23], 0 offset:280 ; 4-byte Folded Reload
	buffer_load_dword v98, off, s[20:23], 0 offset:284 ; 4-byte Folded Reload
	s_waitcnt vmcnt(0)
	ds_write2_b64 v127, v[95:96], v[97:98] offset1:1
	buffer_load_dword v95, off, s[20:23], 0 offset:256 ; 4-byte Folded Reload
	buffer_load_dword v96, off, s[20:23], 0 offset:260 ; 4-byte Folded Reload
	buffer_load_dword v97, off, s[20:23], 0 offset:264 ; 4-byte Folded Reload
	buffer_load_dword v98, off, s[20:23], 0 offset:268 ; 4-byte Folded Reload
	s_waitcnt vmcnt(0)
	ds_write2_b64 v125, v[95:96], v[97:98] offset0:54 offset1:55
	buffer_load_dword v95, off, s[20:23], 0 offset:240 ; 4-byte Folded Reload
	buffer_load_dword v96, off, s[20:23], 0 offset:244 ; 4-byte Folded Reload
	buffer_load_dword v97, off, s[20:23], 0 offset:248 ; 4-byte Folded Reload
	buffer_load_dword v98, off, s[20:23], 0 offset:252 ; 4-byte Folded Reload
	s_waitcnt vmcnt(0)
	ds_write2_b64 v125, v[95:96], v[97:98] offset0:56 offset1:57
	;; [unrolled: 6-line block ×6, first 2 shown]
	ds_write2_b64 v125, v[91:92], v[93:94] offset0:66 offset1:67
	buffer_load_dword v77, off, s[20:23], 0 offset:160 ; 4-byte Folded Reload
	buffer_load_dword v78, off, s[20:23], 0 offset:164 ; 4-byte Folded Reload
	buffer_load_dword v79, off, s[20:23], 0 offset:168 ; 4-byte Folded Reload
	buffer_load_dword v80, off, s[20:23], 0 offset:172 ; 4-byte Folded Reload
	s_waitcnt vmcnt(0)
	ds_write2_b64 v125, v[77:78], v[79:80] offset0:68 offset1:69
	buffer_load_dword v77, off, s[20:23], 0 offset:144 ; 4-byte Folded Reload
	buffer_load_dword v78, off, s[20:23], 0 offset:148 ; 4-byte Folded Reload
	buffer_load_dword v79, off, s[20:23], 0 offset:152 ; 4-byte Folded Reload
	buffer_load_dword v80, off, s[20:23], 0 offset:156 ; 4-byte Folded Reload
	s_waitcnt vmcnt(0)
	;; [unrolled: 6-line block ×10, first 2 shown]
	ds_write2_b64 v125, v[45:46], v[47:48] offset0:86 offset1:87
	buffer_load_dword v41, off, s[20:23], 0 ; 4-byte Folded Reload
	buffer_load_dword v42, off, s[20:23], 0 offset:4 ; 4-byte Folded Reload
	buffer_load_dword v43, off, s[20:23], 0 offset:8 ; 4-byte Folded Reload
	;; [unrolled: 1-line block ×3, first 2 shown]
	s_waitcnt vmcnt(0)
	ds_write2_b64 v125, v[41:42], v[43:44] offset0:88 offset1:89
	ds_write2_b64 v125, v[37:38], v[39:40] offset0:90 offset1:91
	;; [unrolled: 1-line block ×12, first 2 shown]
	ds_read2_b64 v[97:100], v127 offset1:1
	s_waitcnt lgkmcnt(0)
	v_cmp_neq_f64_e32 vcc, 0, v[97:98]
	v_cmp_neq_f64_e64 s[2:3], 0, v[99:100]
	s_or_b64 s[2:3], vcc, s[2:3]
	s_and_b64 exec, exec, s[2:3]
	s_cbranch_execz .LBB111_242
; %bb.237:
	v_cmp_ngt_f64_e64 s[2:3], |v[97:98]|, |v[99:100]|
                                        ; implicit-def: $vgpr101_vgpr102
	s_and_saveexec_b64 s[6:7], s[2:3]
	s_xor_b64 s[2:3], exec, s[6:7]
                                        ; implicit-def: $vgpr103_vgpr104
	s_cbranch_execz .LBB111_239
; %bb.238:
	v_div_scale_f64 v[101:102], s[6:7], v[99:100], v[99:100], v[97:98]
	v_rcp_f64_e32 v[103:104], v[101:102]
	v_fma_f64 v[105:106], -v[101:102], v[103:104], 1.0
	v_fma_f64 v[103:104], v[103:104], v[105:106], v[103:104]
	v_div_scale_f64 v[105:106], vcc, v[97:98], v[99:100], v[97:98]
	v_fma_f64 v[107:108], -v[101:102], v[103:104], 1.0
	v_fma_f64 v[103:104], v[103:104], v[107:108], v[103:104]
	v_mul_f64 v[107:108], v[105:106], v[103:104]
	v_fma_f64 v[101:102], -v[101:102], v[107:108], v[105:106]
	v_div_fmas_f64 v[101:102], v[101:102], v[103:104], v[107:108]
	v_div_fixup_f64 v[101:102], v[101:102], v[99:100], v[97:98]
	v_fma_f64 v[97:98], v[97:98], v[101:102], v[99:100]
	v_div_scale_f64 v[99:100], s[6:7], v[97:98], v[97:98], 1.0
	v_div_scale_f64 v[107:108], vcc, 1.0, v[97:98], 1.0
	v_rcp_f64_e32 v[103:104], v[99:100]
	v_fma_f64 v[105:106], -v[99:100], v[103:104], 1.0
	v_fma_f64 v[103:104], v[103:104], v[105:106], v[103:104]
	v_fma_f64 v[105:106], -v[99:100], v[103:104], 1.0
	v_fma_f64 v[103:104], v[103:104], v[105:106], v[103:104]
	v_mul_f64 v[105:106], v[107:108], v[103:104]
	v_fma_f64 v[99:100], -v[99:100], v[105:106], v[107:108]
	v_div_fmas_f64 v[99:100], v[99:100], v[103:104], v[105:106]
	v_div_fixup_f64 v[103:104], v[99:100], v[97:98], 1.0
                                        ; implicit-def: $vgpr97_vgpr98
	v_mul_f64 v[101:102], v[101:102], v[103:104]
	v_xor_b32_e32 v104, 0x80000000, v104
.LBB111_239:
	s_andn2_saveexec_b64 s[2:3], s[2:3]
	s_cbranch_execz .LBB111_241
; %bb.240:
	v_div_scale_f64 v[101:102], s[6:7], v[97:98], v[97:98], v[99:100]
	v_rcp_f64_e32 v[103:104], v[101:102]
	v_fma_f64 v[105:106], -v[101:102], v[103:104], 1.0
	v_fma_f64 v[103:104], v[103:104], v[105:106], v[103:104]
	v_div_scale_f64 v[105:106], vcc, v[99:100], v[97:98], v[99:100]
	v_fma_f64 v[107:108], -v[101:102], v[103:104], 1.0
	v_fma_f64 v[103:104], v[103:104], v[107:108], v[103:104]
	v_mul_f64 v[107:108], v[105:106], v[103:104]
	v_fma_f64 v[101:102], -v[101:102], v[107:108], v[105:106]
	v_div_fmas_f64 v[101:102], v[101:102], v[103:104], v[107:108]
	v_div_fixup_f64 v[103:104], v[101:102], v[97:98], v[99:100]
	v_fma_f64 v[97:98], v[99:100], v[103:104], v[97:98]
	v_div_scale_f64 v[99:100], s[6:7], v[97:98], v[97:98], 1.0
	v_div_scale_f64 v[107:108], vcc, 1.0, v[97:98], 1.0
	v_rcp_f64_e32 v[101:102], v[99:100]
	v_fma_f64 v[105:106], -v[99:100], v[101:102], 1.0
	v_fma_f64 v[101:102], v[101:102], v[105:106], v[101:102]
	v_fma_f64 v[105:106], -v[99:100], v[101:102], 1.0
	v_fma_f64 v[101:102], v[101:102], v[105:106], v[101:102]
	v_mul_f64 v[105:106], v[107:108], v[101:102]
	v_fma_f64 v[99:100], -v[99:100], v[105:106], v[107:108]
	v_div_fmas_f64 v[99:100], v[99:100], v[101:102], v[105:106]
	v_div_fixup_f64 v[101:102], v[99:100], v[97:98], 1.0
	v_mul_f64 v[103:104], v[103:104], -v[101:102]
.LBB111_241:
	s_or_b64 exec, exec, s[2:3]
	ds_write2_b64 v127, v[101:102], v[103:104] offset1:1
.LBB111_242:
	s_or_b64 exec, exec, s[4:5]
	s_waitcnt lgkmcnt(0)
	s_barrier
	ds_read2_b64 v[87:90], v127 offset1:1
	v_cmp_lt_u32_e32 vcc, 26, v0
	s_waitcnt lgkmcnt(0)
	buffer_store_dword v87, off, s[20:23], 0 offset:1560 ; 4-byte Folded Spill
	s_nop 0
	buffer_store_dword v88, off, s[20:23], 0 offset:1564 ; 4-byte Folded Spill
	buffer_store_dword v89, off, s[20:23], 0 offset:1568 ; 4-byte Folded Spill
	;; [unrolled: 1-line block ×3, first 2 shown]
	s_and_saveexec_b64 s[2:3], vcc
	s_cbranch_execz .LBB111_244
; %bb.243:
	buffer_load_dword v107, off, s[20:23], 0 offset:272 ; 4-byte Folded Reload
	buffer_load_dword v108, off, s[20:23], 0 offset:276 ; 4-byte Folded Reload
	;; [unrolled: 1-line block ×8, first 2 shown]
	s_waitcnt vmcnt(2)
	v_mul_f64 v[99:100], v[87:88], v[109:110]
	s_waitcnt vmcnt(0)
	v_mul_f64 v[97:98], v[89:90], v[109:110]
	v_fma_f64 v[109:110], v[89:90], v[107:108], v[99:100]
	ds_read2_b64 v[99:102], v125 offset0:54 offset1:55
	v_fma_f64 v[97:98], v[87:88], v[107:108], -v[97:98]
	buffer_load_dword v105, off, s[20:23], 0 offset:256 ; 4-byte Folded Reload
	buffer_load_dword v106, off, s[20:23], 0 offset:260 ; 4-byte Folded Reload
	buffer_load_dword v107, off, s[20:23], 0 offset:264 ; 4-byte Folded Reload
	buffer_load_dword v108, off, s[20:23], 0 offset:268 ; 4-byte Folded Reload
	s_waitcnt lgkmcnt(0)
	v_mul_f64 v[103:104], v[101:102], v[109:110]
	v_fma_f64 v[103:104], v[99:100], v[97:98], -v[103:104]
	v_mul_f64 v[99:100], v[99:100], v[109:110]
	v_fma_f64 v[99:100], v[101:102], v[97:98], v[99:100]
	s_waitcnt vmcnt(2)
	v_add_f64 v[105:106], v[105:106], -v[103:104]
	s_waitcnt vmcnt(0)
	v_add_f64 v[107:108], v[107:108], -v[99:100]
	buffer_store_dword v105, off, s[20:23], 0 offset:256 ; 4-byte Folded Spill
	s_nop 0
	buffer_store_dword v106, off, s[20:23], 0 offset:260 ; 4-byte Folded Spill
	buffer_store_dword v107, off, s[20:23], 0 offset:264 ; 4-byte Folded Spill
	buffer_store_dword v108, off, s[20:23], 0 offset:268 ; 4-byte Folded Spill
	ds_read2_b64 v[99:102], v125 offset0:56 offset1:57
	buffer_load_dword v105, off, s[20:23], 0 offset:240 ; 4-byte Folded Reload
	buffer_load_dword v106, off, s[20:23], 0 offset:244 ; 4-byte Folded Reload
	buffer_load_dword v107, off, s[20:23], 0 offset:248 ; 4-byte Folded Reload
	buffer_load_dword v108, off, s[20:23], 0 offset:252 ; 4-byte Folded Reload
	s_waitcnt lgkmcnt(0)
	v_mul_f64 v[103:104], v[101:102], v[109:110]
	v_fma_f64 v[103:104], v[99:100], v[97:98], -v[103:104]
	v_mul_f64 v[99:100], v[99:100], v[109:110]
	v_fma_f64 v[99:100], v[101:102], v[97:98], v[99:100]
	s_waitcnt vmcnt(2)
	v_add_f64 v[105:106], v[105:106], -v[103:104]
	s_waitcnt vmcnt(0)
	v_add_f64 v[107:108], v[107:108], -v[99:100]
	buffer_store_dword v105, off, s[20:23], 0 offset:240 ; 4-byte Folded Spill
	s_nop 0
	buffer_store_dword v106, off, s[20:23], 0 offset:244 ; 4-byte Folded Spill
	buffer_store_dword v107, off, s[20:23], 0 offset:248 ; 4-byte Folded Spill
	buffer_store_dword v108, off, s[20:23], 0 offset:252 ; 4-byte Folded Spill
	ds_read2_b64 v[99:102], v125 offset0:58 offset1:59
	;; [unrolled: 19-line block ×6, first 2 shown]
	v_mov_b32_e32 v108, v98
	v_mov_b32_e32 v107, v97
	s_waitcnt lgkmcnt(0)
	v_mul_f64 v[103:104], v[101:102], v[109:110]
	v_fma_f64 v[103:104], v[99:100], v[97:98], -v[103:104]
	v_mul_f64 v[99:100], v[99:100], v[109:110]
	v_add_f64 v[91:92], v[91:92], -v[103:104]
	v_fma_f64 v[99:100], v[101:102], v[97:98], v[99:100]
	v_add_f64 v[93:94], v[93:94], -v[99:100]
	ds_read2_b64 v[99:102], v125 offset0:68 offset1:69
	buffer_load_dword v77, off, s[20:23], 0 offset:160 ; 4-byte Folded Reload
	buffer_load_dword v78, off, s[20:23], 0 offset:164 ; 4-byte Folded Reload
	buffer_load_dword v79, off, s[20:23], 0 offset:168 ; 4-byte Folded Reload
	buffer_load_dword v80, off, s[20:23], 0 offset:172 ; 4-byte Folded Reload
	s_waitcnt lgkmcnt(0)
	v_mul_f64 v[103:104], v[101:102], v[109:110]
	v_fma_f64 v[103:104], v[99:100], v[97:98], -v[103:104]
	v_mul_f64 v[99:100], v[99:100], v[109:110]
	v_fma_f64 v[99:100], v[101:102], v[97:98], v[99:100]
	s_waitcnt vmcnt(2)
	v_add_f64 v[77:78], v[77:78], -v[103:104]
	s_waitcnt vmcnt(0)
	v_add_f64 v[79:80], v[79:80], -v[99:100]
	buffer_store_dword v77, off, s[20:23], 0 offset:160 ; 4-byte Folded Spill
	s_nop 0
	buffer_store_dword v78, off, s[20:23], 0 offset:164 ; 4-byte Folded Spill
	buffer_store_dword v79, off, s[20:23], 0 offset:168 ; 4-byte Folded Spill
	buffer_store_dword v80, off, s[20:23], 0 offset:172 ; 4-byte Folded Spill
	ds_read2_b64 v[99:102], v125 offset0:70 offset1:71
	buffer_load_dword v77, off, s[20:23], 0 offset:144 ; 4-byte Folded Reload
	buffer_load_dword v78, off, s[20:23], 0 offset:148 ; 4-byte Folded Reload
	buffer_load_dword v79, off, s[20:23], 0 offset:152 ; 4-byte Folded Reload
	buffer_load_dword v80, off, s[20:23], 0 offset:156 ; 4-byte Folded Reload
	s_waitcnt lgkmcnt(0)
	v_mul_f64 v[103:104], v[101:102], v[109:110]
	v_fma_f64 v[103:104], v[99:100], v[97:98], -v[103:104]
	v_mul_f64 v[99:100], v[99:100], v[109:110]
	v_fma_f64 v[99:100], v[101:102], v[97:98], v[99:100]
	s_waitcnt vmcnt(2)
	v_add_f64 v[77:78], v[77:78], -v[103:104]
	s_waitcnt vmcnt(0)
	v_add_f64 v[79:80], v[79:80], -v[99:100]
	buffer_store_dword v77, off, s[20:23], 0 offset:144 ; 4-byte Folded Spill
	s_nop 0
	buffer_store_dword v78, off, s[20:23], 0 offset:148 ; 4-byte Folded Spill
	buffer_store_dword v79, off, s[20:23], 0 offset:152 ; 4-byte Folded Spill
	buffer_store_dword v80, off, s[20:23], 0 offset:156 ; 4-byte Folded Spill
	;; [unrolled: 19-line block ×10, first 2 shown]
	ds_read2_b64 v[99:102], v125 offset0:88 offset1:89
	buffer_load_dword v41, off, s[20:23], 0 ; 4-byte Folded Reload
	buffer_load_dword v42, off, s[20:23], 0 offset:4 ; 4-byte Folded Reload
	buffer_load_dword v43, off, s[20:23], 0 offset:8 ; 4-byte Folded Reload
	;; [unrolled: 1-line block ×3, first 2 shown]
	s_waitcnt lgkmcnt(0)
	v_mul_f64 v[103:104], v[101:102], v[109:110]
	v_fma_f64 v[103:104], v[99:100], v[97:98], -v[103:104]
	v_mul_f64 v[99:100], v[99:100], v[109:110]
	v_fma_f64 v[99:100], v[101:102], v[97:98], v[99:100]
	s_waitcnt vmcnt(2)
	v_add_f64 v[41:42], v[41:42], -v[103:104]
	s_waitcnt vmcnt(0)
	v_add_f64 v[43:44], v[43:44], -v[99:100]
	buffer_store_dword v41, off, s[20:23], 0 ; 4-byte Folded Spill
	s_nop 0
	buffer_store_dword v42, off, s[20:23], 0 offset:4 ; 4-byte Folded Spill
	buffer_store_dword v43, off, s[20:23], 0 offset:8 ; 4-byte Folded Spill
	buffer_store_dword v44, off, s[20:23], 0 offset:12 ; 4-byte Folded Spill
	ds_read2_b64 v[99:102], v125 offset0:90 offset1:91
	s_waitcnt lgkmcnt(0)
	v_mul_f64 v[103:104], v[101:102], v[109:110]
	v_fma_f64 v[103:104], v[99:100], v[97:98], -v[103:104]
	v_mul_f64 v[99:100], v[99:100], v[109:110]
	v_add_f64 v[37:38], v[37:38], -v[103:104]
	v_fma_f64 v[99:100], v[101:102], v[97:98], v[99:100]
	v_add_f64 v[39:40], v[39:40], -v[99:100]
	ds_read2_b64 v[99:102], v125 offset0:92 offset1:93
	s_waitcnt lgkmcnt(0)
	v_mul_f64 v[103:104], v[101:102], v[109:110]
	v_fma_f64 v[103:104], v[99:100], v[97:98], -v[103:104]
	v_mul_f64 v[99:100], v[99:100], v[109:110]
	v_add_f64 v[33:34], v[33:34], -v[103:104]
	v_fma_f64 v[99:100], v[101:102], v[97:98], v[99:100]
	v_add_f64 v[35:36], v[35:36], -v[99:100]
	;; [unrolled: 8-line block ×10, first 2 shown]
	ds_read2_b64 v[99:102], v125 offset0:110 offset1:111
	s_waitcnt lgkmcnt(0)
	v_mul_f64 v[103:104], v[101:102], v[109:110]
	v_fma_f64 v[103:104], v[99:100], v[97:98], -v[103:104]
	v_mul_f64 v[99:100], v[99:100], v[109:110]
	buffer_store_dword v107, off, s[20:23], 0 offset:272 ; 4-byte Folded Spill
	s_nop 0
	buffer_store_dword v108, off, s[20:23], 0 offset:276 ; 4-byte Folded Spill
	buffer_store_dword v109, off, s[20:23], 0 offset:280 ; 4-byte Folded Spill
	;; [unrolled: 1-line block ×3, first 2 shown]
	v_add_f64 v[121:122], v[121:122], -v[103:104]
	v_fma_f64 v[99:100], v[101:102], v[97:98], v[99:100]
	v_add_f64 v[123:124], v[123:124], -v[99:100]
.LBB111_244:
	s_or_b64 exec, exec, s[2:3]
	v_cmp_eq_u32_e32 vcc, 27, v0
	s_waitcnt vmcnt(0)
	s_barrier
	s_and_saveexec_b64 s[4:5], vcc
	s_cbranch_execz .LBB111_251
; %bb.245:
	buffer_load_dword v95, off, s[20:23], 0 offset:256 ; 4-byte Folded Reload
	buffer_load_dword v96, off, s[20:23], 0 offset:260 ; 4-byte Folded Reload
	;; [unrolled: 1-line block ×4, first 2 shown]
	s_waitcnt vmcnt(0)
	ds_write2_b64 v127, v[95:96], v[97:98] offset1:1
	buffer_load_dword v95, off, s[20:23], 0 offset:240 ; 4-byte Folded Reload
	buffer_load_dword v96, off, s[20:23], 0 offset:244 ; 4-byte Folded Reload
	buffer_load_dword v97, off, s[20:23], 0 offset:248 ; 4-byte Folded Reload
	buffer_load_dword v98, off, s[20:23], 0 offset:252 ; 4-byte Folded Reload
	s_waitcnt vmcnt(0)
	ds_write2_b64 v125, v[95:96], v[97:98] offset0:56 offset1:57
	buffer_load_dword v95, off, s[20:23], 0 offset:224 ; 4-byte Folded Reload
	buffer_load_dword v96, off, s[20:23], 0 offset:228 ; 4-byte Folded Reload
	buffer_load_dword v97, off, s[20:23], 0 offset:232 ; 4-byte Folded Reload
	buffer_load_dword v98, off, s[20:23], 0 offset:236 ; 4-byte Folded Reload
	s_waitcnt vmcnt(0)
	ds_write2_b64 v125, v[95:96], v[97:98] offset0:58 offset1:59
	;; [unrolled: 6-line block ×5, first 2 shown]
	ds_write2_b64 v125, v[91:92], v[93:94] offset0:66 offset1:67
	buffer_load_dword v77, off, s[20:23], 0 offset:160 ; 4-byte Folded Reload
	buffer_load_dword v78, off, s[20:23], 0 offset:164 ; 4-byte Folded Reload
	buffer_load_dword v79, off, s[20:23], 0 offset:168 ; 4-byte Folded Reload
	buffer_load_dword v80, off, s[20:23], 0 offset:172 ; 4-byte Folded Reload
	s_waitcnt vmcnt(0)
	ds_write2_b64 v125, v[77:78], v[79:80] offset0:68 offset1:69
	buffer_load_dword v77, off, s[20:23], 0 offset:144 ; 4-byte Folded Reload
	buffer_load_dword v78, off, s[20:23], 0 offset:148 ; 4-byte Folded Reload
	buffer_load_dword v79, off, s[20:23], 0 offset:152 ; 4-byte Folded Reload
	buffer_load_dword v80, off, s[20:23], 0 offset:156 ; 4-byte Folded Reload
	s_waitcnt vmcnt(0)
	;; [unrolled: 6-line block ×10, first 2 shown]
	ds_write2_b64 v125, v[45:46], v[47:48] offset0:86 offset1:87
	buffer_load_dword v41, off, s[20:23], 0 ; 4-byte Folded Reload
	buffer_load_dword v42, off, s[20:23], 0 offset:4 ; 4-byte Folded Reload
	buffer_load_dword v43, off, s[20:23], 0 offset:8 ; 4-byte Folded Reload
	;; [unrolled: 1-line block ×3, first 2 shown]
	s_waitcnt vmcnt(0)
	ds_write2_b64 v125, v[41:42], v[43:44] offset0:88 offset1:89
	ds_write2_b64 v125, v[37:38], v[39:40] offset0:90 offset1:91
	;; [unrolled: 1-line block ×12, first 2 shown]
	ds_read2_b64 v[97:100], v127 offset1:1
	s_waitcnt lgkmcnt(0)
	v_cmp_neq_f64_e32 vcc, 0, v[97:98]
	v_cmp_neq_f64_e64 s[2:3], 0, v[99:100]
	s_or_b64 s[2:3], vcc, s[2:3]
	s_and_b64 exec, exec, s[2:3]
	s_cbranch_execz .LBB111_251
; %bb.246:
	v_cmp_ngt_f64_e64 s[2:3], |v[97:98]|, |v[99:100]|
                                        ; implicit-def: $vgpr101_vgpr102
	s_and_saveexec_b64 s[6:7], s[2:3]
	s_xor_b64 s[2:3], exec, s[6:7]
                                        ; implicit-def: $vgpr103_vgpr104
	s_cbranch_execz .LBB111_248
; %bb.247:
	v_div_scale_f64 v[101:102], s[6:7], v[99:100], v[99:100], v[97:98]
	v_rcp_f64_e32 v[103:104], v[101:102]
	v_fma_f64 v[105:106], -v[101:102], v[103:104], 1.0
	v_fma_f64 v[103:104], v[103:104], v[105:106], v[103:104]
	v_div_scale_f64 v[105:106], vcc, v[97:98], v[99:100], v[97:98]
	v_fma_f64 v[107:108], -v[101:102], v[103:104], 1.0
	v_fma_f64 v[103:104], v[103:104], v[107:108], v[103:104]
	v_mul_f64 v[107:108], v[105:106], v[103:104]
	v_fma_f64 v[101:102], -v[101:102], v[107:108], v[105:106]
	v_div_fmas_f64 v[101:102], v[101:102], v[103:104], v[107:108]
	v_div_fixup_f64 v[101:102], v[101:102], v[99:100], v[97:98]
	v_fma_f64 v[97:98], v[97:98], v[101:102], v[99:100]
	v_div_scale_f64 v[99:100], s[6:7], v[97:98], v[97:98], 1.0
	v_div_scale_f64 v[107:108], vcc, 1.0, v[97:98], 1.0
	v_rcp_f64_e32 v[103:104], v[99:100]
	v_fma_f64 v[105:106], -v[99:100], v[103:104], 1.0
	v_fma_f64 v[103:104], v[103:104], v[105:106], v[103:104]
	v_fma_f64 v[105:106], -v[99:100], v[103:104], 1.0
	v_fma_f64 v[103:104], v[103:104], v[105:106], v[103:104]
	v_mul_f64 v[105:106], v[107:108], v[103:104]
	v_fma_f64 v[99:100], -v[99:100], v[105:106], v[107:108]
	v_div_fmas_f64 v[99:100], v[99:100], v[103:104], v[105:106]
	v_div_fixup_f64 v[103:104], v[99:100], v[97:98], 1.0
                                        ; implicit-def: $vgpr97_vgpr98
	v_mul_f64 v[101:102], v[101:102], v[103:104]
	v_xor_b32_e32 v104, 0x80000000, v104
.LBB111_248:
	s_andn2_saveexec_b64 s[2:3], s[2:3]
	s_cbranch_execz .LBB111_250
; %bb.249:
	v_div_scale_f64 v[101:102], s[6:7], v[97:98], v[97:98], v[99:100]
	v_rcp_f64_e32 v[103:104], v[101:102]
	v_fma_f64 v[105:106], -v[101:102], v[103:104], 1.0
	v_fma_f64 v[103:104], v[103:104], v[105:106], v[103:104]
	v_div_scale_f64 v[105:106], vcc, v[99:100], v[97:98], v[99:100]
	v_fma_f64 v[107:108], -v[101:102], v[103:104], 1.0
	v_fma_f64 v[103:104], v[103:104], v[107:108], v[103:104]
	v_mul_f64 v[107:108], v[105:106], v[103:104]
	v_fma_f64 v[101:102], -v[101:102], v[107:108], v[105:106]
	v_div_fmas_f64 v[101:102], v[101:102], v[103:104], v[107:108]
	v_div_fixup_f64 v[103:104], v[101:102], v[97:98], v[99:100]
	v_fma_f64 v[97:98], v[99:100], v[103:104], v[97:98]
	v_div_scale_f64 v[99:100], s[6:7], v[97:98], v[97:98], 1.0
	v_div_scale_f64 v[107:108], vcc, 1.0, v[97:98], 1.0
	v_rcp_f64_e32 v[101:102], v[99:100]
	v_fma_f64 v[105:106], -v[99:100], v[101:102], 1.0
	v_fma_f64 v[101:102], v[101:102], v[105:106], v[101:102]
	v_fma_f64 v[105:106], -v[99:100], v[101:102], 1.0
	v_fma_f64 v[101:102], v[101:102], v[105:106], v[101:102]
	v_mul_f64 v[105:106], v[107:108], v[101:102]
	v_fma_f64 v[99:100], -v[99:100], v[105:106], v[107:108]
	v_div_fmas_f64 v[99:100], v[99:100], v[101:102], v[105:106]
	v_div_fixup_f64 v[101:102], v[99:100], v[97:98], 1.0
	v_mul_f64 v[103:104], v[103:104], -v[101:102]
.LBB111_250:
	s_or_b64 exec, exec, s[2:3]
	ds_write2_b64 v127, v[101:102], v[103:104] offset1:1
.LBB111_251:
	s_or_b64 exec, exec, s[4:5]
	s_waitcnt lgkmcnt(0)
	s_barrier
	ds_read2_b64 v[87:90], v127 offset1:1
	v_cmp_lt_u32_e32 vcc, 27, v0
	s_waitcnt lgkmcnt(0)
	buffer_store_dword v87, off, s[20:23], 0 offset:1576 ; 4-byte Folded Spill
	s_nop 0
	buffer_store_dword v88, off, s[20:23], 0 offset:1580 ; 4-byte Folded Spill
	buffer_store_dword v89, off, s[20:23], 0 offset:1584 ; 4-byte Folded Spill
	;; [unrolled: 1-line block ×3, first 2 shown]
	s_and_saveexec_b64 s[2:3], vcc
	s_cbranch_execz .LBB111_253
; %bb.252:
	buffer_load_dword v107, off, s[20:23], 0 offset:256 ; 4-byte Folded Reload
	buffer_load_dword v108, off, s[20:23], 0 offset:260 ; 4-byte Folded Reload
	;; [unrolled: 1-line block ×8, first 2 shown]
	s_waitcnt vmcnt(2)
	v_mul_f64 v[99:100], v[87:88], v[109:110]
	s_waitcnt vmcnt(0)
	v_mul_f64 v[97:98], v[89:90], v[109:110]
	v_fma_f64 v[109:110], v[89:90], v[107:108], v[99:100]
	ds_read2_b64 v[99:102], v125 offset0:56 offset1:57
	v_fma_f64 v[97:98], v[87:88], v[107:108], -v[97:98]
	buffer_load_dword v105, off, s[20:23], 0 offset:240 ; 4-byte Folded Reload
	buffer_load_dword v106, off, s[20:23], 0 offset:244 ; 4-byte Folded Reload
	buffer_load_dword v107, off, s[20:23], 0 offset:248 ; 4-byte Folded Reload
	buffer_load_dword v108, off, s[20:23], 0 offset:252 ; 4-byte Folded Reload
	s_waitcnt lgkmcnt(0)
	v_mul_f64 v[103:104], v[101:102], v[109:110]
	v_fma_f64 v[103:104], v[99:100], v[97:98], -v[103:104]
	v_mul_f64 v[99:100], v[99:100], v[109:110]
	v_fma_f64 v[99:100], v[101:102], v[97:98], v[99:100]
	s_waitcnt vmcnt(2)
	v_add_f64 v[105:106], v[105:106], -v[103:104]
	s_waitcnt vmcnt(0)
	v_add_f64 v[107:108], v[107:108], -v[99:100]
	buffer_store_dword v105, off, s[20:23], 0 offset:240 ; 4-byte Folded Spill
	s_nop 0
	buffer_store_dword v106, off, s[20:23], 0 offset:244 ; 4-byte Folded Spill
	buffer_store_dword v107, off, s[20:23], 0 offset:248 ; 4-byte Folded Spill
	buffer_store_dword v108, off, s[20:23], 0 offset:252 ; 4-byte Folded Spill
	ds_read2_b64 v[99:102], v125 offset0:58 offset1:59
	buffer_load_dword v105, off, s[20:23], 0 offset:224 ; 4-byte Folded Reload
	buffer_load_dword v106, off, s[20:23], 0 offset:228 ; 4-byte Folded Reload
	buffer_load_dword v107, off, s[20:23], 0 offset:232 ; 4-byte Folded Reload
	buffer_load_dword v108, off, s[20:23], 0 offset:236 ; 4-byte Folded Reload
	s_waitcnt lgkmcnt(0)
	v_mul_f64 v[103:104], v[101:102], v[109:110]
	v_fma_f64 v[103:104], v[99:100], v[97:98], -v[103:104]
	v_mul_f64 v[99:100], v[99:100], v[109:110]
	v_fma_f64 v[99:100], v[101:102], v[97:98], v[99:100]
	s_waitcnt vmcnt(2)
	v_add_f64 v[105:106], v[105:106], -v[103:104]
	s_waitcnt vmcnt(0)
	v_add_f64 v[107:108], v[107:108], -v[99:100]
	buffer_store_dword v105, off, s[20:23], 0 offset:224 ; 4-byte Folded Spill
	s_nop 0
	buffer_store_dword v106, off, s[20:23], 0 offset:228 ; 4-byte Folded Spill
	buffer_store_dword v107, off, s[20:23], 0 offset:232 ; 4-byte Folded Spill
	buffer_store_dword v108, off, s[20:23], 0 offset:236 ; 4-byte Folded Spill
	ds_read2_b64 v[99:102], v125 offset0:60 offset1:61
	buffer_load_dword v105, off, s[20:23], 0 offset:208 ; 4-byte Folded Reload
	buffer_load_dword v106, off, s[20:23], 0 offset:212 ; 4-byte Folded Reload
	buffer_load_dword v107, off, s[20:23], 0 offset:216 ; 4-byte Folded Reload
	buffer_load_dword v108, off, s[20:23], 0 offset:220 ; 4-byte Folded Reload
	s_waitcnt lgkmcnt(0)
	v_mul_f64 v[103:104], v[101:102], v[109:110]
	v_fma_f64 v[103:104], v[99:100], v[97:98], -v[103:104]
	v_mul_f64 v[99:100], v[99:100], v[109:110]
	v_fma_f64 v[99:100], v[101:102], v[97:98], v[99:100]
	s_waitcnt vmcnt(2)
	v_add_f64 v[105:106], v[105:106], -v[103:104]
	s_waitcnt vmcnt(0)
	v_add_f64 v[107:108], v[107:108], -v[99:100]
	buffer_store_dword v105, off, s[20:23], 0 offset:208 ; 4-byte Folded Spill
	s_nop 0
	buffer_store_dword v106, off, s[20:23], 0 offset:212 ; 4-byte Folded Spill
	buffer_store_dword v107, off, s[20:23], 0 offset:216 ; 4-byte Folded Spill
	buffer_store_dword v108, off, s[20:23], 0 offset:220 ; 4-byte Folded Spill
	ds_read2_b64 v[99:102], v125 offset0:62 offset1:63
	buffer_load_dword v105, off, s[20:23], 0 offset:192 ; 4-byte Folded Reload
	buffer_load_dword v106, off, s[20:23], 0 offset:196 ; 4-byte Folded Reload
	buffer_load_dword v107, off, s[20:23], 0 offset:200 ; 4-byte Folded Reload
	buffer_load_dword v108, off, s[20:23], 0 offset:204 ; 4-byte Folded Reload
	s_waitcnt lgkmcnt(0)
	v_mul_f64 v[103:104], v[101:102], v[109:110]
	v_fma_f64 v[103:104], v[99:100], v[97:98], -v[103:104]
	v_mul_f64 v[99:100], v[99:100], v[109:110]
	v_fma_f64 v[99:100], v[101:102], v[97:98], v[99:100]
	s_waitcnt vmcnt(2)
	v_add_f64 v[105:106], v[105:106], -v[103:104]
	s_waitcnt vmcnt(0)
	v_add_f64 v[107:108], v[107:108], -v[99:100]
	buffer_store_dword v105, off, s[20:23], 0 offset:192 ; 4-byte Folded Spill
	s_nop 0
	buffer_store_dword v106, off, s[20:23], 0 offset:196 ; 4-byte Folded Spill
	buffer_store_dword v107, off, s[20:23], 0 offset:200 ; 4-byte Folded Spill
	buffer_store_dword v108, off, s[20:23], 0 offset:204 ; 4-byte Folded Spill
	ds_read2_b64 v[99:102], v125 offset0:64 offset1:65
	buffer_load_dword v105, off, s[20:23], 0 offset:176 ; 4-byte Folded Reload
	buffer_load_dword v106, off, s[20:23], 0 offset:180 ; 4-byte Folded Reload
	buffer_load_dword v107, off, s[20:23], 0 offset:184 ; 4-byte Folded Reload
	buffer_load_dword v108, off, s[20:23], 0 offset:188 ; 4-byte Folded Reload
	s_waitcnt lgkmcnt(0)
	v_mul_f64 v[103:104], v[101:102], v[109:110]
	v_fma_f64 v[103:104], v[99:100], v[97:98], -v[103:104]
	v_mul_f64 v[99:100], v[99:100], v[109:110]
	v_fma_f64 v[99:100], v[101:102], v[97:98], v[99:100]
	s_waitcnt vmcnt(2)
	v_add_f64 v[105:106], v[105:106], -v[103:104]
	s_waitcnt vmcnt(0)
	v_add_f64 v[107:108], v[107:108], -v[99:100]
	buffer_store_dword v105, off, s[20:23], 0 offset:176 ; 4-byte Folded Spill
	s_nop 0
	buffer_store_dword v106, off, s[20:23], 0 offset:180 ; 4-byte Folded Spill
	buffer_store_dword v107, off, s[20:23], 0 offset:184 ; 4-byte Folded Spill
	buffer_store_dword v108, off, s[20:23], 0 offset:188 ; 4-byte Folded Spill
	ds_read2_b64 v[99:102], v125 offset0:66 offset1:67
	v_mov_b32_e32 v108, v98
	v_mov_b32_e32 v107, v97
	s_waitcnt lgkmcnt(0)
	v_mul_f64 v[103:104], v[101:102], v[109:110]
	v_fma_f64 v[103:104], v[99:100], v[97:98], -v[103:104]
	v_mul_f64 v[99:100], v[99:100], v[109:110]
	v_add_f64 v[91:92], v[91:92], -v[103:104]
	v_fma_f64 v[99:100], v[101:102], v[97:98], v[99:100]
	v_add_f64 v[93:94], v[93:94], -v[99:100]
	ds_read2_b64 v[99:102], v125 offset0:68 offset1:69
	buffer_load_dword v77, off, s[20:23], 0 offset:160 ; 4-byte Folded Reload
	buffer_load_dword v78, off, s[20:23], 0 offset:164 ; 4-byte Folded Reload
	buffer_load_dword v79, off, s[20:23], 0 offset:168 ; 4-byte Folded Reload
	buffer_load_dword v80, off, s[20:23], 0 offset:172 ; 4-byte Folded Reload
	s_waitcnt lgkmcnt(0)
	v_mul_f64 v[103:104], v[101:102], v[109:110]
	v_fma_f64 v[103:104], v[99:100], v[97:98], -v[103:104]
	v_mul_f64 v[99:100], v[99:100], v[109:110]
	v_fma_f64 v[99:100], v[101:102], v[97:98], v[99:100]
	s_waitcnt vmcnt(2)
	v_add_f64 v[77:78], v[77:78], -v[103:104]
	s_waitcnt vmcnt(0)
	v_add_f64 v[79:80], v[79:80], -v[99:100]
	buffer_store_dword v77, off, s[20:23], 0 offset:160 ; 4-byte Folded Spill
	s_nop 0
	buffer_store_dword v78, off, s[20:23], 0 offset:164 ; 4-byte Folded Spill
	buffer_store_dword v79, off, s[20:23], 0 offset:168 ; 4-byte Folded Spill
	buffer_store_dword v80, off, s[20:23], 0 offset:172 ; 4-byte Folded Spill
	ds_read2_b64 v[99:102], v125 offset0:70 offset1:71
	buffer_load_dword v77, off, s[20:23], 0 offset:144 ; 4-byte Folded Reload
	buffer_load_dword v78, off, s[20:23], 0 offset:148 ; 4-byte Folded Reload
	buffer_load_dword v79, off, s[20:23], 0 offset:152 ; 4-byte Folded Reload
	buffer_load_dword v80, off, s[20:23], 0 offset:156 ; 4-byte Folded Reload
	s_waitcnt lgkmcnt(0)
	v_mul_f64 v[103:104], v[101:102], v[109:110]
	v_fma_f64 v[103:104], v[99:100], v[97:98], -v[103:104]
	v_mul_f64 v[99:100], v[99:100], v[109:110]
	v_fma_f64 v[99:100], v[101:102], v[97:98], v[99:100]
	s_waitcnt vmcnt(2)
	v_add_f64 v[77:78], v[77:78], -v[103:104]
	s_waitcnt vmcnt(0)
	v_add_f64 v[79:80], v[79:80], -v[99:100]
	buffer_store_dword v77, off, s[20:23], 0 offset:144 ; 4-byte Folded Spill
	s_nop 0
	buffer_store_dword v78, off, s[20:23], 0 offset:148 ; 4-byte Folded Spill
	buffer_store_dword v79, off, s[20:23], 0 offset:152 ; 4-byte Folded Spill
	buffer_store_dword v80, off, s[20:23], 0 offset:156 ; 4-byte Folded Spill
	;; [unrolled: 19-line block ×10, first 2 shown]
	ds_read2_b64 v[99:102], v125 offset0:88 offset1:89
	buffer_load_dword v41, off, s[20:23], 0 ; 4-byte Folded Reload
	buffer_load_dword v42, off, s[20:23], 0 offset:4 ; 4-byte Folded Reload
	buffer_load_dword v43, off, s[20:23], 0 offset:8 ; 4-byte Folded Reload
	;; [unrolled: 1-line block ×3, first 2 shown]
	s_waitcnt lgkmcnt(0)
	v_mul_f64 v[103:104], v[101:102], v[109:110]
	v_fma_f64 v[103:104], v[99:100], v[97:98], -v[103:104]
	v_mul_f64 v[99:100], v[99:100], v[109:110]
	v_fma_f64 v[99:100], v[101:102], v[97:98], v[99:100]
	s_waitcnt vmcnt(2)
	v_add_f64 v[41:42], v[41:42], -v[103:104]
	s_waitcnt vmcnt(0)
	v_add_f64 v[43:44], v[43:44], -v[99:100]
	buffer_store_dword v41, off, s[20:23], 0 ; 4-byte Folded Spill
	s_nop 0
	buffer_store_dword v42, off, s[20:23], 0 offset:4 ; 4-byte Folded Spill
	buffer_store_dword v43, off, s[20:23], 0 offset:8 ; 4-byte Folded Spill
	;; [unrolled: 1-line block ×3, first 2 shown]
	ds_read2_b64 v[99:102], v125 offset0:90 offset1:91
	s_waitcnt lgkmcnt(0)
	v_mul_f64 v[103:104], v[101:102], v[109:110]
	v_fma_f64 v[103:104], v[99:100], v[97:98], -v[103:104]
	v_mul_f64 v[99:100], v[99:100], v[109:110]
	v_add_f64 v[37:38], v[37:38], -v[103:104]
	v_fma_f64 v[99:100], v[101:102], v[97:98], v[99:100]
	v_add_f64 v[39:40], v[39:40], -v[99:100]
	ds_read2_b64 v[99:102], v125 offset0:92 offset1:93
	s_waitcnt lgkmcnt(0)
	v_mul_f64 v[103:104], v[101:102], v[109:110]
	v_fma_f64 v[103:104], v[99:100], v[97:98], -v[103:104]
	v_mul_f64 v[99:100], v[99:100], v[109:110]
	v_add_f64 v[33:34], v[33:34], -v[103:104]
	v_fma_f64 v[99:100], v[101:102], v[97:98], v[99:100]
	v_add_f64 v[35:36], v[35:36], -v[99:100]
	;; [unrolled: 8-line block ×10, first 2 shown]
	ds_read2_b64 v[99:102], v125 offset0:110 offset1:111
	s_waitcnt lgkmcnt(0)
	v_mul_f64 v[103:104], v[101:102], v[109:110]
	v_fma_f64 v[103:104], v[99:100], v[97:98], -v[103:104]
	v_mul_f64 v[99:100], v[99:100], v[109:110]
	buffer_store_dword v107, off, s[20:23], 0 offset:256 ; 4-byte Folded Spill
	s_nop 0
	buffer_store_dword v108, off, s[20:23], 0 offset:260 ; 4-byte Folded Spill
	buffer_store_dword v109, off, s[20:23], 0 offset:264 ; 4-byte Folded Spill
	;; [unrolled: 1-line block ×3, first 2 shown]
	v_add_f64 v[121:122], v[121:122], -v[103:104]
	v_fma_f64 v[99:100], v[101:102], v[97:98], v[99:100]
	v_add_f64 v[123:124], v[123:124], -v[99:100]
.LBB111_253:
	s_or_b64 exec, exec, s[2:3]
	v_cmp_eq_u32_e32 vcc, 28, v0
	s_waitcnt vmcnt(0)
	s_barrier
	s_and_saveexec_b64 s[4:5], vcc
	s_cbranch_execz .LBB111_260
; %bb.254:
	buffer_load_dword v95, off, s[20:23], 0 offset:240 ; 4-byte Folded Reload
	buffer_load_dword v96, off, s[20:23], 0 offset:244 ; 4-byte Folded Reload
	;; [unrolled: 1-line block ×4, first 2 shown]
	s_waitcnt vmcnt(0)
	ds_write2_b64 v127, v[95:96], v[97:98] offset1:1
	buffer_load_dword v95, off, s[20:23], 0 offset:224 ; 4-byte Folded Reload
	buffer_load_dword v96, off, s[20:23], 0 offset:228 ; 4-byte Folded Reload
	buffer_load_dword v97, off, s[20:23], 0 offset:232 ; 4-byte Folded Reload
	buffer_load_dword v98, off, s[20:23], 0 offset:236 ; 4-byte Folded Reload
	s_waitcnt vmcnt(0)
	ds_write2_b64 v125, v[95:96], v[97:98] offset0:58 offset1:59
	buffer_load_dword v95, off, s[20:23], 0 offset:208 ; 4-byte Folded Reload
	buffer_load_dword v96, off, s[20:23], 0 offset:212 ; 4-byte Folded Reload
	buffer_load_dword v97, off, s[20:23], 0 offset:216 ; 4-byte Folded Reload
	buffer_load_dword v98, off, s[20:23], 0 offset:220 ; 4-byte Folded Reload
	s_waitcnt vmcnt(0)
	ds_write2_b64 v125, v[95:96], v[97:98] offset0:60 offset1:61
	;; [unrolled: 6-line block ×4, first 2 shown]
	ds_write2_b64 v125, v[91:92], v[93:94] offset0:66 offset1:67
	buffer_load_dword v77, off, s[20:23], 0 offset:160 ; 4-byte Folded Reload
	buffer_load_dword v78, off, s[20:23], 0 offset:164 ; 4-byte Folded Reload
	buffer_load_dword v79, off, s[20:23], 0 offset:168 ; 4-byte Folded Reload
	buffer_load_dword v80, off, s[20:23], 0 offset:172 ; 4-byte Folded Reload
	s_waitcnt vmcnt(0)
	ds_write2_b64 v125, v[77:78], v[79:80] offset0:68 offset1:69
	buffer_load_dword v77, off, s[20:23], 0 offset:144 ; 4-byte Folded Reload
	buffer_load_dword v78, off, s[20:23], 0 offset:148 ; 4-byte Folded Reload
	buffer_load_dword v79, off, s[20:23], 0 offset:152 ; 4-byte Folded Reload
	buffer_load_dword v80, off, s[20:23], 0 offset:156 ; 4-byte Folded Reload
	s_waitcnt vmcnt(0)
	ds_write2_b64 v125, v[77:78], v[79:80] offset0:70 offset1:71
	buffer_load_dword v73, off, s[20:23], 0 offset:128 ; 4-byte Folded Reload
	buffer_load_dword v74, off, s[20:23], 0 offset:132 ; 4-byte Folded Reload
	buffer_load_dword v75, off, s[20:23], 0 offset:136 ; 4-byte Folded Reload
	buffer_load_dword v76, off, s[20:23], 0 offset:140 ; 4-byte Folded Reload
	s_waitcnt vmcnt(0)
	ds_write2_b64 v125, v[73:74], v[75:76] offset0:72 offset1:73
	buffer_load_dword v69, off, s[20:23], 0 offset:112 ; 4-byte Folded Reload
	buffer_load_dword v70, off, s[20:23], 0 offset:116 ; 4-byte Folded Reload
	buffer_load_dword v71, off, s[20:23], 0 offset:120 ; 4-byte Folded Reload
	buffer_load_dword v72, off, s[20:23], 0 offset:124 ; 4-byte Folded Reload
	s_waitcnt vmcnt(0)
	ds_write2_b64 v125, v[69:70], v[71:72] offset0:74 offset1:75
	buffer_load_dword v65, off, s[20:23], 0 offset:96 ; 4-byte Folded Reload
	buffer_load_dword v66, off, s[20:23], 0 offset:100 ; 4-byte Folded Reload
	buffer_load_dword v67, off, s[20:23], 0 offset:104 ; 4-byte Folded Reload
	buffer_load_dword v68, off, s[20:23], 0 offset:108 ; 4-byte Folded Reload
	s_waitcnt vmcnt(0)
	ds_write2_b64 v125, v[65:66], v[67:68] offset0:76 offset1:77
	buffer_load_dword v61, off, s[20:23], 0 offset:80 ; 4-byte Folded Reload
	buffer_load_dword v62, off, s[20:23], 0 offset:84 ; 4-byte Folded Reload
	buffer_load_dword v63, off, s[20:23], 0 offset:88 ; 4-byte Folded Reload
	buffer_load_dword v64, off, s[20:23], 0 offset:92 ; 4-byte Folded Reload
	s_waitcnt vmcnt(0)
	ds_write2_b64 v125, v[61:62], v[63:64] offset0:78 offset1:79
	buffer_load_dword v57, off, s[20:23], 0 offset:64 ; 4-byte Folded Reload
	buffer_load_dword v58, off, s[20:23], 0 offset:68 ; 4-byte Folded Reload
	buffer_load_dword v59, off, s[20:23], 0 offset:72 ; 4-byte Folded Reload
	buffer_load_dword v60, off, s[20:23], 0 offset:76 ; 4-byte Folded Reload
	s_waitcnt vmcnt(0)
	ds_write2_b64 v125, v[57:58], v[59:60] offset0:80 offset1:81
	buffer_load_dword v53, off, s[20:23], 0 offset:48 ; 4-byte Folded Reload
	buffer_load_dword v54, off, s[20:23], 0 offset:52 ; 4-byte Folded Reload
	buffer_load_dword v55, off, s[20:23], 0 offset:56 ; 4-byte Folded Reload
	buffer_load_dword v56, off, s[20:23], 0 offset:60 ; 4-byte Folded Reload
	s_waitcnt vmcnt(0)
	ds_write2_b64 v125, v[53:54], v[55:56] offset0:82 offset1:83
	buffer_load_dword v49, off, s[20:23], 0 offset:32 ; 4-byte Folded Reload
	buffer_load_dword v50, off, s[20:23], 0 offset:36 ; 4-byte Folded Reload
	buffer_load_dword v51, off, s[20:23], 0 offset:40 ; 4-byte Folded Reload
	buffer_load_dword v52, off, s[20:23], 0 offset:44 ; 4-byte Folded Reload
	s_waitcnt vmcnt(0)
	ds_write2_b64 v125, v[49:50], v[51:52] offset0:84 offset1:85
	buffer_load_dword v45, off, s[20:23], 0 offset:16 ; 4-byte Folded Reload
	buffer_load_dword v46, off, s[20:23], 0 offset:20 ; 4-byte Folded Reload
	buffer_load_dword v47, off, s[20:23], 0 offset:24 ; 4-byte Folded Reload
	buffer_load_dword v48, off, s[20:23], 0 offset:28 ; 4-byte Folded Reload
	s_waitcnt vmcnt(0)
	ds_write2_b64 v125, v[45:46], v[47:48] offset0:86 offset1:87
	buffer_load_dword v41, off, s[20:23], 0 ; 4-byte Folded Reload
	buffer_load_dword v42, off, s[20:23], 0 offset:4 ; 4-byte Folded Reload
	buffer_load_dword v43, off, s[20:23], 0 offset:8 ; 4-byte Folded Reload
	buffer_load_dword v44, off, s[20:23], 0 offset:12 ; 4-byte Folded Reload
	s_waitcnt vmcnt(0)
	ds_write2_b64 v125, v[41:42], v[43:44] offset0:88 offset1:89
	ds_write2_b64 v125, v[37:38], v[39:40] offset0:90 offset1:91
	;; [unrolled: 1-line block ×12, first 2 shown]
	ds_read2_b64 v[97:100], v127 offset1:1
	s_waitcnt lgkmcnt(0)
	v_cmp_neq_f64_e32 vcc, 0, v[97:98]
	v_cmp_neq_f64_e64 s[2:3], 0, v[99:100]
	s_or_b64 s[2:3], vcc, s[2:3]
	s_and_b64 exec, exec, s[2:3]
	s_cbranch_execz .LBB111_260
; %bb.255:
	v_cmp_ngt_f64_e64 s[2:3], |v[97:98]|, |v[99:100]|
                                        ; implicit-def: $vgpr101_vgpr102
	s_and_saveexec_b64 s[6:7], s[2:3]
	s_xor_b64 s[2:3], exec, s[6:7]
                                        ; implicit-def: $vgpr103_vgpr104
	s_cbranch_execz .LBB111_257
; %bb.256:
	v_div_scale_f64 v[101:102], s[6:7], v[99:100], v[99:100], v[97:98]
	v_rcp_f64_e32 v[103:104], v[101:102]
	v_fma_f64 v[105:106], -v[101:102], v[103:104], 1.0
	v_fma_f64 v[103:104], v[103:104], v[105:106], v[103:104]
	v_div_scale_f64 v[105:106], vcc, v[97:98], v[99:100], v[97:98]
	v_fma_f64 v[107:108], -v[101:102], v[103:104], 1.0
	v_fma_f64 v[103:104], v[103:104], v[107:108], v[103:104]
	v_mul_f64 v[107:108], v[105:106], v[103:104]
	v_fma_f64 v[101:102], -v[101:102], v[107:108], v[105:106]
	v_div_fmas_f64 v[101:102], v[101:102], v[103:104], v[107:108]
	v_div_fixup_f64 v[101:102], v[101:102], v[99:100], v[97:98]
	v_fma_f64 v[97:98], v[97:98], v[101:102], v[99:100]
	v_div_scale_f64 v[99:100], s[6:7], v[97:98], v[97:98], 1.0
	v_div_scale_f64 v[107:108], vcc, 1.0, v[97:98], 1.0
	v_rcp_f64_e32 v[103:104], v[99:100]
	v_fma_f64 v[105:106], -v[99:100], v[103:104], 1.0
	v_fma_f64 v[103:104], v[103:104], v[105:106], v[103:104]
	v_fma_f64 v[105:106], -v[99:100], v[103:104], 1.0
	v_fma_f64 v[103:104], v[103:104], v[105:106], v[103:104]
	v_mul_f64 v[105:106], v[107:108], v[103:104]
	v_fma_f64 v[99:100], -v[99:100], v[105:106], v[107:108]
	v_div_fmas_f64 v[99:100], v[99:100], v[103:104], v[105:106]
	v_div_fixup_f64 v[103:104], v[99:100], v[97:98], 1.0
                                        ; implicit-def: $vgpr97_vgpr98
	v_mul_f64 v[101:102], v[101:102], v[103:104]
	v_xor_b32_e32 v104, 0x80000000, v104
.LBB111_257:
	s_andn2_saveexec_b64 s[2:3], s[2:3]
	s_cbranch_execz .LBB111_259
; %bb.258:
	v_div_scale_f64 v[101:102], s[6:7], v[97:98], v[97:98], v[99:100]
	v_rcp_f64_e32 v[103:104], v[101:102]
	v_fma_f64 v[105:106], -v[101:102], v[103:104], 1.0
	v_fma_f64 v[103:104], v[103:104], v[105:106], v[103:104]
	v_div_scale_f64 v[105:106], vcc, v[99:100], v[97:98], v[99:100]
	v_fma_f64 v[107:108], -v[101:102], v[103:104], 1.0
	v_fma_f64 v[103:104], v[103:104], v[107:108], v[103:104]
	v_mul_f64 v[107:108], v[105:106], v[103:104]
	v_fma_f64 v[101:102], -v[101:102], v[107:108], v[105:106]
	v_div_fmas_f64 v[101:102], v[101:102], v[103:104], v[107:108]
	v_div_fixup_f64 v[103:104], v[101:102], v[97:98], v[99:100]
	v_fma_f64 v[97:98], v[99:100], v[103:104], v[97:98]
	v_div_scale_f64 v[99:100], s[6:7], v[97:98], v[97:98], 1.0
	v_div_scale_f64 v[107:108], vcc, 1.0, v[97:98], 1.0
	v_rcp_f64_e32 v[101:102], v[99:100]
	v_fma_f64 v[105:106], -v[99:100], v[101:102], 1.0
	v_fma_f64 v[101:102], v[101:102], v[105:106], v[101:102]
	v_fma_f64 v[105:106], -v[99:100], v[101:102], 1.0
	v_fma_f64 v[101:102], v[101:102], v[105:106], v[101:102]
	v_mul_f64 v[105:106], v[107:108], v[101:102]
	v_fma_f64 v[99:100], -v[99:100], v[105:106], v[107:108]
	v_div_fmas_f64 v[99:100], v[99:100], v[101:102], v[105:106]
	v_div_fixup_f64 v[101:102], v[99:100], v[97:98], 1.0
	v_mul_f64 v[103:104], v[103:104], -v[101:102]
.LBB111_259:
	s_or_b64 exec, exec, s[2:3]
	ds_write2_b64 v127, v[101:102], v[103:104] offset1:1
.LBB111_260:
	s_or_b64 exec, exec, s[4:5]
	s_waitcnt lgkmcnt(0)
	s_barrier
	ds_read2_b64 v[87:90], v127 offset1:1
	v_cmp_lt_u32_e32 vcc, 28, v0
	s_waitcnt lgkmcnt(0)
	buffer_store_dword v87, off, s[20:23], 0 offset:1592 ; 4-byte Folded Spill
	s_nop 0
	buffer_store_dword v88, off, s[20:23], 0 offset:1596 ; 4-byte Folded Spill
	buffer_store_dword v89, off, s[20:23], 0 offset:1600 ; 4-byte Folded Spill
	buffer_store_dword v90, off, s[20:23], 0 offset:1604 ; 4-byte Folded Spill
	s_and_saveexec_b64 s[2:3], vcc
	s_cbranch_execz .LBB111_262
; %bb.261:
	buffer_load_dword v107, off, s[20:23], 0 offset:240 ; 4-byte Folded Reload
	buffer_load_dword v108, off, s[20:23], 0 offset:244 ; 4-byte Folded Reload
	;; [unrolled: 1-line block ×8, first 2 shown]
	s_waitcnt vmcnt(2)
	v_mul_f64 v[99:100], v[87:88], v[109:110]
	s_waitcnt vmcnt(0)
	v_mul_f64 v[97:98], v[89:90], v[109:110]
	v_fma_f64 v[109:110], v[89:90], v[107:108], v[99:100]
	ds_read2_b64 v[99:102], v125 offset0:58 offset1:59
	v_fma_f64 v[97:98], v[87:88], v[107:108], -v[97:98]
	buffer_load_dword v105, off, s[20:23], 0 offset:224 ; 4-byte Folded Reload
	buffer_load_dword v106, off, s[20:23], 0 offset:228 ; 4-byte Folded Reload
	buffer_load_dword v107, off, s[20:23], 0 offset:232 ; 4-byte Folded Reload
	buffer_load_dword v108, off, s[20:23], 0 offset:236 ; 4-byte Folded Reload
	s_waitcnt lgkmcnt(0)
	v_mul_f64 v[103:104], v[101:102], v[109:110]
	v_fma_f64 v[103:104], v[99:100], v[97:98], -v[103:104]
	v_mul_f64 v[99:100], v[99:100], v[109:110]
	v_fma_f64 v[99:100], v[101:102], v[97:98], v[99:100]
	s_waitcnt vmcnt(2)
	v_add_f64 v[105:106], v[105:106], -v[103:104]
	s_waitcnt vmcnt(0)
	v_add_f64 v[107:108], v[107:108], -v[99:100]
	buffer_store_dword v105, off, s[20:23], 0 offset:224 ; 4-byte Folded Spill
	s_nop 0
	buffer_store_dword v106, off, s[20:23], 0 offset:228 ; 4-byte Folded Spill
	buffer_store_dword v107, off, s[20:23], 0 offset:232 ; 4-byte Folded Spill
	buffer_store_dword v108, off, s[20:23], 0 offset:236 ; 4-byte Folded Spill
	ds_read2_b64 v[99:102], v125 offset0:60 offset1:61
	buffer_load_dword v105, off, s[20:23], 0 offset:208 ; 4-byte Folded Reload
	buffer_load_dword v106, off, s[20:23], 0 offset:212 ; 4-byte Folded Reload
	buffer_load_dword v107, off, s[20:23], 0 offset:216 ; 4-byte Folded Reload
	buffer_load_dword v108, off, s[20:23], 0 offset:220 ; 4-byte Folded Reload
	s_waitcnt lgkmcnt(0)
	v_mul_f64 v[103:104], v[101:102], v[109:110]
	v_fma_f64 v[103:104], v[99:100], v[97:98], -v[103:104]
	v_mul_f64 v[99:100], v[99:100], v[109:110]
	v_fma_f64 v[99:100], v[101:102], v[97:98], v[99:100]
	s_waitcnt vmcnt(2)
	v_add_f64 v[105:106], v[105:106], -v[103:104]
	s_waitcnt vmcnt(0)
	v_add_f64 v[107:108], v[107:108], -v[99:100]
	buffer_store_dword v105, off, s[20:23], 0 offset:208 ; 4-byte Folded Spill
	s_nop 0
	buffer_store_dword v106, off, s[20:23], 0 offset:212 ; 4-byte Folded Spill
	buffer_store_dword v107, off, s[20:23], 0 offset:216 ; 4-byte Folded Spill
	buffer_store_dword v108, off, s[20:23], 0 offset:220 ; 4-byte Folded Spill
	ds_read2_b64 v[99:102], v125 offset0:62 offset1:63
	;; [unrolled: 19-line block ×4, first 2 shown]
	v_mov_b32_e32 v108, v98
	v_mov_b32_e32 v107, v97
	s_waitcnt lgkmcnt(0)
	v_mul_f64 v[103:104], v[101:102], v[109:110]
	v_fma_f64 v[103:104], v[99:100], v[97:98], -v[103:104]
	v_mul_f64 v[99:100], v[99:100], v[109:110]
	v_add_f64 v[91:92], v[91:92], -v[103:104]
	v_fma_f64 v[99:100], v[101:102], v[97:98], v[99:100]
	v_add_f64 v[93:94], v[93:94], -v[99:100]
	ds_read2_b64 v[99:102], v125 offset0:68 offset1:69
	buffer_load_dword v77, off, s[20:23], 0 offset:160 ; 4-byte Folded Reload
	buffer_load_dword v78, off, s[20:23], 0 offset:164 ; 4-byte Folded Reload
	buffer_load_dword v79, off, s[20:23], 0 offset:168 ; 4-byte Folded Reload
	buffer_load_dword v80, off, s[20:23], 0 offset:172 ; 4-byte Folded Reload
	s_waitcnt lgkmcnt(0)
	v_mul_f64 v[103:104], v[101:102], v[109:110]
	v_fma_f64 v[103:104], v[99:100], v[97:98], -v[103:104]
	v_mul_f64 v[99:100], v[99:100], v[109:110]
	v_fma_f64 v[99:100], v[101:102], v[97:98], v[99:100]
	s_waitcnt vmcnt(2)
	v_add_f64 v[77:78], v[77:78], -v[103:104]
	s_waitcnt vmcnt(0)
	v_add_f64 v[79:80], v[79:80], -v[99:100]
	buffer_store_dword v77, off, s[20:23], 0 offset:160 ; 4-byte Folded Spill
	s_nop 0
	buffer_store_dword v78, off, s[20:23], 0 offset:164 ; 4-byte Folded Spill
	buffer_store_dword v79, off, s[20:23], 0 offset:168 ; 4-byte Folded Spill
	buffer_store_dword v80, off, s[20:23], 0 offset:172 ; 4-byte Folded Spill
	ds_read2_b64 v[99:102], v125 offset0:70 offset1:71
	buffer_load_dword v77, off, s[20:23], 0 offset:144 ; 4-byte Folded Reload
	buffer_load_dword v78, off, s[20:23], 0 offset:148 ; 4-byte Folded Reload
	buffer_load_dword v79, off, s[20:23], 0 offset:152 ; 4-byte Folded Reload
	buffer_load_dword v80, off, s[20:23], 0 offset:156 ; 4-byte Folded Reload
	s_waitcnt lgkmcnt(0)
	v_mul_f64 v[103:104], v[101:102], v[109:110]
	v_fma_f64 v[103:104], v[99:100], v[97:98], -v[103:104]
	v_mul_f64 v[99:100], v[99:100], v[109:110]
	v_fma_f64 v[99:100], v[101:102], v[97:98], v[99:100]
	s_waitcnt vmcnt(2)
	v_add_f64 v[77:78], v[77:78], -v[103:104]
	s_waitcnt vmcnt(0)
	v_add_f64 v[79:80], v[79:80], -v[99:100]
	buffer_store_dword v77, off, s[20:23], 0 offset:144 ; 4-byte Folded Spill
	s_nop 0
	buffer_store_dword v78, off, s[20:23], 0 offset:148 ; 4-byte Folded Spill
	buffer_store_dword v79, off, s[20:23], 0 offset:152 ; 4-byte Folded Spill
	buffer_store_dword v80, off, s[20:23], 0 offset:156 ; 4-byte Folded Spill
	;; [unrolled: 19-line block ×10, first 2 shown]
	ds_read2_b64 v[99:102], v125 offset0:88 offset1:89
	buffer_load_dword v41, off, s[20:23], 0 ; 4-byte Folded Reload
	buffer_load_dword v42, off, s[20:23], 0 offset:4 ; 4-byte Folded Reload
	buffer_load_dword v43, off, s[20:23], 0 offset:8 ; 4-byte Folded Reload
	;; [unrolled: 1-line block ×3, first 2 shown]
	s_waitcnt lgkmcnt(0)
	v_mul_f64 v[103:104], v[101:102], v[109:110]
	v_fma_f64 v[103:104], v[99:100], v[97:98], -v[103:104]
	v_mul_f64 v[99:100], v[99:100], v[109:110]
	v_fma_f64 v[99:100], v[101:102], v[97:98], v[99:100]
	s_waitcnt vmcnt(2)
	v_add_f64 v[41:42], v[41:42], -v[103:104]
	s_waitcnt vmcnt(0)
	v_add_f64 v[43:44], v[43:44], -v[99:100]
	buffer_store_dword v41, off, s[20:23], 0 ; 4-byte Folded Spill
	s_nop 0
	buffer_store_dword v42, off, s[20:23], 0 offset:4 ; 4-byte Folded Spill
	buffer_store_dword v43, off, s[20:23], 0 offset:8 ; 4-byte Folded Spill
	;; [unrolled: 1-line block ×3, first 2 shown]
	ds_read2_b64 v[99:102], v125 offset0:90 offset1:91
	s_waitcnt lgkmcnt(0)
	v_mul_f64 v[103:104], v[101:102], v[109:110]
	v_fma_f64 v[103:104], v[99:100], v[97:98], -v[103:104]
	v_mul_f64 v[99:100], v[99:100], v[109:110]
	v_add_f64 v[37:38], v[37:38], -v[103:104]
	v_fma_f64 v[99:100], v[101:102], v[97:98], v[99:100]
	v_add_f64 v[39:40], v[39:40], -v[99:100]
	ds_read2_b64 v[99:102], v125 offset0:92 offset1:93
	s_waitcnt lgkmcnt(0)
	v_mul_f64 v[103:104], v[101:102], v[109:110]
	v_fma_f64 v[103:104], v[99:100], v[97:98], -v[103:104]
	v_mul_f64 v[99:100], v[99:100], v[109:110]
	v_add_f64 v[33:34], v[33:34], -v[103:104]
	v_fma_f64 v[99:100], v[101:102], v[97:98], v[99:100]
	v_add_f64 v[35:36], v[35:36], -v[99:100]
	;; [unrolled: 8-line block ×10, first 2 shown]
	ds_read2_b64 v[99:102], v125 offset0:110 offset1:111
	s_waitcnt lgkmcnt(0)
	v_mul_f64 v[103:104], v[101:102], v[109:110]
	v_fma_f64 v[103:104], v[99:100], v[97:98], -v[103:104]
	v_mul_f64 v[99:100], v[99:100], v[109:110]
	buffer_store_dword v107, off, s[20:23], 0 offset:240 ; 4-byte Folded Spill
	s_nop 0
	buffer_store_dword v108, off, s[20:23], 0 offset:244 ; 4-byte Folded Spill
	buffer_store_dword v109, off, s[20:23], 0 offset:248 ; 4-byte Folded Spill
	;; [unrolled: 1-line block ×3, first 2 shown]
	v_add_f64 v[121:122], v[121:122], -v[103:104]
	v_fma_f64 v[99:100], v[101:102], v[97:98], v[99:100]
	v_add_f64 v[123:124], v[123:124], -v[99:100]
.LBB111_262:
	s_or_b64 exec, exec, s[2:3]
	v_cmp_eq_u32_e32 vcc, 29, v0
	s_waitcnt vmcnt(0)
	s_barrier
	s_and_saveexec_b64 s[4:5], vcc
	s_cbranch_execz .LBB111_269
; %bb.263:
	buffer_load_dword v95, off, s[20:23], 0 offset:224 ; 4-byte Folded Reload
	buffer_load_dword v96, off, s[20:23], 0 offset:228 ; 4-byte Folded Reload
	;; [unrolled: 1-line block ×4, first 2 shown]
	s_waitcnt vmcnt(0)
	ds_write2_b64 v127, v[95:96], v[97:98] offset1:1
	buffer_load_dword v95, off, s[20:23], 0 offset:208 ; 4-byte Folded Reload
	buffer_load_dword v96, off, s[20:23], 0 offset:212 ; 4-byte Folded Reload
	buffer_load_dword v97, off, s[20:23], 0 offset:216 ; 4-byte Folded Reload
	buffer_load_dword v98, off, s[20:23], 0 offset:220 ; 4-byte Folded Reload
	s_waitcnt vmcnt(0)
	ds_write2_b64 v125, v[95:96], v[97:98] offset0:60 offset1:61
	buffer_load_dword v95, off, s[20:23], 0 offset:192 ; 4-byte Folded Reload
	buffer_load_dword v96, off, s[20:23], 0 offset:196 ; 4-byte Folded Reload
	buffer_load_dword v97, off, s[20:23], 0 offset:200 ; 4-byte Folded Reload
	buffer_load_dword v98, off, s[20:23], 0 offset:204 ; 4-byte Folded Reload
	s_waitcnt vmcnt(0)
	ds_write2_b64 v125, v[95:96], v[97:98] offset0:62 offset1:63
	;; [unrolled: 6-line block ×3, first 2 shown]
	ds_write2_b64 v125, v[91:92], v[93:94] offset0:66 offset1:67
	buffer_load_dword v77, off, s[20:23], 0 offset:160 ; 4-byte Folded Reload
	buffer_load_dword v78, off, s[20:23], 0 offset:164 ; 4-byte Folded Reload
	buffer_load_dword v79, off, s[20:23], 0 offset:168 ; 4-byte Folded Reload
	buffer_load_dword v80, off, s[20:23], 0 offset:172 ; 4-byte Folded Reload
	s_waitcnt vmcnt(0)
	ds_write2_b64 v125, v[77:78], v[79:80] offset0:68 offset1:69
	buffer_load_dword v77, off, s[20:23], 0 offset:144 ; 4-byte Folded Reload
	buffer_load_dword v78, off, s[20:23], 0 offset:148 ; 4-byte Folded Reload
	buffer_load_dword v79, off, s[20:23], 0 offset:152 ; 4-byte Folded Reload
	buffer_load_dword v80, off, s[20:23], 0 offset:156 ; 4-byte Folded Reload
	s_waitcnt vmcnt(0)
	;; [unrolled: 6-line block ×10, first 2 shown]
	ds_write2_b64 v125, v[45:46], v[47:48] offset0:86 offset1:87
	buffer_load_dword v41, off, s[20:23], 0 ; 4-byte Folded Reload
	buffer_load_dword v42, off, s[20:23], 0 offset:4 ; 4-byte Folded Reload
	buffer_load_dword v43, off, s[20:23], 0 offset:8 ; 4-byte Folded Reload
	;; [unrolled: 1-line block ×3, first 2 shown]
	s_waitcnt vmcnt(0)
	ds_write2_b64 v125, v[41:42], v[43:44] offset0:88 offset1:89
	ds_write2_b64 v125, v[37:38], v[39:40] offset0:90 offset1:91
	;; [unrolled: 1-line block ×12, first 2 shown]
	ds_read2_b64 v[97:100], v127 offset1:1
	s_waitcnt lgkmcnt(0)
	v_cmp_neq_f64_e32 vcc, 0, v[97:98]
	v_cmp_neq_f64_e64 s[2:3], 0, v[99:100]
	s_or_b64 s[2:3], vcc, s[2:3]
	s_and_b64 exec, exec, s[2:3]
	s_cbranch_execz .LBB111_269
; %bb.264:
	v_cmp_ngt_f64_e64 s[2:3], |v[97:98]|, |v[99:100]|
                                        ; implicit-def: $vgpr101_vgpr102
	s_and_saveexec_b64 s[6:7], s[2:3]
	s_xor_b64 s[2:3], exec, s[6:7]
                                        ; implicit-def: $vgpr103_vgpr104
	s_cbranch_execz .LBB111_266
; %bb.265:
	v_div_scale_f64 v[101:102], s[6:7], v[99:100], v[99:100], v[97:98]
	v_rcp_f64_e32 v[103:104], v[101:102]
	v_fma_f64 v[105:106], -v[101:102], v[103:104], 1.0
	v_fma_f64 v[103:104], v[103:104], v[105:106], v[103:104]
	v_div_scale_f64 v[105:106], vcc, v[97:98], v[99:100], v[97:98]
	v_fma_f64 v[107:108], -v[101:102], v[103:104], 1.0
	v_fma_f64 v[103:104], v[103:104], v[107:108], v[103:104]
	v_mul_f64 v[107:108], v[105:106], v[103:104]
	v_fma_f64 v[101:102], -v[101:102], v[107:108], v[105:106]
	v_div_fmas_f64 v[101:102], v[101:102], v[103:104], v[107:108]
	v_div_fixup_f64 v[101:102], v[101:102], v[99:100], v[97:98]
	v_fma_f64 v[97:98], v[97:98], v[101:102], v[99:100]
	v_div_scale_f64 v[99:100], s[6:7], v[97:98], v[97:98], 1.0
	v_div_scale_f64 v[107:108], vcc, 1.0, v[97:98], 1.0
	v_rcp_f64_e32 v[103:104], v[99:100]
	v_fma_f64 v[105:106], -v[99:100], v[103:104], 1.0
	v_fma_f64 v[103:104], v[103:104], v[105:106], v[103:104]
	v_fma_f64 v[105:106], -v[99:100], v[103:104], 1.0
	v_fma_f64 v[103:104], v[103:104], v[105:106], v[103:104]
	v_mul_f64 v[105:106], v[107:108], v[103:104]
	v_fma_f64 v[99:100], -v[99:100], v[105:106], v[107:108]
	v_div_fmas_f64 v[99:100], v[99:100], v[103:104], v[105:106]
	v_div_fixup_f64 v[103:104], v[99:100], v[97:98], 1.0
                                        ; implicit-def: $vgpr97_vgpr98
	v_mul_f64 v[101:102], v[101:102], v[103:104]
	v_xor_b32_e32 v104, 0x80000000, v104
.LBB111_266:
	s_andn2_saveexec_b64 s[2:3], s[2:3]
	s_cbranch_execz .LBB111_268
; %bb.267:
	v_div_scale_f64 v[101:102], s[6:7], v[97:98], v[97:98], v[99:100]
	v_rcp_f64_e32 v[103:104], v[101:102]
	v_fma_f64 v[105:106], -v[101:102], v[103:104], 1.0
	v_fma_f64 v[103:104], v[103:104], v[105:106], v[103:104]
	v_div_scale_f64 v[105:106], vcc, v[99:100], v[97:98], v[99:100]
	v_fma_f64 v[107:108], -v[101:102], v[103:104], 1.0
	v_fma_f64 v[103:104], v[103:104], v[107:108], v[103:104]
	v_mul_f64 v[107:108], v[105:106], v[103:104]
	v_fma_f64 v[101:102], -v[101:102], v[107:108], v[105:106]
	v_div_fmas_f64 v[101:102], v[101:102], v[103:104], v[107:108]
	v_div_fixup_f64 v[103:104], v[101:102], v[97:98], v[99:100]
	v_fma_f64 v[97:98], v[99:100], v[103:104], v[97:98]
	v_div_scale_f64 v[99:100], s[6:7], v[97:98], v[97:98], 1.0
	v_div_scale_f64 v[107:108], vcc, 1.0, v[97:98], 1.0
	v_rcp_f64_e32 v[101:102], v[99:100]
	v_fma_f64 v[105:106], -v[99:100], v[101:102], 1.0
	v_fma_f64 v[101:102], v[101:102], v[105:106], v[101:102]
	v_fma_f64 v[105:106], -v[99:100], v[101:102], 1.0
	v_fma_f64 v[101:102], v[101:102], v[105:106], v[101:102]
	v_mul_f64 v[105:106], v[107:108], v[101:102]
	v_fma_f64 v[99:100], -v[99:100], v[105:106], v[107:108]
	v_div_fmas_f64 v[99:100], v[99:100], v[101:102], v[105:106]
	v_div_fixup_f64 v[101:102], v[99:100], v[97:98], 1.0
	v_mul_f64 v[103:104], v[103:104], -v[101:102]
.LBB111_268:
	s_or_b64 exec, exec, s[2:3]
	ds_write2_b64 v127, v[101:102], v[103:104] offset1:1
.LBB111_269:
	s_or_b64 exec, exec, s[4:5]
	s_waitcnt lgkmcnt(0)
	s_barrier
	ds_read2_b64 v[87:90], v127 offset1:1
	v_cmp_lt_u32_e32 vcc, 29, v0
	s_waitcnt lgkmcnt(0)
	buffer_store_dword v87, off, s[20:23], 0 offset:1608 ; 4-byte Folded Spill
	s_nop 0
	buffer_store_dword v88, off, s[20:23], 0 offset:1612 ; 4-byte Folded Spill
	buffer_store_dword v89, off, s[20:23], 0 offset:1616 ; 4-byte Folded Spill
	;; [unrolled: 1-line block ×3, first 2 shown]
	s_and_saveexec_b64 s[2:3], vcc
	s_cbranch_execz .LBB111_271
; %bb.270:
	buffer_load_dword v107, off, s[20:23], 0 offset:224 ; 4-byte Folded Reload
	buffer_load_dword v108, off, s[20:23], 0 offset:228 ; 4-byte Folded Reload
	;; [unrolled: 1-line block ×8, first 2 shown]
	s_waitcnt vmcnt(2)
	v_mul_f64 v[99:100], v[87:88], v[109:110]
	s_waitcnt vmcnt(0)
	v_mul_f64 v[97:98], v[89:90], v[109:110]
	v_fma_f64 v[109:110], v[89:90], v[107:108], v[99:100]
	ds_read2_b64 v[99:102], v125 offset0:60 offset1:61
	v_fma_f64 v[97:98], v[87:88], v[107:108], -v[97:98]
	buffer_load_dword v105, off, s[20:23], 0 offset:208 ; 4-byte Folded Reload
	buffer_load_dword v106, off, s[20:23], 0 offset:212 ; 4-byte Folded Reload
	buffer_load_dword v107, off, s[20:23], 0 offset:216 ; 4-byte Folded Reload
	buffer_load_dword v108, off, s[20:23], 0 offset:220 ; 4-byte Folded Reload
	s_waitcnt lgkmcnt(0)
	v_mul_f64 v[103:104], v[101:102], v[109:110]
	v_fma_f64 v[103:104], v[99:100], v[97:98], -v[103:104]
	v_mul_f64 v[99:100], v[99:100], v[109:110]
	v_fma_f64 v[99:100], v[101:102], v[97:98], v[99:100]
	s_waitcnt vmcnt(2)
	v_add_f64 v[105:106], v[105:106], -v[103:104]
	s_waitcnt vmcnt(0)
	v_add_f64 v[107:108], v[107:108], -v[99:100]
	buffer_store_dword v105, off, s[20:23], 0 offset:208 ; 4-byte Folded Spill
	s_nop 0
	buffer_store_dword v106, off, s[20:23], 0 offset:212 ; 4-byte Folded Spill
	buffer_store_dword v107, off, s[20:23], 0 offset:216 ; 4-byte Folded Spill
	buffer_store_dword v108, off, s[20:23], 0 offset:220 ; 4-byte Folded Spill
	ds_read2_b64 v[99:102], v125 offset0:62 offset1:63
	buffer_load_dword v105, off, s[20:23], 0 offset:192 ; 4-byte Folded Reload
	buffer_load_dword v106, off, s[20:23], 0 offset:196 ; 4-byte Folded Reload
	buffer_load_dword v107, off, s[20:23], 0 offset:200 ; 4-byte Folded Reload
	buffer_load_dword v108, off, s[20:23], 0 offset:204 ; 4-byte Folded Reload
	s_waitcnt lgkmcnt(0)
	v_mul_f64 v[103:104], v[101:102], v[109:110]
	v_fma_f64 v[103:104], v[99:100], v[97:98], -v[103:104]
	v_mul_f64 v[99:100], v[99:100], v[109:110]
	v_fma_f64 v[99:100], v[101:102], v[97:98], v[99:100]
	s_waitcnt vmcnt(2)
	v_add_f64 v[105:106], v[105:106], -v[103:104]
	s_waitcnt vmcnt(0)
	v_add_f64 v[107:108], v[107:108], -v[99:100]
	buffer_store_dword v105, off, s[20:23], 0 offset:192 ; 4-byte Folded Spill
	s_nop 0
	buffer_store_dword v106, off, s[20:23], 0 offset:196 ; 4-byte Folded Spill
	buffer_store_dword v107, off, s[20:23], 0 offset:200 ; 4-byte Folded Spill
	buffer_store_dword v108, off, s[20:23], 0 offset:204 ; 4-byte Folded Spill
	ds_read2_b64 v[99:102], v125 offset0:64 offset1:65
	;; [unrolled: 19-line block ×3, first 2 shown]
	v_mov_b32_e32 v108, v98
	v_mov_b32_e32 v107, v97
	s_waitcnt lgkmcnt(0)
	v_mul_f64 v[103:104], v[101:102], v[109:110]
	v_fma_f64 v[103:104], v[99:100], v[97:98], -v[103:104]
	v_mul_f64 v[99:100], v[99:100], v[109:110]
	v_add_f64 v[91:92], v[91:92], -v[103:104]
	v_fma_f64 v[99:100], v[101:102], v[97:98], v[99:100]
	v_add_f64 v[93:94], v[93:94], -v[99:100]
	ds_read2_b64 v[99:102], v125 offset0:68 offset1:69
	buffer_load_dword v77, off, s[20:23], 0 offset:160 ; 4-byte Folded Reload
	buffer_load_dword v78, off, s[20:23], 0 offset:164 ; 4-byte Folded Reload
	buffer_load_dword v79, off, s[20:23], 0 offset:168 ; 4-byte Folded Reload
	buffer_load_dword v80, off, s[20:23], 0 offset:172 ; 4-byte Folded Reload
	s_waitcnt lgkmcnt(0)
	v_mul_f64 v[103:104], v[101:102], v[109:110]
	v_fma_f64 v[103:104], v[99:100], v[97:98], -v[103:104]
	v_mul_f64 v[99:100], v[99:100], v[109:110]
	v_fma_f64 v[99:100], v[101:102], v[97:98], v[99:100]
	s_waitcnt vmcnt(2)
	v_add_f64 v[77:78], v[77:78], -v[103:104]
	s_waitcnt vmcnt(0)
	v_add_f64 v[79:80], v[79:80], -v[99:100]
	buffer_store_dword v77, off, s[20:23], 0 offset:160 ; 4-byte Folded Spill
	s_nop 0
	buffer_store_dword v78, off, s[20:23], 0 offset:164 ; 4-byte Folded Spill
	buffer_store_dword v79, off, s[20:23], 0 offset:168 ; 4-byte Folded Spill
	buffer_store_dword v80, off, s[20:23], 0 offset:172 ; 4-byte Folded Spill
	ds_read2_b64 v[99:102], v125 offset0:70 offset1:71
	buffer_load_dword v77, off, s[20:23], 0 offset:144 ; 4-byte Folded Reload
	buffer_load_dword v78, off, s[20:23], 0 offset:148 ; 4-byte Folded Reload
	buffer_load_dword v79, off, s[20:23], 0 offset:152 ; 4-byte Folded Reload
	buffer_load_dword v80, off, s[20:23], 0 offset:156 ; 4-byte Folded Reload
	s_waitcnt lgkmcnt(0)
	v_mul_f64 v[103:104], v[101:102], v[109:110]
	v_fma_f64 v[103:104], v[99:100], v[97:98], -v[103:104]
	v_mul_f64 v[99:100], v[99:100], v[109:110]
	v_fma_f64 v[99:100], v[101:102], v[97:98], v[99:100]
	s_waitcnt vmcnt(2)
	v_add_f64 v[77:78], v[77:78], -v[103:104]
	s_waitcnt vmcnt(0)
	v_add_f64 v[79:80], v[79:80], -v[99:100]
	buffer_store_dword v77, off, s[20:23], 0 offset:144 ; 4-byte Folded Spill
	s_nop 0
	buffer_store_dword v78, off, s[20:23], 0 offset:148 ; 4-byte Folded Spill
	buffer_store_dword v79, off, s[20:23], 0 offset:152 ; 4-byte Folded Spill
	buffer_store_dword v80, off, s[20:23], 0 offset:156 ; 4-byte Folded Spill
	;; [unrolled: 19-line block ×10, first 2 shown]
	ds_read2_b64 v[99:102], v125 offset0:88 offset1:89
	buffer_load_dword v41, off, s[20:23], 0 ; 4-byte Folded Reload
	buffer_load_dword v42, off, s[20:23], 0 offset:4 ; 4-byte Folded Reload
	buffer_load_dword v43, off, s[20:23], 0 offset:8 ; 4-byte Folded Reload
	buffer_load_dword v44, off, s[20:23], 0 offset:12 ; 4-byte Folded Reload
	s_waitcnt lgkmcnt(0)
	v_mul_f64 v[103:104], v[101:102], v[109:110]
	v_fma_f64 v[103:104], v[99:100], v[97:98], -v[103:104]
	v_mul_f64 v[99:100], v[99:100], v[109:110]
	v_fma_f64 v[99:100], v[101:102], v[97:98], v[99:100]
	s_waitcnt vmcnt(2)
	v_add_f64 v[41:42], v[41:42], -v[103:104]
	s_waitcnt vmcnt(0)
	v_add_f64 v[43:44], v[43:44], -v[99:100]
	buffer_store_dword v41, off, s[20:23], 0 ; 4-byte Folded Spill
	s_nop 0
	buffer_store_dword v42, off, s[20:23], 0 offset:4 ; 4-byte Folded Spill
	buffer_store_dword v43, off, s[20:23], 0 offset:8 ; 4-byte Folded Spill
	buffer_store_dword v44, off, s[20:23], 0 offset:12 ; 4-byte Folded Spill
	ds_read2_b64 v[99:102], v125 offset0:90 offset1:91
	s_waitcnt lgkmcnt(0)
	v_mul_f64 v[103:104], v[101:102], v[109:110]
	v_fma_f64 v[103:104], v[99:100], v[97:98], -v[103:104]
	v_mul_f64 v[99:100], v[99:100], v[109:110]
	v_add_f64 v[37:38], v[37:38], -v[103:104]
	v_fma_f64 v[99:100], v[101:102], v[97:98], v[99:100]
	v_add_f64 v[39:40], v[39:40], -v[99:100]
	ds_read2_b64 v[99:102], v125 offset0:92 offset1:93
	s_waitcnt lgkmcnt(0)
	v_mul_f64 v[103:104], v[101:102], v[109:110]
	v_fma_f64 v[103:104], v[99:100], v[97:98], -v[103:104]
	v_mul_f64 v[99:100], v[99:100], v[109:110]
	v_add_f64 v[33:34], v[33:34], -v[103:104]
	v_fma_f64 v[99:100], v[101:102], v[97:98], v[99:100]
	v_add_f64 v[35:36], v[35:36], -v[99:100]
	;; [unrolled: 8-line block ×10, first 2 shown]
	ds_read2_b64 v[99:102], v125 offset0:110 offset1:111
	s_waitcnt lgkmcnt(0)
	v_mul_f64 v[103:104], v[101:102], v[109:110]
	v_fma_f64 v[103:104], v[99:100], v[97:98], -v[103:104]
	v_mul_f64 v[99:100], v[99:100], v[109:110]
	buffer_store_dword v107, off, s[20:23], 0 offset:224 ; 4-byte Folded Spill
	s_nop 0
	buffer_store_dword v108, off, s[20:23], 0 offset:228 ; 4-byte Folded Spill
	buffer_store_dword v109, off, s[20:23], 0 offset:232 ; 4-byte Folded Spill
	;; [unrolled: 1-line block ×3, first 2 shown]
	v_add_f64 v[121:122], v[121:122], -v[103:104]
	v_fma_f64 v[99:100], v[101:102], v[97:98], v[99:100]
	v_add_f64 v[123:124], v[123:124], -v[99:100]
.LBB111_271:
	s_or_b64 exec, exec, s[2:3]
	v_cmp_eq_u32_e32 vcc, 30, v0
	s_waitcnt vmcnt(0)
	s_barrier
	s_and_saveexec_b64 s[4:5], vcc
	s_cbranch_execz .LBB111_278
; %bb.272:
	buffer_load_dword v95, off, s[20:23], 0 offset:208 ; 4-byte Folded Reload
	buffer_load_dword v96, off, s[20:23], 0 offset:212 ; 4-byte Folded Reload
	;; [unrolled: 1-line block ×4, first 2 shown]
	s_waitcnt vmcnt(0)
	ds_write2_b64 v127, v[95:96], v[97:98] offset1:1
	buffer_load_dword v95, off, s[20:23], 0 offset:192 ; 4-byte Folded Reload
	buffer_load_dword v96, off, s[20:23], 0 offset:196 ; 4-byte Folded Reload
	;; [unrolled: 1-line block ×4, first 2 shown]
	s_waitcnt vmcnt(0)
	ds_write2_b64 v125, v[95:96], v[97:98] offset0:62 offset1:63
	buffer_load_dword v95, off, s[20:23], 0 offset:176 ; 4-byte Folded Reload
	buffer_load_dword v96, off, s[20:23], 0 offset:180 ; 4-byte Folded Reload
	;; [unrolled: 1-line block ×4, first 2 shown]
	s_waitcnt vmcnt(0)
	ds_write2_b64 v125, v[95:96], v[97:98] offset0:64 offset1:65
	ds_write2_b64 v125, v[91:92], v[93:94] offset0:66 offset1:67
	buffer_load_dword v77, off, s[20:23], 0 offset:160 ; 4-byte Folded Reload
	buffer_load_dword v78, off, s[20:23], 0 offset:164 ; 4-byte Folded Reload
	buffer_load_dword v79, off, s[20:23], 0 offset:168 ; 4-byte Folded Reload
	buffer_load_dword v80, off, s[20:23], 0 offset:172 ; 4-byte Folded Reload
	s_waitcnt vmcnt(0)
	ds_write2_b64 v125, v[77:78], v[79:80] offset0:68 offset1:69
	buffer_load_dword v77, off, s[20:23], 0 offset:144 ; 4-byte Folded Reload
	buffer_load_dword v78, off, s[20:23], 0 offset:148 ; 4-byte Folded Reload
	buffer_load_dword v79, off, s[20:23], 0 offset:152 ; 4-byte Folded Reload
	buffer_load_dword v80, off, s[20:23], 0 offset:156 ; 4-byte Folded Reload
	s_waitcnt vmcnt(0)
	;; [unrolled: 6-line block ×10, first 2 shown]
	ds_write2_b64 v125, v[45:46], v[47:48] offset0:86 offset1:87
	buffer_load_dword v41, off, s[20:23], 0 ; 4-byte Folded Reload
	buffer_load_dword v42, off, s[20:23], 0 offset:4 ; 4-byte Folded Reload
	buffer_load_dword v43, off, s[20:23], 0 offset:8 ; 4-byte Folded Reload
	;; [unrolled: 1-line block ×3, first 2 shown]
	s_waitcnt vmcnt(0)
	ds_write2_b64 v125, v[41:42], v[43:44] offset0:88 offset1:89
	ds_write2_b64 v125, v[37:38], v[39:40] offset0:90 offset1:91
	;; [unrolled: 1-line block ×12, first 2 shown]
	ds_read2_b64 v[97:100], v127 offset1:1
	s_waitcnt lgkmcnt(0)
	v_cmp_neq_f64_e32 vcc, 0, v[97:98]
	v_cmp_neq_f64_e64 s[2:3], 0, v[99:100]
	s_or_b64 s[2:3], vcc, s[2:3]
	s_and_b64 exec, exec, s[2:3]
	s_cbranch_execz .LBB111_278
; %bb.273:
	v_cmp_ngt_f64_e64 s[2:3], |v[97:98]|, |v[99:100]|
                                        ; implicit-def: $vgpr101_vgpr102
	s_and_saveexec_b64 s[6:7], s[2:3]
	s_xor_b64 s[2:3], exec, s[6:7]
                                        ; implicit-def: $vgpr103_vgpr104
	s_cbranch_execz .LBB111_275
; %bb.274:
	v_div_scale_f64 v[101:102], s[6:7], v[99:100], v[99:100], v[97:98]
	v_rcp_f64_e32 v[103:104], v[101:102]
	v_fma_f64 v[105:106], -v[101:102], v[103:104], 1.0
	v_fma_f64 v[103:104], v[103:104], v[105:106], v[103:104]
	v_div_scale_f64 v[105:106], vcc, v[97:98], v[99:100], v[97:98]
	v_fma_f64 v[107:108], -v[101:102], v[103:104], 1.0
	v_fma_f64 v[103:104], v[103:104], v[107:108], v[103:104]
	v_mul_f64 v[107:108], v[105:106], v[103:104]
	v_fma_f64 v[101:102], -v[101:102], v[107:108], v[105:106]
	v_div_fmas_f64 v[101:102], v[101:102], v[103:104], v[107:108]
	v_div_fixup_f64 v[101:102], v[101:102], v[99:100], v[97:98]
	v_fma_f64 v[97:98], v[97:98], v[101:102], v[99:100]
	v_div_scale_f64 v[99:100], s[6:7], v[97:98], v[97:98], 1.0
	v_div_scale_f64 v[107:108], vcc, 1.0, v[97:98], 1.0
	v_rcp_f64_e32 v[103:104], v[99:100]
	v_fma_f64 v[105:106], -v[99:100], v[103:104], 1.0
	v_fma_f64 v[103:104], v[103:104], v[105:106], v[103:104]
	v_fma_f64 v[105:106], -v[99:100], v[103:104], 1.0
	v_fma_f64 v[103:104], v[103:104], v[105:106], v[103:104]
	v_mul_f64 v[105:106], v[107:108], v[103:104]
	v_fma_f64 v[99:100], -v[99:100], v[105:106], v[107:108]
	v_div_fmas_f64 v[99:100], v[99:100], v[103:104], v[105:106]
	v_div_fixup_f64 v[103:104], v[99:100], v[97:98], 1.0
                                        ; implicit-def: $vgpr97_vgpr98
	v_mul_f64 v[101:102], v[101:102], v[103:104]
	v_xor_b32_e32 v104, 0x80000000, v104
.LBB111_275:
	s_andn2_saveexec_b64 s[2:3], s[2:3]
	s_cbranch_execz .LBB111_277
; %bb.276:
	v_div_scale_f64 v[101:102], s[6:7], v[97:98], v[97:98], v[99:100]
	v_rcp_f64_e32 v[103:104], v[101:102]
	v_fma_f64 v[105:106], -v[101:102], v[103:104], 1.0
	v_fma_f64 v[103:104], v[103:104], v[105:106], v[103:104]
	v_div_scale_f64 v[105:106], vcc, v[99:100], v[97:98], v[99:100]
	v_fma_f64 v[107:108], -v[101:102], v[103:104], 1.0
	v_fma_f64 v[103:104], v[103:104], v[107:108], v[103:104]
	v_mul_f64 v[107:108], v[105:106], v[103:104]
	v_fma_f64 v[101:102], -v[101:102], v[107:108], v[105:106]
	v_div_fmas_f64 v[101:102], v[101:102], v[103:104], v[107:108]
	v_div_fixup_f64 v[103:104], v[101:102], v[97:98], v[99:100]
	v_fma_f64 v[97:98], v[99:100], v[103:104], v[97:98]
	v_div_scale_f64 v[99:100], s[6:7], v[97:98], v[97:98], 1.0
	v_div_scale_f64 v[107:108], vcc, 1.0, v[97:98], 1.0
	v_rcp_f64_e32 v[101:102], v[99:100]
	v_fma_f64 v[105:106], -v[99:100], v[101:102], 1.0
	v_fma_f64 v[101:102], v[101:102], v[105:106], v[101:102]
	v_fma_f64 v[105:106], -v[99:100], v[101:102], 1.0
	v_fma_f64 v[101:102], v[101:102], v[105:106], v[101:102]
	v_mul_f64 v[105:106], v[107:108], v[101:102]
	v_fma_f64 v[99:100], -v[99:100], v[105:106], v[107:108]
	v_div_fmas_f64 v[99:100], v[99:100], v[101:102], v[105:106]
	v_div_fixup_f64 v[101:102], v[99:100], v[97:98], 1.0
	v_mul_f64 v[103:104], v[103:104], -v[101:102]
.LBB111_277:
	s_or_b64 exec, exec, s[2:3]
	ds_write2_b64 v127, v[101:102], v[103:104] offset1:1
.LBB111_278:
	s_or_b64 exec, exec, s[4:5]
	s_waitcnt lgkmcnt(0)
	s_barrier
	ds_read2_b64 v[87:90], v127 offset1:1
	v_cmp_lt_u32_e32 vcc, 30, v0
	s_waitcnt lgkmcnt(0)
	buffer_store_dword v87, off, s[20:23], 0 offset:1624 ; 4-byte Folded Spill
	s_nop 0
	buffer_store_dword v88, off, s[20:23], 0 offset:1628 ; 4-byte Folded Spill
	buffer_store_dword v89, off, s[20:23], 0 offset:1632 ; 4-byte Folded Spill
	;; [unrolled: 1-line block ×3, first 2 shown]
	s_and_saveexec_b64 s[2:3], vcc
	s_cbranch_execz .LBB111_280
; %bb.279:
	buffer_load_dword v107, off, s[20:23], 0 offset:208 ; 4-byte Folded Reload
	buffer_load_dword v108, off, s[20:23], 0 offset:212 ; 4-byte Folded Reload
	;; [unrolled: 1-line block ×8, first 2 shown]
	s_waitcnt vmcnt(2)
	v_mul_f64 v[99:100], v[87:88], v[109:110]
	s_waitcnt vmcnt(0)
	v_mul_f64 v[97:98], v[89:90], v[109:110]
	v_fma_f64 v[109:110], v[89:90], v[107:108], v[99:100]
	ds_read2_b64 v[99:102], v125 offset0:62 offset1:63
	v_fma_f64 v[97:98], v[87:88], v[107:108], -v[97:98]
	buffer_load_dword v105, off, s[20:23], 0 offset:192 ; 4-byte Folded Reload
	buffer_load_dword v106, off, s[20:23], 0 offset:196 ; 4-byte Folded Reload
	;; [unrolled: 1-line block ×4, first 2 shown]
	s_waitcnt lgkmcnt(0)
	v_mul_f64 v[103:104], v[101:102], v[109:110]
	v_fma_f64 v[103:104], v[99:100], v[97:98], -v[103:104]
	v_mul_f64 v[99:100], v[99:100], v[109:110]
	v_fma_f64 v[99:100], v[101:102], v[97:98], v[99:100]
	s_waitcnt vmcnt(2)
	v_add_f64 v[105:106], v[105:106], -v[103:104]
	s_waitcnt vmcnt(0)
	v_add_f64 v[107:108], v[107:108], -v[99:100]
	buffer_store_dword v105, off, s[20:23], 0 offset:192 ; 4-byte Folded Spill
	s_nop 0
	buffer_store_dword v106, off, s[20:23], 0 offset:196 ; 4-byte Folded Spill
	buffer_store_dword v107, off, s[20:23], 0 offset:200 ; 4-byte Folded Spill
	;; [unrolled: 1-line block ×3, first 2 shown]
	ds_read2_b64 v[99:102], v125 offset0:64 offset1:65
	buffer_load_dword v105, off, s[20:23], 0 offset:176 ; 4-byte Folded Reload
	buffer_load_dword v106, off, s[20:23], 0 offset:180 ; 4-byte Folded Reload
	;; [unrolled: 1-line block ×4, first 2 shown]
	s_waitcnt lgkmcnt(0)
	v_mul_f64 v[103:104], v[101:102], v[109:110]
	v_fma_f64 v[103:104], v[99:100], v[97:98], -v[103:104]
	v_mul_f64 v[99:100], v[99:100], v[109:110]
	v_fma_f64 v[99:100], v[101:102], v[97:98], v[99:100]
	s_waitcnt vmcnt(2)
	v_add_f64 v[105:106], v[105:106], -v[103:104]
	s_waitcnt vmcnt(0)
	v_add_f64 v[107:108], v[107:108], -v[99:100]
	buffer_store_dword v105, off, s[20:23], 0 offset:176 ; 4-byte Folded Spill
	s_nop 0
	buffer_store_dword v106, off, s[20:23], 0 offset:180 ; 4-byte Folded Spill
	buffer_store_dword v107, off, s[20:23], 0 offset:184 ; 4-byte Folded Spill
	;; [unrolled: 1-line block ×3, first 2 shown]
	ds_read2_b64 v[99:102], v125 offset0:66 offset1:67
	v_mov_b32_e32 v108, v98
	v_mov_b32_e32 v107, v97
	s_waitcnt lgkmcnt(0)
	v_mul_f64 v[103:104], v[101:102], v[109:110]
	v_fma_f64 v[103:104], v[99:100], v[97:98], -v[103:104]
	v_mul_f64 v[99:100], v[99:100], v[109:110]
	v_add_f64 v[91:92], v[91:92], -v[103:104]
	v_fma_f64 v[99:100], v[101:102], v[97:98], v[99:100]
	v_add_f64 v[93:94], v[93:94], -v[99:100]
	ds_read2_b64 v[99:102], v125 offset0:68 offset1:69
	buffer_load_dword v77, off, s[20:23], 0 offset:160 ; 4-byte Folded Reload
	buffer_load_dword v78, off, s[20:23], 0 offset:164 ; 4-byte Folded Reload
	buffer_load_dword v79, off, s[20:23], 0 offset:168 ; 4-byte Folded Reload
	buffer_load_dword v80, off, s[20:23], 0 offset:172 ; 4-byte Folded Reload
	s_waitcnt lgkmcnt(0)
	v_mul_f64 v[103:104], v[101:102], v[109:110]
	v_fma_f64 v[103:104], v[99:100], v[97:98], -v[103:104]
	v_mul_f64 v[99:100], v[99:100], v[109:110]
	v_fma_f64 v[99:100], v[101:102], v[97:98], v[99:100]
	s_waitcnt vmcnt(2)
	v_add_f64 v[77:78], v[77:78], -v[103:104]
	s_waitcnt vmcnt(0)
	v_add_f64 v[79:80], v[79:80], -v[99:100]
	buffer_store_dword v77, off, s[20:23], 0 offset:160 ; 4-byte Folded Spill
	s_nop 0
	buffer_store_dword v78, off, s[20:23], 0 offset:164 ; 4-byte Folded Spill
	buffer_store_dword v79, off, s[20:23], 0 offset:168 ; 4-byte Folded Spill
	buffer_store_dword v80, off, s[20:23], 0 offset:172 ; 4-byte Folded Spill
	ds_read2_b64 v[99:102], v125 offset0:70 offset1:71
	buffer_load_dword v77, off, s[20:23], 0 offset:144 ; 4-byte Folded Reload
	buffer_load_dword v78, off, s[20:23], 0 offset:148 ; 4-byte Folded Reload
	buffer_load_dword v79, off, s[20:23], 0 offset:152 ; 4-byte Folded Reload
	buffer_load_dword v80, off, s[20:23], 0 offset:156 ; 4-byte Folded Reload
	s_waitcnt lgkmcnt(0)
	v_mul_f64 v[103:104], v[101:102], v[109:110]
	v_fma_f64 v[103:104], v[99:100], v[97:98], -v[103:104]
	v_mul_f64 v[99:100], v[99:100], v[109:110]
	v_fma_f64 v[99:100], v[101:102], v[97:98], v[99:100]
	s_waitcnt vmcnt(2)
	v_add_f64 v[77:78], v[77:78], -v[103:104]
	s_waitcnt vmcnt(0)
	v_add_f64 v[79:80], v[79:80], -v[99:100]
	buffer_store_dword v77, off, s[20:23], 0 offset:144 ; 4-byte Folded Spill
	s_nop 0
	buffer_store_dword v78, off, s[20:23], 0 offset:148 ; 4-byte Folded Spill
	buffer_store_dword v79, off, s[20:23], 0 offset:152 ; 4-byte Folded Spill
	buffer_store_dword v80, off, s[20:23], 0 offset:156 ; 4-byte Folded Spill
	;; [unrolled: 19-line block ×10, first 2 shown]
	ds_read2_b64 v[99:102], v125 offset0:88 offset1:89
	buffer_load_dword v41, off, s[20:23], 0 ; 4-byte Folded Reload
	buffer_load_dword v42, off, s[20:23], 0 offset:4 ; 4-byte Folded Reload
	buffer_load_dword v43, off, s[20:23], 0 offset:8 ; 4-byte Folded Reload
	;; [unrolled: 1-line block ×3, first 2 shown]
	s_waitcnt lgkmcnt(0)
	v_mul_f64 v[103:104], v[101:102], v[109:110]
	v_fma_f64 v[103:104], v[99:100], v[97:98], -v[103:104]
	v_mul_f64 v[99:100], v[99:100], v[109:110]
	v_fma_f64 v[99:100], v[101:102], v[97:98], v[99:100]
	s_waitcnt vmcnt(2)
	v_add_f64 v[41:42], v[41:42], -v[103:104]
	s_waitcnt vmcnt(0)
	v_add_f64 v[43:44], v[43:44], -v[99:100]
	buffer_store_dword v41, off, s[20:23], 0 ; 4-byte Folded Spill
	s_nop 0
	buffer_store_dword v42, off, s[20:23], 0 offset:4 ; 4-byte Folded Spill
	buffer_store_dword v43, off, s[20:23], 0 offset:8 ; 4-byte Folded Spill
	;; [unrolled: 1-line block ×3, first 2 shown]
	ds_read2_b64 v[99:102], v125 offset0:90 offset1:91
	s_waitcnt lgkmcnt(0)
	v_mul_f64 v[103:104], v[101:102], v[109:110]
	v_fma_f64 v[103:104], v[99:100], v[97:98], -v[103:104]
	v_mul_f64 v[99:100], v[99:100], v[109:110]
	v_add_f64 v[37:38], v[37:38], -v[103:104]
	v_fma_f64 v[99:100], v[101:102], v[97:98], v[99:100]
	v_add_f64 v[39:40], v[39:40], -v[99:100]
	ds_read2_b64 v[99:102], v125 offset0:92 offset1:93
	s_waitcnt lgkmcnt(0)
	v_mul_f64 v[103:104], v[101:102], v[109:110]
	v_fma_f64 v[103:104], v[99:100], v[97:98], -v[103:104]
	v_mul_f64 v[99:100], v[99:100], v[109:110]
	v_add_f64 v[33:34], v[33:34], -v[103:104]
	v_fma_f64 v[99:100], v[101:102], v[97:98], v[99:100]
	v_add_f64 v[35:36], v[35:36], -v[99:100]
	;; [unrolled: 8-line block ×10, first 2 shown]
	ds_read2_b64 v[99:102], v125 offset0:110 offset1:111
	s_waitcnt lgkmcnt(0)
	v_mul_f64 v[103:104], v[101:102], v[109:110]
	v_fma_f64 v[103:104], v[99:100], v[97:98], -v[103:104]
	v_mul_f64 v[99:100], v[99:100], v[109:110]
	buffer_store_dword v107, off, s[20:23], 0 offset:208 ; 4-byte Folded Spill
	s_nop 0
	buffer_store_dword v108, off, s[20:23], 0 offset:212 ; 4-byte Folded Spill
	buffer_store_dword v109, off, s[20:23], 0 offset:216 ; 4-byte Folded Spill
	;; [unrolled: 1-line block ×3, first 2 shown]
	v_add_f64 v[121:122], v[121:122], -v[103:104]
	v_fma_f64 v[99:100], v[101:102], v[97:98], v[99:100]
	v_add_f64 v[123:124], v[123:124], -v[99:100]
.LBB111_280:
	s_or_b64 exec, exec, s[2:3]
	v_cmp_eq_u32_e32 vcc, 31, v0
	s_waitcnt vmcnt(0)
	s_barrier
	s_and_saveexec_b64 s[4:5], vcc
	s_cbranch_execz .LBB111_287
; %bb.281:
	buffer_load_dword v95, off, s[20:23], 0 offset:192 ; 4-byte Folded Reload
	buffer_load_dword v96, off, s[20:23], 0 offset:196 ; 4-byte Folded Reload
	;; [unrolled: 1-line block ×4, first 2 shown]
	s_waitcnt vmcnt(0)
	ds_write2_b64 v127, v[95:96], v[97:98] offset1:1
	buffer_load_dword v95, off, s[20:23], 0 offset:176 ; 4-byte Folded Reload
	buffer_load_dword v96, off, s[20:23], 0 offset:180 ; 4-byte Folded Reload
	;; [unrolled: 1-line block ×4, first 2 shown]
	s_waitcnt vmcnt(0)
	ds_write2_b64 v125, v[95:96], v[97:98] offset0:64 offset1:65
	ds_write2_b64 v125, v[91:92], v[93:94] offset0:66 offset1:67
	buffer_load_dword v77, off, s[20:23], 0 offset:160 ; 4-byte Folded Reload
	buffer_load_dword v78, off, s[20:23], 0 offset:164 ; 4-byte Folded Reload
	buffer_load_dword v79, off, s[20:23], 0 offset:168 ; 4-byte Folded Reload
	buffer_load_dword v80, off, s[20:23], 0 offset:172 ; 4-byte Folded Reload
	s_waitcnt vmcnt(0)
	ds_write2_b64 v125, v[77:78], v[79:80] offset0:68 offset1:69
	buffer_load_dword v77, off, s[20:23], 0 offset:144 ; 4-byte Folded Reload
	buffer_load_dword v78, off, s[20:23], 0 offset:148 ; 4-byte Folded Reload
	buffer_load_dword v79, off, s[20:23], 0 offset:152 ; 4-byte Folded Reload
	buffer_load_dword v80, off, s[20:23], 0 offset:156 ; 4-byte Folded Reload
	s_waitcnt vmcnt(0)
	;; [unrolled: 6-line block ×10, first 2 shown]
	ds_write2_b64 v125, v[45:46], v[47:48] offset0:86 offset1:87
	buffer_load_dword v41, off, s[20:23], 0 ; 4-byte Folded Reload
	buffer_load_dword v42, off, s[20:23], 0 offset:4 ; 4-byte Folded Reload
	buffer_load_dword v43, off, s[20:23], 0 offset:8 ; 4-byte Folded Reload
	;; [unrolled: 1-line block ×3, first 2 shown]
	s_waitcnt vmcnt(0)
	ds_write2_b64 v125, v[41:42], v[43:44] offset0:88 offset1:89
	ds_write2_b64 v125, v[37:38], v[39:40] offset0:90 offset1:91
	;; [unrolled: 1-line block ×12, first 2 shown]
	ds_read2_b64 v[97:100], v127 offset1:1
	s_waitcnt lgkmcnt(0)
	v_cmp_neq_f64_e32 vcc, 0, v[97:98]
	v_cmp_neq_f64_e64 s[2:3], 0, v[99:100]
	s_or_b64 s[2:3], vcc, s[2:3]
	s_and_b64 exec, exec, s[2:3]
	s_cbranch_execz .LBB111_287
; %bb.282:
	v_cmp_ngt_f64_e64 s[2:3], |v[97:98]|, |v[99:100]|
                                        ; implicit-def: $vgpr101_vgpr102
	s_and_saveexec_b64 s[6:7], s[2:3]
	s_xor_b64 s[2:3], exec, s[6:7]
                                        ; implicit-def: $vgpr103_vgpr104
	s_cbranch_execz .LBB111_284
; %bb.283:
	v_div_scale_f64 v[101:102], s[6:7], v[99:100], v[99:100], v[97:98]
	v_rcp_f64_e32 v[103:104], v[101:102]
	v_fma_f64 v[105:106], -v[101:102], v[103:104], 1.0
	v_fma_f64 v[103:104], v[103:104], v[105:106], v[103:104]
	v_div_scale_f64 v[105:106], vcc, v[97:98], v[99:100], v[97:98]
	v_fma_f64 v[107:108], -v[101:102], v[103:104], 1.0
	v_fma_f64 v[103:104], v[103:104], v[107:108], v[103:104]
	v_mul_f64 v[107:108], v[105:106], v[103:104]
	v_fma_f64 v[101:102], -v[101:102], v[107:108], v[105:106]
	v_div_fmas_f64 v[101:102], v[101:102], v[103:104], v[107:108]
	v_div_fixup_f64 v[101:102], v[101:102], v[99:100], v[97:98]
	v_fma_f64 v[97:98], v[97:98], v[101:102], v[99:100]
	v_div_scale_f64 v[99:100], s[6:7], v[97:98], v[97:98], 1.0
	v_div_scale_f64 v[107:108], vcc, 1.0, v[97:98], 1.0
	v_rcp_f64_e32 v[103:104], v[99:100]
	v_fma_f64 v[105:106], -v[99:100], v[103:104], 1.0
	v_fma_f64 v[103:104], v[103:104], v[105:106], v[103:104]
	v_fma_f64 v[105:106], -v[99:100], v[103:104], 1.0
	v_fma_f64 v[103:104], v[103:104], v[105:106], v[103:104]
	v_mul_f64 v[105:106], v[107:108], v[103:104]
	v_fma_f64 v[99:100], -v[99:100], v[105:106], v[107:108]
	v_div_fmas_f64 v[99:100], v[99:100], v[103:104], v[105:106]
	v_div_fixup_f64 v[103:104], v[99:100], v[97:98], 1.0
                                        ; implicit-def: $vgpr97_vgpr98
	v_mul_f64 v[101:102], v[101:102], v[103:104]
	v_xor_b32_e32 v104, 0x80000000, v104
.LBB111_284:
	s_andn2_saveexec_b64 s[2:3], s[2:3]
	s_cbranch_execz .LBB111_286
; %bb.285:
	v_div_scale_f64 v[101:102], s[6:7], v[97:98], v[97:98], v[99:100]
	v_rcp_f64_e32 v[103:104], v[101:102]
	v_fma_f64 v[105:106], -v[101:102], v[103:104], 1.0
	v_fma_f64 v[103:104], v[103:104], v[105:106], v[103:104]
	v_div_scale_f64 v[105:106], vcc, v[99:100], v[97:98], v[99:100]
	v_fma_f64 v[107:108], -v[101:102], v[103:104], 1.0
	v_fma_f64 v[103:104], v[103:104], v[107:108], v[103:104]
	v_mul_f64 v[107:108], v[105:106], v[103:104]
	v_fma_f64 v[101:102], -v[101:102], v[107:108], v[105:106]
	v_div_fmas_f64 v[101:102], v[101:102], v[103:104], v[107:108]
	v_div_fixup_f64 v[103:104], v[101:102], v[97:98], v[99:100]
	v_fma_f64 v[97:98], v[99:100], v[103:104], v[97:98]
	v_div_scale_f64 v[99:100], s[6:7], v[97:98], v[97:98], 1.0
	v_div_scale_f64 v[107:108], vcc, 1.0, v[97:98], 1.0
	v_rcp_f64_e32 v[101:102], v[99:100]
	v_fma_f64 v[105:106], -v[99:100], v[101:102], 1.0
	v_fma_f64 v[101:102], v[101:102], v[105:106], v[101:102]
	v_fma_f64 v[105:106], -v[99:100], v[101:102], 1.0
	v_fma_f64 v[101:102], v[101:102], v[105:106], v[101:102]
	v_mul_f64 v[105:106], v[107:108], v[101:102]
	v_fma_f64 v[99:100], -v[99:100], v[105:106], v[107:108]
	v_div_fmas_f64 v[99:100], v[99:100], v[101:102], v[105:106]
	v_div_fixup_f64 v[101:102], v[99:100], v[97:98], 1.0
	v_mul_f64 v[103:104], v[103:104], -v[101:102]
.LBB111_286:
	s_or_b64 exec, exec, s[2:3]
	ds_write2_b64 v127, v[101:102], v[103:104] offset1:1
.LBB111_287:
	s_or_b64 exec, exec, s[4:5]
	s_waitcnt lgkmcnt(0)
	s_barrier
	ds_read2_b64 v[87:90], v127 offset1:1
	v_cmp_lt_u32_e32 vcc, 31, v0
	s_waitcnt lgkmcnt(0)
	buffer_store_dword v87, off, s[20:23], 0 offset:1640 ; 4-byte Folded Spill
	s_nop 0
	buffer_store_dword v88, off, s[20:23], 0 offset:1644 ; 4-byte Folded Spill
	buffer_store_dword v89, off, s[20:23], 0 offset:1648 ; 4-byte Folded Spill
	;; [unrolled: 1-line block ×3, first 2 shown]
	s_and_saveexec_b64 s[2:3], vcc
	s_cbranch_execz .LBB111_289
; %bb.288:
	buffer_load_dword v109, off, s[20:23], 0 offset:192 ; 4-byte Folded Reload
	buffer_load_dword v110, off, s[20:23], 0 offset:196 ; 4-byte Folded Reload
	;; [unrolled: 1-line block ×8, first 2 shown]
	ds_read2_b64 v[99:102], v125 offset0:64 offset1:65
	v_mov_b32_e32 v106, v94
	v_mov_b32_e32 v105, v93
	;; [unrolled: 1-line block ×4, first 2 shown]
	s_waitcnt vmcnt(2)
	v_mul_f64 v[95:96], v[87:88], v[111:112]
	s_waitcnt vmcnt(0)
	v_mul_f64 v[97:98], v[89:90], v[111:112]
	v_fma_f64 v[111:112], v[89:90], v[109:110], v[95:96]
	v_fma_f64 v[97:98], v[87:88], v[109:110], -v[97:98]
	buffer_load_dword v107, off, s[20:23], 0 offset:176 ; 4-byte Folded Reload
	buffer_load_dword v108, off, s[20:23], 0 offset:180 ; 4-byte Folded Reload
	;; [unrolled: 1-line block ×4, first 2 shown]
	s_waitcnt lgkmcnt(0)
	v_mul_f64 v[93:94], v[101:102], v[111:112]
	v_fma_f64 v[93:94], v[99:100], v[97:98], -v[93:94]
	v_mul_f64 v[99:100], v[99:100], v[111:112]
	v_fma_f64 v[99:100], v[101:102], v[97:98], v[99:100]
	s_waitcnt vmcnt(2)
	v_add_f64 v[107:108], v[107:108], -v[93:94]
	s_waitcnt vmcnt(0)
	v_add_f64 v[109:110], v[109:110], -v[99:100]
	buffer_store_dword v107, off, s[20:23], 0 offset:176 ; 4-byte Folded Spill
	s_nop 0
	buffer_store_dword v108, off, s[20:23], 0 offset:180 ; 4-byte Folded Spill
	buffer_store_dword v109, off, s[20:23], 0 offset:184 ; 4-byte Folded Spill
	;; [unrolled: 1-line block ×3, first 2 shown]
	ds_read2_b64 v[99:102], v125 offset0:66 offset1:67
	v_mov_b32_e32 v110, v98
	v_mov_b32_e32 v109, v97
	s_waitcnt lgkmcnt(0)
	v_mul_f64 v[93:94], v[101:102], v[111:112]
	v_fma_f64 v[93:94], v[99:100], v[97:98], -v[93:94]
	v_mul_f64 v[99:100], v[99:100], v[111:112]
	v_add_f64 v[103:104], v[103:104], -v[93:94]
	v_fma_f64 v[99:100], v[101:102], v[97:98], v[99:100]
	v_add_f64 v[105:106], v[105:106], -v[99:100]
	ds_read2_b64 v[99:102], v125 offset0:68 offset1:69
	buffer_load_dword v77, off, s[20:23], 0 offset:160 ; 4-byte Folded Reload
	buffer_load_dword v78, off, s[20:23], 0 offset:164 ; 4-byte Folded Reload
	buffer_load_dword v79, off, s[20:23], 0 offset:168 ; 4-byte Folded Reload
	buffer_load_dword v80, off, s[20:23], 0 offset:172 ; 4-byte Folded Reload
	s_waitcnt lgkmcnt(0)
	v_mul_f64 v[93:94], v[101:102], v[111:112]
	v_fma_f64 v[93:94], v[99:100], v[97:98], -v[93:94]
	v_mul_f64 v[99:100], v[99:100], v[111:112]
	v_fma_f64 v[99:100], v[101:102], v[97:98], v[99:100]
	s_waitcnt vmcnt(2)
	v_add_f64 v[77:78], v[77:78], -v[93:94]
	s_waitcnt vmcnt(0)
	v_add_f64 v[79:80], v[79:80], -v[99:100]
	buffer_store_dword v77, off, s[20:23], 0 offset:160 ; 4-byte Folded Spill
	s_nop 0
	buffer_store_dword v78, off, s[20:23], 0 offset:164 ; 4-byte Folded Spill
	buffer_store_dword v79, off, s[20:23], 0 offset:168 ; 4-byte Folded Spill
	buffer_store_dword v80, off, s[20:23], 0 offset:172 ; 4-byte Folded Spill
	ds_read2_b64 v[99:102], v125 offset0:70 offset1:71
	buffer_load_dword v77, off, s[20:23], 0 offset:144 ; 4-byte Folded Reload
	buffer_load_dword v78, off, s[20:23], 0 offset:148 ; 4-byte Folded Reload
	buffer_load_dword v79, off, s[20:23], 0 offset:152 ; 4-byte Folded Reload
	buffer_load_dword v80, off, s[20:23], 0 offset:156 ; 4-byte Folded Reload
	s_waitcnt lgkmcnt(0)
	v_mul_f64 v[93:94], v[101:102], v[111:112]
	v_fma_f64 v[93:94], v[99:100], v[97:98], -v[93:94]
	v_mul_f64 v[99:100], v[99:100], v[111:112]
	v_fma_f64 v[99:100], v[101:102], v[97:98], v[99:100]
	s_waitcnt vmcnt(2)
	v_add_f64 v[77:78], v[77:78], -v[93:94]
	s_waitcnt vmcnt(0)
	v_add_f64 v[79:80], v[79:80], -v[99:100]
	buffer_store_dword v77, off, s[20:23], 0 offset:144 ; 4-byte Folded Spill
	s_nop 0
	buffer_store_dword v78, off, s[20:23], 0 offset:148 ; 4-byte Folded Spill
	buffer_store_dword v79, off, s[20:23], 0 offset:152 ; 4-byte Folded Spill
	buffer_store_dword v80, off, s[20:23], 0 offset:156 ; 4-byte Folded Spill
	;; [unrolled: 19-line block ×10, first 2 shown]
	ds_read2_b64 v[99:102], v125 offset0:88 offset1:89
	buffer_load_dword v41, off, s[20:23], 0 ; 4-byte Folded Reload
	buffer_load_dword v42, off, s[20:23], 0 offset:4 ; 4-byte Folded Reload
	buffer_load_dword v43, off, s[20:23], 0 offset:8 ; 4-byte Folded Reload
	buffer_load_dword v44, off, s[20:23], 0 offset:12 ; 4-byte Folded Reload
	s_waitcnt lgkmcnt(0)
	v_mul_f64 v[93:94], v[101:102], v[111:112]
	v_fma_f64 v[93:94], v[99:100], v[97:98], -v[93:94]
	v_mul_f64 v[99:100], v[99:100], v[111:112]
	v_fma_f64 v[99:100], v[101:102], v[97:98], v[99:100]
	s_waitcnt vmcnt(2)
	v_add_f64 v[41:42], v[41:42], -v[93:94]
	s_waitcnt vmcnt(0)
	v_add_f64 v[43:44], v[43:44], -v[99:100]
	buffer_store_dword v41, off, s[20:23], 0 ; 4-byte Folded Spill
	s_nop 0
	buffer_store_dword v42, off, s[20:23], 0 offset:4 ; 4-byte Folded Spill
	buffer_store_dword v43, off, s[20:23], 0 offset:8 ; 4-byte Folded Spill
	;; [unrolled: 1-line block ×3, first 2 shown]
	ds_read2_b64 v[99:102], v125 offset0:90 offset1:91
	s_waitcnt lgkmcnt(0)
	v_mul_f64 v[93:94], v[101:102], v[111:112]
	v_fma_f64 v[93:94], v[99:100], v[97:98], -v[93:94]
	v_mul_f64 v[99:100], v[99:100], v[111:112]
	v_add_f64 v[37:38], v[37:38], -v[93:94]
	v_fma_f64 v[99:100], v[101:102], v[97:98], v[99:100]
	v_add_f64 v[39:40], v[39:40], -v[99:100]
	ds_read2_b64 v[99:102], v125 offset0:92 offset1:93
	s_waitcnt lgkmcnt(0)
	v_mul_f64 v[93:94], v[101:102], v[111:112]
	v_fma_f64 v[93:94], v[99:100], v[97:98], -v[93:94]
	v_mul_f64 v[99:100], v[99:100], v[111:112]
	v_add_f64 v[33:34], v[33:34], -v[93:94]
	v_fma_f64 v[99:100], v[101:102], v[97:98], v[99:100]
	v_add_f64 v[35:36], v[35:36], -v[99:100]
	;; [unrolled: 8-line block ×10, first 2 shown]
	ds_read2_b64 v[99:102], v125 offset0:110 offset1:111
	s_waitcnt lgkmcnt(0)
	v_mul_f64 v[93:94], v[101:102], v[111:112]
	v_fma_f64 v[93:94], v[99:100], v[97:98], -v[93:94]
	v_mul_f64 v[99:100], v[99:100], v[111:112]
	buffer_store_dword v109, off, s[20:23], 0 offset:192 ; 4-byte Folded Spill
	s_nop 0
	buffer_store_dword v110, off, s[20:23], 0 offset:196 ; 4-byte Folded Spill
	buffer_store_dword v111, off, s[20:23], 0 offset:200 ; 4-byte Folded Spill
	;; [unrolled: 1-line block ×3, first 2 shown]
	v_add_f64 v[121:122], v[121:122], -v[93:94]
	v_fma_f64 v[99:100], v[101:102], v[97:98], v[99:100]
	v_mov_b32_e32 v91, v103
	v_mov_b32_e32 v92, v104
	;; [unrolled: 1-line block ×4, first 2 shown]
	v_add_f64 v[123:124], v[123:124], -v[99:100]
.LBB111_289:
	s_or_b64 exec, exec, s[2:3]
	v_cmp_eq_u32_e32 vcc, 32, v0
	s_waitcnt vmcnt(0)
	s_barrier
	s_and_saveexec_b64 s[4:5], vcc
	s_cbranch_execz .LBB111_296
; %bb.290:
	buffer_load_dword v95, off, s[20:23], 0 offset:176 ; 4-byte Folded Reload
	buffer_load_dword v96, off, s[20:23], 0 offset:180 ; 4-byte Folded Reload
	;; [unrolled: 1-line block ×4, first 2 shown]
	s_waitcnt vmcnt(0)
	ds_write2_b64 v127, v[95:96], v[97:98] offset1:1
	ds_write2_b64 v125, v[91:92], v[93:94] offset0:66 offset1:67
	buffer_load_dword v77, off, s[20:23], 0 offset:160 ; 4-byte Folded Reload
	buffer_load_dword v78, off, s[20:23], 0 offset:164 ; 4-byte Folded Reload
	buffer_load_dword v79, off, s[20:23], 0 offset:168 ; 4-byte Folded Reload
	buffer_load_dword v80, off, s[20:23], 0 offset:172 ; 4-byte Folded Reload
	s_waitcnt vmcnt(0)
	ds_write2_b64 v125, v[77:78], v[79:80] offset0:68 offset1:69
	buffer_load_dword v77, off, s[20:23], 0 offset:144 ; 4-byte Folded Reload
	buffer_load_dword v78, off, s[20:23], 0 offset:148 ; 4-byte Folded Reload
	buffer_load_dword v79, off, s[20:23], 0 offset:152 ; 4-byte Folded Reload
	buffer_load_dword v80, off, s[20:23], 0 offset:156 ; 4-byte Folded Reload
	s_waitcnt vmcnt(0)
	ds_write2_b64 v125, v[77:78], v[79:80] offset0:70 offset1:71
	buffer_load_dword v73, off, s[20:23], 0 offset:128 ; 4-byte Folded Reload
	buffer_load_dword v74, off, s[20:23], 0 offset:132 ; 4-byte Folded Reload
	buffer_load_dword v75, off, s[20:23], 0 offset:136 ; 4-byte Folded Reload
	buffer_load_dword v76, off, s[20:23], 0 offset:140 ; 4-byte Folded Reload
	s_waitcnt vmcnt(0)
	ds_write2_b64 v125, v[73:74], v[75:76] offset0:72 offset1:73
	buffer_load_dword v69, off, s[20:23], 0 offset:112 ; 4-byte Folded Reload
	buffer_load_dword v70, off, s[20:23], 0 offset:116 ; 4-byte Folded Reload
	buffer_load_dword v71, off, s[20:23], 0 offset:120 ; 4-byte Folded Reload
	buffer_load_dword v72, off, s[20:23], 0 offset:124 ; 4-byte Folded Reload
	s_waitcnt vmcnt(0)
	ds_write2_b64 v125, v[69:70], v[71:72] offset0:74 offset1:75
	buffer_load_dword v65, off, s[20:23], 0 offset:96 ; 4-byte Folded Reload
	buffer_load_dword v66, off, s[20:23], 0 offset:100 ; 4-byte Folded Reload
	buffer_load_dword v67, off, s[20:23], 0 offset:104 ; 4-byte Folded Reload
	buffer_load_dword v68, off, s[20:23], 0 offset:108 ; 4-byte Folded Reload
	s_waitcnt vmcnt(0)
	ds_write2_b64 v125, v[65:66], v[67:68] offset0:76 offset1:77
	buffer_load_dword v61, off, s[20:23], 0 offset:80 ; 4-byte Folded Reload
	buffer_load_dword v62, off, s[20:23], 0 offset:84 ; 4-byte Folded Reload
	buffer_load_dword v63, off, s[20:23], 0 offset:88 ; 4-byte Folded Reload
	buffer_load_dword v64, off, s[20:23], 0 offset:92 ; 4-byte Folded Reload
	s_waitcnt vmcnt(0)
	ds_write2_b64 v125, v[61:62], v[63:64] offset0:78 offset1:79
	buffer_load_dword v57, off, s[20:23], 0 offset:64 ; 4-byte Folded Reload
	buffer_load_dword v58, off, s[20:23], 0 offset:68 ; 4-byte Folded Reload
	buffer_load_dword v59, off, s[20:23], 0 offset:72 ; 4-byte Folded Reload
	buffer_load_dword v60, off, s[20:23], 0 offset:76 ; 4-byte Folded Reload
	s_waitcnt vmcnt(0)
	ds_write2_b64 v125, v[57:58], v[59:60] offset0:80 offset1:81
	buffer_load_dword v53, off, s[20:23], 0 offset:48 ; 4-byte Folded Reload
	buffer_load_dword v54, off, s[20:23], 0 offset:52 ; 4-byte Folded Reload
	buffer_load_dword v55, off, s[20:23], 0 offset:56 ; 4-byte Folded Reload
	buffer_load_dword v56, off, s[20:23], 0 offset:60 ; 4-byte Folded Reload
	s_waitcnt vmcnt(0)
	ds_write2_b64 v125, v[53:54], v[55:56] offset0:82 offset1:83
	buffer_load_dword v49, off, s[20:23], 0 offset:32 ; 4-byte Folded Reload
	buffer_load_dword v50, off, s[20:23], 0 offset:36 ; 4-byte Folded Reload
	buffer_load_dword v51, off, s[20:23], 0 offset:40 ; 4-byte Folded Reload
	buffer_load_dword v52, off, s[20:23], 0 offset:44 ; 4-byte Folded Reload
	s_waitcnt vmcnt(0)
	ds_write2_b64 v125, v[49:50], v[51:52] offset0:84 offset1:85
	buffer_load_dword v45, off, s[20:23], 0 offset:16 ; 4-byte Folded Reload
	buffer_load_dword v46, off, s[20:23], 0 offset:20 ; 4-byte Folded Reload
	buffer_load_dword v47, off, s[20:23], 0 offset:24 ; 4-byte Folded Reload
	buffer_load_dword v48, off, s[20:23], 0 offset:28 ; 4-byte Folded Reload
	s_waitcnt vmcnt(0)
	ds_write2_b64 v125, v[45:46], v[47:48] offset0:86 offset1:87
	buffer_load_dword v41, off, s[20:23], 0 ; 4-byte Folded Reload
	buffer_load_dword v42, off, s[20:23], 0 offset:4 ; 4-byte Folded Reload
	buffer_load_dword v43, off, s[20:23], 0 offset:8 ; 4-byte Folded Reload
	;; [unrolled: 1-line block ×3, first 2 shown]
	s_waitcnt vmcnt(0)
	ds_write2_b64 v125, v[41:42], v[43:44] offset0:88 offset1:89
	ds_write2_b64 v125, v[37:38], v[39:40] offset0:90 offset1:91
	;; [unrolled: 1-line block ×12, first 2 shown]
	ds_read2_b64 v[97:100], v127 offset1:1
	s_waitcnt lgkmcnt(0)
	v_cmp_neq_f64_e32 vcc, 0, v[97:98]
	v_cmp_neq_f64_e64 s[2:3], 0, v[99:100]
	s_or_b64 s[2:3], vcc, s[2:3]
	s_and_b64 exec, exec, s[2:3]
	s_cbranch_execz .LBB111_296
; %bb.291:
	v_cmp_ngt_f64_e64 s[2:3], |v[97:98]|, |v[99:100]|
                                        ; implicit-def: $vgpr101_vgpr102
	s_and_saveexec_b64 s[6:7], s[2:3]
	s_xor_b64 s[2:3], exec, s[6:7]
                                        ; implicit-def: $vgpr103_vgpr104
	s_cbranch_execz .LBB111_293
; %bb.292:
	v_div_scale_f64 v[101:102], s[6:7], v[99:100], v[99:100], v[97:98]
	v_rcp_f64_e32 v[103:104], v[101:102]
	v_fma_f64 v[105:106], -v[101:102], v[103:104], 1.0
	v_fma_f64 v[103:104], v[103:104], v[105:106], v[103:104]
	v_div_scale_f64 v[105:106], vcc, v[97:98], v[99:100], v[97:98]
	v_fma_f64 v[107:108], -v[101:102], v[103:104], 1.0
	v_fma_f64 v[103:104], v[103:104], v[107:108], v[103:104]
	v_mul_f64 v[107:108], v[105:106], v[103:104]
	v_fma_f64 v[101:102], -v[101:102], v[107:108], v[105:106]
	v_div_fmas_f64 v[101:102], v[101:102], v[103:104], v[107:108]
	v_div_fixup_f64 v[101:102], v[101:102], v[99:100], v[97:98]
	v_fma_f64 v[97:98], v[97:98], v[101:102], v[99:100]
	v_div_scale_f64 v[99:100], s[6:7], v[97:98], v[97:98], 1.0
	v_div_scale_f64 v[107:108], vcc, 1.0, v[97:98], 1.0
	v_rcp_f64_e32 v[103:104], v[99:100]
	v_fma_f64 v[105:106], -v[99:100], v[103:104], 1.0
	v_fma_f64 v[103:104], v[103:104], v[105:106], v[103:104]
	v_fma_f64 v[105:106], -v[99:100], v[103:104], 1.0
	v_fma_f64 v[103:104], v[103:104], v[105:106], v[103:104]
	v_mul_f64 v[105:106], v[107:108], v[103:104]
	v_fma_f64 v[99:100], -v[99:100], v[105:106], v[107:108]
	v_div_fmas_f64 v[99:100], v[99:100], v[103:104], v[105:106]
	v_div_fixup_f64 v[103:104], v[99:100], v[97:98], 1.0
                                        ; implicit-def: $vgpr97_vgpr98
	v_mul_f64 v[101:102], v[101:102], v[103:104]
	v_xor_b32_e32 v104, 0x80000000, v104
.LBB111_293:
	s_andn2_saveexec_b64 s[2:3], s[2:3]
	s_cbranch_execz .LBB111_295
; %bb.294:
	v_div_scale_f64 v[101:102], s[6:7], v[97:98], v[97:98], v[99:100]
	v_rcp_f64_e32 v[103:104], v[101:102]
	v_fma_f64 v[105:106], -v[101:102], v[103:104], 1.0
	v_fma_f64 v[103:104], v[103:104], v[105:106], v[103:104]
	v_div_scale_f64 v[105:106], vcc, v[99:100], v[97:98], v[99:100]
	v_fma_f64 v[107:108], -v[101:102], v[103:104], 1.0
	v_fma_f64 v[103:104], v[103:104], v[107:108], v[103:104]
	v_mul_f64 v[107:108], v[105:106], v[103:104]
	v_fma_f64 v[101:102], -v[101:102], v[107:108], v[105:106]
	v_div_fmas_f64 v[101:102], v[101:102], v[103:104], v[107:108]
	v_div_fixup_f64 v[103:104], v[101:102], v[97:98], v[99:100]
	v_fma_f64 v[97:98], v[99:100], v[103:104], v[97:98]
	v_div_scale_f64 v[99:100], s[6:7], v[97:98], v[97:98], 1.0
	v_div_scale_f64 v[107:108], vcc, 1.0, v[97:98], 1.0
	v_rcp_f64_e32 v[101:102], v[99:100]
	v_fma_f64 v[105:106], -v[99:100], v[101:102], 1.0
	v_fma_f64 v[101:102], v[101:102], v[105:106], v[101:102]
	v_fma_f64 v[105:106], -v[99:100], v[101:102], 1.0
	v_fma_f64 v[101:102], v[101:102], v[105:106], v[101:102]
	v_mul_f64 v[105:106], v[107:108], v[101:102]
	v_fma_f64 v[99:100], -v[99:100], v[105:106], v[107:108]
	v_div_fmas_f64 v[99:100], v[99:100], v[101:102], v[105:106]
	v_div_fixup_f64 v[101:102], v[99:100], v[97:98], 1.0
	v_mul_f64 v[103:104], v[103:104], -v[101:102]
.LBB111_295:
	s_or_b64 exec, exec, s[2:3]
	ds_write2_b64 v127, v[101:102], v[103:104] offset1:1
.LBB111_296:
	s_or_b64 exec, exec, s[4:5]
	s_waitcnt lgkmcnt(0)
	s_barrier
	ds_read2_b64 v[87:90], v127 offset1:1
	v_cmp_lt_u32_e32 vcc, 32, v0
	s_waitcnt lgkmcnt(0)
	buffer_store_dword v87, off, s[20:23], 0 offset:1656 ; 4-byte Folded Spill
	s_nop 0
	buffer_store_dword v88, off, s[20:23], 0 offset:1660 ; 4-byte Folded Spill
	buffer_store_dword v89, off, s[20:23], 0 offset:1664 ; 4-byte Folded Spill
	;; [unrolled: 1-line block ×3, first 2 shown]
	s_and_saveexec_b64 s[2:3], vcc
	s_cbranch_execz .LBB111_298
; %bb.297:
	buffer_load_dword v107, off, s[20:23], 0 offset:176 ; 4-byte Folded Reload
	buffer_load_dword v108, off, s[20:23], 0 offset:180 ; 4-byte Folded Reload
	;; [unrolled: 1-line block ×8, first 2 shown]
	v_mov_b32_e32 v106, v94
	v_mov_b32_e32 v105, v93
	v_mov_b32_e32 v104, v92
	v_mov_b32_e32 v103, v91
	ds_read2_b64 v[99:102], v125 offset0:66 offset1:67
	s_waitcnt vmcnt(2)
	v_mul_f64 v[91:92], v[87:88], v[109:110]
	s_waitcnt vmcnt(0)
	v_mul_f64 v[97:98], v[89:90], v[109:110]
	v_fma_f64 v[109:110], v[89:90], v[107:108], v[91:92]
	v_fma_f64 v[97:98], v[87:88], v[107:108], -v[97:98]
	s_waitcnt lgkmcnt(0)
	v_mul_f64 v[89:90], v[101:102], v[109:110]
	v_mov_b32_e32 v108, v98
	v_mov_b32_e32 v107, v97
	v_fma_f64 v[89:90], v[99:100], v[97:98], -v[89:90]
	v_mul_f64 v[99:100], v[99:100], v[109:110]
	v_add_f64 v[103:104], v[103:104], -v[89:90]
	v_fma_f64 v[99:100], v[101:102], v[97:98], v[99:100]
	v_add_f64 v[105:106], v[105:106], -v[99:100]
	ds_read2_b64 v[99:102], v125 offset0:68 offset1:69
	buffer_load_dword v77, off, s[20:23], 0 offset:160 ; 4-byte Folded Reload
	buffer_load_dword v78, off, s[20:23], 0 offset:164 ; 4-byte Folded Reload
	;; [unrolled: 1-line block ×4, first 2 shown]
	v_mov_b32_e32 v91, v103
	v_mov_b32_e32 v92, v104
	s_waitcnt lgkmcnt(0)
	v_mul_f64 v[89:90], v[101:102], v[109:110]
	v_mov_b32_e32 v93, v105
	v_mov_b32_e32 v94, v106
	v_fma_f64 v[89:90], v[99:100], v[97:98], -v[89:90]
	v_mul_f64 v[99:100], v[99:100], v[109:110]
	v_fma_f64 v[99:100], v[101:102], v[97:98], v[99:100]
	s_waitcnt vmcnt(2)
	v_add_f64 v[77:78], v[77:78], -v[89:90]
	s_waitcnt vmcnt(0)
	v_add_f64 v[79:80], v[79:80], -v[99:100]
	buffer_store_dword v77, off, s[20:23], 0 offset:160 ; 4-byte Folded Spill
	s_nop 0
	buffer_store_dword v78, off, s[20:23], 0 offset:164 ; 4-byte Folded Spill
	buffer_store_dword v79, off, s[20:23], 0 offset:168 ; 4-byte Folded Spill
	buffer_store_dword v80, off, s[20:23], 0 offset:172 ; 4-byte Folded Spill
	ds_read2_b64 v[99:102], v125 offset0:70 offset1:71
	buffer_load_dword v77, off, s[20:23], 0 offset:144 ; 4-byte Folded Reload
	buffer_load_dword v78, off, s[20:23], 0 offset:148 ; 4-byte Folded Reload
	buffer_load_dword v79, off, s[20:23], 0 offset:152 ; 4-byte Folded Reload
	buffer_load_dword v80, off, s[20:23], 0 offset:156 ; 4-byte Folded Reload
	s_waitcnt lgkmcnt(0)
	v_mul_f64 v[89:90], v[101:102], v[109:110]
	v_fma_f64 v[89:90], v[99:100], v[97:98], -v[89:90]
	v_mul_f64 v[99:100], v[99:100], v[109:110]
	v_fma_f64 v[99:100], v[101:102], v[97:98], v[99:100]
	s_waitcnt vmcnt(2)
	v_add_f64 v[77:78], v[77:78], -v[89:90]
	s_waitcnt vmcnt(0)
	v_add_f64 v[79:80], v[79:80], -v[99:100]
	buffer_store_dword v77, off, s[20:23], 0 offset:144 ; 4-byte Folded Spill
	s_nop 0
	buffer_store_dword v78, off, s[20:23], 0 offset:148 ; 4-byte Folded Spill
	buffer_store_dword v79, off, s[20:23], 0 offset:152 ; 4-byte Folded Spill
	buffer_store_dword v80, off, s[20:23], 0 offset:156 ; 4-byte Folded Spill
	ds_read2_b64 v[99:102], v125 offset0:72 offset1:73
	buffer_load_dword v73, off, s[20:23], 0 offset:128 ; 4-byte Folded Reload
	buffer_load_dword v74, off, s[20:23], 0 offset:132 ; 4-byte Folded Reload
	buffer_load_dword v75, off, s[20:23], 0 offset:136 ; 4-byte Folded Reload
	buffer_load_dword v76, off, s[20:23], 0 offset:140 ; 4-byte Folded Reload
	s_waitcnt lgkmcnt(0)
	v_mul_f64 v[89:90], v[101:102], v[109:110]
	;; [unrolled: 19-line block ×9, first 2 shown]
	v_fma_f64 v[89:90], v[99:100], v[97:98], -v[89:90]
	v_mul_f64 v[99:100], v[99:100], v[109:110]
	v_fma_f64 v[99:100], v[101:102], v[97:98], v[99:100]
	s_waitcnt vmcnt(2)
	v_add_f64 v[45:46], v[45:46], -v[89:90]
	s_waitcnt vmcnt(0)
	v_add_f64 v[47:48], v[47:48], -v[99:100]
	buffer_store_dword v45, off, s[20:23], 0 offset:16 ; 4-byte Folded Spill
	s_nop 0
	buffer_store_dword v46, off, s[20:23], 0 offset:20 ; 4-byte Folded Spill
	buffer_store_dword v47, off, s[20:23], 0 offset:24 ; 4-byte Folded Spill
	;; [unrolled: 1-line block ×3, first 2 shown]
	ds_read2_b64 v[99:102], v125 offset0:88 offset1:89
	buffer_load_dword v41, off, s[20:23], 0 ; 4-byte Folded Reload
	buffer_load_dword v42, off, s[20:23], 0 offset:4 ; 4-byte Folded Reload
	buffer_load_dword v43, off, s[20:23], 0 offset:8 ; 4-byte Folded Reload
	;; [unrolled: 1-line block ×3, first 2 shown]
	s_waitcnt lgkmcnt(0)
	v_mul_f64 v[89:90], v[101:102], v[109:110]
	v_fma_f64 v[89:90], v[99:100], v[97:98], -v[89:90]
	v_mul_f64 v[99:100], v[99:100], v[109:110]
	v_fma_f64 v[99:100], v[101:102], v[97:98], v[99:100]
	s_waitcnt vmcnt(2)
	v_add_f64 v[41:42], v[41:42], -v[89:90]
	s_waitcnt vmcnt(0)
	v_add_f64 v[43:44], v[43:44], -v[99:100]
	buffer_store_dword v41, off, s[20:23], 0 ; 4-byte Folded Spill
	s_nop 0
	buffer_store_dword v42, off, s[20:23], 0 offset:4 ; 4-byte Folded Spill
	buffer_store_dword v43, off, s[20:23], 0 offset:8 ; 4-byte Folded Spill
	;; [unrolled: 1-line block ×3, first 2 shown]
	ds_read2_b64 v[99:102], v125 offset0:90 offset1:91
	s_waitcnt lgkmcnt(0)
	v_mul_f64 v[89:90], v[101:102], v[109:110]
	v_fma_f64 v[89:90], v[99:100], v[97:98], -v[89:90]
	v_mul_f64 v[99:100], v[99:100], v[109:110]
	v_add_f64 v[37:38], v[37:38], -v[89:90]
	v_fma_f64 v[99:100], v[101:102], v[97:98], v[99:100]
	v_add_f64 v[39:40], v[39:40], -v[99:100]
	ds_read2_b64 v[99:102], v125 offset0:92 offset1:93
	s_waitcnt lgkmcnt(0)
	v_mul_f64 v[89:90], v[101:102], v[109:110]
	v_fma_f64 v[89:90], v[99:100], v[97:98], -v[89:90]
	v_mul_f64 v[99:100], v[99:100], v[109:110]
	v_add_f64 v[33:34], v[33:34], -v[89:90]
	v_fma_f64 v[99:100], v[101:102], v[97:98], v[99:100]
	v_add_f64 v[35:36], v[35:36], -v[99:100]
	;; [unrolled: 8-line block ×10, first 2 shown]
	ds_read2_b64 v[99:102], v125 offset0:110 offset1:111
	s_waitcnt lgkmcnt(0)
	v_mul_f64 v[89:90], v[101:102], v[109:110]
	v_fma_f64 v[89:90], v[99:100], v[97:98], -v[89:90]
	v_mul_f64 v[99:100], v[99:100], v[109:110]
	buffer_store_dword v107, off, s[20:23], 0 offset:176 ; 4-byte Folded Spill
	s_nop 0
	buffer_store_dword v108, off, s[20:23], 0 offset:180 ; 4-byte Folded Spill
	buffer_store_dword v109, off, s[20:23], 0 offset:184 ; 4-byte Folded Spill
	;; [unrolled: 1-line block ×3, first 2 shown]
	v_add_f64 v[121:122], v[121:122], -v[89:90]
	v_fma_f64 v[99:100], v[101:102], v[97:98], v[99:100]
	v_add_f64 v[123:124], v[123:124], -v[99:100]
.LBB111_298:
	s_or_b64 exec, exec, s[2:3]
	v_cmp_eq_u32_e32 vcc, 33, v0
	s_waitcnt vmcnt(0)
	s_barrier
	s_and_saveexec_b64 s[4:5], vcc
	s_cbranch_execz .LBB111_305
; %bb.299:
	ds_write2_b64 v127, v[91:92], v[93:94] offset1:1
	buffer_load_dword v77, off, s[20:23], 0 offset:160 ; 4-byte Folded Reload
	buffer_load_dword v78, off, s[20:23], 0 offset:164 ; 4-byte Folded Reload
	buffer_load_dword v79, off, s[20:23], 0 offset:168 ; 4-byte Folded Reload
	buffer_load_dword v80, off, s[20:23], 0 offset:172 ; 4-byte Folded Reload
	s_waitcnt vmcnt(0)
	ds_write2_b64 v125, v[77:78], v[79:80] offset0:68 offset1:69
	buffer_load_dword v77, off, s[20:23], 0 offset:144 ; 4-byte Folded Reload
	buffer_load_dword v78, off, s[20:23], 0 offset:148 ; 4-byte Folded Reload
	buffer_load_dword v79, off, s[20:23], 0 offset:152 ; 4-byte Folded Reload
	buffer_load_dword v80, off, s[20:23], 0 offset:156 ; 4-byte Folded Reload
	s_waitcnt vmcnt(0)
	ds_write2_b64 v125, v[77:78], v[79:80] offset0:70 offset1:71
	;; [unrolled: 6-line block ×10, first 2 shown]
	buffer_load_dword v41, off, s[20:23], 0 ; 4-byte Folded Reload
	buffer_load_dword v42, off, s[20:23], 0 offset:4 ; 4-byte Folded Reload
	buffer_load_dword v43, off, s[20:23], 0 offset:8 ; 4-byte Folded Reload
	;; [unrolled: 1-line block ×3, first 2 shown]
	s_waitcnt vmcnt(0)
	ds_write2_b64 v125, v[41:42], v[43:44] offset0:88 offset1:89
	ds_write2_b64 v125, v[37:38], v[39:40] offset0:90 offset1:91
	;; [unrolled: 1-line block ×12, first 2 shown]
	ds_read2_b64 v[97:100], v127 offset1:1
	s_waitcnt lgkmcnt(0)
	v_cmp_neq_f64_e32 vcc, 0, v[97:98]
	v_cmp_neq_f64_e64 s[2:3], 0, v[99:100]
	s_or_b64 s[2:3], vcc, s[2:3]
	s_and_b64 exec, exec, s[2:3]
	s_cbranch_execz .LBB111_305
; %bb.300:
	v_cmp_ngt_f64_e64 s[2:3], |v[97:98]|, |v[99:100]|
                                        ; implicit-def: $vgpr101_vgpr102
	s_and_saveexec_b64 s[6:7], s[2:3]
	s_xor_b64 s[2:3], exec, s[6:7]
                                        ; implicit-def: $vgpr103_vgpr104
	s_cbranch_execz .LBB111_302
; %bb.301:
	v_div_scale_f64 v[101:102], s[6:7], v[99:100], v[99:100], v[97:98]
	v_rcp_f64_e32 v[103:104], v[101:102]
	v_fma_f64 v[105:106], -v[101:102], v[103:104], 1.0
	v_fma_f64 v[103:104], v[103:104], v[105:106], v[103:104]
	v_div_scale_f64 v[105:106], vcc, v[97:98], v[99:100], v[97:98]
	v_fma_f64 v[107:108], -v[101:102], v[103:104], 1.0
	v_fma_f64 v[103:104], v[103:104], v[107:108], v[103:104]
	v_mul_f64 v[107:108], v[105:106], v[103:104]
	v_fma_f64 v[101:102], -v[101:102], v[107:108], v[105:106]
	v_div_fmas_f64 v[101:102], v[101:102], v[103:104], v[107:108]
	v_div_fixup_f64 v[101:102], v[101:102], v[99:100], v[97:98]
	v_fma_f64 v[97:98], v[97:98], v[101:102], v[99:100]
	v_div_scale_f64 v[99:100], s[6:7], v[97:98], v[97:98], 1.0
	v_div_scale_f64 v[107:108], vcc, 1.0, v[97:98], 1.0
	v_rcp_f64_e32 v[103:104], v[99:100]
	v_fma_f64 v[105:106], -v[99:100], v[103:104], 1.0
	v_fma_f64 v[103:104], v[103:104], v[105:106], v[103:104]
	v_fma_f64 v[105:106], -v[99:100], v[103:104], 1.0
	v_fma_f64 v[103:104], v[103:104], v[105:106], v[103:104]
	v_mul_f64 v[105:106], v[107:108], v[103:104]
	v_fma_f64 v[99:100], -v[99:100], v[105:106], v[107:108]
	v_div_fmas_f64 v[99:100], v[99:100], v[103:104], v[105:106]
	v_div_fixup_f64 v[103:104], v[99:100], v[97:98], 1.0
                                        ; implicit-def: $vgpr97_vgpr98
	v_mul_f64 v[101:102], v[101:102], v[103:104]
	v_xor_b32_e32 v104, 0x80000000, v104
.LBB111_302:
	s_andn2_saveexec_b64 s[2:3], s[2:3]
	s_cbranch_execz .LBB111_304
; %bb.303:
	v_div_scale_f64 v[101:102], s[6:7], v[97:98], v[97:98], v[99:100]
	v_rcp_f64_e32 v[103:104], v[101:102]
	v_fma_f64 v[105:106], -v[101:102], v[103:104], 1.0
	v_fma_f64 v[103:104], v[103:104], v[105:106], v[103:104]
	v_div_scale_f64 v[105:106], vcc, v[99:100], v[97:98], v[99:100]
	v_fma_f64 v[107:108], -v[101:102], v[103:104], 1.0
	v_fma_f64 v[103:104], v[103:104], v[107:108], v[103:104]
	v_mul_f64 v[107:108], v[105:106], v[103:104]
	v_fma_f64 v[101:102], -v[101:102], v[107:108], v[105:106]
	v_div_fmas_f64 v[101:102], v[101:102], v[103:104], v[107:108]
	v_div_fixup_f64 v[103:104], v[101:102], v[97:98], v[99:100]
	v_fma_f64 v[97:98], v[99:100], v[103:104], v[97:98]
	v_div_scale_f64 v[99:100], s[6:7], v[97:98], v[97:98], 1.0
	v_div_scale_f64 v[107:108], vcc, 1.0, v[97:98], 1.0
	v_rcp_f64_e32 v[101:102], v[99:100]
	v_fma_f64 v[105:106], -v[99:100], v[101:102], 1.0
	v_fma_f64 v[101:102], v[101:102], v[105:106], v[101:102]
	v_fma_f64 v[105:106], -v[99:100], v[101:102], 1.0
	v_fma_f64 v[101:102], v[101:102], v[105:106], v[101:102]
	v_mul_f64 v[105:106], v[107:108], v[101:102]
	v_fma_f64 v[99:100], -v[99:100], v[105:106], v[107:108]
	v_div_fmas_f64 v[99:100], v[99:100], v[101:102], v[105:106]
	v_div_fixup_f64 v[101:102], v[99:100], v[97:98], 1.0
	v_mul_f64 v[103:104], v[103:104], -v[101:102]
.LBB111_304:
	s_or_b64 exec, exec, s[2:3]
	ds_write2_b64 v127, v[101:102], v[103:104] offset1:1
.LBB111_305:
	s_or_b64 exec, exec, s[4:5]
	s_waitcnt lgkmcnt(0)
	s_barrier
	ds_read2_b64 v[87:90], v127 offset1:1
	v_cmp_lt_u32_e32 vcc, 33, v0
	s_waitcnt lgkmcnt(0)
	buffer_store_dword v87, off, s[20:23], 0 offset:1672 ; 4-byte Folded Spill
	s_nop 0
	buffer_store_dword v88, off, s[20:23], 0 offset:1676 ; 4-byte Folded Spill
	buffer_store_dword v89, off, s[20:23], 0 offset:1680 ; 4-byte Folded Spill
	;; [unrolled: 1-line block ×3, first 2 shown]
	s_and_saveexec_b64 s[2:3], vcc
	s_cbranch_execz .LBB111_307
; %bb.306:
	buffer_load_dword v87, off, s[20:23], 0 offset:1672 ; 4-byte Folded Reload
	buffer_load_dword v88, off, s[20:23], 0 offset:1676 ; 4-byte Folded Reload
	;; [unrolled: 1-line block ×4, first 2 shown]
	v_mov_b32_e32 v104, v94
	v_mov_b32_e32 v103, v93
	;; [unrolled: 1-line block ×4, first 2 shown]
	s_waitcnt vmcnt(0)
	v_mul_f64 v[97:98], v[89:90], v[93:94]
	v_fma_f64 v[97:98], v[87:88], v[91:92], -v[97:98]
	v_mul_f64 v[87:88], v[87:88], v[103:104]
	v_mov_b32_e32 v91, v97
	v_fma_f64 v[103:104], v[89:90], v[101:102], v[87:88]
	ds_read2_b64 v[99:102], v125 offset0:68 offset1:69
	buffer_load_dword v77, off, s[20:23], 0 offset:160 ; 4-byte Folded Reload
	buffer_load_dword v78, off, s[20:23], 0 offset:164 ; 4-byte Folded Reload
	;; [unrolled: 1-line block ×4, first 2 shown]
	v_mov_b32_e32 v92, v98
	s_waitcnt lgkmcnt(0)
	v_mul_f64 v[85:86], v[101:102], v[103:104]
	v_mov_b32_e32 v93, v103
	v_mov_b32_e32 v94, v104
	v_fma_f64 v[85:86], v[99:100], v[97:98], -v[85:86]
	v_mul_f64 v[99:100], v[99:100], v[103:104]
	v_fma_f64 v[99:100], v[101:102], v[97:98], v[99:100]
	s_waitcnt vmcnt(2)
	v_add_f64 v[77:78], v[77:78], -v[85:86]
	s_waitcnt vmcnt(0)
	v_add_f64 v[79:80], v[79:80], -v[99:100]
	buffer_store_dword v77, off, s[20:23], 0 offset:160 ; 4-byte Folded Spill
	s_nop 0
	buffer_store_dword v78, off, s[20:23], 0 offset:164 ; 4-byte Folded Spill
	buffer_store_dword v79, off, s[20:23], 0 offset:168 ; 4-byte Folded Spill
	buffer_store_dword v80, off, s[20:23], 0 offset:172 ; 4-byte Folded Spill
	ds_read2_b64 v[99:102], v125 offset0:70 offset1:71
	buffer_load_dword v77, off, s[20:23], 0 offset:144 ; 4-byte Folded Reload
	buffer_load_dword v78, off, s[20:23], 0 offset:148 ; 4-byte Folded Reload
	buffer_load_dword v79, off, s[20:23], 0 offset:152 ; 4-byte Folded Reload
	buffer_load_dword v80, off, s[20:23], 0 offset:156 ; 4-byte Folded Reload
	s_waitcnt lgkmcnt(0)
	v_mul_f64 v[85:86], v[101:102], v[103:104]
	v_fma_f64 v[85:86], v[99:100], v[97:98], -v[85:86]
	v_mul_f64 v[99:100], v[99:100], v[103:104]
	v_fma_f64 v[99:100], v[101:102], v[97:98], v[99:100]
	s_waitcnt vmcnt(2)
	v_add_f64 v[77:78], v[77:78], -v[85:86]
	s_waitcnt vmcnt(0)
	v_add_f64 v[79:80], v[79:80], -v[99:100]
	buffer_store_dword v77, off, s[20:23], 0 offset:144 ; 4-byte Folded Spill
	s_nop 0
	buffer_store_dword v78, off, s[20:23], 0 offset:148 ; 4-byte Folded Spill
	buffer_store_dword v79, off, s[20:23], 0 offset:152 ; 4-byte Folded Spill
	buffer_store_dword v80, off, s[20:23], 0 offset:156 ; 4-byte Folded Spill
	ds_read2_b64 v[99:102], v125 offset0:72 offset1:73
	buffer_load_dword v73, off, s[20:23], 0 offset:128 ; 4-byte Folded Reload
	buffer_load_dword v74, off, s[20:23], 0 offset:132 ; 4-byte Folded Reload
	buffer_load_dword v75, off, s[20:23], 0 offset:136 ; 4-byte Folded Reload
	buffer_load_dword v76, off, s[20:23], 0 offset:140 ; 4-byte Folded Reload
	s_waitcnt lgkmcnt(0)
	v_mul_f64 v[85:86], v[101:102], v[103:104]
	;; [unrolled: 19-line block ×9, first 2 shown]
	v_fma_f64 v[85:86], v[99:100], v[97:98], -v[85:86]
	v_mul_f64 v[99:100], v[99:100], v[103:104]
	v_fma_f64 v[99:100], v[101:102], v[97:98], v[99:100]
	s_waitcnt vmcnt(2)
	v_add_f64 v[45:46], v[45:46], -v[85:86]
	s_waitcnt vmcnt(0)
	v_add_f64 v[47:48], v[47:48], -v[99:100]
	buffer_store_dword v45, off, s[20:23], 0 offset:16 ; 4-byte Folded Spill
	s_nop 0
	buffer_store_dword v46, off, s[20:23], 0 offset:20 ; 4-byte Folded Spill
	buffer_store_dword v47, off, s[20:23], 0 offset:24 ; 4-byte Folded Spill
	;; [unrolled: 1-line block ×3, first 2 shown]
	ds_read2_b64 v[99:102], v125 offset0:88 offset1:89
	buffer_load_dword v41, off, s[20:23], 0 ; 4-byte Folded Reload
	buffer_load_dword v42, off, s[20:23], 0 offset:4 ; 4-byte Folded Reload
	buffer_load_dword v43, off, s[20:23], 0 offset:8 ; 4-byte Folded Reload
	;; [unrolled: 1-line block ×3, first 2 shown]
	s_waitcnt lgkmcnt(0)
	v_mul_f64 v[85:86], v[101:102], v[103:104]
	v_fma_f64 v[85:86], v[99:100], v[97:98], -v[85:86]
	v_mul_f64 v[99:100], v[99:100], v[103:104]
	v_fma_f64 v[99:100], v[101:102], v[97:98], v[99:100]
	s_waitcnt vmcnt(2)
	v_add_f64 v[41:42], v[41:42], -v[85:86]
	s_waitcnt vmcnt(0)
	v_add_f64 v[43:44], v[43:44], -v[99:100]
	buffer_store_dword v41, off, s[20:23], 0 ; 4-byte Folded Spill
	s_nop 0
	buffer_store_dword v42, off, s[20:23], 0 offset:4 ; 4-byte Folded Spill
	buffer_store_dword v43, off, s[20:23], 0 offset:8 ; 4-byte Folded Spill
	;; [unrolled: 1-line block ×3, first 2 shown]
	ds_read2_b64 v[99:102], v125 offset0:90 offset1:91
	s_waitcnt lgkmcnt(0)
	v_mul_f64 v[85:86], v[101:102], v[103:104]
	v_fma_f64 v[85:86], v[99:100], v[97:98], -v[85:86]
	v_mul_f64 v[99:100], v[99:100], v[103:104]
	v_add_f64 v[37:38], v[37:38], -v[85:86]
	v_fma_f64 v[99:100], v[101:102], v[97:98], v[99:100]
	v_add_f64 v[39:40], v[39:40], -v[99:100]
	ds_read2_b64 v[99:102], v125 offset0:92 offset1:93
	s_waitcnt lgkmcnt(0)
	v_mul_f64 v[85:86], v[101:102], v[103:104]
	v_fma_f64 v[85:86], v[99:100], v[97:98], -v[85:86]
	v_mul_f64 v[99:100], v[99:100], v[103:104]
	v_add_f64 v[33:34], v[33:34], -v[85:86]
	v_fma_f64 v[99:100], v[101:102], v[97:98], v[99:100]
	v_add_f64 v[35:36], v[35:36], -v[99:100]
	;; [unrolled: 8-line block ×11, first 2 shown]
.LBB111_307:
	s_or_b64 exec, exec, s[2:3]
	v_cmp_eq_u32_e32 vcc, 34, v0
	s_waitcnt vmcnt(0)
	s_barrier
	s_and_saveexec_b64 s[4:5], vcc
	s_cbranch_execz .LBB111_314
; %bb.308:
	buffer_load_dword v77, off, s[20:23], 0 offset:160 ; 4-byte Folded Reload
	buffer_load_dword v78, off, s[20:23], 0 offset:164 ; 4-byte Folded Reload
	;; [unrolled: 1-line block ×4, first 2 shown]
	s_waitcnt vmcnt(0)
	ds_write2_b64 v127, v[77:78], v[79:80] offset1:1
	buffer_load_dword v77, off, s[20:23], 0 offset:144 ; 4-byte Folded Reload
	buffer_load_dword v78, off, s[20:23], 0 offset:148 ; 4-byte Folded Reload
	buffer_load_dword v79, off, s[20:23], 0 offset:152 ; 4-byte Folded Reload
	buffer_load_dword v80, off, s[20:23], 0 offset:156 ; 4-byte Folded Reload
	s_waitcnt vmcnt(0)
	ds_write2_b64 v125, v[77:78], v[79:80] offset0:70 offset1:71
	buffer_load_dword v73, off, s[20:23], 0 offset:128 ; 4-byte Folded Reload
	buffer_load_dword v74, off, s[20:23], 0 offset:132 ; 4-byte Folded Reload
	buffer_load_dword v75, off, s[20:23], 0 offset:136 ; 4-byte Folded Reload
	buffer_load_dword v76, off, s[20:23], 0 offset:140 ; 4-byte Folded Reload
	s_waitcnt vmcnt(0)
	ds_write2_b64 v125, v[73:74], v[75:76] offset0:72 offset1:73
	;; [unrolled: 6-line block ×9, first 2 shown]
	buffer_load_dword v41, off, s[20:23], 0 ; 4-byte Folded Reload
	buffer_load_dword v42, off, s[20:23], 0 offset:4 ; 4-byte Folded Reload
	buffer_load_dword v43, off, s[20:23], 0 offset:8 ; 4-byte Folded Reload
	;; [unrolled: 1-line block ×3, first 2 shown]
	s_waitcnt vmcnt(0)
	ds_write2_b64 v125, v[41:42], v[43:44] offset0:88 offset1:89
	ds_write2_b64 v125, v[37:38], v[39:40] offset0:90 offset1:91
	;; [unrolled: 1-line block ×12, first 2 shown]
	ds_read2_b64 v[97:100], v127 offset1:1
	s_waitcnt lgkmcnt(0)
	v_cmp_neq_f64_e32 vcc, 0, v[97:98]
	v_cmp_neq_f64_e64 s[2:3], 0, v[99:100]
	s_or_b64 s[2:3], vcc, s[2:3]
	s_and_b64 exec, exec, s[2:3]
	s_cbranch_execz .LBB111_314
; %bb.309:
	v_cmp_ngt_f64_e64 s[2:3], |v[97:98]|, |v[99:100]|
                                        ; implicit-def: $vgpr101_vgpr102
	s_and_saveexec_b64 s[6:7], s[2:3]
	s_xor_b64 s[2:3], exec, s[6:7]
                                        ; implicit-def: $vgpr103_vgpr104
	s_cbranch_execz .LBB111_311
; %bb.310:
	v_div_scale_f64 v[101:102], s[6:7], v[99:100], v[99:100], v[97:98]
	v_rcp_f64_e32 v[103:104], v[101:102]
	v_fma_f64 v[105:106], -v[101:102], v[103:104], 1.0
	v_fma_f64 v[103:104], v[103:104], v[105:106], v[103:104]
	v_div_scale_f64 v[105:106], vcc, v[97:98], v[99:100], v[97:98]
	v_fma_f64 v[107:108], -v[101:102], v[103:104], 1.0
	v_fma_f64 v[103:104], v[103:104], v[107:108], v[103:104]
	v_mul_f64 v[107:108], v[105:106], v[103:104]
	v_fma_f64 v[101:102], -v[101:102], v[107:108], v[105:106]
	v_div_fmas_f64 v[101:102], v[101:102], v[103:104], v[107:108]
	v_div_fixup_f64 v[101:102], v[101:102], v[99:100], v[97:98]
	v_fma_f64 v[97:98], v[97:98], v[101:102], v[99:100]
	v_div_scale_f64 v[99:100], s[6:7], v[97:98], v[97:98], 1.0
	v_div_scale_f64 v[107:108], vcc, 1.0, v[97:98], 1.0
	v_rcp_f64_e32 v[103:104], v[99:100]
	v_fma_f64 v[105:106], -v[99:100], v[103:104], 1.0
	v_fma_f64 v[103:104], v[103:104], v[105:106], v[103:104]
	v_fma_f64 v[105:106], -v[99:100], v[103:104], 1.0
	v_fma_f64 v[103:104], v[103:104], v[105:106], v[103:104]
	v_mul_f64 v[105:106], v[107:108], v[103:104]
	v_fma_f64 v[99:100], -v[99:100], v[105:106], v[107:108]
	v_div_fmas_f64 v[99:100], v[99:100], v[103:104], v[105:106]
	v_div_fixup_f64 v[103:104], v[99:100], v[97:98], 1.0
                                        ; implicit-def: $vgpr97_vgpr98
	v_mul_f64 v[101:102], v[101:102], v[103:104]
	v_xor_b32_e32 v104, 0x80000000, v104
.LBB111_311:
	s_andn2_saveexec_b64 s[2:3], s[2:3]
	s_cbranch_execz .LBB111_313
; %bb.312:
	v_div_scale_f64 v[101:102], s[6:7], v[97:98], v[97:98], v[99:100]
	v_rcp_f64_e32 v[103:104], v[101:102]
	v_fma_f64 v[105:106], -v[101:102], v[103:104], 1.0
	v_fma_f64 v[103:104], v[103:104], v[105:106], v[103:104]
	v_div_scale_f64 v[105:106], vcc, v[99:100], v[97:98], v[99:100]
	v_fma_f64 v[107:108], -v[101:102], v[103:104], 1.0
	v_fma_f64 v[103:104], v[103:104], v[107:108], v[103:104]
	v_mul_f64 v[107:108], v[105:106], v[103:104]
	v_fma_f64 v[101:102], -v[101:102], v[107:108], v[105:106]
	v_div_fmas_f64 v[101:102], v[101:102], v[103:104], v[107:108]
	v_div_fixup_f64 v[103:104], v[101:102], v[97:98], v[99:100]
	v_fma_f64 v[97:98], v[99:100], v[103:104], v[97:98]
	v_div_scale_f64 v[99:100], s[6:7], v[97:98], v[97:98], 1.0
	v_div_scale_f64 v[107:108], vcc, 1.0, v[97:98], 1.0
	v_rcp_f64_e32 v[101:102], v[99:100]
	v_fma_f64 v[105:106], -v[99:100], v[101:102], 1.0
	v_fma_f64 v[101:102], v[101:102], v[105:106], v[101:102]
	v_fma_f64 v[105:106], -v[99:100], v[101:102], 1.0
	v_fma_f64 v[101:102], v[101:102], v[105:106], v[101:102]
	v_mul_f64 v[105:106], v[107:108], v[101:102]
	v_fma_f64 v[99:100], -v[99:100], v[105:106], v[107:108]
	v_div_fmas_f64 v[99:100], v[99:100], v[101:102], v[105:106]
	v_div_fixup_f64 v[101:102], v[99:100], v[97:98], 1.0
	v_mul_f64 v[103:104], v[103:104], -v[101:102]
.LBB111_313:
	s_or_b64 exec, exec, s[2:3]
	ds_write2_b64 v127, v[101:102], v[103:104] offset1:1
.LBB111_314:
	s_or_b64 exec, exec, s[4:5]
	s_waitcnt lgkmcnt(0)
	s_barrier
	ds_read2_b64 v[85:88], v127 offset1:1
	v_cmp_lt_u32_e32 vcc, 34, v0
	s_waitcnt lgkmcnt(0)
	buffer_store_dword v85, off, s[20:23], 0 offset:1712 ; 4-byte Folded Spill
	s_nop 0
	buffer_store_dword v86, off, s[20:23], 0 offset:1716 ; 4-byte Folded Spill
	buffer_store_dword v87, off, s[20:23], 0 offset:1720 ; 4-byte Folded Spill
	;; [unrolled: 1-line block ×3, first 2 shown]
	s_and_saveexec_b64 s[2:3], vcc
	s_cbranch_execz .LBB111_316
; %bb.315:
	buffer_load_dword v85, off, s[20:23], 0 offset:1712 ; 4-byte Folded Reload
	buffer_load_dword v86, off, s[20:23], 0 offset:1716 ; 4-byte Folded Reload
	;; [unrolled: 1-line block ×8, first 2 shown]
	ds_read2_b64 v[99:102], v125 offset0:70 offset1:71
	buffer_load_dword v77, off, s[20:23], 0 offset:144 ; 4-byte Folded Reload
	buffer_load_dword v78, off, s[20:23], 0 offset:148 ; 4-byte Folded Reload
	;; [unrolled: 1-line block ×4, first 2 shown]
	s_waitcnt vmcnt(4)
	v_mul_f64 v[97:98], v[87:88], v[83:84]
	v_mul_f64 v[83:84], v[85:86], v[83:84]
	v_fma_f64 v[97:98], v[85:86], v[81:82], -v[97:98]
	v_fma_f64 v[83:84], v[87:88], v[81:82], v[83:84]
	s_waitcnt lgkmcnt(0)
	v_mul_f64 v[81:82], v[101:102], v[83:84]
	v_fma_f64 v[81:82], v[99:100], v[97:98], -v[81:82]
	v_mul_f64 v[99:100], v[99:100], v[83:84]
	s_waitcnt vmcnt(2)
	v_add_f64 v[77:78], v[77:78], -v[81:82]
	v_fma_f64 v[99:100], v[101:102], v[97:98], v[99:100]
	s_waitcnt vmcnt(0)
	v_add_f64 v[79:80], v[79:80], -v[99:100]
	buffer_store_dword v77, off, s[20:23], 0 offset:144 ; 4-byte Folded Spill
	s_nop 0
	buffer_store_dword v78, off, s[20:23], 0 offset:148 ; 4-byte Folded Spill
	buffer_store_dword v79, off, s[20:23], 0 offset:152 ; 4-byte Folded Spill
	buffer_store_dword v80, off, s[20:23], 0 offset:156 ; 4-byte Folded Spill
	ds_read2_b64 v[99:102], v125 offset0:72 offset1:73
	buffer_load_dword v73, off, s[20:23], 0 offset:128 ; 4-byte Folded Reload
	buffer_load_dword v74, off, s[20:23], 0 offset:132 ; 4-byte Folded Reload
	buffer_load_dword v75, off, s[20:23], 0 offset:136 ; 4-byte Folded Reload
	buffer_load_dword v76, off, s[20:23], 0 offset:140 ; 4-byte Folded Reload
	s_waitcnt lgkmcnt(0)
	v_mul_f64 v[81:82], v[101:102], v[83:84]
	v_fma_f64 v[81:82], v[99:100], v[97:98], -v[81:82]
	v_mul_f64 v[99:100], v[99:100], v[83:84]
	v_fma_f64 v[99:100], v[101:102], v[97:98], v[99:100]
	s_waitcnt vmcnt(2)
	v_add_f64 v[73:74], v[73:74], -v[81:82]
	s_waitcnt vmcnt(0)
	v_add_f64 v[75:76], v[75:76], -v[99:100]
	buffer_store_dword v73, off, s[20:23], 0 offset:128 ; 4-byte Folded Spill
	s_nop 0
	buffer_store_dword v74, off, s[20:23], 0 offset:132 ; 4-byte Folded Spill
	buffer_store_dword v75, off, s[20:23], 0 offset:136 ; 4-byte Folded Spill
	buffer_store_dword v76, off, s[20:23], 0 offset:140 ; 4-byte Folded Spill
	ds_read2_b64 v[99:102], v125 offset0:74 offset1:75
	buffer_load_dword v69, off, s[20:23], 0 offset:112 ; 4-byte Folded Reload
	buffer_load_dword v70, off, s[20:23], 0 offset:116 ; 4-byte Folded Reload
	buffer_load_dword v71, off, s[20:23], 0 offset:120 ; 4-byte Folded Reload
	buffer_load_dword v72, off, s[20:23], 0 offset:124 ; 4-byte Folded Reload
	s_waitcnt lgkmcnt(0)
	v_mul_f64 v[81:82], v[101:102], v[83:84]
	v_fma_f64 v[81:82], v[99:100], v[97:98], -v[81:82]
	v_mul_f64 v[99:100], v[99:100], v[83:84]
	v_fma_f64 v[99:100], v[101:102], v[97:98], v[99:100]
	s_waitcnt vmcnt(2)
	v_add_f64 v[69:70], v[69:70], -v[81:82]
	;; [unrolled: 19-line block ×8, first 2 shown]
	s_waitcnt vmcnt(0)
	v_add_f64 v[47:48], v[47:48], -v[99:100]
	buffer_store_dword v45, off, s[20:23], 0 offset:16 ; 4-byte Folded Spill
	s_nop 0
	buffer_store_dword v46, off, s[20:23], 0 offset:20 ; 4-byte Folded Spill
	buffer_store_dword v47, off, s[20:23], 0 offset:24 ; 4-byte Folded Spill
	buffer_store_dword v48, off, s[20:23], 0 offset:28 ; 4-byte Folded Spill
	ds_read2_b64 v[99:102], v125 offset0:88 offset1:89
	buffer_load_dword v41, off, s[20:23], 0 ; 4-byte Folded Reload
	buffer_load_dword v42, off, s[20:23], 0 offset:4 ; 4-byte Folded Reload
	buffer_load_dword v43, off, s[20:23], 0 offset:8 ; 4-byte Folded Reload
	;; [unrolled: 1-line block ×3, first 2 shown]
	s_waitcnt lgkmcnt(0)
	v_mul_f64 v[81:82], v[101:102], v[83:84]
	v_fma_f64 v[81:82], v[99:100], v[97:98], -v[81:82]
	v_mul_f64 v[99:100], v[99:100], v[83:84]
	v_fma_f64 v[99:100], v[101:102], v[97:98], v[99:100]
	s_waitcnt vmcnt(2)
	v_add_f64 v[41:42], v[41:42], -v[81:82]
	s_waitcnt vmcnt(0)
	v_add_f64 v[43:44], v[43:44], -v[99:100]
	buffer_store_dword v41, off, s[20:23], 0 ; 4-byte Folded Spill
	s_nop 0
	buffer_store_dword v42, off, s[20:23], 0 offset:4 ; 4-byte Folded Spill
	buffer_store_dword v43, off, s[20:23], 0 offset:8 ; 4-byte Folded Spill
	;; [unrolled: 1-line block ×3, first 2 shown]
	ds_read2_b64 v[99:102], v125 offset0:90 offset1:91
	s_waitcnt lgkmcnt(0)
	v_mul_f64 v[81:82], v[101:102], v[83:84]
	v_fma_f64 v[81:82], v[99:100], v[97:98], -v[81:82]
	v_mul_f64 v[99:100], v[99:100], v[83:84]
	v_add_f64 v[37:38], v[37:38], -v[81:82]
	v_fma_f64 v[99:100], v[101:102], v[97:98], v[99:100]
	v_add_f64 v[39:40], v[39:40], -v[99:100]
	ds_read2_b64 v[99:102], v125 offset0:92 offset1:93
	s_waitcnt lgkmcnt(0)
	v_mul_f64 v[81:82], v[101:102], v[83:84]
	v_fma_f64 v[81:82], v[99:100], v[97:98], -v[81:82]
	v_mul_f64 v[99:100], v[99:100], v[83:84]
	v_add_f64 v[33:34], v[33:34], -v[81:82]
	v_fma_f64 v[99:100], v[101:102], v[97:98], v[99:100]
	v_add_f64 v[35:36], v[35:36], -v[99:100]
	;; [unrolled: 8-line block ×10, first 2 shown]
	ds_read2_b64 v[99:102], v125 offset0:110 offset1:111
	s_waitcnt lgkmcnt(0)
	v_mul_f64 v[81:82], v[101:102], v[83:84]
	v_fma_f64 v[81:82], v[99:100], v[97:98], -v[81:82]
	v_mul_f64 v[99:100], v[99:100], v[83:84]
	v_add_f64 v[121:122], v[121:122], -v[81:82]
	v_fma_f64 v[99:100], v[101:102], v[97:98], v[99:100]
	v_mov_b32_e32 v81, v97
	v_mov_b32_e32 v82, v98
	buffer_store_dword v81, off, s[20:23], 0 offset:160 ; 4-byte Folded Spill
	s_nop 0
	buffer_store_dword v82, off, s[20:23], 0 offset:164 ; 4-byte Folded Spill
	buffer_store_dword v83, off, s[20:23], 0 offset:168 ; 4-byte Folded Spill
	buffer_store_dword v84, off, s[20:23], 0 offset:172 ; 4-byte Folded Spill
	v_add_f64 v[123:124], v[123:124], -v[99:100]
.LBB111_316:
	s_or_b64 exec, exec, s[2:3]
	v_cmp_eq_u32_e32 vcc, 35, v0
	s_waitcnt vmcnt(0)
	s_barrier
	s_and_saveexec_b64 s[4:5], vcc
	s_cbranch_execz .LBB111_323
; %bb.317:
	buffer_load_dword v77, off, s[20:23], 0 offset:144 ; 4-byte Folded Reload
	buffer_load_dword v78, off, s[20:23], 0 offset:148 ; 4-byte Folded Reload
	;; [unrolled: 1-line block ×4, first 2 shown]
	s_waitcnt vmcnt(0)
	ds_write2_b64 v127, v[77:78], v[79:80] offset1:1
	buffer_load_dword v73, off, s[20:23], 0 offset:128 ; 4-byte Folded Reload
	buffer_load_dword v74, off, s[20:23], 0 offset:132 ; 4-byte Folded Reload
	buffer_load_dword v75, off, s[20:23], 0 offset:136 ; 4-byte Folded Reload
	buffer_load_dword v76, off, s[20:23], 0 offset:140 ; 4-byte Folded Reload
	s_waitcnt vmcnt(0)
	ds_write2_b64 v125, v[73:74], v[75:76] offset0:72 offset1:73
	buffer_load_dword v69, off, s[20:23], 0 offset:112 ; 4-byte Folded Reload
	buffer_load_dword v70, off, s[20:23], 0 offset:116 ; 4-byte Folded Reload
	buffer_load_dword v71, off, s[20:23], 0 offset:120 ; 4-byte Folded Reload
	buffer_load_dword v72, off, s[20:23], 0 offset:124 ; 4-byte Folded Reload
	s_waitcnt vmcnt(0)
	ds_write2_b64 v125, v[69:70], v[71:72] offset0:74 offset1:75
	;; [unrolled: 6-line block ×8, first 2 shown]
	buffer_load_dword v41, off, s[20:23], 0 ; 4-byte Folded Reload
	buffer_load_dword v42, off, s[20:23], 0 offset:4 ; 4-byte Folded Reload
	buffer_load_dword v43, off, s[20:23], 0 offset:8 ; 4-byte Folded Reload
	;; [unrolled: 1-line block ×3, first 2 shown]
	s_waitcnt vmcnt(0)
	ds_write2_b64 v125, v[41:42], v[43:44] offset0:88 offset1:89
	ds_write2_b64 v125, v[37:38], v[39:40] offset0:90 offset1:91
	;; [unrolled: 1-line block ×12, first 2 shown]
	ds_read2_b64 v[97:100], v127 offset1:1
	s_waitcnt lgkmcnt(0)
	v_cmp_neq_f64_e32 vcc, 0, v[97:98]
	v_cmp_neq_f64_e64 s[2:3], 0, v[99:100]
	s_or_b64 s[2:3], vcc, s[2:3]
	s_and_b64 exec, exec, s[2:3]
	s_cbranch_execz .LBB111_323
; %bb.318:
	v_cmp_ngt_f64_e64 s[2:3], |v[97:98]|, |v[99:100]|
                                        ; implicit-def: $vgpr101_vgpr102
	s_and_saveexec_b64 s[6:7], s[2:3]
	s_xor_b64 s[2:3], exec, s[6:7]
                                        ; implicit-def: $vgpr103_vgpr104
	s_cbranch_execz .LBB111_320
; %bb.319:
	v_div_scale_f64 v[101:102], s[6:7], v[99:100], v[99:100], v[97:98]
	v_rcp_f64_e32 v[103:104], v[101:102]
	v_fma_f64 v[105:106], -v[101:102], v[103:104], 1.0
	v_fma_f64 v[103:104], v[103:104], v[105:106], v[103:104]
	v_div_scale_f64 v[105:106], vcc, v[97:98], v[99:100], v[97:98]
	v_fma_f64 v[107:108], -v[101:102], v[103:104], 1.0
	v_fma_f64 v[103:104], v[103:104], v[107:108], v[103:104]
	v_mul_f64 v[107:108], v[105:106], v[103:104]
	v_fma_f64 v[101:102], -v[101:102], v[107:108], v[105:106]
	v_div_fmas_f64 v[101:102], v[101:102], v[103:104], v[107:108]
	v_div_fixup_f64 v[101:102], v[101:102], v[99:100], v[97:98]
	v_fma_f64 v[97:98], v[97:98], v[101:102], v[99:100]
	v_div_scale_f64 v[99:100], s[6:7], v[97:98], v[97:98], 1.0
	v_div_scale_f64 v[107:108], vcc, 1.0, v[97:98], 1.0
	v_rcp_f64_e32 v[103:104], v[99:100]
	v_fma_f64 v[105:106], -v[99:100], v[103:104], 1.0
	v_fma_f64 v[103:104], v[103:104], v[105:106], v[103:104]
	v_fma_f64 v[105:106], -v[99:100], v[103:104], 1.0
	v_fma_f64 v[103:104], v[103:104], v[105:106], v[103:104]
	v_mul_f64 v[105:106], v[107:108], v[103:104]
	v_fma_f64 v[99:100], -v[99:100], v[105:106], v[107:108]
	v_div_fmas_f64 v[99:100], v[99:100], v[103:104], v[105:106]
	v_div_fixup_f64 v[103:104], v[99:100], v[97:98], 1.0
                                        ; implicit-def: $vgpr97_vgpr98
	v_mul_f64 v[101:102], v[101:102], v[103:104]
	v_xor_b32_e32 v104, 0x80000000, v104
.LBB111_320:
	s_andn2_saveexec_b64 s[2:3], s[2:3]
	s_cbranch_execz .LBB111_322
; %bb.321:
	v_div_scale_f64 v[101:102], s[6:7], v[97:98], v[97:98], v[99:100]
	v_rcp_f64_e32 v[103:104], v[101:102]
	v_fma_f64 v[105:106], -v[101:102], v[103:104], 1.0
	v_fma_f64 v[103:104], v[103:104], v[105:106], v[103:104]
	v_div_scale_f64 v[105:106], vcc, v[99:100], v[97:98], v[99:100]
	v_fma_f64 v[107:108], -v[101:102], v[103:104], 1.0
	v_fma_f64 v[103:104], v[103:104], v[107:108], v[103:104]
	v_mul_f64 v[107:108], v[105:106], v[103:104]
	v_fma_f64 v[101:102], -v[101:102], v[107:108], v[105:106]
	v_div_fmas_f64 v[101:102], v[101:102], v[103:104], v[107:108]
	v_div_fixup_f64 v[103:104], v[101:102], v[97:98], v[99:100]
	v_fma_f64 v[97:98], v[99:100], v[103:104], v[97:98]
	v_div_scale_f64 v[99:100], s[6:7], v[97:98], v[97:98], 1.0
	v_div_scale_f64 v[107:108], vcc, 1.0, v[97:98], 1.0
	v_rcp_f64_e32 v[101:102], v[99:100]
	v_fma_f64 v[105:106], -v[99:100], v[101:102], 1.0
	v_fma_f64 v[101:102], v[101:102], v[105:106], v[101:102]
	v_fma_f64 v[105:106], -v[99:100], v[101:102], 1.0
	v_fma_f64 v[101:102], v[101:102], v[105:106], v[101:102]
	v_mul_f64 v[105:106], v[107:108], v[101:102]
	v_fma_f64 v[99:100], -v[99:100], v[105:106], v[107:108]
	v_div_fmas_f64 v[99:100], v[99:100], v[101:102], v[105:106]
	v_div_fixup_f64 v[101:102], v[99:100], v[97:98], 1.0
	v_mul_f64 v[103:104], v[103:104], -v[101:102]
.LBB111_322:
	s_or_b64 exec, exec, s[2:3]
	ds_write2_b64 v127, v[101:102], v[103:104] offset1:1
.LBB111_323:
	s_or_b64 exec, exec, s[4:5]
	s_waitcnt lgkmcnt(0)
	s_barrier
	ds_read2_b64 v[117:120], v127 offset1:1
	v_cmp_lt_u32_e32 vcc, 35, v0
	s_and_saveexec_b64 s[2:3], vcc
	s_cbranch_execz .LBB111_325
; %bb.324:
	buffer_load_dword v77, off, s[20:23], 0 offset:144 ; 4-byte Folded Reload
	buffer_load_dword v78, off, s[20:23], 0 offset:148 ; 4-byte Folded Reload
	;; [unrolled: 1-line block ×4, first 2 shown]
	ds_read2_b64 v[99:102], v125 offset0:72 offset1:73
	buffer_load_dword v73, off, s[20:23], 0 offset:128 ; 4-byte Folded Reload
	buffer_load_dword v74, off, s[20:23], 0 offset:132 ; 4-byte Folded Reload
	buffer_load_dword v75, off, s[20:23], 0 offset:136 ; 4-byte Folded Reload
	buffer_load_dword v76, off, s[20:23], 0 offset:140 ; 4-byte Folded Reload
	s_waitcnt vmcnt(4) lgkmcnt(1)
	v_mul_f64 v[97:98], v[119:120], v[79:80]
	v_mul_f64 v[79:80], v[117:118], v[79:80]
	v_fma_f64 v[97:98], v[117:118], v[77:78], -v[97:98]
	v_fma_f64 v[79:80], v[119:120], v[77:78], v[79:80]
	s_waitcnt lgkmcnt(0)
	v_mul_f64 v[77:78], v[101:102], v[79:80]
	v_fma_f64 v[77:78], v[99:100], v[97:98], -v[77:78]
	v_mul_f64 v[99:100], v[99:100], v[79:80]
	s_waitcnt vmcnt(2)
	v_add_f64 v[73:74], v[73:74], -v[77:78]
	v_fma_f64 v[99:100], v[101:102], v[97:98], v[99:100]
	s_waitcnt vmcnt(0)
	v_add_f64 v[75:76], v[75:76], -v[99:100]
	buffer_store_dword v73, off, s[20:23], 0 offset:128 ; 4-byte Folded Spill
	s_nop 0
	buffer_store_dword v74, off, s[20:23], 0 offset:132 ; 4-byte Folded Spill
	buffer_store_dword v75, off, s[20:23], 0 offset:136 ; 4-byte Folded Spill
	buffer_store_dword v76, off, s[20:23], 0 offset:140 ; 4-byte Folded Spill
	ds_read2_b64 v[99:102], v125 offset0:74 offset1:75
	buffer_load_dword v69, off, s[20:23], 0 offset:112 ; 4-byte Folded Reload
	buffer_load_dword v70, off, s[20:23], 0 offset:116 ; 4-byte Folded Reload
	buffer_load_dword v71, off, s[20:23], 0 offset:120 ; 4-byte Folded Reload
	buffer_load_dword v72, off, s[20:23], 0 offset:124 ; 4-byte Folded Reload
	s_waitcnt lgkmcnt(0)
	v_mul_f64 v[77:78], v[101:102], v[79:80]
	v_fma_f64 v[77:78], v[99:100], v[97:98], -v[77:78]
	v_mul_f64 v[99:100], v[99:100], v[79:80]
	v_fma_f64 v[99:100], v[101:102], v[97:98], v[99:100]
	s_waitcnt vmcnt(2)
	v_add_f64 v[69:70], v[69:70], -v[77:78]
	s_waitcnt vmcnt(0)
	v_add_f64 v[71:72], v[71:72], -v[99:100]
	buffer_store_dword v69, off, s[20:23], 0 offset:112 ; 4-byte Folded Spill
	s_nop 0
	buffer_store_dword v70, off, s[20:23], 0 offset:116 ; 4-byte Folded Spill
	buffer_store_dword v71, off, s[20:23], 0 offset:120 ; 4-byte Folded Spill
	buffer_store_dword v72, off, s[20:23], 0 offset:124 ; 4-byte Folded Spill
	ds_read2_b64 v[99:102], v125 offset0:76 offset1:77
	buffer_load_dword v65, off, s[20:23], 0 offset:96 ; 4-byte Folded Reload
	buffer_load_dword v66, off, s[20:23], 0 offset:100 ; 4-byte Folded Reload
	buffer_load_dword v67, off, s[20:23], 0 offset:104 ; 4-byte Folded Reload
	buffer_load_dword v68, off, s[20:23], 0 offset:108 ; 4-byte Folded Reload
	s_waitcnt lgkmcnt(0)
	v_mul_f64 v[77:78], v[101:102], v[79:80]
	v_fma_f64 v[77:78], v[99:100], v[97:98], -v[77:78]
	v_mul_f64 v[99:100], v[99:100], v[79:80]
	v_fma_f64 v[99:100], v[101:102], v[97:98], v[99:100]
	s_waitcnt vmcnt(2)
	v_add_f64 v[65:66], v[65:66], -v[77:78]
	;; [unrolled: 19-line block ×7, first 2 shown]
	s_waitcnt vmcnt(0)
	v_add_f64 v[47:48], v[47:48], -v[99:100]
	buffer_store_dword v45, off, s[20:23], 0 offset:16 ; 4-byte Folded Spill
	s_nop 0
	buffer_store_dword v46, off, s[20:23], 0 offset:20 ; 4-byte Folded Spill
	buffer_store_dword v47, off, s[20:23], 0 offset:24 ; 4-byte Folded Spill
	;; [unrolled: 1-line block ×3, first 2 shown]
	ds_read2_b64 v[99:102], v125 offset0:88 offset1:89
	buffer_load_dword v41, off, s[20:23], 0 ; 4-byte Folded Reload
	buffer_load_dword v42, off, s[20:23], 0 offset:4 ; 4-byte Folded Reload
	buffer_load_dword v43, off, s[20:23], 0 offset:8 ; 4-byte Folded Reload
	;; [unrolled: 1-line block ×3, first 2 shown]
	s_waitcnt lgkmcnt(0)
	v_mul_f64 v[77:78], v[101:102], v[79:80]
	v_fma_f64 v[77:78], v[99:100], v[97:98], -v[77:78]
	v_mul_f64 v[99:100], v[99:100], v[79:80]
	v_fma_f64 v[99:100], v[101:102], v[97:98], v[99:100]
	s_waitcnt vmcnt(2)
	v_add_f64 v[41:42], v[41:42], -v[77:78]
	s_waitcnt vmcnt(0)
	v_add_f64 v[43:44], v[43:44], -v[99:100]
	buffer_store_dword v41, off, s[20:23], 0 ; 4-byte Folded Spill
	s_nop 0
	buffer_store_dword v42, off, s[20:23], 0 offset:4 ; 4-byte Folded Spill
	buffer_store_dword v43, off, s[20:23], 0 offset:8 ; 4-byte Folded Spill
	;; [unrolled: 1-line block ×3, first 2 shown]
	ds_read2_b64 v[99:102], v125 offset0:90 offset1:91
	s_waitcnt lgkmcnt(0)
	v_mul_f64 v[77:78], v[101:102], v[79:80]
	v_fma_f64 v[77:78], v[99:100], v[97:98], -v[77:78]
	v_mul_f64 v[99:100], v[99:100], v[79:80]
	v_add_f64 v[37:38], v[37:38], -v[77:78]
	v_fma_f64 v[99:100], v[101:102], v[97:98], v[99:100]
	v_add_f64 v[39:40], v[39:40], -v[99:100]
	ds_read2_b64 v[99:102], v125 offset0:92 offset1:93
	s_waitcnt lgkmcnt(0)
	v_mul_f64 v[77:78], v[101:102], v[79:80]
	v_fma_f64 v[77:78], v[99:100], v[97:98], -v[77:78]
	v_mul_f64 v[99:100], v[99:100], v[79:80]
	v_add_f64 v[33:34], v[33:34], -v[77:78]
	v_fma_f64 v[99:100], v[101:102], v[97:98], v[99:100]
	v_add_f64 v[35:36], v[35:36], -v[99:100]
	;; [unrolled: 8-line block ×10, first 2 shown]
	ds_read2_b64 v[99:102], v125 offset0:110 offset1:111
	s_waitcnt lgkmcnt(0)
	v_mul_f64 v[77:78], v[101:102], v[79:80]
	v_fma_f64 v[77:78], v[99:100], v[97:98], -v[77:78]
	v_mul_f64 v[99:100], v[99:100], v[79:80]
	v_add_f64 v[121:122], v[121:122], -v[77:78]
	v_fma_f64 v[99:100], v[101:102], v[97:98], v[99:100]
	v_mov_b32_e32 v77, v97
	v_mov_b32_e32 v78, v98
	buffer_store_dword v77, off, s[20:23], 0 offset:144 ; 4-byte Folded Spill
	s_nop 0
	buffer_store_dword v78, off, s[20:23], 0 offset:148 ; 4-byte Folded Spill
	buffer_store_dword v79, off, s[20:23], 0 offset:152 ; 4-byte Folded Spill
	;; [unrolled: 1-line block ×3, first 2 shown]
	v_add_f64 v[123:124], v[123:124], -v[99:100]
.LBB111_325:
	s_or_b64 exec, exec, s[2:3]
	v_cmp_eq_u32_e32 vcc, 36, v0
	s_waitcnt vmcnt(0) lgkmcnt(0)
	s_barrier
	s_and_saveexec_b64 s[4:5], vcc
	s_cbranch_execz .LBB111_332
; %bb.326:
	buffer_load_dword v73, off, s[20:23], 0 offset:128 ; 4-byte Folded Reload
	buffer_load_dword v74, off, s[20:23], 0 offset:132 ; 4-byte Folded Reload
	;; [unrolled: 1-line block ×4, first 2 shown]
	s_waitcnt vmcnt(0)
	ds_write2_b64 v127, v[73:74], v[75:76] offset1:1
	buffer_load_dword v69, off, s[20:23], 0 offset:112 ; 4-byte Folded Reload
	buffer_load_dword v70, off, s[20:23], 0 offset:116 ; 4-byte Folded Reload
	buffer_load_dword v71, off, s[20:23], 0 offset:120 ; 4-byte Folded Reload
	buffer_load_dword v72, off, s[20:23], 0 offset:124 ; 4-byte Folded Reload
	s_waitcnt vmcnt(0)
	ds_write2_b64 v125, v[69:70], v[71:72] offset0:74 offset1:75
	buffer_load_dword v65, off, s[20:23], 0 offset:96 ; 4-byte Folded Reload
	buffer_load_dword v66, off, s[20:23], 0 offset:100 ; 4-byte Folded Reload
	buffer_load_dword v67, off, s[20:23], 0 offset:104 ; 4-byte Folded Reload
	buffer_load_dword v68, off, s[20:23], 0 offset:108 ; 4-byte Folded Reload
	s_waitcnt vmcnt(0)
	ds_write2_b64 v125, v[65:66], v[67:68] offset0:76 offset1:77
	;; [unrolled: 6-line block ×7, first 2 shown]
	buffer_load_dword v41, off, s[20:23], 0 ; 4-byte Folded Reload
	buffer_load_dword v42, off, s[20:23], 0 offset:4 ; 4-byte Folded Reload
	buffer_load_dword v43, off, s[20:23], 0 offset:8 ; 4-byte Folded Reload
	;; [unrolled: 1-line block ×3, first 2 shown]
	s_waitcnt vmcnt(0)
	ds_write2_b64 v125, v[41:42], v[43:44] offset0:88 offset1:89
	ds_write2_b64 v125, v[37:38], v[39:40] offset0:90 offset1:91
	;; [unrolled: 1-line block ×12, first 2 shown]
	ds_read2_b64 v[97:100], v127 offset1:1
	s_waitcnt lgkmcnt(0)
	v_cmp_neq_f64_e32 vcc, 0, v[97:98]
	v_cmp_neq_f64_e64 s[2:3], 0, v[99:100]
	s_or_b64 s[2:3], vcc, s[2:3]
	s_and_b64 exec, exec, s[2:3]
	s_cbranch_execz .LBB111_332
; %bb.327:
	v_cmp_ngt_f64_e64 s[2:3], |v[97:98]|, |v[99:100]|
                                        ; implicit-def: $vgpr101_vgpr102
	s_and_saveexec_b64 s[6:7], s[2:3]
	s_xor_b64 s[2:3], exec, s[6:7]
                                        ; implicit-def: $vgpr103_vgpr104
	s_cbranch_execz .LBB111_329
; %bb.328:
	v_div_scale_f64 v[101:102], s[6:7], v[99:100], v[99:100], v[97:98]
	v_rcp_f64_e32 v[103:104], v[101:102]
	v_fma_f64 v[105:106], -v[101:102], v[103:104], 1.0
	v_fma_f64 v[103:104], v[103:104], v[105:106], v[103:104]
	v_div_scale_f64 v[105:106], vcc, v[97:98], v[99:100], v[97:98]
	v_fma_f64 v[107:108], -v[101:102], v[103:104], 1.0
	v_fma_f64 v[103:104], v[103:104], v[107:108], v[103:104]
	v_mul_f64 v[107:108], v[105:106], v[103:104]
	v_fma_f64 v[101:102], -v[101:102], v[107:108], v[105:106]
	v_div_fmas_f64 v[101:102], v[101:102], v[103:104], v[107:108]
	v_div_fixup_f64 v[101:102], v[101:102], v[99:100], v[97:98]
	v_fma_f64 v[97:98], v[97:98], v[101:102], v[99:100]
	v_div_scale_f64 v[99:100], s[6:7], v[97:98], v[97:98], 1.0
	v_div_scale_f64 v[107:108], vcc, 1.0, v[97:98], 1.0
	v_rcp_f64_e32 v[103:104], v[99:100]
	v_fma_f64 v[105:106], -v[99:100], v[103:104], 1.0
	v_fma_f64 v[103:104], v[103:104], v[105:106], v[103:104]
	v_fma_f64 v[105:106], -v[99:100], v[103:104], 1.0
	v_fma_f64 v[103:104], v[103:104], v[105:106], v[103:104]
	v_mul_f64 v[105:106], v[107:108], v[103:104]
	v_fma_f64 v[99:100], -v[99:100], v[105:106], v[107:108]
	v_div_fmas_f64 v[99:100], v[99:100], v[103:104], v[105:106]
	v_div_fixup_f64 v[103:104], v[99:100], v[97:98], 1.0
                                        ; implicit-def: $vgpr97_vgpr98
	v_mul_f64 v[101:102], v[101:102], v[103:104]
	v_xor_b32_e32 v104, 0x80000000, v104
.LBB111_329:
	s_andn2_saveexec_b64 s[2:3], s[2:3]
	s_cbranch_execz .LBB111_331
; %bb.330:
	v_div_scale_f64 v[101:102], s[6:7], v[97:98], v[97:98], v[99:100]
	v_rcp_f64_e32 v[103:104], v[101:102]
	v_fma_f64 v[105:106], -v[101:102], v[103:104], 1.0
	v_fma_f64 v[103:104], v[103:104], v[105:106], v[103:104]
	v_div_scale_f64 v[105:106], vcc, v[99:100], v[97:98], v[99:100]
	v_fma_f64 v[107:108], -v[101:102], v[103:104], 1.0
	v_fma_f64 v[103:104], v[103:104], v[107:108], v[103:104]
	v_mul_f64 v[107:108], v[105:106], v[103:104]
	v_fma_f64 v[101:102], -v[101:102], v[107:108], v[105:106]
	v_div_fmas_f64 v[101:102], v[101:102], v[103:104], v[107:108]
	v_div_fixup_f64 v[103:104], v[101:102], v[97:98], v[99:100]
	v_fma_f64 v[97:98], v[99:100], v[103:104], v[97:98]
	v_div_scale_f64 v[99:100], s[6:7], v[97:98], v[97:98], 1.0
	v_div_scale_f64 v[107:108], vcc, 1.0, v[97:98], 1.0
	v_rcp_f64_e32 v[101:102], v[99:100]
	v_fma_f64 v[105:106], -v[99:100], v[101:102], 1.0
	v_fma_f64 v[101:102], v[101:102], v[105:106], v[101:102]
	v_fma_f64 v[105:106], -v[99:100], v[101:102], 1.0
	v_fma_f64 v[101:102], v[101:102], v[105:106], v[101:102]
	v_mul_f64 v[105:106], v[107:108], v[101:102]
	v_fma_f64 v[99:100], -v[99:100], v[105:106], v[107:108]
	v_div_fmas_f64 v[99:100], v[99:100], v[101:102], v[105:106]
	v_div_fixup_f64 v[101:102], v[99:100], v[97:98], 1.0
	v_mul_f64 v[103:104], v[103:104], -v[101:102]
.LBB111_331:
	s_or_b64 exec, exec, s[2:3]
	ds_write2_b64 v127, v[101:102], v[103:104] offset1:1
.LBB111_332:
	s_or_b64 exec, exec, s[4:5]
	s_waitcnt lgkmcnt(0)
	s_barrier
	ds_read2_b64 v[85:88], v127 offset1:1
	v_cmp_lt_u32_e32 vcc, 36, v0
	s_and_saveexec_b64 s[2:3], vcc
	s_cbranch_execz .LBB111_334
; %bb.333:
	buffer_load_dword v73, off, s[20:23], 0 offset:128 ; 4-byte Folded Reload
	buffer_load_dword v74, off, s[20:23], 0 offset:132 ; 4-byte Folded Reload
	;; [unrolled: 1-line block ×4, first 2 shown]
	ds_read2_b64 v[99:102], v125 offset0:74 offset1:75
	buffer_load_dword v69, off, s[20:23], 0 offset:112 ; 4-byte Folded Reload
	buffer_load_dword v70, off, s[20:23], 0 offset:116 ; 4-byte Folded Reload
	;; [unrolled: 1-line block ×4, first 2 shown]
	s_waitcnt vmcnt(4) lgkmcnt(1)
	v_mul_f64 v[97:98], v[87:88], v[75:76]
	v_mul_f64 v[75:76], v[85:86], v[75:76]
	v_fma_f64 v[97:98], v[85:86], v[73:74], -v[97:98]
	v_fma_f64 v[75:76], v[87:88], v[73:74], v[75:76]
	s_waitcnt lgkmcnt(0)
	v_mul_f64 v[73:74], v[101:102], v[75:76]
	v_fma_f64 v[73:74], v[99:100], v[97:98], -v[73:74]
	v_mul_f64 v[99:100], v[99:100], v[75:76]
	s_waitcnt vmcnt(2)
	v_add_f64 v[69:70], v[69:70], -v[73:74]
	v_fma_f64 v[99:100], v[101:102], v[97:98], v[99:100]
	s_waitcnt vmcnt(0)
	v_add_f64 v[71:72], v[71:72], -v[99:100]
	buffer_store_dword v69, off, s[20:23], 0 offset:112 ; 4-byte Folded Spill
	s_nop 0
	buffer_store_dword v70, off, s[20:23], 0 offset:116 ; 4-byte Folded Spill
	buffer_store_dword v71, off, s[20:23], 0 offset:120 ; 4-byte Folded Spill
	buffer_store_dword v72, off, s[20:23], 0 offset:124 ; 4-byte Folded Spill
	ds_read2_b64 v[99:102], v125 offset0:76 offset1:77
	buffer_load_dword v65, off, s[20:23], 0 offset:96 ; 4-byte Folded Reload
	buffer_load_dword v66, off, s[20:23], 0 offset:100 ; 4-byte Folded Reload
	buffer_load_dword v67, off, s[20:23], 0 offset:104 ; 4-byte Folded Reload
	buffer_load_dword v68, off, s[20:23], 0 offset:108 ; 4-byte Folded Reload
	s_waitcnt lgkmcnt(0)
	v_mul_f64 v[73:74], v[101:102], v[75:76]
	v_fma_f64 v[73:74], v[99:100], v[97:98], -v[73:74]
	v_mul_f64 v[99:100], v[99:100], v[75:76]
	v_fma_f64 v[99:100], v[101:102], v[97:98], v[99:100]
	s_waitcnt vmcnt(2)
	v_add_f64 v[65:66], v[65:66], -v[73:74]
	s_waitcnt vmcnt(0)
	v_add_f64 v[67:68], v[67:68], -v[99:100]
	buffer_store_dword v65, off, s[20:23], 0 offset:96 ; 4-byte Folded Spill
	s_nop 0
	buffer_store_dword v66, off, s[20:23], 0 offset:100 ; 4-byte Folded Spill
	buffer_store_dword v67, off, s[20:23], 0 offset:104 ; 4-byte Folded Spill
	buffer_store_dword v68, off, s[20:23], 0 offset:108 ; 4-byte Folded Spill
	ds_read2_b64 v[99:102], v125 offset0:78 offset1:79
	buffer_load_dword v61, off, s[20:23], 0 offset:80 ; 4-byte Folded Reload
	buffer_load_dword v62, off, s[20:23], 0 offset:84 ; 4-byte Folded Reload
	buffer_load_dword v63, off, s[20:23], 0 offset:88 ; 4-byte Folded Reload
	buffer_load_dword v64, off, s[20:23], 0 offset:92 ; 4-byte Folded Reload
	s_waitcnt lgkmcnt(0)
	v_mul_f64 v[73:74], v[101:102], v[75:76]
	v_fma_f64 v[73:74], v[99:100], v[97:98], -v[73:74]
	v_mul_f64 v[99:100], v[99:100], v[75:76]
	v_fma_f64 v[99:100], v[101:102], v[97:98], v[99:100]
	s_waitcnt vmcnt(2)
	v_add_f64 v[61:62], v[61:62], -v[73:74]
	;; [unrolled: 19-line block ×6, first 2 shown]
	s_waitcnt vmcnt(0)
	v_add_f64 v[47:48], v[47:48], -v[99:100]
	buffer_store_dword v45, off, s[20:23], 0 offset:16 ; 4-byte Folded Spill
	s_nop 0
	buffer_store_dword v46, off, s[20:23], 0 offset:20 ; 4-byte Folded Spill
	buffer_store_dword v47, off, s[20:23], 0 offset:24 ; 4-byte Folded Spill
	;; [unrolled: 1-line block ×3, first 2 shown]
	ds_read2_b64 v[99:102], v125 offset0:88 offset1:89
	buffer_load_dword v41, off, s[20:23], 0 ; 4-byte Folded Reload
	buffer_load_dword v42, off, s[20:23], 0 offset:4 ; 4-byte Folded Reload
	buffer_load_dword v43, off, s[20:23], 0 offset:8 ; 4-byte Folded Reload
	;; [unrolled: 1-line block ×3, first 2 shown]
	s_waitcnt lgkmcnt(0)
	v_mul_f64 v[73:74], v[101:102], v[75:76]
	v_fma_f64 v[73:74], v[99:100], v[97:98], -v[73:74]
	v_mul_f64 v[99:100], v[99:100], v[75:76]
	v_fma_f64 v[99:100], v[101:102], v[97:98], v[99:100]
	s_waitcnt vmcnt(2)
	v_add_f64 v[41:42], v[41:42], -v[73:74]
	s_waitcnt vmcnt(0)
	v_add_f64 v[43:44], v[43:44], -v[99:100]
	buffer_store_dword v41, off, s[20:23], 0 ; 4-byte Folded Spill
	s_nop 0
	buffer_store_dword v42, off, s[20:23], 0 offset:4 ; 4-byte Folded Spill
	buffer_store_dword v43, off, s[20:23], 0 offset:8 ; 4-byte Folded Spill
	;; [unrolled: 1-line block ×3, first 2 shown]
	ds_read2_b64 v[99:102], v125 offset0:90 offset1:91
	s_waitcnt lgkmcnt(0)
	v_mul_f64 v[73:74], v[101:102], v[75:76]
	v_fma_f64 v[73:74], v[99:100], v[97:98], -v[73:74]
	v_mul_f64 v[99:100], v[99:100], v[75:76]
	v_add_f64 v[37:38], v[37:38], -v[73:74]
	v_fma_f64 v[99:100], v[101:102], v[97:98], v[99:100]
	v_add_f64 v[39:40], v[39:40], -v[99:100]
	ds_read2_b64 v[99:102], v125 offset0:92 offset1:93
	s_waitcnt lgkmcnt(0)
	v_mul_f64 v[73:74], v[101:102], v[75:76]
	v_fma_f64 v[73:74], v[99:100], v[97:98], -v[73:74]
	v_mul_f64 v[99:100], v[99:100], v[75:76]
	v_add_f64 v[33:34], v[33:34], -v[73:74]
	v_fma_f64 v[99:100], v[101:102], v[97:98], v[99:100]
	v_add_f64 v[35:36], v[35:36], -v[99:100]
	;; [unrolled: 8-line block ×10, first 2 shown]
	ds_read2_b64 v[99:102], v125 offset0:110 offset1:111
	s_waitcnt lgkmcnt(0)
	v_mul_f64 v[73:74], v[101:102], v[75:76]
	v_fma_f64 v[73:74], v[99:100], v[97:98], -v[73:74]
	v_mul_f64 v[99:100], v[99:100], v[75:76]
	v_add_f64 v[121:122], v[121:122], -v[73:74]
	v_fma_f64 v[99:100], v[101:102], v[97:98], v[99:100]
	v_mov_b32_e32 v73, v97
	v_mov_b32_e32 v74, v98
	buffer_store_dword v73, off, s[20:23], 0 offset:128 ; 4-byte Folded Spill
	s_nop 0
	buffer_store_dword v74, off, s[20:23], 0 offset:132 ; 4-byte Folded Spill
	buffer_store_dword v75, off, s[20:23], 0 offset:136 ; 4-byte Folded Spill
	;; [unrolled: 1-line block ×3, first 2 shown]
	v_add_f64 v[123:124], v[123:124], -v[99:100]
.LBB111_334:
	s_or_b64 exec, exec, s[2:3]
	v_cmp_eq_u32_e32 vcc, 37, v0
	s_waitcnt vmcnt(0) lgkmcnt(0)
	s_barrier
	s_and_saveexec_b64 s[4:5], vcc
	s_cbranch_execz .LBB111_341
; %bb.335:
	buffer_load_dword v69, off, s[20:23], 0 offset:112 ; 4-byte Folded Reload
	buffer_load_dword v70, off, s[20:23], 0 offset:116 ; 4-byte Folded Reload
	;; [unrolled: 1-line block ×4, first 2 shown]
	s_waitcnt vmcnt(0)
	ds_write2_b64 v127, v[69:70], v[71:72] offset1:1
	buffer_load_dword v65, off, s[20:23], 0 offset:96 ; 4-byte Folded Reload
	buffer_load_dword v66, off, s[20:23], 0 offset:100 ; 4-byte Folded Reload
	buffer_load_dword v67, off, s[20:23], 0 offset:104 ; 4-byte Folded Reload
	buffer_load_dword v68, off, s[20:23], 0 offset:108 ; 4-byte Folded Reload
	s_waitcnt vmcnt(0)
	ds_write2_b64 v125, v[65:66], v[67:68] offset0:76 offset1:77
	buffer_load_dword v61, off, s[20:23], 0 offset:80 ; 4-byte Folded Reload
	buffer_load_dword v62, off, s[20:23], 0 offset:84 ; 4-byte Folded Reload
	buffer_load_dword v63, off, s[20:23], 0 offset:88 ; 4-byte Folded Reload
	buffer_load_dword v64, off, s[20:23], 0 offset:92 ; 4-byte Folded Reload
	s_waitcnt vmcnt(0)
	ds_write2_b64 v125, v[61:62], v[63:64] offset0:78 offset1:79
	buffer_load_dword v57, off, s[20:23], 0 offset:64 ; 4-byte Folded Reload
	buffer_load_dword v58, off, s[20:23], 0 offset:68 ; 4-byte Folded Reload
	buffer_load_dword v59, off, s[20:23], 0 offset:72 ; 4-byte Folded Reload
	buffer_load_dword v60, off, s[20:23], 0 offset:76 ; 4-byte Folded Reload
	s_waitcnt vmcnt(0)
	ds_write2_b64 v125, v[57:58], v[59:60] offset0:80 offset1:81
	buffer_load_dword v53, off, s[20:23], 0 offset:48 ; 4-byte Folded Reload
	buffer_load_dword v54, off, s[20:23], 0 offset:52 ; 4-byte Folded Reload
	buffer_load_dword v55, off, s[20:23], 0 offset:56 ; 4-byte Folded Reload
	buffer_load_dword v56, off, s[20:23], 0 offset:60 ; 4-byte Folded Reload
	s_waitcnt vmcnt(0)
	ds_write2_b64 v125, v[53:54], v[55:56] offset0:82 offset1:83
	buffer_load_dword v49, off, s[20:23], 0 offset:32 ; 4-byte Folded Reload
	buffer_load_dword v50, off, s[20:23], 0 offset:36 ; 4-byte Folded Reload
	buffer_load_dword v51, off, s[20:23], 0 offset:40 ; 4-byte Folded Reload
	buffer_load_dword v52, off, s[20:23], 0 offset:44 ; 4-byte Folded Reload
	s_waitcnt vmcnt(0)
	ds_write2_b64 v125, v[49:50], v[51:52] offset0:84 offset1:85
	buffer_load_dword v45, off, s[20:23], 0 offset:16 ; 4-byte Folded Reload
	buffer_load_dword v46, off, s[20:23], 0 offset:20 ; 4-byte Folded Reload
	buffer_load_dword v47, off, s[20:23], 0 offset:24 ; 4-byte Folded Reload
	buffer_load_dword v48, off, s[20:23], 0 offset:28 ; 4-byte Folded Reload
	s_waitcnt vmcnt(0)
	ds_write2_b64 v125, v[45:46], v[47:48] offset0:86 offset1:87
	buffer_load_dword v41, off, s[20:23], 0 ; 4-byte Folded Reload
	buffer_load_dword v42, off, s[20:23], 0 offset:4 ; 4-byte Folded Reload
	buffer_load_dword v43, off, s[20:23], 0 offset:8 ; 4-byte Folded Reload
	;; [unrolled: 1-line block ×3, first 2 shown]
	s_waitcnt vmcnt(0)
	ds_write2_b64 v125, v[41:42], v[43:44] offset0:88 offset1:89
	ds_write2_b64 v125, v[37:38], v[39:40] offset0:90 offset1:91
	ds_write2_b64 v125, v[33:34], v[35:36] offset0:92 offset1:93
	ds_write2_b64 v125, v[29:30], v[31:32] offset0:94 offset1:95
	ds_write2_b64 v125, v[25:26], v[27:28] offset0:96 offset1:97
	ds_write2_b64 v125, v[21:22], v[23:24] offset0:98 offset1:99
	ds_write2_b64 v125, v[17:18], v[19:20] offset0:100 offset1:101
	ds_write2_b64 v125, v[13:14], v[15:16] offset0:102 offset1:103
	ds_write2_b64 v125, v[9:10], v[11:12] offset0:104 offset1:105
	ds_write2_b64 v125, v[5:6], v[7:8] offset0:106 offset1:107
	ds_write2_b64 v125, v[1:2], v[3:4] offset0:108 offset1:109
	ds_write2_b64 v125, v[121:122], v[123:124] offset0:110 offset1:111
	ds_read2_b64 v[97:100], v127 offset1:1
	s_waitcnt lgkmcnt(0)
	v_cmp_neq_f64_e32 vcc, 0, v[97:98]
	v_cmp_neq_f64_e64 s[2:3], 0, v[99:100]
	s_or_b64 s[2:3], vcc, s[2:3]
	s_and_b64 exec, exec, s[2:3]
	s_cbranch_execz .LBB111_341
; %bb.336:
	v_cmp_ngt_f64_e64 s[2:3], |v[97:98]|, |v[99:100]|
                                        ; implicit-def: $vgpr101_vgpr102
	s_and_saveexec_b64 s[6:7], s[2:3]
	s_xor_b64 s[2:3], exec, s[6:7]
                                        ; implicit-def: $vgpr103_vgpr104
	s_cbranch_execz .LBB111_338
; %bb.337:
	v_div_scale_f64 v[101:102], s[6:7], v[99:100], v[99:100], v[97:98]
	v_rcp_f64_e32 v[103:104], v[101:102]
	v_fma_f64 v[105:106], -v[101:102], v[103:104], 1.0
	v_fma_f64 v[103:104], v[103:104], v[105:106], v[103:104]
	v_div_scale_f64 v[105:106], vcc, v[97:98], v[99:100], v[97:98]
	v_fma_f64 v[107:108], -v[101:102], v[103:104], 1.0
	v_fma_f64 v[103:104], v[103:104], v[107:108], v[103:104]
	v_mul_f64 v[107:108], v[105:106], v[103:104]
	v_fma_f64 v[101:102], -v[101:102], v[107:108], v[105:106]
	v_div_fmas_f64 v[101:102], v[101:102], v[103:104], v[107:108]
	v_div_fixup_f64 v[101:102], v[101:102], v[99:100], v[97:98]
	v_fma_f64 v[97:98], v[97:98], v[101:102], v[99:100]
	v_div_scale_f64 v[99:100], s[6:7], v[97:98], v[97:98], 1.0
	v_div_scale_f64 v[107:108], vcc, 1.0, v[97:98], 1.0
	v_rcp_f64_e32 v[103:104], v[99:100]
	v_fma_f64 v[105:106], -v[99:100], v[103:104], 1.0
	v_fma_f64 v[103:104], v[103:104], v[105:106], v[103:104]
	v_fma_f64 v[105:106], -v[99:100], v[103:104], 1.0
	v_fma_f64 v[103:104], v[103:104], v[105:106], v[103:104]
	v_mul_f64 v[105:106], v[107:108], v[103:104]
	v_fma_f64 v[99:100], -v[99:100], v[105:106], v[107:108]
	v_div_fmas_f64 v[99:100], v[99:100], v[103:104], v[105:106]
	v_div_fixup_f64 v[103:104], v[99:100], v[97:98], 1.0
                                        ; implicit-def: $vgpr97_vgpr98
	v_mul_f64 v[101:102], v[101:102], v[103:104]
	v_xor_b32_e32 v104, 0x80000000, v104
.LBB111_338:
	s_andn2_saveexec_b64 s[2:3], s[2:3]
	s_cbranch_execz .LBB111_340
; %bb.339:
	v_div_scale_f64 v[101:102], s[6:7], v[97:98], v[97:98], v[99:100]
	v_rcp_f64_e32 v[103:104], v[101:102]
	v_fma_f64 v[105:106], -v[101:102], v[103:104], 1.0
	v_fma_f64 v[103:104], v[103:104], v[105:106], v[103:104]
	v_div_scale_f64 v[105:106], vcc, v[99:100], v[97:98], v[99:100]
	v_fma_f64 v[107:108], -v[101:102], v[103:104], 1.0
	v_fma_f64 v[103:104], v[103:104], v[107:108], v[103:104]
	v_mul_f64 v[107:108], v[105:106], v[103:104]
	v_fma_f64 v[101:102], -v[101:102], v[107:108], v[105:106]
	v_div_fmas_f64 v[101:102], v[101:102], v[103:104], v[107:108]
	v_div_fixup_f64 v[103:104], v[101:102], v[97:98], v[99:100]
	v_fma_f64 v[97:98], v[99:100], v[103:104], v[97:98]
	v_div_scale_f64 v[99:100], s[6:7], v[97:98], v[97:98], 1.0
	v_div_scale_f64 v[107:108], vcc, 1.0, v[97:98], 1.0
	v_rcp_f64_e32 v[101:102], v[99:100]
	v_fma_f64 v[105:106], -v[99:100], v[101:102], 1.0
	v_fma_f64 v[101:102], v[101:102], v[105:106], v[101:102]
	v_fma_f64 v[105:106], -v[99:100], v[101:102], 1.0
	v_fma_f64 v[101:102], v[101:102], v[105:106], v[101:102]
	v_mul_f64 v[105:106], v[107:108], v[101:102]
	v_fma_f64 v[99:100], -v[99:100], v[105:106], v[107:108]
	v_div_fmas_f64 v[99:100], v[99:100], v[101:102], v[105:106]
	v_div_fixup_f64 v[101:102], v[99:100], v[97:98], 1.0
	v_mul_f64 v[103:104], v[103:104], -v[101:102]
.LBB111_340:
	s_or_b64 exec, exec, s[2:3]
	ds_write2_b64 v127, v[101:102], v[103:104] offset1:1
.LBB111_341:
	s_or_b64 exec, exec, s[4:5]
	s_waitcnt lgkmcnt(0)
	s_barrier
	ds_read2_b64 v[73:76], v127 offset1:1
	v_cmp_lt_u32_e32 vcc, 37, v0
	s_waitcnt lgkmcnt(0)
	buffer_store_dword v73, off, s[20:23], 0 offset:1728 ; 4-byte Folded Spill
	s_nop 0
	buffer_store_dword v74, off, s[20:23], 0 offset:1732 ; 4-byte Folded Spill
	buffer_store_dword v75, off, s[20:23], 0 offset:1736 ; 4-byte Folded Spill
	;; [unrolled: 1-line block ×3, first 2 shown]
	s_and_saveexec_b64 s[2:3], vcc
	s_cbranch_execz .LBB111_343
; %bb.342:
	buffer_load_dword v73, off, s[20:23], 0 offset:1728 ; 4-byte Folded Reload
	buffer_load_dword v74, off, s[20:23], 0 offset:1732 ; 4-byte Folded Reload
	;; [unrolled: 1-line block ×8, first 2 shown]
	ds_read2_b64 v[99:102], v125 offset0:76 offset1:77
	buffer_load_dword v65, off, s[20:23], 0 offset:96 ; 4-byte Folded Reload
	buffer_load_dword v66, off, s[20:23], 0 offset:100 ; 4-byte Folded Reload
	;; [unrolled: 1-line block ×4, first 2 shown]
	s_waitcnt vmcnt(4)
	v_mul_f64 v[97:98], v[75:76], v[71:72]
	v_mul_f64 v[71:72], v[73:74], v[71:72]
	v_fma_f64 v[97:98], v[73:74], v[69:70], -v[97:98]
	v_fma_f64 v[71:72], v[75:76], v[69:70], v[71:72]
	s_waitcnt lgkmcnt(0)
	v_mul_f64 v[69:70], v[101:102], v[71:72]
	v_fma_f64 v[69:70], v[99:100], v[97:98], -v[69:70]
	v_mul_f64 v[99:100], v[99:100], v[71:72]
	s_waitcnt vmcnt(2)
	v_add_f64 v[65:66], v[65:66], -v[69:70]
	v_fma_f64 v[99:100], v[101:102], v[97:98], v[99:100]
	s_waitcnt vmcnt(0)
	v_add_f64 v[67:68], v[67:68], -v[99:100]
	buffer_store_dword v65, off, s[20:23], 0 offset:96 ; 4-byte Folded Spill
	s_nop 0
	buffer_store_dword v66, off, s[20:23], 0 offset:100 ; 4-byte Folded Spill
	buffer_store_dword v67, off, s[20:23], 0 offset:104 ; 4-byte Folded Spill
	buffer_store_dword v68, off, s[20:23], 0 offset:108 ; 4-byte Folded Spill
	ds_read2_b64 v[99:102], v125 offset0:78 offset1:79
	buffer_load_dword v61, off, s[20:23], 0 offset:80 ; 4-byte Folded Reload
	buffer_load_dword v62, off, s[20:23], 0 offset:84 ; 4-byte Folded Reload
	buffer_load_dword v63, off, s[20:23], 0 offset:88 ; 4-byte Folded Reload
	buffer_load_dword v64, off, s[20:23], 0 offset:92 ; 4-byte Folded Reload
	s_waitcnt lgkmcnt(0)
	v_mul_f64 v[69:70], v[101:102], v[71:72]
	v_fma_f64 v[69:70], v[99:100], v[97:98], -v[69:70]
	v_mul_f64 v[99:100], v[99:100], v[71:72]
	v_fma_f64 v[99:100], v[101:102], v[97:98], v[99:100]
	s_waitcnt vmcnt(2)
	v_add_f64 v[61:62], v[61:62], -v[69:70]
	s_waitcnt vmcnt(0)
	v_add_f64 v[63:64], v[63:64], -v[99:100]
	buffer_store_dword v61, off, s[20:23], 0 offset:80 ; 4-byte Folded Spill
	s_nop 0
	buffer_store_dword v62, off, s[20:23], 0 offset:84 ; 4-byte Folded Spill
	buffer_store_dword v63, off, s[20:23], 0 offset:88 ; 4-byte Folded Spill
	buffer_store_dword v64, off, s[20:23], 0 offset:92 ; 4-byte Folded Spill
	ds_read2_b64 v[99:102], v125 offset0:80 offset1:81
	buffer_load_dword v57, off, s[20:23], 0 offset:64 ; 4-byte Folded Reload
	buffer_load_dword v58, off, s[20:23], 0 offset:68 ; 4-byte Folded Reload
	buffer_load_dword v59, off, s[20:23], 0 offset:72 ; 4-byte Folded Reload
	buffer_load_dword v60, off, s[20:23], 0 offset:76 ; 4-byte Folded Reload
	s_waitcnt lgkmcnt(0)
	v_mul_f64 v[69:70], v[101:102], v[71:72]
	v_fma_f64 v[69:70], v[99:100], v[97:98], -v[69:70]
	v_mul_f64 v[99:100], v[99:100], v[71:72]
	v_fma_f64 v[99:100], v[101:102], v[97:98], v[99:100]
	s_waitcnt vmcnt(2)
	v_add_f64 v[57:58], v[57:58], -v[69:70]
	;; [unrolled: 19-line block ×5, first 2 shown]
	s_waitcnt vmcnt(0)
	v_add_f64 v[47:48], v[47:48], -v[99:100]
	buffer_store_dword v45, off, s[20:23], 0 offset:16 ; 4-byte Folded Spill
	s_nop 0
	buffer_store_dword v46, off, s[20:23], 0 offset:20 ; 4-byte Folded Spill
	buffer_store_dword v47, off, s[20:23], 0 offset:24 ; 4-byte Folded Spill
	buffer_store_dword v48, off, s[20:23], 0 offset:28 ; 4-byte Folded Spill
	ds_read2_b64 v[99:102], v125 offset0:88 offset1:89
	buffer_load_dword v41, off, s[20:23], 0 ; 4-byte Folded Reload
	buffer_load_dword v42, off, s[20:23], 0 offset:4 ; 4-byte Folded Reload
	buffer_load_dword v43, off, s[20:23], 0 offset:8 ; 4-byte Folded Reload
	;; [unrolled: 1-line block ×3, first 2 shown]
	s_waitcnt lgkmcnt(0)
	v_mul_f64 v[69:70], v[101:102], v[71:72]
	v_fma_f64 v[69:70], v[99:100], v[97:98], -v[69:70]
	v_mul_f64 v[99:100], v[99:100], v[71:72]
	v_fma_f64 v[99:100], v[101:102], v[97:98], v[99:100]
	s_waitcnt vmcnt(2)
	v_add_f64 v[41:42], v[41:42], -v[69:70]
	s_waitcnt vmcnt(0)
	v_add_f64 v[43:44], v[43:44], -v[99:100]
	buffer_store_dword v41, off, s[20:23], 0 ; 4-byte Folded Spill
	s_nop 0
	buffer_store_dword v42, off, s[20:23], 0 offset:4 ; 4-byte Folded Spill
	buffer_store_dword v43, off, s[20:23], 0 offset:8 ; 4-byte Folded Spill
	;; [unrolled: 1-line block ×3, first 2 shown]
	ds_read2_b64 v[99:102], v125 offset0:90 offset1:91
	s_waitcnt lgkmcnt(0)
	v_mul_f64 v[69:70], v[101:102], v[71:72]
	v_fma_f64 v[69:70], v[99:100], v[97:98], -v[69:70]
	v_mul_f64 v[99:100], v[99:100], v[71:72]
	v_add_f64 v[37:38], v[37:38], -v[69:70]
	v_fma_f64 v[99:100], v[101:102], v[97:98], v[99:100]
	v_add_f64 v[39:40], v[39:40], -v[99:100]
	ds_read2_b64 v[99:102], v125 offset0:92 offset1:93
	s_waitcnt lgkmcnt(0)
	v_mul_f64 v[69:70], v[101:102], v[71:72]
	v_fma_f64 v[69:70], v[99:100], v[97:98], -v[69:70]
	v_mul_f64 v[99:100], v[99:100], v[71:72]
	v_add_f64 v[33:34], v[33:34], -v[69:70]
	v_fma_f64 v[99:100], v[101:102], v[97:98], v[99:100]
	v_add_f64 v[35:36], v[35:36], -v[99:100]
	;; [unrolled: 8-line block ×10, first 2 shown]
	ds_read2_b64 v[99:102], v125 offset0:110 offset1:111
	s_waitcnt lgkmcnt(0)
	v_mul_f64 v[69:70], v[101:102], v[71:72]
	v_fma_f64 v[69:70], v[99:100], v[97:98], -v[69:70]
	v_mul_f64 v[99:100], v[99:100], v[71:72]
	v_add_f64 v[121:122], v[121:122], -v[69:70]
	v_fma_f64 v[99:100], v[101:102], v[97:98], v[99:100]
	v_mov_b32_e32 v69, v97
	v_mov_b32_e32 v70, v98
	buffer_store_dword v69, off, s[20:23], 0 offset:112 ; 4-byte Folded Spill
	s_nop 0
	buffer_store_dword v70, off, s[20:23], 0 offset:116 ; 4-byte Folded Spill
	buffer_store_dword v71, off, s[20:23], 0 offset:120 ; 4-byte Folded Spill
	;; [unrolled: 1-line block ×3, first 2 shown]
	v_add_f64 v[123:124], v[123:124], -v[99:100]
.LBB111_343:
	s_or_b64 exec, exec, s[2:3]
	v_cmp_eq_u32_e32 vcc, 38, v0
	s_waitcnt vmcnt(0)
	s_barrier
	s_and_saveexec_b64 s[4:5], vcc
	s_cbranch_execz .LBB111_350
; %bb.344:
	buffer_load_dword v65, off, s[20:23], 0 offset:96 ; 4-byte Folded Reload
	buffer_load_dword v66, off, s[20:23], 0 offset:100 ; 4-byte Folded Reload
	;; [unrolled: 1-line block ×4, first 2 shown]
	s_waitcnt vmcnt(0)
	ds_write2_b64 v127, v[65:66], v[67:68] offset1:1
	buffer_load_dword v61, off, s[20:23], 0 offset:80 ; 4-byte Folded Reload
	buffer_load_dword v62, off, s[20:23], 0 offset:84 ; 4-byte Folded Reload
	buffer_load_dword v63, off, s[20:23], 0 offset:88 ; 4-byte Folded Reload
	buffer_load_dword v64, off, s[20:23], 0 offset:92 ; 4-byte Folded Reload
	s_waitcnt vmcnt(0)
	ds_write2_b64 v125, v[61:62], v[63:64] offset0:78 offset1:79
	buffer_load_dword v57, off, s[20:23], 0 offset:64 ; 4-byte Folded Reload
	buffer_load_dword v58, off, s[20:23], 0 offset:68 ; 4-byte Folded Reload
	buffer_load_dword v59, off, s[20:23], 0 offset:72 ; 4-byte Folded Reload
	buffer_load_dword v60, off, s[20:23], 0 offset:76 ; 4-byte Folded Reload
	s_waitcnt vmcnt(0)
	ds_write2_b64 v125, v[57:58], v[59:60] offset0:80 offset1:81
	;; [unrolled: 6-line block ×5, first 2 shown]
	buffer_load_dword v41, off, s[20:23], 0 ; 4-byte Folded Reload
	buffer_load_dword v42, off, s[20:23], 0 offset:4 ; 4-byte Folded Reload
	buffer_load_dword v43, off, s[20:23], 0 offset:8 ; 4-byte Folded Reload
	;; [unrolled: 1-line block ×3, first 2 shown]
	s_waitcnt vmcnt(0)
	ds_write2_b64 v125, v[41:42], v[43:44] offset0:88 offset1:89
	ds_write2_b64 v125, v[37:38], v[39:40] offset0:90 offset1:91
	;; [unrolled: 1-line block ×12, first 2 shown]
	ds_read2_b64 v[97:100], v127 offset1:1
	s_waitcnt lgkmcnt(0)
	v_cmp_neq_f64_e32 vcc, 0, v[97:98]
	v_cmp_neq_f64_e64 s[2:3], 0, v[99:100]
	s_or_b64 s[2:3], vcc, s[2:3]
	s_and_b64 exec, exec, s[2:3]
	s_cbranch_execz .LBB111_350
; %bb.345:
	v_cmp_ngt_f64_e64 s[2:3], |v[97:98]|, |v[99:100]|
                                        ; implicit-def: $vgpr101_vgpr102
	s_and_saveexec_b64 s[6:7], s[2:3]
	s_xor_b64 s[2:3], exec, s[6:7]
                                        ; implicit-def: $vgpr103_vgpr104
	s_cbranch_execz .LBB111_347
; %bb.346:
	v_div_scale_f64 v[101:102], s[6:7], v[99:100], v[99:100], v[97:98]
	v_rcp_f64_e32 v[103:104], v[101:102]
	v_fma_f64 v[105:106], -v[101:102], v[103:104], 1.0
	v_fma_f64 v[103:104], v[103:104], v[105:106], v[103:104]
	v_div_scale_f64 v[105:106], vcc, v[97:98], v[99:100], v[97:98]
	v_fma_f64 v[107:108], -v[101:102], v[103:104], 1.0
	v_fma_f64 v[103:104], v[103:104], v[107:108], v[103:104]
	v_mul_f64 v[107:108], v[105:106], v[103:104]
	v_fma_f64 v[101:102], -v[101:102], v[107:108], v[105:106]
	v_div_fmas_f64 v[101:102], v[101:102], v[103:104], v[107:108]
	v_div_fixup_f64 v[101:102], v[101:102], v[99:100], v[97:98]
	v_fma_f64 v[97:98], v[97:98], v[101:102], v[99:100]
	v_div_scale_f64 v[99:100], s[6:7], v[97:98], v[97:98], 1.0
	v_div_scale_f64 v[107:108], vcc, 1.0, v[97:98], 1.0
	v_rcp_f64_e32 v[103:104], v[99:100]
	v_fma_f64 v[105:106], -v[99:100], v[103:104], 1.0
	v_fma_f64 v[103:104], v[103:104], v[105:106], v[103:104]
	v_fma_f64 v[105:106], -v[99:100], v[103:104], 1.0
	v_fma_f64 v[103:104], v[103:104], v[105:106], v[103:104]
	v_mul_f64 v[105:106], v[107:108], v[103:104]
	v_fma_f64 v[99:100], -v[99:100], v[105:106], v[107:108]
	v_div_fmas_f64 v[99:100], v[99:100], v[103:104], v[105:106]
	v_div_fixup_f64 v[103:104], v[99:100], v[97:98], 1.0
                                        ; implicit-def: $vgpr97_vgpr98
	v_mul_f64 v[101:102], v[101:102], v[103:104]
	v_xor_b32_e32 v104, 0x80000000, v104
.LBB111_347:
	s_andn2_saveexec_b64 s[2:3], s[2:3]
	s_cbranch_execz .LBB111_349
; %bb.348:
	v_div_scale_f64 v[101:102], s[6:7], v[97:98], v[97:98], v[99:100]
	v_rcp_f64_e32 v[103:104], v[101:102]
	v_fma_f64 v[105:106], -v[101:102], v[103:104], 1.0
	v_fma_f64 v[103:104], v[103:104], v[105:106], v[103:104]
	v_div_scale_f64 v[105:106], vcc, v[99:100], v[97:98], v[99:100]
	v_fma_f64 v[107:108], -v[101:102], v[103:104], 1.0
	v_fma_f64 v[103:104], v[103:104], v[107:108], v[103:104]
	v_mul_f64 v[107:108], v[105:106], v[103:104]
	v_fma_f64 v[101:102], -v[101:102], v[107:108], v[105:106]
	v_div_fmas_f64 v[101:102], v[101:102], v[103:104], v[107:108]
	v_div_fixup_f64 v[103:104], v[101:102], v[97:98], v[99:100]
	v_fma_f64 v[97:98], v[99:100], v[103:104], v[97:98]
	v_div_scale_f64 v[99:100], s[6:7], v[97:98], v[97:98], 1.0
	v_div_scale_f64 v[107:108], vcc, 1.0, v[97:98], 1.0
	v_rcp_f64_e32 v[101:102], v[99:100]
	v_fma_f64 v[105:106], -v[99:100], v[101:102], 1.0
	v_fma_f64 v[101:102], v[101:102], v[105:106], v[101:102]
	v_fma_f64 v[105:106], -v[99:100], v[101:102], 1.0
	v_fma_f64 v[101:102], v[101:102], v[105:106], v[101:102]
	v_mul_f64 v[105:106], v[107:108], v[101:102]
	v_fma_f64 v[99:100], -v[99:100], v[105:106], v[107:108]
	v_div_fmas_f64 v[99:100], v[99:100], v[101:102], v[105:106]
	v_div_fixup_f64 v[101:102], v[99:100], v[97:98], 1.0
	v_mul_f64 v[103:104], v[103:104], -v[101:102]
.LBB111_349:
	s_or_b64 exec, exec, s[2:3]
	ds_write2_b64 v127, v[101:102], v[103:104] offset1:1
.LBB111_350:
	s_or_b64 exec, exec, s[4:5]
	s_waitcnt lgkmcnt(0)
	s_barrier
	ds_read2_b64 v[113:116], v127 offset1:1
	v_cmp_lt_u32_e32 vcc, 38, v0
	s_and_saveexec_b64 s[2:3], vcc
	s_cbranch_execz .LBB111_352
; %bb.351:
	buffer_load_dword v65, off, s[20:23], 0 offset:96 ; 4-byte Folded Reload
	buffer_load_dword v66, off, s[20:23], 0 offset:100 ; 4-byte Folded Reload
	;; [unrolled: 1-line block ×4, first 2 shown]
	ds_read2_b64 v[99:102], v125 offset0:78 offset1:79
	buffer_load_dword v61, off, s[20:23], 0 offset:80 ; 4-byte Folded Reload
	buffer_load_dword v62, off, s[20:23], 0 offset:84 ; 4-byte Folded Reload
	;; [unrolled: 1-line block ×4, first 2 shown]
	s_waitcnt vmcnt(4) lgkmcnt(1)
	v_mul_f64 v[97:98], v[115:116], v[67:68]
	v_mul_f64 v[67:68], v[113:114], v[67:68]
	v_fma_f64 v[97:98], v[113:114], v[65:66], -v[97:98]
	v_fma_f64 v[67:68], v[115:116], v[65:66], v[67:68]
	s_waitcnt lgkmcnt(0)
	v_mul_f64 v[65:66], v[101:102], v[67:68]
	v_fma_f64 v[65:66], v[99:100], v[97:98], -v[65:66]
	v_mul_f64 v[99:100], v[99:100], v[67:68]
	s_waitcnt vmcnt(2)
	v_add_f64 v[61:62], v[61:62], -v[65:66]
	v_fma_f64 v[99:100], v[101:102], v[97:98], v[99:100]
	s_waitcnt vmcnt(0)
	v_add_f64 v[63:64], v[63:64], -v[99:100]
	buffer_store_dword v61, off, s[20:23], 0 offset:80 ; 4-byte Folded Spill
	s_nop 0
	buffer_store_dword v62, off, s[20:23], 0 offset:84 ; 4-byte Folded Spill
	buffer_store_dword v63, off, s[20:23], 0 offset:88 ; 4-byte Folded Spill
	buffer_store_dword v64, off, s[20:23], 0 offset:92 ; 4-byte Folded Spill
	ds_read2_b64 v[99:102], v125 offset0:80 offset1:81
	buffer_load_dword v57, off, s[20:23], 0 offset:64 ; 4-byte Folded Reload
	buffer_load_dword v58, off, s[20:23], 0 offset:68 ; 4-byte Folded Reload
	buffer_load_dword v59, off, s[20:23], 0 offset:72 ; 4-byte Folded Reload
	buffer_load_dword v60, off, s[20:23], 0 offset:76 ; 4-byte Folded Reload
	s_waitcnt lgkmcnt(0)
	v_mul_f64 v[65:66], v[101:102], v[67:68]
	v_fma_f64 v[65:66], v[99:100], v[97:98], -v[65:66]
	v_mul_f64 v[99:100], v[99:100], v[67:68]
	v_fma_f64 v[99:100], v[101:102], v[97:98], v[99:100]
	s_waitcnt vmcnt(2)
	v_add_f64 v[57:58], v[57:58], -v[65:66]
	s_waitcnt vmcnt(0)
	v_add_f64 v[59:60], v[59:60], -v[99:100]
	buffer_store_dword v57, off, s[20:23], 0 offset:64 ; 4-byte Folded Spill
	s_nop 0
	buffer_store_dword v58, off, s[20:23], 0 offset:68 ; 4-byte Folded Spill
	buffer_store_dword v59, off, s[20:23], 0 offset:72 ; 4-byte Folded Spill
	buffer_store_dword v60, off, s[20:23], 0 offset:76 ; 4-byte Folded Spill
	ds_read2_b64 v[99:102], v125 offset0:82 offset1:83
	buffer_load_dword v53, off, s[20:23], 0 offset:48 ; 4-byte Folded Reload
	buffer_load_dword v54, off, s[20:23], 0 offset:52 ; 4-byte Folded Reload
	buffer_load_dword v55, off, s[20:23], 0 offset:56 ; 4-byte Folded Reload
	buffer_load_dword v56, off, s[20:23], 0 offset:60 ; 4-byte Folded Reload
	s_waitcnt lgkmcnt(0)
	v_mul_f64 v[65:66], v[101:102], v[67:68]
	v_fma_f64 v[65:66], v[99:100], v[97:98], -v[65:66]
	v_mul_f64 v[99:100], v[99:100], v[67:68]
	v_fma_f64 v[99:100], v[101:102], v[97:98], v[99:100]
	s_waitcnt vmcnt(2)
	v_add_f64 v[53:54], v[53:54], -v[65:66]
	;; [unrolled: 19-line block ×4, first 2 shown]
	s_waitcnt vmcnt(0)
	v_add_f64 v[47:48], v[47:48], -v[99:100]
	buffer_store_dword v45, off, s[20:23], 0 offset:16 ; 4-byte Folded Spill
	s_nop 0
	buffer_store_dword v46, off, s[20:23], 0 offset:20 ; 4-byte Folded Spill
	buffer_store_dword v47, off, s[20:23], 0 offset:24 ; 4-byte Folded Spill
	;; [unrolled: 1-line block ×3, first 2 shown]
	ds_read2_b64 v[99:102], v125 offset0:88 offset1:89
	buffer_load_dword v41, off, s[20:23], 0 ; 4-byte Folded Reload
	buffer_load_dword v42, off, s[20:23], 0 offset:4 ; 4-byte Folded Reload
	buffer_load_dword v43, off, s[20:23], 0 offset:8 ; 4-byte Folded Reload
	;; [unrolled: 1-line block ×3, first 2 shown]
	s_waitcnt lgkmcnt(0)
	v_mul_f64 v[65:66], v[101:102], v[67:68]
	v_fma_f64 v[65:66], v[99:100], v[97:98], -v[65:66]
	v_mul_f64 v[99:100], v[99:100], v[67:68]
	v_fma_f64 v[99:100], v[101:102], v[97:98], v[99:100]
	s_waitcnt vmcnt(2)
	v_add_f64 v[41:42], v[41:42], -v[65:66]
	s_waitcnt vmcnt(0)
	v_add_f64 v[43:44], v[43:44], -v[99:100]
	buffer_store_dword v41, off, s[20:23], 0 ; 4-byte Folded Spill
	s_nop 0
	buffer_store_dword v42, off, s[20:23], 0 offset:4 ; 4-byte Folded Spill
	buffer_store_dword v43, off, s[20:23], 0 offset:8 ; 4-byte Folded Spill
	;; [unrolled: 1-line block ×3, first 2 shown]
	ds_read2_b64 v[99:102], v125 offset0:90 offset1:91
	s_waitcnt lgkmcnt(0)
	v_mul_f64 v[65:66], v[101:102], v[67:68]
	v_fma_f64 v[65:66], v[99:100], v[97:98], -v[65:66]
	v_mul_f64 v[99:100], v[99:100], v[67:68]
	v_add_f64 v[37:38], v[37:38], -v[65:66]
	v_fma_f64 v[99:100], v[101:102], v[97:98], v[99:100]
	v_add_f64 v[39:40], v[39:40], -v[99:100]
	ds_read2_b64 v[99:102], v125 offset0:92 offset1:93
	s_waitcnt lgkmcnt(0)
	v_mul_f64 v[65:66], v[101:102], v[67:68]
	v_fma_f64 v[65:66], v[99:100], v[97:98], -v[65:66]
	v_mul_f64 v[99:100], v[99:100], v[67:68]
	v_add_f64 v[33:34], v[33:34], -v[65:66]
	v_fma_f64 v[99:100], v[101:102], v[97:98], v[99:100]
	v_add_f64 v[35:36], v[35:36], -v[99:100]
	;; [unrolled: 8-line block ×10, first 2 shown]
	ds_read2_b64 v[99:102], v125 offset0:110 offset1:111
	s_waitcnt lgkmcnt(0)
	v_mul_f64 v[65:66], v[101:102], v[67:68]
	v_fma_f64 v[65:66], v[99:100], v[97:98], -v[65:66]
	v_mul_f64 v[99:100], v[99:100], v[67:68]
	v_add_f64 v[121:122], v[121:122], -v[65:66]
	v_fma_f64 v[99:100], v[101:102], v[97:98], v[99:100]
	v_mov_b32_e32 v65, v97
	v_mov_b32_e32 v66, v98
	buffer_store_dword v65, off, s[20:23], 0 offset:96 ; 4-byte Folded Spill
	s_nop 0
	buffer_store_dword v66, off, s[20:23], 0 offset:100 ; 4-byte Folded Spill
	buffer_store_dword v67, off, s[20:23], 0 offset:104 ; 4-byte Folded Spill
	;; [unrolled: 1-line block ×3, first 2 shown]
	v_add_f64 v[123:124], v[123:124], -v[99:100]
.LBB111_352:
	s_or_b64 exec, exec, s[2:3]
	v_cmp_eq_u32_e32 vcc, 39, v0
	s_waitcnt vmcnt(0) lgkmcnt(0)
	s_barrier
	s_and_saveexec_b64 s[4:5], vcc
	s_cbranch_execz .LBB111_359
; %bb.353:
	buffer_load_dword v61, off, s[20:23], 0 offset:80 ; 4-byte Folded Reload
	buffer_load_dword v62, off, s[20:23], 0 offset:84 ; 4-byte Folded Reload
	buffer_load_dword v63, off, s[20:23], 0 offset:88 ; 4-byte Folded Reload
	buffer_load_dword v64, off, s[20:23], 0 offset:92 ; 4-byte Folded Reload
	s_waitcnt vmcnt(0)
	ds_write2_b64 v127, v[61:62], v[63:64] offset1:1
	buffer_load_dword v57, off, s[20:23], 0 offset:64 ; 4-byte Folded Reload
	buffer_load_dword v58, off, s[20:23], 0 offset:68 ; 4-byte Folded Reload
	buffer_load_dword v59, off, s[20:23], 0 offset:72 ; 4-byte Folded Reload
	buffer_load_dword v60, off, s[20:23], 0 offset:76 ; 4-byte Folded Reload
	s_waitcnt vmcnt(0)
	ds_write2_b64 v125, v[57:58], v[59:60] offset0:80 offset1:81
	buffer_load_dword v53, off, s[20:23], 0 offset:48 ; 4-byte Folded Reload
	buffer_load_dword v54, off, s[20:23], 0 offset:52 ; 4-byte Folded Reload
	buffer_load_dword v55, off, s[20:23], 0 offset:56 ; 4-byte Folded Reload
	buffer_load_dword v56, off, s[20:23], 0 offset:60 ; 4-byte Folded Reload
	s_waitcnt vmcnt(0)
	ds_write2_b64 v125, v[53:54], v[55:56] offset0:82 offset1:83
	;; [unrolled: 6-line block ×4, first 2 shown]
	buffer_load_dword v41, off, s[20:23], 0 ; 4-byte Folded Reload
	buffer_load_dword v42, off, s[20:23], 0 offset:4 ; 4-byte Folded Reload
	buffer_load_dword v43, off, s[20:23], 0 offset:8 ; 4-byte Folded Reload
	;; [unrolled: 1-line block ×3, first 2 shown]
	s_waitcnt vmcnt(0)
	ds_write2_b64 v125, v[41:42], v[43:44] offset0:88 offset1:89
	ds_write2_b64 v125, v[37:38], v[39:40] offset0:90 offset1:91
	;; [unrolled: 1-line block ×12, first 2 shown]
	ds_read2_b64 v[97:100], v127 offset1:1
	s_waitcnt lgkmcnt(0)
	v_cmp_neq_f64_e32 vcc, 0, v[97:98]
	v_cmp_neq_f64_e64 s[2:3], 0, v[99:100]
	s_or_b64 s[2:3], vcc, s[2:3]
	s_and_b64 exec, exec, s[2:3]
	s_cbranch_execz .LBB111_359
; %bb.354:
	v_cmp_ngt_f64_e64 s[2:3], |v[97:98]|, |v[99:100]|
                                        ; implicit-def: $vgpr101_vgpr102
	s_and_saveexec_b64 s[6:7], s[2:3]
	s_xor_b64 s[2:3], exec, s[6:7]
                                        ; implicit-def: $vgpr103_vgpr104
	s_cbranch_execz .LBB111_356
; %bb.355:
	v_div_scale_f64 v[101:102], s[6:7], v[99:100], v[99:100], v[97:98]
	v_rcp_f64_e32 v[103:104], v[101:102]
	v_fma_f64 v[105:106], -v[101:102], v[103:104], 1.0
	v_fma_f64 v[103:104], v[103:104], v[105:106], v[103:104]
	v_div_scale_f64 v[105:106], vcc, v[97:98], v[99:100], v[97:98]
	v_fma_f64 v[107:108], -v[101:102], v[103:104], 1.0
	v_fma_f64 v[103:104], v[103:104], v[107:108], v[103:104]
	v_mul_f64 v[107:108], v[105:106], v[103:104]
	v_fma_f64 v[101:102], -v[101:102], v[107:108], v[105:106]
	v_div_fmas_f64 v[101:102], v[101:102], v[103:104], v[107:108]
	v_div_fixup_f64 v[101:102], v[101:102], v[99:100], v[97:98]
	v_fma_f64 v[97:98], v[97:98], v[101:102], v[99:100]
	v_div_scale_f64 v[99:100], s[6:7], v[97:98], v[97:98], 1.0
	v_div_scale_f64 v[107:108], vcc, 1.0, v[97:98], 1.0
	v_rcp_f64_e32 v[103:104], v[99:100]
	v_fma_f64 v[105:106], -v[99:100], v[103:104], 1.0
	v_fma_f64 v[103:104], v[103:104], v[105:106], v[103:104]
	v_fma_f64 v[105:106], -v[99:100], v[103:104], 1.0
	v_fma_f64 v[103:104], v[103:104], v[105:106], v[103:104]
	v_mul_f64 v[105:106], v[107:108], v[103:104]
	v_fma_f64 v[99:100], -v[99:100], v[105:106], v[107:108]
	v_div_fmas_f64 v[99:100], v[99:100], v[103:104], v[105:106]
	v_div_fixup_f64 v[103:104], v[99:100], v[97:98], 1.0
                                        ; implicit-def: $vgpr97_vgpr98
	v_mul_f64 v[101:102], v[101:102], v[103:104]
	v_xor_b32_e32 v104, 0x80000000, v104
.LBB111_356:
	s_andn2_saveexec_b64 s[2:3], s[2:3]
	s_cbranch_execz .LBB111_358
; %bb.357:
	v_div_scale_f64 v[101:102], s[6:7], v[97:98], v[97:98], v[99:100]
	v_rcp_f64_e32 v[103:104], v[101:102]
	v_fma_f64 v[105:106], -v[101:102], v[103:104], 1.0
	v_fma_f64 v[103:104], v[103:104], v[105:106], v[103:104]
	v_div_scale_f64 v[105:106], vcc, v[99:100], v[97:98], v[99:100]
	v_fma_f64 v[107:108], -v[101:102], v[103:104], 1.0
	v_fma_f64 v[103:104], v[103:104], v[107:108], v[103:104]
	v_mul_f64 v[107:108], v[105:106], v[103:104]
	v_fma_f64 v[101:102], -v[101:102], v[107:108], v[105:106]
	v_div_fmas_f64 v[101:102], v[101:102], v[103:104], v[107:108]
	v_div_fixup_f64 v[103:104], v[101:102], v[97:98], v[99:100]
	v_fma_f64 v[97:98], v[99:100], v[103:104], v[97:98]
	v_div_scale_f64 v[99:100], s[6:7], v[97:98], v[97:98], 1.0
	v_div_scale_f64 v[107:108], vcc, 1.0, v[97:98], 1.0
	v_rcp_f64_e32 v[101:102], v[99:100]
	v_fma_f64 v[105:106], -v[99:100], v[101:102], 1.0
	v_fma_f64 v[101:102], v[101:102], v[105:106], v[101:102]
	v_fma_f64 v[105:106], -v[99:100], v[101:102], 1.0
	v_fma_f64 v[101:102], v[101:102], v[105:106], v[101:102]
	v_mul_f64 v[105:106], v[107:108], v[101:102]
	v_fma_f64 v[99:100], -v[99:100], v[105:106], v[107:108]
	v_div_fmas_f64 v[99:100], v[99:100], v[101:102], v[105:106]
	v_div_fixup_f64 v[101:102], v[99:100], v[97:98], 1.0
	v_mul_f64 v[103:104], v[103:104], -v[101:102]
.LBB111_358:
	s_or_b64 exec, exec, s[2:3]
	ds_write2_b64 v127, v[101:102], v[103:104] offset1:1
.LBB111_359:
	s_or_b64 exec, exec, s[4:5]
	s_waitcnt lgkmcnt(0)
	s_barrier
	ds_read2_b64 v[69:72], v127 offset1:1
	v_cmp_lt_u32_e32 vcc, 39, v0
	s_waitcnt lgkmcnt(0)
	buffer_store_dword v69, off, s[20:23], 0 offset:1744 ; 4-byte Folded Spill
	s_nop 0
	buffer_store_dword v70, off, s[20:23], 0 offset:1748 ; 4-byte Folded Spill
	buffer_store_dword v71, off, s[20:23], 0 offset:1752 ; 4-byte Folded Spill
	;; [unrolled: 1-line block ×3, first 2 shown]
	s_and_saveexec_b64 s[2:3], vcc
	s_cbranch_execz .LBB111_361
; %bb.360:
	buffer_load_dword v69, off, s[20:23], 0 offset:1744 ; 4-byte Folded Reload
	buffer_load_dword v70, off, s[20:23], 0 offset:1748 ; 4-byte Folded Reload
	;; [unrolled: 1-line block ×8, first 2 shown]
	ds_read2_b64 v[99:102], v125 offset0:80 offset1:81
	buffer_load_dword v57, off, s[20:23], 0 offset:64 ; 4-byte Folded Reload
	buffer_load_dword v58, off, s[20:23], 0 offset:68 ; 4-byte Folded Reload
	;; [unrolled: 1-line block ×4, first 2 shown]
	s_waitcnt vmcnt(4)
	v_mul_f64 v[97:98], v[69:70], v[63:64]
	v_mul_f64 v[63:64], v[71:72], v[63:64]
	v_fma_f64 v[97:98], v[71:72], v[61:62], v[97:98]
	v_fma_f64 v[61:62], v[69:70], v[61:62], -v[63:64]
	s_waitcnt lgkmcnt(0)
	v_mul_f64 v[63:64], v[101:102], v[97:98]
	v_fma_f64 v[63:64], v[99:100], v[61:62], -v[63:64]
	v_mul_f64 v[99:100], v[99:100], v[97:98]
	s_waitcnt vmcnt(2)
	v_add_f64 v[57:58], v[57:58], -v[63:64]
	v_fma_f64 v[99:100], v[101:102], v[61:62], v[99:100]
	s_waitcnt vmcnt(0)
	v_add_f64 v[59:60], v[59:60], -v[99:100]
	buffer_store_dword v57, off, s[20:23], 0 offset:64 ; 4-byte Folded Spill
	s_nop 0
	buffer_store_dword v58, off, s[20:23], 0 offset:68 ; 4-byte Folded Spill
	buffer_store_dword v59, off, s[20:23], 0 offset:72 ; 4-byte Folded Spill
	buffer_store_dword v60, off, s[20:23], 0 offset:76 ; 4-byte Folded Spill
	ds_read2_b64 v[99:102], v125 offset0:82 offset1:83
	buffer_load_dword v53, off, s[20:23], 0 offset:48 ; 4-byte Folded Reload
	buffer_load_dword v54, off, s[20:23], 0 offset:52 ; 4-byte Folded Reload
	buffer_load_dword v55, off, s[20:23], 0 offset:56 ; 4-byte Folded Reload
	buffer_load_dword v56, off, s[20:23], 0 offset:60 ; 4-byte Folded Reload
	s_waitcnt lgkmcnt(0)
	v_mul_f64 v[63:64], v[101:102], v[97:98]
	v_fma_f64 v[63:64], v[99:100], v[61:62], -v[63:64]
	v_mul_f64 v[99:100], v[99:100], v[97:98]
	v_fma_f64 v[99:100], v[101:102], v[61:62], v[99:100]
	s_waitcnt vmcnt(2)
	v_add_f64 v[53:54], v[53:54], -v[63:64]
	s_waitcnt vmcnt(0)
	v_add_f64 v[55:56], v[55:56], -v[99:100]
	buffer_store_dword v53, off, s[20:23], 0 offset:48 ; 4-byte Folded Spill
	s_nop 0
	buffer_store_dword v54, off, s[20:23], 0 offset:52 ; 4-byte Folded Spill
	buffer_store_dword v55, off, s[20:23], 0 offset:56 ; 4-byte Folded Spill
	buffer_store_dword v56, off, s[20:23], 0 offset:60 ; 4-byte Folded Spill
	ds_read2_b64 v[99:102], v125 offset0:84 offset1:85
	buffer_load_dword v49, off, s[20:23], 0 offset:32 ; 4-byte Folded Reload
	buffer_load_dword v50, off, s[20:23], 0 offset:36 ; 4-byte Folded Reload
	buffer_load_dword v51, off, s[20:23], 0 offset:40 ; 4-byte Folded Reload
	buffer_load_dword v52, off, s[20:23], 0 offset:44 ; 4-byte Folded Reload
	s_waitcnt lgkmcnt(0)
	v_mul_f64 v[63:64], v[101:102], v[97:98]
	v_fma_f64 v[63:64], v[99:100], v[61:62], -v[63:64]
	v_mul_f64 v[99:100], v[99:100], v[97:98]
	v_fma_f64 v[99:100], v[101:102], v[61:62], v[99:100]
	s_waitcnt vmcnt(2)
	v_add_f64 v[49:50], v[49:50], -v[63:64]
	s_waitcnt vmcnt(0)
	v_add_f64 v[51:52], v[51:52], -v[99:100]
	buffer_store_dword v49, off, s[20:23], 0 offset:32 ; 4-byte Folded Spill
	s_nop 0
	buffer_store_dword v50, off, s[20:23], 0 offset:36 ; 4-byte Folded Spill
	buffer_store_dword v51, off, s[20:23], 0 offset:40 ; 4-byte Folded Spill
	buffer_store_dword v52, off, s[20:23], 0 offset:44 ; 4-byte Folded Spill
	ds_read2_b64 v[99:102], v125 offset0:86 offset1:87
	buffer_load_dword v45, off, s[20:23], 0 offset:16 ; 4-byte Folded Reload
	buffer_load_dword v46, off, s[20:23], 0 offset:20 ; 4-byte Folded Reload
	buffer_load_dword v47, off, s[20:23], 0 offset:24 ; 4-byte Folded Reload
	buffer_load_dword v48, off, s[20:23], 0 offset:28 ; 4-byte Folded Reload
	s_waitcnt lgkmcnt(0)
	v_mul_f64 v[63:64], v[101:102], v[97:98]
	v_fma_f64 v[63:64], v[99:100], v[61:62], -v[63:64]
	v_mul_f64 v[99:100], v[99:100], v[97:98]
	v_fma_f64 v[99:100], v[101:102], v[61:62], v[99:100]
	s_waitcnt vmcnt(2)
	v_add_f64 v[45:46], v[45:46], -v[63:64]
	s_waitcnt vmcnt(0)
	v_add_f64 v[47:48], v[47:48], -v[99:100]
	buffer_store_dword v45, off, s[20:23], 0 offset:16 ; 4-byte Folded Spill
	s_nop 0
	buffer_store_dword v46, off, s[20:23], 0 offset:20 ; 4-byte Folded Spill
	buffer_store_dword v47, off, s[20:23], 0 offset:24 ; 4-byte Folded Spill
	;; [unrolled: 1-line block ×3, first 2 shown]
	ds_read2_b64 v[99:102], v125 offset0:88 offset1:89
	buffer_load_dword v41, off, s[20:23], 0 ; 4-byte Folded Reload
	buffer_load_dword v42, off, s[20:23], 0 offset:4 ; 4-byte Folded Reload
	buffer_load_dword v43, off, s[20:23], 0 offset:8 ; 4-byte Folded Reload
	;; [unrolled: 1-line block ×3, first 2 shown]
	s_waitcnt lgkmcnt(0)
	v_mul_f64 v[63:64], v[101:102], v[97:98]
	v_fma_f64 v[63:64], v[99:100], v[61:62], -v[63:64]
	v_mul_f64 v[99:100], v[99:100], v[97:98]
	v_fma_f64 v[99:100], v[101:102], v[61:62], v[99:100]
	s_waitcnt vmcnt(2)
	v_add_f64 v[41:42], v[41:42], -v[63:64]
	s_waitcnt vmcnt(0)
	v_add_f64 v[43:44], v[43:44], -v[99:100]
	buffer_store_dword v41, off, s[20:23], 0 ; 4-byte Folded Spill
	s_nop 0
	buffer_store_dword v42, off, s[20:23], 0 offset:4 ; 4-byte Folded Spill
	buffer_store_dword v43, off, s[20:23], 0 offset:8 ; 4-byte Folded Spill
	;; [unrolled: 1-line block ×3, first 2 shown]
	ds_read2_b64 v[99:102], v125 offset0:90 offset1:91
	s_waitcnt lgkmcnt(0)
	v_mul_f64 v[63:64], v[101:102], v[97:98]
	v_fma_f64 v[63:64], v[99:100], v[61:62], -v[63:64]
	v_mul_f64 v[99:100], v[99:100], v[97:98]
	v_add_f64 v[37:38], v[37:38], -v[63:64]
	v_fma_f64 v[99:100], v[101:102], v[61:62], v[99:100]
	v_add_f64 v[39:40], v[39:40], -v[99:100]
	ds_read2_b64 v[99:102], v125 offset0:92 offset1:93
	s_waitcnt lgkmcnt(0)
	v_mul_f64 v[63:64], v[101:102], v[97:98]
	v_fma_f64 v[63:64], v[99:100], v[61:62], -v[63:64]
	v_mul_f64 v[99:100], v[99:100], v[97:98]
	v_add_f64 v[33:34], v[33:34], -v[63:64]
	v_fma_f64 v[99:100], v[101:102], v[61:62], v[99:100]
	v_add_f64 v[35:36], v[35:36], -v[99:100]
	;; [unrolled: 8-line block ×10, first 2 shown]
	ds_read2_b64 v[99:102], v125 offset0:110 offset1:111
	s_waitcnt lgkmcnt(0)
	v_mul_f64 v[63:64], v[101:102], v[97:98]
	v_fma_f64 v[63:64], v[99:100], v[61:62], -v[63:64]
	v_mul_f64 v[99:100], v[99:100], v[97:98]
	v_add_f64 v[121:122], v[121:122], -v[63:64]
	v_fma_f64 v[99:100], v[101:102], v[61:62], v[99:100]
	v_mov_b32_e32 v63, v97
	v_mov_b32_e32 v64, v98
	buffer_store_dword v61, off, s[20:23], 0 offset:80 ; 4-byte Folded Spill
	s_nop 0
	buffer_store_dword v62, off, s[20:23], 0 offset:84 ; 4-byte Folded Spill
	buffer_store_dword v63, off, s[20:23], 0 offset:88 ; 4-byte Folded Spill
	;; [unrolled: 1-line block ×3, first 2 shown]
	v_add_f64 v[123:124], v[123:124], -v[99:100]
.LBB111_361:
	s_or_b64 exec, exec, s[2:3]
	v_cmp_eq_u32_e32 vcc, 40, v0
	s_waitcnt vmcnt(0)
	s_barrier
	s_and_saveexec_b64 s[4:5], vcc
	s_cbranch_execz .LBB111_368
; %bb.362:
	buffer_load_dword v57, off, s[20:23], 0 offset:64 ; 4-byte Folded Reload
	buffer_load_dword v58, off, s[20:23], 0 offset:68 ; 4-byte Folded Reload
	;; [unrolled: 1-line block ×4, first 2 shown]
	s_waitcnt vmcnt(0)
	ds_write2_b64 v127, v[57:58], v[59:60] offset1:1
	buffer_load_dword v53, off, s[20:23], 0 offset:48 ; 4-byte Folded Reload
	buffer_load_dword v54, off, s[20:23], 0 offset:52 ; 4-byte Folded Reload
	buffer_load_dword v55, off, s[20:23], 0 offset:56 ; 4-byte Folded Reload
	buffer_load_dword v56, off, s[20:23], 0 offset:60 ; 4-byte Folded Reload
	s_waitcnt vmcnt(0)
	ds_write2_b64 v125, v[53:54], v[55:56] offset0:82 offset1:83
	buffer_load_dword v49, off, s[20:23], 0 offset:32 ; 4-byte Folded Reload
	buffer_load_dword v50, off, s[20:23], 0 offset:36 ; 4-byte Folded Reload
	buffer_load_dword v51, off, s[20:23], 0 offset:40 ; 4-byte Folded Reload
	buffer_load_dword v52, off, s[20:23], 0 offset:44 ; 4-byte Folded Reload
	s_waitcnt vmcnt(0)
	ds_write2_b64 v125, v[49:50], v[51:52] offset0:84 offset1:85
	;; [unrolled: 6-line block ×3, first 2 shown]
	buffer_load_dword v41, off, s[20:23], 0 ; 4-byte Folded Reload
	buffer_load_dword v42, off, s[20:23], 0 offset:4 ; 4-byte Folded Reload
	buffer_load_dword v43, off, s[20:23], 0 offset:8 ; 4-byte Folded Reload
	;; [unrolled: 1-line block ×3, first 2 shown]
	s_waitcnt vmcnt(0)
	ds_write2_b64 v125, v[41:42], v[43:44] offset0:88 offset1:89
	ds_write2_b64 v125, v[37:38], v[39:40] offset0:90 offset1:91
	ds_write2_b64 v125, v[33:34], v[35:36] offset0:92 offset1:93
	ds_write2_b64 v125, v[29:30], v[31:32] offset0:94 offset1:95
	ds_write2_b64 v125, v[25:26], v[27:28] offset0:96 offset1:97
	ds_write2_b64 v125, v[21:22], v[23:24] offset0:98 offset1:99
	ds_write2_b64 v125, v[17:18], v[19:20] offset0:100 offset1:101
	ds_write2_b64 v125, v[13:14], v[15:16] offset0:102 offset1:103
	ds_write2_b64 v125, v[9:10], v[11:12] offset0:104 offset1:105
	ds_write2_b64 v125, v[5:6], v[7:8] offset0:106 offset1:107
	ds_write2_b64 v125, v[1:2], v[3:4] offset0:108 offset1:109
	ds_write2_b64 v125, v[121:122], v[123:124] offset0:110 offset1:111
	ds_read2_b64 v[97:100], v127 offset1:1
	s_waitcnt lgkmcnt(0)
	v_cmp_neq_f64_e32 vcc, 0, v[97:98]
	v_cmp_neq_f64_e64 s[2:3], 0, v[99:100]
	s_or_b64 s[2:3], vcc, s[2:3]
	s_and_b64 exec, exec, s[2:3]
	s_cbranch_execz .LBB111_368
; %bb.363:
	v_cmp_ngt_f64_e64 s[2:3], |v[97:98]|, |v[99:100]|
                                        ; implicit-def: $vgpr101_vgpr102
	s_and_saveexec_b64 s[6:7], s[2:3]
	s_xor_b64 s[2:3], exec, s[6:7]
                                        ; implicit-def: $vgpr103_vgpr104
	s_cbranch_execz .LBB111_365
; %bb.364:
	v_div_scale_f64 v[101:102], s[6:7], v[99:100], v[99:100], v[97:98]
	v_rcp_f64_e32 v[103:104], v[101:102]
	v_fma_f64 v[105:106], -v[101:102], v[103:104], 1.0
	v_fma_f64 v[103:104], v[103:104], v[105:106], v[103:104]
	v_div_scale_f64 v[105:106], vcc, v[97:98], v[99:100], v[97:98]
	v_fma_f64 v[107:108], -v[101:102], v[103:104], 1.0
	v_fma_f64 v[103:104], v[103:104], v[107:108], v[103:104]
	v_mul_f64 v[107:108], v[105:106], v[103:104]
	v_fma_f64 v[101:102], -v[101:102], v[107:108], v[105:106]
	v_div_fmas_f64 v[101:102], v[101:102], v[103:104], v[107:108]
	v_div_fixup_f64 v[101:102], v[101:102], v[99:100], v[97:98]
	v_fma_f64 v[97:98], v[97:98], v[101:102], v[99:100]
	v_div_scale_f64 v[99:100], s[6:7], v[97:98], v[97:98], 1.0
	v_div_scale_f64 v[107:108], vcc, 1.0, v[97:98], 1.0
	v_rcp_f64_e32 v[103:104], v[99:100]
	v_fma_f64 v[105:106], -v[99:100], v[103:104], 1.0
	v_fma_f64 v[103:104], v[103:104], v[105:106], v[103:104]
	v_fma_f64 v[105:106], -v[99:100], v[103:104], 1.0
	v_fma_f64 v[103:104], v[103:104], v[105:106], v[103:104]
	v_mul_f64 v[105:106], v[107:108], v[103:104]
	v_fma_f64 v[99:100], -v[99:100], v[105:106], v[107:108]
	v_div_fmas_f64 v[99:100], v[99:100], v[103:104], v[105:106]
	v_div_fixup_f64 v[103:104], v[99:100], v[97:98], 1.0
                                        ; implicit-def: $vgpr97_vgpr98
	v_mul_f64 v[101:102], v[101:102], v[103:104]
	v_xor_b32_e32 v104, 0x80000000, v104
.LBB111_365:
	s_andn2_saveexec_b64 s[2:3], s[2:3]
	s_cbranch_execz .LBB111_367
; %bb.366:
	v_div_scale_f64 v[101:102], s[6:7], v[97:98], v[97:98], v[99:100]
	v_rcp_f64_e32 v[103:104], v[101:102]
	v_fma_f64 v[105:106], -v[101:102], v[103:104], 1.0
	v_fma_f64 v[103:104], v[103:104], v[105:106], v[103:104]
	v_div_scale_f64 v[105:106], vcc, v[99:100], v[97:98], v[99:100]
	v_fma_f64 v[107:108], -v[101:102], v[103:104], 1.0
	v_fma_f64 v[103:104], v[103:104], v[107:108], v[103:104]
	v_mul_f64 v[107:108], v[105:106], v[103:104]
	v_fma_f64 v[101:102], -v[101:102], v[107:108], v[105:106]
	v_div_fmas_f64 v[101:102], v[101:102], v[103:104], v[107:108]
	v_div_fixup_f64 v[103:104], v[101:102], v[97:98], v[99:100]
	v_fma_f64 v[97:98], v[99:100], v[103:104], v[97:98]
	v_div_scale_f64 v[99:100], s[6:7], v[97:98], v[97:98], 1.0
	v_div_scale_f64 v[107:108], vcc, 1.0, v[97:98], 1.0
	v_rcp_f64_e32 v[101:102], v[99:100]
	v_fma_f64 v[105:106], -v[99:100], v[101:102], 1.0
	v_fma_f64 v[101:102], v[101:102], v[105:106], v[101:102]
	v_fma_f64 v[105:106], -v[99:100], v[101:102], 1.0
	v_fma_f64 v[101:102], v[101:102], v[105:106], v[101:102]
	v_mul_f64 v[105:106], v[107:108], v[101:102]
	v_fma_f64 v[99:100], -v[99:100], v[105:106], v[107:108]
	v_div_fmas_f64 v[99:100], v[99:100], v[101:102], v[105:106]
	v_div_fixup_f64 v[101:102], v[99:100], v[97:98], 1.0
	v_mul_f64 v[103:104], v[103:104], -v[101:102]
.LBB111_367:
	s_or_b64 exec, exec, s[2:3]
	ds_write2_b64 v127, v[101:102], v[103:104] offset1:1
.LBB111_368:
	s_or_b64 exec, exec, s[4:5]
	s_waitcnt lgkmcnt(0)
	s_barrier
	ds_read2_b64 v[69:72], v127 offset1:1
	v_cmp_lt_u32_e32 vcc, 40, v0
	s_waitcnt lgkmcnt(0)
	buffer_store_dword v69, off, s[20:23], 0 offset:1760 ; 4-byte Folded Spill
	s_nop 0
	buffer_store_dword v70, off, s[20:23], 0 offset:1764 ; 4-byte Folded Spill
	buffer_store_dword v71, off, s[20:23], 0 offset:1768 ; 4-byte Folded Spill
	;; [unrolled: 1-line block ×3, first 2 shown]
	s_and_saveexec_b64 s[2:3], vcc
	s_cbranch_execz .LBB111_370
; %bb.369:
	buffer_load_dword v69, off, s[20:23], 0 offset:1760 ; 4-byte Folded Reload
	buffer_load_dword v70, off, s[20:23], 0 offset:1764 ; 4-byte Folded Reload
	;; [unrolled: 1-line block ×8, first 2 shown]
	ds_read2_b64 v[99:102], v125 offset0:82 offset1:83
	buffer_load_dword v53, off, s[20:23], 0 offset:48 ; 4-byte Folded Reload
	buffer_load_dword v54, off, s[20:23], 0 offset:52 ; 4-byte Folded Reload
	;; [unrolled: 1-line block ×4, first 2 shown]
	s_waitcnt vmcnt(4)
	v_mul_f64 v[97:98], v[69:70], v[59:60]
	v_mul_f64 v[59:60], v[71:72], v[59:60]
	v_fma_f64 v[97:98], v[71:72], v[57:58], v[97:98]
	v_fma_f64 v[57:58], v[69:70], v[57:58], -v[59:60]
	s_waitcnt lgkmcnt(0)
	v_mul_f64 v[59:60], v[101:102], v[97:98]
	v_fma_f64 v[59:60], v[99:100], v[57:58], -v[59:60]
	v_mul_f64 v[99:100], v[99:100], v[97:98]
	s_waitcnt vmcnt(2)
	v_add_f64 v[53:54], v[53:54], -v[59:60]
	v_fma_f64 v[99:100], v[101:102], v[57:58], v[99:100]
	s_waitcnt vmcnt(0)
	v_add_f64 v[55:56], v[55:56], -v[99:100]
	buffer_store_dword v53, off, s[20:23], 0 offset:48 ; 4-byte Folded Spill
	s_nop 0
	buffer_store_dword v54, off, s[20:23], 0 offset:52 ; 4-byte Folded Spill
	buffer_store_dword v55, off, s[20:23], 0 offset:56 ; 4-byte Folded Spill
	;; [unrolled: 1-line block ×3, first 2 shown]
	ds_read2_b64 v[99:102], v125 offset0:84 offset1:85
	buffer_load_dword v49, off, s[20:23], 0 offset:32 ; 4-byte Folded Reload
	buffer_load_dword v50, off, s[20:23], 0 offset:36 ; 4-byte Folded Reload
	;; [unrolled: 1-line block ×4, first 2 shown]
	s_waitcnt lgkmcnt(0)
	v_mul_f64 v[59:60], v[101:102], v[97:98]
	v_fma_f64 v[59:60], v[99:100], v[57:58], -v[59:60]
	v_mul_f64 v[99:100], v[99:100], v[97:98]
	v_fma_f64 v[99:100], v[101:102], v[57:58], v[99:100]
	s_waitcnt vmcnt(2)
	v_add_f64 v[49:50], v[49:50], -v[59:60]
	s_waitcnt vmcnt(0)
	v_add_f64 v[51:52], v[51:52], -v[99:100]
	buffer_store_dword v49, off, s[20:23], 0 offset:32 ; 4-byte Folded Spill
	s_nop 0
	buffer_store_dword v50, off, s[20:23], 0 offset:36 ; 4-byte Folded Spill
	buffer_store_dword v51, off, s[20:23], 0 offset:40 ; 4-byte Folded Spill
	;; [unrolled: 1-line block ×3, first 2 shown]
	ds_read2_b64 v[99:102], v125 offset0:86 offset1:87
	buffer_load_dword v45, off, s[20:23], 0 offset:16 ; 4-byte Folded Reload
	buffer_load_dword v46, off, s[20:23], 0 offset:20 ; 4-byte Folded Reload
	;; [unrolled: 1-line block ×4, first 2 shown]
	s_waitcnt lgkmcnt(0)
	v_mul_f64 v[59:60], v[101:102], v[97:98]
	v_fma_f64 v[59:60], v[99:100], v[57:58], -v[59:60]
	v_mul_f64 v[99:100], v[99:100], v[97:98]
	v_fma_f64 v[99:100], v[101:102], v[57:58], v[99:100]
	s_waitcnt vmcnt(2)
	v_add_f64 v[45:46], v[45:46], -v[59:60]
	s_waitcnt vmcnt(0)
	v_add_f64 v[47:48], v[47:48], -v[99:100]
	buffer_store_dword v45, off, s[20:23], 0 offset:16 ; 4-byte Folded Spill
	s_nop 0
	buffer_store_dword v46, off, s[20:23], 0 offset:20 ; 4-byte Folded Spill
	buffer_store_dword v47, off, s[20:23], 0 offset:24 ; 4-byte Folded Spill
	buffer_store_dword v48, off, s[20:23], 0 offset:28 ; 4-byte Folded Spill
	ds_read2_b64 v[99:102], v125 offset0:88 offset1:89
	buffer_load_dword v41, off, s[20:23], 0 ; 4-byte Folded Reload
	buffer_load_dword v42, off, s[20:23], 0 offset:4 ; 4-byte Folded Reload
	buffer_load_dword v43, off, s[20:23], 0 offset:8 ; 4-byte Folded Reload
	;; [unrolled: 1-line block ×3, first 2 shown]
	s_waitcnt lgkmcnt(0)
	v_mul_f64 v[59:60], v[101:102], v[97:98]
	v_fma_f64 v[59:60], v[99:100], v[57:58], -v[59:60]
	v_mul_f64 v[99:100], v[99:100], v[97:98]
	v_fma_f64 v[99:100], v[101:102], v[57:58], v[99:100]
	s_waitcnt vmcnt(2)
	v_add_f64 v[41:42], v[41:42], -v[59:60]
	s_waitcnt vmcnt(0)
	v_add_f64 v[43:44], v[43:44], -v[99:100]
	buffer_store_dword v41, off, s[20:23], 0 ; 4-byte Folded Spill
	s_nop 0
	buffer_store_dword v42, off, s[20:23], 0 offset:4 ; 4-byte Folded Spill
	buffer_store_dword v43, off, s[20:23], 0 offset:8 ; 4-byte Folded Spill
	;; [unrolled: 1-line block ×3, first 2 shown]
	ds_read2_b64 v[99:102], v125 offset0:90 offset1:91
	s_waitcnt lgkmcnt(0)
	v_mul_f64 v[59:60], v[101:102], v[97:98]
	v_fma_f64 v[59:60], v[99:100], v[57:58], -v[59:60]
	v_mul_f64 v[99:100], v[99:100], v[97:98]
	v_add_f64 v[37:38], v[37:38], -v[59:60]
	v_fma_f64 v[99:100], v[101:102], v[57:58], v[99:100]
	v_add_f64 v[39:40], v[39:40], -v[99:100]
	ds_read2_b64 v[99:102], v125 offset0:92 offset1:93
	s_waitcnt lgkmcnt(0)
	v_mul_f64 v[59:60], v[101:102], v[97:98]
	v_fma_f64 v[59:60], v[99:100], v[57:58], -v[59:60]
	v_mul_f64 v[99:100], v[99:100], v[97:98]
	v_add_f64 v[33:34], v[33:34], -v[59:60]
	v_fma_f64 v[99:100], v[101:102], v[57:58], v[99:100]
	v_add_f64 v[35:36], v[35:36], -v[99:100]
	;; [unrolled: 8-line block ×10, first 2 shown]
	ds_read2_b64 v[99:102], v125 offset0:110 offset1:111
	s_waitcnt lgkmcnt(0)
	v_mul_f64 v[59:60], v[101:102], v[97:98]
	v_fma_f64 v[59:60], v[99:100], v[57:58], -v[59:60]
	v_mul_f64 v[99:100], v[99:100], v[97:98]
	v_add_f64 v[121:122], v[121:122], -v[59:60]
	v_fma_f64 v[99:100], v[101:102], v[57:58], v[99:100]
	v_mov_b32_e32 v59, v97
	v_mov_b32_e32 v60, v98
	buffer_store_dword v57, off, s[20:23], 0 offset:64 ; 4-byte Folded Spill
	s_nop 0
	buffer_store_dword v58, off, s[20:23], 0 offset:68 ; 4-byte Folded Spill
	buffer_store_dword v59, off, s[20:23], 0 offset:72 ; 4-byte Folded Spill
	;; [unrolled: 1-line block ×3, first 2 shown]
	v_add_f64 v[123:124], v[123:124], -v[99:100]
.LBB111_370:
	s_or_b64 exec, exec, s[2:3]
	v_cmp_eq_u32_e32 vcc, 41, v0
	s_waitcnt vmcnt(0)
	s_barrier
	s_and_saveexec_b64 s[4:5], vcc
	s_cbranch_execz .LBB111_377
; %bb.371:
	buffer_load_dword v53, off, s[20:23], 0 offset:48 ; 4-byte Folded Reload
	buffer_load_dword v54, off, s[20:23], 0 offset:52 ; 4-byte Folded Reload
	;; [unrolled: 1-line block ×4, first 2 shown]
	s_waitcnt vmcnt(0)
	ds_write2_b64 v127, v[53:54], v[55:56] offset1:1
	buffer_load_dword v49, off, s[20:23], 0 offset:32 ; 4-byte Folded Reload
	buffer_load_dword v50, off, s[20:23], 0 offset:36 ; 4-byte Folded Reload
	;; [unrolled: 1-line block ×4, first 2 shown]
	s_waitcnt vmcnt(0)
	ds_write2_b64 v125, v[49:50], v[51:52] offset0:84 offset1:85
	buffer_load_dword v45, off, s[20:23], 0 offset:16 ; 4-byte Folded Reload
	buffer_load_dword v46, off, s[20:23], 0 offset:20 ; 4-byte Folded Reload
	buffer_load_dword v47, off, s[20:23], 0 offset:24 ; 4-byte Folded Reload
	buffer_load_dword v48, off, s[20:23], 0 offset:28 ; 4-byte Folded Reload
	s_waitcnt vmcnt(0)
	ds_write2_b64 v125, v[45:46], v[47:48] offset0:86 offset1:87
	buffer_load_dword v41, off, s[20:23], 0 ; 4-byte Folded Reload
	buffer_load_dword v42, off, s[20:23], 0 offset:4 ; 4-byte Folded Reload
	buffer_load_dword v43, off, s[20:23], 0 offset:8 ; 4-byte Folded Reload
	;; [unrolled: 1-line block ×3, first 2 shown]
	s_waitcnt vmcnt(0)
	ds_write2_b64 v125, v[41:42], v[43:44] offset0:88 offset1:89
	ds_write2_b64 v125, v[37:38], v[39:40] offset0:90 offset1:91
	;; [unrolled: 1-line block ×12, first 2 shown]
	ds_read2_b64 v[97:100], v127 offset1:1
	s_waitcnt lgkmcnt(0)
	v_cmp_neq_f64_e32 vcc, 0, v[97:98]
	v_cmp_neq_f64_e64 s[2:3], 0, v[99:100]
	s_or_b64 s[2:3], vcc, s[2:3]
	s_and_b64 exec, exec, s[2:3]
	s_cbranch_execz .LBB111_377
; %bb.372:
	v_cmp_ngt_f64_e64 s[2:3], |v[97:98]|, |v[99:100]|
                                        ; implicit-def: $vgpr101_vgpr102
	s_and_saveexec_b64 s[6:7], s[2:3]
	s_xor_b64 s[2:3], exec, s[6:7]
                                        ; implicit-def: $vgpr103_vgpr104
	s_cbranch_execz .LBB111_374
; %bb.373:
	v_div_scale_f64 v[101:102], s[6:7], v[99:100], v[99:100], v[97:98]
	v_rcp_f64_e32 v[103:104], v[101:102]
	v_fma_f64 v[105:106], -v[101:102], v[103:104], 1.0
	v_fma_f64 v[103:104], v[103:104], v[105:106], v[103:104]
	v_div_scale_f64 v[105:106], vcc, v[97:98], v[99:100], v[97:98]
	v_fma_f64 v[107:108], -v[101:102], v[103:104], 1.0
	v_fma_f64 v[103:104], v[103:104], v[107:108], v[103:104]
	v_mul_f64 v[107:108], v[105:106], v[103:104]
	v_fma_f64 v[101:102], -v[101:102], v[107:108], v[105:106]
	v_div_fmas_f64 v[101:102], v[101:102], v[103:104], v[107:108]
	v_div_fixup_f64 v[101:102], v[101:102], v[99:100], v[97:98]
	v_fma_f64 v[97:98], v[97:98], v[101:102], v[99:100]
	v_div_scale_f64 v[99:100], s[6:7], v[97:98], v[97:98], 1.0
	v_div_scale_f64 v[107:108], vcc, 1.0, v[97:98], 1.0
	v_rcp_f64_e32 v[103:104], v[99:100]
	v_fma_f64 v[105:106], -v[99:100], v[103:104], 1.0
	v_fma_f64 v[103:104], v[103:104], v[105:106], v[103:104]
	v_fma_f64 v[105:106], -v[99:100], v[103:104], 1.0
	v_fma_f64 v[103:104], v[103:104], v[105:106], v[103:104]
	v_mul_f64 v[105:106], v[107:108], v[103:104]
	v_fma_f64 v[99:100], -v[99:100], v[105:106], v[107:108]
	v_div_fmas_f64 v[99:100], v[99:100], v[103:104], v[105:106]
	v_div_fixup_f64 v[103:104], v[99:100], v[97:98], 1.0
                                        ; implicit-def: $vgpr97_vgpr98
	v_mul_f64 v[101:102], v[101:102], v[103:104]
	v_xor_b32_e32 v104, 0x80000000, v104
.LBB111_374:
	s_andn2_saveexec_b64 s[2:3], s[2:3]
	s_cbranch_execz .LBB111_376
; %bb.375:
	v_div_scale_f64 v[101:102], s[6:7], v[97:98], v[97:98], v[99:100]
	v_rcp_f64_e32 v[103:104], v[101:102]
	v_fma_f64 v[105:106], -v[101:102], v[103:104], 1.0
	v_fma_f64 v[103:104], v[103:104], v[105:106], v[103:104]
	v_div_scale_f64 v[105:106], vcc, v[99:100], v[97:98], v[99:100]
	v_fma_f64 v[107:108], -v[101:102], v[103:104], 1.0
	v_fma_f64 v[103:104], v[103:104], v[107:108], v[103:104]
	v_mul_f64 v[107:108], v[105:106], v[103:104]
	v_fma_f64 v[101:102], -v[101:102], v[107:108], v[105:106]
	v_div_fmas_f64 v[101:102], v[101:102], v[103:104], v[107:108]
	v_div_fixup_f64 v[103:104], v[101:102], v[97:98], v[99:100]
	v_fma_f64 v[97:98], v[99:100], v[103:104], v[97:98]
	v_div_scale_f64 v[99:100], s[6:7], v[97:98], v[97:98], 1.0
	v_div_scale_f64 v[107:108], vcc, 1.0, v[97:98], 1.0
	v_rcp_f64_e32 v[101:102], v[99:100]
	v_fma_f64 v[105:106], -v[99:100], v[101:102], 1.0
	v_fma_f64 v[101:102], v[101:102], v[105:106], v[101:102]
	v_fma_f64 v[105:106], -v[99:100], v[101:102], 1.0
	v_fma_f64 v[101:102], v[101:102], v[105:106], v[101:102]
	v_mul_f64 v[105:106], v[107:108], v[101:102]
	v_fma_f64 v[99:100], -v[99:100], v[105:106], v[107:108]
	v_div_fmas_f64 v[99:100], v[99:100], v[101:102], v[105:106]
	v_div_fixup_f64 v[101:102], v[99:100], v[97:98], 1.0
	v_mul_f64 v[103:104], v[103:104], -v[101:102]
.LBB111_376:
	s_or_b64 exec, exec, s[2:3]
	ds_write2_b64 v127, v[101:102], v[103:104] offset1:1
.LBB111_377:
	s_or_b64 exec, exec, s[4:5]
	s_waitcnt lgkmcnt(0)
	s_barrier
	ds_read2_b64 v[69:72], v127 offset1:1
	v_cmp_lt_u32_e32 vcc, 41, v0
	s_waitcnt lgkmcnt(0)
	buffer_store_dword v69, off, s[20:23], 0 offset:1776 ; 4-byte Folded Spill
	s_nop 0
	buffer_store_dword v70, off, s[20:23], 0 offset:1780 ; 4-byte Folded Spill
	buffer_store_dword v71, off, s[20:23], 0 offset:1784 ; 4-byte Folded Spill
	;; [unrolled: 1-line block ×3, first 2 shown]
	s_and_saveexec_b64 s[2:3], vcc
	s_cbranch_execz .LBB111_379
; %bb.378:
	buffer_load_dword v69, off, s[20:23], 0 offset:1776 ; 4-byte Folded Reload
	buffer_load_dword v70, off, s[20:23], 0 offset:1780 ; 4-byte Folded Reload
	;; [unrolled: 1-line block ×8, first 2 shown]
	ds_read2_b64 v[99:102], v125 offset0:84 offset1:85
	buffer_load_dword v49, off, s[20:23], 0 offset:32 ; 4-byte Folded Reload
	buffer_load_dword v50, off, s[20:23], 0 offset:36 ; 4-byte Folded Reload
	;; [unrolled: 1-line block ×4, first 2 shown]
	s_waitcnt vmcnt(4)
	v_mul_f64 v[97:98], v[69:70], v[55:56]
	v_mul_f64 v[55:56], v[71:72], v[55:56]
	v_fma_f64 v[97:98], v[71:72], v[53:54], v[97:98]
	v_fma_f64 v[53:54], v[69:70], v[53:54], -v[55:56]
	s_waitcnt lgkmcnt(0)
	v_mul_f64 v[55:56], v[101:102], v[97:98]
	v_fma_f64 v[55:56], v[99:100], v[53:54], -v[55:56]
	v_mul_f64 v[99:100], v[99:100], v[97:98]
	s_waitcnt vmcnt(2)
	v_add_f64 v[49:50], v[49:50], -v[55:56]
	v_fma_f64 v[99:100], v[101:102], v[53:54], v[99:100]
	s_waitcnt vmcnt(0)
	v_add_f64 v[51:52], v[51:52], -v[99:100]
	buffer_store_dword v49, off, s[20:23], 0 offset:32 ; 4-byte Folded Spill
	s_nop 0
	buffer_store_dword v50, off, s[20:23], 0 offset:36 ; 4-byte Folded Spill
	buffer_store_dword v51, off, s[20:23], 0 offset:40 ; 4-byte Folded Spill
	;; [unrolled: 1-line block ×3, first 2 shown]
	ds_read2_b64 v[99:102], v125 offset0:86 offset1:87
	buffer_load_dword v45, off, s[20:23], 0 offset:16 ; 4-byte Folded Reload
	buffer_load_dword v46, off, s[20:23], 0 offset:20 ; 4-byte Folded Reload
	;; [unrolled: 1-line block ×4, first 2 shown]
	s_waitcnt lgkmcnt(0)
	v_mul_f64 v[55:56], v[101:102], v[97:98]
	v_fma_f64 v[55:56], v[99:100], v[53:54], -v[55:56]
	v_mul_f64 v[99:100], v[99:100], v[97:98]
	v_fma_f64 v[99:100], v[101:102], v[53:54], v[99:100]
	s_waitcnt vmcnt(2)
	v_add_f64 v[45:46], v[45:46], -v[55:56]
	s_waitcnt vmcnt(0)
	v_add_f64 v[47:48], v[47:48], -v[99:100]
	buffer_store_dword v45, off, s[20:23], 0 offset:16 ; 4-byte Folded Spill
	s_nop 0
	buffer_store_dword v46, off, s[20:23], 0 offset:20 ; 4-byte Folded Spill
	buffer_store_dword v47, off, s[20:23], 0 offset:24 ; 4-byte Folded Spill
	;; [unrolled: 1-line block ×3, first 2 shown]
	ds_read2_b64 v[99:102], v125 offset0:88 offset1:89
	buffer_load_dword v41, off, s[20:23], 0 ; 4-byte Folded Reload
	buffer_load_dword v42, off, s[20:23], 0 offset:4 ; 4-byte Folded Reload
	buffer_load_dword v43, off, s[20:23], 0 offset:8 ; 4-byte Folded Reload
	;; [unrolled: 1-line block ×3, first 2 shown]
	s_waitcnt lgkmcnt(0)
	v_mul_f64 v[55:56], v[101:102], v[97:98]
	v_fma_f64 v[55:56], v[99:100], v[53:54], -v[55:56]
	v_mul_f64 v[99:100], v[99:100], v[97:98]
	v_fma_f64 v[99:100], v[101:102], v[53:54], v[99:100]
	s_waitcnt vmcnt(2)
	v_add_f64 v[41:42], v[41:42], -v[55:56]
	s_waitcnt vmcnt(0)
	v_add_f64 v[43:44], v[43:44], -v[99:100]
	buffer_store_dword v41, off, s[20:23], 0 ; 4-byte Folded Spill
	s_nop 0
	buffer_store_dword v42, off, s[20:23], 0 offset:4 ; 4-byte Folded Spill
	buffer_store_dword v43, off, s[20:23], 0 offset:8 ; 4-byte Folded Spill
	;; [unrolled: 1-line block ×3, first 2 shown]
	ds_read2_b64 v[99:102], v125 offset0:90 offset1:91
	s_waitcnt lgkmcnt(0)
	v_mul_f64 v[55:56], v[101:102], v[97:98]
	v_fma_f64 v[55:56], v[99:100], v[53:54], -v[55:56]
	v_mul_f64 v[99:100], v[99:100], v[97:98]
	v_add_f64 v[37:38], v[37:38], -v[55:56]
	v_fma_f64 v[99:100], v[101:102], v[53:54], v[99:100]
	v_add_f64 v[39:40], v[39:40], -v[99:100]
	ds_read2_b64 v[99:102], v125 offset0:92 offset1:93
	s_waitcnt lgkmcnt(0)
	v_mul_f64 v[55:56], v[101:102], v[97:98]
	v_fma_f64 v[55:56], v[99:100], v[53:54], -v[55:56]
	v_mul_f64 v[99:100], v[99:100], v[97:98]
	v_add_f64 v[33:34], v[33:34], -v[55:56]
	v_fma_f64 v[99:100], v[101:102], v[53:54], v[99:100]
	v_add_f64 v[35:36], v[35:36], -v[99:100]
	;; [unrolled: 8-line block ×10, first 2 shown]
	ds_read2_b64 v[99:102], v125 offset0:110 offset1:111
	s_waitcnt lgkmcnt(0)
	v_mul_f64 v[55:56], v[101:102], v[97:98]
	v_fma_f64 v[55:56], v[99:100], v[53:54], -v[55:56]
	v_mul_f64 v[99:100], v[99:100], v[97:98]
	v_add_f64 v[121:122], v[121:122], -v[55:56]
	v_fma_f64 v[99:100], v[101:102], v[53:54], v[99:100]
	v_mov_b32_e32 v55, v97
	v_mov_b32_e32 v56, v98
	buffer_store_dword v53, off, s[20:23], 0 offset:48 ; 4-byte Folded Spill
	s_nop 0
	buffer_store_dword v54, off, s[20:23], 0 offset:52 ; 4-byte Folded Spill
	buffer_store_dword v55, off, s[20:23], 0 offset:56 ; 4-byte Folded Spill
	;; [unrolled: 1-line block ×3, first 2 shown]
	v_add_f64 v[123:124], v[123:124], -v[99:100]
.LBB111_379:
	s_or_b64 exec, exec, s[2:3]
	v_cmp_eq_u32_e32 vcc, 42, v0
	s_waitcnt vmcnt(0)
	s_barrier
	s_and_saveexec_b64 s[4:5], vcc
	s_cbranch_execz .LBB111_386
; %bb.380:
	buffer_load_dword v49, off, s[20:23], 0 offset:32 ; 4-byte Folded Reload
	buffer_load_dword v50, off, s[20:23], 0 offset:36 ; 4-byte Folded Reload
	;; [unrolled: 1-line block ×4, first 2 shown]
	s_waitcnt vmcnt(0)
	ds_write2_b64 v127, v[49:50], v[51:52] offset1:1
	buffer_load_dword v45, off, s[20:23], 0 offset:16 ; 4-byte Folded Reload
	buffer_load_dword v46, off, s[20:23], 0 offset:20 ; 4-byte Folded Reload
	;; [unrolled: 1-line block ×4, first 2 shown]
	s_waitcnt vmcnt(0)
	ds_write2_b64 v125, v[45:46], v[47:48] offset0:86 offset1:87
	buffer_load_dword v41, off, s[20:23], 0 ; 4-byte Folded Reload
	buffer_load_dword v42, off, s[20:23], 0 offset:4 ; 4-byte Folded Reload
	buffer_load_dword v43, off, s[20:23], 0 offset:8 ; 4-byte Folded Reload
	;; [unrolled: 1-line block ×3, first 2 shown]
	s_waitcnt vmcnt(0)
	ds_write2_b64 v125, v[41:42], v[43:44] offset0:88 offset1:89
	ds_write2_b64 v125, v[37:38], v[39:40] offset0:90 offset1:91
	;; [unrolled: 1-line block ×12, first 2 shown]
	ds_read2_b64 v[97:100], v127 offset1:1
	s_waitcnt lgkmcnt(0)
	v_cmp_neq_f64_e32 vcc, 0, v[97:98]
	v_cmp_neq_f64_e64 s[2:3], 0, v[99:100]
	s_or_b64 s[2:3], vcc, s[2:3]
	s_and_b64 exec, exec, s[2:3]
	s_cbranch_execz .LBB111_386
; %bb.381:
	v_cmp_ngt_f64_e64 s[2:3], |v[97:98]|, |v[99:100]|
                                        ; implicit-def: $vgpr101_vgpr102
	s_and_saveexec_b64 s[6:7], s[2:3]
	s_xor_b64 s[2:3], exec, s[6:7]
                                        ; implicit-def: $vgpr103_vgpr104
	s_cbranch_execz .LBB111_383
; %bb.382:
	v_div_scale_f64 v[101:102], s[6:7], v[99:100], v[99:100], v[97:98]
	v_rcp_f64_e32 v[103:104], v[101:102]
	v_fma_f64 v[105:106], -v[101:102], v[103:104], 1.0
	v_fma_f64 v[103:104], v[103:104], v[105:106], v[103:104]
	v_div_scale_f64 v[105:106], vcc, v[97:98], v[99:100], v[97:98]
	v_fma_f64 v[107:108], -v[101:102], v[103:104], 1.0
	v_fma_f64 v[103:104], v[103:104], v[107:108], v[103:104]
	v_mul_f64 v[107:108], v[105:106], v[103:104]
	v_fma_f64 v[101:102], -v[101:102], v[107:108], v[105:106]
	v_div_fmas_f64 v[101:102], v[101:102], v[103:104], v[107:108]
	v_div_fixup_f64 v[101:102], v[101:102], v[99:100], v[97:98]
	v_fma_f64 v[97:98], v[97:98], v[101:102], v[99:100]
	v_div_scale_f64 v[99:100], s[6:7], v[97:98], v[97:98], 1.0
	v_div_scale_f64 v[107:108], vcc, 1.0, v[97:98], 1.0
	v_rcp_f64_e32 v[103:104], v[99:100]
	v_fma_f64 v[105:106], -v[99:100], v[103:104], 1.0
	v_fma_f64 v[103:104], v[103:104], v[105:106], v[103:104]
	v_fma_f64 v[105:106], -v[99:100], v[103:104], 1.0
	v_fma_f64 v[103:104], v[103:104], v[105:106], v[103:104]
	v_mul_f64 v[105:106], v[107:108], v[103:104]
	v_fma_f64 v[99:100], -v[99:100], v[105:106], v[107:108]
	v_div_fmas_f64 v[99:100], v[99:100], v[103:104], v[105:106]
	v_div_fixup_f64 v[103:104], v[99:100], v[97:98], 1.0
                                        ; implicit-def: $vgpr97_vgpr98
	v_mul_f64 v[101:102], v[101:102], v[103:104]
	v_xor_b32_e32 v104, 0x80000000, v104
.LBB111_383:
	s_andn2_saveexec_b64 s[2:3], s[2:3]
	s_cbranch_execz .LBB111_385
; %bb.384:
	v_div_scale_f64 v[101:102], s[6:7], v[97:98], v[97:98], v[99:100]
	v_rcp_f64_e32 v[103:104], v[101:102]
	v_fma_f64 v[105:106], -v[101:102], v[103:104], 1.0
	v_fma_f64 v[103:104], v[103:104], v[105:106], v[103:104]
	v_div_scale_f64 v[105:106], vcc, v[99:100], v[97:98], v[99:100]
	v_fma_f64 v[107:108], -v[101:102], v[103:104], 1.0
	v_fma_f64 v[103:104], v[103:104], v[107:108], v[103:104]
	v_mul_f64 v[107:108], v[105:106], v[103:104]
	v_fma_f64 v[101:102], -v[101:102], v[107:108], v[105:106]
	v_div_fmas_f64 v[101:102], v[101:102], v[103:104], v[107:108]
	v_div_fixup_f64 v[103:104], v[101:102], v[97:98], v[99:100]
	v_fma_f64 v[97:98], v[99:100], v[103:104], v[97:98]
	v_div_scale_f64 v[99:100], s[6:7], v[97:98], v[97:98], 1.0
	v_div_scale_f64 v[107:108], vcc, 1.0, v[97:98], 1.0
	v_rcp_f64_e32 v[101:102], v[99:100]
	v_fma_f64 v[105:106], -v[99:100], v[101:102], 1.0
	v_fma_f64 v[101:102], v[101:102], v[105:106], v[101:102]
	v_fma_f64 v[105:106], -v[99:100], v[101:102], 1.0
	v_fma_f64 v[101:102], v[101:102], v[105:106], v[101:102]
	v_mul_f64 v[105:106], v[107:108], v[101:102]
	v_fma_f64 v[99:100], -v[99:100], v[105:106], v[107:108]
	v_div_fmas_f64 v[99:100], v[99:100], v[101:102], v[105:106]
	v_div_fixup_f64 v[101:102], v[99:100], v[97:98], 1.0
	v_mul_f64 v[103:104], v[103:104], -v[101:102]
.LBB111_385:
	s_or_b64 exec, exec, s[2:3]
	ds_write2_b64 v127, v[101:102], v[103:104] offset1:1
.LBB111_386:
	s_or_b64 exec, exec, s[4:5]
	s_waitcnt lgkmcnt(0)
	s_barrier
	ds_read2_b64 v[69:72], v127 offset1:1
	v_cmp_lt_u32_e32 vcc, 42, v0
	s_and_saveexec_b64 s[2:3], vcc
	s_cbranch_execz .LBB111_388
; %bb.387:
	buffer_load_dword v49, off, s[20:23], 0 offset:32 ; 4-byte Folded Reload
	buffer_load_dword v50, off, s[20:23], 0 offset:36 ; 4-byte Folded Reload
	;; [unrolled: 1-line block ×4, first 2 shown]
	ds_read2_b64 v[99:102], v125 offset0:86 offset1:87
	buffer_load_dword v45, off, s[20:23], 0 offset:16 ; 4-byte Folded Reload
	buffer_load_dword v46, off, s[20:23], 0 offset:20 ; 4-byte Folded Reload
	;; [unrolled: 1-line block ×4, first 2 shown]
	s_waitcnt vmcnt(4) lgkmcnt(1)
	v_mul_f64 v[97:98], v[69:70], v[51:52]
	v_mul_f64 v[51:52], v[71:72], v[51:52]
	v_fma_f64 v[97:98], v[71:72], v[49:50], v[97:98]
	v_fma_f64 v[49:50], v[69:70], v[49:50], -v[51:52]
	s_waitcnt lgkmcnt(0)
	v_mul_f64 v[51:52], v[101:102], v[97:98]
	v_fma_f64 v[51:52], v[99:100], v[49:50], -v[51:52]
	v_mul_f64 v[99:100], v[99:100], v[97:98]
	s_waitcnt vmcnt(2)
	v_add_f64 v[45:46], v[45:46], -v[51:52]
	v_fma_f64 v[99:100], v[101:102], v[49:50], v[99:100]
	s_waitcnt vmcnt(0)
	v_add_f64 v[47:48], v[47:48], -v[99:100]
	buffer_store_dword v45, off, s[20:23], 0 offset:16 ; 4-byte Folded Spill
	s_nop 0
	buffer_store_dword v46, off, s[20:23], 0 offset:20 ; 4-byte Folded Spill
	buffer_store_dword v47, off, s[20:23], 0 offset:24 ; 4-byte Folded Spill
	;; [unrolled: 1-line block ×3, first 2 shown]
	ds_read2_b64 v[99:102], v125 offset0:88 offset1:89
	buffer_load_dword v41, off, s[20:23], 0 ; 4-byte Folded Reload
	buffer_load_dword v42, off, s[20:23], 0 offset:4 ; 4-byte Folded Reload
	buffer_load_dword v43, off, s[20:23], 0 offset:8 ; 4-byte Folded Reload
	;; [unrolled: 1-line block ×3, first 2 shown]
	s_waitcnt lgkmcnt(0)
	v_mul_f64 v[51:52], v[101:102], v[97:98]
	v_fma_f64 v[51:52], v[99:100], v[49:50], -v[51:52]
	v_mul_f64 v[99:100], v[99:100], v[97:98]
	v_fma_f64 v[99:100], v[101:102], v[49:50], v[99:100]
	s_waitcnt vmcnt(2)
	v_add_f64 v[41:42], v[41:42], -v[51:52]
	s_waitcnt vmcnt(0)
	v_add_f64 v[43:44], v[43:44], -v[99:100]
	buffer_store_dword v41, off, s[20:23], 0 ; 4-byte Folded Spill
	s_nop 0
	buffer_store_dword v42, off, s[20:23], 0 offset:4 ; 4-byte Folded Spill
	buffer_store_dword v43, off, s[20:23], 0 offset:8 ; 4-byte Folded Spill
	;; [unrolled: 1-line block ×3, first 2 shown]
	ds_read2_b64 v[99:102], v125 offset0:90 offset1:91
	s_waitcnt lgkmcnt(0)
	v_mul_f64 v[51:52], v[101:102], v[97:98]
	v_fma_f64 v[51:52], v[99:100], v[49:50], -v[51:52]
	v_mul_f64 v[99:100], v[99:100], v[97:98]
	v_add_f64 v[37:38], v[37:38], -v[51:52]
	v_fma_f64 v[99:100], v[101:102], v[49:50], v[99:100]
	v_add_f64 v[39:40], v[39:40], -v[99:100]
	ds_read2_b64 v[99:102], v125 offset0:92 offset1:93
	s_waitcnt lgkmcnt(0)
	v_mul_f64 v[51:52], v[101:102], v[97:98]
	v_fma_f64 v[51:52], v[99:100], v[49:50], -v[51:52]
	v_mul_f64 v[99:100], v[99:100], v[97:98]
	v_add_f64 v[33:34], v[33:34], -v[51:52]
	v_fma_f64 v[99:100], v[101:102], v[49:50], v[99:100]
	v_add_f64 v[35:36], v[35:36], -v[99:100]
	;; [unrolled: 8-line block ×10, first 2 shown]
	ds_read2_b64 v[99:102], v125 offset0:110 offset1:111
	s_waitcnt lgkmcnt(0)
	v_mul_f64 v[51:52], v[101:102], v[97:98]
	v_fma_f64 v[51:52], v[99:100], v[49:50], -v[51:52]
	v_mul_f64 v[99:100], v[99:100], v[97:98]
	v_add_f64 v[121:122], v[121:122], -v[51:52]
	v_fma_f64 v[99:100], v[101:102], v[49:50], v[99:100]
	v_mov_b32_e32 v51, v97
	v_mov_b32_e32 v52, v98
	buffer_store_dword v49, off, s[20:23], 0 offset:32 ; 4-byte Folded Spill
	s_nop 0
	buffer_store_dword v50, off, s[20:23], 0 offset:36 ; 4-byte Folded Spill
	buffer_store_dword v51, off, s[20:23], 0 offset:40 ; 4-byte Folded Spill
	;; [unrolled: 1-line block ×3, first 2 shown]
	v_add_f64 v[123:124], v[123:124], -v[99:100]
.LBB111_388:
	s_or_b64 exec, exec, s[2:3]
	v_cmp_eq_u32_e32 vcc, 43, v0
	s_waitcnt vmcnt(0) lgkmcnt(0)
	s_barrier
	s_and_saveexec_b64 s[4:5], vcc
	s_cbranch_execz .LBB111_395
; %bb.389:
	buffer_load_dword v45, off, s[20:23], 0 offset:16 ; 4-byte Folded Reload
	buffer_load_dword v46, off, s[20:23], 0 offset:20 ; 4-byte Folded Reload
	;; [unrolled: 1-line block ×4, first 2 shown]
	s_waitcnt vmcnt(0)
	ds_write2_b64 v127, v[45:46], v[47:48] offset1:1
	buffer_load_dword v41, off, s[20:23], 0 ; 4-byte Folded Reload
	buffer_load_dword v42, off, s[20:23], 0 offset:4 ; 4-byte Folded Reload
	buffer_load_dword v43, off, s[20:23], 0 offset:8 ; 4-byte Folded Reload
	;; [unrolled: 1-line block ×3, first 2 shown]
	s_waitcnt vmcnt(0)
	ds_write2_b64 v125, v[41:42], v[43:44] offset0:88 offset1:89
	ds_write2_b64 v125, v[37:38], v[39:40] offset0:90 offset1:91
	;; [unrolled: 1-line block ×12, first 2 shown]
	ds_read2_b64 v[97:100], v127 offset1:1
	s_waitcnt lgkmcnt(0)
	v_cmp_neq_f64_e32 vcc, 0, v[97:98]
	v_cmp_neq_f64_e64 s[2:3], 0, v[99:100]
	s_or_b64 s[2:3], vcc, s[2:3]
	s_and_b64 exec, exec, s[2:3]
	s_cbranch_execz .LBB111_395
; %bb.390:
	v_cmp_ngt_f64_e64 s[2:3], |v[97:98]|, |v[99:100]|
                                        ; implicit-def: $vgpr101_vgpr102
	s_and_saveexec_b64 s[6:7], s[2:3]
	s_xor_b64 s[2:3], exec, s[6:7]
                                        ; implicit-def: $vgpr103_vgpr104
	s_cbranch_execz .LBB111_392
; %bb.391:
	v_div_scale_f64 v[101:102], s[6:7], v[99:100], v[99:100], v[97:98]
	v_rcp_f64_e32 v[103:104], v[101:102]
	v_fma_f64 v[105:106], -v[101:102], v[103:104], 1.0
	v_fma_f64 v[103:104], v[103:104], v[105:106], v[103:104]
	v_div_scale_f64 v[105:106], vcc, v[97:98], v[99:100], v[97:98]
	v_fma_f64 v[107:108], -v[101:102], v[103:104], 1.0
	v_fma_f64 v[103:104], v[103:104], v[107:108], v[103:104]
	v_mul_f64 v[107:108], v[105:106], v[103:104]
	v_fma_f64 v[101:102], -v[101:102], v[107:108], v[105:106]
	v_div_fmas_f64 v[101:102], v[101:102], v[103:104], v[107:108]
	v_div_fixup_f64 v[101:102], v[101:102], v[99:100], v[97:98]
	v_fma_f64 v[97:98], v[97:98], v[101:102], v[99:100]
	v_div_scale_f64 v[99:100], s[6:7], v[97:98], v[97:98], 1.0
	v_div_scale_f64 v[107:108], vcc, 1.0, v[97:98], 1.0
	v_rcp_f64_e32 v[103:104], v[99:100]
	v_fma_f64 v[105:106], -v[99:100], v[103:104], 1.0
	v_fma_f64 v[103:104], v[103:104], v[105:106], v[103:104]
	v_fma_f64 v[105:106], -v[99:100], v[103:104], 1.0
	v_fma_f64 v[103:104], v[103:104], v[105:106], v[103:104]
	v_mul_f64 v[105:106], v[107:108], v[103:104]
	v_fma_f64 v[99:100], -v[99:100], v[105:106], v[107:108]
	v_div_fmas_f64 v[99:100], v[99:100], v[103:104], v[105:106]
	v_div_fixup_f64 v[103:104], v[99:100], v[97:98], 1.0
                                        ; implicit-def: $vgpr97_vgpr98
	v_mul_f64 v[101:102], v[101:102], v[103:104]
	v_xor_b32_e32 v104, 0x80000000, v104
.LBB111_392:
	s_andn2_saveexec_b64 s[2:3], s[2:3]
	s_cbranch_execz .LBB111_394
; %bb.393:
	v_div_scale_f64 v[101:102], s[6:7], v[97:98], v[97:98], v[99:100]
	v_rcp_f64_e32 v[103:104], v[101:102]
	v_fma_f64 v[105:106], -v[101:102], v[103:104], 1.0
	v_fma_f64 v[103:104], v[103:104], v[105:106], v[103:104]
	v_div_scale_f64 v[105:106], vcc, v[99:100], v[97:98], v[99:100]
	v_fma_f64 v[107:108], -v[101:102], v[103:104], 1.0
	v_fma_f64 v[103:104], v[103:104], v[107:108], v[103:104]
	v_mul_f64 v[107:108], v[105:106], v[103:104]
	v_fma_f64 v[101:102], -v[101:102], v[107:108], v[105:106]
	v_div_fmas_f64 v[101:102], v[101:102], v[103:104], v[107:108]
	v_div_fixup_f64 v[103:104], v[101:102], v[97:98], v[99:100]
	v_fma_f64 v[97:98], v[99:100], v[103:104], v[97:98]
	v_div_scale_f64 v[99:100], s[6:7], v[97:98], v[97:98], 1.0
	v_div_scale_f64 v[107:108], vcc, 1.0, v[97:98], 1.0
	v_rcp_f64_e32 v[101:102], v[99:100]
	v_fma_f64 v[105:106], -v[99:100], v[101:102], 1.0
	v_fma_f64 v[101:102], v[101:102], v[105:106], v[101:102]
	v_fma_f64 v[105:106], -v[99:100], v[101:102], 1.0
	v_fma_f64 v[101:102], v[101:102], v[105:106], v[101:102]
	v_mul_f64 v[105:106], v[107:108], v[101:102]
	v_fma_f64 v[99:100], -v[99:100], v[105:106], v[107:108]
	v_div_fmas_f64 v[99:100], v[99:100], v[101:102], v[105:106]
	v_div_fixup_f64 v[101:102], v[99:100], v[97:98], 1.0
	v_mul_f64 v[103:104], v[103:104], -v[101:102]
.LBB111_394:
	s_or_b64 exec, exec, s[2:3]
	ds_write2_b64 v127, v[101:102], v[103:104] offset1:1
.LBB111_395:
	s_or_b64 exec, exec, s[4:5]
	s_waitcnt lgkmcnt(0)
	s_barrier
	ds_read2_b64 v[73:76], v127 offset1:1
	v_cmp_lt_u32_e32 vcc, 43, v0
	s_and_saveexec_b64 s[2:3], vcc
	s_cbranch_execz .LBB111_397
; %bb.396:
	buffer_load_dword v45, off, s[20:23], 0 offset:16 ; 4-byte Folded Reload
	buffer_load_dword v46, off, s[20:23], 0 offset:20 ; 4-byte Folded Reload
	buffer_load_dword v47, off, s[20:23], 0 offset:24 ; 4-byte Folded Reload
	buffer_load_dword v48, off, s[20:23], 0 offset:28 ; 4-byte Folded Reload
	ds_read2_b64 v[99:102], v125 offset0:88 offset1:89
	buffer_load_dword v41, off, s[20:23], 0 ; 4-byte Folded Reload
	buffer_load_dword v42, off, s[20:23], 0 offset:4 ; 4-byte Folded Reload
	buffer_load_dword v43, off, s[20:23], 0 offset:8 ; 4-byte Folded Reload
	;; [unrolled: 1-line block ×3, first 2 shown]
	s_waitcnt vmcnt(4) lgkmcnt(1)
	v_mul_f64 v[97:98], v[73:74], v[47:48]
	v_mul_f64 v[47:48], v[75:76], v[47:48]
	v_fma_f64 v[97:98], v[75:76], v[45:46], v[97:98]
	v_fma_f64 v[45:46], v[73:74], v[45:46], -v[47:48]
	s_waitcnt lgkmcnt(0)
	v_mul_f64 v[47:48], v[101:102], v[97:98]
	v_fma_f64 v[47:48], v[99:100], v[45:46], -v[47:48]
	v_mul_f64 v[99:100], v[99:100], v[97:98]
	s_waitcnt vmcnt(2)
	v_add_f64 v[41:42], v[41:42], -v[47:48]
	v_fma_f64 v[99:100], v[101:102], v[45:46], v[99:100]
	s_waitcnt vmcnt(0)
	v_add_f64 v[43:44], v[43:44], -v[99:100]
	buffer_store_dword v41, off, s[20:23], 0 ; 4-byte Folded Spill
	s_nop 0
	buffer_store_dword v42, off, s[20:23], 0 offset:4 ; 4-byte Folded Spill
	buffer_store_dword v43, off, s[20:23], 0 offset:8 ; 4-byte Folded Spill
	;; [unrolled: 1-line block ×3, first 2 shown]
	ds_read2_b64 v[99:102], v125 offset0:90 offset1:91
	s_waitcnt lgkmcnt(0)
	v_mul_f64 v[47:48], v[101:102], v[97:98]
	v_fma_f64 v[47:48], v[99:100], v[45:46], -v[47:48]
	v_mul_f64 v[99:100], v[99:100], v[97:98]
	v_add_f64 v[37:38], v[37:38], -v[47:48]
	v_fma_f64 v[99:100], v[101:102], v[45:46], v[99:100]
	v_add_f64 v[39:40], v[39:40], -v[99:100]
	ds_read2_b64 v[99:102], v125 offset0:92 offset1:93
	s_waitcnt lgkmcnt(0)
	v_mul_f64 v[47:48], v[101:102], v[97:98]
	v_fma_f64 v[47:48], v[99:100], v[45:46], -v[47:48]
	v_mul_f64 v[99:100], v[99:100], v[97:98]
	v_add_f64 v[33:34], v[33:34], -v[47:48]
	v_fma_f64 v[99:100], v[101:102], v[45:46], v[99:100]
	v_add_f64 v[35:36], v[35:36], -v[99:100]
	;; [unrolled: 8-line block ×10, first 2 shown]
	ds_read2_b64 v[99:102], v125 offset0:110 offset1:111
	s_waitcnt lgkmcnt(0)
	v_mul_f64 v[47:48], v[101:102], v[97:98]
	v_fma_f64 v[47:48], v[99:100], v[45:46], -v[47:48]
	v_mul_f64 v[99:100], v[99:100], v[97:98]
	v_add_f64 v[121:122], v[121:122], -v[47:48]
	v_fma_f64 v[99:100], v[101:102], v[45:46], v[99:100]
	v_mov_b32_e32 v47, v97
	v_mov_b32_e32 v48, v98
	buffer_store_dword v45, off, s[20:23], 0 offset:16 ; 4-byte Folded Spill
	s_nop 0
	buffer_store_dword v46, off, s[20:23], 0 offset:20 ; 4-byte Folded Spill
	buffer_store_dword v47, off, s[20:23], 0 offset:24 ; 4-byte Folded Spill
	;; [unrolled: 1-line block ×3, first 2 shown]
	v_add_f64 v[123:124], v[123:124], -v[99:100]
.LBB111_397:
	s_or_b64 exec, exec, s[2:3]
	v_cmp_eq_u32_e32 vcc, 44, v0
	s_waitcnt vmcnt(0) lgkmcnt(0)
	s_barrier
	s_and_saveexec_b64 s[4:5], vcc
	s_cbranch_execz .LBB111_404
; %bb.398:
	buffer_load_dword v41, off, s[20:23], 0 ; 4-byte Folded Reload
	buffer_load_dword v42, off, s[20:23], 0 offset:4 ; 4-byte Folded Reload
	buffer_load_dword v43, off, s[20:23], 0 offset:8 ; 4-byte Folded Reload
	;; [unrolled: 1-line block ×3, first 2 shown]
	s_waitcnt vmcnt(0)
	ds_write2_b64 v127, v[41:42], v[43:44] offset1:1
	ds_write2_b64 v125, v[37:38], v[39:40] offset0:90 offset1:91
	ds_write2_b64 v125, v[33:34], v[35:36] offset0:92 offset1:93
	;; [unrolled: 1-line block ×11, first 2 shown]
	ds_read2_b64 v[97:100], v127 offset1:1
	s_waitcnt lgkmcnt(0)
	v_cmp_neq_f64_e32 vcc, 0, v[97:98]
	v_cmp_neq_f64_e64 s[2:3], 0, v[99:100]
	s_or_b64 s[2:3], vcc, s[2:3]
	s_and_b64 exec, exec, s[2:3]
	s_cbranch_execz .LBB111_404
; %bb.399:
	v_cmp_ngt_f64_e64 s[2:3], |v[97:98]|, |v[99:100]|
                                        ; implicit-def: $vgpr101_vgpr102
	s_and_saveexec_b64 s[6:7], s[2:3]
	s_xor_b64 s[2:3], exec, s[6:7]
                                        ; implicit-def: $vgpr103_vgpr104
	s_cbranch_execz .LBB111_401
; %bb.400:
	v_div_scale_f64 v[101:102], s[6:7], v[99:100], v[99:100], v[97:98]
	v_rcp_f64_e32 v[103:104], v[101:102]
	v_fma_f64 v[105:106], -v[101:102], v[103:104], 1.0
	v_fma_f64 v[103:104], v[103:104], v[105:106], v[103:104]
	v_div_scale_f64 v[105:106], vcc, v[97:98], v[99:100], v[97:98]
	v_fma_f64 v[107:108], -v[101:102], v[103:104], 1.0
	v_fma_f64 v[103:104], v[103:104], v[107:108], v[103:104]
	v_mul_f64 v[107:108], v[105:106], v[103:104]
	v_fma_f64 v[101:102], -v[101:102], v[107:108], v[105:106]
	v_div_fmas_f64 v[101:102], v[101:102], v[103:104], v[107:108]
	v_div_fixup_f64 v[101:102], v[101:102], v[99:100], v[97:98]
	v_fma_f64 v[97:98], v[97:98], v[101:102], v[99:100]
	v_div_scale_f64 v[99:100], s[6:7], v[97:98], v[97:98], 1.0
	v_div_scale_f64 v[107:108], vcc, 1.0, v[97:98], 1.0
	v_rcp_f64_e32 v[103:104], v[99:100]
	v_fma_f64 v[105:106], -v[99:100], v[103:104], 1.0
	v_fma_f64 v[103:104], v[103:104], v[105:106], v[103:104]
	v_fma_f64 v[105:106], -v[99:100], v[103:104], 1.0
	v_fma_f64 v[103:104], v[103:104], v[105:106], v[103:104]
	v_mul_f64 v[105:106], v[107:108], v[103:104]
	v_fma_f64 v[99:100], -v[99:100], v[105:106], v[107:108]
	v_div_fmas_f64 v[99:100], v[99:100], v[103:104], v[105:106]
	v_div_fixup_f64 v[103:104], v[99:100], v[97:98], 1.0
                                        ; implicit-def: $vgpr97_vgpr98
	v_mul_f64 v[101:102], v[101:102], v[103:104]
	v_xor_b32_e32 v104, 0x80000000, v104
.LBB111_401:
	s_andn2_saveexec_b64 s[2:3], s[2:3]
	s_cbranch_execz .LBB111_403
; %bb.402:
	v_div_scale_f64 v[101:102], s[6:7], v[97:98], v[97:98], v[99:100]
	v_rcp_f64_e32 v[103:104], v[101:102]
	v_fma_f64 v[105:106], -v[101:102], v[103:104], 1.0
	v_fma_f64 v[103:104], v[103:104], v[105:106], v[103:104]
	v_div_scale_f64 v[105:106], vcc, v[99:100], v[97:98], v[99:100]
	v_fma_f64 v[107:108], -v[101:102], v[103:104], 1.0
	v_fma_f64 v[103:104], v[103:104], v[107:108], v[103:104]
	v_mul_f64 v[107:108], v[105:106], v[103:104]
	v_fma_f64 v[101:102], -v[101:102], v[107:108], v[105:106]
	v_div_fmas_f64 v[101:102], v[101:102], v[103:104], v[107:108]
	v_div_fixup_f64 v[103:104], v[101:102], v[97:98], v[99:100]
	v_fma_f64 v[97:98], v[99:100], v[103:104], v[97:98]
	v_div_scale_f64 v[99:100], s[6:7], v[97:98], v[97:98], 1.0
	v_div_scale_f64 v[107:108], vcc, 1.0, v[97:98], 1.0
	v_rcp_f64_e32 v[101:102], v[99:100]
	v_fma_f64 v[105:106], -v[99:100], v[101:102], 1.0
	v_fma_f64 v[101:102], v[101:102], v[105:106], v[101:102]
	v_fma_f64 v[105:106], -v[99:100], v[101:102], 1.0
	v_fma_f64 v[101:102], v[101:102], v[105:106], v[101:102]
	v_mul_f64 v[105:106], v[107:108], v[101:102]
	v_fma_f64 v[99:100], -v[99:100], v[105:106], v[107:108]
	v_div_fmas_f64 v[99:100], v[99:100], v[101:102], v[105:106]
	v_div_fixup_f64 v[101:102], v[99:100], v[97:98], 1.0
	v_mul_f64 v[103:104], v[103:104], -v[101:102]
.LBB111_403:
	s_or_b64 exec, exec, s[2:3]
	ds_write2_b64 v127, v[101:102], v[103:104] offset1:1
.LBB111_404:
	s_or_b64 exec, exec, s[4:5]
	s_waitcnt lgkmcnt(0)
	s_barrier
	ds_read2_b64 v[77:80], v127 offset1:1
	v_cmp_lt_u32_e32 vcc, 44, v0
	s_and_saveexec_b64 s[2:3], vcc
	s_cbranch_execz .LBB111_406
; %bb.405:
	buffer_load_dword v41, off, s[20:23], 0 ; 4-byte Folded Reload
	buffer_load_dword v42, off, s[20:23], 0 offset:4 ; 4-byte Folded Reload
	buffer_load_dword v43, off, s[20:23], 0 offset:8 ; 4-byte Folded Reload
	;; [unrolled: 1-line block ×3, first 2 shown]
	ds_read2_b64 v[99:102], v125 offset0:90 offset1:91
	s_waitcnt vmcnt(0) lgkmcnt(1)
	v_mul_f64 v[97:98], v[77:78], v[43:44]
	v_mul_f64 v[43:44], v[79:80], v[43:44]
	v_fma_f64 v[97:98], v[79:80], v[41:42], v[97:98]
	v_fma_f64 v[41:42], v[77:78], v[41:42], -v[43:44]
	s_waitcnt lgkmcnt(0)
	v_mul_f64 v[43:44], v[101:102], v[97:98]
	v_fma_f64 v[43:44], v[99:100], v[41:42], -v[43:44]
	v_mul_f64 v[99:100], v[99:100], v[97:98]
	v_add_f64 v[37:38], v[37:38], -v[43:44]
	v_fma_f64 v[99:100], v[101:102], v[41:42], v[99:100]
	v_add_f64 v[39:40], v[39:40], -v[99:100]
	ds_read2_b64 v[99:102], v125 offset0:92 offset1:93
	s_waitcnt lgkmcnt(0)
	v_mul_f64 v[43:44], v[101:102], v[97:98]
	v_fma_f64 v[43:44], v[99:100], v[41:42], -v[43:44]
	v_mul_f64 v[99:100], v[99:100], v[97:98]
	v_add_f64 v[33:34], v[33:34], -v[43:44]
	v_fma_f64 v[99:100], v[101:102], v[41:42], v[99:100]
	v_add_f64 v[35:36], v[35:36], -v[99:100]
	ds_read2_b64 v[99:102], v125 offset0:94 offset1:95
	;; [unrolled: 8-line block ×10, first 2 shown]
	s_waitcnt lgkmcnt(0)
	v_mul_f64 v[43:44], v[101:102], v[97:98]
	v_fma_f64 v[43:44], v[99:100], v[41:42], -v[43:44]
	v_mul_f64 v[99:100], v[99:100], v[97:98]
	v_add_f64 v[121:122], v[121:122], -v[43:44]
	v_fma_f64 v[99:100], v[101:102], v[41:42], v[99:100]
	v_mov_b32_e32 v43, v97
	v_mov_b32_e32 v44, v98
	buffer_store_dword v41, off, s[20:23], 0 ; 4-byte Folded Spill
	s_nop 0
	buffer_store_dword v42, off, s[20:23], 0 offset:4 ; 4-byte Folded Spill
	buffer_store_dword v43, off, s[20:23], 0 offset:8 ; 4-byte Folded Spill
	;; [unrolled: 1-line block ×3, first 2 shown]
	v_add_f64 v[123:124], v[123:124], -v[99:100]
.LBB111_406:
	s_or_b64 exec, exec, s[2:3]
	v_cmp_eq_u32_e32 vcc, 45, v0
	s_waitcnt vmcnt(0) lgkmcnt(0)
	s_barrier
	s_and_saveexec_b64 s[4:5], vcc
	s_cbranch_execz .LBB111_413
; %bb.407:
	ds_write2_b64 v127, v[37:38], v[39:40] offset1:1
	ds_write2_b64 v125, v[33:34], v[35:36] offset0:92 offset1:93
	ds_write2_b64 v125, v[29:30], v[31:32] offset0:94 offset1:95
	;; [unrolled: 1-line block ×10, first 2 shown]
	ds_read2_b64 v[97:100], v127 offset1:1
	s_waitcnt lgkmcnt(0)
	v_cmp_neq_f64_e32 vcc, 0, v[97:98]
	v_cmp_neq_f64_e64 s[2:3], 0, v[99:100]
	s_or_b64 s[2:3], vcc, s[2:3]
	s_and_b64 exec, exec, s[2:3]
	s_cbranch_execz .LBB111_413
; %bb.408:
	v_cmp_ngt_f64_e64 s[2:3], |v[97:98]|, |v[99:100]|
                                        ; implicit-def: $vgpr101_vgpr102
	s_and_saveexec_b64 s[6:7], s[2:3]
	s_xor_b64 s[2:3], exec, s[6:7]
                                        ; implicit-def: $vgpr103_vgpr104
	s_cbranch_execz .LBB111_410
; %bb.409:
	v_div_scale_f64 v[101:102], s[6:7], v[99:100], v[99:100], v[97:98]
	v_rcp_f64_e32 v[103:104], v[101:102]
	v_fma_f64 v[105:106], -v[101:102], v[103:104], 1.0
	v_fma_f64 v[103:104], v[103:104], v[105:106], v[103:104]
	v_div_scale_f64 v[105:106], vcc, v[97:98], v[99:100], v[97:98]
	v_fma_f64 v[107:108], -v[101:102], v[103:104], 1.0
	v_fma_f64 v[103:104], v[103:104], v[107:108], v[103:104]
	v_mul_f64 v[107:108], v[105:106], v[103:104]
	v_fma_f64 v[101:102], -v[101:102], v[107:108], v[105:106]
	v_div_fmas_f64 v[101:102], v[101:102], v[103:104], v[107:108]
	v_div_fixup_f64 v[101:102], v[101:102], v[99:100], v[97:98]
	v_fma_f64 v[97:98], v[97:98], v[101:102], v[99:100]
	v_div_scale_f64 v[99:100], s[6:7], v[97:98], v[97:98], 1.0
	v_div_scale_f64 v[107:108], vcc, 1.0, v[97:98], 1.0
	v_rcp_f64_e32 v[103:104], v[99:100]
	v_fma_f64 v[105:106], -v[99:100], v[103:104], 1.0
	v_fma_f64 v[103:104], v[103:104], v[105:106], v[103:104]
	v_fma_f64 v[105:106], -v[99:100], v[103:104], 1.0
	v_fma_f64 v[103:104], v[103:104], v[105:106], v[103:104]
	v_mul_f64 v[105:106], v[107:108], v[103:104]
	v_fma_f64 v[99:100], -v[99:100], v[105:106], v[107:108]
	v_div_fmas_f64 v[99:100], v[99:100], v[103:104], v[105:106]
	v_div_fixup_f64 v[103:104], v[99:100], v[97:98], 1.0
                                        ; implicit-def: $vgpr97_vgpr98
	v_mul_f64 v[101:102], v[101:102], v[103:104]
	v_xor_b32_e32 v104, 0x80000000, v104
.LBB111_410:
	s_andn2_saveexec_b64 s[2:3], s[2:3]
	s_cbranch_execz .LBB111_412
; %bb.411:
	v_div_scale_f64 v[101:102], s[6:7], v[97:98], v[97:98], v[99:100]
	v_rcp_f64_e32 v[103:104], v[101:102]
	v_fma_f64 v[105:106], -v[101:102], v[103:104], 1.0
	v_fma_f64 v[103:104], v[103:104], v[105:106], v[103:104]
	v_div_scale_f64 v[105:106], vcc, v[99:100], v[97:98], v[99:100]
	v_fma_f64 v[107:108], -v[101:102], v[103:104], 1.0
	v_fma_f64 v[103:104], v[103:104], v[107:108], v[103:104]
	v_mul_f64 v[107:108], v[105:106], v[103:104]
	v_fma_f64 v[101:102], -v[101:102], v[107:108], v[105:106]
	v_div_fmas_f64 v[101:102], v[101:102], v[103:104], v[107:108]
	v_div_fixup_f64 v[103:104], v[101:102], v[97:98], v[99:100]
	v_fma_f64 v[97:98], v[99:100], v[103:104], v[97:98]
	v_div_scale_f64 v[99:100], s[6:7], v[97:98], v[97:98], 1.0
	v_div_scale_f64 v[107:108], vcc, 1.0, v[97:98], 1.0
	v_rcp_f64_e32 v[101:102], v[99:100]
	v_fma_f64 v[105:106], -v[99:100], v[101:102], 1.0
	v_fma_f64 v[101:102], v[101:102], v[105:106], v[101:102]
	v_fma_f64 v[105:106], -v[99:100], v[101:102], 1.0
	v_fma_f64 v[101:102], v[101:102], v[105:106], v[101:102]
	v_mul_f64 v[105:106], v[107:108], v[101:102]
	v_fma_f64 v[99:100], -v[99:100], v[105:106], v[107:108]
	v_div_fmas_f64 v[99:100], v[99:100], v[101:102], v[105:106]
	v_div_fixup_f64 v[101:102], v[99:100], v[97:98], 1.0
	v_mul_f64 v[103:104], v[103:104], -v[101:102]
.LBB111_412:
	s_or_b64 exec, exec, s[2:3]
	ds_write2_b64 v127, v[101:102], v[103:104] offset1:1
.LBB111_413:
	s_or_b64 exec, exec, s[4:5]
	s_waitcnt lgkmcnt(0)
	s_barrier
	ds_read2_b64 v[41:44], v127 offset1:1
	v_cmp_lt_u32_e32 vcc, 45, v0
	s_waitcnt lgkmcnt(0)
	buffer_store_dword v41, off, s[20:23], 0 offset:1792 ; 4-byte Folded Spill
	s_nop 0
	buffer_store_dword v42, off, s[20:23], 0 offset:1796 ; 4-byte Folded Spill
	buffer_store_dword v43, off, s[20:23], 0 offset:1800 ; 4-byte Folded Spill
	;; [unrolled: 1-line block ×3, first 2 shown]
	s_and_saveexec_b64 s[2:3], vcc
	s_cbranch_execz .LBB111_415
; %bb.414:
	buffer_load_dword v41, off, s[20:23], 0 offset:1792 ; 4-byte Folded Reload
	buffer_load_dword v42, off, s[20:23], 0 offset:1796 ; 4-byte Folded Reload
	;; [unrolled: 1-line block ×4, first 2 shown]
	ds_read2_b64 v[99:102], v125 offset0:92 offset1:93
	s_waitcnt vmcnt(2)
	v_mul_f64 v[97:98], v[41:42], v[39:40]
	s_waitcnt vmcnt(0)
	v_mul_f64 v[39:40], v[43:44], v[39:40]
	v_fma_f64 v[97:98], v[43:44], v[37:38], v[97:98]
	v_fma_f64 v[37:38], v[41:42], v[37:38], -v[39:40]
	s_waitcnt lgkmcnt(0)
	v_mul_f64 v[39:40], v[101:102], v[97:98]
	v_fma_f64 v[39:40], v[99:100], v[37:38], -v[39:40]
	v_mul_f64 v[99:100], v[99:100], v[97:98]
	v_add_f64 v[33:34], v[33:34], -v[39:40]
	v_fma_f64 v[99:100], v[101:102], v[37:38], v[99:100]
	v_add_f64 v[35:36], v[35:36], -v[99:100]
	ds_read2_b64 v[99:102], v125 offset0:94 offset1:95
	s_waitcnt lgkmcnt(0)
	v_mul_f64 v[39:40], v[101:102], v[97:98]
	v_fma_f64 v[39:40], v[99:100], v[37:38], -v[39:40]
	v_mul_f64 v[99:100], v[99:100], v[97:98]
	v_add_f64 v[29:30], v[29:30], -v[39:40]
	v_fma_f64 v[99:100], v[101:102], v[37:38], v[99:100]
	v_add_f64 v[31:32], v[31:32], -v[99:100]
	ds_read2_b64 v[99:102], v125 offset0:96 offset1:97
	;; [unrolled: 8-line block ×9, first 2 shown]
	s_waitcnt lgkmcnt(0)
	v_mul_f64 v[39:40], v[101:102], v[97:98]
	v_fma_f64 v[39:40], v[99:100], v[37:38], -v[39:40]
	v_mul_f64 v[99:100], v[99:100], v[97:98]
	v_add_f64 v[121:122], v[121:122], -v[39:40]
	v_fma_f64 v[99:100], v[101:102], v[37:38], v[99:100]
	v_mov_b32_e32 v39, v97
	v_mov_b32_e32 v40, v98
	v_add_f64 v[123:124], v[123:124], -v[99:100]
.LBB111_415:
	s_or_b64 exec, exec, s[2:3]
	v_cmp_eq_u32_e32 vcc, 46, v0
	s_waitcnt vmcnt(0)
	s_barrier
	s_and_saveexec_b64 s[4:5], vcc
	s_cbranch_execz .LBB111_422
; %bb.416:
	ds_write2_b64 v127, v[33:34], v[35:36] offset1:1
	ds_write2_b64 v125, v[29:30], v[31:32] offset0:94 offset1:95
	ds_write2_b64 v125, v[25:26], v[27:28] offset0:96 offset1:97
	;; [unrolled: 1-line block ×9, first 2 shown]
	ds_read2_b64 v[97:100], v127 offset1:1
	s_waitcnt lgkmcnt(0)
	v_cmp_neq_f64_e32 vcc, 0, v[97:98]
	v_cmp_neq_f64_e64 s[2:3], 0, v[99:100]
	s_or_b64 s[2:3], vcc, s[2:3]
	s_and_b64 exec, exec, s[2:3]
	s_cbranch_execz .LBB111_422
; %bb.417:
	v_cmp_ngt_f64_e64 s[2:3], |v[97:98]|, |v[99:100]|
                                        ; implicit-def: $vgpr101_vgpr102
	s_and_saveexec_b64 s[6:7], s[2:3]
	s_xor_b64 s[2:3], exec, s[6:7]
                                        ; implicit-def: $vgpr103_vgpr104
	s_cbranch_execz .LBB111_419
; %bb.418:
	v_div_scale_f64 v[101:102], s[6:7], v[99:100], v[99:100], v[97:98]
	v_rcp_f64_e32 v[103:104], v[101:102]
	v_fma_f64 v[105:106], -v[101:102], v[103:104], 1.0
	v_fma_f64 v[103:104], v[103:104], v[105:106], v[103:104]
	v_div_scale_f64 v[105:106], vcc, v[97:98], v[99:100], v[97:98]
	v_fma_f64 v[107:108], -v[101:102], v[103:104], 1.0
	v_fma_f64 v[103:104], v[103:104], v[107:108], v[103:104]
	v_mul_f64 v[107:108], v[105:106], v[103:104]
	v_fma_f64 v[101:102], -v[101:102], v[107:108], v[105:106]
	v_div_fmas_f64 v[101:102], v[101:102], v[103:104], v[107:108]
	v_div_fixup_f64 v[101:102], v[101:102], v[99:100], v[97:98]
	v_fma_f64 v[97:98], v[97:98], v[101:102], v[99:100]
	v_div_scale_f64 v[99:100], s[6:7], v[97:98], v[97:98], 1.0
	v_div_scale_f64 v[107:108], vcc, 1.0, v[97:98], 1.0
	v_rcp_f64_e32 v[103:104], v[99:100]
	v_fma_f64 v[105:106], -v[99:100], v[103:104], 1.0
	v_fma_f64 v[103:104], v[103:104], v[105:106], v[103:104]
	v_fma_f64 v[105:106], -v[99:100], v[103:104], 1.0
	v_fma_f64 v[103:104], v[103:104], v[105:106], v[103:104]
	v_mul_f64 v[105:106], v[107:108], v[103:104]
	v_fma_f64 v[99:100], -v[99:100], v[105:106], v[107:108]
	v_div_fmas_f64 v[99:100], v[99:100], v[103:104], v[105:106]
	v_div_fixup_f64 v[103:104], v[99:100], v[97:98], 1.0
                                        ; implicit-def: $vgpr97_vgpr98
	v_mul_f64 v[101:102], v[101:102], v[103:104]
	v_xor_b32_e32 v104, 0x80000000, v104
.LBB111_419:
	s_andn2_saveexec_b64 s[2:3], s[2:3]
	s_cbranch_execz .LBB111_421
; %bb.420:
	v_div_scale_f64 v[101:102], s[6:7], v[97:98], v[97:98], v[99:100]
	v_rcp_f64_e32 v[103:104], v[101:102]
	v_fma_f64 v[105:106], -v[101:102], v[103:104], 1.0
	v_fma_f64 v[103:104], v[103:104], v[105:106], v[103:104]
	v_div_scale_f64 v[105:106], vcc, v[99:100], v[97:98], v[99:100]
	v_fma_f64 v[107:108], -v[101:102], v[103:104], 1.0
	v_fma_f64 v[103:104], v[103:104], v[107:108], v[103:104]
	v_mul_f64 v[107:108], v[105:106], v[103:104]
	v_fma_f64 v[101:102], -v[101:102], v[107:108], v[105:106]
	v_div_fmas_f64 v[101:102], v[101:102], v[103:104], v[107:108]
	v_div_fixup_f64 v[103:104], v[101:102], v[97:98], v[99:100]
	v_fma_f64 v[97:98], v[99:100], v[103:104], v[97:98]
	v_div_scale_f64 v[99:100], s[6:7], v[97:98], v[97:98], 1.0
	v_div_scale_f64 v[107:108], vcc, 1.0, v[97:98], 1.0
	v_rcp_f64_e32 v[101:102], v[99:100]
	v_fma_f64 v[105:106], -v[99:100], v[101:102], 1.0
	v_fma_f64 v[101:102], v[101:102], v[105:106], v[101:102]
	v_fma_f64 v[105:106], -v[99:100], v[101:102], 1.0
	v_fma_f64 v[101:102], v[101:102], v[105:106], v[101:102]
	v_mul_f64 v[105:106], v[107:108], v[101:102]
	v_fma_f64 v[99:100], -v[99:100], v[105:106], v[107:108]
	v_div_fmas_f64 v[99:100], v[99:100], v[101:102], v[105:106]
	v_div_fixup_f64 v[101:102], v[99:100], v[97:98], 1.0
	v_mul_f64 v[103:104], v[103:104], -v[101:102]
.LBB111_421:
	s_or_b64 exec, exec, s[2:3]
	ds_write2_b64 v127, v[101:102], v[103:104] offset1:1
.LBB111_422:
	s_or_b64 exec, exec, s[4:5]
	s_waitcnt lgkmcnt(0)
	s_barrier
	ds_read2_b64 v[41:44], v127 offset1:1
	v_cmp_lt_u32_e32 vcc, 46, v0
	s_waitcnt lgkmcnt(0)
	buffer_store_dword v41, off, s[20:23], 0 offset:1808 ; 4-byte Folded Spill
	s_nop 0
	buffer_store_dword v42, off, s[20:23], 0 offset:1812 ; 4-byte Folded Spill
	buffer_store_dword v43, off, s[20:23], 0 offset:1816 ; 4-byte Folded Spill
	;; [unrolled: 1-line block ×3, first 2 shown]
	s_and_saveexec_b64 s[2:3], vcc
	s_cbranch_execz .LBB111_424
; %bb.423:
	buffer_load_dword v41, off, s[20:23], 0 offset:1808 ; 4-byte Folded Reload
	buffer_load_dword v42, off, s[20:23], 0 offset:1812 ; 4-byte Folded Reload
	;; [unrolled: 1-line block ×4, first 2 shown]
	ds_read2_b64 v[99:102], v125 offset0:94 offset1:95
	s_waitcnt vmcnt(2)
	v_mul_f64 v[97:98], v[41:42], v[35:36]
	s_waitcnt vmcnt(0)
	v_mul_f64 v[35:36], v[43:44], v[35:36]
	v_fma_f64 v[97:98], v[43:44], v[33:34], v[97:98]
	v_fma_f64 v[33:34], v[41:42], v[33:34], -v[35:36]
	s_waitcnt lgkmcnt(0)
	v_mul_f64 v[35:36], v[101:102], v[97:98]
	v_fma_f64 v[35:36], v[99:100], v[33:34], -v[35:36]
	v_mul_f64 v[99:100], v[99:100], v[97:98]
	v_add_f64 v[29:30], v[29:30], -v[35:36]
	v_fma_f64 v[99:100], v[101:102], v[33:34], v[99:100]
	v_add_f64 v[31:32], v[31:32], -v[99:100]
	ds_read2_b64 v[99:102], v125 offset0:96 offset1:97
	s_waitcnt lgkmcnt(0)
	v_mul_f64 v[35:36], v[101:102], v[97:98]
	v_fma_f64 v[35:36], v[99:100], v[33:34], -v[35:36]
	v_mul_f64 v[99:100], v[99:100], v[97:98]
	v_add_f64 v[25:26], v[25:26], -v[35:36]
	v_fma_f64 v[99:100], v[101:102], v[33:34], v[99:100]
	v_add_f64 v[27:28], v[27:28], -v[99:100]
	ds_read2_b64 v[99:102], v125 offset0:98 offset1:99
	;; [unrolled: 8-line block ×8, first 2 shown]
	s_waitcnt lgkmcnt(0)
	v_mul_f64 v[35:36], v[101:102], v[97:98]
	v_fma_f64 v[35:36], v[99:100], v[33:34], -v[35:36]
	v_mul_f64 v[99:100], v[99:100], v[97:98]
	v_add_f64 v[121:122], v[121:122], -v[35:36]
	v_fma_f64 v[99:100], v[101:102], v[33:34], v[99:100]
	v_mov_b32_e32 v35, v97
	v_mov_b32_e32 v36, v98
	v_add_f64 v[123:124], v[123:124], -v[99:100]
.LBB111_424:
	s_or_b64 exec, exec, s[2:3]
	v_cmp_eq_u32_e32 vcc, 47, v0
	s_waitcnt vmcnt(0)
	s_barrier
	s_and_saveexec_b64 s[4:5], vcc
	s_cbranch_execz .LBB111_431
; %bb.425:
	ds_write2_b64 v127, v[29:30], v[31:32] offset1:1
	ds_write2_b64 v125, v[25:26], v[27:28] offset0:96 offset1:97
	ds_write2_b64 v125, v[21:22], v[23:24] offset0:98 offset1:99
	;; [unrolled: 1-line block ×8, first 2 shown]
	ds_read2_b64 v[97:100], v127 offset1:1
	s_waitcnt lgkmcnt(0)
	v_cmp_neq_f64_e32 vcc, 0, v[97:98]
	v_cmp_neq_f64_e64 s[2:3], 0, v[99:100]
	s_or_b64 s[2:3], vcc, s[2:3]
	s_and_b64 exec, exec, s[2:3]
	s_cbranch_execz .LBB111_431
; %bb.426:
	v_cmp_ngt_f64_e64 s[2:3], |v[97:98]|, |v[99:100]|
                                        ; implicit-def: $vgpr101_vgpr102
	s_and_saveexec_b64 s[6:7], s[2:3]
	s_xor_b64 s[2:3], exec, s[6:7]
                                        ; implicit-def: $vgpr103_vgpr104
	s_cbranch_execz .LBB111_428
; %bb.427:
	v_div_scale_f64 v[101:102], s[6:7], v[99:100], v[99:100], v[97:98]
	v_rcp_f64_e32 v[103:104], v[101:102]
	v_fma_f64 v[105:106], -v[101:102], v[103:104], 1.0
	v_fma_f64 v[103:104], v[103:104], v[105:106], v[103:104]
	v_div_scale_f64 v[105:106], vcc, v[97:98], v[99:100], v[97:98]
	v_fma_f64 v[107:108], -v[101:102], v[103:104], 1.0
	v_fma_f64 v[103:104], v[103:104], v[107:108], v[103:104]
	v_mul_f64 v[107:108], v[105:106], v[103:104]
	v_fma_f64 v[101:102], -v[101:102], v[107:108], v[105:106]
	v_div_fmas_f64 v[101:102], v[101:102], v[103:104], v[107:108]
	v_div_fixup_f64 v[101:102], v[101:102], v[99:100], v[97:98]
	v_fma_f64 v[97:98], v[97:98], v[101:102], v[99:100]
	v_div_scale_f64 v[99:100], s[6:7], v[97:98], v[97:98], 1.0
	v_div_scale_f64 v[107:108], vcc, 1.0, v[97:98], 1.0
	v_rcp_f64_e32 v[103:104], v[99:100]
	v_fma_f64 v[105:106], -v[99:100], v[103:104], 1.0
	v_fma_f64 v[103:104], v[103:104], v[105:106], v[103:104]
	v_fma_f64 v[105:106], -v[99:100], v[103:104], 1.0
	v_fma_f64 v[103:104], v[103:104], v[105:106], v[103:104]
	v_mul_f64 v[105:106], v[107:108], v[103:104]
	v_fma_f64 v[99:100], -v[99:100], v[105:106], v[107:108]
	v_div_fmas_f64 v[99:100], v[99:100], v[103:104], v[105:106]
	v_div_fixup_f64 v[103:104], v[99:100], v[97:98], 1.0
                                        ; implicit-def: $vgpr97_vgpr98
	v_mul_f64 v[101:102], v[101:102], v[103:104]
	v_xor_b32_e32 v104, 0x80000000, v104
.LBB111_428:
	s_andn2_saveexec_b64 s[2:3], s[2:3]
	s_cbranch_execz .LBB111_430
; %bb.429:
	v_div_scale_f64 v[101:102], s[6:7], v[97:98], v[97:98], v[99:100]
	v_rcp_f64_e32 v[103:104], v[101:102]
	v_fma_f64 v[105:106], -v[101:102], v[103:104], 1.0
	v_fma_f64 v[103:104], v[103:104], v[105:106], v[103:104]
	v_div_scale_f64 v[105:106], vcc, v[99:100], v[97:98], v[99:100]
	v_fma_f64 v[107:108], -v[101:102], v[103:104], 1.0
	v_fma_f64 v[103:104], v[103:104], v[107:108], v[103:104]
	v_mul_f64 v[107:108], v[105:106], v[103:104]
	v_fma_f64 v[101:102], -v[101:102], v[107:108], v[105:106]
	v_div_fmas_f64 v[101:102], v[101:102], v[103:104], v[107:108]
	v_div_fixup_f64 v[103:104], v[101:102], v[97:98], v[99:100]
	v_fma_f64 v[97:98], v[99:100], v[103:104], v[97:98]
	v_div_scale_f64 v[99:100], s[6:7], v[97:98], v[97:98], 1.0
	v_div_scale_f64 v[107:108], vcc, 1.0, v[97:98], 1.0
	v_rcp_f64_e32 v[101:102], v[99:100]
	v_fma_f64 v[105:106], -v[99:100], v[101:102], 1.0
	v_fma_f64 v[101:102], v[101:102], v[105:106], v[101:102]
	v_fma_f64 v[105:106], -v[99:100], v[101:102], 1.0
	v_fma_f64 v[101:102], v[101:102], v[105:106], v[101:102]
	v_mul_f64 v[105:106], v[107:108], v[101:102]
	v_fma_f64 v[99:100], -v[99:100], v[105:106], v[107:108]
	v_div_fmas_f64 v[99:100], v[99:100], v[101:102], v[105:106]
	v_div_fixup_f64 v[101:102], v[99:100], v[97:98], 1.0
	v_mul_f64 v[103:104], v[103:104], -v[101:102]
.LBB111_430:
	s_or_b64 exec, exec, s[2:3]
	ds_write2_b64 v127, v[101:102], v[103:104] offset1:1
.LBB111_431:
	s_or_b64 exec, exec, s[4:5]
	s_waitcnt lgkmcnt(0)
	s_barrier
	ds_read2_b64 v[61:64], v127 offset1:1
	v_cmp_lt_u32_e32 vcc, 47, v0
	s_and_saveexec_b64 s[2:3], vcc
	s_cbranch_execz .LBB111_433
; %bb.432:
	s_waitcnt lgkmcnt(0)
	v_mul_f64 v[97:98], v[61:62], v[31:32]
	v_mul_f64 v[31:32], v[63:64], v[31:32]
	ds_read2_b64 v[99:102], v125 offset0:96 offset1:97
	v_fma_f64 v[97:98], v[63:64], v[29:30], v[97:98]
	v_fma_f64 v[29:30], v[61:62], v[29:30], -v[31:32]
	s_waitcnt lgkmcnt(0)
	v_mul_f64 v[31:32], v[101:102], v[97:98]
	v_fma_f64 v[31:32], v[99:100], v[29:30], -v[31:32]
	v_mul_f64 v[99:100], v[99:100], v[97:98]
	v_add_f64 v[25:26], v[25:26], -v[31:32]
	v_fma_f64 v[99:100], v[101:102], v[29:30], v[99:100]
	v_add_f64 v[27:28], v[27:28], -v[99:100]
	ds_read2_b64 v[99:102], v125 offset0:98 offset1:99
	s_waitcnt lgkmcnt(0)
	v_mul_f64 v[31:32], v[101:102], v[97:98]
	v_fma_f64 v[31:32], v[99:100], v[29:30], -v[31:32]
	v_mul_f64 v[99:100], v[99:100], v[97:98]
	v_add_f64 v[21:22], v[21:22], -v[31:32]
	v_fma_f64 v[99:100], v[101:102], v[29:30], v[99:100]
	v_add_f64 v[23:24], v[23:24], -v[99:100]
	ds_read2_b64 v[99:102], v125 offset0:100 offset1:101
	;; [unrolled: 8-line block ×7, first 2 shown]
	s_waitcnt lgkmcnt(0)
	v_mul_f64 v[31:32], v[101:102], v[97:98]
	v_fma_f64 v[31:32], v[99:100], v[29:30], -v[31:32]
	v_mul_f64 v[99:100], v[99:100], v[97:98]
	v_add_f64 v[121:122], v[121:122], -v[31:32]
	v_fma_f64 v[99:100], v[101:102], v[29:30], v[99:100]
	v_mov_b32_e32 v31, v97
	v_mov_b32_e32 v32, v98
	v_add_f64 v[123:124], v[123:124], -v[99:100]
.LBB111_433:
	s_or_b64 exec, exec, s[2:3]
	v_cmp_eq_u32_e32 vcc, 48, v0
	s_waitcnt lgkmcnt(0)
	s_barrier
	s_and_saveexec_b64 s[4:5], vcc
	s_cbranch_execz .LBB111_440
; %bb.434:
	ds_write2_b64 v127, v[25:26], v[27:28] offset1:1
	ds_write2_b64 v125, v[21:22], v[23:24] offset0:98 offset1:99
	ds_write2_b64 v125, v[17:18], v[19:20] offset0:100 offset1:101
	ds_write2_b64 v125, v[13:14], v[15:16] offset0:102 offset1:103
	ds_write2_b64 v125, v[9:10], v[11:12] offset0:104 offset1:105
	ds_write2_b64 v125, v[5:6], v[7:8] offset0:106 offset1:107
	ds_write2_b64 v125, v[1:2], v[3:4] offset0:108 offset1:109
	ds_write2_b64 v125, v[121:122], v[123:124] offset0:110 offset1:111
	ds_read2_b64 v[97:100], v127 offset1:1
	s_waitcnt lgkmcnt(0)
	v_cmp_neq_f64_e32 vcc, 0, v[97:98]
	v_cmp_neq_f64_e64 s[2:3], 0, v[99:100]
	s_or_b64 s[2:3], vcc, s[2:3]
	s_and_b64 exec, exec, s[2:3]
	s_cbranch_execz .LBB111_440
; %bb.435:
	v_cmp_ngt_f64_e64 s[2:3], |v[97:98]|, |v[99:100]|
                                        ; implicit-def: $vgpr101_vgpr102
	s_and_saveexec_b64 s[6:7], s[2:3]
	s_xor_b64 s[2:3], exec, s[6:7]
                                        ; implicit-def: $vgpr103_vgpr104
	s_cbranch_execz .LBB111_437
; %bb.436:
	v_div_scale_f64 v[101:102], s[6:7], v[99:100], v[99:100], v[97:98]
	v_rcp_f64_e32 v[103:104], v[101:102]
	v_fma_f64 v[105:106], -v[101:102], v[103:104], 1.0
	v_fma_f64 v[103:104], v[103:104], v[105:106], v[103:104]
	v_div_scale_f64 v[105:106], vcc, v[97:98], v[99:100], v[97:98]
	v_fma_f64 v[107:108], -v[101:102], v[103:104], 1.0
	v_fma_f64 v[103:104], v[103:104], v[107:108], v[103:104]
	v_mul_f64 v[107:108], v[105:106], v[103:104]
	v_fma_f64 v[101:102], -v[101:102], v[107:108], v[105:106]
	v_div_fmas_f64 v[101:102], v[101:102], v[103:104], v[107:108]
	v_div_fixup_f64 v[101:102], v[101:102], v[99:100], v[97:98]
	v_fma_f64 v[97:98], v[97:98], v[101:102], v[99:100]
	v_div_scale_f64 v[99:100], s[6:7], v[97:98], v[97:98], 1.0
	v_div_scale_f64 v[107:108], vcc, 1.0, v[97:98], 1.0
	v_rcp_f64_e32 v[103:104], v[99:100]
	v_fma_f64 v[105:106], -v[99:100], v[103:104], 1.0
	v_fma_f64 v[103:104], v[103:104], v[105:106], v[103:104]
	v_fma_f64 v[105:106], -v[99:100], v[103:104], 1.0
	v_fma_f64 v[103:104], v[103:104], v[105:106], v[103:104]
	v_mul_f64 v[105:106], v[107:108], v[103:104]
	v_fma_f64 v[99:100], -v[99:100], v[105:106], v[107:108]
	v_div_fmas_f64 v[99:100], v[99:100], v[103:104], v[105:106]
	v_div_fixup_f64 v[103:104], v[99:100], v[97:98], 1.0
                                        ; implicit-def: $vgpr97_vgpr98
	v_mul_f64 v[101:102], v[101:102], v[103:104]
	v_xor_b32_e32 v104, 0x80000000, v104
.LBB111_437:
	s_andn2_saveexec_b64 s[2:3], s[2:3]
	s_cbranch_execz .LBB111_439
; %bb.438:
	v_div_scale_f64 v[101:102], s[6:7], v[97:98], v[97:98], v[99:100]
	v_rcp_f64_e32 v[103:104], v[101:102]
	v_fma_f64 v[105:106], -v[101:102], v[103:104], 1.0
	v_fma_f64 v[103:104], v[103:104], v[105:106], v[103:104]
	v_div_scale_f64 v[105:106], vcc, v[99:100], v[97:98], v[99:100]
	v_fma_f64 v[107:108], -v[101:102], v[103:104], 1.0
	v_fma_f64 v[103:104], v[103:104], v[107:108], v[103:104]
	v_mul_f64 v[107:108], v[105:106], v[103:104]
	v_fma_f64 v[101:102], -v[101:102], v[107:108], v[105:106]
	v_div_fmas_f64 v[101:102], v[101:102], v[103:104], v[107:108]
	v_div_fixup_f64 v[103:104], v[101:102], v[97:98], v[99:100]
	v_fma_f64 v[97:98], v[99:100], v[103:104], v[97:98]
	v_div_scale_f64 v[99:100], s[6:7], v[97:98], v[97:98], 1.0
	v_div_scale_f64 v[107:108], vcc, 1.0, v[97:98], 1.0
	v_rcp_f64_e32 v[101:102], v[99:100]
	v_fma_f64 v[105:106], -v[99:100], v[101:102], 1.0
	v_fma_f64 v[101:102], v[101:102], v[105:106], v[101:102]
	v_fma_f64 v[105:106], -v[99:100], v[101:102], 1.0
	v_fma_f64 v[101:102], v[101:102], v[105:106], v[101:102]
	v_mul_f64 v[105:106], v[107:108], v[101:102]
	v_fma_f64 v[99:100], -v[99:100], v[105:106], v[107:108]
	v_div_fmas_f64 v[99:100], v[99:100], v[101:102], v[105:106]
	v_div_fixup_f64 v[101:102], v[99:100], v[97:98], 1.0
	v_mul_f64 v[103:104], v[103:104], -v[101:102]
.LBB111_439:
	s_or_b64 exec, exec, s[2:3]
	ds_write2_b64 v127, v[101:102], v[103:104] offset1:1
.LBB111_440:
	s_or_b64 exec, exec, s[4:5]
	s_waitcnt lgkmcnt(0)
	s_barrier
	ds_read2_b64 v[57:60], v127 offset1:1
	v_cmp_lt_u32_e32 vcc, 48, v0
	s_and_saveexec_b64 s[2:3], vcc
	s_cbranch_execz .LBB111_442
; %bb.441:
	s_waitcnt lgkmcnt(0)
	v_mul_f64 v[97:98], v[57:58], v[27:28]
	v_mul_f64 v[27:28], v[59:60], v[27:28]
	ds_read2_b64 v[99:102], v125 offset0:98 offset1:99
	v_fma_f64 v[97:98], v[59:60], v[25:26], v[97:98]
	v_fma_f64 v[25:26], v[57:58], v[25:26], -v[27:28]
	s_waitcnt lgkmcnt(0)
	v_mul_f64 v[27:28], v[101:102], v[97:98]
	v_fma_f64 v[27:28], v[99:100], v[25:26], -v[27:28]
	v_mul_f64 v[99:100], v[99:100], v[97:98]
	v_add_f64 v[21:22], v[21:22], -v[27:28]
	v_fma_f64 v[99:100], v[101:102], v[25:26], v[99:100]
	v_add_f64 v[23:24], v[23:24], -v[99:100]
	ds_read2_b64 v[99:102], v125 offset0:100 offset1:101
	s_waitcnt lgkmcnt(0)
	v_mul_f64 v[27:28], v[101:102], v[97:98]
	v_fma_f64 v[27:28], v[99:100], v[25:26], -v[27:28]
	v_mul_f64 v[99:100], v[99:100], v[97:98]
	v_add_f64 v[17:18], v[17:18], -v[27:28]
	v_fma_f64 v[99:100], v[101:102], v[25:26], v[99:100]
	v_add_f64 v[19:20], v[19:20], -v[99:100]
	ds_read2_b64 v[99:102], v125 offset0:102 offset1:103
	;; [unrolled: 8-line block ×6, first 2 shown]
	s_waitcnt lgkmcnt(0)
	v_mul_f64 v[27:28], v[101:102], v[97:98]
	v_fma_f64 v[27:28], v[99:100], v[25:26], -v[27:28]
	v_mul_f64 v[99:100], v[99:100], v[97:98]
	v_add_f64 v[121:122], v[121:122], -v[27:28]
	v_fma_f64 v[99:100], v[101:102], v[25:26], v[99:100]
	v_mov_b32_e32 v27, v97
	v_mov_b32_e32 v28, v98
	v_add_f64 v[123:124], v[123:124], -v[99:100]
.LBB111_442:
	s_or_b64 exec, exec, s[2:3]
	v_cmp_eq_u32_e32 vcc, 49, v0
	s_waitcnt lgkmcnt(0)
	s_barrier
	s_and_saveexec_b64 s[4:5], vcc
	s_cbranch_execz .LBB111_449
; %bb.443:
	ds_write2_b64 v127, v[21:22], v[23:24] offset1:1
	ds_write2_b64 v125, v[17:18], v[19:20] offset0:100 offset1:101
	ds_write2_b64 v125, v[13:14], v[15:16] offset0:102 offset1:103
	;; [unrolled: 1-line block ×6, first 2 shown]
	ds_read2_b64 v[97:100], v127 offset1:1
	s_waitcnt lgkmcnt(0)
	v_cmp_neq_f64_e32 vcc, 0, v[97:98]
	v_cmp_neq_f64_e64 s[2:3], 0, v[99:100]
	s_or_b64 s[2:3], vcc, s[2:3]
	s_and_b64 exec, exec, s[2:3]
	s_cbranch_execz .LBB111_449
; %bb.444:
	v_cmp_ngt_f64_e64 s[2:3], |v[97:98]|, |v[99:100]|
                                        ; implicit-def: $vgpr101_vgpr102
	s_and_saveexec_b64 s[6:7], s[2:3]
	s_xor_b64 s[2:3], exec, s[6:7]
                                        ; implicit-def: $vgpr103_vgpr104
	s_cbranch_execz .LBB111_446
; %bb.445:
	v_div_scale_f64 v[101:102], s[6:7], v[99:100], v[99:100], v[97:98]
	v_rcp_f64_e32 v[103:104], v[101:102]
	v_fma_f64 v[105:106], -v[101:102], v[103:104], 1.0
	v_fma_f64 v[103:104], v[103:104], v[105:106], v[103:104]
	v_div_scale_f64 v[105:106], vcc, v[97:98], v[99:100], v[97:98]
	v_fma_f64 v[107:108], -v[101:102], v[103:104], 1.0
	v_fma_f64 v[103:104], v[103:104], v[107:108], v[103:104]
	v_mul_f64 v[107:108], v[105:106], v[103:104]
	v_fma_f64 v[101:102], -v[101:102], v[107:108], v[105:106]
	v_div_fmas_f64 v[101:102], v[101:102], v[103:104], v[107:108]
	v_div_fixup_f64 v[101:102], v[101:102], v[99:100], v[97:98]
	v_fma_f64 v[97:98], v[97:98], v[101:102], v[99:100]
	v_div_scale_f64 v[99:100], s[6:7], v[97:98], v[97:98], 1.0
	v_div_scale_f64 v[107:108], vcc, 1.0, v[97:98], 1.0
	v_rcp_f64_e32 v[103:104], v[99:100]
	v_fma_f64 v[105:106], -v[99:100], v[103:104], 1.0
	v_fma_f64 v[103:104], v[103:104], v[105:106], v[103:104]
	v_fma_f64 v[105:106], -v[99:100], v[103:104], 1.0
	v_fma_f64 v[103:104], v[103:104], v[105:106], v[103:104]
	v_mul_f64 v[105:106], v[107:108], v[103:104]
	v_fma_f64 v[99:100], -v[99:100], v[105:106], v[107:108]
	v_div_fmas_f64 v[99:100], v[99:100], v[103:104], v[105:106]
	v_div_fixup_f64 v[103:104], v[99:100], v[97:98], 1.0
                                        ; implicit-def: $vgpr97_vgpr98
	v_mul_f64 v[101:102], v[101:102], v[103:104]
	v_xor_b32_e32 v104, 0x80000000, v104
.LBB111_446:
	s_andn2_saveexec_b64 s[2:3], s[2:3]
	s_cbranch_execz .LBB111_448
; %bb.447:
	v_div_scale_f64 v[101:102], s[6:7], v[97:98], v[97:98], v[99:100]
	v_rcp_f64_e32 v[103:104], v[101:102]
	v_fma_f64 v[105:106], -v[101:102], v[103:104], 1.0
	v_fma_f64 v[103:104], v[103:104], v[105:106], v[103:104]
	v_div_scale_f64 v[105:106], vcc, v[99:100], v[97:98], v[99:100]
	v_fma_f64 v[107:108], -v[101:102], v[103:104], 1.0
	v_fma_f64 v[103:104], v[103:104], v[107:108], v[103:104]
	v_mul_f64 v[107:108], v[105:106], v[103:104]
	v_fma_f64 v[101:102], -v[101:102], v[107:108], v[105:106]
	v_div_fmas_f64 v[101:102], v[101:102], v[103:104], v[107:108]
	v_div_fixup_f64 v[103:104], v[101:102], v[97:98], v[99:100]
	v_fma_f64 v[97:98], v[99:100], v[103:104], v[97:98]
	v_div_scale_f64 v[99:100], s[6:7], v[97:98], v[97:98], 1.0
	v_div_scale_f64 v[107:108], vcc, 1.0, v[97:98], 1.0
	v_rcp_f64_e32 v[101:102], v[99:100]
	v_fma_f64 v[105:106], -v[99:100], v[101:102], 1.0
	v_fma_f64 v[101:102], v[101:102], v[105:106], v[101:102]
	v_fma_f64 v[105:106], -v[99:100], v[101:102], 1.0
	v_fma_f64 v[101:102], v[101:102], v[105:106], v[101:102]
	v_mul_f64 v[105:106], v[107:108], v[101:102]
	v_fma_f64 v[99:100], -v[99:100], v[105:106], v[107:108]
	v_div_fmas_f64 v[99:100], v[99:100], v[101:102], v[105:106]
	v_div_fixup_f64 v[101:102], v[99:100], v[97:98], 1.0
	v_mul_f64 v[103:104], v[103:104], -v[101:102]
.LBB111_448:
	s_or_b64 exec, exec, s[2:3]
	ds_write2_b64 v127, v[101:102], v[103:104] offset1:1
.LBB111_449:
	s_or_b64 exec, exec, s[4:5]
	s_waitcnt lgkmcnt(0)
	s_barrier
	ds_read2_b64 v[53:56], v127 offset1:1
	v_cmp_lt_u32_e32 vcc, 49, v0
	s_and_saveexec_b64 s[2:3], vcc
	s_cbranch_execz .LBB111_451
; %bb.450:
	s_waitcnt lgkmcnt(0)
	v_mul_f64 v[97:98], v[53:54], v[23:24]
	v_mul_f64 v[23:24], v[55:56], v[23:24]
	ds_read2_b64 v[99:102], v125 offset0:100 offset1:101
	v_fma_f64 v[97:98], v[55:56], v[21:22], v[97:98]
	v_fma_f64 v[21:22], v[53:54], v[21:22], -v[23:24]
	s_waitcnt lgkmcnt(0)
	v_mul_f64 v[23:24], v[101:102], v[97:98]
	v_fma_f64 v[23:24], v[99:100], v[21:22], -v[23:24]
	v_mul_f64 v[99:100], v[99:100], v[97:98]
	v_add_f64 v[17:18], v[17:18], -v[23:24]
	v_fma_f64 v[99:100], v[101:102], v[21:22], v[99:100]
	v_add_f64 v[19:20], v[19:20], -v[99:100]
	ds_read2_b64 v[99:102], v125 offset0:102 offset1:103
	s_waitcnt lgkmcnt(0)
	v_mul_f64 v[23:24], v[101:102], v[97:98]
	v_fma_f64 v[23:24], v[99:100], v[21:22], -v[23:24]
	v_mul_f64 v[99:100], v[99:100], v[97:98]
	v_add_f64 v[13:14], v[13:14], -v[23:24]
	v_fma_f64 v[99:100], v[101:102], v[21:22], v[99:100]
	v_add_f64 v[15:16], v[15:16], -v[99:100]
	ds_read2_b64 v[99:102], v125 offset0:104 offset1:105
	;; [unrolled: 8-line block ×5, first 2 shown]
	s_waitcnt lgkmcnt(0)
	v_mul_f64 v[23:24], v[101:102], v[97:98]
	v_fma_f64 v[23:24], v[99:100], v[21:22], -v[23:24]
	v_mul_f64 v[99:100], v[99:100], v[97:98]
	v_add_f64 v[121:122], v[121:122], -v[23:24]
	v_fma_f64 v[99:100], v[101:102], v[21:22], v[99:100]
	v_mov_b32_e32 v23, v97
	v_mov_b32_e32 v24, v98
	v_add_f64 v[123:124], v[123:124], -v[99:100]
.LBB111_451:
	s_or_b64 exec, exec, s[2:3]
	v_cmp_eq_u32_e32 vcc, 50, v0
	s_waitcnt lgkmcnt(0)
	s_barrier
	s_and_saveexec_b64 s[4:5], vcc
	s_cbranch_execz .LBB111_458
; %bb.452:
	ds_write2_b64 v127, v[17:18], v[19:20] offset1:1
	ds_write2_b64 v125, v[13:14], v[15:16] offset0:102 offset1:103
	ds_write2_b64 v125, v[9:10], v[11:12] offset0:104 offset1:105
	;; [unrolled: 1-line block ×5, first 2 shown]
	ds_read2_b64 v[97:100], v127 offset1:1
	s_waitcnt lgkmcnt(0)
	v_cmp_neq_f64_e32 vcc, 0, v[97:98]
	v_cmp_neq_f64_e64 s[2:3], 0, v[99:100]
	s_or_b64 s[2:3], vcc, s[2:3]
	s_and_b64 exec, exec, s[2:3]
	s_cbranch_execz .LBB111_458
; %bb.453:
	v_cmp_ngt_f64_e64 s[2:3], |v[97:98]|, |v[99:100]|
                                        ; implicit-def: $vgpr101_vgpr102
	s_and_saveexec_b64 s[6:7], s[2:3]
	s_xor_b64 s[2:3], exec, s[6:7]
                                        ; implicit-def: $vgpr103_vgpr104
	s_cbranch_execz .LBB111_455
; %bb.454:
	v_div_scale_f64 v[101:102], s[6:7], v[99:100], v[99:100], v[97:98]
	v_rcp_f64_e32 v[103:104], v[101:102]
	v_fma_f64 v[105:106], -v[101:102], v[103:104], 1.0
	v_fma_f64 v[103:104], v[103:104], v[105:106], v[103:104]
	v_div_scale_f64 v[105:106], vcc, v[97:98], v[99:100], v[97:98]
	v_fma_f64 v[107:108], -v[101:102], v[103:104], 1.0
	v_fma_f64 v[103:104], v[103:104], v[107:108], v[103:104]
	v_mul_f64 v[107:108], v[105:106], v[103:104]
	v_fma_f64 v[101:102], -v[101:102], v[107:108], v[105:106]
	v_div_fmas_f64 v[101:102], v[101:102], v[103:104], v[107:108]
	v_div_fixup_f64 v[101:102], v[101:102], v[99:100], v[97:98]
	v_fma_f64 v[97:98], v[97:98], v[101:102], v[99:100]
	v_div_scale_f64 v[99:100], s[6:7], v[97:98], v[97:98], 1.0
	v_div_scale_f64 v[107:108], vcc, 1.0, v[97:98], 1.0
	v_rcp_f64_e32 v[103:104], v[99:100]
	v_fma_f64 v[105:106], -v[99:100], v[103:104], 1.0
	v_fma_f64 v[103:104], v[103:104], v[105:106], v[103:104]
	v_fma_f64 v[105:106], -v[99:100], v[103:104], 1.0
	v_fma_f64 v[103:104], v[103:104], v[105:106], v[103:104]
	v_mul_f64 v[105:106], v[107:108], v[103:104]
	v_fma_f64 v[99:100], -v[99:100], v[105:106], v[107:108]
	v_div_fmas_f64 v[99:100], v[99:100], v[103:104], v[105:106]
	v_div_fixup_f64 v[103:104], v[99:100], v[97:98], 1.0
                                        ; implicit-def: $vgpr97_vgpr98
	v_mul_f64 v[101:102], v[101:102], v[103:104]
	v_xor_b32_e32 v104, 0x80000000, v104
.LBB111_455:
	s_andn2_saveexec_b64 s[2:3], s[2:3]
	s_cbranch_execz .LBB111_457
; %bb.456:
	v_div_scale_f64 v[101:102], s[6:7], v[97:98], v[97:98], v[99:100]
	v_rcp_f64_e32 v[103:104], v[101:102]
	v_fma_f64 v[105:106], -v[101:102], v[103:104], 1.0
	v_fma_f64 v[103:104], v[103:104], v[105:106], v[103:104]
	v_div_scale_f64 v[105:106], vcc, v[99:100], v[97:98], v[99:100]
	v_fma_f64 v[107:108], -v[101:102], v[103:104], 1.0
	v_fma_f64 v[103:104], v[103:104], v[107:108], v[103:104]
	v_mul_f64 v[107:108], v[105:106], v[103:104]
	v_fma_f64 v[101:102], -v[101:102], v[107:108], v[105:106]
	v_div_fmas_f64 v[101:102], v[101:102], v[103:104], v[107:108]
	v_div_fixup_f64 v[103:104], v[101:102], v[97:98], v[99:100]
	v_fma_f64 v[97:98], v[99:100], v[103:104], v[97:98]
	v_div_scale_f64 v[99:100], s[6:7], v[97:98], v[97:98], 1.0
	v_div_scale_f64 v[107:108], vcc, 1.0, v[97:98], 1.0
	v_rcp_f64_e32 v[101:102], v[99:100]
	v_fma_f64 v[105:106], -v[99:100], v[101:102], 1.0
	v_fma_f64 v[101:102], v[101:102], v[105:106], v[101:102]
	v_fma_f64 v[105:106], -v[99:100], v[101:102], 1.0
	v_fma_f64 v[101:102], v[101:102], v[105:106], v[101:102]
	v_mul_f64 v[105:106], v[107:108], v[101:102]
	v_fma_f64 v[99:100], -v[99:100], v[105:106], v[107:108]
	v_div_fmas_f64 v[99:100], v[99:100], v[101:102], v[105:106]
	v_div_fixup_f64 v[101:102], v[99:100], v[97:98], 1.0
	v_mul_f64 v[103:104], v[103:104], -v[101:102]
.LBB111_457:
	s_or_b64 exec, exec, s[2:3]
	ds_write2_b64 v127, v[101:102], v[103:104] offset1:1
.LBB111_458:
	s_or_b64 exec, exec, s[4:5]
	s_waitcnt lgkmcnt(0)
	s_barrier
	ds_read2_b64 v[49:52], v127 offset1:1
	v_cmp_lt_u32_e32 vcc, 50, v0
	s_and_saveexec_b64 s[2:3], vcc
	s_cbranch_execz .LBB111_460
; %bb.459:
	s_waitcnt lgkmcnt(0)
	v_mul_f64 v[97:98], v[49:50], v[19:20]
	v_mul_f64 v[19:20], v[51:52], v[19:20]
	v_fma_f64 v[101:102], v[51:52], v[17:18], v[97:98]
	ds_read2_b64 v[97:100], v125 offset0:102 offset1:103
	v_fma_f64 v[17:18], v[49:50], v[17:18], -v[19:20]
	s_waitcnt lgkmcnt(0)
	v_mul_f64 v[19:20], v[99:100], v[101:102]
	v_fma_f64 v[19:20], v[97:98], v[17:18], -v[19:20]
	v_mul_f64 v[97:98], v[97:98], v[101:102]
	v_add_f64 v[13:14], v[13:14], -v[19:20]
	v_fma_f64 v[97:98], v[99:100], v[17:18], v[97:98]
	v_add_f64 v[15:16], v[15:16], -v[97:98]
	ds_read2_b64 v[97:100], v125 offset0:104 offset1:105
	s_waitcnt lgkmcnt(0)
	v_mul_f64 v[19:20], v[99:100], v[101:102]
	v_fma_f64 v[19:20], v[97:98], v[17:18], -v[19:20]
	v_mul_f64 v[97:98], v[97:98], v[101:102]
	v_add_f64 v[9:10], v[9:10], -v[19:20]
	v_fma_f64 v[97:98], v[99:100], v[17:18], v[97:98]
	v_add_f64 v[11:12], v[11:12], -v[97:98]
	ds_read2_b64 v[97:100], v125 offset0:106 offset1:107
	;; [unrolled: 8-line block ×4, first 2 shown]
	s_waitcnt lgkmcnt(0)
	v_mul_f64 v[19:20], v[99:100], v[101:102]
	v_fma_f64 v[19:20], v[97:98], v[17:18], -v[19:20]
	v_mul_f64 v[97:98], v[97:98], v[101:102]
	v_add_f64 v[121:122], v[121:122], -v[19:20]
	v_fma_f64 v[97:98], v[99:100], v[17:18], v[97:98]
	v_mov_b32_e32 v19, v101
	v_mov_b32_e32 v20, v102
	v_add_f64 v[123:124], v[123:124], -v[97:98]
.LBB111_460:
	s_or_b64 exec, exec, s[2:3]
	v_cmp_eq_u32_e32 vcc, 51, v0
	s_waitcnt lgkmcnt(0)
	s_barrier
	s_and_saveexec_b64 s[4:5], vcc
	s_cbranch_execz .LBB111_467
; %bb.461:
	ds_write2_b64 v127, v[13:14], v[15:16] offset1:1
	ds_write2_b64 v125, v[9:10], v[11:12] offset0:104 offset1:105
	ds_write2_b64 v125, v[5:6], v[7:8] offset0:106 offset1:107
	;; [unrolled: 1-line block ×4, first 2 shown]
	ds_read2_b64 v[97:100], v127 offset1:1
	s_waitcnt lgkmcnt(0)
	v_cmp_neq_f64_e32 vcc, 0, v[97:98]
	v_cmp_neq_f64_e64 s[2:3], 0, v[99:100]
	s_or_b64 s[2:3], vcc, s[2:3]
	s_and_b64 exec, exec, s[2:3]
	s_cbranch_execz .LBB111_467
; %bb.462:
	v_cmp_ngt_f64_e64 s[2:3], |v[97:98]|, |v[99:100]|
                                        ; implicit-def: $vgpr101_vgpr102
	s_and_saveexec_b64 s[6:7], s[2:3]
	s_xor_b64 s[2:3], exec, s[6:7]
                                        ; implicit-def: $vgpr103_vgpr104
	s_cbranch_execz .LBB111_464
; %bb.463:
	v_div_scale_f64 v[101:102], s[6:7], v[99:100], v[99:100], v[97:98]
	v_rcp_f64_e32 v[103:104], v[101:102]
	v_fma_f64 v[105:106], -v[101:102], v[103:104], 1.0
	v_fma_f64 v[103:104], v[103:104], v[105:106], v[103:104]
	v_div_scale_f64 v[105:106], vcc, v[97:98], v[99:100], v[97:98]
	v_fma_f64 v[107:108], -v[101:102], v[103:104], 1.0
	v_fma_f64 v[103:104], v[103:104], v[107:108], v[103:104]
	v_mul_f64 v[107:108], v[105:106], v[103:104]
	v_fma_f64 v[101:102], -v[101:102], v[107:108], v[105:106]
	v_div_fmas_f64 v[101:102], v[101:102], v[103:104], v[107:108]
	v_div_fixup_f64 v[101:102], v[101:102], v[99:100], v[97:98]
	v_fma_f64 v[97:98], v[97:98], v[101:102], v[99:100]
	v_div_scale_f64 v[99:100], s[6:7], v[97:98], v[97:98], 1.0
	v_div_scale_f64 v[107:108], vcc, 1.0, v[97:98], 1.0
	v_rcp_f64_e32 v[103:104], v[99:100]
	v_fma_f64 v[105:106], -v[99:100], v[103:104], 1.0
	v_fma_f64 v[103:104], v[103:104], v[105:106], v[103:104]
	v_fma_f64 v[105:106], -v[99:100], v[103:104], 1.0
	v_fma_f64 v[103:104], v[103:104], v[105:106], v[103:104]
	v_mul_f64 v[105:106], v[107:108], v[103:104]
	v_fma_f64 v[99:100], -v[99:100], v[105:106], v[107:108]
	v_div_fmas_f64 v[99:100], v[99:100], v[103:104], v[105:106]
	v_div_fixup_f64 v[103:104], v[99:100], v[97:98], 1.0
                                        ; implicit-def: $vgpr97_vgpr98
	v_mul_f64 v[101:102], v[101:102], v[103:104]
	v_xor_b32_e32 v104, 0x80000000, v104
.LBB111_464:
	s_andn2_saveexec_b64 s[2:3], s[2:3]
	s_cbranch_execz .LBB111_466
; %bb.465:
	v_div_scale_f64 v[101:102], s[6:7], v[97:98], v[97:98], v[99:100]
	v_rcp_f64_e32 v[103:104], v[101:102]
	v_fma_f64 v[105:106], -v[101:102], v[103:104], 1.0
	v_fma_f64 v[103:104], v[103:104], v[105:106], v[103:104]
	v_div_scale_f64 v[105:106], vcc, v[99:100], v[97:98], v[99:100]
	v_fma_f64 v[107:108], -v[101:102], v[103:104], 1.0
	v_fma_f64 v[103:104], v[103:104], v[107:108], v[103:104]
	v_mul_f64 v[107:108], v[105:106], v[103:104]
	v_fma_f64 v[101:102], -v[101:102], v[107:108], v[105:106]
	v_div_fmas_f64 v[101:102], v[101:102], v[103:104], v[107:108]
	v_div_fixup_f64 v[103:104], v[101:102], v[97:98], v[99:100]
	v_fma_f64 v[97:98], v[99:100], v[103:104], v[97:98]
	v_div_scale_f64 v[99:100], s[6:7], v[97:98], v[97:98], 1.0
	v_div_scale_f64 v[107:108], vcc, 1.0, v[97:98], 1.0
	v_rcp_f64_e32 v[101:102], v[99:100]
	v_fma_f64 v[105:106], -v[99:100], v[101:102], 1.0
	v_fma_f64 v[101:102], v[101:102], v[105:106], v[101:102]
	v_fma_f64 v[105:106], -v[99:100], v[101:102], 1.0
	v_fma_f64 v[101:102], v[101:102], v[105:106], v[101:102]
	v_mul_f64 v[105:106], v[107:108], v[101:102]
	v_fma_f64 v[99:100], -v[99:100], v[105:106], v[107:108]
	v_div_fmas_f64 v[99:100], v[99:100], v[101:102], v[105:106]
	v_div_fixup_f64 v[101:102], v[99:100], v[97:98], 1.0
	v_mul_f64 v[103:104], v[103:104], -v[101:102]
.LBB111_466:
	s_or_b64 exec, exec, s[2:3]
	ds_write2_b64 v127, v[101:102], v[103:104] offset1:1
.LBB111_467:
	s_or_b64 exec, exec, s[4:5]
	s_waitcnt lgkmcnt(0)
	s_barrier
	ds_read2_b64 v[41:44], v127 offset1:1
	v_cmp_lt_u32_e32 vcc, 51, v0
	s_and_saveexec_b64 s[2:3], vcc
	s_cbranch_execz .LBB111_469
; %bb.468:
	s_waitcnt lgkmcnt(0)
	v_mul_f64 v[97:98], v[41:42], v[15:16]
	v_mul_f64 v[15:16], v[43:44], v[15:16]
	v_fma_f64 v[101:102], v[43:44], v[13:14], v[97:98]
	ds_read2_b64 v[97:100], v125 offset0:104 offset1:105
	v_fma_f64 v[13:14], v[41:42], v[13:14], -v[15:16]
	s_waitcnt lgkmcnt(0)
	v_mul_f64 v[15:16], v[99:100], v[101:102]
	v_fma_f64 v[15:16], v[97:98], v[13:14], -v[15:16]
	v_mul_f64 v[97:98], v[97:98], v[101:102]
	v_add_f64 v[9:10], v[9:10], -v[15:16]
	v_fma_f64 v[97:98], v[99:100], v[13:14], v[97:98]
	v_add_f64 v[11:12], v[11:12], -v[97:98]
	ds_read2_b64 v[97:100], v125 offset0:106 offset1:107
	s_waitcnt lgkmcnt(0)
	v_mul_f64 v[15:16], v[99:100], v[101:102]
	v_fma_f64 v[15:16], v[97:98], v[13:14], -v[15:16]
	v_mul_f64 v[97:98], v[97:98], v[101:102]
	v_add_f64 v[5:6], v[5:6], -v[15:16]
	v_fma_f64 v[97:98], v[99:100], v[13:14], v[97:98]
	v_add_f64 v[7:8], v[7:8], -v[97:98]
	ds_read2_b64 v[97:100], v125 offset0:108 offset1:109
	;; [unrolled: 8-line block ×3, first 2 shown]
	s_waitcnt lgkmcnt(0)
	v_mul_f64 v[15:16], v[99:100], v[101:102]
	v_fma_f64 v[15:16], v[97:98], v[13:14], -v[15:16]
	v_mul_f64 v[97:98], v[97:98], v[101:102]
	v_add_f64 v[121:122], v[121:122], -v[15:16]
	v_fma_f64 v[97:98], v[99:100], v[13:14], v[97:98]
	v_mov_b32_e32 v15, v101
	v_mov_b32_e32 v16, v102
	v_add_f64 v[123:124], v[123:124], -v[97:98]
.LBB111_469:
	s_or_b64 exec, exec, s[2:3]
	v_cmp_eq_u32_e32 vcc, 52, v0
	s_waitcnt lgkmcnt(0)
	s_barrier
	s_and_saveexec_b64 s[4:5], vcc
	s_cbranch_execz .LBB111_476
; %bb.470:
	ds_write2_b64 v127, v[9:10], v[11:12] offset1:1
	ds_write2_b64 v125, v[5:6], v[7:8] offset0:106 offset1:107
	ds_write2_b64 v125, v[1:2], v[3:4] offset0:108 offset1:109
	;; [unrolled: 1-line block ×3, first 2 shown]
	ds_read2_b64 v[97:100], v127 offset1:1
	s_waitcnt lgkmcnt(0)
	v_cmp_neq_f64_e32 vcc, 0, v[97:98]
	v_cmp_neq_f64_e64 s[2:3], 0, v[99:100]
	s_or_b64 s[2:3], vcc, s[2:3]
	s_and_b64 exec, exec, s[2:3]
	s_cbranch_execz .LBB111_476
; %bb.471:
	v_cmp_ngt_f64_e64 s[2:3], |v[97:98]|, |v[99:100]|
                                        ; implicit-def: $vgpr101_vgpr102
	s_and_saveexec_b64 s[6:7], s[2:3]
	s_xor_b64 s[2:3], exec, s[6:7]
                                        ; implicit-def: $vgpr103_vgpr104
	s_cbranch_execz .LBB111_473
; %bb.472:
	v_div_scale_f64 v[101:102], s[6:7], v[99:100], v[99:100], v[97:98]
	v_rcp_f64_e32 v[103:104], v[101:102]
	v_fma_f64 v[105:106], -v[101:102], v[103:104], 1.0
	v_fma_f64 v[103:104], v[103:104], v[105:106], v[103:104]
	v_div_scale_f64 v[105:106], vcc, v[97:98], v[99:100], v[97:98]
	v_fma_f64 v[107:108], -v[101:102], v[103:104], 1.0
	v_fma_f64 v[103:104], v[103:104], v[107:108], v[103:104]
	v_mul_f64 v[107:108], v[105:106], v[103:104]
	v_fma_f64 v[101:102], -v[101:102], v[107:108], v[105:106]
	v_div_fmas_f64 v[101:102], v[101:102], v[103:104], v[107:108]
	v_div_fixup_f64 v[101:102], v[101:102], v[99:100], v[97:98]
	v_fma_f64 v[97:98], v[97:98], v[101:102], v[99:100]
	v_div_scale_f64 v[99:100], s[6:7], v[97:98], v[97:98], 1.0
	v_div_scale_f64 v[107:108], vcc, 1.0, v[97:98], 1.0
	v_rcp_f64_e32 v[103:104], v[99:100]
	v_fma_f64 v[105:106], -v[99:100], v[103:104], 1.0
	v_fma_f64 v[103:104], v[103:104], v[105:106], v[103:104]
	v_fma_f64 v[105:106], -v[99:100], v[103:104], 1.0
	v_fma_f64 v[103:104], v[103:104], v[105:106], v[103:104]
	v_mul_f64 v[105:106], v[107:108], v[103:104]
	v_fma_f64 v[99:100], -v[99:100], v[105:106], v[107:108]
	v_div_fmas_f64 v[99:100], v[99:100], v[103:104], v[105:106]
	v_div_fixup_f64 v[103:104], v[99:100], v[97:98], 1.0
                                        ; implicit-def: $vgpr97_vgpr98
	v_mul_f64 v[101:102], v[101:102], v[103:104]
	v_xor_b32_e32 v104, 0x80000000, v104
.LBB111_473:
	s_andn2_saveexec_b64 s[2:3], s[2:3]
	s_cbranch_execz .LBB111_475
; %bb.474:
	v_div_scale_f64 v[101:102], s[6:7], v[97:98], v[97:98], v[99:100]
	v_rcp_f64_e32 v[103:104], v[101:102]
	v_fma_f64 v[105:106], -v[101:102], v[103:104], 1.0
	v_fma_f64 v[103:104], v[103:104], v[105:106], v[103:104]
	v_div_scale_f64 v[105:106], vcc, v[99:100], v[97:98], v[99:100]
	v_fma_f64 v[107:108], -v[101:102], v[103:104], 1.0
	v_fma_f64 v[103:104], v[103:104], v[107:108], v[103:104]
	v_mul_f64 v[107:108], v[105:106], v[103:104]
	v_fma_f64 v[101:102], -v[101:102], v[107:108], v[105:106]
	v_div_fmas_f64 v[101:102], v[101:102], v[103:104], v[107:108]
	v_div_fixup_f64 v[103:104], v[101:102], v[97:98], v[99:100]
	v_fma_f64 v[97:98], v[99:100], v[103:104], v[97:98]
	v_div_scale_f64 v[99:100], s[6:7], v[97:98], v[97:98], 1.0
	v_div_scale_f64 v[107:108], vcc, 1.0, v[97:98], 1.0
	v_rcp_f64_e32 v[101:102], v[99:100]
	v_fma_f64 v[105:106], -v[99:100], v[101:102], 1.0
	v_fma_f64 v[101:102], v[101:102], v[105:106], v[101:102]
	v_fma_f64 v[105:106], -v[99:100], v[101:102], 1.0
	v_fma_f64 v[101:102], v[101:102], v[105:106], v[101:102]
	v_mul_f64 v[105:106], v[107:108], v[101:102]
	v_fma_f64 v[99:100], -v[99:100], v[105:106], v[107:108]
	v_div_fmas_f64 v[99:100], v[99:100], v[101:102], v[105:106]
	v_div_fixup_f64 v[101:102], v[99:100], v[97:98], 1.0
	v_mul_f64 v[103:104], v[103:104], -v[101:102]
.LBB111_475:
	s_or_b64 exec, exec, s[2:3]
	ds_write2_b64 v127, v[101:102], v[103:104] offset1:1
.LBB111_476:
	s_or_b64 exec, exec, s[4:5]
	s_waitcnt lgkmcnt(0)
	s_barrier
	ds_read2_b64 v[109:112], v127 offset1:1
	v_cmp_lt_u32_e32 vcc, 52, v0
	s_and_saveexec_b64 s[2:3], vcc
	s_cbranch_execz .LBB111_478
; %bb.477:
	s_waitcnt lgkmcnt(0)
	v_mul_f64 v[97:98], v[109:110], v[11:12]
	v_mul_f64 v[11:12], v[111:112], v[11:12]
	v_fma_f64 v[101:102], v[111:112], v[9:10], v[97:98]
	ds_read2_b64 v[97:100], v125 offset0:106 offset1:107
	v_fma_f64 v[9:10], v[109:110], v[9:10], -v[11:12]
	s_waitcnt lgkmcnt(0)
	v_mul_f64 v[11:12], v[99:100], v[101:102]
	v_fma_f64 v[11:12], v[97:98], v[9:10], -v[11:12]
	v_mul_f64 v[97:98], v[97:98], v[101:102]
	v_add_f64 v[5:6], v[5:6], -v[11:12]
	v_fma_f64 v[97:98], v[99:100], v[9:10], v[97:98]
	v_add_f64 v[7:8], v[7:8], -v[97:98]
	ds_read2_b64 v[97:100], v125 offset0:108 offset1:109
	s_waitcnt lgkmcnt(0)
	v_mul_f64 v[11:12], v[99:100], v[101:102]
	v_fma_f64 v[11:12], v[97:98], v[9:10], -v[11:12]
	v_mul_f64 v[97:98], v[97:98], v[101:102]
	v_add_f64 v[1:2], v[1:2], -v[11:12]
	v_fma_f64 v[97:98], v[99:100], v[9:10], v[97:98]
	v_add_f64 v[3:4], v[3:4], -v[97:98]
	ds_read2_b64 v[97:100], v125 offset0:110 offset1:111
	s_waitcnt lgkmcnt(0)
	v_mul_f64 v[11:12], v[99:100], v[101:102]
	v_fma_f64 v[11:12], v[97:98], v[9:10], -v[11:12]
	v_mul_f64 v[97:98], v[97:98], v[101:102]
	v_add_f64 v[121:122], v[121:122], -v[11:12]
	v_fma_f64 v[97:98], v[99:100], v[9:10], v[97:98]
	v_mov_b32_e32 v11, v101
	v_mov_b32_e32 v12, v102
	v_add_f64 v[123:124], v[123:124], -v[97:98]
.LBB111_478:
	s_or_b64 exec, exec, s[2:3]
	v_cmp_eq_u32_e32 vcc, 53, v0
	s_waitcnt lgkmcnt(0)
	s_barrier
	s_and_saveexec_b64 s[4:5], vcc
	s_cbranch_execz .LBB111_485
; %bb.479:
	ds_write2_b64 v127, v[5:6], v[7:8] offset1:1
	ds_write2_b64 v125, v[1:2], v[3:4] offset0:108 offset1:109
	ds_write2_b64 v125, v[121:122], v[123:124] offset0:110 offset1:111
	ds_read2_b64 v[97:100], v127 offset1:1
	s_waitcnt lgkmcnt(0)
	v_cmp_neq_f64_e32 vcc, 0, v[97:98]
	v_cmp_neq_f64_e64 s[2:3], 0, v[99:100]
	s_or_b64 s[2:3], vcc, s[2:3]
	s_and_b64 exec, exec, s[2:3]
	s_cbranch_execz .LBB111_485
; %bb.480:
	v_cmp_ngt_f64_e64 s[2:3], |v[97:98]|, |v[99:100]|
                                        ; implicit-def: $vgpr101_vgpr102
	s_and_saveexec_b64 s[6:7], s[2:3]
	s_xor_b64 s[2:3], exec, s[6:7]
                                        ; implicit-def: $vgpr103_vgpr104
	s_cbranch_execz .LBB111_482
; %bb.481:
	v_div_scale_f64 v[101:102], s[6:7], v[99:100], v[99:100], v[97:98]
	v_rcp_f64_e32 v[103:104], v[101:102]
	v_fma_f64 v[105:106], -v[101:102], v[103:104], 1.0
	v_fma_f64 v[103:104], v[103:104], v[105:106], v[103:104]
	v_div_scale_f64 v[105:106], vcc, v[97:98], v[99:100], v[97:98]
	v_fma_f64 v[107:108], -v[101:102], v[103:104], 1.0
	v_fma_f64 v[103:104], v[103:104], v[107:108], v[103:104]
	v_mul_f64 v[107:108], v[105:106], v[103:104]
	v_fma_f64 v[101:102], -v[101:102], v[107:108], v[105:106]
	v_div_fmas_f64 v[101:102], v[101:102], v[103:104], v[107:108]
	v_div_fixup_f64 v[101:102], v[101:102], v[99:100], v[97:98]
	v_fma_f64 v[97:98], v[97:98], v[101:102], v[99:100]
	v_div_scale_f64 v[99:100], s[6:7], v[97:98], v[97:98], 1.0
	v_div_scale_f64 v[107:108], vcc, 1.0, v[97:98], 1.0
	v_rcp_f64_e32 v[103:104], v[99:100]
	v_fma_f64 v[105:106], -v[99:100], v[103:104], 1.0
	v_fma_f64 v[103:104], v[103:104], v[105:106], v[103:104]
	v_fma_f64 v[105:106], -v[99:100], v[103:104], 1.0
	v_fma_f64 v[103:104], v[103:104], v[105:106], v[103:104]
	v_mul_f64 v[105:106], v[107:108], v[103:104]
	v_fma_f64 v[99:100], -v[99:100], v[105:106], v[107:108]
	v_div_fmas_f64 v[99:100], v[99:100], v[103:104], v[105:106]
	v_div_fixup_f64 v[103:104], v[99:100], v[97:98], 1.0
                                        ; implicit-def: $vgpr97_vgpr98
	v_mul_f64 v[101:102], v[101:102], v[103:104]
	v_xor_b32_e32 v104, 0x80000000, v104
.LBB111_482:
	s_andn2_saveexec_b64 s[2:3], s[2:3]
	s_cbranch_execz .LBB111_484
; %bb.483:
	v_div_scale_f64 v[101:102], s[6:7], v[97:98], v[97:98], v[99:100]
	v_rcp_f64_e32 v[103:104], v[101:102]
	v_fma_f64 v[105:106], -v[101:102], v[103:104], 1.0
	v_fma_f64 v[103:104], v[103:104], v[105:106], v[103:104]
	v_div_scale_f64 v[105:106], vcc, v[99:100], v[97:98], v[99:100]
	v_fma_f64 v[107:108], -v[101:102], v[103:104], 1.0
	v_fma_f64 v[103:104], v[103:104], v[107:108], v[103:104]
	v_mul_f64 v[107:108], v[105:106], v[103:104]
	v_fma_f64 v[101:102], -v[101:102], v[107:108], v[105:106]
	v_div_fmas_f64 v[101:102], v[101:102], v[103:104], v[107:108]
	v_div_fixup_f64 v[103:104], v[101:102], v[97:98], v[99:100]
	v_fma_f64 v[97:98], v[99:100], v[103:104], v[97:98]
	v_div_scale_f64 v[99:100], s[6:7], v[97:98], v[97:98], 1.0
	v_div_scale_f64 v[107:108], vcc, 1.0, v[97:98], 1.0
	v_rcp_f64_e32 v[101:102], v[99:100]
	v_fma_f64 v[105:106], -v[99:100], v[101:102], 1.0
	v_fma_f64 v[101:102], v[101:102], v[105:106], v[101:102]
	v_fma_f64 v[105:106], -v[99:100], v[101:102], 1.0
	v_fma_f64 v[101:102], v[101:102], v[105:106], v[101:102]
	v_mul_f64 v[105:106], v[107:108], v[101:102]
	v_fma_f64 v[99:100], -v[99:100], v[105:106], v[107:108]
	v_div_fmas_f64 v[99:100], v[99:100], v[101:102], v[105:106]
	v_div_fixup_f64 v[101:102], v[99:100], v[97:98], 1.0
	v_mul_f64 v[103:104], v[103:104], -v[101:102]
.LBB111_484:
	s_or_b64 exec, exec, s[2:3]
	ds_write2_b64 v127, v[101:102], v[103:104] offset1:1
.LBB111_485:
	s_or_b64 exec, exec, s[4:5]
	s_waitcnt lgkmcnt(0)
	s_barrier
	ds_read2_b64 v[101:104], v127 offset1:1
	v_cmp_lt_u32_e32 vcc, 53, v0
	s_and_saveexec_b64 s[2:3], vcc
	s_cbranch_execz .LBB111_487
; %bb.486:
	s_waitcnt lgkmcnt(0)
	v_mul_f64 v[97:98], v[101:102], v[7:8]
	v_mul_f64 v[7:8], v[103:104], v[7:8]
	v_fma_f64 v[105:106], v[103:104], v[5:6], v[97:98]
	ds_read2_b64 v[97:100], v125 offset0:108 offset1:109
	v_fma_f64 v[5:6], v[101:102], v[5:6], -v[7:8]
	s_waitcnt lgkmcnt(0)
	v_mul_f64 v[7:8], v[99:100], v[105:106]
	v_fma_f64 v[7:8], v[97:98], v[5:6], -v[7:8]
	v_mul_f64 v[97:98], v[97:98], v[105:106]
	v_add_f64 v[1:2], v[1:2], -v[7:8]
	v_fma_f64 v[97:98], v[99:100], v[5:6], v[97:98]
	v_add_f64 v[3:4], v[3:4], -v[97:98]
	ds_read2_b64 v[97:100], v125 offset0:110 offset1:111
	s_waitcnt lgkmcnt(0)
	v_mul_f64 v[7:8], v[99:100], v[105:106]
	v_fma_f64 v[7:8], v[97:98], v[5:6], -v[7:8]
	v_mul_f64 v[97:98], v[97:98], v[105:106]
	v_add_f64 v[121:122], v[121:122], -v[7:8]
	v_fma_f64 v[97:98], v[99:100], v[5:6], v[97:98]
	v_mov_b32_e32 v7, v105
	v_mov_b32_e32 v8, v106
	v_add_f64 v[123:124], v[123:124], -v[97:98]
.LBB111_487:
	s_or_b64 exec, exec, s[2:3]
	s_waitcnt lgkmcnt(0)
	s_barrier
	v_cmp_eq_u32_e32 vcc, 54, v0
	s_mov_b64 s[4:5], exec
	s_and_b64 s[2:3], s[4:5], vcc
	buffer_store_dword v91, off, s[20:23], 0 offset:1104 ; 4-byte Folded Spill
	s_nop 0
	buffer_store_dword v92, off, s[20:23], 0 offset:1108 ; 4-byte Folded Spill
	buffer_store_dword v93, off, s[20:23], 0 offset:1112 ; 4-byte Folded Spill
	;; [unrolled: 1-line block ×3, first 2 shown]
	s_mov_b64 exec, s[2:3]
	s_cbranch_execz .LBB111_494
; %bb.488:
	ds_write2_b64 v127, v[1:2], v[3:4] offset1:1
	ds_write2_b64 v125, v[121:122], v[123:124] offset0:110 offset1:111
	ds_read2_b64 v[97:100], v127 offset1:1
	s_waitcnt lgkmcnt(0)
	v_cmp_neq_f64_e32 vcc, 0, v[97:98]
	v_cmp_neq_f64_e64 s[2:3], 0, v[99:100]
	s_or_b64 s[2:3], vcc, s[2:3]
	s_and_b64 exec, exec, s[2:3]
	s_cbranch_execz .LBB111_494
; %bb.489:
	v_cmp_ngt_f64_e64 s[2:3], |v[97:98]|, |v[99:100]|
                                        ; implicit-def: $vgpr105_vgpr106
	s_and_saveexec_b64 s[6:7], s[2:3]
	s_xor_b64 s[2:3], exec, s[6:7]
                                        ; implicit-def: $vgpr107_vgpr108
	s_cbranch_execz .LBB111_491
; %bb.490:
	v_div_scale_f64 v[105:106], s[6:7], v[99:100], v[99:100], v[97:98]
	v_div_scale_f64 v[95:96], vcc, v[97:98], v[99:100], v[97:98]
	v_rcp_f64_e32 v[107:108], v[105:106]
	v_fma_f64 v[93:94], -v[105:106], v[107:108], 1.0
	v_fma_f64 v[93:94], v[107:108], v[93:94], v[107:108]
	v_fma_f64 v[107:108], -v[105:106], v[93:94], 1.0
	v_fma_f64 v[93:94], v[93:94], v[107:108], v[93:94]
	v_mul_f64 v[107:108], v[95:96], v[93:94]
	v_fma_f64 v[95:96], -v[105:106], v[107:108], v[95:96]
	v_div_fmas_f64 v[93:94], v[95:96], v[93:94], v[107:108]
	v_div_fixup_f64 v[93:94], v[93:94], v[99:100], v[97:98]
	v_fma_f64 v[95:96], v[97:98], v[93:94], v[99:100]
	v_div_scale_f64 v[97:98], s[6:7], v[95:96], v[95:96], 1.0
	v_div_scale_f64 v[107:108], vcc, 1.0, v[95:96], 1.0
	v_rcp_f64_e32 v[99:100], v[97:98]
	v_fma_f64 v[105:106], -v[97:98], v[99:100], 1.0
	v_fma_f64 v[99:100], v[99:100], v[105:106], v[99:100]
	v_fma_f64 v[105:106], -v[97:98], v[99:100], 1.0
	v_fma_f64 v[99:100], v[99:100], v[105:106], v[99:100]
	v_mul_f64 v[105:106], v[107:108], v[99:100]
	v_fma_f64 v[97:98], -v[97:98], v[105:106], v[107:108]
	v_div_fmas_f64 v[97:98], v[97:98], v[99:100], v[105:106]
	v_div_fixup_f64 v[107:108], v[97:98], v[95:96], 1.0
                                        ; implicit-def: $vgpr97_vgpr98
	v_mul_f64 v[105:106], v[93:94], v[107:108]
	v_xor_b32_e32 v108, 0x80000000, v108
.LBB111_491:
	s_andn2_saveexec_b64 s[2:3], s[2:3]
	s_cbranch_execz .LBB111_493
; %bb.492:
	v_div_scale_f64 v[93:94], s[6:7], v[97:98], v[97:98], v[99:100]
	v_rcp_f64_e32 v[95:96], v[93:94]
	v_fma_f64 v[105:106], -v[93:94], v[95:96], 1.0
	v_fma_f64 v[95:96], v[95:96], v[105:106], v[95:96]
	v_div_scale_f64 v[105:106], vcc, v[99:100], v[97:98], v[99:100]
	v_fma_f64 v[107:108], -v[93:94], v[95:96], 1.0
	v_fma_f64 v[95:96], v[95:96], v[107:108], v[95:96]
	v_mul_f64 v[107:108], v[105:106], v[95:96]
	v_fma_f64 v[93:94], -v[93:94], v[107:108], v[105:106]
	v_div_fmas_f64 v[93:94], v[93:94], v[95:96], v[107:108]
	v_div_fixup_f64 v[93:94], v[93:94], v[97:98], v[99:100]
	v_fma_f64 v[95:96], v[99:100], v[93:94], v[97:98]
	v_div_scale_f64 v[97:98], s[6:7], v[95:96], v[95:96], 1.0
	v_div_scale_f64 v[107:108], vcc, 1.0, v[95:96], 1.0
	v_rcp_f64_e32 v[99:100], v[97:98]
	v_fma_f64 v[105:106], -v[97:98], v[99:100], 1.0
	v_fma_f64 v[99:100], v[99:100], v[105:106], v[99:100]
	v_fma_f64 v[105:106], -v[97:98], v[99:100], 1.0
	v_fma_f64 v[99:100], v[99:100], v[105:106], v[99:100]
	v_mul_f64 v[105:106], v[107:108], v[99:100]
	v_fma_f64 v[97:98], -v[97:98], v[105:106], v[107:108]
	v_div_fmas_f64 v[97:98], v[97:98], v[99:100], v[105:106]
	v_div_fixup_f64 v[105:106], v[97:98], v[95:96], 1.0
	v_mul_f64 v[107:108], v[93:94], -v[105:106]
.LBB111_493:
	s_or_b64 exec, exec, s[2:3]
	ds_write2_b64 v127, v[105:106], v[107:108] offset1:1
.LBB111_494:
	s_or_b64 exec, exec, s[4:5]
	s_waitcnt vmcnt(0) lgkmcnt(0)
	s_barrier
	ds_read2_b64 v[97:100], v127 offset1:1
	v_cmp_lt_u32_e32 vcc, 54, v0
	s_and_saveexec_b64 s[2:3], vcc
	s_cbranch_execz .LBB111_496
; %bb.495:
	s_waitcnt lgkmcnt(0)
	v_mul_f64 v[93:94], v[97:98], v[3:4]
	v_mul_f64 v[3:4], v[99:100], v[3:4]
	ds_read2_b64 v[105:108], v125 offset0:110 offset1:111
	v_fma_f64 v[93:94], v[99:100], v[1:2], v[93:94]
	v_fma_f64 v[1:2], v[97:98], v[1:2], -v[3:4]
	s_waitcnt lgkmcnt(0)
	v_mul_f64 v[3:4], v[107:108], v[93:94]
	v_mul_f64 v[95:96], v[105:106], v[93:94]
	v_fma_f64 v[3:4], v[105:106], v[1:2], -v[3:4]
	v_fma_f64 v[95:96], v[107:108], v[1:2], v[95:96]
	v_add_f64 v[121:122], v[121:122], -v[3:4]
	v_add_f64 v[123:124], v[123:124], -v[95:96]
	v_mov_b32_e32 v3, v93
	v_mov_b32_e32 v4, v94
.LBB111_496:
	s_or_b64 exec, exec, s[2:3]
	v_cmp_eq_u32_e32 vcc, 55, v0
	s_waitcnt lgkmcnt(0)
	s_barrier
	s_and_saveexec_b64 s[4:5], vcc
	s_cbranch_execz .LBB111_503
; %bb.497:
	v_cmp_neq_f64_e32 vcc, 0, v[121:122]
	v_cmp_neq_f64_e64 s[2:3], 0, v[123:124]
	ds_write2_b64 v127, v[121:122], v[123:124] offset1:1
	s_or_b64 s[2:3], vcc, s[2:3]
	s_and_b64 exec, exec, s[2:3]
	s_cbranch_execz .LBB111_503
; %bb.498:
	v_cmp_ngt_f64_e64 s[2:3], |v[121:122]|, |v[123:124]|
                                        ; implicit-def: $vgpr105_vgpr106
	s_and_saveexec_b64 s[6:7], s[2:3]
	s_xor_b64 s[2:3], exec, s[6:7]
                                        ; implicit-def: $vgpr107_vgpr108
	s_cbranch_execz .LBB111_500
; %bb.499:
	v_div_scale_f64 v[93:94], s[6:7], v[123:124], v[123:124], v[121:122]
	v_mov_b32_e32 v92, v88
	v_mov_b32_e32 v91, v87
	v_mov_b32_e32 v90, v86
	v_mov_b32_e32 v89, v85
	v_mov_b32_e32 v85, v117
	v_mov_b32_e32 v86, v118
	v_mov_b32_e32 v87, v119
	v_mov_b32_e32 v88, v120
	v_mov_b32_e32 v45, v49
	v_mov_b32_e32 v46, v50
	v_mov_b32_e32 v47, v51
	v_mov_b32_e32 v48, v52
	v_mov_b32_e32 v49, v53
	v_mov_b32_e32 v52, v56
	v_rcp_f64_e32 v[95:96], v[93:94]
	v_mov_b32_e32 v50, v54
	v_mov_b32_e32 v51, v55
	;; [unrolled: 1-line block ×10, first 2 shown]
	v_fma_f64 v[105:106], -v[93:94], v[95:96], 1.0
	v_fma_f64 v[95:96], v[95:96], v[105:106], v[95:96]
	v_div_scale_f64 v[105:106], vcc, v[121:122], v[123:124], v[121:122]
	v_fma_f64 v[107:108], -v[93:94], v[95:96], 1.0
	v_fma_f64 v[95:96], v[95:96], v[107:108], v[95:96]
	v_mul_f64 v[107:108], v[105:106], v[95:96]
	v_fma_f64 v[93:94], -v[93:94], v[107:108], v[105:106]
	v_div_fmas_f64 v[93:94], v[93:94], v[95:96], v[107:108]
	v_div_fixup_f64 v[93:94], v[93:94], v[123:124], v[121:122]
	v_fma_f64 v[95:96], v[121:122], v[93:94], v[123:124]
	v_div_scale_f64 v[105:106], s[6:7], v[95:96], v[95:96], 1.0
	v_div_scale_f64 v[117:118], vcc, 1.0, v[95:96], 1.0
	v_rcp_f64_e32 v[107:108], v[105:106]
	v_fma_f64 v[125:126], -v[105:106], v[107:108], 1.0
	v_fma_f64 v[107:108], v[107:108], v[125:126], v[107:108]
	v_fma_f64 v[125:126], -v[105:106], v[107:108], 1.0
	v_fma_f64 v[107:108], v[107:108], v[125:126], v[107:108]
	v_mul_f64 v[119:120], v[117:118], v[107:108]
	v_fma_f64 v[105:106], -v[105:106], v[119:120], v[117:118]
	v_div_fmas_f64 v[105:106], v[105:106], v[107:108], v[119:120]
	v_mov_b32_e32 v120, v88
	v_mov_b32_e32 v119, v87
	;; [unrolled: 1-line block ×8, first 2 shown]
	v_div_fixup_f64 v[107:108], v[105:106], v[95:96], 1.0
	v_mul_f64 v[105:106], v[93:94], v[107:108]
	v_xor_b32_e32 v108, 0x80000000, v108
.LBB111_500:
	s_andn2_saveexec_b64 s[2:3], s[2:3]
	s_cbranch_execz .LBB111_502
; %bb.501:
	v_div_scale_f64 v[93:94], s[6:7], v[121:122], v[121:122], v[123:124]
	v_mov_b32_e32 v92, v88
	v_mov_b32_e32 v91, v87
	;; [unrolled: 1-line block ×14, first 2 shown]
	v_rcp_f64_e32 v[95:96], v[93:94]
	v_mov_b32_e32 v83, v79
	v_mov_b32_e32 v82, v78
	;; [unrolled: 1-line block ×15, first 2 shown]
	v_fma_f64 v[105:106], -v[93:94], v[95:96], 1.0
	v_mov_b32_e32 v77, v81
	v_mov_b32_e32 v55, v51
	;; [unrolled: 1-line block ×7, first 2 shown]
	v_fma_f64 v[95:96], v[95:96], v[105:106], v[95:96]
	v_div_scale_f64 v[105:106], vcc, v[123:124], v[121:122], v[123:124]
	v_mov_b32_e32 v80, v84
	v_mov_b32_e32 v51, v47
	;; [unrolled: 1-line block ×4, first 2 shown]
	v_fma_f64 v[107:108], -v[93:94], v[95:96], 1.0
	v_fma_f64 v[95:96], v[95:96], v[107:108], v[95:96]
	v_mul_f64 v[107:108], v[105:106], v[95:96]
	v_fma_f64 v[93:94], -v[93:94], v[107:108], v[105:106]
	v_div_fmas_f64 v[93:94], v[93:94], v[95:96], v[107:108]
	v_div_fixup_f64 v[93:94], v[93:94], v[121:122], v[123:124]
	v_fma_f64 v[95:96], v[123:124], v[93:94], v[121:122]
	v_div_scale_f64 v[105:106], s[6:7], v[95:96], v[95:96], 1.0
	v_div_scale_f64 v[119:120], vcc, 1.0, v[95:96], 1.0
	v_rcp_f64_e32 v[107:108], v[105:106]
	v_fma_f64 v[117:118], -v[105:106], v[107:108], 1.0
	v_fma_f64 v[107:108], v[107:108], v[117:118], v[107:108]
	v_fma_f64 v[117:118], -v[105:106], v[107:108], 1.0
	v_fma_f64 v[107:108], v[107:108], v[117:118], v[107:108]
	v_mul_f64 v[117:118], v[119:120], v[107:108]
	v_fma_f64 v[105:106], -v[105:106], v[117:118], v[119:120]
	v_div_fmas_f64 v[105:106], v[105:106], v[107:108], v[117:118]
	v_mov_b32_e32 v120, v88
	v_mov_b32_e32 v119, v87
	;; [unrolled: 1-line block ×8, first 2 shown]
	v_div_fixup_f64 v[105:106], v[105:106], v[95:96], 1.0
	v_mul_f64 v[107:108], v[93:94], -v[105:106]
.LBB111_502:
	s_or_b64 exec, exec, s[2:3]
	ds_write2_b64 v127, v[105:106], v[107:108] offset1:1
.LBB111_503:
	s_or_b64 exec, exec, s[4:5]
	s_waitcnt lgkmcnt(0)
	s_barrier
	ds_read2_b64 v[105:108], v127 offset1:1
	s_waitcnt lgkmcnt(0)
	s_barrier
	s_and_saveexec_b64 s[2:3], s[0:1]
	s_cbranch_execz .LBB111_506
; %bb.504:
	buffer_load_dword v91, off, s[20:23], 0 offset:1136 ; 4-byte Folded Reload
	buffer_load_dword v92, off, s[20:23], 0 offset:1140 ; 4-byte Folded Reload
	;; [unrolled: 1-line block ×4, first 2 shown]
	v_mov_b32_e32 v45, v73
	buffer_load_dword v81, off, s[20:23], 0 offset:1760 ; 4-byte Folded Reload
	buffer_load_dword v82, off, s[20:23], 0 offset:1764 ; 4-byte Folded Reload
	buffer_load_dword v83, off, s[20:23], 0 offset:1768 ; 4-byte Folded Reload
	buffer_load_dword v84, off, s[20:23], 0 offset:1772 ; 4-byte Folded Reload
	s_nop 0
	buffer_store_dword v69, off, s[20:23], 0 offset:1832 ; 4-byte Folded Spill
	s_nop 0
	buffer_store_dword v70, off, s[20:23], 0 offset:1836 ; 4-byte Folded Spill
	buffer_store_dword v71, off, s[20:23], 0 offset:1840 ; 4-byte Folded Spill
	;; [unrolled: 1-line block ×3, first 2 shown]
	v_mov_b32_e32 v46, v74
	v_mov_b32_e32 v47, v75
	;; [unrolled: 1-line block ×4, first 2 shown]
	buffer_load_dword v69, off, s[20:23], 0 offset:1744 ; 4-byte Folded Reload
	buffer_load_dword v70, off, s[20:23], 0 offset:1748 ; 4-byte Folded Reload
	;; [unrolled: 1-line block ×4, first 2 shown]
	v_mov_b32_e32 v74, v114
	v_mov_b32_e32 v75, v115
	;; [unrolled: 1-line block ×3, first 2 shown]
	buffer_load_dword v113, off, s[20:23], 0 offset:1712 ; 4-byte Folded Reload
	buffer_load_dword v114, off, s[20:23], 0 offset:1716 ; 4-byte Folded Reload
	;; [unrolled: 1-line block ×8, first 2 shown]
	s_nop 0
	buffer_store_dword v77, off, s[20:23], 0 offset:1136 ; 4-byte Folded Spill
	s_nop 0
	buffer_store_dword v78, off, s[20:23], 0 offset:1140 ; 4-byte Folded Spill
	buffer_store_dword v79, off, s[20:23], 0 offset:1144 ; 4-byte Folded Spill
	;; [unrolled: 1-line block ×3, first 2 shown]
	v_mov_b32_e32 v77, v85
	v_mov_b32_e32 v78, v86
	;; [unrolled: 1-line block ×4, first 2 shown]
	buffer_load_dword v87, off, s[20:23], 0 offset:1152 ; 4-byte Folded Reload
	buffer_load_dword v88, off, s[20:23], 0 offset:1156 ; 4-byte Folded Reload
	;; [unrolled: 1-line block ×4, first 2 shown]
	s_waitcnt vmcnt(30)
	v_cmp_eq_f64_e32 vcc, 0, v[91:92]
	s_waitcnt vmcnt(28)
	v_cmp_eq_f64_e64 s[0:1], 0, v[93:94]
	s_and_b64 s[4:5], vcc, s[0:1]
	v_cndmask_b32_e64 v93, 0, 1, s[4:5]
	s_waitcnt vmcnt(2)
	v_cmp_neq_f64_e32 vcc, 0, v[87:88]
	s_waitcnt vmcnt(0)
	v_cmp_neq_f64_e64 s[0:1], 0, v[89:90]
	buffer_load_dword v87, off, s[20:23], 0 offset:1176 ; 4-byte Folded Reload
	buffer_load_dword v88, off, s[20:23], 0 offset:1180 ; 4-byte Folded Reload
	;; [unrolled: 1-line block ×4, first 2 shown]
	s_or_b64 s[0:1], vcc, s[0:1]
	s_or_b64 vcc, s[0:1], s[4:5]
	v_cndmask_b32_e32 v93, 2, v93, vcc
	s_waitcnt vmcnt(2)
	v_cmp_eq_f64_e32 vcc, 0, v[87:88]
	s_waitcnt vmcnt(0)
	v_cmp_eq_f64_e64 s[0:1], 0, v[89:90]
	buffer_load_dword v87, off, s[20:23], 0 offset:1192 ; 4-byte Folded Reload
	buffer_load_dword v88, off, s[20:23], 0 offset:1196 ; 4-byte Folded Reload
	buffer_load_dword v89, off, s[20:23], 0 offset:1200 ; 4-byte Folded Reload
	buffer_load_dword v90, off, s[20:23], 0 offset:1204 ; 4-byte Folded Reload
	s_and_b64 s[0:1], vcc, s[0:1]
	v_cmp_eq_u32_e32 vcc, 0, v93
	s_and_b64 s[0:1], s[0:1], vcc
	v_cndmask_b32_e64 v93, v93, 3, s[0:1]
	s_waitcnt vmcnt(2)
	v_cmp_eq_f64_e32 vcc, 0, v[87:88]
	s_waitcnt vmcnt(0)
	v_cmp_eq_f64_e64 s[0:1], 0, v[89:90]
	buffer_load_dword v87, off, s[20:23], 0 offset:1208 ; 4-byte Folded Reload
	buffer_load_dword v88, off, s[20:23], 0 offset:1212 ; 4-byte Folded Reload
	buffer_load_dword v89, off, s[20:23], 0 offset:1216 ; 4-byte Folded Reload
	buffer_load_dword v90, off, s[20:23], 0 offset:1220 ; 4-byte Folded Reload
	s_and_b64 s[0:1], vcc, s[0:1]
	v_cmp_eq_u32_e32 vcc, 0, v93
	s_and_b64 s[0:1], s[0:1], vcc
	v_cndmask_b32_e64 v93, v93, 4, s[0:1]
	;; [unrolled: 12-line block ×31, first 2 shown]
	s_waitcnt vmcnt(2)
	v_cmp_eq_f64_e32 vcc, 0, v[87:88]
	s_waitcnt vmcnt(0)
	v_cmp_eq_f64_e64 s[0:1], 0, v[89:90]
	s_and_b64 s[0:1], vcc, s[0:1]
	v_cmp_eq_u32_e32 vcc, 0, v93
	s_and_b64 s[0:1], s[0:1], vcc
	v_cndmask_b32_e64 v93, v93, 34, s[0:1]
	v_cmp_eq_f64_e32 vcc, 0, v[113:114]
	v_cmp_eq_f64_e64 s[0:1], 0, v[115:116]
	s_and_b64 s[0:1], vcc, s[0:1]
	v_cmp_eq_u32_e32 vcc, 0, v93
	s_and_b64 s[0:1], s[0:1], vcc
	v_cndmask_b32_e64 v93, v93, 35, s[0:1]
	v_cmp_eq_f64_e32 vcc, 0, v[117:118]
	;; [unrolled: 6-line block ×7, first 2 shown]
	v_cmp_eq_f64_e64 s[0:1], 0, v[83:84]
	buffer_load_dword v81, off, s[20:23], 0 offset:1776 ; 4-byte Folded Reload
	buffer_load_dword v82, off, s[20:23], 0 offset:1780 ; 4-byte Folded Reload
	;; [unrolled: 1-line block ×4, first 2 shown]
	s_and_b64 s[0:1], vcc, s[0:1]
	v_cmp_eq_u32_e32 vcc, 0, v93
	s_and_b64 s[0:1], s[0:1], vcc
	v_cndmask_b32_e64 v93, v93, 41, s[0:1]
	s_waitcnt vmcnt(2)
	v_cmp_eq_f64_e32 vcc, 0, v[81:82]
	s_waitcnt vmcnt(0)
	v_cmp_eq_f64_e64 s[0:1], 0, v[83:84]
	buffer_load_dword v81, off, s[20:23], 0 offset:1832 ; 4-byte Folded Reload
	buffer_load_dword v82, off, s[20:23], 0 offset:1836 ; 4-byte Folded Reload
	buffer_load_dword v83, off, s[20:23], 0 offset:1840 ; 4-byte Folded Reload
	buffer_load_dword v84, off, s[20:23], 0 offset:1844 ; 4-byte Folded Reload
	s_and_b64 s[0:1], vcc, s[0:1]
	v_cmp_eq_u32_e32 vcc, 0, v93
	s_and_b64 s[0:1], s[0:1], vcc
	v_cndmask_b32_e64 v93, v93, 42, s[0:1]
	s_waitcnt vmcnt(2)
	v_cmp_eq_f64_e32 vcc, 0, v[81:82]
	s_waitcnt vmcnt(0)
	v_cmp_eq_f64_e64 s[0:1], 0, v[83:84]
	buffer_load_dword v81, off, s[20:23], 0 offset:1136 ; 4-byte Folded Reload
	buffer_load_dword v82, off, s[20:23], 0 offset:1140 ; 4-byte Folded Reload
	;; [unrolled: 1-line block ×4, first 2 shown]
	s_and_b64 s[0:1], vcc, s[0:1]
	v_cmp_eq_u32_e32 vcc, 0, v93
	s_and_b64 s[0:1], s[0:1], vcc
	v_cndmask_b32_e64 v93, v93, 43, s[0:1]
	v_cmp_eq_f64_e32 vcc, 0, v[45:46]
	v_cmp_eq_f64_e64 s[0:1], 0, v[47:48]
	buffer_load_dword v45, off, s[20:23], 0 offset:1792 ; 4-byte Folded Reload
	buffer_load_dword v46, off, s[20:23], 0 offset:1796 ; 4-byte Folded Reload
	;; [unrolled: 1-line block ×4, first 2 shown]
	s_and_b64 s[0:1], vcc, s[0:1]
	v_cmp_eq_u32_e32 vcc, 0, v93
	s_and_b64 s[0:1], s[0:1], vcc
	v_cndmask_b32_e64 v93, v93, 44, s[0:1]
	s_waitcnt vmcnt(6)
	v_cmp_eq_f64_e32 vcc, 0, v[81:82]
	s_waitcnt vmcnt(4)
	v_cmp_eq_f64_e64 s[0:1], 0, v[83:84]
	s_and_b64 s[0:1], vcc, s[0:1]
	v_cmp_eq_u32_e32 vcc, 0, v93
	s_and_b64 s[0:1], s[0:1], vcc
	v_cndmask_b32_e64 v93, v93, 45, s[0:1]
	s_waitcnt vmcnt(2)
	v_cmp_eq_f64_e32 vcc, 0, v[45:46]
	s_waitcnt vmcnt(0)
	v_cmp_eq_f64_e64 s[0:1], 0, v[47:48]
	buffer_load_dword v45, off, s[20:23], 0 offset:1808 ; 4-byte Folded Reload
	buffer_load_dword v46, off, s[20:23], 0 offset:1812 ; 4-byte Folded Reload
	;; [unrolled: 1-line block ×6, first 2 shown]
	s_and_b64 s[0:1], vcc, s[0:1]
	v_cmp_eq_u32_e32 vcc, 0, v93
	s_and_b64 s[0:1], s[0:1], vcc
	v_cndmask_b32_e64 v93, v93, 46, s[0:1]
	s_waitcnt vmcnt(4)
	v_cmp_eq_f64_e32 vcc, 0, v[45:46]
	s_waitcnt vmcnt(2)
	v_cmp_eq_f64_e64 s[0:1], 0, v[47:48]
	s_and_b64 s[0:1], vcc, s[0:1]
	v_cmp_eq_u32_e32 vcc, 0, v93
	s_and_b64 s[0:1], s[0:1], vcc
	v_cndmask_b32_e64 v93, v93, 47, s[0:1]
	v_cmp_eq_f64_e32 vcc, 0, v[61:62]
	v_cmp_eq_f64_e64 s[0:1], 0, v[63:64]
	s_and_b64 s[0:1], vcc, s[0:1]
	v_cmp_eq_u32_e32 vcc, 0, v93
	s_and_b64 s[0:1], s[0:1], vcc
	v_cndmask_b32_e64 v93, v93, 48, s[0:1]
	v_cmp_eq_f64_e32 vcc, 0, v[57:58]
	;; [unrolled: 6-line block ×9, first 2 shown]
	v_cmp_eq_f64_e64 s[0:1], 0, v[107:108]
	s_and_b64 s[0:1], vcc, s[0:1]
	v_cmp_eq_u32_e32 vcc, 0, v93
	s_and_b64 s[0:1], s[0:1], vcc
	v_cndmask_b32_e64 v99, v93, 56, s[0:1]
	s_waitcnt vmcnt(0)
	v_lshlrev_b64 v[93:94], 2, v[87:88]
	v_cmp_ne_u32_e64 s[0:1], 0, v99
	v_add_co_u32_e32 v97, vcc, s10, v93
	v_mov_b32_e32 v93, s11
	v_addc_co_u32_e32 v98, vcc, v93, v94, vcc
	global_load_dword v93, v[97:98], off
	s_waitcnt vmcnt(0)
	v_cmp_eq_u32_e32 vcc, 0, v93
	s_and_b64 s[0:1], vcc, s[0:1]
	s_and_b64 exec, exec, s[0:1]
	s_cbranch_execz .LBB111_506
; %bb.505:
	v_add_u32_e32 v93, s13, v99
	global_store_dword v[97:98], v93, off
.LBB111_506:
	s_or_b64 exec, exec, s[2:3]
	buffer_load_dword v87, off, s[20:23], 0 offset:1120 ; 4-byte Folded Reload
	buffer_load_dword v88, off, s[20:23], 0 offset:1124 ; 4-byte Folded Reload
	;; [unrolled: 1-line block ×6, first 2 shown]
	v_cmp_lt_u32_e32 vcc, 55, v0
	v_mul_f64 v[95:96], v[107:108], v[123:124]
	v_fma_f64 v[95:96], v[105:106], v[121:122], -v[95:96]
	v_cndmask_b32_e32 v98, v122, v96, vcc
	v_cndmask_b32_e32 v97, v121, v95, vcc
	s_waitcnt vmcnt(0)
	global_store_dwordx4 v[87:88], v[91:94], off
	buffer_load_dword v87, off, s[20:23], 0 offset:1128 ; 4-byte Folded Reload
	s_nop 0
	buffer_load_dword v88, off, s[20:23], 0 offset:1132 ; 4-byte Folded Reload
	buffer_load_dword v91, off, s[20:23], 0 offset:672 ; 4-byte Folded Reload
	buffer_load_dword v92, off, s[20:23], 0 offset:676 ; 4-byte Folded Reload
	buffer_load_dword v93, off, s[20:23], 0 offset:680 ; 4-byte Folded Reload
	buffer_load_dword v94, off, s[20:23], 0 offset:684 ; 4-byte Folded Reload
	s_waitcnt vmcnt(0)
	global_store_dwordx4 v[87:88], v[91:94], off
	buffer_load_dword v87, off, s[20:23], 0 offset:1080 ; 4-byte Folded Reload
	s_nop 0
	buffer_load_dword v88, off, s[20:23], 0 offset:1084 ; 4-byte Folded Reload
	buffer_load_dword v91, off, s[20:23], 0 offset:656 ; 4-byte Folded Reload
	buffer_load_dword v92, off, s[20:23], 0 offset:660 ; 4-byte Folded Reload
	buffer_load_dword v93, off, s[20:23], 0 offset:664 ; 4-byte Folded Reload
	buffer_load_dword v94, off, s[20:23], 0 offset:668 ; 4-byte Folded Reload
	s_waitcnt vmcnt(0)
	global_store_dwordx4 v[87:88], v[91:94], off
	buffer_load_dword v87, off, s[20:23], 0 offset:1088 ; 4-byte Folded Reload
	s_nop 0
	buffer_load_dword v88, off, s[20:23], 0 offset:1092 ; 4-byte Folded Reload
	buffer_load_dword v91, off, s[20:23], 0 offset:640 ; 4-byte Folded Reload
	buffer_load_dword v92, off, s[20:23], 0 offset:644 ; 4-byte Folded Reload
	buffer_load_dword v93, off, s[20:23], 0 offset:648 ; 4-byte Folded Reload
	buffer_load_dword v94, off, s[20:23], 0 offset:652 ; 4-byte Folded Reload
	s_waitcnt vmcnt(0)
	global_store_dwordx4 v[87:88], v[91:94], off
	buffer_load_dword v87, off, s[20:23], 0 offset:1096 ; 4-byte Folded Reload
	s_nop 0
	buffer_load_dword v88, off, s[20:23], 0 offset:1100 ; 4-byte Folded Reload
	buffer_load_dword v91, off, s[20:23], 0 offset:624 ; 4-byte Folded Reload
	buffer_load_dword v92, off, s[20:23], 0 offset:628 ; 4-byte Folded Reload
	buffer_load_dword v93, off, s[20:23], 0 offset:632 ; 4-byte Folded Reload
	buffer_load_dword v94, off, s[20:23], 0 offset:636 ; 4-byte Folded Reload
	s_waitcnt vmcnt(0)
	global_store_dwordx4 v[87:88], v[91:94], off
	buffer_load_dword v91, off, s[20:23], 0 offset:608 ; 4-byte Folded Reload
	s_nop 0
	buffer_load_dword v92, off, s[20:23], 0 offset:612 ; 4-byte Folded Reload
	buffer_load_dword v93, off, s[20:23], 0 offset:616 ; 4-byte Folded Reload
	buffer_load_dword v94, off, s[20:23], 0 offset:620 ; 4-byte Folded Reload
	buffer_load_dword v87, off, s[20:23], 0 offset:1168 ; 4-byte Folded Reload
	buffer_load_dword v88, off, s[20:23], 0 offset:1172 ; 4-byte Folded Reload
	s_waitcnt vmcnt(0)
	global_store_dwordx4 v[87:88], v[91:94], off
	buffer_load_dword v87, off, s[20:23], 0 offset:704 ; 4-byte Folded Reload
	s_nop 0
	buffer_load_dword v88, off, s[20:23], 0 offset:708 ; 4-byte Folded Reload
	buffer_load_dword v89, off, s[20:23], 0 offset:592 ; 4-byte Folded Reload
	buffer_load_dword v90, off, s[20:23], 0 offset:596 ; 4-byte Folded Reload
	buffer_load_dword v91, off, s[20:23], 0 offset:600 ; 4-byte Folded Reload
	buffer_load_dword v92, off, s[20:23], 0 offset:604 ; 4-byte Folded Reload
	v_mul_f64 v[93:94], v[105:106], v[123:124]
	v_fma_f64 v[93:94], v[107:108], v[121:122], v[93:94]
	v_cndmask_b32_e32 v100, v124, v94, vcc
	v_cndmask_b32_e32 v99, v123, v93, vcc
	s_waitcnt vmcnt(0)
	global_store_dwordx4 v[87:88], v[89:92], off
	buffer_load_dword v87, off, s[20:23], 0 offset:576 ; 4-byte Folded Reload
	s_nop 0
	buffer_load_dword v88, off, s[20:23], 0 offset:580 ; 4-byte Folded Reload
	buffer_load_dword v89, off, s[20:23], 0 offset:584 ; 4-byte Folded Reload
	buffer_load_dword v90, off, s[20:23], 0 offset:588 ; 4-byte Folded Reload
	buffer_load_dword v85, off, s[20:23], 0 offset:1704 ; 4-byte Folded Reload
	buffer_load_dword v86, off, s[20:23], 0 offset:1708 ; 4-byte Folded Reload
	s_waitcnt vmcnt(0)
	global_store_dwordx4 v[85:86], v[87:90], off
	buffer_load_dword v85, off, s[20:23], 0 offset:712 ; 4-byte Folded Reload
	s_nop 0
	buffer_load_dword v86, off, s[20:23], 0 offset:716 ; 4-byte Folded Reload
	buffer_load_dword v87, off, s[20:23], 0 offset:560 ; 4-byte Folded Reload
	buffer_load_dword v88, off, s[20:23], 0 offset:564 ; 4-byte Folded Reload
	buffer_load_dword v89, off, s[20:23], 0 offset:568 ; 4-byte Folded Reload
	buffer_load_dword v90, off, s[20:23], 0 offset:572 ; 4-byte Folded Reload
	;; [unrolled: 9-line block ×28, first 2 shown]
	s_waitcnt vmcnt(0)
	global_store_dwordx4 v[85:86], v[77:80], off
	buffer_load_dword v81, off, s[20:23], 0 offset:928 ; 4-byte Folded Reload
	buffer_load_dword v82, off, s[20:23], 0 offset:932 ; 4-byte Folded Reload
	s_nop 0
	buffer_load_dword v77, off, s[20:23], 0 offset:144 ; 4-byte Folded Reload
	buffer_load_dword v78, off, s[20:23], 0 offset:148 ; 4-byte Folded Reload
	buffer_load_dword v79, off, s[20:23], 0 offset:152 ; 4-byte Folded Reload
	buffer_load_dword v80, off, s[20:23], 0 offset:156 ; 4-byte Folded Reload
	s_waitcnt vmcnt(0)
	global_store_dwordx4 v[81:82], v[77:80], off
	buffer_load_dword v77, off, s[20:23], 0 offset:936 ; 4-byte Folded Reload
	s_nop 0
	buffer_load_dword v78, off, s[20:23], 0 offset:940 ; 4-byte Folded Reload
	buffer_load_dword v73, off, s[20:23], 0 offset:128 ; 4-byte Folded Reload
	buffer_load_dword v74, off, s[20:23], 0 offset:132 ; 4-byte Folded Reload
	buffer_load_dword v75, off, s[20:23], 0 offset:136 ; 4-byte Folded Reload
	buffer_load_dword v76, off, s[20:23], 0 offset:140 ; 4-byte Folded Reload
	s_waitcnt vmcnt(0)
	global_store_dwordx4 v[77:78], v[73:76], off
	buffer_load_dword v73, off, s[20:23], 0 offset:944 ; 4-byte Folded Reload
	s_nop 0
	buffer_load_dword v74, off, s[20:23], 0 offset:948 ; 4-byte Folded Reload
	buffer_load_dword v69, off, s[20:23], 0 offset:112 ; 4-byte Folded Reload
	buffer_load_dword v70, off, s[20:23], 0 offset:116 ; 4-byte Folded Reload
	buffer_load_dword v71, off, s[20:23], 0 offset:120 ; 4-byte Folded Reload
	buffer_load_dword v72, off, s[20:23], 0 offset:124 ; 4-byte Folded Reload
	s_waitcnt vmcnt(0)
	global_store_dwordx4 v[73:74], v[69:72], off
	buffer_load_dword v69, off, s[20:23], 0 offset:952 ; 4-byte Folded Reload
	s_nop 0
	buffer_load_dword v70, off, s[20:23], 0 offset:956 ; 4-byte Folded Reload
	buffer_load_dword v65, off, s[20:23], 0 offset:96 ; 4-byte Folded Reload
	buffer_load_dword v66, off, s[20:23], 0 offset:100 ; 4-byte Folded Reload
	buffer_load_dword v67, off, s[20:23], 0 offset:104 ; 4-byte Folded Reload
	buffer_load_dword v68, off, s[20:23], 0 offset:108 ; 4-byte Folded Reload
	s_waitcnt vmcnt(0)
	global_store_dwordx4 v[69:70], v[65:68], off
	buffer_load_dword v65, off, s[20:23], 0 offset:960 ; 4-byte Folded Reload
	s_nop 0
	buffer_load_dword v66, off, s[20:23], 0 offset:964 ; 4-byte Folded Reload
	buffer_load_dword v61, off, s[20:23], 0 offset:80 ; 4-byte Folded Reload
	buffer_load_dword v62, off, s[20:23], 0 offset:84 ; 4-byte Folded Reload
	buffer_load_dword v63, off, s[20:23], 0 offset:88 ; 4-byte Folded Reload
	buffer_load_dword v64, off, s[20:23], 0 offset:92 ; 4-byte Folded Reload
	s_waitcnt vmcnt(0)
	global_store_dwordx4 v[65:66], v[61:64], off
	buffer_load_dword v61, off, s[20:23], 0 offset:968 ; 4-byte Folded Reload
	s_nop 0
	buffer_load_dword v62, off, s[20:23], 0 offset:972 ; 4-byte Folded Reload
	buffer_load_dword v57, off, s[20:23], 0 offset:64 ; 4-byte Folded Reload
	buffer_load_dword v58, off, s[20:23], 0 offset:68 ; 4-byte Folded Reload
	buffer_load_dword v59, off, s[20:23], 0 offset:72 ; 4-byte Folded Reload
	buffer_load_dword v60, off, s[20:23], 0 offset:76 ; 4-byte Folded Reload
	s_waitcnt vmcnt(0)
	global_store_dwordx4 v[61:62], v[57:60], off
	buffer_load_dword v57, off, s[20:23], 0 offset:976 ; 4-byte Folded Reload
	s_nop 0
	buffer_load_dword v58, off, s[20:23], 0 offset:980 ; 4-byte Folded Reload
	buffer_load_dword v53, off, s[20:23], 0 offset:48 ; 4-byte Folded Reload
	buffer_load_dword v54, off, s[20:23], 0 offset:52 ; 4-byte Folded Reload
	buffer_load_dword v55, off, s[20:23], 0 offset:56 ; 4-byte Folded Reload
	buffer_load_dword v56, off, s[20:23], 0 offset:60 ; 4-byte Folded Reload
	s_waitcnt vmcnt(0)
	global_store_dwordx4 v[57:58], v[53:56], off
	buffer_load_dword v53, off, s[20:23], 0 offset:984 ; 4-byte Folded Reload
	s_nop 0
	buffer_load_dword v54, off, s[20:23], 0 offset:988 ; 4-byte Folded Reload
	buffer_load_dword v49, off, s[20:23], 0 offset:32 ; 4-byte Folded Reload
	buffer_load_dword v50, off, s[20:23], 0 offset:36 ; 4-byte Folded Reload
	buffer_load_dword v51, off, s[20:23], 0 offset:40 ; 4-byte Folded Reload
	buffer_load_dword v52, off, s[20:23], 0 offset:44 ; 4-byte Folded Reload
	s_waitcnt vmcnt(0)
	global_store_dwordx4 v[53:54], v[49:52], off
	buffer_load_dword v49, off, s[20:23], 0 offset:992 ; 4-byte Folded Reload
	s_nop 0
	buffer_load_dword v50, off, s[20:23], 0 offset:996 ; 4-byte Folded Reload
	buffer_load_dword v45, off, s[20:23], 0 offset:16 ; 4-byte Folded Reload
	buffer_load_dword v46, off, s[20:23], 0 offset:20 ; 4-byte Folded Reload
	buffer_load_dword v47, off, s[20:23], 0 offset:24 ; 4-byte Folded Reload
	buffer_load_dword v48, off, s[20:23], 0 offset:28 ; 4-byte Folded Reload
	s_waitcnt vmcnt(0)
	global_store_dwordx4 v[49:50], v[45:48], off
	buffer_load_dword v45, off, s[20:23], 0 offset:1000 ; 4-byte Folded Reload
	s_nop 0
	buffer_load_dword v46, off, s[20:23], 0 offset:1004 ; 4-byte Folded Reload
	buffer_load_dword v41, off, s[20:23], 0 ; 4-byte Folded Reload
	buffer_load_dword v42, off, s[20:23], 0 offset:4 ; 4-byte Folded Reload
	buffer_load_dword v43, off, s[20:23], 0 offset:8 ; 4-byte Folded Reload
	buffer_load_dword v44, off, s[20:23], 0 offset:12 ; 4-byte Folded Reload
	s_waitcnt vmcnt(0)
	global_store_dwordx4 v[45:46], v[41:44], off
	buffer_load_dword v41, off, s[20:23], 0 offset:1008 ; 4-byte Folded Reload
	s_nop 0
	buffer_load_dword v42, off, s[20:23], 0 offset:1012 ; 4-byte Folded Reload
	s_waitcnt vmcnt(0)
	global_store_dwordx4 v[41:42], v[37:40], off
	buffer_load_dword v37, off, s[20:23], 0 offset:1016 ; 4-byte Folded Reload
	s_nop 0
	buffer_load_dword v38, off, s[20:23], 0 offset:1020 ; 4-byte Folded Reload
	;; [unrolled: 5-line block ×11, first 2 shown]
	s_waitcnt vmcnt(0)
	global_store_dwordx4 v[0:1], v[97:100], off
.LBB111_507:
	s_endpgm
	.section	.rodata,"a",@progbits
	.p2align	6, 0x0
	.amdhsa_kernel _ZN9rocsolver6v33100L23getf2_npvt_small_kernelILi56E19rocblas_complex_numIdEiiPS3_EEvT1_T3_lS5_lPT2_S5_S5_
		.amdhsa_group_segment_fixed_size 0
		.amdhsa_private_segment_fixed_size 1852
		.amdhsa_kernarg_size 312
		.amdhsa_user_sgpr_count 6
		.amdhsa_user_sgpr_private_segment_buffer 1
		.amdhsa_user_sgpr_dispatch_ptr 0
		.amdhsa_user_sgpr_queue_ptr 0
		.amdhsa_user_sgpr_kernarg_segment_ptr 1
		.amdhsa_user_sgpr_dispatch_id 0
		.amdhsa_user_sgpr_flat_scratch_init 0
		.amdhsa_user_sgpr_private_segment_size 0
		.amdhsa_uses_dynamic_stack 0
		.amdhsa_system_sgpr_private_segment_wavefront_offset 1
		.amdhsa_system_sgpr_workgroup_id_x 1
		.amdhsa_system_sgpr_workgroup_id_y 1
		.amdhsa_system_sgpr_workgroup_id_z 0
		.amdhsa_system_sgpr_workgroup_info 0
		.amdhsa_system_vgpr_workitem_id 1
		.amdhsa_next_free_vgpr 128
		.amdhsa_next_free_sgpr 24
		.amdhsa_reserve_vcc 1
		.amdhsa_reserve_flat_scratch 0
		.amdhsa_float_round_mode_32 0
		.amdhsa_float_round_mode_16_64 0
		.amdhsa_float_denorm_mode_32 3
		.amdhsa_float_denorm_mode_16_64 3
		.amdhsa_dx10_clamp 1
		.amdhsa_ieee_mode 1
		.amdhsa_fp16_overflow 0
		.amdhsa_exception_fp_ieee_invalid_op 0
		.amdhsa_exception_fp_denorm_src 0
		.amdhsa_exception_fp_ieee_div_zero 0
		.amdhsa_exception_fp_ieee_overflow 0
		.amdhsa_exception_fp_ieee_underflow 0
		.amdhsa_exception_fp_ieee_inexact 0
		.amdhsa_exception_int_div_zero 0
	.end_amdhsa_kernel
	.section	.text._ZN9rocsolver6v33100L23getf2_npvt_small_kernelILi56E19rocblas_complex_numIdEiiPS3_EEvT1_T3_lS5_lPT2_S5_S5_,"axG",@progbits,_ZN9rocsolver6v33100L23getf2_npvt_small_kernelILi56E19rocblas_complex_numIdEiiPS3_EEvT1_T3_lS5_lPT2_S5_S5_,comdat
.Lfunc_end111:
	.size	_ZN9rocsolver6v33100L23getf2_npvt_small_kernelILi56E19rocblas_complex_numIdEiiPS3_EEvT1_T3_lS5_lPT2_S5_S5_, .Lfunc_end111-_ZN9rocsolver6v33100L23getf2_npvt_small_kernelILi56E19rocblas_complex_numIdEiiPS3_EEvT1_T3_lS5_lPT2_S5_S5_
                                        ; -- End function
	.set _ZN9rocsolver6v33100L23getf2_npvt_small_kernelILi56E19rocblas_complex_numIdEiiPS3_EEvT1_T3_lS5_lPT2_S5_S5_.num_vgpr, 128
	.set _ZN9rocsolver6v33100L23getf2_npvt_small_kernelILi56E19rocblas_complex_numIdEiiPS3_EEvT1_T3_lS5_lPT2_S5_S5_.num_agpr, 0
	.set _ZN9rocsolver6v33100L23getf2_npvt_small_kernelILi56E19rocblas_complex_numIdEiiPS3_EEvT1_T3_lS5_lPT2_S5_S5_.numbered_sgpr, 24
	.set _ZN9rocsolver6v33100L23getf2_npvt_small_kernelILi56E19rocblas_complex_numIdEiiPS3_EEvT1_T3_lS5_lPT2_S5_S5_.num_named_barrier, 0
	.set _ZN9rocsolver6v33100L23getf2_npvt_small_kernelILi56E19rocblas_complex_numIdEiiPS3_EEvT1_T3_lS5_lPT2_S5_S5_.private_seg_size, 1852
	.set _ZN9rocsolver6v33100L23getf2_npvt_small_kernelILi56E19rocblas_complex_numIdEiiPS3_EEvT1_T3_lS5_lPT2_S5_S5_.uses_vcc, 1
	.set _ZN9rocsolver6v33100L23getf2_npvt_small_kernelILi56E19rocblas_complex_numIdEiiPS3_EEvT1_T3_lS5_lPT2_S5_S5_.uses_flat_scratch, 0
	.set _ZN9rocsolver6v33100L23getf2_npvt_small_kernelILi56E19rocblas_complex_numIdEiiPS3_EEvT1_T3_lS5_lPT2_S5_S5_.has_dyn_sized_stack, 0
	.set _ZN9rocsolver6v33100L23getf2_npvt_small_kernelILi56E19rocblas_complex_numIdEiiPS3_EEvT1_T3_lS5_lPT2_S5_S5_.has_recursion, 0
	.set _ZN9rocsolver6v33100L23getf2_npvt_small_kernelILi56E19rocblas_complex_numIdEiiPS3_EEvT1_T3_lS5_lPT2_S5_S5_.has_indirect_call, 0
	.section	.AMDGPU.csdata,"",@progbits
; Kernel info:
; codeLenInByte = 263252
; TotalNumSgprs: 28
; NumVgprs: 128
; ScratchSize: 1852
; MemoryBound: 1
; FloatMode: 240
; IeeeMode: 1
; LDSByteSize: 0 bytes/workgroup (compile time only)
; SGPRBlocks: 3
; VGPRBlocks: 31
; NumSGPRsForWavesPerEU: 28
; NumVGPRsForWavesPerEU: 128
; Occupancy: 2
; WaveLimiterHint : 0
; COMPUTE_PGM_RSRC2:SCRATCH_EN: 1
; COMPUTE_PGM_RSRC2:USER_SGPR: 6
; COMPUTE_PGM_RSRC2:TRAP_HANDLER: 0
; COMPUTE_PGM_RSRC2:TGID_X_EN: 1
; COMPUTE_PGM_RSRC2:TGID_Y_EN: 1
; COMPUTE_PGM_RSRC2:TGID_Z_EN: 0
; COMPUTE_PGM_RSRC2:TIDIG_COMP_CNT: 1
	.section	.text._ZN9rocsolver6v33100L18getf2_small_kernelILi57E19rocblas_complex_numIdEiiPS3_EEvT1_T3_lS5_lPS5_llPT2_S5_S5_S7_l,"axG",@progbits,_ZN9rocsolver6v33100L18getf2_small_kernelILi57E19rocblas_complex_numIdEiiPS3_EEvT1_T3_lS5_lPS5_llPT2_S5_S5_S7_l,comdat
	.globl	_ZN9rocsolver6v33100L18getf2_small_kernelILi57E19rocblas_complex_numIdEiiPS3_EEvT1_T3_lS5_lPS5_llPT2_S5_S5_S7_l ; -- Begin function _ZN9rocsolver6v33100L18getf2_small_kernelILi57E19rocblas_complex_numIdEiiPS3_EEvT1_T3_lS5_lPS5_llPT2_S5_S5_S7_l
	.p2align	8
	.type	_ZN9rocsolver6v33100L18getf2_small_kernelILi57E19rocblas_complex_numIdEiiPS3_EEvT1_T3_lS5_lPS5_llPT2_S5_S5_S7_l,@function
_ZN9rocsolver6v33100L18getf2_small_kernelILi57E19rocblas_complex_numIdEiiPS3_EEvT1_T3_lS5_lPS5_llPT2_S5_S5_S7_l: ; @_ZN9rocsolver6v33100L18getf2_small_kernelILi57E19rocblas_complex_numIdEiiPS3_EEvT1_T3_lS5_lPS5_llPT2_S5_S5_S7_l
; %bb.0:
	s_mov_b64 s[26:27], s[2:3]
	s_mov_b64 s[24:25], s[0:1]
	s_load_dword s0, s[4:5], 0x6c
	s_load_dwordx2 s[16:17], s[4:5], 0x48
	s_add_u32 s24, s24, s8
	s_addc_u32 s25, s25, 0
	s_waitcnt lgkmcnt(0)
	s_lshr_b32 s0, s0, 16
	s_mul_i32 s7, s7, s0
	v_add_u32_e32 v5, s7, v1
	v_cmp_gt_i32_e32 vcc, s16, v5
	s_and_saveexec_b64 s[0:1], vcc
	s_cbranch_execnz .LBB112_1
; %bb.1199:
	s_getpc_b64 s[28:29]
.Lpost_getpc26:
	s_add_u32 s28, s28, (.LBB112_1198-.Lpost_getpc26)&4294967295
	s_addc_u32 s29, s29, (.LBB112_1198-.Lpost_getpc26)>>32
	s_setpc_b64 s[28:29]
.LBB112_1:
	s_load_dwordx4 s[0:3], s[4:5], 0x50
	v_mov_b32_e32 v2, 0
	v_ashrrev_i32_e32 v6, 31, v5
	v_mov_b32_e32 v3, 0
	buffer_store_dword v2, off, s[24:27], 0 offset:464 ; 4-byte Folded Spill
	s_nop 0
	buffer_store_dword v3, off, s[24:27], 0 offset:468 ; 4-byte Folded Spill
	s_waitcnt lgkmcnt(0)
	s_cmp_eq_u64 s[0:1], 0
	s_cselect_b64 s[6:7], -1, 0
	s_and_b64 vcc, exec, s[6:7]
	s_cbranch_vccnz .LBB112_3
; %bb.2:
	v_mul_lo_u32 v7, s3, v5
	v_mul_lo_u32 v4, s2, v6
	v_mad_u64_u32 v[2:3], s[2:3], s2, v5, 0
	v_add3_u32 v3, v3, v4, v7
	v_lshlrev_b64 v[2:3], 2, v[2:3]
	v_mov_b32_e32 v4, s1
	v_add_co_u32_e32 v2, vcc, s0, v2
	v_addc_co_u32_e32 v3, vcc, v4, v3, vcc
	buffer_store_dword v2, off, s[24:27], 0 offset:464 ; 4-byte Folded Spill
	s_nop 0
	buffer_store_dword v3, off, s[24:27], 0 offset:468 ; 4-byte Folded Spill
.LBB112_3:
	s_load_dwordx8 s[8:15], s[4:5], 0x20
	s_load_dwordx4 s[20:23], s[4:5], 0x8
	s_load_dword s2, s[4:5], 0x18
	v_lshlrev_b32_e32 v78, 4, v0
	s_waitcnt lgkmcnt(0)
	v_mul_lo_u32 v7, s9, v5
	v_mul_lo_u32 v4, s8, v6
	buffer_store_dword v5, off, s[24:27], 0 offset:544 ; 4-byte Folded Spill
	s_nop 0
	buffer_store_dword v6, off, s[24:27], 0 offset:548 ; 4-byte Folded Spill
	s_add_i32 s16, s2, s2
	s_ashr_i32 s3, s2, 31
	buffer_store_dword v0, off, s[24:27], 0 offset:552 ; 4-byte Folded Spill
	v_mad_u64_u32 v[2:3], s[0:1], s8, v5, 0
	v_mov_b32_e32 v5, s21
	s_lshl_b64 s[0:1], s[22:23], 4
	v_add3_u32 v3, v3, v4, v7
	v_lshlrev_b64 v[2:3], 4, v[2:3]
	s_lshl_b64 s[8:9], s[2:3], 4
	v_add_co_u32_e32 v4, vcc, s20, v2
	v_addc_co_u32_e32 v2, vcc, v5, v3, vcc
	v_add_co_u32_e32 v87, vcc, s0, v4
	v_add_u32_e32 v4, s16, v0
	v_mov_b32_e32 v3, s1
	v_ashrrev_i32_e32 v5, 31, v4
	v_addc_co_u32_e32 v77, vcc, v2, v3, vcc
	v_lshlrev_b64 v[2:3], 4, v[4:5]
	v_add_u32_e32 v6, s2, v4
	v_ashrrev_i32_e32 v7, 31, v6
	v_add_co_u32_e32 v79, vcc, v87, v2
	v_lshlrev_b64 v[4:5], 4, v[6:7]
	v_add_u32_e32 v8, s2, v6
	v_addc_co_u32_e32 v80, vcc, v77, v3, vcc
	v_ashrrev_i32_e32 v9, 31, v8
	v_add_co_u32_e32 v85, vcc, v87, v4
	v_lshlrev_b64 v[6:7], 4, v[8:9]
	v_add_u32_e32 v10, s2, v8
	v_addc_co_u32_e32 v86, vcc, v77, v5, vcc
	v_ashrrev_i32_e32 v11, 31, v10
	v_add_co_u32_e32 v6, vcc, v87, v6
	v_lshlrev_b64 v[8:9], 4, v[10:11]
	v_add_u32_e32 v12, s2, v10
	v_addc_co_u32_e32 v7, vcc, v77, v7, vcc
	v_ashrrev_i32_e32 v13, 31, v12
	v_add_co_u32_e32 v8, vcc, v87, v8
	v_lshlrev_b64 v[10:11], 4, v[12:13]
	v_add_u32_e32 v14, s2, v12
	v_addc_co_u32_e32 v9, vcc, v77, v9, vcc
	v_ashrrev_i32_e32 v15, 31, v14
	v_add_co_u32_e32 v10, vcc, v87, v10
	v_lshlrev_b64 v[12:13], 4, v[14:15]
	v_add_u32_e32 v16, s2, v14
	v_addc_co_u32_e32 v11, vcc, v77, v11, vcc
	v_ashrrev_i32_e32 v17, 31, v16
	v_add_co_u32_e32 v12, vcc, v87, v12
	v_lshlrev_b64 v[14:15], 4, v[16:17]
	v_add_u32_e32 v18, s2, v16
	v_addc_co_u32_e32 v13, vcc, v77, v13, vcc
	v_ashrrev_i32_e32 v19, 31, v18
	v_add_co_u32_e32 v14, vcc, v87, v14
	v_lshlrev_b64 v[16:17], 4, v[18:19]
	v_add_u32_e32 v20, s2, v18
	v_addc_co_u32_e32 v15, vcc, v77, v15, vcc
	v_ashrrev_i32_e32 v21, 31, v20
	v_add_co_u32_e32 v16, vcc, v87, v16
	v_lshlrev_b64 v[18:19], 4, v[20:21]
	v_add_u32_e32 v22, s2, v20
	v_addc_co_u32_e32 v17, vcc, v77, v17, vcc
	v_ashrrev_i32_e32 v23, 31, v22
	v_add_co_u32_e32 v18, vcc, v87, v18
	v_lshlrev_b64 v[20:21], 4, v[22:23]
	v_add_u32_e32 v24, s2, v22
	v_addc_co_u32_e32 v19, vcc, v77, v19, vcc
	v_ashrrev_i32_e32 v25, 31, v24
	v_add_co_u32_e32 v20, vcc, v87, v20
	v_lshlrev_b64 v[22:23], 4, v[24:25]
	v_add_u32_e32 v26, s2, v24
	v_addc_co_u32_e32 v21, vcc, v77, v21, vcc
	v_ashrrev_i32_e32 v27, 31, v26
	v_add_co_u32_e32 v22, vcc, v87, v22
	v_lshlrev_b64 v[24:25], 4, v[26:27]
	v_add_u32_e32 v28, s2, v26
	v_addc_co_u32_e32 v23, vcc, v77, v23, vcc
	v_ashrrev_i32_e32 v29, 31, v28
	v_add_co_u32_e32 v24, vcc, v87, v24
	v_lshlrev_b64 v[26:27], 4, v[28:29]
	v_add_u32_e32 v30, s2, v28
	v_addc_co_u32_e32 v25, vcc, v77, v25, vcc
	v_ashrrev_i32_e32 v31, 31, v30
	v_add_co_u32_e32 v26, vcc, v87, v26
	v_lshlrev_b64 v[28:29], 4, v[30:31]
	v_add_u32_e32 v32, s2, v30
	v_addc_co_u32_e32 v27, vcc, v77, v27, vcc
	v_ashrrev_i32_e32 v33, 31, v32
	v_add_co_u32_e32 v28, vcc, v87, v28
	v_lshlrev_b64 v[30:31], 4, v[32:33]
	v_add_u32_e32 v34, s2, v32
	v_addc_co_u32_e32 v29, vcc, v77, v29, vcc
	v_ashrrev_i32_e32 v35, 31, v34
	v_add_co_u32_e32 v30, vcc, v87, v30
	v_lshlrev_b64 v[32:33], 4, v[34:35]
	v_add_u32_e32 v36, s2, v34
	v_addc_co_u32_e32 v31, vcc, v77, v31, vcc
	v_ashrrev_i32_e32 v37, 31, v36
	v_add_co_u32_e32 v32, vcc, v87, v32
	v_lshlrev_b64 v[34:35], 4, v[36:37]
	v_add_u32_e32 v38, s2, v36
	v_addc_co_u32_e32 v33, vcc, v77, v33, vcc
	v_ashrrev_i32_e32 v39, 31, v38
	v_add_co_u32_e32 v34, vcc, v87, v34
	v_lshlrev_b64 v[36:37], 4, v[38:39]
	v_add_u32_e32 v40, s2, v38
	v_addc_co_u32_e32 v35, vcc, v77, v35, vcc
	v_ashrrev_i32_e32 v41, 31, v40
	v_add_co_u32_e32 v36, vcc, v87, v36
	v_lshlrev_b64 v[38:39], 4, v[40:41]
	v_add_u32_e32 v42, s2, v40
	v_addc_co_u32_e32 v37, vcc, v77, v37, vcc
	v_ashrrev_i32_e32 v43, 31, v42
	v_add_co_u32_e32 v38, vcc, v87, v38
	v_lshlrev_b64 v[40:41], 4, v[42:43]
	v_add_u32_e32 v44, s2, v42
	v_addc_co_u32_e32 v39, vcc, v77, v39, vcc
	v_ashrrev_i32_e32 v45, 31, v44
	v_add_co_u32_e32 v40, vcc, v87, v40
	v_lshlrev_b64 v[42:43], 4, v[44:45]
	v_add_u32_e32 v46, s2, v44
	v_addc_co_u32_e32 v41, vcc, v77, v41, vcc
	v_ashrrev_i32_e32 v47, 31, v46
	v_add_co_u32_e32 v42, vcc, v87, v42
	v_lshlrev_b64 v[44:45], 4, v[46:47]
	v_add_u32_e32 v48, s2, v46
	v_addc_co_u32_e32 v43, vcc, v77, v43, vcc
	v_ashrrev_i32_e32 v49, 31, v48
	v_add_co_u32_e32 v44, vcc, v87, v44
	v_lshlrev_b64 v[46:47], 4, v[48:49]
	v_add_u32_e32 v50, s2, v48
	v_addc_co_u32_e32 v45, vcc, v77, v45, vcc
	v_ashrrev_i32_e32 v51, 31, v50
	v_add_co_u32_e32 v46, vcc, v87, v46
	v_lshlrev_b64 v[48:49], 4, v[50:51]
	v_add_u32_e32 v52, s2, v50
	v_addc_co_u32_e32 v47, vcc, v77, v47, vcc
	v_ashrrev_i32_e32 v53, 31, v52
	v_add_co_u32_e32 v48, vcc, v87, v48
	v_lshlrev_b64 v[50:51], 4, v[52:53]
	v_add_u32_e32 v54, s2, v52
	v_addc_co_u32_e32 v49, vcc, v77, v49, vcc
	v_ashrrev_i32_e32 v55, 31, v54
	v_add_co_u32_e32 v50, vcc, v87, v50
	v_lshlrev_b64 v[52:53], 4, v[54:55]
	v_add_u32_e32 v56, s2, v54
	v_addc_co_u32_e32 v51, vcc, v77, v51, vcc
	v_ashrrev_i32_e32 v57, 31, v56
	v_add_co_u32_e32 v52, vcc, v87, v52
	v_lshlrev_b64 v[54:55], 4, v[56:57]
	v_add_u32_e32 v58, s2, v56
	v_addc_co_u32_e32 v53, vcc, v77, v53, vcc
	v_ashrrev_i32_e32 v59, 31, v58
	v_add_co_u32_e32 v54, vcc, v87, v54
	v_lshlrev_b64 v[56:57], 4, v[58:59]
	v_add_u32_e32 v60, s2, v58
	v_addc_co_u32_e32 v55, vcc, v77, v55, vcc
	v_ashrrev_i32_e32 v61, 31, v60
	v_add_co_u32_e32 v56, vcc, v87, v56
	v_lshlrev_b64 v[58:59], 4, v[60:61]
	v_add_u32_e32 v62, s2, v60
	v_addc_co_u32_e32 v57, vcc, v77, v57, vcc
	v_ashrrev_i32_e32 v63, 31, v62
	v_add_co_u32_e32 v58, vcc, v87, v58
	v_lshlrev_b64 v[60:61], 4, v[62:63]
	v_add_u32_e32 v64, s2, v62
	v_addc_co_u32_e32 v59, vcc, v77, v59, vcc
	v_ashrrev_i32_e32 v65, 31, v64
	v_add_co_u32_e32 v60, vcc, v87, v60
	v_lshlrev_b64 v[62:63], 4, v[64:65]
	v_add_u32_e32 v66, s2, v64
	v_addc_co_u32_e32 v61, vcc, v77, v61, vcc
	v_ashrrev_i32_e32 v67, 31, v66
	v_add_co_u32_e32 v62, vcc, v87, v62
	v_lshlrev_b64 v[64:65], 4, v[66:67]
	v_add_u32_e32 v68, s2, v66
	v_addc_co_u32_e32 v63, vcc, v77, v63, vcc
	v_ashrrev_i32_e32 v69, 31, v68
	v_add_co_u32_e32 v64, vcc, v87, v64
	v_lshlrev_b64 v[66:67], 4, v[68:69]
	v_add_u32_e32 v70, s2, v68
	v_addc_co_u32_e32 v65, vcc, v77, v65, vcc
	v_ashrrev_i32_e32 v71, 31, v70
	v_add_co_u32_e32 v66, vcc, v87, v66
	v_lshlrev_b64 v[68:69], 4, v[70:71]
	v_add_u32_e32 v72, s2, v70
	v_addc_co_u32_e32 v67, vcc, v77, v67, vcc
	v_ashrrev_i32_e32 v73, 31, v72
	v_add_co_u32_e32 v68, vcc, v87, v68
	v_lshlrev_b64 v[70:71], 4, v[72:73]
	v_add_u32_e32 v74, s2, v72
	v_addc_co_u32_e32 v69, vcc, v77, v69, vcc
	v_ashrrev_i32_e32 v75, 31, v74
	v_add_co_u32_e32 v70, vcc, v87, v70
	v_lshlrev_b64 v[72:73], 4, v[74:75]
	v_add_u32_e32 v74, s2, v74
	v_addc_co_u32_e32 v71, vcc, v77, v71, vcc
	v_ashrrev_i32_e32 v75, 31, v74
	v_add_co_u32_e32 v72, vcc, v87, v72
	v_lshlrev_b64 v[75:76], 4, v[74:75]
	v_addc_co_u32_e32 v73, vcc, v77, v73, vcc
	v_add_u32_e32 v74, s2, v74
	v_add_co_u32_e32 v117, vcc, v87, v75
	v_ashrrev_i32_e32 v75, 31, v74
	v_addc_co_u32_e32 v118, vcc, v77, v76, vcc
	v_lshlrev_b64 v[75:76], 4, v[74:75]
	v_add_u32_e32 v74, s2, v74
	v_add_co_u32_e32 v119, vcc, v87, v75
	v_ashrrev_i32_e32 v75, 31, v74
	v_addc_co_u32_e32 v120, vcc, v77, v76, vcc
	v_lshlrev_b64 v[75:76], 4, v[74:75]
	;; [unrolled: 5-line block ×17, first 2 shown]
	v_add_u32_e32 v74, s2, v74
	v_add_co_u32_e32 v89, vcc, v87, v75
	v_ashrrev_i32_e32 v75, 31, v74
	v_lshlrev_b64 v[74:75], 4, v[74:75]
	v_addc_co_u32_e32 v90, vcc, v77, v76, vcc
	v_add_co_u32_e32 v91, vcc, v87, v74
	v_addc_co_u32_e32 v92, vcc, v77, v75, vcc
	v_add_co_u32_e32 v74, vcc, v87, v78
	v_addc_co_u32_e32 v75, vcc, 0, v77, vcc
	v_mov_b32_e32 v0, s9
	v_add_co_u32_e32 v76, vcc, s8, v74
	buffer_store_dword v87, off, s[24:27], 0 offset:536 ; 4-byte Folded Spill
	buffer_store_dword v77, off, s[24:27], 0 offset:540 ; 4-byte Folded Spill
	v_addc_co_u32_e32 v77, vcc, v75, v0, vcc
	global_load_dwordx4 v[109:112], v[74:75], off
	s_nop 0
	global_load_dwordx4 v[74:77], v[76:77], off
	s_waitcnt vmcnt(0)
	buffer_store_dword v74, off, s[24:27], 0 offset:504 ; 4-byte Folded Spill
	s_nop 0
	buffer_store_dword v75, off, s[24:27], 0 offset:508 ; 4-byte Folded Spill
	buffer_store_dword v76, off, s[24:27], 0 offset:512 ; 4-byte Folded Spill
	;; [unrolled: 1-line block ×4, first 2 shown]
	s_nop 0
	buffer_store_dword v110, off, s[24:27], 0 offset:524 ; 4-byte Folded Spill
	buffer_store_dword v111, off, s[24:27], 0 offset:528 ; 4-byte Folded Spill
	;; [unrolled: 1-line block ×3, first 2 shown]
	global_load_dwordx4 v[74:77], v[79:80], off
	s_load_dword s3, s[4:5], 0x0
	s_waitcnt lgkmcnt(0)
	s_max_i32 s0, s3, 57
	v_mul_lo_u32 v127, s0, v1
	s_load_dwordx2 s[4:5], s[4:5], 0x40
	s_cmp_lt_i32 s3, 2
	v_lshl_add_u32 v0, v127, 4, 0
	v_add_u32_e32 v1, v0, v78
	ds_write2_b64 v1, v[109:110], v[111:112] offset1:1
	s_waitcnt vmcnt(0)
	buffer_store_dword v74, off, s[24:27], 0 offset:488 ; 4-byte Folded Spill
	s_nop 0
	buffer_store_dword v75, off, s[24:27], 0 offset:492 ; 4-byte Folded Spill
	buffer_store_dword v76, off, s[24:27], 0 offset:496 ; 4-byte Folded Spill
	buffer_store_dword v77, off, s[24:27], 0 offset:500 ; 4-byte Folded Spill
	global_load_dwordx4 v[74:77], v[85:86], off
	s_waitcnt vmcnt(0)
	buffer_store_dword v74, off, s[24:27], 0 offset:472 ; 4-byte Folded Spill
	s_nop 0
	buffer_store_dword v75, off, s[24:27], 0 offset:476 ; 4-byte Folded Spill
	buffer_store_dword v76, off, s[24:27], 0 offset:480 ; 4-byte Folded Spill
	buffer_store_dword v77, off, s[24:27], 0 offset:484 ; 4-byte Folded Spill
	global_load_dwordx4 v[74:77], v[6:7], off
	;; [unrolled: 7-line block ×30, first 2 shown]
	global_load_dwordx4 v[85:88], v[64:65], off
	global_load_dwordx4 v[109:112], v[66:67], off
	;; [unrolled: 1-line block ×4, first 2 shown]
	s_nop 0
	global_load_dwordx4 v[73:76], v[72:73], off
	s_nop 0
	global_load_dwordx4 v[69:72], v[117:118], off
	global_load_dwordx4 v[65:68], v[119:120], off
	;; [unrolled: 1-line block ×4, first 2 shown]
	s_waitcnt vmcnt(0)
	buffer_store_dword v6, off, s[24:27], 0 ; 4-byte Folded Spill
	s_nop 0
	buffer_store_dword v7, off, s[24:27], 0 offset:4 ; 4-byte Folded Spill
	buffer_store_dword v8, off, s[24:27], 0 offset:8 ; 4-byte Folded Spill
	;; [unrolled: 1-line block ×3, first 2 shown]
	global_load_dwordx4 v[53:56], v[125:126], off
	global_load_dwordx4 v[49:52], v[83:84], off
	;; [unrolled: 1-line block ×15, first 2 shown]
	s_waitcnt vmcnt(0) lgkmcnt(0)
	s_barrier
	ds_read2_b64 v[117:120], v0 offset1:1
	v_lshlrev_b32_e32 v93, 4, v127
	v_mov_b32_e32 v89, 0
	s_cbranch_scc1 .LBB112_6
; %bb.4:
	v_add3_u32 v90, v93, 0, 16
	s_mov_b32 s0, 1
	v_mov_b32_e32 v89, 0
.LBB112_5:                              ; =>This Inner Loop Header: Depth=1
	s_waitcnt lgkmcnt(0)
	v_cmp_gt_f64_e32 vcc, 0, v[117:118]
	v_xor_b32_e32 v91, 0x80000000, v118
	ds_read2_b64 v[94:97], v90 offset1:1
	v_xor_b32_e32 v98, 0x80000000, v120
	v_add_u32_e32 v90, 16, v90
	s_waitcnt lgkmcnt(0)
	v_xor_b32_e32 v100, 0x80000000, v97
	v_cndmask_b32_e32 v92, v118, v91, vcc
	v_cmp_gt_f64_e32 vcc, 0, v[119:120]
	v_mov_b32_e32 v91, v117
	v_cndmask_b32_e32 v99, v120, v98, vcc
	v_cmp_gt_f64_e32 vcc, 0, v[94:95]
	v_mov_b32_e32 v98, v119
	v_add_f64 v[91:92], v[91:92], v[98:99]
	v_xor_b32_e32 v98, 0x80000000, v95
	v_cndmask_b32_e32 v99, v95, v98, vcc
	v_cmp_gt_f64_e32 vcc, 0, v[96:97]
	v_mov_b32_e32 v98, v94
	v_cndmask_b32_e32 v101, v97, v100, vcc
	v_mov_b32_e32 v100, v96
	v_add_f64 v[98:99], v[98:99], v[100:101]
	v_cmp_lt_f64_e32 vcc, v[91:92], v[98:99]
	v_mov_b32_e32 v91, s0
	s_add_i32 s0, s0, 1
	s_cmp_eq_u32 s3, s0
	v_cndmask_b32_e32 v118, v118, v95, vcc
	v_cndmask_b32_e32 v117, v117, v94, vcc
	;; [unrolled: 1-line block ×5, first 2 shown]
	s_cbranch_scc0 .LBB112_5
.LBB112_6:
	buffer_load_dword v127, off, s[24:27], 0 offset:552 ; 4-byte Folded Reload
	s_waitcnt lgkmcnt(0)
	v_cmp_neq_f64_e32 vcc, 0, v[117:118]
	v_cmp_neq_f64_e64 s[0:1], 0, v[119:120]
	v_mov_b32_e32 v84, v60
	v_mov_b32_e32 v83, v59
	;; [unrolled: 1-line block ×6, first 2 shown]
	s_or_b64 s[18:19], vcc, s[0:1]
	s_and_saveexec_b64 s[0:1], s[18:19]
	s_cbranch_execz .LBB112_12
; %bb.7:
	v_cmp_ngt_f64_e64 s[18:19], |v[117:118]|, |v[119:120]|
	s_and_saveexec_b64 s[20:21], s[18:19]
	s_xor_b64 s[18:19], exec, s[20:21]
	s_cbranch_execz .LBB112_9
; %bb.8:
	v_div_scale_f64 v[90:91], s[20:21], v[119:120], v[119:120], v[117:118]
	v_rcp_f64_e32 v[94:95], v[90:91]
	v_fma_f64 v[96:97], -v[90:91], v[94:95], 1.0
	v_fma_f64 v[94:95], v[94:95], v[96:97], v[94:95]
	v_div_scale_f64 v[96:97], vcc, v[117:118], v[119:120], v[117:118]
	v_fma_f64 v[98:99], -v[90:91], v[94:95], 1.0
	v_fma_f64 v[94:95], v[94:95], v[98:99], v[94:95]
	v_mul_f64 v[98:99], v[96:97], v[94:95]
	v_fma_f64 v[90:91], -v[90:91], v[98:99], v[96:97]
	v_div_fmas_f64 v[90:91], v[90:91], v[94:95], v[98:99]
	v_div_fixup_f64 v[90:91], v[90:91], v[119:120], v[117:118]
	v_fma_f64 v[94:95], v[117:118], v[90:91], v[119:120]
	v_div_scale_f64 v[96:97], s[20:21], v[94:95], v[94:95], 1.0
	v_div_scale_f64 v[102:103], vcc, 1.0, v[94:95], 1.0
	v_rcp_f64_e32 v[98:99], v[96:97]
	v_fma_f64 v[100:101], -v[96:97], v[98:99], 1.0
	v_fma_f64 v[98:99], v[98:99], v[100:101], v[98:99]
	v_fma_f64 v[100:101], -v[96:97], v[98:99], 1.0
	v_fma_f64 v[98:99], v[98:99], v[100:101], v[98:99]
	v_mul_f64 v[100:101], v[102:103], v[98:99]
	v_fma_f64 v[96:97], -v[96:97], v[100:101], v[102:103]
	v_div_fmas_f64 v[96:97], v[96:97], v[98:99], v[100:101]
	v_div_fixup_f64 v[119:120], v[96:97], v[94:95], 1.0
	v_mul_f64 v[117:118], v[90:91], v[119:120]
	v_xor_b32_e32 v120, 0x80000000, v120
.LBB112_9:
	s_andn2_saveexec_b64 s[18:19], s[18:19]
	s_cbranch_execz .LBB112_11
; %bb.10:
	v_div_scale_f64 v[90:91], s[20:21], v[117:118], v[117:118], v[119:120]
	v_rcp_f64_e32 v[94:95], v[90:91]
	v_fma_f64 v[96:97], -v[90:91], v[94:95], 1.0
	v_fma_f64 v[94:95], v[94:95], v[96:97], v[94:95]
	v_div_scale_f64 v[96:97], vcc, v[119:120], v[117:118], v[119:120]
	v_fma_f64 v[98:99], -v[90:91], v[94:95], 1.0
	v_fma_f64 v[94:95], v[94:95], v[98:99], v[94:95]
	v_mul_f64 v[98:99], v[96:97], v[94:95]
	v_fma_f64 v[90:91], -v[90:91], v[98:99], v[96:97]
	v_div_fmas_f64 v[90:91], v[90:91], v[94:95], v[98:99]
	v_div_fixup_f64 v[90:91], v[90:91], v[117:118], v[119:120]
	v_fma_f64 v[94:95], v[119:120], v[90:91], v[117:118]
	v_div_scale_f64 v[96:97], s[20:21], v[94:95], v[94:95], 1.0
	v_div_scale_f64 v[102:103], vcc, 1.0, v[94:95], 1.0
	v_rcp_f64_e32 v[98:99], v[96:97]
	v_fma_f64 v[100:101], -v[96:97], v[98:99], 1.0
	v_fma_f64 v[98:99], v[98:99], v[100:101], v[98:99]
	v_fma_f64 v[100:101], -v[96:97], v[98:99], 1.0
	v_fma_f64 v[98:99], v[98:99], v[100:101], v[98:99]
	v_mul_f64 v[100:101], v[102:103], v[98:99]
	v_fma_f64 v[96:97], -v[96:97], v[100:101], v[102:103]
	v_div_fmas_f64 v[96:97], v[96:97], v[98:99], v[100:101]
	v_div_fixup_f64 v[117:118], v[96:97], v[94:95], 1.0
	v_mul_f64 v[119:120], v[90:91], -v[117:118]
.LBB112_11:
	s_or_b64 exec, exec, s[18:19]
	v_mov_b32_e32 v94, 0
	v_mov_b32_e32 v95, 2
.LBB112_12:
	s_or_b64 exec, exec, s[0:1]
	s_waitcnt vmcnt(0)
	v_cmp_ne_u32_e32 vcc, v127, v89
	s_and_saveexec_b64 s[0:1], vcc
	s_xor_b64 s[0:1], exec, s[0:1]
	s_cbranch_execz .LBB112_18
; %bb.13:
	v_cmp_eq_u32_e32 vcc, 0, v127
	s_and_saveexec_b64 s[18:19], vcc
	s_cbranch_execz .LBB112_17
; %bb.14:
	v_cmp_ne_u32_e32 vcc, 0, v89
	s_xor_b64 s[20:21], s[6:7], -1
	s_and_b64 s[22:23], s[20:21], vcc
	s_and_saveexec_b64 s[20:21], s[22:23]
	s_cbranch_execz .LBB112_16
; %bb.15:
	buffer_load_dword v81, off, s[24:27], 0 offset:464 ; 4-byte Folded Reload
	buffer_load_dword v82, off, s[24:27], 0 offset:468 ; 4-byte Folded Reload
	v_ashrrev_i32_e32 v90, 31, v89
	v_lshlrev_b64 v[90:91], 2, v[89:90]
	s_waitcnt vmcnt(1)
	v_add_co_u32_e32 v90, vcc, v81, v90
	s_waitcnt vmcnt(0)
	v_addc_co_u32_e32 v91, vcc, v82, v91, vcc
	global_load_dword v92, v[90:91], off
	global_load_dword v96, v[81:82], off
	s_waitcnt vmcnt(1)
	global_store_dword v[81:82], v92, off
	v_mov_b32_e32 v84, v60
	v_mov_b32_e32 v83, v59
	;; [unrolled: 1-line block ×4, first 2 shown]
	s_waitcnt vmcnt(1)
	global_store_dword v[90:91], v96, off
.LBB112_16:
	s_or_b64 exec, exec, s[20:21]
	v_mov_b32_e32 v127, v89
.LBB112_17:
	s_or_b64 exec, exec, s[18:19]
.LBB112_18:
	s_or_saveexec_b64 s[0:1], s[0:1]
	v_mov_b32_e32 v96, v127
	s_xor_b64 exec, exec, s[0:1]
	s_cbranch_execz .LBB112_20
; %bb.19:
	buffer_load_dword v57, off, s[24:27], 0 offset:504 ; 4-byte Folded Reload
	buffer_load_dword v58, off, s[24:27], 0 offset:508 ; 4-byte Folded Reload
	;; [unrolled: 1-line block ×4, first 2 shown]
	v_mov_b32_e32 v96, 0
	s_waitcnt vmcnt(0)
	ds_write2_b64 v0, v[57:58], v[59:60] offset0:2 offset1:3
	buffer_load_dword v57, off, s[24:27], 0 offset:488 ; 4-byte Folded Reload
	buffer_load_dword v58, off, s[24:27], 0 offset:492 ; 4-byte Folded Reload
	buffer_load_dword v59, off, s[24:27], 0 offset:496 ; 4-byte Folded Reload
	buffer_load_dword v60, off, s[24:27], 0 offset:500 ; 4-byte Folded Reload
	s_waitcnt vmcnt(0)
	ds_write2_b64 v0, v[57:58], v[59:60] offset0:4 offset1:5
	buffer_load_dword v57, off, s[24:27], 0 offset:472 ; 4-byte Folded Reload
	buffer_load_dword v58, off, s[24:27], 0 offset:476 ; 4-byte Folded Reload
	buffer_load_dword v59, off, s[24:27], 0 offset:480 ; 4-byte Folded Reload
	buffer_load_dword v60, off, s[24:27], 0 offset:484 ; 4-byte Folded Reload
	;; [unrolled: 6-line block ×30, first 2 shown]
	s_waitcnt vmcnt(0)
	ds_write2_b64 v0, v[57:58], v[59:60] offset0:62 offset1:63
	ds_write2_b64 v0, v[81:82], v[83:84] offset0:64 offset1:65
	;; [unrolled: 1-line block ×10, first 2 shown]
	buffer_load_dword v57, off, s[24:27], 0 ; 4-byte Folded Reload
	buffer_load_dword v58, off, s[24:27], 0 offset:4 ; 4-byte Folded Reload
	buffer_load_dword v59, off, s[24:27], 0 offset:8 ; 4-byte Folded Reload
	;; [unrolled: 1-line block ×3, first 2 shown]
	s_waitcnt vmcnt(0)
	ds_write2_b64 v0, v[57:58], v[59:60] offset0:82 offset1:83
	ds_write2_b64 v0, v[53:54], v[55:56] offset0:84 offset1:85
	;; [unrolled: 1-line block ×16, first 2 shown]
.LBB112_20:
	s_or_b64 exec, exec, s[0:1]
	v_cmp_lt_i32_e32 vcc, 0, v96
	s_waitcnt vmcnt(0) lgkmcnt(0)
	s_barrier
	s_and_saveexec_b64 s[0:1], vcc
	s_cbranch_execz .LBB112_22
; %bb.21:
	buffer_load_dword v99, off, s[24:27], 0 offset:520 ; 4-byte Folded Reload
	buffer_load_dword v100, off, s[24:27], 0 offset:524 ; 4-byte Folded Reload
	;; [unrolled: 1-line block ×4, first 2 shown]
	s_waitcnt vmcnt(0)
	v_mul_f64 v[89:90], v[119:120], v[101:102]
	v_fma_f64 v[125:126], v[117:118], v[99:100], -v[89:90]
	v_mul_f64 v[89:90], v[117:118], v[101:102]
	v_fma_f64 v[101:102], v[119:120], v[99:100], v[89:90]
	ds_read2_b64 v[89:92], v0 offset0:2 offset1:3
	buffer_load_dword v57, off, s[24:27], 0 offset:504 ; 4-byte Folded Reload
	buffer_load_dword v58, off, s[24:27], 0 offset:508 ; 4-byte Folded Reload
	buffer_load_dword v59, off, s[24:27], 0 offset:512 ; 4-byte Folded Reload
	buffer_load_dword v60, off, s[24:27], 0 offset:516 ; 4-byte Folded Reload
	s_waitcnt lgkmcnt(0)
	v_mul_f64 v[97:98], v[91:92], v[101:102]
	v_fma_f64 v[97:98], v[89:90], v[125:126], -v[97:98]
	v_mul_f64 v[89:90], v[89:90], v[101:102]
	v_fma_f64 v[89:90], v[91:92], v[125:126], v[89:90]
	s_waitcnt vmcnt(2)
	v_add_f64 v[57:58], v[57:58], -v[97:98]
	s_waitcnt vmcnt(0)
	v_add_f64 v[59:60], v[59:60], -v[89:90]
	buffer_store_dword v57, off, s[24:27], 0 offset:504 ; 4-byte Folded Spill
	s_nop 0
	buffer_store_dword v58, off, s[24:27], 0 offset:508 ; 4-byte Folded Spill
	buffer_store_dword v59, off, s[24:27], 0 offset:512 ; 4-byte Folded Spill
	buffer_store_dword v60, off, s[24:27], 0 offset:516 ; 4-byte Folded Spill
	ds_read2_b64 v[89:92], v0 offset0:4 offset1:5
	buffer_load_dword v57, off, s[24:27], 0 offset:488 ; 4-byte Folded Reload
	buffer_load_dword v58, off, s[24:27], 0 offset:492 ; 4-byte Folded Reload
	buffer_load_dword v59, off, s[24:27], 0 offset:496 ; 4-byte Folded Reload
	buffer_load_dword v60, off, s[24:27], 0 offset:500 ; 4-byte Folded Reload
	s_waitcnt lgkmcnt(0)
	v_mul_f64 v[97:98], v[91:92], v[101:102]
	v_fma_f64 v[97:98], v[89:90], v[125:126], -v[97:98]
	v_mul_f64 v[89:90], v[89:90], v[101:102]
	v_fma_f64 v[89:90], v[91:92], v[125:126], v[89:90]
	s_waitcnt vmcnt(2)
	v_add_f64 v[57:58], v[57:58], -v[97:98]
	s_waitcnt vmcnt(0)
	v_add_f64 v[59:60], v[59:60], -v[89:90]
	buffer_store_dword v57, off, s[24:27], 0 offset:488 ; 4-byte Folded Spill
	s_nop 0
	buffer_store_dword v58, off, s[24:27], 0 offset:492 ; 4-byte Folded Spill
	buffer_store_dword v59, off, s[24:27], 0 offset:496 ; 4-byte Folded Spill
	buffer_store_dword v60, off, s[24:27], 0 offset:500 ; 4-byte Folded Spill
	;; [unrolled: 19-line block ×31, first 2 shown]
	ds_read2_b64 v[89:92], v0 offset0:64 offset1:65
	s_waitcnt lgkmcnt(0)
	v_mul_f64 v[97:98], v[91:92], v[101:102]
	v_fma_f64 v[97:98], v[89:90], v[125:126], -v[97:98]
	v_mul_f64 v[89:90], v[89:90], v[101:102]
	v_add_f64 v[81:82], v[81:82], -v[97:98]
	v_fma_f64 v[89:90], v[91:92], v[125:126], v[89:90]
	v_add_f64 v[83:84], v[83:84], -v[89:90]
	ds_read2_b64 v[89:92], v0 offset0:66 offset1:67
	s_waitcnt lgkmcnt(0)
	v_mul_f64 v[97:98], v[91:92], v[101:102]
	v_fma_f64 v[97:98], v[89:90], v[125:126], -v[97:98]
	v_mul_f64 v[89:90], v[89:90], v[101:102]
	v_add_f64 v[85:86], v[85:86], -v[97:98]
	v_fma_f64 v[89:90], v[91:92], v[125:126], v[89:90]
	v_add_f64 v[87:88], v[87:88], -v[89:90]
	;; [unrolled: 8-line block ×9, first 2 shown]
	ds_read2_b64 v[89:92], v0 offset0:82 offset1:83
	buffer_load_dword v57, off, s[24:27], 0 ; 4-byte Folded Reload
	buffer_load_dword v58, off, s[24:27], 0 offset:4 ; 4-byte Folded Reload
	buffer_load_dword v59, off, s[24:27], 0 offset:8 ; 4-byte Folded Reload
	;; [unrolled: 1-line block ×3, first 2 shown]
	s_waitcnt lgkmcnt(0)
	v_mul_f64 v[97:98], v[91:92], v[101:102]
	v_fma_f64 v[97:98], v[89:90], v[125:126], -v[97:98]
	v_mul_f64 v[89:90], v[89:90], v[101:102]
	v_fma_f64 v[89:90], v[91:92], v[125:126], v[89:90]
	s_waitcnt vmcnt(2)
	v_add_f64 v[57:58], v[57:58], -v[97:98]
	s_waitcnt vmcnt(0)
	v_add_f64 v[59:60], v[59:60], -v[89:90]
	buffer_store_dword v57, off, s[24:27], 0 ; 4-byte Folded Spill
	s_nop 0
	buffer_store_dword v58, off, s[24:27], 0 offset:4 ; 4-byte Folded Spill
	buffer_store_dword v59, off, s[24:27], 0 offset:8 ; 4-byte Folded Spill
	;; [unrolled: 1-line block ×3, first 2 shown]
	ds_read2_b64 v[89:92], v0 offset0:84 offset1:85
	s_waitcnt lgkmcnt(0)
	v_mul_f64 v[97:98], v[91:92], v[101:102]
	v_fma_f64 v[97:98], v[89:90], v[125:126], -v[97:98]
	v_mul_f64 v[89:90], v[89:90], v[101:102]
	v_add_f64 v[53:54], v[53:54], -v[97:98]
	v_fma_f64 v[89:90], v[91:92], v[125:126], v[89:90]
	v_add_f64 v[55:56], v[55:56], -v[89:90]
	ds_read2_b64 v[89:92], v0 offset0:86 offset1:87
	s_waitcnt lgkmcnt(0)
	v_mul_f64 v[97:98], v[91:92], v[101:102]
	v_fma_f64 v[97:98], v[89:90], v[125:126], -v[97:98]
	v_mul_f64 v[89:90], v[89:90], v[101:102]
	v_add_f64 v[49:50], v[49:50], -v[97:98]
	v_fma_f64 v[89:90], v[91:92], v[125:126], v[89:90]
	v_add_f64 v[51:52], v[51:52], -v[89:90]
	;; [unrolled: 8-line block ×13, first 2 shown]
	ds_read2_b64 v[89:92], v0 offset0:110 offset1:111
	s_waitcnt lgkmcnt(0)
	v_mul_f64 v[97:98], v[91:92], v[101:102]
	v_fma_f64 v[97:98], v[89:90], v[125:126], -v[97:98]
	v_mul_f64 v[89:90], v[89:90], v[101:102]
	v_add_f64 v[1:2], v[1:2], -v[97:98]
	v_fma_f64 v[89:90], v[91:92], v[125:126], v[89:90]
	ds_read2_b64 v[97:100], v0 offset0:112 offset1:113
	s_waitcnt lgkmcnt(0)
	v_mul_f64 v[91:92], v[97:98], v[101:102]
	v_add_f64 v[3:4], v[3:4], -v[89:90]
	v_mul_f64 v[89:90], v[99:100], v[101:102]
	v_fma_f64 v[91:92], v[99:100], v[125:126], v[91:92]
	v_mov_b32_e32 v99, v125
	v_mov_b32_e32 v100, v126
	v_fma_f64 v[89:90], v[97:98], v[125:126], -v[89:90]
	buffer_store_dword v99, off, s[24:27], 0 offset:520 ; 4-byte Folded Spill
	s_nop 0
	buffer_store_dword v100, off, s[24:27], 0 offset:524 ; 4-byte Folded Spill
	buffer_store_dword v101, off, s[24:27], 0 offset:528 ; 4-byte Folded Spill
	;; [unrolled: 1-line block ×3, first 2 shown]
	v_add_f64 v[123:124], v[123:124], -v[91:92]
	v_add_f64 v[121:122], v[121:122], -v[89:90]
.LBB112_22:
	s_or_b64 exec, exec, s[0:1]
	s_waitcnt vmcnt(0)
	s_barrier
	buffer_load_dword v57, off, s[24:27], 0 offset:504 ; 4-byte Folded Reload
	buffer_load_dword v58, off, s[24:27], 0 offset:508 ; 4-byte Folded Reload
	;; [unrolled: 1-line block ×4, first 2 shown]
	v_lshl_add_u32 v89, v96, 4, v0
	s_cmp_lt_i32 s3, 3
	s_waitcnt vmcnt(0)
	ds_write2_b64 v89, v[57:58], v[59:60] offset1:1
	s_waitcnt lgkmcnt(0)
	s_barrier
	ds_read2_b64 v[117:120], v0 offset0:2 offset1:3
	v_mov_b32_e32 v89, 1
	s_cbranch_scc1 .LBB112_25
; %bb.23:
	v_add3_u32 v90, v93, 0, 32
	s_mov_b32 s0, 2
	v_mov_b32_e32 v89, 1
.LBB112_24:                             ; =>This Inner Loop Header: Depth=1
	s_waitcnt lgkmcnt(0)
	v_cmp_gt_f64_e32 vcc, 0, v[117:118]
	v_xor_b32_e32 v91, 0x80000000, v118
	ds_read2_b64 v[97:100], v90 offset1:1
	v_xor_b32_e32 v101, 0x80000000, v120
	v_add_u32_e32 v90, 16, v90
	s_waitcnt lgkmcnt(0)
	v_xor_b32_e32 v103, 0x80000000, v100
	v_cndmask_b32_e32 v92, v118, v91, vcc
	v_cmp_gt_f64_e32 vcc, 0, v[119:120]
	v_mov_b32_e32 v91, v117
	v_cndmask_b32_e32 v102, v120, v101, vcc
	v_cmp_gt_f64_e32 vcc, 0, v[97:98]
	v_mov_b32_e32 v101, v119
	v_add_f64 v[91:92], v[91:92], v[101:102]
	v_xor_b32_e32 v101, 0x80000000, v98
	v_cndmask_b32_e32 v102, v98, v101, vcc
	v_cmp_gt_f64_e32 vcc, 0, v[99:100]
	v_mov_b32_e32 v101, v97
	v_cndmask_b32_e32 v104, v100, v103, vcc
	v_mov_b32_e32 v103, v99
	v_add_f64 v[101:102], v[101:102], v[103:104]
	v_cmp_lt_f64_e32 vcc, v[91:92], v[101:102]
	v_mov_b32_e32 v91, s0
	s_add_i32 s0, s0, 1
	s_cmp_lg_u32 s3, s0
	v_cndmask_b32_e32 v118, v118, v98, vcc
	v_cndmask_b32_e32 v117, v117, v97, vcc
	;; [unrolled: 1-line block ×5, first 2 shown]
	s_cbranch_scc1 .LBB112_24
.LBB112_25:
	s_waitcnt lgkmcnt(0)
	v_cmp_neq_f64_e32 vcc, 0, v[117:118]
	v_cmp_neq_f64_e64 s[0:1], 0, v[119:120]
	s_or_b64 s[18:19], vcc, s[0:1]
	s_and_saveexec_b64 s[0:1], s[18:19]
	s_cbranch_execz .LBB112_31
; %bb.26:
	v_cmp_ngt_f64_e64 s[18:19], |v[117:118]|, |v[119:120]|
	s_and_saveexec_b64 s[20:21], s[18:19]
	s_xor_b64 s[18:19], exec, s[20:21]
	s_cbranch_execz .LBB112_28
; %bb.27:
	v_div_scale_f64 v[90:91], s[20:21], v[119:120], v[119:120], v[117:118]
	v_rcp_f64_e32 v[97:98], v[90:91]
	v_fma_f64 v[99:100], -v[90:91], v[97:98], 1.0
	v_fma_f64 v[97:98], v[97:98], v[99:100], v[97:98]
	v_div_scale_f64 v[99:100], vcc, v[117:118], v[119:120], v[117:118]
	v_fma_f64 v[101:102], -v[90:91], v[97:98], 1.0
	v_fma_f64 v[97:98], v[97:98], v[101:102], v[97:98]
	v_mul_f64 v[101:102], v[99:100], v[97:98]
	v_fma_f64 v[90:91], -v[90:91], v[101:102], v[99:100]
	v_div_fmas_f64 v[90:91], v[90:91], v[97:98], v[101:102]
	v_div_fixup_f64 v[90:91], v[90:91], v[119:120], v[117:118]
	v_fma_f64 v[97:98], v[117:118], v[90:91], v[119:120]
	v_div_scale_f64 v[99:100], s[20:21], v[97:98], v[97:98], 1.0
	v_div_scale_f64 v[105:106], vcc, 1.0, v[97:98], 1.0
	v_rcp_f64_e32 v[101:102], v[99:100]
	v_fma_f64 v[103:104], -v[99:100], v[101:102], 1.0
	v_fma_f64 v[101:102], v[101:102], v[103:104], v[101:102]
	v_fma_f64 v[103:104], -v[99:100], v[101:102], 1.0
	v_fma_f64 v[101:102], v[101:102], v[103:104], v[101:102]
	v_mul_f64 v[103:104], v[105:106], v[101:102]
	v_fma_f64 v[99:100], -v[99:100], v[103:104], v[105:106]
	v_div_fmas_f64 v[99:100], v[99:100], v[101:102], v[103:104]
	v_div_fixup_f64 v[119:120], v[99:100], v[97:98], 1.0
	v_mul_f64 v[117:118], v[90:91], v[119:120]
	v_xor_b32_e32 v120, 0x80000000, v120
.LBB112_28:
	s_andn2_saveexec_b64 s[18:19], s[18:19]
	s_cbranch_execz .LBB112_30
; %bb.29:
	v_div_scale_f64 v[90:91], s[20:21], v[117:118], v[117:118], v[119:120]
	v_rcp_f64_e32 v[97:98], v[90:91]
	v_fma_f64 v[99:100], -v[90:91], v[97:98], 1.0
	v_fma_f64 v[97:98], v[97:98], v[99:100], v[97:98]
	v_div_scale_f64 v[99:100], vcc, v[119:120], v[117:118], v[119:120]
	v_fma_f64 v[101:102], -v[90:91], v[97:98], 1.0
	v_fma_f64 v[97:98], v[97:98], v[101:102], v[97:98]
	v_mul_f64 v[101:102], v[99:100], v[97:98]
	v_fma_f64 v[90:91], -v[90:91], v[101:102], v[99:100]
	v_div_fmas_f64 v[90:91], v[90:91], v[97:98], v[101:102]
	v_div_fixup_f64 v[90:91], v[90:91], v[117:118], v[119:120]
	v_fma_f64 v[97:98], v[119:120], v[90:91], v[117:118]
	v_div_scale_f64 v[99:100], s[20:21], v[97:98], v[97:98], 1.0
	v_div_scale_f64 v[105:106], vcc, 1.0, v[97:98], 1.0
	v_rcp_f64_e32 v[101:102], v[99:100]
	v_fma_f64 v[103:104], -v[99:100], v[101:102], 1.0
	v_fma_f64 v[101:102], v[101:102], v[103:104], v[101:102]
	v_fma_f64 v[103:104], -v[99:100], v[101:102], 1.0
	v_fma_f64 v[101:102], v[101:102], v[103:104], v[101:102]
	v_mul_f64 v[103:104], v[105:106], v[101:102]
	v_fma_f64 v[99:100], -v[99:100], v[103:104], v[105:106]
	v_div_fmas_f64 v[99:100], v[99:100], v[101:102], v[103:104]
	v_div_fixup_f64 v[117:118], v[99:100], v[97:98], 1.0
	v_mul_f64 v[119:120], v[90:91], -v[117:118]
.LBB112_30:
	s_or_b64 exec, exec, s[18:19]
	v_mov_b32_e32 v95, v94
.LBB112_31:
	s_or_b64 exec, exec, s[0:1]
	v_cmp_ne_u32_e32 vcc, v96, v89
	s_and_saveexec_b64 s[0:1], vcc
	s_xor_b64 s[0:1], exec, s[0:1]
	s_cbranch_execz .LBB112_37
; %bb.32:
	v_cmp_eq_u32_e32 vcc, 1, v96
	s_and_saveexec_b64 s[18:19], vcc
	s_cbranch_execz .LBB112_36
; %bb.33:
	v_cmp_ne_u32_e32 vcc, 1, v89
	s_xor_b64 s[20:21], s[6:7], -1
	s_and_b64 s[22:23], s[20:21], vcc
	s_and_saveexec_b64 s[20:21], s[22:23]
	s_cbranch_execz .LBB112_35
; %bb.34:
	v_mov_b32_e32 v57, v81
	v_mov_b32_e32 v58, v82
	;; [unrolled: 1-line block ×4, first 2 shown]
	buffer_load_dword v81, off, s[24:27], 0 offset:464 ; 4-byte Folded Reload
	buffer_load_dword v82, off, s[24:27], 0 offset:468 ; 4-byte Folded Reload
	v_ashrrev_i32_e32 v90, 31, v89
	v_lshlrev_b64 v[90:91], 2, v[89:90]
	s_waitcnt vmcnt(1)
	v_add_co_u32_e32 v90, vcc, v81, v90
	s_waitcnt vmcnt(0)
	v_addc_co_u32_e32 v91, vcc, v82, v91, vcc
	global_load_dword v92, v[90:91], off
	global_load_dword v94, v[81:82], off offset:4
	s_waitcnt vmcnt(1)
	global_store_dword v[81:82], v92, off offset:4
	v_mov_b32_e32 v84, v60
	v_mov_b32_e32 v83, v59
	;; [unrolled: 1-line block ×4, first 2 shown]
	s_waitcnt vmcnt(1)
	global_store_dword v[90:91], v94, off
.LBB112_35:
	s_or_b64 exec, exec, s[20:21]
	v_mov_b32_e32 v96, v89
	v_mov_b32_e32 v127, v89
.LBB112_36:
	s_or_b64 exec, exec, s[18:19]
.LBB112_37:
	s_andn2_saveexec_b64 s[0:1], s[0:1]
	s_cbranch_execz .LBB112_39
; %bb.38:
	buffer_load_dword v57, off, s[24:27], 0 offset:488 ; 4-byte Folded Reload
	buffer_load_dword v58, off, s[24:27], 0 offset:492 ; 4-byte Folded Reload
	;; [unrolled: 1-line block ×4, first 2 shown]
	v_mov_b32_e32 v96, 1
	s_waitcnt vmcnt(0)
	ds_write2_b64 v0, v[57:58], v[59:60] offset0:4 offset1:5
	buffer_load_dword v57, off, s[24:27], 0 offset:472 ; 4-byte Folded Reload
	buffer_load_dword v58, off, s[24:27], 0 offset:476 ; 4-byte Folded Reload
	buffer_load_dword v59, off, s[24:27], 0 offset:480 ; 4-byte Folded Reload
	buffer_load_dword v60, off, s[24:27], 0 offset:484 ; 4-byte Folded Reload
	s_waitcnt vmcnt(0)
	ds_write2_b64 v0, v[57:58], v[59:60] offset0:6 offset1:7
	buffer_load_dword v57, off, s[24:27], 0 offset:448 ; 4-byte Folded Reload
	buffer_load_dword v58, off, s[24:27], 0 offset:452 ; 4-byte Folded Reload
	buffer_load_dword v59, off, s[24:27], 0 offset:456 ; 4-byte Folded Reload
	buffer_load_dword v60, off, s[24:27], 0 offset:460 ; 4-byte Folded Reload
	s_waitcnt vmcnt(0)
	ds_write2_b64 v0, v[57:58], v[59:60] offset0:8 offset1:9
	buffer_load_dword v57, off, s[24:27], 0 offset:432 ; 4-byte Folded Reload
	buffer_load_dword v58, off, s[24:27], 0 offset:436 ; 4-byte Folded Reload
	buffer_load_dword v59, off, s[24:27], 0 offset:440 ; 4-byte Folded Reload
	buffer_load_dword v60, off, s[24:27], 0 offset:444 ; 4-byte Folded Reload
	s_waitcnt vmcnt(0)
	ds_write2_b64 v0, v[57:58], v[59:60] offset0:10 offset1:11
	buffer_load_dword v57, off, s[24:27], 0 offset:416 ; 4-byte Folded Reload
	buffer_load_dword v58, off, s[24:27], 0 offset:420 ; 4-byte Folded Reload
	buffer_load_dword v59, off, s[24:27], 0 offset:424 ; 4-byte Folded Reload
	buffer_load_dword v60, off, s[24:27], 0 offset:428 ; 4-byte Folded Reload
	s_waitcnt vmcnt(0)
	ds_write2_b64 v0, v[57:58], v[59:60] offset0:12 offset1:13
	buffer_load_dword v57, off, s[24:27], 0 offset:400 ; 4-byte Folded Reload
	buffer_load_dword v58, off, s[24:27], 0 offset:404 ; 4-byte Folded Reload
	buffer_load_dword v59, off, s[24:27], 0 offset:408 ; 4-byte Folded Reload
	buffer_load_dword v60, off, s[24:27], 0 offset:412 ; 4-byte Folded Reload
	s_waitcnt vmcnt(0)
	ds_write2_b64 v0, v[57:58], v[59:60] offset0:14 offset1:15
	buffer_load_dword v57, off, s[24:27], 0 offset:384 ; 4-byte Folded Reload
	buffer_load_dword v58, off, s[24:27], 0 offset:388 ; 4-byte Folded Reload
	buffer_load_dword v59, off, s[24:27], 0 offset:392 ; 4-byte Folded Reload
	buffer_load_dword v60, off, s[24:27], 0 offset:396 ; 4-byte Folded Reload
	s_waitcnt vmcnt(0)
	ds_write2_b64 v0, v[57:58], v[59:60] offset0:16 offset1:17
	buffer_load_dword v57, off, s[24:27], 0 offset:368 ; 4-byte Folded Reload
	buffer_load_dword v58, off, s[24:27], 0 offset:372 ; 4-byte Folded Reload
	buffer_load_dword v59, off, s[24:27], 0 offset:376 ; 4-byte Folded Reload
	buffer_load_dword v60, off, s[24:27], 0 offset:380 ; 4-byte Folded Reload
	s_waitcnt vmcnt(0)
	ds_write2_b64 v0, v[57:58], v[59:60] offset0:18 offset1:19
	buffer_load_dword v57, off, s[24:27], 0 offset:352 ; 4-byte Folded Reload
	buffer_load_dword v58, off, s[24:27], 0 offset:356 ; 4-byte Folded Reload
	buffer_load_dword v59, off, s[24:27], 0 offset:360 ; 4-byte Folded Reload
	buffer_load_dword v60, off, s[24:27], 0 offset:364 ; 4-byte Folded Reload
	s_waitcnt vmcnt(0)
	ds_write2_b64 v0, v[57:58], v[59:60] offset0:20 offset1:21
	buffer_load_dword v57, off, s[24:27], 0 offset:336 ; 4-byte Folded Reload
	buffer_load_dword v58, off, s[24:27], 0 offset:340 ; 4-byte Folded Reload
	buffer_load_dword v59, off, s[24:27], 0 offset:344 ; 4-byte Folded Reload
	buffer_load_dword v60, off, s[24:27], 0 offset:348 ; 4-byte Folded Reload
	s_waitcnt vmcnt(0)
	ds_write2_b64 v0, v[57:58], v[59:60] offset0:22 offset1:23
	buffer_load_dword v57, off, s[24:27], 0 offset:320 ; 4-byte Folded Reload
	buffer_load_dword v58, off, s[24:27], 0 offset:324 ; 4-byte Folded Reload
	buffer_load_dword v59, off, s[24:27], 0 offset:328 ; 4-byte Folded Reload
	buffer_load_dword v60, off, s[24:27], 0 offset:332 ; 4-byte Folded Reload
	s_waitcnt vmcnt(0)
	ds_write2_b64 v0, v[57:58], v[59:60] offset0:24 offset1:25
	buffer_load_dword v57, off, s[24:27], 0 offset:304 ; 4-byte Folded Reload
	buffer_load_dword v58, off, s[24:27], 0 offset:308 ; 4-byte Folded Reload
	buffer_load_dword v59, off, s[24:27], 0 offset:312 ; 4-byte Folded Reload
	buffer_load_dword v60, off, s[24:27], 0 offset:316 ; 4-byte Folded Reload
	s_waitcnt vmcnt(0)
	ds_write2_b64 v0, v[57:58], v[59:60] offset0:26 offset1:27
	buffer_load_dword v57, off, s[24:27], 0 offset:288 ; 4-byte Folded Reload
	buffer_load_dword v58, off, s[24:27], 0 offset:292 ; 4-byte Folded Reload
	buffer_load_dword v59, off, s[24:27], 0 offset:296 ; 4-byte Folded Reload
	buffer_load_dword v60, off, s[24:27], 0 offset:300 ; 4-byte Folded Reload
	s_waitcnt vmcnt(0)
	ds_write2_b64 v0, v[57:58], v[59:60] offset0:28 offset1:29
	buffer_load_dword v57, off, s[24:27], 0 offset:272 ; 4-byte Folded Reload
	buffer_load_dword v58, off, s[24:27], 0 offset:276 ; 4-byte Folded Reload
	buffer_load_dword v59, off, s[24:27], 0 offset:280 ; 4-byte Folded Reload
	buffer_load_dword v60, off, s[24:27], 0 offset:284 ; 4-byte Folded Reload
	s_waitcnt vmcnt(0)
	ds_write2_b64 v0, v[57:58], v[59:60] offset0:30 offset1:31
	buffer_load_dword v57, off, s[24:27], 0 offset:256 ; 4-byte Folded Reload
	buffer_load_dword v58, off, s[24:27], 0 offset:260 ; 4-byte Folded Reload
	buffer_load_dword v59, off, s[24:27], 0 offset:264 ; 4-byte Folded Reload
	buffer_load_dword v60, off, s[24:27], 0 offset:268 ; 4-byte Folded Reload
	s_waitcnt vmcnt(0)
	ds_write2_b64 v0, v[57:58], v[59:60] offset0:32 offset1:33
	buffer_load_dword v57, off, s[24:27], 0 offset:240 ; 4-byte Folded Reload
	buffer_load_dword v58, off, s[24:27], 0 offset:244 ; 4-byte Folded Reload
	buffer_load_dword v59, off, s[24:27], 0 offset:248 ; 4-byte Folded Reload
	buffer_load_dword v60, off, s[24:27], 0 offset:252 ; 4-byte Folded Reload
	s_waitcnt vmcnt(0)
	ds_write2_b64 v0, v[57:58], v[59:60] offset0:34 offset1:35
	buffer_load_dword v57, off, s[24:27], 0 offset:224 ; 4-byte Folded Reload
	buffer_load_dword v58, off, s[24:27], 0 offset:228 ; 4-byte Folded Reload
	buffer_load_dword v59, off, s[24:27], 0 offset:232 ; 4-byte Folded Reload
	buffer_load_dword v60, off, s[24:27], 0 offset:236 ; 4-byte Folded Reload
	s_waitcnt vmcnt(0)
	ds_write2_b64 v0, v[57:58], v[59:60] offset0:36 offset1:37
	buffer_load_dword v57, off, s[24:27], 0 offset:208 ; 4-byte Folded Reload
	buffer_load_dword v58, off, s[24:27], 0 offset:212 ; 4-byte Folded Reload
	buffer_load_dword v59, off, s[24:27], 0 offset:216 ; 4-byte Folded Reload
	buffer_load_dword v60, off, s[24:27], 0 offset:220 ; 4-byte Folded Reload
	s_waitcnt vmcnt(0)
	ds_write2_b64 v0, v[57:58], v[59:60] offset0:38 offset1:39
	buffer_load_dword v57, off, s[24:27], 0 offset:192 ; 4-byte Folded Reload
	buffer_load_dword v58, off, s[24:27], 0 offset:196 ; 4-byte Folded Reload
	buffer_load_dword v59, off, s[24:27], 0 offset:200 ; 4-byte Folded Reload
	buffer_load_dword v60, off, s[24:27], 0 offset:204 ; 4-byte Folded Reload
	s_waitcnt vmcnt(0)
	ds_write2_b64 v0, v[57:58], v[59:60] offset0:40 offset1:41
	buffer_load_dword v57, off, s[24:27], 0 offset:176 ; 4-byte Folded Reload
	buffer_load_dword v58, off, s[24:27], 0 offset:180 ; 4-byte Folded Reload
	buffer_load_dword v59, off, s[24:27], 0 offset:184 ; 4-byte Folded Reload
	buffer_load_dword v60, off, s[24:27], 0 offset:188 ; 4-byte Folded Reload
	s_waitcnt vmcnt(0)
	ds_write2_b64 v0, v[57:58], v[59:60] offset0:42 offset1:43
	buffer_load_dword v57, off, s[24:27], 0 offset:160 ; 4-byte Folded Reload
	buffer_load_dword v58, off, s[24:27], 0 offset:164 ; 4-byte Folded Reload
	buffer_load_dword v59, off, s[24:27], 0 offset:168 ; 4-byte Folded Reload
	buffer_load_dword v60, off, s[24:27], 0 offset:172 ; 4-byte Folded Reload
	s_waitcnt vmcnt(0)
	ds_write2_b64 v0, v[57:58], v[59:60] offset0:44 offset1:45
	buffer_load_dword v57, off, s[24:27], 0 offset:144 ; 4-byte Folded Reload
	buffer_load_dword v58, off, s[24:27], 0 offset:148 ; 4-byte Folded Reload
	buffer_load_dword v59, off, s[24:27], 0 offset:152 ; 4-byte Folded Reload
	buffer_load_dword v60, off, s[24:27], 0 offset:156 ; 4-byte Folded Reload
	s_waitcnt vmcnt(0)
	ds_write2_b64 v0, v[57:58], v[59:60] offset0:46 offset1:47
	buffer_load_dword v57, off, s[24:27], 0 offset:128 ; 4-byte Folded Reload
	buffer_load_dword v58, off, s[24:27], 0 offset:132 ; 4-byte Folded Reload
	buffer_load_dword v59, off, s[24:27], 0 offset:136 ; 4-byte Folded Reload
	buffer_load_dword v60, off, s[24:27], 0 offset:140 ; 4-byte Folded Reload
	s_waitcnt vmcnt(0)
	ds_write2_b64 v0, v[57:58], v[59:60] offset0:48 offset1:49
	buffer_load_dword v57, off, s[24:27], 0 offset:112 ; 4-byte Folded Reload
	buffer_load_dword v58, off, s[24:27], 0 offset:116 ; 4-byte Folded Reload
	buffer_load_dword v59, off, s[24:27], 0 offset:120 ; 4-byte Folded Reload
	buffer_load_dword v60, off, s[24:27], 0 offset:124 ; 4-byte Folded Reload
	s_waitcnt vmcnt(0)
	ds_write2_b64 v0, v[57:58], v[59:60] offset0:50 offset1:51
	buffer_load_dword v57, off, s[24:27], 0 offset:96 ; 4-byte Folded Reload
	buffer_load_dword v58, off, s[24:27], 0 offset:100 ; 4-byte Folded Reload
	buffer_load_dword v59, off, s[24:27], 0 offset:104 ; 4-byte Folded Reload
	buffer_load_dword v60, off, s[24:27], 0 offset:108 ; 4-byte Folded Reload
	s_waitcnt vmcnt(0)
	ds_write2_b64 v0, v[57:58], v[59:60] offset0:52 offset1:53
	buffer_load_dword v57, off, s[24:27], 0 offset:80 ; 4-byte Folded Reload
	buffer_load_dword v58, off, s[24:27], 0 offset:84 ; 4-byte Folded Reload
	buffer_load_dword v59, off, s[24:27], 0 offset:88 ; 4-byte Folded Reload
	buffer_load_dword v60, off, s[24:27], 0 offset:92 ; 4-byte Folded Reload
	s_waitcnt vmcnt(0)
	ds_write2_b64 v0, v[57:58], v[59:60] offset0:54 offset1:55
	buffer_load_dword v57, off, s[24:27], 0 offset:64 ; 4-byte Folded Reload
	buffer_load_dword v58, off, s[24:27], 0 offset:68 ; 4-byte Folded Reload
	buffer_load_dword v59, off, s[24:27], 0 offset:72 ; 4-byte Folded Reload
	buffer_load_dword v60, off, s[24:27], 0 offset:76 ; 4-byte Folded Reload
	s_waitcnt vmcnt(0)
	ds_write2_b64 v0, v[57:58], v[59:60] offset0:56 offset1:57
	buffer_load_dword v57, off, s[24:27], 0 offset:48 ; 4-byte Folded Reload
	buffer_load_dword v58, off, s[24:27], 0 offset:52 ; 4-byte Folded Reload
	buffer_load_dword v59, off, s[24:27], 0 offset:56 ; 4-byte Folded Reload
	buffer_load_dword v60, off, s[24:27], 0 offset:60 ; 4-byte Folded Reload
	s_waitcnt vmcnt(0)
	ds_write2_b64 v0, v[57:58], v[59:60] offset0:58 offset1:59
	buffer_load_dword v57, off, s[24:27], 0 offset:32 ; 4-byte Folded Reload
	buffer_load_dword v58, off, s[24:27], 0 offset:36 ; 4-byte Folded Reload
	buffer_load_dword v59, off, s[24:27], 0 offset:40 ; 4-byte Folded Reload
	buffer_load_dword v60, off, s[24:27], 0 offset:44 ; 4-byte Folded Reload
	s_waitcnt vmcnt(0)
	ds_write2_b64 v0, v[57:58], v[59:60] offset0:60 offset1:61
	buffer_load_dword v57, off, s[24:27], 0 offset:16 ; 4-byte Folded Reload
	buffer_load_dword v58, off, s[24:27], 0 offset:20 ; 4-byte Folded Reload
	buffer_load_dword v59, off, s[24:27], 0 offset:24 ; 4-byte Folded Reload
	buffer_load_dword v60, off, s[24:27], 0 offset:28 ; 4-byte Folded Reload
	s_waitcnt vmcnt(0)
	ds_write2_b64 v0, v[57:58], v[59:60] offset0:62 offset1:63
	ds_write2_b64 v0, v[81:82], v[83:84] offset0:64 offset1:65
	;; [unrolled: 1-line block ×10, first 2 shown]
	buffer_load_dword v57, off, s[24:27], 0 ; 4-byte Folded Reload
	buffer_load_dword v58, off, s[24:27], 0 offset:4 ; 4-byte Folded Reload
	buffer_load_dword v59, off, s[24:27], 0 offset:8 ; 4-byte Folded Reload
	;; [unrolled: 1-line block ×3, first 2 shown]
	s_waitcnt vmcnt(0)
	ds_write2_b64 v0, v[57:58], v[59:60] offset0:82 offset1:83
	ds_write2_b64 v0, v[53:54], v[55:56] offset0:84 offset1:85
	;; [unrolled: 1-line block ×16, first 2 shown]
.LBB112_39:
	s_or_b64 exec, exec, s[0:1]
	v_cmp_lt_i32_e32 vcc, 1, v96
	s_waitcnt vmcnt(0) lgkmcnt(0)
	s_barrier
	s_and_saveexec_b64 s[0:1], vcc
	s_cbranch_execz .LBB112_41
; %bb.40:
	buffer_load_dword v99, off, s[24:27], 0 offset:504 ; 4-byte Folded Reload
	buffer_load_dword v100, off, s[24:27], 0 offset:508 ; 4-byte Folded Reload
	;; [unrolled: 1-line block ×4, first 2 shown]
	s_waitcnt vmcnt(0)
	v_mul_f64 v[89:90], v[119:120], v[101:102]
	v_fma_f64 v[125:126], v[117:118], v[99:100], -v[89:90]
	v_mul_f64 v[89:90], v[117:118], v[101:102]
	v_fma_f64 v[101:102], v[119:120], v[99:100], v[89:90]
	ds_read2_b64 v[89:92], v0 offset0:4 offset1:5
	buffer_load_dword v57, off, s[24:27], 0 offset:488 ; 4-byte Folded Reload
	buffer_load_dword v58, off, s[24:27], 0 offset:492 ; 4-byte Folded Reload
	buffer_load_dword v59, off, s[24:27], 0 offset:496 ; 4-byte Folded Reload
	buffer_load_dword v60, off, s[24:27], 0 offset:500 ; 4-byte Folded Reload
	s_waitcnt lgkmcnt(0)
	v_mul_f64 v[97:98], v[91:92], v[101:102]
	v_fma_f64 v[97:98], v[89:90], v[125:126], -v[97:98]
	v_mul_f64 v[89:90], v[89:90], v[101:102]
	v_fma_f64 v[89:90], v[91:92], v[125:126], v[89:90]
	s_waitcnt vmcnt(2)
	v_add_f64 v[57:58], v[57:58], -v[97:98]
	s_waitcnt vmcnt(0)
	v_add_f64 v[59:60], v[59:60], -v[89:90]
	buffer_store_dword v57, off, s[24:27], 0 offset:488 ; 4-byte Folded Spill
	s_nop 0
	buffer_store_dword v58, off, s[24:27], 0 offset:492 ; 4-byte Folded Spill
	buffer_store_dword v59, off, s[24:27], 0 offset:496 ; 4-byte Folded Spill
	buffer_store_dword v60, off, s[24:27], 0 offset:500 ; 4-byte Folded Spill
	ds_read2_b64 v[89:92], v0 offset0:6 offset1:7
	buffer_load_dword v57, off, s[24:27], 0 offset:472 ; 4-byte Folded Reload
	buffer_load_dword v58, off, s[24:27], 0 offset:476 ; 4-byte Folded Reload
	buffer_load_dword v59, off, s[24:27], 0 offset:480 ; 4-byte Folded Reload
	buffer_load_dword v60, off, s[24:27], 0 offset:484 ; 4-byte Folded Reload
	s_waitcnt lgkmcnt(0)
	v_mul_f64 v[97:98], v[91:92], v[101:102]
	v_fma_f64 v[97:98], v[89:90], v[125:126], -v[97:98]
	v_mul_f64 v[89:90], v[89:90], v[101:102]
	v_fma_f64 v[89:90], v[91:92], v[125:126], v[89:90]
	s_waitcnt vmcnt(2)
	v_add_f64 v[57:58], v[57:58], -v[97:98]
	s_waitcnt vmcnt(0)
	v_add_f64 v[59:60], v[59:60], -v[89:90]
	buffer_store_dword v57, off, s[24:27], 0 offset:472 ; 4-byte Folded Spill
	s_nop 0
	buffer_store_dword v58, off, s[24:27], 0 offset:476 ; 4-byte Folded Spill
	buffer_store_dword v59, off, s[24:27], 0 offset:480 ; 4-byte Folded Spill
	buffer_store_dword v60, off, s[24:27], 0 offset:484 ; 4-byte Folded Spill
	;; [unrolled: 19-line block ×30, first 2 shown]
	ds_read2_b64 v[89:92], v0 offset0:64 offset1:65
	s_waitcnt lgkmcnt(0)
	v_mul_f64 v[97:98], v[91:92], v[101:102]
	v_fma_f64 v[97:98], v[89:90], v[125:126], -v[97:98]
	v_mul_f64 v[89:90], v[89:90], v[101:102]
	v_add_f64 v[81:82], v[81:82], -v[97:98]
	v_fma_f64 v[89:90], v[91:92], v[125:126], v[89:90]
	v_add_f64 v[83:84], v[83:84], -v[89:90]
	ds_read2_b64 v[89:92], v0 offset0:66 offset1:67
	s_waitcnt lgkmcnt(0)
	v_mul_f64 v[97:98], v[91:92], v[101:102]
	v_fma_f64 v[97:98], v[89:90], v[125:126], -v[97:98]
	v_mul_f64 v[89:90], v[89:90], v[101:102]
	v_add_f64 v[85:86], v[85:86], -v[97:98]
	v_fma_f64 v[89:90], v[91:92], v[125:126], v[89:90]
	v_add_f64 v[87:88], v[87:88], -v[89:90]
	ds_read2_b64 v[89:92], v0 offset0:68 offset1:69
	s_waitcnt lgkmcnt(0)
	v_mul_f64 v[97:98], v[91:92], v[101:102]
	v_fma_f64 v[97:98], v[89:90], v[125:126], -v[97:98]
	v_mul_f64 v[89:90], v[89:90], v[101:102]
	v_add_f64 v[109:110], v[109:110], -v[97:98]
	v_fma_f64 v[89:90], v[91:92], v[125:126], v[89:90]
	v_add_f64 v[111:112], v[111:112], -v[89:90]
	ds_read2_b64 v[89:92], v0 offset0:70 offset1:71
	s_waitcnt lgkmcnt(0)
	v_mul_f64 v[97:98], v[91:92], v[101:102]
	v_fma_f64 v[97:98], v[89:90], v[125:126], -v[97:98]
	v_mul_f64 v[89:90], v[89:90], v[101:102]
	v_add_f64 v[113:114], v[113:114], -v[97:98]
	v_fma_f64 v[89:90], v[91:92], v[125:126], v[89:90]
	v_add_f64 v[115:116], v[115:116], -v[89:90]
	ds_read2_b64 v[89:92], v0 offset0:72 offset1:73
	s_waitcnt lgkmcnt(0)
	v_mul_f64 v[97:98], v[91:92], v[101:102]
	v_fma_f64 v[97:98], v[89:90], v[125:126], -v[97:98]
	v_mul_f64 v[89:90], v[89:90], v[101:102]
	v_add_f64 v[77:78], v[77:78], -v[97:98]
	v_fma_f64 v[89:90], v[91:92], v[125:126], v[89:90]
	v_add_f64 v[79:80], v[79:80], -v[89:90]
	ds_read2_b64 v[89:92], v0 offset0:74 offset1:75
	s_waitcnt lgkmcnt(0)
	v_mul_f64 v[97:98], v[91:92], v[101:102]
	v_fma_f64 v[97:98], v[89:90], v[125:126], -v[97:98]
	v_mul_f64 v[89:90], v[89:90], v[101:102]
	v_add_f64 v[73:74], v[73:74], -v[97:98]
	v_fma_f64 v[89:90], v[91:92], v[125:126], v[89:90]
	v_add_f64 v[75:76], v[75:76], -v[89:90]
	ds_read2_b64 v[89:92], v0 offset0:76 offset1:77
	s_waitcnt lgkmcnt(0)
	v_mul_f64 v[97:98], v[91:92], v[101:102]
	v_fma_f64 v[97:98], v[89:90], v[125:126], -v[97:98]
	v_mul_f64 v[89:90], v[89:90], v[101:102]
	v_add_f64 v[69:70], v[69:70], -v[97:98]
	v_fma_f64 v[89:90], v[91:92], v[125:126], v[89:90]
	v_add_f64 v[71:72], v[71:72], -v[89:90]
	ds_read2_b64 v[89:92], v0 offset0:78 offset1:79
	s_waitcnt lgkmcnt(0)
	v_mul_f64 v[97:98], v[91:92], v[101:102]
	v_fma_f64 v[97:98], v[89:90], v[125:126], -v[97:98]
	v_mul_f64 v[89:90], v[89:90], v[101:102]
	v_add_f64 v[65:66], v[65:66], -v[97:98]
	v_fma_f64 v[89:90], v[91:92], v[125:126], v[89:90]
	v_add_f64 v[67:68], v[67:68], -v[89:90]
	ds_read2_b64 v[89:92], v0 offset0:80 offset1:81
	s_waitcnt lgkmcnt(0)
	v_mul_f64 v[97:98], v[91:92], v[101:102]
	v_fma_f64 v[97:98], v[89:90], v[125:126], -v[97:98]
	v_mul_f64 v[89:90], v[89:90], v[101:102]
	v_add_f64 v[61:62], v[61:62], -v[97:98]
	v_fma_f64 v[89:90], v[91:92], v[125:126], v[89:90]
	v_add_f64 v[63:64], v[63:64], -v[89:90]
	ds_read2_b64 v[89:92], v0 offset0:82 offset1:83
	buffer_load_dword v57, off, s[24:27], 0 ; 4-byte Folded Reload
	buffer_load_dword v58, off, s[24:27], 0 offset:4 ; 4-byte Folded Reload
	buffer_load_dword v59, off, s[24:27], 0 offset:8 ; 4-byte Folded Reload
	;; [unrolled: 1-line block ×3, first 2 shown]
	s_waitcnt lgkmcnt(0)
	v_mul_f64 v[97:98], v[91:92], v[101:102]
	v_fma_f64 v[97:98], v[89:90], v[125:126], -v[97:98]
	v_mul_f64 v[89:90], v[89:90], v[101:102]
	v_fma_f64 v[89:90], v[91:92], v[125:126], v[89:90]
	s_waitcnt vmcnt(2)
	v_add_f64 v[57:58], v[57:58], -v[97:98]
	s_waitcnt vmcnt(0)
	v_add_f64 v[59:60], v[59:60], -v[89:90]
	buffer_store_dword v57, off, s[24:27], 0 ; 4-byte Folded Spill
	s_nop 0
	buffer_store_dword v58, off, s[24:27], 0 offset:4 ; 4-byte Folded Spill
	buffer_store_dword v59, off, s[24:27], 0 offset:8 ; 4-byte Folded Spill
	;; [unrolled: 1-line block ×3, first 2 shown]
	ds_read2_b64 v[89:92], v0 offset0:84 offset1:85
	s_waitcnt lgkmcnt(0)
	v_mul_f64 v[97:98], v[91:92], v[101:102]
	v_fma_f64 v[97:98], v[89:90], v[125:126], -v[97:98]
	v_mul_f64 v[89:90], v[89:90], v[101:102]
	v_add_f64 v[53:54], v[53:54], -v[97:98]
	v_fma_f64 v[89:90], v[91:92], v[125:126], v[89:90]
	v_add_f64 v[55:56], v[55:56], -v[89:90]
	ds_read2_b64 v[89:92], v0 offset0:86 offset1:87
	s_waitcnt lgkmcnt(0)
	v_mul_f64 v[97:98], v[91:92], v[101:102]
	v_fma_f64 v[97:98], v[89:90], v[125:126], -v[97:98]
	v_mul_f64 v[89:90], v[89:90], v[101:102]
	v_add_f64 v[49:50], v[49:50], -v[97:98]
	v_fma_f64 v[89:90], v[91:92], v[125:126], v[89:90]
	v_add_f64 v[51:52], v[51:52], -v[89:90]
	ds_read2_b64 v[89:92], v0 offset0:88 offset1:89
	s_waitcnt lgkmcnt(0)
	v_mul_f64 v[97:98], v[91:92], v[101:102]
	v_fma_f64 v[97:98], v[89:90], v[125:126], -v[97:98]
	v_mul_f64 v[89:90], v[89:90], v[101:102]
	v_add_f64 v[45:46], v[45:46], -v[97:98]
	v_fma_f64 v[89:90], v[91:92], v[125:126], v[89:90]
	v_add_f64 v[47:48], v[47:48], -v[89:90]
	ds_read2_b64 v[89:92], v0 offset0:90 offset1:91
	s_waitcnt lgkmcnt(0)
	v_mul_f64 v[97:98], v[91:92], v[101:102]
	v_fma_f64 v[97:98], v[89:90], v[125:126], -v[97:98]
	v_mul_f64 v[89:90], v[89:90], v[101:102]
	v_add_f64 v[41:42], v[41:42], -v[97:98]
	v_fma_f64 v[89:90], v[91:92], v[125:126], v[89:90]
	v_add_f64 v[43:44], v[43:44], -v[89:90]
	ds_read2_b64 v[89:92], v0 offset0:92 offset1:93
	s_waitcnt lgkmcnt(0)
	v_mul_f64 v[97:98], v[91:92], v[101:102]
	v_fma_f64 v[97:98], v[89:90], v[125:126], -v[97:98]
	v_mul_f64 v[89:90], v[89:90], v[101:102]
	v_add_f64 v[37:38], v[37:38], -v[97:98]
	v_fma_f64 v[89:90], v[91:92], v[125:126], v[89:90]
	v_add_f64 v[39:40], v[39:40], -v[89:90]
	ds_read2_b64 v[89:92], v0 offset0:94 offset1:95
	s_waitcnt lgkmcnt(0)
	v_mul_f64 v[97:98], v[91:92], v[101:102]
	v_fma_f64 v[97:98], v[89:90], v[125:126], -v[97:98]
	v_mul_f64 v[89:90], v[89:90], v[101:102]
	v_add_f64 v[33:34], v[33:34], -v[97:98]
	v_fma_f64 v[89:90], v[91:92], v[125:126], v[89:90]
	v_add_f64 v[35:36], v[35:36], -v[89:90]
	ds_read2_b64 v[89:92], v0 offset0:96 offset1:97
	s_waitcnt lgkmcnt(0)
	v_mul_f64 v[97:98], v[91:92], v[101:102]
	v_fma_f64 v[97:98], v[89:90], v[125:126], -v[97:98]
	v_mul_f64 v[89:90], v[89:90], v[101:102]
	v_add_f64 v[29:30], v[29:30], -v[97:98]
	v_fma_f64 v[89:90], v[91:92], v[125:126], v[89:90]
	v_add_f64 v[31:32], v[31:32], -v[89:90]
	ds_read2_b64 v[89:92], v0 offset0:98 offset1:99
	s_waitcnt lgkmcnt(0)
	v_mul_f64 v[97:98], v[91:92], v[101:102]
	v_fma_f64 v[97:98], v[89:90], v[125:126], -v[97:98]
	v_mul_f64 v[89:90], v[89:90], v[101:102]
	v_add_f64 v[25:26], v[25:26], -v[97:98]
	v_fma_f64 v[89:90], v[91:92], v[125:126], v[89:90]
	v_add_f64 v[27:28], v[27:28], -v[89:90]
	ds_read2_b64 v[89:92], v0 offset0:100 offset1:101
	s_waitcnt lgkmcnt(0)
	v_mul_f64 v[97:98], v[91:92], v[101:102]
	v_fma_f64 v[97:98], v[89:90], v[125:126], -v[97:98]
	v_mul_f64 v[89:90], v[89:90], v[101:102]
	v_add_f64 v[21:22], v[21:22], -v[97:98]
	v_fma_f64 v[89:90], v[91:92], v[125:126], v[89:90]
	v_add_f64 v[23:24], v[23:24], -v[89:90]
	ds_read2_b64 v[89:92], v0 offset0:102 offset1:103
	s_waitcnt lgkmcnt(0)
	v_mul_f64 v[97:98], v[91:92], v[101:102]
	v_fma_f64 v[97:98], v[89:90], v[125:126], -v[97:98]
	v_mul_f64 v[89:90], v[89:90], v[101:102]
	v_add_f64 v[17:18], v[17:18], -v[97:98]
	v_fma_f64 v[89:90], v[91:92], v[125:126], v[89:90]
	v_add_f64 v[19:20], v[19:20], -v[89:90]
	ds_read2_b64 v[89:92], v0 offset0:104 offset1:105
	s_waitcnt lgkmcnt(0)
	v_mul_f64 v[97:98], v[91:92], v[101:102]
	v_fma_f64 v[97:98], v[89:90], v[125:126], -v[97:98]
	v_mul_f64 v[89:90], v[89:90], v[101:102]
	v_add_f64 v[13:14], v[13:14], -v[97:98]
	v_fma_f64 v[89:90], v[91:92], v[125:126], v[89:90]
	v_add_f64 v[15:16], v[15:16], -v[89:90]
	ds_read2_b64 v[89:92], v0 offset0:106 offset1:107
	s_waitcnt lgkmcnt(0)
	v_mul_f64 v[97:98], v[91:92], v[101:102]
	v_fma_f64 v[97:98], v[89:90], v[125:126], -v[97:98]
	v_mul_f64 v[89:90], v[89:90], v[101:102]
	v_add_f64 v[9:10], v[9:10], -v[97:98]
	v_fma_f64 v[89:90], v[91:92], v[125:126], v[89:90]
	v_add_f64 v[11:12], v[11:12], -v[89:90]
	ds_read2_b64 v[89:92], v0 offset0:108 offset1:109
	s_waitcnt lgkmcnt(0)
	v_mul_f64 v[97:98], v[91:92], v[101:102]
	v_fma_f64 v[97:98], v[89:90], v[125:126], -v[97:98]
	v_mul_f64 v[89:90], v[89:90], v[101:102]
	v_add_f64 v[5:6], v[5:6], -v[97:98]
	v_fma_f64 v[89:90], v[91:92], v[125:126], v[89:90]
	v_add_f64 v[7:8], v[7:8], -v[89:90]
	ds_read2_b64 v[89:92], v0 offset0:110 offset1:111
	s_waitcnt lgkmcnt(0)
	v_mul_f64 v[97:98], v[91:92], v[101:102]
	v_fma_f64 v[97:98], v[89:90], v[125:126], -v[97:98]
	v_mul_f64 v[89:90], v[89:90], v[101:102]
	v_add_f64 v[1:2], v[1:2], -v[97:98]
	v_fma_f64 v[89:90], v[91:92], v[125:126], v[89:90]
	ds_read2_b64 v[97:100], v0 offset0:112 offset1:113
	s_waitcnt lgkmcnt(0)
	v_mul_f64 v[91:92], v[97:98], v[101:102]
	v_add_f64 v[3:4], v[3:4], -v[89:90]
	v_mul_f64 v[89:90], v[99:100], v[101:102]
	v_fma_f64 v[91:92], v[99:100], v[125:126], v[91:92]
	v_mov_b32_e32 v99, v125
	v_mov_b32_e32 v100, v126
	v_fma_f64 v[89:90], v[97:98], v[125:126], -v[89:90]
	buffer_store_dword v99, off, s[24:27], 0 offset:504 ; 4-byte Folded Spill
	s_nop 0
	buffer_store_dword v100, off, s[24:27], 0 offset:508 ; 4-byte Folded Spill
	buffer_store_dword v101, off, s[24:27], 0 offset:512 ; 4-byte Folded Spill
	;; [unrolled: 1-line block ×3, first 2 shown]
	v_add_f64 v[123:124], v[123:124], -v[91:92]
	v_add_f64 v[121:122], v[121:122], -v[89:90]
.LBB112_41:
	s_or_b64 exec, exec, s[0:1]
	s_waitcnt vmcnt(0)
	s_barrier
	buffer_load_dword v57, off, s[24:27], 0 offset:488 ; 4-byte Folded Reload
	buffer_load_dword v58, off, s[24:27], 0 offset:492 ; 4-byte Folded Reload
	;; [unrolled: 1-line block ×4, first 2 shown]
	v_lshl_add_u32 v89, v96, 4, v0
	s_cmp_lt_i32 s3, 4
	s_waitcnt vmcnt(0)
	ds_write2_b64 v89, v[57:58], v[59:60] offset1:1
	s_waitcnt lgkmcnt(0)
	s_barrier
	ds_read2_b64 v[117:120], v0 offset0:4 offset1:5
	v_mov_b32_e32 v89, 2
	s_cbranch_scc1 .LBB112_44
; %bb.42:
	v_add3_u32 v90, v93, 0, 48
	s_mov_b32 s0, 3
	v_mov_b32_e32 v89, 2
.LBB112_43:                             ; =>This Inner Loop Header: Depth=1
	s_waitcnt lgkmcnt(0)
	v_cmp_gt_f64_e32 vcc, 0, v[117:118]
	v_xor_b32_e32 v91, 0x80000000, v118
	ds_read2_b64 v[97:100], v90 offset1:1
	v_xor_b32_e32 v94, 0x80000000, v120
	v_mov_b32_e32 v101, v119
	v_add_u32_e32 v90, 16, v90
	s_waitcnt lgkmcnt(0)
	v_mov_b32_e32 v103, v99
	v_cndmask_b32_e32 v92, v118, v91, vcc
	v_cmp_gt_f64_e32 vcc, 0, v[119:120]
	v_mov_b32_e32 v91, v117
	v_cndmask_b32_e32 v102, v120, v94, vcc
	v_cmp_gt_f64_e32 vcc, 0, v[97:98]
	v_xor_b32_e32 v94, 0x80000000, v98
	v_add_f64 v[91:92], v[91:92], v[101:102]
	v_mov_b32_e32 v101, v97
	v_cndmask_b32_e32 v102, v98, v94, vcc
	v_cmp_gt_f64_e32 vcc, 0, v[99:100]
	v_xor_b32_e32 v94, 0x80000000, v100
	v_cndmask_b32_e32 v104, v100, v94, vcc
	v_add_f64 v[101:102], v[101:102], v[103:104]
	v_cmp_lt_f64_e32 vcc, v[91:92], v[101:102]
	v_mov_b32_e32 v91, s0
	s_add_i32 s0, s0, 1
	s_cmp_lg_u32 s3, s0
	v_cndmask_b32_e32 v118, v118, v98, vcc
	v_cndmask_b32_e32 v117, v117, v97, vcc
	;; [unrolled: 1-line block ×5, first 2 shown]
	s_cbranch_scc1 .LBB112_43
.LBB112_44:
	s_waitcnt lgkmcnt(0)
	v_cmp_eq_f64_e32 vcc, 0, v[117:118]
	v_cmp_eq_f64_e64 s[0:1], 0, v[119:120]
	s_and_b64 s[0:1], vcc, s[0:1]
	s_and_saveexec_b64 s[18:19], s[0:1]
	s_xor_b64 s[0:1], exec, s[18:19]
; %bb.45:
	v_cmp_ne_u32_e32 vcc, 0, v95
	v_cndmask_b32_e32 v95, 3, v95, vcc
; %bb.46:
	s_andn2_saveexec_b64 s[0:1], s[0:1]
	s_cbranch_execz .LBB112_52
; %bb.47:
	v_cmp_ngt_f64_e64 s[18:19], |v[117:118]|, |v[119:120]|
	s_and_saveexec_b64 s[20:21], s[18:19]
	s_xor_b64 s[18:19], exec, s[20:21]
	s_cbranch_execz .LBB112_49
; %bb.48:
	v_div_scale_f64 v[90:91], s[20:21], v[119:120], v[119:120], v[117:118]
	v_rcp_f64_e32 v[97:98], v[90:91]
	v_fma_f64 v[99:100], -v[90:91], v[97:98], 1.0
	v_fma_f64 v[97:98], v[97:98], v[99:100], v[97:98]
	v_div_scale_f64 v[99:100], vcc, v[117:118], v[119:120], v[117:118]
	v_fma_f64 v[101:102], -v[90:91], v[97:98], 1.0
	v_fma_f64 v[97:98], v[97:98], v[101:102], v[97:98]
	v_mul_f64 v[101:102], v[99:100], v[97:98]
	v_fma_f64 v[90:91], -v[90:91], v[101:102], v[99:100]
	v_div_fmas_f64 v[90:91], v[90:91], v[97:98], v[101:102]
	v_div_fixup_f64 v[90:91], v[90:91], v[119:120], v[117:118]
	v_fma_f64 v[97:98], v[117:118], v[90:91], v[119:120]
	v_div_scale_f64 v[99:100], s[20:21], v[97:98], v[97:98], 1.0
	v_div_scale_f64 v[105:106], vcc, 1.0, v[97:98], 1.0
	v_rcp_f64_e32 v[101:102], v[99:100]
	v_fma_f64 v[103:104], -v[99:100], v[101:102], 1.0
	v_fma_f64 v[101:102], v[101:102], v[103:104], v[101:102]
	v_fma_f64 v[103:104], -v[99:100], v[101:102], 1.0
	v_fma_f64 v[101:102], v[101:102], v[103:104], v[101:102]
	v_mul_f64 v[103:104], v[105:106], v[101:102]
	v_fma_f64 v[99:100], -v[99:100], v[103:104], v[105:106]
	v_div_fmas_f64 v[99:100], v[99:100], v[101:102], v[103:104]
	v_div_fixup_f64 v[119:120], v[99:100], v[97:98], 1.0
	v_mul_f64 v[117:118], v[90:91], v[119:120]
	v_xor_b32_e32 v120, 0x80000000, v120
.LBB112_49:
	s_andn2_saveexec_b64 s[18:19], s[18:19]
	s_cbranch_execz .LBB112_51
; %bb.50:
	v_div_scale_f64 v[90:91], s[20:21], v[117:118], v[117:118], v[119:120]
	v_rcp_f64_e32 v[97:98], v[90:91]
	v_fma_f64 v[99:100], -v[90:91], v[97:98], 1.0
	v_fma_f64 v[97:98], v[97:98], v[99:100], v[97:98]
	v_div_scale_f64 v[99:100], vcc, v[119:120], v[117:118], v[119:120]
	v_fma_f64 v[101:102], -v[90:91], v[97:98], 1.0
	v_fma_f64 v[97:98], v[97:98], v[101:102], v[97:98]
	v_mul_f64 v[101:102], v[99:100], v[97:98]
	v_fma_f64 v[90:91], -v[90:91], v[101:102], v[99:100]
	v_div_fmas_f64 v[90:91], v[90:91], v[97:98], v[101:102]
	v_div_fixup_f64 v[90:91], v[90:91], v[117:118], v[119:120]
	v_fma_f64 v[97:98], v[119:120], v[90:91], v[117:118]
	v_div_scale_f64 v[99:100], s[20:21], v[97:98], v[97:98], 1.0
	v_div_scale_f64 v[105:106], vcc, 1.0, v[97:98], 1.0
	v_rcp_f64_e32 v[101:102], v[99:100]
	v_fma_f64 v[103:104], -v[99:100], v[101:102], 1.0
	v_fma_f64 v[101:102], v[101:102], v[103:104], v[101:102]
	v_fma_f64 v[103:104], -v[99:100], v[101:102], 1.0
	v_fma_f64 v[101:102], v[101:102], v[103:104], v[101:102]
	v_mul_f64 v[103:104], v[105:106], v[101:102]
	v_fma_f64 v[99:100], -v[99:100], v[103:104], v[105:106]
	v_div_fmas_f64 v[99:100], v[99:100], v[101:102], v[103:104]
	v_div_fixup_f64 v[117:118], v[99:100], v[97:98], 1.0
	v_mul_f64 v[119:120], v[90:91], -v[117:118]
.LBB112_51:
	s_or_b64 exec, exec, s[18:19]
.LBB112_52:
	s_or_b64 exec, exec, s[0:1]
	v_cmp_ne_u32_e32 vcc, v96, v89
	s_and_saveexec_b64 s[0:1], vcc
	s_xor_b64 s[0:1], exec, s[0:1]
	s_cbranch_execz .LBB112_58
; %bb.53:
	v_cmp_eq_u32_e32 vcc, 2, v96
	s_and_saveexec_b64 s[18:19], vcc
	s_cbranch_execz .LBB112_57
; %bb.54:
	v_cmp_ne_u32_e32 vcc, 2, v89
	s_xor_b64 s[20:21], s[6:7], -1
	s_and_b64 s[22:23], s[20:21], vcc
	s_and_saveexec_b64 s[20:21], s[22:23]
	s_cbranch_execz .LBB112_56
; %bb.55:
	v_mov_b32_e32 v57, v81
	v_mov_b32_e32 v58, v82
	;; [unrolled: 1-line block ×4, first 2 shown]
	buffer_load_dword v81, off, s[24:27], 0 offset:464 ; 4-byte Folded Reload
	buffer_load_dword v82, off, s[24:27], 0 offset:468 ; 4-byte Folded Reload
	v_ashrrev_i32_e32 v90, 31, v89
	v_lshlrev_b64 v[90:91], 2, v[89:90]
	s_waitcnt vmcnt(1)
	v_add_co_u32_e32 v90, vcc, v81, v90
	s_waitcnt vmcnt(0)
	v_addc_co_u32_e32 v91, vcc, v82, v91, vcc
	global_load_dword v92, v[90:91], off
	global_load_dword v94, v[81:82], off offset:8
	s_waitcnt vmcnt(1)
	global_store_dword v[81:82], v92, off offset:8
	v_mov_b32_e32 v84, v60
	v_mov_b32_e32 v83, v59
	v_mov_b32_e32 v82, v58
	v_mov_b32_e32 v81, v57
	s_waitcnt vmcnt(1)
	global_store_dword v[90:91], v94, off
.LBB112_56:
	s_or_b64 exec, exec, s[20:21]
	v_mov_b32_e32 v96, v89
	v_mov_b32_e32 v127, v89
.LBB112_57:
	s_or_b64 exec, exec, s[18:19]
.LBB112_58:
	s_andn2_saveexec_b64 s[0:1], s[0:1]
	s_cbranch_execz .LBB112_60
; %bb.59:
	buffer_load_dword v57, off, s[24:27], 0 offset:472 ; 4-byte Folded Reload
	buffer_load_dword v58, off, s[24:27], 0 offset:476 ; 4-byte Folded Reload
	;; [unrolled: 1-line block ×4, first 2 shown]
	v_mov_b32_e32 v96, 2
	s_waitcnt vmcnt(0)
	ds_write2_b64 v0, v[57:58], v[59:60] offset0:6 offset1:7
	buffer_load_dword v57, off, s[24:27], 0 offset:448 ; 4-byte Folded Reload
	buffer_load_dword v58, off, s[24:27], 0 offset:452 ; 4-byte Folded Reload
	buffer_load_dword v59, off, s[24:27], 0 offset:456 ; 4-byte Folded Reload
	buffer_load_dword v60, off, s[24:27], 0 offset:460 ; 4-byte Folded Reload
	s_waitcnt vmcnt(0)
	ds_write2_b64 v0, v[57:58], v[59:60] offset0:8 offset1:9
	buffer_load_dword v57, off, s[24:27], 0 offset:432 ; 4-byte Folded Reload
	buffer_load_dword v58, off, s[24:27], 0 offset:436 ; 4-byte Folded Reload
	buffer_load_dword v59, off, s[24:27], 0 offset:440 ; 4-byte Folded Reload
	buffer_load_dword v60, off, s[24:27], 0 offset:444 ; 4-byte Folded Reload
	s_waitcnt vmcnt(0)
	ds_write2_b64 v0, v[57:58], v[59:60] offset0:10 offset1:11
	buffer_load_dword v57, off, s[24:27], 0 offset:416 ; 4-byte Folded Reload
	buffer_load_dword v58, off, s[24:27], 0 offset:420 ; 4-byte Folded Reload
	buffer_load_dword v59, off, s[24:27], 0 offset:424 ; 4-byte Folded Reload
	buffer_load_dword v60, off, s[24:27], 0 offset:428 ; 4-byte Folded Reload
	s_waitcnt vmcnt(0)
	ds_write2_b64 v0, v[57:58], v[59:60] offset0:12 offset1:13
	buffer_load_dword v57, off, s[24:27], 0 offset:400 ; 4-byte Folded Reload
	buffer_load_dword v58, off, s[24:27], 0 offset:404 ; 4-byte Folded Reload
	buffer_load_dword v59, off, s[24:27], 0 offset:408 ; 4-byte Folded Reload
	buffer_load_dword v60, off, s[24:27], 0 offset:412 ; 4-byte Folded Reload
	s_waitcnt vmcnt(0)
	ds_write2_b64 v0, v[57:58], v[59:60] offset0:14 offset1:15
	buffer_load_dword v57, off, s[24:27], 0 offset:384 ; 4-byte Folded Reload
	buffer_load_dword v58, off, s[24:27], 0 offset:388 ; 4-byte Folded Reload
	buffer_load_dword v59, off, s[24:27], 0 offset:392 ; 4-byte Folded Reload
	buffer_load_dword v60, off, s[24:27], 0 offset:396 ; 4-byte Folded Reload
	s_waitcnt vmcnt(0)
	ds_write2_b64 v0, v[57:58], v[59:60] offset0:16 offset1:17
	buffer_load_dword v57, off, s[24:27], 0 offset:368 ; 4-byte Folded Reload
	buffer_load_dword v58, off, s[24:27], 0 offset:372 ; 4-byte Folded Reload
	buffer_load_dword v59, off, s[24:27], 0 offset:376 ; 4-byte Folded Reload
	buffer_load_dword v60, off, s[24:27], 0 offset:380 ; 4-byte Folded Reload
	s_waitcnt vmcnt(0)
	ds_write2_b64 v0, v[57:58], v[59:60] offset0:18 offset1:19
	buffer_load_dword v57, off, s[24:27], 0 offset:352 ; 4-byte Folded Reload
	buffer_load_dword v58, off, s[24:27], 0 offset:356 ; 4-byte Folded Reload
	buffer_load_dword v59, off, s[24:27], 0 offset:360 ; 4-byte Folded Reload
	buffer_load_dword v60, off, s[24:27], 0 offset:364 ; 4-byte Folded Reload
	s_waitcnt vmcnt(0)
	ds_write2_b64 v0, v[57:58], v[59:60] offset0:20 offset1:21
	buffer_load_dword v57, off, s[24:27], 0 offset:336 ; 4-byte Folded Reload
	buffer_load_dword v58, off, s[24:27], 0 offset:340 ; 4-byte Folded Reload
	buffer_load_dword v59, off, s[24:27], 0 offset:344 ; 4-byte Folded Reload
	buffer_load_dword v60, off, s[24:27], 0 offset:348 ; 4-byte Folded Reload
	s_waitcnt vmcnt(0)
	ds_write2_b64 v0, v[57:58], v[59:60] offset0:22 offset1:23
	buffer_load_dword v57, off, s[24:27], 0 offset:320 ; 4-byte Folded Reload
	buffer_load_dword v58, off, s[24:27], 0 offset:324 ; 4-byte Folded Reload
	buffer_load_dword v59, off, s[24:27], 0 offset:328 ; 4-byte Folded Reload
	buffer_load_dword v60, off, s[24:27], 0 offset:332 ; 4-byte Folded Reload
	s_waitcnt vmcnt(0)
	ds_write2_b64 v0, v[57:58], v[59:60] offset0:24 offset1:25
	buffer_load_dword v57, off, s[24:27], 0 offset:304 ; 4-byte Folded Reload
	buffer_load_dword v58, off, s[24:27], 0 offset:308 ; 4-byte Folded Reload
	buffer_load_dword v59, off, s[24:27], 0 offset:312 ; 4-byte Folded Reload
	buffer_load_dword v60, off, s[24:27], 0 offset:316 ; 4-byte Folded Reload
	s_waitcnt vmcnt(0)
	ds_write2_b64 v0, v[57:58], v[59:60] offset0:26 offset1:27
	buffer_load_dword v57, off, s[24:27], 0 offset:288 ; 4-byte Folded Reload
	buffer_load_dword v58, off, s[24:27], 0 offset:292 ; 4-byte Folded Reload
	buffer_load_dword v59, off, s[24:27], 0 offset:296 ; 4-byte Folded Reload
	buffer_load_dword v60, off, s[24:27], 0 offset:300 ; 4-byte Folded Reload
	s_waitcnt vmcnt(0)
	ds_write2_b64 v0, v[57:58], v[59:60] offset0:28 offset1:29
	buffer_load_dword v57, off, s[24:27], 0 offset:272 ; 4-byte Folded Reload
	buffer_load_dword v58, off, s[24:27], 0 offset:276 ; 4-byte Folded Reload
	buffer_load_dword v59, off, s[24:27], 0 offset:280 ; 4-byte Folded Reload
	buffer_load_dword v60, off, s[24:27], 0 offset:284 ; 4-byte Folded Reload
	s_waitcnt vmcnt(0)
	ds_write2_b64 v0, v[57:58], v[59:60] offset0:30 offset1:31
	buffer_load_dword v57, off, s[24:27], 0 offset:256 ; 4-byte Folded Reload
	buffer_load_dword v58, off, s[24:27], 0 offset:260 ; 4-byte Folded Reload
	buffer_load_dword v59, off, s[24:27], 0 offset:264 ; 4-byte Folded Reload
	buffer_load_dword v60, off, s[24:27], 0 offset:268 ; 4-byte Folded Reload
	s_waitcnt vmcnt(0)
	ds_write2_b64 v0, v[57:58], v[59:60] offset0:32 offset1:33
	buffer_load_dword v57, off, s[24:27], 0 offset:240 ; 4-byte Folded Reload
	buffer_load_dword v58, off, s[24:27], 0 offset:244 ; 4-byte Folded Reload
	buffer_load_dword v59, off, s[24:27], 0 offset:248 ; 4-byte Folded Reload
	buffer_load_dword v60, off, s[24:27], 0 offset:252 ; 4-byte Folded Reload
	s_waitcnt vmcnt(0)
	ds_write2_b64 v0, v[57:58], v[59:60] offset0:34 offset1:35
	buffer_load_dword v57, off, s[24:27], 0 offset:224 ; 4-byte Folded Reload
	buffer_load_dword v58, off, s[24:27], 0 offset:228 ; 4-byte Folded Reload
	buffer_load_dword v59, off, s[24:27], 0 offset:232 ; 4-byte Folded Reload
	buffer_load_dword v60, off, s[24:27], 0 offset:236 ; 4-byte Folded Reload
	s_waitcnt vmcnt(0)
	ds_write2_b64 v0, v[57:58], v[59:60] offset0:36 offset1:37
	buffer_load_dword v57, off, s[24:27], 0 offset:208 ; 4-byte Folded Reload
	buffer_load_dword v58, off, s[24:27], 0 offset:212 ; 4-byte Folded Reload
	buffer_load_dword v59, off, s[24:27], 0 offset:216 ; 4-byte Folded Reload
	buffer_load_dword v60, off, s[24:27], 0 offset:220 ; 4-byte Folded Reload
	s_waitcnt vmcnt(0)
	ds_write2_b64 v0, v[57:58], v[59:60] offset0:38 offset1:39
	buffer_load_dword v57, off, s[24:27], 0 offset:192 ; 4-byte Folded Reload
	buffer_load_dword v58, off, s[24:27], 0 offset:196 ; 4-byte Folded Reload
	buffer_load_dword v59, off, s[24:27], 0 offset:200 ; 4-byte Folded Reload
	buffer_load_dword v60, off, s[24:27], 0 offset:204 ; 4-byte Folded Reload
	s_waitcnt vmcnt(0)
	ds_write2_b64 v0, v[57:58], v[59:60] offset0:40 offset1:41
	buffer_load_dword v57, off, s[24:27], 0 offset:176 ; 4-byte Folded Reload
	buffer_load_dword v58, off, s[24:27], 0 offset:180 ; 4-byte Folded Reload
	buffer_load_dword v59, off, s[24:27], 0 offset:184 ; 4-byte Folded Reload
	buffer_load_dword v60, off, s[24:27], 0 offset:188 ; 4-byte Folded Reload
	s_waitcnt vmcnt(0)
	ds_write2_b64 v0, v[57:58], v[59:60] offset0:42 offset1:43
	buffer_load_dword v57, off, s[24:27], 0 offset:160 ; 4-byte Folded Reload
	buffer_load_dword v58, off, s[24:27], 0 offset:164 ; 4-byte Folded Reload
	buffer_load_dword v59, off, s[24:27], 0 offset:168 ; 4-byte Folded Reload
	buffer_load_dword v60, off, s[24:27], 0 offset:172 ; 4-byte Folded Reload
	s_waitcnt vmcnt(0)
	ds_write2_b64 v0, v[57:58], v[59:60] offset0:44 offset1:45
	buffer_load_dword v57, off, s[24:27], 0 offset:144 ; 4-byte Folded Reload
	buffer_load_dword v58, off, s[24:27], 0 offset:148 ; 4-byte Folded Reload
	buffer_load_dword v59, off, s[24:27], 0 offset:152 ; 4-byte Folded Reload
	buffer_load_dword v60, off, s[24:27], 0 offset:156 ; 4-byte Folded Reload
	s_waitcnt vmcnt(0)
	ds_write2_b64 v0, v[57:58], v[59:60] offset0:46 offset1:47
	buffer_load_dword v57, off, s[24:27], 0 offset:128 ; 4-byte Folded Reload
	buffer_load_dword v58, off, s[24:27], 0 offset:132 ; 4-byte Folded Reload
	buffer_load_dword v59, off, s[24:27], 0 offset:136 ; 4-byte Folded Reload
	buffer_load_dword v60, off, s[24:27], 0 offset:140 ; 4-byte Folded Reload
	s_waitcnt vmcnt(0)
	ds_write2_b64 v0, v[57:58], v[59:60] offset0:48 offset1:49
	buffer_load_dword v57, off, s[24:27], 0 offset:112 ; 4-byte Folded Reload
	buffer_load_dword v58, off, s[24:27], 0 offset:116 ; 4-byte Folded Reload
	buffer_load_dword v59, off, s[24:27], 0 offset:120 ; 4-byte Folded Reload
	buffer_load_dword v60, off, s[24:27], 0 offset:124 ; 4-byte Folded Reload
	s_waitcnt vmcnt(0)
	ds_write2_b64 v0, v[57:58], v[59:60] offset0:50 offset1:51
	buffer_load_dword v57, off, s[24:27], 0 offset:96 ; 4-byte Folded Reload
	buffer_load_dword v58, off, s[24:27], 0 offset:100 ; 4-byte Folded Reload
	buffer_load_dword v59, off, s[24:27], 0 offset:104 ; 4-byte Folded Reload
	buffer_load_dword v60, off, s[24:27], 0 offset:108 ; 4-byte Folded Reload
	s_waitcnt vmcnt(0)
	ds_write2_b64 v0, v[57:58], v[59:60] offset0:52 offset1:53
	buffer_load_dword v57, off, s[24:27], 0 offset:80 ; 4-byte Folded Reload
	buffer_load_dword v58, off, s[24:27], 0 offset:84 ; 4-byte Folded Reload
	buffer_load_dword v59, off, s[24:27], 0 offset:88 ; 4-byte Folded Reload
	buffer_load_dword v60, off, s[24:27], 0 offset:92 ; 4-byte Folded Reload
	s_waitcnt vmcnt(0)
	ds_write2_b64 v0, v[57:58], v[59:60] offset0:54 offset1:55
	buffer_load_dword v57, off, s[24:27], 0 offset:64 ; 4-byte Folded Reload
	buffer_load_dword v58, off, s[24:27], 0 offset:68 ; 4-byte Folded Reload
	buffer_load_dword v59, off, s[24:27], 0 offset:72 ; 4-byte Folded Reload
	buffer_load_dword v60, off, s[24:27], 0 offset:76 ; 4-byte Folded Reload
	s_waitcnt vmcnt(0)
	ds_write2_b64 v0, v[57:58], v[59:60] offset0:56 offset1:57
	buffer_load_dword v57, off, s[24:27], 0 offset:48 ; 4-byte Folded Reload
	buffer_load_dword v58, off, s[24:27], 0 offset:52 ; 4-byte Folded Reload
	buffer_load_dword v59, off, s[24:27], 0 offset:56 ; 4-byte Folded Reload
	buffer_load_dword v60, off, s[24:27], 0 offset:60 ; 4-byte Folded Reload
	s_waitcnt vmcnt(0)
	ds_write2_b64 v0, v[57:58], v[59:60] offset0:58 offset1:59
	buffer_load_dword v57, off, s[24:27], 0 offset:32 ; 4-byte Folded Reload
	buffer_load_dword v58, off, s[24:27], 0 offset:36 ; 4-byte Folded Reload
	buffer_load_dword v59, off, s[24:27], 0 offset:40 ; 4-byte Folded Reload
	buffer_load_dword v60, off, s[24:27], 0 offset:44 ; 4-byte Folded Reload
	s_waitcnt vmcnt(0)
	ds_write2_b64 v0, v[57:58], v[59:60] offset0:60 offset1:61
	buffer_load_dword v57, off, s[24:27], 0 offset:16 ; 4-byte Folded Reload
	buffer_load_dword v58, off, s[24:27], 0 offset:20 ; 4-byte Folded Reload
	buffer_load_dword v59, off, s[24:27], 0 offset:24 ; 4-byte Folded Reload
	buffer_load_dword v60, off, s[24:27], 0 offset:28 ; 4-byte Folded Reload
	s_waitcnt vmcnt(0)
	ds_write2_b64 v0, v[57:58], v[59:60] offset0:62 offset1:63
	ds_write2_b64 v0, v[81:82], v[83:84] offset0:64 offset1:65
	;; [unrolled: 1-line block ×10, first 2 shown]
	buffer_load_dword v57, off, s[24:27], 0 ; 4-byte Folded Reload
	buffer_load_dword v58, off, s[24:27], 0 offset:4 ; 4-byte Folded Reload
	buffer_load_dword v59, off, s[24:27], 0 offset:8 ; 4-byte Folded Reload
	;; [unrolled: 1-line block ×3, first 2 shown]
	s_waitcnt vmcnt(0)
	ds_write2_b64 v0, v[57:58], v[59:60] offset0:82 offset1:83
	ds_write2_b64 v0, v[53:54], v[55:56] offset0:84 offset1:85
	;; [unrolled: 1-line block ×16, first 2 shown]
.LBB112_60:
	s_or_b64 exec, exec, s[0:1]
	v_cmp_lt_i32_e32 vcc, 2, v96
	s_waitcnt vmcnt(0) lgkmcnt(0)
	s_barrier
	s_and_saveexec_b64 s[0:1], vcc
	s_cbranch_execz .LBB112_62
; %bb.61:
	buffer_load_dword v99, off, s[24:27], 0 offset:488 ; 4-byte Folded Reload
	buffer_load_dword v100, off, s[24:27], 0 offset:492 ; 4-byte Folded Reload
	;; [unrolled: 1-line block ×4, first 2 shown]
	s_waitcnt vmcnt(0)
	v_mul_f64 v[89:90], v[119:120], v[101:102]
	v_fma_f64 v[125:126], v[117:118], v[99:100], -v[89:90]
	v_mul_f64 v[89:90], v[117:118], v[101:102]
	v_fma_f64 v[101:102], v[119:120], v[99:100], v[89:90]
	ds_read2_b64 v[89:92], v0 offset0:6 offset1:7
	buffer_load_dword v57, off, s[24:27], 0 offset:472 ; 4-byte Folded Reload
	buffer_load_dword v58, off, s[24:27], 0 offset:476 ; 4-byte Folded Reload
	buffer_load_dword v59, off, s[24:27], 0 offset:480 ; 4-byte Folded Reload
	buffer_load_dword v60, off, s[24:27], 0 offset:484 ; 4-byte Folded Reload
	s_waitcnt lgkmcnt(0)
	v_mul_f64 v[97:98], v[91:92], v[101:102]
	v_fma_f64 v[97:98], v[89:90], v[125:126], -v[97:98]
	v_mul_f64 v[89:90], v[89:90], v[101:102]
	v_fma_f64 v[89:90], v[91:92], v[125:126], v[89:90]
	s_waitcnt vmcnt(2)
	v_add_f64 v[57:58], v[57:58], -v[97:98]
	s_waitcnt vmcnt(0)
	v_add_f64 v[59:60], v[59:60], -v[89:90]
	buffer_store_dword v57, off, s[24:27], 0 offset:472 ; 4-byte Folded Spill
	s_nop 0
	buffer_store_dword v58, off, s[24:27], 0 offset:476 ; 4-byte Folded Spill
	buffer_store_dword v59, off, s[24:27], 0 offset:480 ; 4-byte Folded Spill
	buffer_store_dword v60, off, s[24:27], 0 offset:484 ; 4-byte Folded Spill
	ds_read2_b64 v[89:92], v0 offset0:8 offset1:9
	buffer_load_dword v57, off, s[24:27], 0 offset:448 ; 4-byte Folded Reload
	buffer_load_dword v58, off, s[24:27], 0 offset:452 ; 4-byte Folded Reload
	buffer_load_dword v59, off, s[24:27], 0 offset:456 ; 4-byte Folded Reload
	buffer_load_dword v60, off, s[24:27], 0 offset:460 ; 4-byte Folded Reload
	s_waitcnt lgkmcnt(0)
	v_mul_f64 v[97:98], v[91:92], v[101:102]
	v_fma_f64 v[97:98], v[89:90], v[125:126], -v[97:98]
	v_mul_f64 v[89:90], v[89:90], v[101:102]
	v_fma_f64 v[89:90], v[91:92], v[125:126], v[89:90]
	s_waitcnt vmcnt(2)
	v_add_f64 v[57:58], v[57:58], -v[97:98]
	s_waitcnt vmcnt(0)
	v_add_f64 v[59:60], v[59:60], -v[89:90]
	buffer_store_dword v57, off, s[24:27], 0 offset:448 ; 4-byte Folded Spill
	s_nop 0
	buffer_store_dword v58, off, s[24:27], 0 offset:452 ; 4-byte Folded Spill
	buffer_store_dword v59, off, s[24:27], 0 offset:456 ; 4-byte Folded Spill
	buffer_store_dword v60, off, s[24:27], 0 offset:460 ; 4-byte Folded Spill
	;; [unrolled: 19-line block ×29, first 2 shown]
	ds_read2_b64 v[89:92], v0 offset0:64 offset1:65
	s_waitcnt lgkmcnt(0)
	v_mul_f64 v[97:98], v[91:92], v[101:102]
	v_fma_f64 v[97:98], v[89:90], v[125:126], -v[97:98]
	v_mul_f64 v[89:90], v[89:90], v[101:102]
	v_add_f64 v[81:82], v[81:82], -v[97:98]
	v_fma_f64 v[89:90], v[91:92], v[125:126], v[89:90]
	v_add_f64 v[83:84], v[83:84], -v[89:90]
	ds_read2_b64 v[89:92], v0 offset0:66 offset1:67
	s_waitcnt lgkmcnt(0)
	v_mul_f64 v[97:98], v[91:92], v[101:102]
	v_fma_f64 v[97:98], v[89:90], v[125:126], -v[97:98]
	v_mul_f64 v[89:90], v[89:90], v[101:102]
	v_add_f64 v[85:86], v[85:86], -v[97:98]
	v_fma_f64 v[89:90], v[91:92], v[125:126], v[89:90]
	v_add_f64 v[87:88], v[87:88], -v[89:90]
	;; [unrolled: 8-line block ×9, first 2 shown]
	ds_read2_b64 v[89:92], v0 offset0:82 offset1:83
	buffer_load_dword v57, off, s[24:27], 0 ; 4-byte Folded Reload
	buffer_load_dword v58, off, s[24:27], 0 offset:4 ; 4-byte Folded Reload
	buffer_load_dword v59, off, s[24:27], 0 offset:8 ; 4-byte Folded Reload
	;; [unrolled: 1-line block ×3, first 2 shown]
	s_waitcnt lgkmcnt(0)
	v_mul_f64 v[97:98], v[91:92], v[101:102]
	v_fma_f64 v[97:98], v[89:90], v[125:126], -v[97:98]
	v_mul_f64 v[89:90], v[89:90], v[101:102]
	v_fma_f64 v[89:90], v[91:92], v[125:126], v[89:90]
	s_waitcnt vmcnt(2)
	v_add_f64 v[57:58], v[57:58], -v[97:98]
	s_waitcnt vmcnt(0)
	v_add_f64 v[59:60], v[59:60], -v[89:90]
	buffer_store_dword v57, off, s[24:27], 0 ; 4-byte Folded Spill
	s_nop 0
	buffer_store_dword v58, off, s[24:27], 0 offset:4 ; 4-byte Folded Spill
	buffer_store_dword v59, off, s[24:27], 0 offset:8 ; 4-byte Folded Spill
	;; [unrolled: 1-line block ×3, first 2 shown]
	ds_read2_b64 v[89:92], v0 offset0:84 offset1:85
	s_waitcnt lgkmcnt(0)
	v_mul_f64 v[97:98], v[91:92], v[101:102]
	v_fma_f64 v[97:98], v[89:90], v[125:126], -v[97:98]
	v_mul_f64 v[89:90], v[89:90], v[101:102]
	v_add_f64 v[53:54], v[53:54], -v[97:98]
	v_fma_f64 v[89:90], v[91:92], v[125:126], v[89:90]
	v_add_f64 v[55:56], v[55:56], -v[89:90]
	ds_read2_b64 v[89:92], v0 offset0:86 offset1:87
	s_waitcnt lgkmcnt(0)
	v_mul_f64 v[97:98], v[91:92], v[101:102]
	v_fma_f64 v[97:98], v[89:90], v[125:126], -v[97:98]
	v_mul_f64 v[89:90], v[89:90], v[101:102]
	v_add_f64 v[49:50], v[49:50], -v[97:98]
	v_fma_f64 v[89:90], v[91:92], v[125:126], v[89:90]
	v_add_f64 v[51:52], v[51:52], -v[89:90]
	;; [unrolled: 8-line block ×13, first 2 shown]
	ds_read2_b64 v[89:92], v0 offset0:110 offset1:111
	s_waitcnt lgkmcnt(0)
	v_mul_f64 v[97:98], v[91:92], v[101:102]
	v_fma_f64 v[97:98], v[89:90], v[125:126], -v[97:98]
	v_mul_f64 v[89:90], v[89:90], v[101:102]
	v_add_f64 v[1:2], v[1:2], -v[97:98]
	v_fma_f64 v[89:90], v[91:92], v[125:126], v[89:90]
	ds_read2_b64 v[97:100], v0 offset0:112 offset1:113
	s_waitcnt lgkmcnt(0)
	v_mul_f64 v[91:92], v[97:98], v[101:102]
	v_add_f64 v[3:4], v[3:4], -v[89:90]
	v_mul_f64 v[89:90], v[99:100], v[101:102]
	v_fma_f64 v[91:92], v[99:100], v[125:126], v[91:92]
	v_mov_b32_e32 v99, v125
	v_mov_b32_e32 v100, v126
	v_fma_f64 v[89:90], v[97:98], v[125:126], -v[89:90]
	buffer_store_dword v99, off, s[24:27], 0 offset:488 ; 4-byte Folded Spill
	s_nop 0
	buffer_store_dword v100, off, s[24:27], 0 offset:492 ; 4-byte Folded Spill
	buffer_store_dword v101, off, s[24:27], 0 offset:496 ; 4-byte Folded Spill
	buffer_store_dword v102, off, s[24:27], 0 offset:500 ; 4-byte Folded Spill
	v_add_f64 v[123:124], v[123:124], -v[91:92]
	v_add_f64 v[121:122], v[121:122], -v[89:90]
.LBB112_62:
	s_or_b64 exec, exec, s[0:1]
	s_waitcnt vmcnt(0)
	s_barrier
	buffer_load_dword v57, off, s[24:27], 0 offset:472 ; 4-byte Folded Reload
	buffer_load_dword v58, off, s[24:27], 0 offset:476 ; 4-byte Folded Reload
	;; [unrolled: 1-line block ×4, first 2 shown]
	v_lshl_add_u32 v89, v96, 4, v0
	s_mov_b32 s0, 4
	s_cmp_lt_i32 s3, 5
	s_waitcnt vmcnt(0)
	ds_write2_b64 v89, v[57:58], v[59:60] offset1:1
	s_waitcnt lgkmcnt(0)
	s_barrier
	ds_read2_b64 v[117:120], v0 offset0:6 offset1:7
	v_mov_b32_e32 v89, 3
	s_cbranch_scc1 .LBB112_65
; %bb.63:
	v_add3_u32 v90, v93, 0, 64
	v_mov_b32_e32 v89, 3
.LBB112_64:                             ; =>This Inner Loop Header: Depth=1
	s_waitcnt lgkmcnt(0)
	v_cmp_gt_f64_e32 vcc, 0, v[117:118]
	v_xor_b32_e32 v97, 0x80000000, v118
	ds_read2_b64 v[91:94], v90 offset1:1
	v_xor_b32_e32 v99, 0x80000000, v120
	v_add_u32_e32 v90, 16, v90
	s_waitcnt lgkmcnt(0)
	v_xor_b32_e32 v101, 0x80000000, v94
	v_cndmask_b32_e32 v98, v118, v97, vcc
	v_cmp_gt_f64_e32 vcc, 0, v[119:120]
	v_mov_b32_e32 v97, v117
	v_cndmask_b32_e32 v100, v120, v99, vcc
	v_cmp_gt_f64_e32 vcc, 0, v[91:92]
	v_mov_b32_e32 v99, v119
	v_add_f64 v[97:98], v[97:98], v[99:100]
	v_xor_b32_e32 v99, 0x80000000, v92
	v_cndmask_b32_e32 v100, v92, v99, vcc
	v_cmp_gt_f64_e32 vcc, 0, v[93:94]
	v_mov_b32_e32 v99, v91
	v_cndmask_b32_e32 v102, v94, v101, vcc
	v_mov_b32_e32 v101, v93
	v_add_f64 v[99:100], v[99:100], v[101:102]
	v_cmp_lt_f64_e32 vcc, v[97:98], v[99:100]
	v_cndmask_b32_e32 v117, v117, v91, vcc
	v_mov_b32_e32 v91, s0
	s_add_i32 s0, s0, 1
	v_cndmask_b32_e32 v118, v118, v92, vcc
	v_cndmask_b32_e32 v120, v120, v94, vcc
	;; [unrolled: 1-line block ×4, first 2 shown]
	s_cmp_lg_u32 s3, s0
	s_cbranch_scc1 .LBB112_64
.LBB112_65:
	s_waitcnt lgkmcnt(0)
	v_cmp_eq_f64_e32 vcc, 0, v[117:118]
	v_cmp_eq_f64_e64 s[0:1], 0, v[119:120]
	s_and_b64 s[0:1], vcc, s[0:1]
	s_and_saveexec_b64 s[18:19], s[0:1]
	s_xor_b64 s[0:1], exec, s[18:19]
; %bb.66:
	v_cmp_ne_u32_e32 vcc, 0, v95
	v_cndmask_b32_e32 v95, 4, v95, vcc
; %bb.67:
	s_andn2_saveexec_b64 s[0:1], s[0:1]
	s_cbranch_execz .LBB112_73
; %bb.68:
	v_cmp_ngt_f64_e64 s[18:19], |v[117:118]|, |v[119:120]|
	s_and_saveexec_b64 s[20:21], s[18:19]
	s_xor_b64 s[18:19], exec, s[20:21]
	s_cbranch_execz .LBB112_70
; %bb.69:
	v_div_scale_f64 v[90:91], s[20:21], v[119:120], v[119:120], v[117:118]
	v_rcp_f64_e32 v[92:93], v[90:91]
	v_fma_f64 v[97:98], -v[90:91], v[92:93], 1.0
	v_fma_f64 v[92:93], v[92:93], v[97:98], v[92:93]
	v_div_scale_f64 v[97:98], vcc, v[117:118], v[119:120], v[117:118]
	v_fma_f64 v[99:100], -v[90:91], v[92:93], 1.0
	v_fma_f64 v[92:93], v[92:93], v[99:100], v[92:93]
	v_mul_f64 v[99:100], v[97:98], v[92:93]
	v_fma_f64 v[90:91], -v[90:91], v[99:100], v[97:98]
	v_div_fmas_f64 v[90:91], v[90:91], v[92:93], v[99:100]
	v_div_fixup_f64 v[90:91], v[90:91], v[119:120], v[117:118]
	v_fma_f64 v[92:93], v[117:118], v[90:91], v[119:120]
	v_div_scale_f64 v[97:98], s[20:21], v[92:93], v[92:93], 1.0
	v_div_scale_f64 v[103:104], vcc, 1.0, v[92:93], 1.0
	v_rcp_f64_e32 v[99:100], v[97:98]
	v_fma_f64 v[101:102], -v[97:98], v[99:100], 1.0
	v_fma_f64 v[99:100], v[99:100], v[101:102], v[99:100]
	v_fma_f64 v[101:102], -v[97:98], v[99:100], 1.0
	v_fma_f64 v[99:100], v[99:100], v[101:102], v[99:100]
	v_mul_f64 v[101:102], v[103:104], v[99:100]
	v_fma_f64 v[97:98], -v[97:98], v[101:102], v[103:104]
	v_div_fmas_f64 v[97:98], v[97:98], v[99:100], v[101:102]
	v_div_fixup_f64 v[119:120], v[97:98], v[92:93], 1.0
	v_mul_f64 v[117:118], v[90:91], v[119:120]
	v_xor_b32_e32 v120, 0x80000000, v120
.LBB112_70:
	s_andn2_saveexec_b64 s[18:19], s[18:19]
	s_cbranch_execz .LBB112_72
; %bb.71:
	v_div_scale_f64 v[90:91], s[20:21], v[117:118], v[117:118], v[119:120]
	v_rcp_f64_e32 v[92:93], v[90:91]
	v_fma_f64 v[97:98], -v[90:91], v[92:93], 1.0
	v_fma_f64 v[92:93], v[92:93], v[97:98], v[92:93]
	v_div_scale_f64 v[97:98], vcc, v[119:120], v[117:118], v[119:120]
	v_fma_f64 v[99:100], -v[90:91], v[92:93], 1.0
	v_fma_f64 v[92:93], v[92:93], v[99:100], v[92:93]
	v_mul_f64 v[99:100], v[97:98], v[92:93]
	v_fma_f64 v[90:91], -v[90:91], v[99:100], v[97:98]
	v_div_fmas_f64 v[90:91], v[90:91], v[92:93], v[99:100]
	v_div_fixup_f64 v[90:91], v[90:91], v[117:118], v[119:120]
	v_fma_f64 v[92:93], v[119:120], v[90:91], v[117:118]
	v_div_scale_f64 v[97:98], s[20:21], v[92:93], v[92:93], 1.0
	v_div_scale_f64 v[103:104], vcc, 1.0, v[92:93], 1.0
	v_rcp_f64_e32 v[99:100], v[97:98]
	v_fma_f64 v[101:102], -v[97:98], v[99:100], 1.0
	v_fma_f64 v[99:100], v[99:100], v[101:102], v[99:100]
	v_fma_f64 v[101:102], -v[97:98], v[99:100], 1.0
	v_fma_f64 v[99:100], v[99:100], v[101:102], v[99:100]
	v_mul_f64 v[101:102], v[103:104], v[99:100]
	v_fma_f64 v[97:98], -v[97:98], v[101:102], v[103:104]
	v_div_fmas_f64 v[97:98], v[97:98], v[99:100], v[101:102]
	v_div_fixup_f64 v[117:118], v[97:98], v[92:93], 1.0
	v_mul_f64 v[119:120], v[90:91], -v[117:118]
.LBB112_72:
	s_or_b64 exec, exec, s[18:19]
.LBB112_73:
	s_or_b64 exec, exec, s[0:1]
	v_cmp_ne_u32_e32 vcc, v96, v89
	s_and_saveexec_b64 s[0:1], vcc
	s_xor_b64 s[0:1], exec, s[0:1]
	s_cbranch_execz .LBB112_79
; %bb.74:
	v_cmp_eq_u32_e32 vcc, 3, v96
	s_and_saveexec_b64 s[18:19], vcc
	s_cbranch_execz .LBB112_78
; %bb.75:
	v_cmp_ne_u32_e32 vcc, 3, v89
	s_xor_b64 s[20:21], s[6:7], -1
	s_and_b64 s[22:23], s[20:21], vcc
	s_and_saveexec_b64 s[20:21], s[22:23]
	s_cbranch_execz .LBB112_77
; %bb.76:
	v_mov_b32_e32 v57, v81
	v_mov_b32_e32 v58, v82
	;; [unrolled: 1-line block ×4, first 2 shown]
	buffer_load_dword v81, off, s[24:27], 0 offset:464 ; 4-byte Folded Reload
	buffer_load_dword v82, off, s[24:27], 0 offset:468 ; 4-byte Folded Reload
	v_ashrrev_i32_e32 v90, 31, v89
	v_lshlrev_b64 v[90:91], 2, v[89:90]
	s_waitcnt vmcnt(1)
	v_add_co_u32_e32 v90, vcc, v81, v90
	s_waitcnt vmcnt(0)
	v_addc_co_u32_e32 v91, vcc, v82, v91, vcc
	global_load_dword v92, v[90:91], off
	global_load_dword v93, v[81:82], off offset:12
	s_waitcnt vmcnt(1)
	global_store_dword v[81:82], v92, off offset:12
	v_mov_b32_e32 v84, v60
	v_mov_b32_e32 v83, v59
	;; [unrolled: 1-line block ×4, first 2 shown]
	s_waitcnt vmcnt(1)
	global_store_dword v[90:91], v93, off
.LBB112_77:
	s_or_b64 exec, exec, s[20:21]
	v_mov_b32_e32 v96, v89
	v_mov_b32_e32 v127, v89
.LBB112_78:
	s_or_b64 exec, exec, s[18:19]
.LBB112_79:
	s_andn2_saveexec_b64 s[0:1], s[0:1]
	s_cbranch_execz .LBB112_81
; %bb.80:
	buffer_load_dword v57, off, s[24:27], 0 offset:448 ; 4-byte Folded Reload
	buffer_load_dword v58, off, s[24:27], 0 offset:452 ; 4-byte Folded Reload
	;; [unrolled: 1-line block ×4, first 2 shown]
	v_mov_b32_e32 v96, 3
	s_waitcnt vmcnt(0)
	ds_write2_b64 v0, v[57:58], v[59:60] offset0:8 offset1:9
	buffer_load_dword v57, off, s[24:27], 0 offset:432 ; 4-byte Folded Reload
	buffer_load_dword v58, off, s[24:27], 0 offset:436 ; 4-byte Folded Reload
	buffer_load_dword v59, off, s[24:27], 0 offset:440 ; 4-byte Folded Reload
	buffer_load_dword v60, off, s[24:27], 0 offset:444 ; 4-byte Folded Reload
	s_waitcnt vmcnt(0)
	ds_write2_b64 v0, v[57:58], v[59:60] offset0:10 offset1:11
	buffer_load_dword v57, off, s[24:27], 0 offset:416 ; 4-byte Folded Reload
	buffer_load_dword v58, off, s[24:27], 0 offset:420 ; 4-byte Folded Reload
	buffer_load_dword v59, off, s[24:27], 0 offset:424 ; 4-byte Folded Reload
	buffer_load_dword v60, off, s[24:27], 0 offset:428 ; 4-byte Folded Reload
	;; [unrolled: 6-line block ×27, first 2 shown]
	s_waitcnt vmcnt(0)
	ds_write2_b64 v0, v[57:58], v[59:60] offset0:62 offset1:63
	ds_write2_b64 v0, v[81:82], v[83:84] offset0:64 offset1:65
	;; [unrolled: 1-line block ×10, first 2 shown]
	buffer_load_dword v57, off, s[24:27], 0 ; 4-byte Folded Reload
	buffer_load_dword v58, off, s[24:27], 0 offset:4 ; 4-byte Folded Reload
	buffer_load_dword v59, off, s[24:27], 0 offset:8 ; 4-byte Folded Reload
	;; [unrolled: 1-line block ×3, first 2 shown]
	s_waitcnt vmcnt(0)
	ds_write2_b64 v0, v[57:58], v[59:60] offset0:82 offset1:83
	ds_write2_b64 v0, v[53:54], v[55:56] offset0:84 offset1:85
	;; [unrolled: 1-line block ×16, first 2 shown]
.LBB112_81:
	s_or_b64 exec, exec, s[0:1]
	v_cmp_lt_i32_e32 vcc, 3, v96
	s_waitcnt vmcnt(0) lgkmcnt(0)
	s_barrier
	s_and_saveexec_b64 s[0:1], vcc
	s_cbranch_execz .LBB112_83
; %bb.82:
	buffer_load_dword v97, off, s[24:27], 0 offset:472 ; 4-byte Folded Reload
	buffer_load_dword v98, off, s[24:27], 0 offset:476 ; 4-byte Folded Reload
	buffer_load_dword v99, off, s[24:27], 0 offset:480 ; 4-byte Folded Reload
	buffer_load_dword v100, off, s[24:27], 0 offset:484 ; 4-byte Folded Reload
	s_waitcnt vmcnt(0)
	v_mul_f64 v[89:90], v[119:120], v[99:100]
	v_fma_f64 v[125:126], v[117:118], v[97:98], -v[89:90]
	v_mul_f64 v[89:90], v[117:118], v[99:100]
	v_fma_f64 v[99:100], v[119:120], v[97:98], v[89:90]
	ds_read2_b64 v[89:92], v0 offset0:8 offset1:9
	buffer_load_dword v57, off, s[24:27], 0 offset:448 ; 4-byte Folded Reload
	buffer_load_dword v58, off, s[24:27], 0 offset:452 ; 4-byte Folded Reload
	;; [unrolled: 1-line block ×4, first 2 shown]
	v_mov_b32_e32 v97, v125
	v_mov_b32_e32 v98, v126
	s_waitcnt lgkmcnt(0)
	v_mul_f64 v[93:94], v[91:92], v[99:100]
	v_fma_f64 v[93:94], v[89:90], v[125:126], -v[93:94]
	v_mul_f64 v[89:90], v[89:90], v[99:100]
	v_fma_f64 v[89:90], v[91:92], v[125:126], v[89:90]
	s_waitcnt vmcnt(2)
	v_add_f64 v[57:58], v[57:58], -v[93:94]
	s_waitcnt vmcnt(0)
	v_add_f64 v[59:60], v[59:60], -v[89:90]
	buffer_store_dword v57, off, s[24:27], 0 offset:448 ; 4-byte Folded Spill
	s_nop 0
	buffer_store_dword v58, off, s[24:27], 0 offset:452 ; 4-byte Folded Spill
	buffer_store_dword v59, off, s[24:27], 0 offset:456 ; 4-byte Folded Spill
	buffer_store_dword v60, off, s[24:27], 0 offset:460 ; 4-byte Folded Spill
	ds_read2_b64 v[89:92], v0 offset0:10 offset1:11
	buffer_load_dword v57, off, s[24:27], 0 offset:432 ; 4-byte Folded Reload
	buffer_load_dword v58, off, s[24:27], 0 offset:436 ; 4-byte Folded Reload
	buffer_load_dword v59, off, s[24:27], 0 offset:440 ; 4-byte Folded Reload
	buffer_load_dword v60, off, s[24:27], 0 offset:444 ; 4-byte Folded Reload
	s_waitcnt lgkmcnt(0)
	v_mul_f64 v[93:94], v[91:92], v[99:100]
	v_fma_f64 v[93:94], v[89:90], v[125:126], -v[93:94]
	v_mul_f64 v[89:90], v[89:90], v[99:100]
	v_fma_f64 v[89:90], v[91:92], v[125:126], v[89:90]
	s_waitcnt vmcnt(2)
	v_add_f64 v[57:58], v[57:58], -v[93:94]
	s_waitcnt vmcnt(0)
	v_add_f64 v[59:60], v[59:60], -v[89:90]
	buffer_store_dword v57, off, s[24:27], 0 offset:432 ; 4-byte Folded Spill
	s_nop 0
	buffer_store_dword v58, off, s[24:27], 0 offset:436 ; 4-byte Folded Spill
	buffer_store_dword v59, off, s[24:27], 0 offset:440 ; 4-byte Folded Spill
	buffer_store_dword v60, off, s[24:27], 0 offset:444 ; 4-byte Folded Spill
	ds_read2_b64 v[89:92], v0 offset0:12 offset1:13
	buffer_load_dword v57, off, s[24:27], 0 offset:416 ; 4-byte Folded Reload
	buffer_load_dword v58, off, s[24:27], 0 offset:420 ; 4-byte Folded Reload
	buffer_load_dword v59, off, s[24:27], 0 offset:424 ; 4-byte Folded Reload
	buffer_load_dword v60, off, s[24:27], 0 offset:428 ; 4-byte Folded Reload
	;; [unrolled: 19-line block ×27, first 2 shown]
	s_waitcnt lgkmcnt(0)
	v_mul_f64 v[93:94], v[91:92], v[99:100]
	v_fma_f64 v[93:94], v[89:90], v[125:126], -v[93:94]
	v_mul_f64 v[89:90], v[89:90], v[99:100]
	v_fma_f64 v[89:90], v[91:92], v[125:126], v[89:90]
	s_waitcnt vmcnt(2)
	v_add_f64 v[57:58], v[57:58], -v[93:94]
	s_waitcnt vmcnt(0)
	v_add_f64 v[59:60], v[59:60], -v[89:90]
	buffer_store_dword v57, off, s[24:27], 0 offset:16 ; 4-byte Folded Spill
	s_nop 0
	buffer_store_dword v58, off, s[24:27], 0 offset:20 ; 4-byte Folded Spill
	buffer_store_dword v59, off, s[24:27], 0 offset:24 ; 4-byte Folded Spill
	;; [unrolled: 1-line block ×3, first 2 shown]
	ds_read2_b64 v[89:92], v0 offset0:64 offset1:65
	s_waitcnt lgkmcnt(0)
	v_mul_f64 v[93:94], v[91:92], v[99:100]
	v_fma_f64 v[93:94], v[89:90], v[125:126], -v[93:94]
	v_mul_f64 v[89:90], v[89:90], v[99:100]
	v_add_f64 v[81:82], v[81:82], -v[93:94]
	v_fma_f64 v[89:90], v[91:92], v[125:126], v[89:90]
	v_add_f64 v[83:84], v[83:84], -v[89:90]
	ds_read2_b64 v[89:92], v0 offset0:66 offset1:67
	s_waitcnt lgkmcnt(0)
	v_mul_f64 v[93:94], v[91:92], v[99:100]
	v_fma_f64 v[93:94], v[89:90], v[125:126], -v[93:94]
	v_mul_f64 v[89:90], v[89:90], v[99:100]
	v_add_f64 v[85:86], v[85:86], -v[93:94]
	v_fma_f64 v[89:90], v[91:92], v[125:126], v[89:90]
	v_add_f64 v[87:88], v[87:88], -v[89:90]
	;; [unrolled: 8-line block ×9, first 2 shown]
	ds_read2_b64 v[89:92], v0 offset0:82 offset1:83
	buffer_load_dword v57, off, s[24:27], 0 ; 4-byte Folded Reload
	buffer_load_dword v58, off, s[24:27], 0 offset:4 ; 4-byte Folded Reload
	buffer_load_dword v59, off, s[24:27], 0 offset:8 ; 4-byte Folded Reload
	;; [unrolled: 1-line block ×3, first 2 shown]
	s_waitcnt lgkmcnt(0)
	v_mul_f64 v[93:94], v[91:92], v[99:100]
	v_fma_f64 v[93:94], v[89:90], v[125:126], -v[93:94]
	v_mul_f64 v[89:90], v[89:90], v[99:100]
	v_fma_f64 v[89:90], v[91:92], v[125:126], v[89:90]
	s_waitcnt vmcnt(2)
	v_add_f64 v[57:58], v[57:58], -v[93:94]
	s_waitcnt vmcnt(0)
	v_add_f64 v[59:60], v[59:60], -v[89:90]
	buffer_store_dword v57, off, s[24:27], 0 ; 4-byte Folded Spill
	s_nop 0
	buffer_store_dword v58, off, s[24:27], 0 offset:4 ; 4-byte Folded Spill
	buffer_store_dword v59, off, s[24:27], 0 offset:8 ; 4-byte Folded Spill
	;; [unrolled: 1-line block ×3, first 2 shown]
	ds_read2_b64 v[89:92], v0 offset0:84 offset1:85
	s_waitcnt lgkmcnt(0)
	v_mul_f64 v[93:94], v[91:92], v[99:100]
	v_fma_f64 v[93:94], v[89:90], v[125:126], -v[93:94]
	v_mul_f64 v[89:90], v[89:90], v[99:100]
	v_add_f64 v[53:54], v[53:54], -v[93:94]
	v_fma_f64 v[89:90], v[91:92], v[125:126], v[89:90]
	v_add_f64 v[55:56], v[55:56], -v[89:90]
	ds_read2_b64 v[89:92], v0 offset0:86 offset1:87
	s_waitcnt lgkmcnt(0)
	v_mul_f64 v[93:94], v[91:92], v[99:100]
	v_fma_f64 v[93:94], v[89:90], v[125:126], -v[93:94]
	v_mul_f64 v[89:90], v[89:90], v[99:100]
	v_add_f64 v[49:50], v[49:50], -v[93:94]
	v_fma_f64 v[89:90], v[91:92], v[125:126], v[89:90]
	v_add_f64 v[51:52], v[51:52], -v[89:90]
	ds_read2_b64 v[89:92], v0 offset0:88 offset1:89
	s_waitcnt lgkmcnt(0)
	v_mul_f64 v[93:94], v[91:92], v[99:100]
	v_fma_f64 v[93:94], v[89:90], v[125:126], -v[93:94]
	v_mul_f64 v[89:90], v[89:90], v[99:100]
	v_add_f64 v[45:46], v[45:46], -v[93:94]
	v_fma_f64 v[89:90], v[91:92], v[125:126], v[89:90]
	v_add_f64 v[47:48], v[47:48], -v[89:90]
	ds_read2_b64 v[89:92], v0 offset0:90 offset1:91
	s_waitcnt lgkmcnt(0)
	v_mul_f64 v[93:94], v[91:92], v[99:100]
	v_fma_f64 v[93:94], v[89:90], v[125:126], -v[93:94]
	v_mul_f64 v[89:90], v[89:90], v[99:100]
	v_add_f64 v[41:42], v[41:42], -v[93:94]
	v_fma_f64 v[89:90], v[91:92], v[125:126], v[89:90]
	v_add_f64 v[43:44], v[43:44], -v[89:90]
	ds_read2_b64 v[89:92], v0 offset0:92 offset1:93
	s_waitcnt lgkmcnt(0)
	v_mul_f64 v[93:94], v[91:92], v[99:100]
	v_fma_f64 v[93:94], v[89:90], v[125:126], -v[93:94]
	v_mul_f64 v[89:90], v[89:90], v[99:100]
	v_add_f64 v[37:38], v[37:38], -v[93:94]
	v_fma_f64 v[89:90], v[91:92], v[125:126], v[89:90]
	v_add_f64 v[39:40], v[39:40], -v[89:90]
	ds_read2_b64 v[89:92], v0 offset0:94 offset1:95
	s_waitcnt lgkmcnt(0)
	v_mul_f64 v[93:94], v[91:92], v[99:100]
	v_fma_f64 v[93:94], v[89:90], v[125:126], -v[93:94]
	v_mul_f64 v[89:90], v[89:90], v[99:100]
	v_add_f64 v[33:34], v[33:34], -v[93:94]
	v_fma_f64 v[89:90], v[91:92], v[125:126], v[89:90]
	v_add_f64 v[35:36], v[35:36], -v[89:90]
	ds_read2_b64 v[89:92], v0 offset0:96 offset1:97
	s_waitcnt lgkmcnt(0)
	v_mul_f64 v[93:94], v[91:92], v[99:100]
	v_fma_f64 v[93:94], v[89:90], v[125:126], -v[93:94]
	v_mul_f64 v[89:90], v[89:90], v[99:100]
	v_add_f64 v[29:30], v[29:30], -v[93:94]
	v_fma_f64 v[89:90], v[91:92], v[125:126], v[89:90]
	v_add_f64 v[31:32], v[31:32], -v[89:90]
	ds_read2_b64 v[89:92], v0 offset0:98 offset1:99
	s_waitcnt lgkmcnt(0)
	v_mul_f64 v[93:94], v[91:92], v[99:100]
	v_fma_f64 v[93:94], v[89:90], v[125:126], -v[93:94]
	v_mul_f64 v[89:90], v[89:90], v[99:100]
	v_add_f64 v[25:26], v[25:26], -v[93:94]
	v_fma_f64 v[89:90], v[91:92], v[125:126], v[89:90]
	v_add_f64 v[27:28], v[27:28], -v[89:90]
	ds_read2_b64 v[89:92], v0 offset0:100 offset1:101
	s_waitcnt lgkmcnt(0)
	v_mul_f64 v[93:94], v[91:92], v[99:100]
	v_fma_f64 v[93:94], v[89:90], v[125:126], -v[93:94]
	v_mul_f64 v[89:90], v[89:90], v[99:100]
	v_add_f64 v[21:22], v[21:22], -v[93:94]
	v_fma_f64 v[89:90], v[91:92], v[125:126], v[89:90]
	v_add_f64 v[23:24], v[23:24], -v[89:90]
	ds_read2_b64 v[89:92], v0 offset0:102 offset1:103
	s_waitcnt lgkmcnt(0)
	v_mul_f64 v[93:94], v[91:92], v[99:100]
	v_fma_f64 v[93:94], v[89:90], v[125:126], -v[93:94]
	v_mul_f64 v[89:90], v[89:90], v[99:100]
	v_add_f64 v[17:18], v[17:18], -v[93:94]
	v_fma_f64 v[89:90], v[91:92], v[125:126], v[89:90]
	v_add_f64 v[19:20], v[19:20], -v[89:90]
	ds_read2_b64 v[89:92], v0 offset0:104 offset1:105
	s_waitcnt lgkmcnt(0)
	v_mul_f64 v[93:94], v[91:92], v[99:100]
	v_fma_f64 v[93:94], v[89:90], v[125:126], -v[93:94]
	v_mul_f64 v[89:90], v[89:90], v[99:100]
	v_add_f64 v[13:14], v[13:14], -v[93:94]
	v_fma_f64 v[89:90], v[91:92], v[125:126], v[89:90]
	v_add_f64 v[15:16], v[15:16], -v[89:90]
	ds_read2_b64 v[89:92], v0 offset0:106 offset1:107
	s_waitcnt lgkmcnt(0)
	v_mul_f64 v[93:94], v[91:92], v[99:100]
	v_fma_f64 v[93:94], v[89:90], v[125:126], -v[93:94]
	v_mul_f64 v[89:90], v[89:90], v[99:100]
	v_add_f64 v[9:10], v[9:10], -v[93:94]
	v_fma_f64 v[89:90], v[91:92], v[125:126], v[89:90]
	v_add_f64 v[11:12], v[11:12], -v[89:90]
	ds_read2_b64 v[89:92], v0 offset0:108 offset1:109
	s_waitcnt lgkmcnt(0)
	v_mul_f64 v[93:94], v[91:92], v[99:100]
	v_fma_f64 v[93:94], v[89:90], v[125:126], -v[93:94]
	v_mul_f64 v[89:90], v[89:90], v[99:100]
	v_add_f64 v[5:6], v[5:6], -v[93:94]
	v_fma_f64 v[89:90], v[91:92], v[125:126], v[89:90]
	v_add_f64 v[7:8], v[7:8], -v[89:90]
	ds_read2_b64 v[89:92], v0 offset0:110 offset1:111
	s_waitcnt lgkmcnt(0)
	v_mul_f64 v[93:94], v[91:92], v[99:100]
	v_fma_f64 v[93:94], v[89:90], v[125:126], -v[93:94]
	v_mul_f64 v[89:90], v[89:90], v[99:100]
	v_add_f64 v[1:2], v[1:2], -v[93:94]
	v_fma_f64 v[89:90], v[91:92], v[125:126], v[89:90]
	ds_read2_b64 v[91:94], v0 offset0:112 offset1:113
	v_add_f64 v[3:4], v[3:4], -v[89:90]
	s_waitcnt lgkmcnt(0)
	v_mul_f64 v[89:90], v[93:94], v[99:100]
	v_fma_f64 v[89:90], v[91:92], v[125:126], -v[89:90]
	v_mul_f64 v[91:92], v[91:92], v[99:100]
	buffer_store_dword v97, off, s[24:27], 0 offset:472 ; 4-byte Folded Spill
	s_nop 0
	buffer_store_dword v98, off, s[24:27], 0 offset:476 ; 4-byte Folded Spill
	buffer_store_dword v99, off, s[24:27], 0 offset:480 ; 4-byte Folded Spill
	;; [unrolled: 1-line block ×3, first 2 shown]
	v_add_f64 v[121:122], v[121:122], -v[89:90]
	v_fma_f64 v[91:92], v[93:94], v[125:126], v[91:92]
	v_add_f64 v[123:124], v[123:124], -v[91:92]
.LBB112_83:
	s_or_b64 exec, exec, s[0:1]
	s_waitcnt vmcnt(0)
	s_barrier
	buffer_load_dword v57, off, s[24:27], 0 offset:448 ; 4-byte Folded Reload
	buffer_load_dword v58, off, s[24:27], 0 offset:452 ; 4-byte Folded Reload
	;; [unrolled: 1-line block ×4, first 2 shown]
	v_lshl_add_u32 v89, v96, 4, v0
	s_cmp_lt_i32 s3, 6
	s_waitcnt vmcnt(0)
	ds_write2_b64 v89, v[57:58], v[59:60] offset1:1
	s_waitcnt lgkmcnt(0)
	s_barrier
	ds_read2_b64 v[117:120], v0 offset0:8 offset1:9
	v_mov_b32_e32 v89, 4
	s_cbranch_scc1 .LBB112_86
; %bb.84:
	v_mov_b32_e32 v89, 4
	v_add_u32_e32 v90, 0x50, v0
	s_mov_b32 s0, 5
.LBB112_85:                             ; =>This Inner Loop Header: Depth=1
	s_waitcnt lgkmcnt(0)
	v_cmp_gt_f64_e32 vcc, 0, v[117:118]
	v_xor_b32_e32 v97, 0x80000000, v118
	ds_read2_b64 v[91:94], v90 offset1:1
	v_xor_b32_e32 v99, 0x80000000, v120
	v_add_u32_e32 v90, 16, v90
	s_waitcnt lgkmcnt(0)
	v_xor_b32_e32 v101, 0x80000000, v94
	v_cndmask_b32_e32 v98, v118, v97, vcc
	v_cmp_gt_f64_e32 vcc, 0, v[119:120]
	v_mov_b32_e32 v97, v117
	v_cndmask_b32_e32 v100, v120, v99, vcc
	v_cmp_gt_f64_e32 vcc, 0, v[91:92]
	v_mov_b32_e32 v99, v119
	v_add_f64 v[97:98], v[97:98], v[99:100]
	v_xor_b32_e32 v99, 0x80000000, v92
	v_cndmask_b32_e32 v100, v92, v99, vcc
	v_cmp_gt_f64_e32 vcc, 0, v[93:94]
	v_mov_b32_e32 v99, v91
	v_cndmask_b32_e32 v102, v94, v101, vcc
	v_mov_b32_e32 v101, v93
	v_add_f64 v[99:100], v[99:100], v[101:102]
	v_cmp_lt_f64_e32 vcc, v[97:98], v[99:100]
	v_cndmask_b32_e32 v117, v117, v91, vcc
	v_mov_b32_e32 v91, s0
	s_add_i32 s0, s0, 1
	v_cndmask_b32_e32 v118, v118, v92, vcc
	v_cndmask_b32_e32 v120, v120, v94, vcc
	;; [unrolled: 1-line block ×4, first 2 shown]
	s_cmp_lg_u32 s3, s0
	s_cbranch_scc1 .LBB112_85
.LBB112_86:
	s_waitcnt lgkmcnt(0)
	v_cmp_eq_f64_e32 vcc, 0, v[117:118]
	v_cmp_eq_f64_e64 s[0:1], 0, v[119:120]
	s_and_b64 s[0:1], vcc, s[0:1]
	s_and_saveexec_b64 s[18:19], s[0:1]
	s_xor_b64 s[0:1], exec, s[18:19]
; %bb.87:
	v_cmp_ne_u32_e32 vcc, 0, v95
	v_cndmask_b32_e32 v95, 5, v95, vcc
; %bb.88:
	s_andn2_saveexec_b64 s[0:1], s[0:1]
	s_cbranch_execz .LBB112_94
; %bb.89:
	v_cmp_ngt_f64_e64 s[18:19], |v[117:118]|, |v[119:120]|
	s_and_saveexec_b64 s[20:21], s[18:19]
	s_xor_b64 s[18:19], exec, s[20:21]
	s_cbranch_execz .LBB112_91
; %bb.90:
	v_div_scale_f64 v[90:91], s[20:21], v[119:120], v[119:120], v[117:118]
	v_rcp_f64_e32 v[92:93], v[90:91]
	v_fma_f64 v[97:98], -v[90:91], v[92:93], 1.0
	v_fma_f64 v[92:93], v[92:93], v[97:98], v[92:93]
	v_div_scale_f64 v[97:98], vcc, v[117:118], v[119:120], v[117:118]
	v_fma_f64 v[99:100], -v[90:91], v[92:93], 1.0
	v_fma_f64 v[92:93], v[92:93], v[99:100], v[92:93]
	v_mul_f64 v[99:100], v[97:98], v[92:93]
	v_fma_f64 v[90:91], -v[90:91], v[99:100], v[97:98]
	v_div_fmas_f64 v[90:91], v[90:91], v[92:93], v[99:100]
	v_div_fixup_f64 v[90:91], v[90:91], v[119:120], v[117:118]
	v_fma_f64 v[92:93], v[117:118], v[90:91], v[119:120]
	v_div_scale_f64 v[97:98], s[20:21], v[92:93], v[92:93], 1.0
	v_div_scale_f64 v[103:104], vcc, 1.0, v[92:93], 1.0
	v_rcp_f64_e32 v[99:100], v[97:98]
	v_fma_f64 v[101:102], -v[97:98], v[99:100], 1.0
	v_fma_f64 v[99:100], v[99:100], v[101:102], v[99:100]
	v_fma_f64 v[101:102], -v[97:98], v[99:100], 1.0
	v_fma_f64 v[99:100], v[99:100], v[101:102], v[99:100]
	v_mul_f64 v[101:102], v[103:104], v[99:100]
	v_fma_f64 v[97:98], -v[97:98], v[101:102], v[103:104]
	v_div_fmas_f64 v[97:98], v[97:98], v[99:100], v[101:102]
	v_div_fixup_f64 v[119:120], v[97:98], v[92:93], 1.0
	v_mul_f64 v[117:118], v[90:91], v[119:120]
	v_xor_b32_e32 v120, 0x80000000, v120
.LBB112_91:
	s_andn2_saveexec_b64 s[18:19], s[18:19]
	s_cbranch_execz .LBB112_93
; %bb.92:
	v_div_scale_f64 v[90:91], s[20:21], v[117:118], v[117:118], v[119:120]
	v_rcp_f64_e32 v[92:93], v[90:91]
	v_fma_f64 v[97:98], -v[90:91], v[92:93], 1.0
	v_fma_f64 v[92:93], v[92:93], v[97:98], v[92:93]
	v_div_scale_f64 v[97:98], vcc, v[119:120], v[117:118], v[119:120]
	v_fma_f64 v[99:100], -v[90:91], v[92:93], 1.0
	v_fma_f64 v[92:93], v[92:93], v[99:100], v[92:93]
	v_mul_f64 v[99:100], v[97:98], v[92:93]
	v_fma_f64 v[90:91], -v[90:91], v[99:100], v[97:98]
	v_div_fmas_f64 v[90:91], v[90:91], v[92:93], v[99:100]
	v_div_fixup_f64 v[90:91], v[90:91], v[117:118], v[119:120]
	v_fma_f64 v[92:93], v[119:120], v[90:91], v[117:118]
	v_div_scale_f64 v[97:98], s[20:21], v[92:93], v[92:93], 1.0
	v_div_scale_f64 v[103:104], vcc, 1.0, v[92:93], 1.0
	v_rcp_f64_e32 v[99:100], v[97:98]
	v_fma_f64 v[101:102], -v[97:98], v[99:100], 1.0
	v_fma_f64 v[99:100], v[99:100], v[101:102], v[99:100]
	v_fma_f64 v[101:102], -v[97:98], v[99:100], 1.0
	v_fma_f64 v[99:100], v[99:100], v[101:102], v[99:100]
	v_mul_f64 v[101:102], v[103:104], v[99:100]
	v_fma_f64 v[97:98], -v[97:98], v[101:102], v[103:104]
	v_div_fmas_f64 v[97:98], v[97:98], v[99:100], v[101:102]
	v_div_fixup_f64 v[117:118], v[97:98], v[92:93], 1.0
	v_mul_f64 v[119:120], v[90:91], -v[117:118]
.LBB112_93:
	s_or_b64 exec, exec, s[18:19]
.LBB112_94:
	s_or_b64 exec, exec, s[0:1]
	v_cmp_ne_u32_e32 vcc, v96, v89
	s_and_saveexec_b64 s[0:1], vcc
	s_xor_b64 s[0:1], exec, s[0:1]
	s_cbranch_execz .LBB112_100
; %bb.95:
	v_cmp_eq_u32_e32 vcc, 4, v96
	s_and_saveexec_b64 s[18:19], vcc
	s_cbranch_execz .LBB112_99
; %bb.96:
	v_cmp_ne_u32_e32 vcc, 4, v89
	s_xor_b64 s[20:21], s[6:7], -1
	s_and_b64 s[22:23], s[20:21], vcc
	s_and_saveexec_b64 s[20:21], s[22:23]
	s_cbranch_execz .LBB112_98
; %bb.97:
	v_mov_b32_e32 v57, v81
	v_mov_b32_e32 v58, v82
	;; [unrolled: 1-line block ×4, first 2 shown]
	buffer_load_dword v81, off, s[24:27], 0 offset:464 ; 4-byte Folded Reload
	buffer_load_dword v82, off, s[24:27], 0 offset:468 ; 4-byte Folded Reload
	v_ashrrev_i32_e32 v90, 31, v89
	v_lshlrev_b64 v[90:91], 2, v[89:90]
	s_waitcnt vmcnt(1)
	v_add_co_u32_e32 v90, vcc, v81, v90
	s_waitcnt vmcnt(0)
	v_addc_co_u32_e32 v91, vcc, v82, v91, vcc
	global_load_dword v92, v[90:91], off
	global_load_dword v93, v[81:82], off offset:16
	s_waitcnt vmcnt(1)
	global_store_dword v[81:82], v92, off offset:16
	v_mov_b32_e32 v84, v60
	v_mov_b32_e32 v83, v59
	v_mov_b32_e32 v82, v58
	v_mov_b32_e32 v81, v57
	s_waitcnt vmcnt(1)
	global_store_dword v[90:91], v93, off
.LBB112_98:
	s_or_b64 exec, exec, s[20:21]
	v_mov_b32_e32 v96, v89
	v_mov_b32_e32 v127, v89
.LBB112_99:
	s_or_b64 exec, exec, s[18:19]
.LBB112_100:
	s_andn2_saveexec_b64 s[0:1], s[0:1]
	s_cbranch_execz .LBB112_102
; %bb.101:
	buffer_load_dword v57, off, s[24:27], 0 offset:432 ; 4-byte Folded Reload
	buffer_load_dword v58, off, s[24:27], 0 offset:436 ; 4-byte Folded Reload
	;; [unrolled: 1-line block ×4, first 2 shown]
	v_mov_b32_e32 v96, 4
	s_waitcnt vmcnt(0)
	ds_write2_b64 v0, v[57:58], v[59:60] offset0:10 offset1:11
	buffer_load_dword v57, off, s[24:27], 0 offset:416 ; 4-byte Folded Reload
	buffer_load_dword v58, off, s[24:27], 0 offset:420 ; 4-byte Folded Reload
	buffer_load_dword v59, off, s[24:27], 0 offset:424 ; 4-byte Folded Reload
	buffer_load_dword v60, off, s[24:27], 0 offset:428 ; 4-byte Folded Reload
	s_waitcnt vmcnt(0)
	ds_write2_b64 v0, v[57:58], v[59:60] offset0:12 offset1:13
	buffer_load_dword v57, off, s[24:27], 0 offset:400 ; 4-byte Folded Reload
	buffer_load_dword v58, off, s[24:27], 0 offset:404 ; 4-byte Folded Reload
	buffer_load_dword v59, off, s[24:27], 0 offset:408 ; 4-byte Folded Reload
	buffer_load_dword v60, off, s[24:27], 0 offset:412 ; 4-byte Folded Reload
	;; [unrolled: 6-line block ×26, first 2 shown]
	s_waitcnt vmcnt(0)
	ds_write2_b64 v0, v[57:58], v[59:60] offset0:62 offset1:63
	ds_write2_b64 v0, v[81:82], v[83:84] offset0:64 offset1:65
	;; [unrolled: 1-line block ×10, first 2 shown]
	buffer_load_dword v57, off, s[24:27], 0 ; 4-byte Folded Reload
	buffer_load_dword v58, off, s[24:27], 0 offset:4 ; 4-byte Folded Reload
	buffer_load_dword v59, off, s[24:27], 0 offset:8 ; 4-byte Folded Reload
	;; [unrolled: 1-line block ×3, first 2 shown]
	s_waitcnt vmcnt(0)
	ds_write2_b64 v0, v[57:58], v[59:60] offset0:82 offset1:83
	ds_write2_b64 v0, v[53:54], v[55:56] offset0:84 offset1:85
	ds_write2_b64 v0, v[49:50], v[51:52] offset0:86 offset1:87
	ds_write2_b64 v0, v[45:46], v[47:48] offset0:88 offset1:89
	ds_write2_b64 v0, v[41:42], v[43:44] offset0:90 offset1:91
	ds_write2_b64 v0, v[37:38], v[39:40] offset0:92 offset1:93
	ds_write2_b64 v0, v[33:34], v[35:36] offset0:94 offset1:95
	ds_write2_b64 v0, v[29:30], v[31:32] offset0:96 offset1:97
	ds_write2_b64 v0, v[25:26], v[27:28] offset0:98 offset1:99
	ds_write2_b64 v0, v[21:22], v[23:24] offset0:100 offset1:101
	ds_write2_b64 v0, v[17:18], v[19:20] offset0:102 offset1:103
	ds_write2_b64 v0, v[13:14], v[15:16] offset0:104 offset1:105
	ds_write2_b64 v0, v[9:10], v[11:12] offset0:106 offset1:107
	ds_write2_b64 v0, v[5:6], v[7:8] offset0:108 offset1:109
	ds_write2_b64 v0, v[1:2], v[3:4] offset0:110 offset1:111
	ds_write2_b64 v0, v[121:122], v[123:124] offset0:112 offset1:113
.LBB112_102:
	s_or_b64 exec, exec, s[0:1]
	v_cmp_lt_i32_e32 vcc, 4, v96
	s_waitcnt vmcnt(0) lgkmcnt(0)
	s_barrier
	s_and_saveexec_b64 s[0:1], vcc
	s_cbranch_execz .LBB112_104
; %bb.103:
	buffer_load_dword v97, off, s[24:27], 0 offset:448 ; 4-byte Folded Reload
	buffer_load_dword v98, off, s[24:27], 0 offset:452 ; 4-byte Folded Reload
	buffer_load_dword v99, off, s[24:27], 0 offset:456 ; 4-byte Folded Reload
	buffer_load_dword v100, off, s[24:27], 0 offset:460 ; 4-byte Folded Reload
	s_waitcnt vmcnt(0)
	v_mul_f64 v[89:90], v[119:120], v[99:100]
	v_fma_f64 v[125:126], v[117:118], v[97:98], -v[89:90]
	v_mul_f64 v[89:90], v[117:118], v[99:100]
	v_fma_f64 v[99:100], v[119:120], v[97:98], v[89:90]
	ds_read2_b64 v[89:92], v0 offset0:10 offset1:11
	buffer_load_dword v57, off, s[24:27], 0 offset:432 ; 4-byte Folded Reload
	buffer_load_dword v58, off, s[24:27], 0 offset:436 ; 4-byte Folded Reload
	;; [unrolled: 1-line block ×4, first 2 shown]
	v_mov_b32_e32 v97, v125
	v_mov_b32_e32 v98, v126
	s_waitcnt lgkmcnt(0)
	v_mul_f64 v[93:94], v[91:92], v[99:100]
	v_fma_f64 v[93:94], v[89:90], v[125:126], -v[93:94]
	v_mul_f64 v[89:90], v[89:90], v[99:100]
	v_fma_f64 v[89:90], v[91:92], v[125:126], v[89:90]
	s_waitcnt vmcnt(2)
	v_add_f64 v[57:58], v[57:58], -v[93:94]
	s_waitcnt vmcnt(0)
	v_add_f64 v[59:60], v[59:60], -v[89:90]
	buffer_store_dword v57, off, s[24:27], 0 offset:432 ; 4-byte Folded Spill
	s_nop 0
	buffer_store_dword v58, off, s[24:27], 0 offset:436 ; 4-byte Folded Spill
	buffer_store_dword v59, off, s[24:27], 0 offset:440 ; 4-byte Folded Spill
	buffer_store_dword v60, off, s[24:27], 0 offset:444 ; 4-byte Folded Spill
	ds_read2_b64 v[89:92], v0 offset0:12 offset1:13
	buffer_load_dword v57, off, s[24:27], 0 offset:416 ; 4-byte Folded Reload
	buffer_load_dword v58, off, s[24:27], 0 offset:420 ; 4-byte Folded Reload
	buffer_load_dword v59, off, s[24:27], 0 offset:424 ; 4-byte Folded Reload
	buffer_load_dword v60, off, s[24:27], 0 offset:428 ; 4-byte Folded Reload
	s_waitcnt lgkmcnt(0)
	v_mul_f64 v[93:94], v[91:92], v[99:100]
	v_fma_f64 v[93:94], v[89:90], v[125:126], -v[93:94]
	v_mul_f64 v[89:90], v[89:90], v[99:100]
	v_fma_f64 v[89:90], v[91:92], v[125:126], v[89:90]
	s_waitcnt vmcnt(2)
	v_add_f64 v[57:58], v[57:58], -v[93:94]
	s_waitcnt vmcnt(0)
	v_add_f64 v[59:60], v[59:60], -v[89:90]
	buffer_store_dword v57, off, s[24:27], 0 offset:416 ; 4-byte Folded Spill
	s_nop 0
	buffer_store_dword v58, off, s[24:27], 0 offset:420 ; 4-byte Folded Spill
	buffer_store_dword v59, off, s[24:27], 0 offset:424 ; 4-byte Folded Spill
	buffer_store_dword v60, off, s[24:27], 0 offset:428 ; 4-byte Folded Spill
	ds_read2_b64 v[89:92], v0 offset0:14 offset1:15
	buffer_load_dword v57, off, s[24:27], 0 offset:400 ; 4-byte Folded Reload
	buffer_load_dword v58, off, s[24:27], 0 offset:404 ; 4-byte Folded Reload
	buffer_load_dword v59, off, s[24:27], 0 offset:408 ; 4-byte Folded Reload
	buffer_load_dword v60, off, s[24:27], 0 offset:412 ; 4-byte Folded Reload
	;; [unrolled: 19-line block ×26, first 2 shown]
	s_waitcnt lgkmcnt(0)
	v_mul_f64 v[93:94], v[91:92], v[99:100]
	v_fma_f64 v[93:94], v[89:90], v[125:126], -v[93:94]
	v_mul_f64 v[89:90], v[89:90], v[99:100]
	v_fma_f64 v[89:90], v[91:92], v[125:126], v[89:90]
	s_waitcnt vmcnt(2)
	v_add_f64 v[57:58], v[57:58], -v[93:94]
	s_waitcnt vmcnt(0)
	v_add_f64 v[59:60], v[59:60], -v[89:90]
	buffer_store_dword v57, off, s[24:27], 0 offset:16 ; 4-byte Folded Spill
	s_nop 0
	buffer_store_dword v58, off, s[24:27], 0 offset:20 ; 4-byte Folded Spill
	buffer_store_dword v59, off, s[24:27], 0 offset:24 ; 4-byte Folded Spill
	;; [unrolled: 1-line block ×3, first 2 shown]
	ds_read2_b64 v[89:92], v0 offset0:64 offset1:65
	s_waitcnt lgkmcnt(0)
	v_mul_f64 v[93:94], v[91:92], v[99:100]
	v_fma_f64 v[93:94], v[89:90], v[125:126], -v[93:94]
	v_mul_f64 v[89:90], v[89:90], v[99:100]
	v_add_f64 v[81:82], v[81:82], -v[93:94]
	v_fma_f64 v[89:90], v[91:92], v[125:126], v[89:90]
	v_add_f64 v[83:84], v[83:84], -v[89:90]
	ds_read2_b64 v[89:92], v0 offset0:66 offset1:67
	s_waitcnt lgkmcnt(0)
	v_mul_f64 v[93:94], v[91:92], v[99:100]
	v_fma_f64 v[93:94], v[89:90], v[125:126], -v[93:94]
	v_mul_f64 v[89:90], v[89:90], v[99:100]
	v_add_f64 v[85:86], v[85:86], -v[93:94]
	v_fma_f64 v[89:90], v[91:92], v[125:126], v[89:90]
	v_add_f64 v[87:88], v[87:88], -v[89:90]
	;; [unrolled: 8-line block ×9, first 2 shown]
	ds_read2_b64 v[89:92], v0 offset0:82 offset1:83
	buffer_load_dword v57, off, s[24:27], 0 ; 4-byte Folded Reload
	buffer_load_dword v58, off, s[24:27], 0 offset:4 ; 4-byte Folded Reload
	buffer_load_dword v59, off, s[24:27], 0 offset:8 ; 4-byte Folded Reload
	;; [unrolled: 1-line block ×3, first 2 shown]
	s_waitcnt lgkmcnt(0)
	v_mul_f64 v[93:94], v[91:92], v[99:100]
	v_fma_f64 v[93:94], v[89:90], v[125:126], -v[93:94]
	v_mul_f64 v[89:90], v[89:90], v[99:100]
	v_fma_f64 v[89:90], v[91:92], v[125:126], v[89:90]
	s_waitcnt vmcnt(2)
	v_add_f64 v[57:58], v[57:58], -v[93:94]
	s_waitcnt vmcnt(0)
	v_add_f64 v[59:60], v[59:60], -v[89:90]
	buffer_store_dword v57, off, s[24:27], 0 ; 4-byte Folded Spill
	s_nop 0
	buffer_store_dword v58, off, s[24:27], 0 offset:4 ; 4-byte Folded Spill
	buffer_store_dword v59, off, s[24:27], 0 offset:8 ; 4-byte Folded Spill
	;; [unrolled: 1-line block ×3, first 2 shown]
	ds_read2_b64 v[89:92], v0 offset0:84 offset1:85
	s_waitcnt lgkmcnt(0)
	v_mul_f64 v[93:94], v[91:92], v[99:100]
	v_fma_f64 v[93:94], v[89:90], v[125:126], -v[93:94]
	v_mul_f64 v[89:90], v[89:90], v[99:100]
	v_add_f64 v[53:54], v[53:54], -v[93:94]
	v_fma_f64 v[89:90], v[91:92], v[125:126], v[89:90]
	v_add_f64 v[55:56], v[55:56], -v[89:90]
	ds_read2_b64 v[89:92], v0 offset0:86 offset1:87
	s_waitcnt lgkmcnt(0)
	v_mul_f64 v[93:94], v[91:92], v[99:100]
	v_fma_f64 v[93:94], v[89:90], v[125:126], -v[93:94]
	v_mul_f64 v[89:90], v[89:90], v[99:100]
	v_add_f64 v[49:50], v[49:50], -v[93:94]
	v_fma_f64 v[89:90], v[91:92], v[125:126], v[89:90]
	v_add_f64 v[51:52], v[51:52], -v[89:90]
	;; [unrolled: 8-line block ×13, first 2 shown]
	ds_read2_b64 v[89:92], v0 offset0:110 offset1:111
	s_waitcnt lgkmcnt(0)
	v_mul_f64 v[93:94], v[91:92], v[99:100]
	v_fma_f64 v[93:94], v[89:90], v[125:126], -v[93:94]
	v_mul_f64 v[89:90], v[89:90], v[99:100]
	v_add_f64 v[1:2], v[1:2], -v[93:94]
	v_fma_f64 v[89:90], v[91:92], v[125:126], v[89:90]
	ds_read2_b64 v[91:94], v0 offset0:112 offset1:113
	v_add_f64 v[3:4], v[3:4], -v[89:90]
	s_waitcnt lgkmcnt(0)
	v_mul_f64 v[89:90], v[93:94], v[99:100]
	v_fma_f64 v[89:90], v[91:92], v[125:126], -v[89:90]
	v_mul_f64 v[91:92], v[91:92], v[99:100]
	buffer_store_dword v97, off, s[24:27], 0 offset:448 ; 4-byte Folded Spill
	s_nop 0
	buffer_store_dword v98, off, s[24:27], 0 offset:452 ; 4-byte Folded Spill
	buffer_store_dword v99, off, s[24:27], 0 offset:456 ; 4-byte Folded Spill
	;; [unrolled: 1-line block ×3, first 2 shown]
	v_add_f64 v[121:122], v[121:122], -v[89:90]
	v_fma_f64 v[91:92], v[93:94], v[125:126], v[91:92]
	v_add_f64 v[123:124], v[123:124], -v[91:92]
.LBB112_104:
	s_or_b64 exec, exec, s[0:1]
	s_waitcnt vmcnt(0)
	s_barrier
	buffer_load_dword v57, off, s[24:27], 0 offset:432 ; 4-byte Folded Reload
	buffer_load_dword v58, off, s[24:27], 0 offset:436 ; 4-byte Folded Reload
	;; [unrolled: 1-line block ×4, first 2 shown]
	v_lshl_add_u32 v89, v96, 4, v0
	s_cmp_lt_i32 s3, 7
	s_waitcnt vmcnt(0)
	ds_write2_b64 v89, v[57:58], v[59:60] offset1:1
	s_waitcnt lgkmcnt(0)
	s_barrier
	ds_read2_b64 v[117:120], v0 offset0:10 offset1:11
	v_mov_b32_e32 v89, 5
	s_cbranch_scc1 .LBB112_107
; %bb.105:
	v_add_u32_e32 v90, 0x60, v0
	s_mov_b32 s0, 6
	v_mov_b32_e32 v89, 5
.LBB112_106:                            ; =>This Inner Loop Header: Depth=1
	s_waitcnt lgkmcnt(0)
	v_cmp_gt_f64_e32 vcc, 0, v[117:118]
	v_xor_b32_e32 v97, 0x80000000, v118
	ds_read2_b64 v[91:94], v90 offset1:1
	v_xor_b32_e32 v99, 0x80000000, v120
	v_add_u32_e32 v90, 16, v90
	s_waitcnt lgkmcnt(0)
	v_xor_b32_e32 v101, 0x80000000, v94
	v_cndmask_b32_e32 v98, v118, v97, vcc
	v_cmp_gt_f64_e32 vcc, 0, v[119:120]
	v_mov_b32_e32 v97, v117
	v_cndmask_b32_e32 v100, v120, v99, vcc
	v_cmp_gt_f64_e32 vcc, 0, v[91:92]
	v_mov_b32_e32 v99, v119
	v_add_f64 v[97:98], v[97:98], v[99:100]
	v_xor_b32_e32 v99, 0x80000000, v92
	v_cndmask_b32_e32 v100, v92, v99, vcc
	v_cmp_gt_f64_e32 vcc, 0, v[93:94]
	v_mov_b32_e32 v99, v91
	v_cndmask_b32_e32 v102, v94, v101, vcc
	v_mov_b32_e32 v101, v93
	v_add_f64 v[99:100], v[99:100], v[101:102]
	v_cmp_lt_f64_e32 vcc, v[97:98], v[99:100]
	v_cndmask_b32_e32 v117, v117, v91, vcc
	v_mov_b32_e32 v91, s0
	s_add_i32 s0, s0, 1
	v_cndmask_b32_e32 v118, v118, v92, vcc
	v_cndmask_b32_e32 v120, v120, v94, vcc
	;; [unrolled: 1-line block ×4, first 2 shown]
	s_cmp_lg_u32 s3, s0
	s_cbranch_scc1 .LBB112_106
.LBB112_107:
	s_waitcnt lgkmcnt(0)
	v_cmp_eq_f64_e32 vcc, 0, v[117:118]
	v_cmp_eq_f64_e64 s[0:1], 0, v[119:120]
	s_and_b64 s[0:1], vcc, s[0:1]
	s_and_saveexec_b64 s[18:19], s[0:1]
	s_xor_b64 s[0:1], exec, s[18:19]
; %bb.108:
	v_cmp_ne_u32_e32 vcc, 0, v95
	v_cndmask_b32_e32 v95, 6, v95, vcc
; %bb.109:
	s_andn2_saveexec_b64 s[0:1], s[0:1]
	s_cbranch_execz .LBB112_115
; %bb.110:
	v_cmp_ngt_f64_e64 s[18:19], |v[117:118]|, |v[119:120]|
	s_and_saveexec_b64 s[20:21], s[18:19]
	s_xor_b64 s[18:19], exec, s[20:21]
	s_cbranch_execz .LBB112_112
; %bb.111:
	v_div_scale_f64 v[90:91], s[20:21], v[119:120], v[119:120], v[117:118]
	v_rcp_f64_e32 v[92:93], v[90:91]
	v_fma_f64 v[97:98], -v[90:91], v[92:93], 1.0
	v_fma_f64 v[92:93], v[92:93], v[97:98], v[92:93]
	v_div_scale_f64 v[97:98], vcc, v[117:118], v[119:120], v[117:118]
	v_fma_f64 v[99:100], -v[90:91], v[92:93], 1.0
	v_fma_f64 v[92:93], v[92:93], v[99:100], v[92:93]
	v_mul_f64 v[99:100], v[97:98], v[92:93]
	v_fma_f64 v[90:91], -v[90:91], v[99:100], v[97:98]
	v_div_fmas_f64 v[90:91], v[90:91], v[92:93], v[99:100]
	v_div_fixup_f64 v[90:91], v[90:91], v[119:120], v[117:118]
	v_fma_f64 v[92:93], v[117:118], v[90:91], v[119:120]
	v_div_scale_f64 v[97:98], s[20:21], v[92:93], v[92:93], 1.0
	v_div_scale_f64 v[103:104], vcc, 1.0, v[92:93], 1.0
	v_rcp_f64_e32 v[99:100], v[97:98]
	v_fma_f64 v[101:102], -v[97:98], v[99:100], 1.0
	v_fma_f64 v[99:100], v[99:100], v[101:102], v[99:100]
	v_fma_f64 v[101:102], -v[97:98], v[99:100], 1.0
	v_fma_f64 v[99:100], v[99:100], v[101:102], v[99:100]
	v_mul_f64 v[101:102], v[103:104], v[99:100]
	v_fma_f64 v[97:98], -v[97:98], v[101:102], v[103:104]
	v_div_fmas_f64 v[97:98], v[97:98], v[99:100], v[101:102]
	v_div_fixup_f64 v[119:120], v[97:98], v[92:93], 1.0
	v_mul_f64 v[117:118], v[90:91], v[119:120]
	v_xor_b32_e32 v120, 0x80000000, v120
.LBB112_112:
	s_andn2_saveexec_b64 s[18:19], s[18:19]
	s_cbranch_execz .LBB112_114
; %bb.113:
	v_div_scale_f64 v[90:91], s[20:21], v[117:118], v[117:118], v[119:120]
	v_rcp_f64_e32 v[92:93], v[90:91]
	v_fma_f64 v[97:98], -v[90:91], v[92:93], 1.0
	v_fma_f64 v[92:93], v[92:93], v[97:98], v[92:93]
	v_div_scale_f64 v[97:98], vcc, v[119:120], v[117:118], v[119:120]
	v_fma_f64 v[99:100], -v[90:91], v[92:93], 1.0
	v_fma_f64 v[92:93], v[92:93], v[99:100], v[92:93]
	v_mul_f64 v[99:100], v[97:98], v[92:93]
	v_fma_f64 v[90:91], -v[90:91], v[99:100], v[97:98]
	v_div_fmas_f64 v[90:91], v[90:91], v[92:93], v[99:100]
	v_div_fixup_f64 v[90:91], v[90:91], v[117:118], v[119:120]
	v_fma_f64 v[92:93], v[119:120], v[90:91], v[117:118]
	v_div_scale_f64 v[97:98], s[20:21], v[92:93], v[92:93], 1.0
	v_div_scale_f64 v[103:104], vcc, 1.0, v[92:93], 1.0
	v_rcp_f64_e32 v[99:100], v[97:98]
	v_fma_f64 v[101:102], -v[97:98], v[99:100], 1.0
	v_fma_f64 v[99:100], v[99:100], v[101:102], v[99:100]
	v_fma_f64 v[101:102], -v[97:98], v[99:100], 1.0
	v_fma_f64 v[99:100], v[99:100], v[101:102], v[99:100]
	v_mul_f64 v[101:102], v[103:104], v[99:100]
	v_fma_f64 v[97:98], -v[97:98], v[101:102], v[103:104]
	v_div_fmas_f64 v[97:98], v[97:98], v[99:100], v[101:102]
	v_div_fixup_f64 v[117:118], v[97:98], v[92:93], 1.0
	v_mul_f64 v[119:120], v[90:91], -v[117:118]
.LBB112_114:
	s_or_b64 exec, exec, s[18:19]
.LBB112_115:
	s_or_b64 exec, exec, s[0:1]
	v_cmp_ne_u32_e32 vcc, v96, v89
	s_and_saveexec_b64 s[0:1], vcc
	s_xor_b64 s[0:1], exec, s[0:1]
	s_cbranch_execz .LBB112_121
; %bb.116:
	v_cmp_eq_u32_e32 vcc, 5, v96
	s_and_saveexec_b64 s[18:19], vcc
	s_cbranch_execz .LBB112_120
; %bb.117:
	v_cmp_ne_u32_e32 vcc, 5, v89
	s_xor_b64 s[20:21], s[6:7], -1
	s_and_b64 s[22:23], s[20:21], vcc
	s_and_saveexec_b64 s[20:21], s[22:23]
	s_cbranch_execz .LBB112_119
; %bb.118:
	v_mov_b32_e32 v57, v81
	v_mov_b32_e32 v58, v82
	;; [unrolled: 1-line block ×4, first 2 shown]
	buffer_load_dword v81, off, s[24:27], 0 offset:464 ; 4-byte Folded Reload
	buffer_load_dword v82, off, s[24:27], 0 offset:468 ; 4-byte Folded Reload
	v_ashrrev_i32_e32 v90, 31, v89
	v_lshlrev_b64 v[90:91], 2, v[89:90]
	s_waitcnt vmcnt(1)
	v_add_co_u32_e32 v90, vcc, v81, v90
	s_waitcnt vmcnt(0)
	v_addc_co_u32_e32 v91, vcc, v82, v91, vcc
	global_load_dword v92, v[90:91], off
	global_load_dword v93, v[81:82], off offset:20
	s_waitcnt vmcnt(1)
	global_store_dword v[81:82], v92, off offset:20
	v_mov_b32_e32 v84, v60
	v_mov_b32_e32 v83, v59
	;; [unrolled: 1-line block ×4, first 2 shown]
	s_waitcnt vmcnt(1)
	global_store_dword v[90:91], v93, off
.LBB112_119:
	s_or_b64 exec, exec, s[20:21]
	v_mov_b32_e32 v96, v89
	v_mov_b32_e32 v127, v89
.LBB112_120:
	s_or_b64 exec, exec, s[18:19]
.LBB112_121:
	s_andn2_saveexec_b64 s[0:1], s[0:1]
	s_cbranch_execz .LBB112_123
; %bb.122:
	buffer_load_dword v57, off, s[24:27], 0 offset:416 ; 4-byte Folded Reload
	buffer_load_dword v58, off, s[24:27], 0 offset:420 ; 4-byte Folded Reload
	buffer_load_dword v59, off, s[24:27], 0 offset:424 ; 4-byte Folded Reload
	buffer_load_dword v60, off, s[24:27], 0 offset:428 ; 4-byte Folded Reload
	v_mov_b32_e32 v96, 5
	s_waitcnt vmcnt(0)
	ds_write2_b64 v0, v[57:58], v[59:60] offset0:12 offset1:13
	buffer_load_dword v57, off, s[24:27], 0 offset:400 ; 4-byte Folded Reload
	buffer_load_dword v58, off, s[24:27], 0 offset:404 ; 4-byte Folded Reload
	buffer_load_dword v59, off, s[24:27], 0 offset:408 ; 4-byte Folded Reload
	buffer_load_dword v60, off, s[24:27], 0 offset:412 ; 4-byte Folded Reload
	s_waitcnt vmcnt(0)
	ds_write2_b64 v0, v[57:58], v[59:60] offset0:14 offset1:15
	buffer_load_dword v57, off, s[24:27], 0 offset:384 ; 4-byte Folded Reload
	buffer_load_dword v58, off, s[24:27], 0 offset:388 ; 4-byte Folded Reload
	buffer_load_dword v59, off, s[24:27], 0 offset:392 ; 4-byte Folded Reload
	buffer_load_dword v60, off, s[24:27], 0 offset:396 ; 4-byte Folded Reload
	;; [unrolled: 6-line block ×25, first 2 shown]
	s_waitcnt vmcnt(0)
	ds_write2_b64 v0, v[57:58], v[59:60] offset0:62 offset1:63
	ds_write2_b64 v0, v[81:82], v[83:84] offset0:64 offset1:65
	ds_write2_b64 v0, v[85:86], v[87:88] offset0:66 offset1:67
	ds_write2_b64 v0, v[109:110], v[111:112] offset0:68 offset1:69
	ds_write2_b64 v0, v[113:114], v[115:116] offset0:70 offset1:71
	ds_write2_b64 v0, v[77:78], v[79:80] offset0:72 offset1:73
	ds_write2_b64 v0, v[73:74], v[75:76] offset0:74 offset1:75
	ds_write2_b64 v0, v[69:70], v[71:72] offset0:76 offset1:77
	ds_write2_b64 v0, v[65:66], v[67:68] offset0:78 offset1:79
	ds_write2_b64 v0, v[61:62], v[63:64] offset0:80 offset1:81
	buffer_load_dword v57, off, s[24:27], 0 ; 4-byte Folded Reload
	buffer_load_dword v58, off, s[24:27], 0 offset:4 ; 4-byte Folded Reload
	buffer_load_dword v59, off, s[24:27], 0 offset:8 ; 4-byte Folded Reload
	;; [unrolled: 1-line block ×3, first 2 shown]
	s_waitcnt vmcnt(0)
	ds_write2_b64 v0, v[57:58], v[59:60] offset0:82 offset1:83
	ds_write2_b64 v0, v[53:54], v[55:56] offset0:84 offset1:85
	;; [unrolled: 1-line block ×16, first 2 shown]
.LBB112_123:
	s_or_b64 exec, exec, s[0:1]
	v_cmp_lt_i32_e32 vcc, 5, v96
	s_waitcnt vmcnt(0) lgkmcnt(0)
	s_barrier
	s_and_saveexec_b64 s[0:1], vcc
	s_cbranch_execz .LBB112_125
; %bb.124:
	buffer_load_dword v97, off, s[24:27], 0 offset:432 ; 4-byte Folded Reload
	buffer_load_dword v98, off, s[24:27], 0 offset:436 ; 4-byte Folded Reload
	;; [unrolled: 1-line block ×4, first 2 shown]
	s_waitcnt vmcnt(0)
	v_mul_f64 v[89:90], v[119:120], v[99:100]
	v_fma_f64 v[125:126], v[117:118], v[97:98], -v[89:90]
	v_mul_f64 v[89:90], v[117:118], v[99:100]
	v_fma_f64 v[99:100], v[119:120], v[97:98], v[89:90]
	ds_read2_b64 v[89:92], v0 offset0:12 offset1:13
	buffer_load_dword v57, off, s[24:27], 0 offset:416 ; 4-byte Folded Reload
	buffer_load_dword v58, off, s[24:27], 0 offset:420 ; 4-byte Folded Reload
	;; [unrolled: 1-line block ×4, first 2 shown]
	v_mov_b32_e32 v97, v125
	v_mov_b32_e32 v98, v126
	s_waitcnt lgkmcnt(0)
	v_mul_f64 v[93:94], v[91:92], v[99:100]
	v_fma_f64 v[93:94], v[89:90], v[125:126], -v[93:94]
	v_mul_f64 v[89:90], v[89:90], v[99:100]
	v_fma_f64 v[89:90], v[91:92], v[125:126], v[89:90]
	s_waitcnt vmcnt(2)
	v_add_f64 v[57:58], v[57:58], -v[93:94]
	s_waitcnt vmcnt(0)
	v_add_f64 v[59:60], v[59:60], -v[89:90]
	buffer_store_dword v57, off, s[24:27], 0 offset:416 ; 4-byte Folded Spill
	s_nop 0
	buffer_store_dword v58, off, s[24:27], 0 offset:420 ; 4-byte Folded Spill
	buffer_store_dword v59, off, s[24:27], 0 offset:424 ; 4-byte Folded Spill
	buffer_store_dword v60, off, s[24:27], 0 offset:428 ; 4-byte Folded Spill
	ds_read2_b64 v[89:92], v0 offset0:14 offset1:15
	buffer_load_dword v57, off, s[24:27], 0 offset:400 ; 4-byte Folded Reload
	buffer_load_dword v58, off, s[24:27], 0 offset:404 ; 4-byte Folded Reload
	buffer_load_dword v59, off, s[24:27], 0 offset:408 ; 4-byte Folded Reload
	buffer_load_dword v60, off, s[24:27], 0 offset:412 ; 4-byte Folded Reload
	s_waitcnt lgkmcnt(0)
	v_mul_f64 v[93:94], v[91:92], v[99:100]
	v_fma_f64 v[93:94], v[89:90], v[125:126], -v[93:94]
	v_mul_f64 v[89:90], v[89:90], v[99:100]
	v_fma_f64 v[89:90], v[91:92], v[125:126], v[89:90]
	s_waitcnt vmcnt(2)
	v_add_f64 v[57:58], v[57:58], -v[93:94]
	s_waitcnt vmcnt(0)
	v_add_f64 v[59:60], v[59:60], -v[89:90]
	buffer_store_dword v57, off, s[24:27], 0 offset:400 ; 4-byte Folded Spill
	s_nop 0
	buffer_store_dword v58, off, s[24:27], 0 offset:404 ; 4-byte Folded Spill
	buffer_store_dword v59, off, s[24:27], 0 offset:408 ; 4-byte Folded Spill
	buffer_store_dword v60, off, s[24:27], 0 offset:412 ; 4-byte Folded Spill
	ds_read2_b64 v[89:92], v0 offset0:16 offset1:17
	buffer_load_dword v57, off, s[24:27], 0 offset:384 ; 4-byte Folded Reload
	buffer_load_dword v58, off, s[24:27], 0 offset:388 ; 4-byte Folded Reload
	buffer_load_dword v59, off, s[24:27], 0 offset:392 ; 4-byte Folded Reload
	buffer_load_dword v60, off, s[24:27], 0 offset:396 ; 4-byte Folded Reload
	;; [unrolled: 19-line block ×25, first 2 shown]
	s_waitcnt lgkmcnt(0)
	v_mul_f64 v[93:94], v[91:92], v[99:100]
	v_fma_f64 v[93:94], v[89:90], v[125:126], -v[93:94]
	v_mul_f64 v[89:90], v[89:90], v[99:100]
	v_fma_f64 v[89:90], v[91:92], v[125:126], v[89:90]
	s_waitcnt vmcnt(2)
	v_add_f64 v[57:58], v[57:58], -v[93:94]
	s_waitcnt vmcnt(0)
	v_add_f64 v[59:60], v[59:60], -v[89:90]
	buffer_store_dword v57, off, s[24:27], 0 offset:16 ; 4-byte Folded Spill
	s_nop 0
	buffer_store_dword v58, off, s[24:27], 0 offset:20 ; 4-byte Folded Spill
	buffer_store_dword v59, off, s[24:27], 0 offset:24 ; 4-byte Folded Spill
	;; [unrolled: 1-line block ×3, first 2 shown]
	ds_read2_b64 v[89:92], v0 offset0:64 offset1:65
	s_waitcnt lgkmcnt(0)
	v_mul_f64 v[93:94], v[91:92], v[99:100]
	v_fma_f64 v[93:94], v[89:90], v[125:126], -v[93:94]
	v_mul_f64 v[89:90], v[89:90], v[99:100]
	v_add_f64 v[81:82], v[81:82], -v[93:94]
	v_fma_f64 v[89:90], v[91:92], v[125:126], v[89:90]
	v_add_f64 v[83:84], v[83:84], -v[89:90]
	ds_read2_b64 v[89:92], v0 offset0:66 offset1:67
	s_waitcnt lgkmcnt(0)
	v_mul_f64 v[93:94], v[91:92], v[99:100]
	v_fma_f64 v[93:94], v[89:90], v[125:126], -v[93:94]
	v_mul_f64 v[89:90], v[89:90], v[99:100]
	v_add_f64 v[85:86], v[85:86], -v[93:94]
	v_fma_f64 v[89:90], v[91:92], v[125:126], v[89:90]
	v_add_f64 v[87:88], v[87:88], -v[89:90]
	ds_read2_b64 v[89:92], v0 offset0:68 offset1:69
	s_waitcnt lgkmcnt(0)
	v_mul_f64 v[93:94], v[91:92], v[99:100]
	v_fma_f64 v[93:94], v[89:90], v[125:126], -v[93:94]
	v_mul_f64 v[89:90], v[89:90], v[99:100]
	v_add_f64 v[109:110], v[109:110], -v[93:94]
	v_fma_f64 v[89:90], v[91:92], v[125:126], v[89:90]
	v_add_f64 v[111:112], v[111:112], -v[89:90]
	ds_read2_b64 v[89:92], v0 offset0:70 offset1:71
	s_waitcnt lgkmcnt(0)
	v_mul_f64 v[93:94], v[91:92], v[99:100]
	v_fma_f64 v[93:94], v[89:90], v[125:126], -v[93:94]
	v_mul_f64 v[89:90], v[89:90], v[99:100]
	v_add_f64 v[113:114], v[113:114], -v[93:94]
	v_fma_f64 v[89:90], v[91:92], v[125:126], v[89:90]
	v_add_f64 v[115:116], v[115:116], -v[89:90]
	ds_read2_b64 v[89:92], v0 offset0:72 offset1:73
	s_waitcnt lgkmcnt(0)
	v_mul_f64 v[93:94], v[91:92], v[99:100]
	v_fma_f64 v[93:94], v[89:90], v[125:126], -v[93:94]
	v_mul_f64 v[89:90], v[89:90], v[99:100]
	v_add_f64 v[77:78], v[77:78], -v[93:94]
	v_fma_f64 v[89:90], v[91:92], v[125:126], v[89:90]
	v_add_f64 v[79:80], v[79:80], -v[89:90]
	ds_read2_b64 v[89:92], v0 offset0:74 offset1:75
	s_waitcnt lgkmcnt(0)
	v_mul_f64 v[93:94], v[91:92], v[99:100]
	v_fma_f64 v[93:94], v[89:90], v[125:126], -v[93:94]
	v_mul_f64 v[89:90], v[89:90], v[99:100]
	v_add_f64 v[73:74], v[73:74], -v[93:94]
	v_fma_f64 v[89:90], v[91:92], v[125:126], v[89:90]
	v_add_f64 v[75:76], v[75:76], -v[89:90]
	ds_read2_b64 v[89:92], v0 offset0:76 offset1:77
	s_waitcnt lgkmcnt(0)
	v_mul_f64 v[93:94], v[91:92], v[99:100]
	v_fma_f64 v[93:94], v[89:90], v[125:126], -v[93:94]
	v_mul_f64 v[89:90], v[89:90], v[99:100]
	v_add_f64 v[69:70], v[69:70], -v[93:94]
	v_fma_f64 v[89:90], v[91:92], v[125:126], v[89:90]
	v_add_f64 v[71:72], v[71:72], -v[89:90]
	ds_read2_b64 v[89:92], v0 offset0:78 offset1:79
	s_waitcnt lgkmcnt(0)
	v_mul_f64 v[93:94], v[91:92], v[99:100]
	v_fma_f64 v[93:94], v[89:90], v[125:126], -v[93:94]
	v_mul_f64 v[89:90], v[89:90], v[99:100]
	v_add_f64 v[65:66], v[65:66], -v[93:94]
	v_fma_f64 v[89:90], v[91:92], v[125:126], v[89:90]
	v_add_f64 v[67:68], v[67:68], -v[89:90]
	ds_read2_b64 v[89:92], v0 offset0:80 offset1:81
	s_waitcnt lgkmcnt(0)
	v_mul_f64 v[93:94], v[91:92], v[99:100]
	v_fma_f64 v[93:94], v[89:90], v[125:126], -v[93:94]
	v_mul_f64 v[89:90], v[89:90], v[99:100]
	v_add_f64 v[61:62], v[61:62], -v[93:94]
	v_fma_f64 v[89:90], v[91:92], v[125:126], v[89:90]
	v_add_f64 v[63:64], v[63:64], -v[89:90]
	ds_read2_b64 v[89:92], v0 offset0:82 offset1:83
	buffer_load_dword v57, off, s[24:27], 0 ; 4-byte Folded Reload
	buffer_load_dword v58, off, s[24:27], 0 offset:4 ; 4-byte Folded Reload
	buffer_load_dword v59, off, s[24:27], 0 offset:8 ; 4-byte Folded Reload
	;; [unrolled: 1-line block ×3, first 2 shown]
	s_waitcnt lgkmcnt(0)
	v_mul_f64 v[93:94], v[91:92], v[99:100]
	v_fma_f64 v[93:94], v[89:90], v[125:126], -v[93:94]
	v_mul_f64 v[89:90], v[89:90], v[99:100]
	v_fma_f64 v[89:90], v[91:92], v[125:126], v[89:90]
	s_waitcnt vmcnt(2)
	v_add_f64 v[57:58], v[57:58], -v[93:94]
	s_waitcnt vmcnt(0)
	v_add_f64 v[59:60], v[59:60], -v[89:90]
	buffer_store_dword v57, off, s[24:27], 0 ; 4-byte Folded Spill
	s_nop 0
	buffer_store_dword v58, off, s[24:27], 0 offset:4 ; 4-byte Folded Spill
	buffer_store_dword v59, off, s[24:27], 0 offset:8 ; 4-byte Folded Spill
	;; [unrolled: 1-line block ×3, first 2 shown]
	ds_read2_b64 v[89:92], v0 offset0:84 offset1:85
	s_waitcnt lgkmcnt(0)
	v_mul_f64 v[93:94], v[91:92], v[99:100]
	v_fma_f64 v[93:94], v[89:90], v[125:126], -v[93:94]
	v_mul_f64 v[89:90], v[89:90], v[99:100]
	v_add_f64 v[53:54], v[53:54], -v[93:94]
	v_fma_f64 v[89:90], v[91:92], v[125:126], v[89:90]
	v_add_f64 v[55:56], v[55:56], -v[89:90]
	ds_read2_b64 v[89:92], v0 offset0:86 offset1:87
	s_waitcnt lgkmcnt(0)
	v_mul_f64 v[93:94], v[91:92], v[99:100]
	v_fma_f64 v[93:94], v[89:90], v[125:126], -v[93:94]
	v_mul_f64 v[89:90], v[89:90], v[99:100]
	v_add_f64 v[49:50], v[49:50], -v[93:94]
	v_fma_f64 v[89:90], v[91:92], v[125:126], v[89:90]
	v_add_f64 v[51:52], v[51:52], -v[89:90]
	;; [unrolled: 8-line block ×13, first 2 shown]
	ds_read2_b64 v[89:92], v0 offset0:110 offset1:111
	s_waitcnt lgkmcnt(0)
	v_mul_f64 v[93:94], v[91:92], v[99:100]
	v_fma_f64 v[93:94], v[89:90], v[125:126], -v[93:94]
	v_mul_f64 v[89:90], v[89:90], v[99:100]
	v_add_f64 v[1:2], v[1:2], -v[93:94]
	v_fma_f64 v[89:90], v[91:92], v[125:126], v[89:90]
	ds_read2_b64 v[91:94], v0 offset0:112 offset1:113
	v_add_f64 v[3:4], v[3:4], -v[89:90]
	s_waitcnt lgkmcnt(0)
	v_mul_f64 v[89:90], v[93:94], v[99:100]
	v_fma_f64 v[89:90], v[91:92], v[125:126], -v[89:90]
	v_mul_f64 v[91:92], v[91:92], v[99:100]
	buffer_store_dword v97, off, s[24:27], 0 offset:432 ; 4-byte Folded Spill
	s_nop 0
	buffer_store_dword v98, off, s[24:27], 0 offset:436 ; 4-byte Folded Spill
	buffer_store_dword v99, off, s[24:27], 0 offset:440 ; 4-byte Folded Spill
	buffer_store_dword v100, off, s[24:27], 0 offset:444 ; 4-byte Folded Spill
	v_add_f64 v[121:122], v[121:122], -v[89:90]
	v_fma_f64 v[91:92], v[93:94], v[125:126], v[91:92]
	v_add_f64 v[123:124], v[123:124], -v[91:92]
.LBB112_125:
	s_or_b64 exec, exec, s[0:1]
	s_waitcnt vmcnt(0)
	s_barrier
	buffer_load_dword v57, off, s[24:27], 0 offset:416 ; 4-byte Folded Reload
	buffer_load_dword v58, off, s[24:27], 0 offset:420 ; 4-byte Folded Reload
	;; [unrolled: 1-line block ×4, first 2 shown]
	v_lshl_add_u32 v89, v96, 4, v0
	s_cmp_lt_i32 s3, 8
	s_waitcnt vmcnt(0)
	ds_write2_b64 v89, v[57:58], v[59:60] offset1:1
	s_waitcnt lgkmcnt(0)
	s_barrier
	ds_read2_b64 v[117:120], v0 offset0:12 offset1:13
	v_mov_b32_e32 v89, 6
	s_cbranch_scc1 .LBB112_128
; %bb.126:
	v_add_u32_e32 v90, 0x70, v0
	s_mov_b32 s0, 7
	v_mov_b32_e32 v89, 6
.LBB112_127:                            ; =>This Inner Loop Header: Depth=1
	s_waitcnt lgkmcnt(0)
	v_cmp_gt_f64_e32 vcc, 0, v[117:118]
	v_xor_b32_e32 v97, 0x80000000, v118
	ds_read2_b64 v[91:94], v90 offset1:1
	v_xor_b32_e32 v99, 0x80000000, v120
	v_add_u32_e32 v90, 16, v90
	s_waitcnt lgkmcnt(0)
	v_xor_b32_e32 v101, 0x80000000, v94
	v_cndmask_b32_e32 v98, v118, v97, vcc
	v_cmp_gt_f64_e32 vcc, 0, v[119:120]
	v_mov_b32_e32 v97, v117
	v_cndmask_b32_e32 v100, v120, v99, vcc
	v_cmp_gt_f64_e32 vcc, 0, v[91:92]
	v_mov_b32_e32 v99, v119
	v_add_f64 v[97:98], v[97:98], v[99:100]
	v_xor_b32_e32 v99, 0x80000000, v92
	v_cndmask_b32_e32 v100, v92, v99, vcc
	v_cmp_gt_f64_e32 vcc, 0, v[93:94]
	v_mov_b32_e32 v99, v91
	v_cndmask_b32_e32 v102, v94, v101, vcc
	v_mov_b32_e32 v101, v93
	v_add_f64 v[99:100], v[99:100], v[101:102]
	v_cmp_lt_f64_e32 vcc, v[97:98], v[99:100]
	v_cndmask_b32_e32 v117, v117, v91, vcc
	v_mov_b32_e32 v91, s0
	s_add_i32 s0, s0, 1
	v_cndmask_b32_e32 v118, v118, v92, vcc
	v_cndmask_b32_e32 v120, v120, v94, vcc
	;; [unrolled: 1-line block ×4, first 2 shown]
	s_cmp_lg_u32 s3, s0
	s_cbranch_scc1 .LBB112_127
.LBB112_128:
	s_waitcnt lgkmcnt(0)
	v_cmp_eq_f64_e32 vcc, 0, v[117:118]
	v_cmp_eq_f64_e64 s[0:1], 0, v[119:120]
	s_and_b64 s[0:1], vcc, s[0:1]
	s_and_saveexec_b64 s[18:19], s[0:1]
	s_xor_b64 s[0:1], exec, s[18:19]
; %bb.129:
	v_cmp_ne_u32_e32 vcc, 0, v95
	v_cndmask_b32_e32 v95, 7, v95, vcc
; %bb.130:
	s_andn2_saveexec_b64 s[0:1], s[0:1]
	s_cbranch_execz .LBB112_136
; %bb.131:
	v_cmp_ngt_f64_e64 s[18:19], |v[117:118]|, |v[119:120]|
	s_and_saveexec_b64 s[20:21], s[18:19]
	s_xor_b64 s[18:19], exec, s[20:21]
	s_cbranch_execz .LBB112_133
; %bb.132:
	v_div_scale_f64 v[90:91], s[20:21], v[119:120], v[119:120], v[117:118]
	v_rcp_f64_e32 v[92:93], v[90:91]
	v_fma_f64 v[97:98], -v[90:91], v[92:93], 1.0
	v_fma_f64 v[92:93], v[92:93], v[97:98], v[92:93]
	v_div_scale_f64 v[97:98], vcc, v[117:118], v[119:120], v[117:118]
	v_fma_f64 v[99:100], -v[90:91], v[92:93], 1.0
	v_fma_f64 v[92:93], v[92:93], v[99:100], v[92:93]
	v_mul_f64 v[99:100], v[97:98], v[92:93]
	v_fma_f64 v[90:91], -v[90:91], v[99:100], v[97:98]
	v_div_fmas_f64 v[90:91], v[90:91], v[92:93], v[99:100]
	v_div_fixup_f64 v[90:91], v[90:91], v[119:120], v[117:118]
	v_fma_f64 v[92:93], v[117:118], v[90:91], v[119:120]
	v_div_scale_f64 v[97:98], s[20:21], v[92:93], v[92:93], 1.0
	v_div_scale_f64 v[103:104], vcc, 1.0, v[92:93], 1.0
	v_rcp_f64_e32 v[99:100], v[97:98]
	v_fma_f64 v[101:102], -v[97:98], v[99:100], 1.0
	v_fma_f64 v[99:100], v[99:100], v[101:102], v[99:100]
	v_fma_f64 v[101:102], -v[97:98], v[99:100], 1.0
	v_fma_f64 v[99:100], v[99:100], v[101:102], v[99:100]
	v_mul_f64 v[101:102], v[103:104], v[99:100]
	v_fma_f64 v[97:98], -v[97:98], v[101:102], v[103:104]
	v_div_fmas_f64 v[97:98], v[97:98], v[99:100], v[101:102]
	v_div_fixup_f64 v[119:120], v[97:98], v[92:93], 1.0
	v_mul_f64 v[117:118], v[90:91], v[119:120]
	v_xor_b32_e32 v120, 0x80000000, v120
.LBB112_133:
	s_andn2_saveexec_b64 s[18:19], s[18:19]
	s_cbranch_execz .LBB112_135
; %bb.134:
	v_div_scale_f64 v[90:91], s[20:21], v[117:118], v[117:118], v[119:120]
	v_rcp_f64_e32 v[92:93], v[90:91]
	v_fma_f64 v[97:98], -v[90:91], v[92:93], 1.0
	v_fma_f64 v[92:93], v[92:93], v[97:98], v[92:93]
	v_div_scale_f64 v[97:98], vcc, v[119:120], v[117:118], v[119:120]
	v_fma_f64 v[99:100], -v[90:91], v[92:93], 1.0
	v_fma_f64 v[92:93], v[92:93], v[99:100], v[92:93]
	v_mul_f64 v[99:100], v[97:98], v[92:93]
	v_fma_f64 v[90:91], -v[90:91], v[99:100], v[97:98]
	v_div_fmas_f64 v[90:91], v[90:91], v[92:93], v[99:100]
	v_div_fixup_f64 v[90:91], v[90:91], v[117:118], v[119:120]
	v_fma_f64 v[92:93], v[119:120], v[90:91], v[117:118]
	v_div_scale_f64 v[97:98], s[20:21], v[92:93], v[92:93], 1.0
	v_div_scale_f64 v[103:104], vcc, 1.0, v[92:93], 1.0
	v_rcp_f64_e32 v[99:100], v[97:98]
	v_fma_f64 v[101:102], -v[97:98], v[99:100], 1.0
	v_fma_f64 v[99:100], v[99:100], v[101:102], v[99:100]
	v_fma_f64 v[101:102], -v[97:98], v[99:100], 1.0
	v_fma_f64 v[99:100], v[99:100], v[101:102], v[99:100]
	v_mul_f64 v[101:102], v[103:104], v[99:100]
	v_fma_f64 v[97:98], -v[97:98], v[101:102], v[103:104]
	v_div_fmas_f64 v[97:98], v[97:98], v[99:100], v[101:102]
	v_div_fixup_f64 v[117:118], v[97:98], v[92:93], 1.0
	v_mul_f64 v[119:120], v[90:91], -v[117:118]
.LBB112_135:
	s_or_b64 exec, exec, s[18:19]
.LBB112_136:
	s_or_b64 exec, exec, s[0:1]
	v_cmp_ne_u32_e32 vcc, v96, v89
	s_and_saveexec_b64 s[0:1], vcc
	s_xor_b64 s[0:1], exec, s[0:1]
	s_cbranch_execz .LBB112_142
; %bb.137:
	v_cmp_eq_u32_e32 vcc, 6, v96
	s_and_saveexec_b64 s[18:19], vcc
	s_cbranch_execz .LBB112_141
; %bb.138:
	v_cmp_ne_u32_e32 vcc, 6, v89
	s_xor_b64 s[20:21], s[6:7], -1
	s_and_b64 s[22:23], s[20:21], vcc
	s_and_saveexec_b64 s[20:21], s[22:23]
	s_cbranch_execz .LBB112_140
; %bb.139:
	v_mov_b32_e32 v57, v81
	v_mov_b32_e32 v58, v82
	;; [unrolled: 1-line block ×4, first 2 shown]
	buffer_load_dword v81, off, s[24:27], 0 offset:464 ; 4-byte Folded Reload
	buffer_load_dword v82, off, s[24:27], 0 offset:468 ; 4-byte Folded Reload
	v_ashrrev_i32_e32 v90, 31, v89
	v_lshlrev_b64 v[90:91], 2, v[89:90]
	s_waitcnt vmcnt(1)
	v_add_co_u32_e32 v90, vcc, v81, v90
	s_waitcnt vmcnt(0)
	v_addc_co_u32_e32 v91, vcc, v82, v91, vcc
	global_load_dword v92, v[90:91], off
	global_load_dword v93, v[81:82], off offset:24
	s_waitcnt vmcnt(1)
	global_store_dword v[81:82], v92, off offset:24
	v_mov_b32_e32 v84, v60
	v_mov_b32_e32 v83, v59
	;; [unrolled: 1-line block ×4, first 2 shown]
	s_waitcnt vmcnt(1)
	global_store_dword v[90:91], v93, off
.LBB112_140:
	s_or_b64 exec, exec, s[20:21]
	v_mov_b32_e32 v96, v89
	v_mov_b32_e32 v127, v89
.LBB112_141:
	s_or_b64 exec, exec, s[18:19]
.LBB112_142:
	s_andn2_saveexec_b64 s[0:1], s[0:1]
	s_cbranch_execz .LBB112_144
; %bb.143:
	buffer_load_dword v57, off, s[24:27], 0 offset:400 ; 4-byte Folded Reload
	buffer_load_dword v58, off, s[24:27], 0 offset:404 ; 4-byte Folded Reload
	;; [unrolled: 1-line block ×4, first 2 shown]
	v_mov_b32_e32 v96, 6
	s_waitcnt vmcnt(0)
	ds_write2_b64 v0, v[57:58], v[59:60] offset0:14 offset1:15
	buffer_load_dword v57, off, s[24:27], 0 offset:384 ; 4-byte Folded Reload
	buffer_load_dword v58, off, s[24:27], 0 offset:388 ; 4-byte Folded Reload
	buffer_load_dword v59, off, s[24:27], 0 offset:392 ; 4-byte Folded Reload
	buffer_load_dword v60, off, s[24:27], 0 offset:396 ; 4-byte Folded Reload
	s_waitcnt vmcnt(0)
	ds_write2_b64 v0, v[57:58], v[59:60] offset0:16 offset1:17
	buffer_load_dword v57, off, s[24:27], 0 offset:368 ; 4-byte Folded Reload
	buffer_load_dword v58, off, s[24:27], 0 offset:372 ; 4-byte Folded Reload
	buffer_load_dword v59, off, s[24:27], 0 offset:376 ; 4-byte Folded Reload
	buffer_load_dword v60, off, s[24:27], 0 offset:380 ; 4-byte Folded Reload
	;; [unrolled: 6-line block ×24, first 2 shown]
	s_waitcnt vmcnt(0)
	ds_write2_b64 v0, v[57:58], v[59:60] offset0:62 offset1:63
	ds_write2_b64 v0, v[81:82], v[83:84] offset0:64 offset1:65
	;; [unrolled: 1-line block ×10, first 2 shown]
	buffer_load_dword v57, off, s[24:27], 0 ; 4-byte Folded Reload
	buffer_load_dword v58, off, s[24:27], 0 offset:4 ; 4-byte Folded Reload
	buffer_load_dword v59, off, s[24:27], 0 offset:8 ; 4-byte Folded Reload
	;; [unrolled: 1-line block ×3, first 2 shown]
	s_waitcnt vmcnt(0)
	ds_write2_b64 v0, v[57:58], v[59:60] offset0:82 offset1:83
	ds_write2_b64 v0, v[53:54], v[55:56] offset0:84 offset1:85
	;; [unrolled: 1-line block ×16, first 2 shown]
.LBB112_144:
	s_or_b64 exec, exec, s[0:1]
	v_cmp_lt_i32_e32 vcc, 6, v96
	s_waitcnt vmcnt(0) lgkmcnt(0)
	s_barrier
	s_and_saveexec_b64 s[0:1], vcc
	s_cbranch_execz .LBB112_146
; %bb.145:
	buffer_load_dword v97, off, s[24:27], 0 offset:416 ; 4-byte Folded Reload
	buffer_load_dword v98, off, s[24:27], 0 offset:420 ; 4-byte Folded Reload
	buffer_load_dword v99, off, s[24:27], 0 offset:424 ; 4-byte Folded Reload
	buffer_load_dword v100, off, s[24:27], 0 offset:428 ; 4-byte Folded Reload
	s_waitcnt vmcnt(0)
	v_mul_f64 v[89:90], v[119:120], v[99:100]
	v_fma_f64 v[125:126], v[117:118], v[97:98], -v[89:90]
	v_mul_f64 v[89:90], v[117:118], v[99:100]
	v_fma_f64 v[99:100], v[119:120], v[97:98], v[89:90]
	ds_read2_b64 v[89:92], v0 offset0:14 offset1:15
	buffer_load_dword v57, off, s[24:27], 0 offset:400 ; 4-byte Folded Reload
	buffer_load_dword v58, off, s[24:27], 0 offset:404 ; 4-byte Folded Reload
	;; [unrolled: 1-line block ×4, first 2 shown]
	v_mov_b32_e32 v97, v125
	v_mov_b32_e32 v98, v126
	s_waitcnt lgkmcnt(0)
	v_mul_f64 v[93:94], v[91:92], v[99:100]
	v_fma_f64 v[93:94], v[89:90], v[125:126], -v[93:94]
	v_mul_f64 v[89:90], v[89:90], v[99:100]
	v_fma_f64 v[89:90], v[91:92], v[125:126], v[89:90]
	s_waitcnt vmcnt(2)
	v_add_f64 v[57:58], v[57:58], -v[93:94]
	s_waitcnt vmcnt(0)
	v_add_f64 v[59:60], v[59:60], -v[89:90]
	buffer_store_dword v57, off, s[24:27], 0 offset:400 ; 4-byte Folded Spill
	s_nop 0
	buffer_store_dword v58, off, s[24:27], 0 offset:404 ; 4-byte Folded Spill
	buffer_store_dword v59, off, s[24:27], 0 offset:408 ; 4-byte Folded Spill
	buffer_store_dword v60, off, s[24:27], 0 offset:412 ; 4-byte Folded Spill
	ds_read2_b64 v[89:92], v0 offset0:16 offset1:17
	buffer_load_dword v57, off, s[24:27], 0 offset:384 ; 4-byte Folded Reload
	buffer_load_dword v58, off, s[24:27], 0 offset:388 ; 4-byte Folded Reload
	buffer_load_dword v59, off, s[24:27], 0 offset:392 ; 4-byte Folded Reload
	buffer_load_dword v60, off, s[24:27], 0 offset:396 ; 4-byte Folded Reload
	s_waitcnt lgkmcnt(0)
	v_mul_f64 v[93:94], v[91:92], v[99:100]
	v_fma_f64 v[93:94], v[89:90], v[125:126], -v[93:94]
	v_mul_f64 v[89:90], v[89:90], v[99:100]
	v_fma_f64 v[89:90], v[91:92], v[125:126], v[89:90]
	s_waitcnt vmcnt(2)
	v_add_f64 v[57:58], v[57:58], -v[93:94]
	s_waitcnt vmcnt(0)
	v_add_f64 v[59:60], v[59:60], -v[89:90]
	buffer_store_dword v57, off, s[24:27], 0 offset:384 ; 4-byte Folded Spill
	s_nop 0
	buffer_store_dword v58, off, s[24:27], 0 offset:388 ; 4-byte Folded Spill
	buffer_store_dword v59, off, s[24:27], 0 offset:392 ; 4-byte Folded Spill
	buffer_store_dword v60, off, s[24:27], 0 offset:396 ; 4-byte Folded Spill
	ds_read2_b64 v[89:92], v0 offset0:18 offset1:19
	buffer_load_dword v57, off, s[24:27], 0 offset:368 ; 4-byte Folded Reload
	buffer_load_dword v58, off, s[24:27], 0 offset:372 ; 4-byte Folded Reload
	buffer_load_dword v59, off, s[24:27], 0 offset:376 ; 4-byte Folded Reload
	buffer_load_dword v60, off, s[24:27], 0 offset:380 ; 4-byte Folded Reload
	;; [unrolled: 19-line block ×24, first 2 shown]
	s_waitcnt lgkmcnt(0)
	v_mul_f64 v[93:94], v[91:92], v[99:100]
	v_fma_f64 v[93:94], v[89:90], v[125:126], -v[93:94]
	v_mul_f64 v[89:90], v[89:90], v[99:100]
	v_fma_f64 v[89:90], v[91:92], v[125:126], v[89:90]
	s_waitcnt vmcnt(2)
	v_add_f64 v[57:58], v[57:58], -v[93:94]
	s_waitcnt vmcnt(0)
	v_add_f64 v[59:60], v[59:60], -v[89:90]
	buffer_store_dword v57, off, s[24:27], 0 offset:16 ; 4-byte Folded Spill
	s_nop 0
	buffer_store_dword v58, off, s[24:27], 0 offset:20 ; 4-byte Folded Spill
	buffer_store_dword v59, off, s[24:27], 0 offset:24 ; 4-byte Folded Spill
	;; [unrolled: 1-line block ×3, first 2 shown]
	ds_read2_b64 v[89:92], v0 offset0:64 offset1:65
	s_waitcnt lgkmcnt(0)
	v_mul_f64 v[93:94], v[91:92], v[99:100]
	v_fma_f64 v[93:94], v[89:90], v[125:126], -v[93:94]
	v_mul_f64 v[89:90], v[89:90], v[99:100]
	v_add_f64 v[81:82], v[81:82], -v[93:94]
	v_fma_f64 v[89:90], v[91:92], v[125:126], v[89:90]
	v_add_f64 v[83:84], v[83:84], -v[89:90]
	ds_read2_b64 v[89:92], v0 offset0:66 offset1:67
	s_waitcnt lgkmcnt(0)
	v_mul_f64 v[93:94], v[91:92], v[99:100]
	v_fma_f64 v[93:94], v[89:90], v[125:126], -v[93:94]
	v_mul_f64 v[89:90], v[89:90], v[99:100]
	v_add_f64 v[85:86], v[85:86], -v[93:94]
	v_fma_f64 v[89:90], v[91:92], v[125:126], v[89:90]
	v_add_f64 v[87:88], v[87:88], -v[89:90]
	;; [unrolled: 8-line block ×9, first 2 shown]
	ds_read2_b64 v[89:92], v0 offset0:82 offset1:83
	buffer_load_dword v57, off, s[24:27], 0 ; 4-byte Folded Reload
	buffer_load_dword v58, off, s[24:27], 0 offset:4 ; 4-byte Folded Reload
	buffer_load_dword v59, off, s[24:27], 0 offset:8 ; 4-byte Folded Reload
	;; [unrolled: 1-line block ×3, first 2 shown]
	s_waitcnt lgkmcnt(0)
	v_mul_f64 v[93:94], v[91:92], v[99:100]
	v_fma_f64 v[93:94], v[89:90], v[125:126], -v[93:94]
	v_mul_f64 v[89:90], v[89:90], v[99:100]
	v_fma_f64 v[89:90], v[91:92], v[125:126], v[89:90]
	s_waitcnt vmcnt(2)
	v_add_f64 v[57:58], v[57:58], -v[93:94]
	s_waitcnt vmcnt(0)
	v_add_f64 v[59:60], v[59:60], -v[89:90]
	buffer_store_dword v57, off, s[24:27], 0 ; 4-byte Folded Spill
	s_nop 0
	buffer_store_dword v58, off, s[24:27], 0 offset:4 ; 4-byte Folded Spill
	buffer_store_dword v59, off, s[24:27], 0 offset:8 ; 4-byte Folded Spill
	;; [unrolled: 1-line block ×3, first 2 shown]
	ds_read2_b64 v[89:92], v0 offset0:84 offset1:85
	s_waitcnt lgkmcnt(0)
	v_mul_f64 v[93:94], v[91:92], v[99:100]
	v_fma_f64 v[93:94], v[89:90], v[125:126], -v[93:94]
	v_mul_f64 v[89:90], v[89:90], v[99:100]
	v_add_f64 v[53:54], v[53:54], -v[93:94]
	v_fma_f64 v[89:90], v[91:92], v[125:126], v[89:90]
	v_add_f64 v[55:56], v[55:56], -v[89:90]
	ds_read2_b64 v[89:92], v0 offset0:86 offset1:87
	s_waitcnt lgkmcnt(0)
	v_mul_f64 v[93:94], v[91:92], v[99:100]
	v_fma_f64 v[93:94], v[89:90], v[125:126], -v[93:94]
	v_mul_f64 v[89:90], v[89:90], v[99:100]
	v_add_f64 v[49:50], v[49:50], -v[93:94]
	v_fma_f64 v[89:90], v[91:92], v[125:126], v[89:90]
	v_add_f64 v[51:52], v[51:52], -v[89:90]
	;; [unrolled: 8-line block ×13, first 2 shown]
	ds_read2_b64 v[89:92], v0 offset0:110 offset1:111
	s_waitcnt lgkmcnt(0)
	v_mul_f64 v[93:94], v[91:92], v[99:100]
	v_fma_f64 v[93:94], v[89:90], v[125:126], -v[93:94]
	v_mul_f64 v[89:90], v[89:90], v[99:100]
	v_add_f64 v[1:2], v[1:2], -v[93:94]
	v_fma_f64 v[89:90], v[91:92], v[125:126], v[89:90]
	ds_read2_b64 v[91:94], v0 offset0:112 offset1:113
	v_add_f64 v[3:4], v[3:4], -v[89:90]
	s_waitcnt lgkmcnt(0)
	v_mul_f64 v[89:90], v[93:94], v[99:100]
	v_fma_f64 v[89:90], v[91:92], v[125:126], -v[89:90]
	v_mul_f64 v[91:92], v[91:92], v[99:100]
	buffer_store_dword v97, off, s[24:27], 0 offset:416 ; 4-byte Folded Spill
	s_nop 0
	buffer_store_dword v98, off, s[24:27], 0 offset:420 ; 4-byte Folded Spill
	buffer_store_dword v99, off, s[24:27], 0 offset:424 ; 4-byte Folded Spill
	;; [unrolled: 1-line block ×3, first 2 shown]
	v_add_f64 v[121:122], v[121:122], -v[89:90]
	v_fma_f64 v[91:92], v[93:94], v[125:126], v[91:92]
	v_add_f64 v[123:124], v[123:124], -v[91:92]
.LBB112_146:
	s_or_b64 exec, exec, s[0:1]
	s_waitcnt vmcnt(0)
	s_barrier
	buffer_load_dword v57, off, s[24:27], 0 offset:400 ; 4-byte Folded Reload
	buffer_load_dword v58, off, s[24:27], 0 offset:404 ; 4-byte Folded Reload
	;; [unrolled: 1-line block ×4, first 2 shown]
	v_lshl_add_u32 v89, v96, 4, v0
	s_cmp_lt_i32 s3, 9
	s_waitcnt vmcnt(0)
	ds_write2_b64 v89, v[57:58], v[59:60] offset1:1
	s_waitcnt lgkmcnt(0)
	s_barrier
	ds_read2_b64 v[117:120], v0 offset0:14 offset1:15
	v_mov_b32_e32 v89, 7
	s_cbranch_scc1 .LBB112_149
; %bb.147:
	v_add_u32_e32 v90, 0x80, v0
	s_mov_b32 s0, 8
	v_mov_b32_e32 v89, 7
.LBB112_148:                            ; =>This Inner Loop Header: Depth=1
	s_waitcnt lgkmcnt(0)
	v_cmp_gt_f64_e32 vcc, 0, v[117:118]
	v_xor_b32_e32 v97, 0x80000000, v118
	ds_read2_b64 v[91:94], v90 offset1:1
	v_xor_b32_e32 v99, 0x80000000, v120
	v_add_u32_e32 v90, 16, v90
	s_waitcnt lgkmcnt(0)
	v_xor_b32_e32 v101, 0x80000000, v94
	v_cndmask_b32_e32 v98, v118, v97, vcc
	v_cmp_gt_f64_e32 vcc, 0, v[119:120]
	v_mov_b32_e32 v97, v117
	v_cndmask_b32_e32 v100, v120, v99, vcc
	v_cmp_gt_f64_e32 vcc, 0, v[91:92]
	v_mov_b32_e32 v99, v119
	v_add_f64 v[97:98], v[97:98], v[99:100]
	v_xor_b32_e32 v99, 0x80000000, v92
	v_cndmask_b32_e32 v100, v92, v99, vcc
	v_cmp_gt_f64_e32 vcc, 0, v[93:94]
	v_mov_b32_e32 v99, v91
	v_cndmask_b32_e32 v102, v94, v101, vcc
	v_mov_b32_e32 v101, v93
	v_add_f64 v[99:100], v[99:100], v[101:102]
	v_cmp_lt_f64_e32 vcc, v[97:98], v[99:100]
	v_cndmask_b32_e32 v117, v117, v91, vcc
	v_mov_b32_e32 v91, s0
	s_add_i32 s0, s0, 1
	v_cndmask_b32_e32 v118, v118, v92, vcc
	v_cndmask_b32_e32 v120, v120, v94, vcc
	;; [unrolled: 1-line block ×4, first 2 shown]
	s_cmp_lg_u32 s3, s0
	s_cbranch_scc1 .LBB112_148
.LBB112_149:
	s_waitcnt lgkmcnt(0)
	v_cmp_eq_f64_e32 vcc, 0, v[117:118]
	v_cmp_eq_f64_e64 s[0:1], 0, v[119:120]
	s_and_b64 s[0:1], vcc, s[0:1]
	s_and_saveexec_b64 s[18:19], s[0:1]
	s_xor_b64 s[0:1], exec, s[18:19]
; %bb.150:
	v_cmp_ne_u32_e32 vcc, 0, v95
	v_cndmask_b32_e32 v95, 8, v95, vcc
; %bb.151:
	s_andn2_saveexec_b64 s[0:1], s[0:1]
	s_cbranch_execz .LBB112_157
; %bb.152:
	v_cmp_ngt_f64_e64 s[18:19], |v[117:118]|, |v[119:120]|
	s_and_saveexec_b64 s[20:21], s[18:19]
	s_xor_b64 s[18:19], exec, s[20:21]
	s_cbranch_execz .LBB112_154
; %bb.153:
	v_div_scale_f64 v[90:91], s[20:21], v[119:120], v[119:120], v[117:118]
	v_rcp_f64_e32 v[92:93], v[90:91]
	v_fma_f64 v[97:98], -v[90:91], v[92:93], 1.0
	v_fma_f64 v[92:93], v[92:93], v[97:98], v[92:93]
	v_div_scale_f64 v[97:98], vcc, v[117:118], v[119:120], v[117:118]
	v_fma_f64 v[99:100], -v[90:91], v[92:93], 1.0
	v_fma_f64 v[92:93], v[92:93], v[99:100], v[92:93]
	v_mul_f64 v[99:100], v[97:98], v[92:93]
	v_fma_f64 v[90:91], -v[90:91], v[99:100], v[97:98]
	v_div_fmas_f64 v[90:91], v[90:91], v[92:93], v[99:100]
	v_div_fixup_f64 v[90:91], v[90:91], v[119:120], v[117:118]
	v_fma_f64 v[92:93], v[117:118], v[90:91], v[119:120]
	v_div_scale_f64 v[97:98], s[20:21], v[92:93], v[92:93], 1.0
	v_div_scale_f64 v[103:104], vcc, 1.0, v[92:93], 1.0
	v_rcp_f64_e32 v[99:100], v[97:98]
	v_fma_f64 v[101:102], -v[97:98], v[99:100], 1.0
	v_fma_f64 v[99:100], v[99:100], v[101:102], v[99:100]
	v_fma_f64 v[101:102], -v[97:98], v[99:100], 1.0
	v_fma_f64 v[99:100], v[99:100], v[101:102], v[99:100]
	v_mul_f64 v[101:102], v[103:104], v[99:100]
	v_fma_f64 v[97:98], -v[97:98], v[101:102], v[103:104]
	v_div_fmas_f64 v[97:98], v[97:98], v[99:100], v[101:102]
	v_div_fixup_f64 v[119:120], v[97:98], v[92:93], 1.0
	v_mul_f64 v[117:118], v[90:91], v[119:120]
	v_xor_b32_e32 v120, 0x80000000, v120
.LBB112_154:
	s_andn2_saveexec_b64 s[18:19], s[18:19]
	s_cbranch_execz .LBB112_156
; %bb.155:
	v_div_scale_f64 v[90:91], s[20:21], v[117:118], v[117:118], v[119:120]
	v_rcp_f64_e32 v[92:93], v[90:91]
	v_fma_f64 v[97:98], -v[90:91], v[92:93], 1.0
	v_fma_f64 v[92:93], v[92:93], v[97:98], v[92:93]
	v_div_scale_f64 v[97:98], vcc, v[119:120], v[117:118], v[119:120]
	v_fma_f64 v[99:100], -v[90:91], v[92:93], 1.0
	v_fma_f64 v[92:93], v[92:93], v[99:100], v[92:93]
	v_mul_f64 v[99:100], v[97:98], v[92:93]
	v_fma_f64 v[90:91], -v[90:91], v[99:100], v[97:98]
	v_div_fmas_f64 v[90:91], v[90:91], v[92:93], v[99:100]
	v_div_fixup_f64 v[90:91], v[90:91], v[117:118], v[119:120]
	v_fma_f64 v[92:93], v[119:120], v[90:91], v[117:118]
	v_div_scale_f64 v[97:98], s[20:21], v[92:93], v[92:93], 1.0
	v_div_scale_f64 v[103:104], vcc, 1.0, v[92:93], 1.0
	v_rcp_f64_e32 v[99:100], v[97:98]
	v_fma_f64 v[101:102], -v[97:98], v[99:100], 1.0
	v_fma_f64 v[99:100], v[99:100], v[101:102], v[99:100]
	v_fma_f64 v[101:102], -v[97:98], v[99:100], 1.0
	v_fma_f64 v[99:100], v[99:100], v[101:102], v[99:100]
	v_mul_f64 v[101:102], v[103:104], v[99:100]
	v_fma_f64 v[97:98], -v[97:98], v[101:102], v[103:104]
	v_div_fmas_f64 v[97:98], v[97:98], v[99:100], v[101:102]
	v_div_fixup_f64 v[117:118], v[97:98], v[92:93], 1.0
	v_mul_f64 v[119:120], v[90:91], -v[117:118]
.LBB112_156:
	s_or_b64 exec, exec, s[18:19]
.LBB112_157:
	s_or_b64 exec, exec, s[0:1]
	v_cmp_ne_u32_e32 vcc, v96, v89
	s_and_saveexec_b64 s[0:1], vcc
	s_xor_b64 s[0:1], exec, s[0:1]
	s_cbranch_execz .LBB112_163
; %bb.158:
	v_cmp_eq_u32_e32 vcc, 7, v96
	s_and_saveexec_b64 s[18:19], vcc
	s_cbranch_execz .LBB112_162
; %bb.159:
	v_cmp_ne_u32_e32 vcc, 7, v89
	s_xor_b64 s[20:21], s[6:7], -1
	s_and_b64 s[22:23], s[20:21], vcc
	s_and_saveexec_b64 s[20:21], s[22:23]
	s_cbranch_execz .LBB112_161
; %bb.160:
	v_mov_b32_e32 v57, v81
	v_mov_b32_e32 v58, v82
	;; [unrolled: 1-line block ×4, first 2 shown]
	buffer_load_dword v81, off, s[24:27], 0 offset:464 ; 4-byte Folded Reload
	buffer_load_dword v82, off, s[24:27], 0 offset:468 ; 4-byte Folded Reload
	v_ashrrev_i32_e32 v90, 31, v89
	v_lshlrev_b64 v[90:91], 2, v[89:90]
	s_waitcnt vmcnt(1)
	v_add_co_u32_e32 v90, vcc, v81, v90
	s_waitcnt vmcnt(0)
	v_addc_co_u32_e32 v91, vcc, v82, v91, vcc
	global_load_dword v92, v[90:91], off
	global_load_dword v93, v[81:82], off offset:28
	s_waitcnt vmcnt(1)
	global_store_dword v[81:82], v92, off offset:28
	v_mov_b32_e32 v84, v60
	v_mov_b32_e32 v83, v59
	;; [unrolled: 1-line block ×4, first 2 shown]
	s_waitcnt vmcnt(1)
	global_store_dword v[90:91], v93, off
.LBB112_161:
	s_or_b64 exec, exec, s[20:21]
	v_mov_b32_e32 v96, v89
	v_mov_b32_e32 v127, v89
.LBB112_162:
	s_or_b64 exec, exec, s[18:19]
.LBB112_163:
	s_andn2_saveexec_b64 s[0:1], s[0:1]
	s_cbranch_execz .LBB112_165
; %bb.164:
	buffer_load_dword v57, off, s[24:27], 0 offset:384 ; 4-byte Folded Reload
	buffer_load_dword v58, off, s[24:27], 0 offset:388 ; 4-byte Folded Reload
	;; [unrolled: 1-line block ×4, first 2 shown]
	v_mov_b32_e32 v96, 7
	s_waitcnt vmcnt(0)
	ds_write2_b64 v0, v[57:58], v[59:60] offset0:16 offset1:17
	buffer_load_dword v57, off, s[24:27], 0 offset:368 ; 4-byte Folded Reload
	buffer_load_dword v58, off, s[24:27], 0 offset:372 ; 4-byte Folded Reload
	buffer_load_dword v59, off, s[24:27], 0 offset:376 ; 4-byte Folded Reload
	buffer_load_dword v60, off, s[24:27], 0 offset:380 ; 4-byte Folded Reload
	s_waitcnt vmcnt(0)
	ds_write2_b64 v0, v[57:58], v[59:60] offset0:18 offset1:19
	buffer_load_dword v57, off, s[24:27], 0 offset:352 ; 4-byte Folded Reload
	buffer_load_dword v58, off, s[24:27], 0 offset:356 ; 4-byte Folded Reload
	buffer_load_dword v59, off, s[24:27], 0 offset:360 ; 4-byte Folded Reload
	buffer_load_dword v60, off, s[24:27], 0 offset:364 ; 4-byte Folded Reload
	s_waitcnt vmcnt(0)
	ds_write2_b64 v0, v[57:58], v[59:60] offset0:20 offset1:21
	buffer_load_dword v57, off, s[24:27], 0 offset:336 ; 4-byte Folded Reload
	buffer_load_dword v58, off, s[24:27], 0 offset:340 ; 4-byte Folded Reload
	buffer_load_dword v59, off, s[24:27], 0 offset:344 ; 4-byte Folded Reload
	buffer_load_dword v60, off, s[24:27], 0 offset:348 ; 4-byte Folded Reload
	s_waitcnt vmcnt(0)
	ds_write2_b64 v0, v[57:58], v[59:60] offset0:22 offset1:23
	buffer_load_dword v57, off, s[24:27], 0 offset:320 ; 4-byte Folded Reload
	buffer_load_dword v58, off, s[24:27], 0 offset:324 ; 4-byte Folded Reload
	buffer_load_dword v59, off, s[24:27], 0 offset:328 ; 4-byte Folded Reload
	buffer_load_dword v60, off, s[24:27], 0 offset:332 ; 4-byte Folded Reload
	s_waitcnt vmcnt(0)
	ds_write2_b64 v0, v[57:58], v[59:60] offset0:24 offset1:25
	buffer_load_dword v57, off, s[24:27], 0 offset:304 ; 4-byte Folded Reload
	buffer_load_dword v58, off, s[24:27], 0 offset:308 ; 4-byte Folded Reload
	buffer_load_dword v59, off, s[24:27], 0 offset:312 ; 4-byte Folded Reload
	buffer_load_dword v60, off, s[24:27], 0 offset:316 ; 4-byte Folded Reload
	s_waitcnt vmcnt(0)
	ds_write2_b64 v0, v[57:58], v[59:60] offset0:26 offset1:27
	buffer_load_dword v57, off, s[24:27], 0 offset:288 ; 4-byte Folded Reload
	buffer_load_dword v58, off, s[24:27], 0 offset:292 ; 4-byte Folded Reload
	buffer_load_dword v59, off, s[24:27], 0 offset:296 ; 4-byte Folded Reload
	buffer_load_dword v60, off, s[24:27], 0 offset:300 ; 4-byte Folded Reload
	s_waitcnt vmcnt(0)
	ds_write2_b64 v0, v[57:58], v[59:60] offset0:28 offset1:29
	buffer_load_dword v57, off, s[24:27], 0 offset:272 ; 4-byte Folded Reload
	buffer_load_dword v58, off, s[24:27], 0 offset:276 ; 4-byte Folded Reload
	buffer_load_dword v59, off, s[24:27], 0 offset:280 ; 4-byte Folded Reload
	buffer_load_dword v60, off, s[24:27], 0 offset:284 ; 4-byte Folded Reload
	s_waitcnt vmcnt(0)
	ds_write2_b64 v0, v[57:58], v[59:60] offset0:30 offset1:31
	buffer_load_dword v57, off, s[24:27], 0 offset:256 ; 4-byte Folded Reload
	buffer_load_dword v58, off, s[24:27], 0 offset:260 ; 4-byte Folded Reload
	buffer_load_dword v59, off, s[24:27], 0 offset:264 ; 4-byte Folded Reload
	buffer_load_dword v60, off, s[24:27], 0 offset:268 ; 4-byte Folded Reload
	s_waitcnt vmcnt(0)
	ds_write2_b64 v0, v[57:58], v[59:60] offset0:32 offset1:33
	buffer_load_dword v57, off, s[24:27], 0 offset:240 ; 4-byte Folded Reload
	buffer_load_dword v58, off, s[24:27], 0 offset:244 ; 4-byte Folded Reload
	buffer_load_dword v59, off, s[24:27], 0 offset:248 ; 4-byte Folded Reload
	buffer_load_dword v60, off, s[24:27], 0 offset:252 ; 4-byte Folded Reload
	s_waitcnt vmcnt(0)
	ds_write2_b64 v0, v[57:58], v[59:60] offset0:34 offset1:35
	buffer_load_dword v57, off, s[24:27], 0 offset:224 ; 4-byte Folded Reload
	buffer_load_dword v58, off, s[24:27], 0 offset:228 ; 4-byte Folded Reload
	buffer_load_dword v59, off, s[24:27], 0 offset:232 ; 4-byte Folded Reload
	buffer_load_dword v60, off, s[24:27], 0 offset:236 ; 4-byte Folded Reload
	s_waitcnt vmcnt(0)
	ds_write2_b64 v0, v[57:58], v[59:60] offset0:36 offset1:37
	buffer_load_dword v57, off, s[24:27], 0 offset:208 ; 4-byte Folded Reload
	buffer_load_dword v58, off, s[24:27], 0 offset:212 ; 4-byte Folded Reload
	buffer_load_dword v59, off, s[24:27], 0 offset:216 ; 4-byte Folded Reload
	buffer_load_dword v60, off, s[24:27], 0 offset:220 ; 4-byte Folded Reload
	s_waitcnt vmcnt(0)
	ds_write2_b64 v0, v[57:58], v[59:60] offset0:38 offset1:39
	buffer_load_dword v57, off, s[24:27], 0 offset:192 ; 4-byte Folded Reload
	buffer_load_dword v58, off, s[24:27], 0 offset:196 ; 4-byte Folded Reload
	buffer_load_dword v59, off, s[24:27], 0 offset:200 ; 4-byte Folded Reload
	buffer_load_dword v60, off, s[24:27], 0 offset:204 ; 4-byte Folded Reload
	s_waitcnt vmcnt(0)
	ds_write2_b64 v0, v[57:58], v[59:60] offset0:40 offset1:41
	buffer_load_dword v57, off, s[24:27], 0 offset:176 ; 4-byte Folded Reload
	buffer_load_dword v58, off, s[24:27], 0 offset:180 ; 4-byte Folded Reload
	buffer_load_dword v59, off, s[24:27], 0 offset:184 ; 4-byte Folded Reload
	buffer_load_dword v60, off, s[24:27], 0 offset:188 ; 4-byte Folded Reload
	s_waitcnt vmcnt(0)
	ds_write2_b64 v0, v[57:58], v[59:60] offset0:42 offset1:43
	buffer_load_dword v57, off, s[24:27], 0 offset:160 ; 4-byte Folded Reload
	buffer_load_dword v58, off, s[24:27], 0 offset:164 ; 4-byte Folded Reload
	buffer_load_dword v59, off, s[24:27], 0 offset:168 ; 4-byte Folded Reload
	buffer_load_dword v60, off, s[24:27], 0 offset:172 ; 4-byte Folded Reload
	s_waitcnt vmcnt(0)
	ds_write2_b64 v0, v[57:58], v[59:60] offset0:44 offset1:45
	buffer_load_dword v57, off, s[24:27], 0 offset:144 ; 4-byte Folded Reload
	buffer_load_dword v58, off, s[24:27], 0 offset:148 ; 4-byte Folded Reload
	buffer_load_dword v59, off, s[24:27], 0 offset:152 ; 4-byte Folded Reload
	buffer_load_dword v60, off, s[24:27], 0 offset:156 ; 4-byte Folded Reload
	s_waitcnt vmcnt(0)
	ds_write2_b64 v0, v[57:58], v[59:60] offset0:46 offset1:47
	buffer_load_dword v57, off, s[24:27], 0 offset:128 ; 4-byte Folded Reload
	buffer_load_dword v58, off, s[24:27], 0 offset:132 ; 4-byte Folded Reload
	buffer_load_dword v59, off, s[24:27], 0 offset:136 ; 4-byte Folded Reload
	buffer_load_dword v60, off, s[24:27], 0 offset:140 ; 4-byte Folded Reload
	s_waitcnt vmcnt(0)
	ds_write2_b64 v0, v[57:58], v[59:60] offset0:48 offset1:49
	buffer_load_dword v57, off, s[24:27], 0 offset:112 ; 4-byte Folded Reload
	buffer_load_dword v58, off, s[24:27], 0 offset:116 ; 4-byte Folded Reload
	buffer_load_dword v59, off, s[24:27], 0 offset:120 ; 4-byte Folded Reload
	buffer_load_dword v60, off, s[24:27], 0 offset:124 ; 4-byte Folded Reload
	s_waitcnt vmcnt(0)
	ds_write2_b64 v0, v[57:58], v[59:60] offset0:50 offset1:51
	buffer_load_dword v57, off, s[24:27], 0 offset:96 ; 4-byte Folded Reload
	buffer_load_dword v58, off, s[24:27], 0 offset:100 ; 4-byte Folded Reload
	buffer_load_dword v59, off, s[24:27], 0 offset:104 ; 4-byte Folded Reload
	buffer_load_dword v60, off, s[24:27], 0 offset:108 ; 4-byte Folded Reload
	s_waitcnt vmcnt(0)
	ds_write2_b64 v0, v[57:58], v[59:60] offset0:52 offset1:53
	buffer_load_dword v57, off, s[24:27], 0 offset:80 ; 4-byte Folded Reload
	buffer_load_dword v58, off, s[24:27], 0 offset:84 ; 4-byte Folded Reload
	buffer_load_dword v59, off, s[24:27], 0 offset:88 ; 4-byte Folded Reload
	buffer_load_dword v60, off, s[24:27], 0 offset:92 ; 4-byte Folded Reload
	s_waitcnt vmcnt(0)
	ds_write2_b64 v0, v[57:58], v[59:60] offset0:54 offset1:55
	buffer_load_dword v57, off, s[24:27], 0 offset:64 ; 4-byte Folded Reload
	buffer_load_dword v58, off, s[24:27], 0 offset:68 ; 4-byte Folded Reload
	buffer_load_dword v59, off, s[24:27], 0 offset:72 ; 4-byte Folded Reload
	buffer_load_dword v60, off, s[24:27], 0 offset:76 ; 4-byte Folded Reload
	s_waitcnt vmcnt(0)
	ds_write2_b64 v0, v[57:58], v[59:60] offset0:56 offset1:57
	buffer_load_dword v57, off, s[24:27], 0 offset:48 ; 4-byte Folded Reload
	buffer_load_dword v58, off, s[24:27], 0 offset:52 ; 4-byte Folded Reload
	buffer_load_dword v59, off, s[24:27], 0 offset:56 ; 4-byte Folded Reload
	buffer_load_dword v60, off, s[24:27], 0 offset:60 ; 4-byte Folded Reload
	s_waitcnt vmcnt(0)
	ds_write2_b64 v0, v[57:58], v[59:60] offset0:58 offset1:59
	buffer_load_dword v57, off, s[24:27], 0 offset:32 ; 4-byte Folded Reload
	buffer_load_dword v58, off, s[24:27], 0 offset:36 ; 4-byte Folded Reload
	buffer_load_dword v59, off, s[24:27], 0 offset:40 ; 4-byte Folded Reload
	buffer_load_dword v60, off, s[24:27], 0 offset:44 ; 4-byte Folded Reload
	s_waitcnt vmcnt(0)
	ds_write2_b64 v0, v[57:58], v[59:60] offset0:60 offset1:61
	buffer_load_dword v57, off, s[24:27], 0 offset:16 ; 4-byte Folded Reload
	buffer_load_dword v58, off, s[24:27], 0 offset:20 ; 4-byte Folded Reload
	buffer_load_dword v59, off, s[24:27], 0 offset:24 ; 4-byte Folded Reload
	buffer_load_dword v60, off, s[24:27], 0 offset:28 ; 4-byte Folded Reload
	s_waitcnt vmcnt(0)
	ds_write2_b64 v0, v[57:58], v[59:60] offset0:62 offset1:63
	ds_write2_b64 v0, v[81:82], v[83:84] offset0:64 offset1:65
	;; [unrolled: 1-line block ×10, first 2 shown]
	buffer_load_dword v57, off, s[24:27], 0 ; 4-byte Folded Reload
	buffer_load_dword v58, off, s[24:27], 0 offset:4 ; 4-byte Folded Reload
	buffer_load_dword v59, off, s[24:27], 0 offset:8 ; 4-byte Folded Reload
	;; [unrolled: 1-line block ×3, first 2 shown]
	s_waitcnt vmcnt(0)
	ds_write2_b64 v0, v[57:58], v[59:60] offset0:82 offset1:83
	ds_write2_b64 v0, v[53:54], v[55:56] offset0:84 offset1:85
	;; [unrolled: 1-line block ×16, first 2 shown]
.LBB112_165:
	s_or_b64 exec, exec, s[0:1]
	v_cmp_lt_i32_e32 vcc, 7, v96
	s_waitcnt vmcnt(0) lgkmcnt(0)
	s_barrier
	s_and_saveexec_b64 s[0:1], vcc
	s_cbranch_execz .LBB112_167
; %bb.166:
	buffer_load_dword v97, off, s[24:27], 0 offset:400 ; 4-byte Folded Reload
	buffer_load_dword v98, off, s[24:27], 0 offset:404 ; 4-byte Folded Reload
	;; [unrolled: 1-line block ×4, first 2 shown]
	s_waitcnt vmcnt(0)
	v_mul_f64 v[89:90], v[119:120], v[99:100]
	v_fma_f64 v[125:126], v[117:118], v[97:98], -v[89:90]
	v_mul_f64 v[89:90], v[117:118], v[99:100]
	v_fma_f64 v[99:100], v[119:120], v[97:98], v[89:90]
	ds_read2_b64 v[89:92], v0 offset0:16 offset1:17
	buffer_load_dword v57, off, s[24:27], 0 offset:384 ; 4-byte Folded Reload
	buffer_load_dword v58, off, s[24:27], 0 offset:388 ; 4-byte Folded Reload
	;; [unrolled: 1-line block ×4, first 2 shown]
	v_mov_b32_e32 v97, v125
	v_mov_b32_e32 v98, v126
	s_waitcnt lgkmcnt(0)
	v_mul_f64 v[93:94], v[91:92], v[99:100]
	v_fma_f64 v[93:94], v[89:90], v[125:126], -v[93:94]
	v_mul_f64 v[89:90], v[89:90], v[99:100]
	v_fma_f64 v[89:90], v[91:92], v[125:126], v[89:90]
	s_waitcnt vmcnt(2)
	v_add_f64 v[57:58], v[57:58], -v[93:94]
	s_waitcnt vmcnt(0)
	v_add_f64 v[59:60], v[59:60], -v[89:90]
	buffer_store_dword v57, off, s[24:27], 0 offset:384 ; 4-byte Folded Spill
	s_nop 0
	buffer_store_dword v58, off, s[24:27], 0 offset:388 ; 4-byte Folded Spill
	buffer_store_dword v59, off, s[24:27], 0 offset:392 ; 4-byte Folded Spill
	buffer_store_dword v60, off, s[24:27], 0 offset:396 ; 4-byte Folded Spill
	ds_read2_b64 v[89:92], v0 offset0:18 offset1:19
	buffer_load_dword v57, off, s[24:27], 0 offset:368 ; 4-byte Folded Reload
	buffer_load_dword v58, off, s[24:27], 0 offset:372 ; 4-byte Folded Reload
	buffer_load_dword v59, off, s[24:27], 0 offset:376 ; 4-byte Folded Reload
	buffer_load_dword v60, off, s[24:27], 0 offset:380 ; 4-byte Folded Reload
	s_waitcnt lgkmcnt(0)
	v_mul_f64 v[93:94], v[91:92], v[99:100]
	v_fma_f64 v[93:94], v[89:90], v[125:126], -v[93:94]
	v_mul_f64 v[89:90], v[89:90], v[99:100]
	v_fma_f64 v[89:90], v[91:92], v[125:126], v[89:90]
	s_waitcnt vmcnt(2)
	v_add_f64 v[57:58], v[57:58], -v[93:94]
	s_waitcnt vmcnt(0)
	v_add_f64 v[59:60], v[59:60], -v[89:90]
	buffer_store_dword v57, off, s[24:27], 0 offset:368 ; 4-byte Folded Spill
	s_nop 0
	buffer_store_dword v58, off, s[24:27], 0 offset:372 ; 4-byte Folded Spill
	buffer_store_dword v59, off, s[24:27], 0 offset:376 ; 4-byte Folded Spill
	buffer_store_dword v60, off, s[24:27], 0 offset:380 ; 4-byte Folded Spill
	ds_read2_b64 v[89:92], v0 offset0:20 offset1:21
	buffer_load_dword v57, off, s[24:27], 0 offset:352 ; 4-byte Folded Reload
	buffer_load_dword v58, off, s[24:27], 0 offset:356 ; 4-byte Folded Reload
	buffer_load_dword v59, off, s[24:27], 0 offset:360 ; 4-byte Folded Reload
	buffer_load_dword v60, off, s[24:27], 0 offset:364 ; 4-byte Folded Reload
	;; [unrolled: 19-line block ×23, first 2 shown]
	s_waitcnt lgkmcnt(0)
	v_mul_f64 v[93:94], v[91:92], v[99:100]
	v_fma_f64 v[93:94], v[89:90], v[125:126], -v[93:94]
	v_mul_f64 v[89:90], v[89:90], v[99:100]
	v_fma_f64 v[89:90], v[91:92], v[125:126], v[89:90]
	s_waitcnt vmcnt(2)
	v_add_f64 v[57:58], v[57:58], -v[93:94]
	s_waitcnt vmcnt(0)
	v_add_f64 v[59:60], v[59:60], -v[89:90]
	buffer_store_dword v57, off, s[24:27], 0 offset:16 ; 4-byte Folded Spill
	s_nop 0
	buffer_store_dword v58, off, s[24:27], 0 offset:20 ; 4-byte Folded Spill
	buffer_store_dword v59, off, s[24:27], 0 offset:24 ; 4-byte Folded Spill
	;; [unrolled: 1-line block ×3, first 2 shown]
	ds_read2_b64 v[89:92], v0 offset0:64 offset1:65
	s_waitcnt lgkmcnt(0)
	v_mul_f64 v[93:94], v[91:92], v[99:100]
	v_fma_f64 v[93:94], v[89:90], v[125:126], -v[93:94]
	v_mul_f64 v[89:90], v[89:90], v[99:100]
	v_add_f64 v[81:82], v[81:82], -v[93:94]
	v_fma_f64 v[89:90], v[91:92], v[125:126], v[89:90]
	v_add_f64 v[83:84], v[83:84], -v[89:90]
	ds_read2_b64 v[89:92], v0 offset0:66 offset1:67
	s_waitcnt lgkmcnt(0)
	v_mul_f64 v[93:94], v[91:92], v[99:100]
	v_fma_f64 v[93:94], v[89:90], v[125:126], -v[93:94]
	v_mul_f64 v[89:90], v[89:90], v[99:100]
	v_add_f64 v[85:86], v[85:86], -v[93:94]
	v_fma_f64 v[89:90], v[91:92], v[125:126], v[89:90]
	v_add_f64 v[87:88], v[87:88], -v[89:90]
	;; [unrolled: 8-line block ×9, first 2 shown]
	ds_read2_b64 v[89:92], v0 offset0:82 offset1:83
	buffer_load_dword v57, off, s[24:27], 0 ; 4-byte Folded Reload
	buffer_load_dword v58, off, s[24:27], 0 offset:4 ; 4-byte Folded Reload
	buffer_load_dword v59, off, s[24:27], 0 offset:8 ; 4-byte Folded Reload
	;; [unrolled: 1-line block ×3, first 2 shown]
	s_waitcnt lgkmcnt(0)
	v_mul_f64 v[93:94], v[91:92], v[99:100]
	v_fma_f64 v[93:94], v[89:90], v[125:126], -v[93:94]
	v_mul_f64 v[89:90], v[89:90], v[99:100]
	v_fma_f64 v[89:90], v[91:92], v[125:126], v[89:90]
	s_waitcnt vmcnt(2)
	v_add_f64 v[57:58], v[57:58], -v[93:94]
	s_waitcnt vmcnt(0)
	v_add_f64 v[59:60], v[59:60], -v[89:90]
	buffer_store_dword v57, off, s[24:27], 0 ; 4-byte Folded Spill
	s_nop 0
	buffer_store_dword v58, off, s[24:27], 0 offset:4 ; 4-byte Folded Spill
	buffer_store_dword v59, off, s[24:27], 0 offset:8 ; 4-byte Folded Spill
	;; [unrolled: 1-line block ×3, first 2 shown]
	ds_read2_b64 v[89:92], v0 offset0:84 offset1:85
	s_waitcnt lgkmcnt(0)
	v_mul_f64 v[93:94], v[91:92], v[99:100]
	v_fma_f64 v[93:94], v[89:90], v[125:126], -v[93:94]
	v_mul_f64 v[89:90], v[89:90], v[99:100]
	v_add_f64 v[53:54], v[53:54], -v[93:94]
	v_fma_f64 v[89:90], v[91:92], v[125:126], v[89:90]
	v_add_f64 v[55:56], v[55:56], -v[89:90]
	ds_read2_b64 v[89:92], v0 offset0:86 offset1:87
	s_waitcnt lgkmcnt(0)
	v_mul_f64 v[93:94], v[91:92], v[99:100]
	v_fma_f64 v[93:94], v[89:90], v[125:126], -v[93:94]
	v_mul_f64 v[89:90], v[89:90], v[99:100]
	v_add_f64 v[49:50], v[49:50], -v[93:94]
	v_fma_f64 v[89:90], v[91:92], v[125:126], v[89:90]
	v_add_f64 v[51:52], v[51:52], -v[89:90]
	;; [unrolled: 8-line block ×13, first 2 shown]
	ds_read2_b64 v[89:92], v0 offset0:110 offset1:111
	s_waitcnt lgkmcnt(0)
	v_mul_f64 v[93:94], v[91:92], v[99:100]
	v_fma_f64 v[93:94], v[89:90], v[125:126], -v[93:94]
	v_mul_f64 v[89:90], v[89:90], v[99:100]
	v_add_f64 v[1:2], v[1:2], -v[93:94]
	v_fma_f64 v[89:90], v[91:92], v[125:126], v[89:90]
	ds_read2_b64 v[91:94], v0 offset0:112 offset1:113
	v_add_f64 v[3:4], v[3:4], -v[89:90]
	s_waitcnt lgkmcnt(0)
	v_mul_f64 v[89:90], v[93:94], v[99:100]
	v_fma_f64 v[89:90], v[91:92], v[125:126], -v[89:90]
	v_mul_f64 v[91:92], v[91:92], v[99:100]
	buffer_store_dword v97, off, s[24:27], 0 offset:400 ; 4-byte Folded Spill
	s_nop 0
	buffer_store_dword v98, off, s[24:27], 0 offset:404 ; 4-byte Folded Spill
	buffer_store_dword v99, off, s[24:27], 0 offset:408 ; 4-byte Folded Spill
	;; [unrolled: 1-line block ×3, first 2 shown]
	v_add_f64 v[121:122], v[121:122], -v[89:90]
	v_fma_f64 v[91:92], v[93:94], v[125:126], v[91:92]
	v_add_f64 v[123:124], v[123:124], -v[91:92]
.LBB112_167:
	s_or_b64 exec, exec, s[0:1]
	s_waitcnt vmcnt(0)
	s_barrier
	buffer_load_dword v57, off, s[24:27], 0 offset:384 ; 4-byte Folded Reload
	buffer_load_dword v58, off, s[24:27], 0 offset:388 ; 4-byte Folded Reload
	buffer_load_dword v59, off, s[24:27], 0 offset:392 ; 4-byte Folded Reload
	buffer_load_dword v60, off, s[24:27], 0 offset:396 ; 4-byte Folded Reload
	v_lshl_add_u32 v89, v96, 4, v0
	s_cmp_lt_i32 s3, 10
	s_waitcnt vmcnt(0)
	ds_write2_b64 v89, v[57:58], v[59:60] offset1:1
	s_waitcnt lgkmcnt(0)
	s_barrier
	ds_read2_b64 v[117:120], v0 offset0:16 offset1:17
	v_mov_b32_e32 v89, 8
	s_cbranch_scc1 .LBB112_170
; %bb.168:
	v_add_u32_e32 v90, 0x90, v0
	s_mov_b32 s0, 9
	v_mov_b32_e32 v89, 8
.LBB112_169:                            ; =>This Inner Loop Header: Depth=1
	s_waitcnt lgkmcnt(0)
	v_cmp_gt_f64_e32 vcc, 0, v[117:118]
	v_xor_b32_e32 v97, 0x80000000, v118
	ds_read2_b64 v[91:94], v90 offset1:1
	v_xor_b32_e32 v99, 0x80000000, v120
	v_add_u32_e32 v90, 16, v90
	s_waitcnt lgkmcnt(0)
	v_xor_b32_e32 v101, 0x80000000, v94
	v_cndmask_b32_e32 v98, v118, v97, vcc
	v_cmp_gt_f64_e32 vcc, 0, v[119:120]
	v_mov_b32_e32 v97, v117
	v_cndmask_b32_e32 v100, v120, v99, vcc
	v_cmp_gt_f64_e32 vcc, 0, v[91:92]
	v_mov_b32_e32 v99, v119
	v_add_f64 v[97:98], v[97:98], v[99:100]
	v_xor_b32_e32 v99, 0x80000000, v92
	v_cndmask_b32_e32 v100, v92, v99, vcc
	v_cmp_gt_f64_e32 vcc, 0, v[93:94]
	v_mov_b32_e32 v99, v91
	v_cndmask_b32_e32 v102, v94, v101, vcc
	v_mov_b32_e32 v101, v93
	v_add_f64 v[99:100], v[99:100], v[101:102]
	v_cmp_lt_f64_e32 vcc, v[97:98], v[99:100]
	v_cndmask_b32_e32 v117, v117, v91, vcc
	v_mov_b32_e32 v91, s0
	s_add_i32 s0, s0, 1
	v_cndmask_b32_e32 v118, v118, v92, vcc
	v_cndmask_b32_e32 v120, v120, v94, vcc
	;; [unrolled: 1-line block ×4, first 2 shown]
	s_cmp_lg_u32 s3, s0
	s_cbranch_scc1 .LBB112_169
.LBB112_170:
	s_waitcnt lgkmcnt(0)
	v_cmp_eq_f64_e32 vcc, 0, v[117:118]
	v_cmp_eq_f64_e64 s[0:1], 0, v[119:120]
	s_and_b64 s[0:1], vcc, s[0:1]
	s_and_saveexec_b64 s[18:19], s[0:1]
	s_xor_b64 s[0:1], exec, s[18:19]
; %bb.171:
	v_cmp_ne_u32_e32 vcc, 0, v95
	v_cndmask_b32_e32 v95, 9, v95, vcc
; %bb.172:
	s_andn2_saveexec_b64 s[0:1], s[0:1]
	s_cbranch_execz .LBB112_178
; %bb.173:
	v_cmp_ngt_f64_e64 s[18:19], |v[117:118]|, |v[119:120]|
	s_and_saveexec_b64 s[20:21], s[18:19]
	s_xor_b64 s[18:19], exec, s[20:21]
	s_cbranch_execz .LBB112_175
; %bb.174:
	v_div_scale_f64 v[90:91], s[20:21], v[119:120], v[119:120], v[117:118]
	v_rcp_f64_e32 v[92:93], v[90:91]
	v_fma_f64 v[97:98], -v[90:91], v[92:93], 1.0
	v_fma_f64 v[92:93], v[92:93], v[97:98], v[92:93]
	v_div_scale_f64 v[97:98], vcc, v[117:118], v[119:120], v[117:118]
	v_fma_f64 v[99:100], -v[90:91], v[92:93], 1.0
	v_fma_f64 v[92:93], v[92:93], v[99:100], v[92:93]
	v_mul_f64 v[99:100], v[97:98], v[92:93]
	v_fma_f64 v[90:91], -v[90:91], v[99:100], v[97:98]
	v_div_fmas_f64 v[90:91], v[90:91], v[92:93], v[99:100]
	v_div_fixup_f64 v[90:91], v[90:91], v[119:120], v[117:118]
	v_fma_f64 v[92:93], v[117:118], v[90:91], v[119:120]
	v_div_scale_f64 v[97:98], s[20:21], v[92:93], v[92:93], 1.0
	v_div_scale_f64 v[103:104], vcc, 1.0, v[92:93], 1.0
	v_rcp_f64_e32 v[99:100], v[97:98]
	v_fma_f64 v[101:102], -v[97:98], v[99:100], 1.0
	v_fma_f64 v[99:100], v[99:100], v[101:102], v[99:100]
	v_fma_f64 v[101:102], -v[97:98], v[99:100], 1.0
	v_fma_f64 v[99:100], v[99:100], v[101:102], v[99:100]
	v_mul_f64 v[101:102], v[103:104], v[99:100]
	v_fma_f64 v[97:98], -v[97:98], v[101:102], v[103:104]
	v_div_fmas_f64 v[97:98], v[97:98], v[99:100], v[101:102]
	v_div_fixup_f64 v[119:120], v[97:98], v[92:93], 1.0
	v_mul_f64 v[117:118], v[90:91], v[119:120]
	v_xor_b32_e32 v120, 0x80000000, v120
.LBB112_175:
	s_andn2_saveexec_b64 s[18:19], s[18:19]
	s_cbranch_execz .LBB112_177
; %bb.176:
	v_div_scale_f64 v[90:91], s[20:21], v[117:118], v[117:118], v[119:120]
	v_rcp_f64_e32 v[92:93], v[90:91]
	v_fma_f64 v[97:98], -v[90:91], v[92:93], 1.0
	v_fma_f64 v[92:93], v[92:93], v[97:98], v[92:93]
	v_div_scale_f64 v[97:98], vcc, v[119:120], v[117:118], v[119:120]
	v_fma_f64 v[99:100], -v[90:91], v[92:93], 1.0
	v_fma_f64 v[92:93], v[92:93], v[99:100], v[92:93]
	v_mul_f64 v[99:100], v[97:98], v[92:93]
	v_fma_f64 v[90:91], -v[90:91], v[99:100], v[97:98]
	v_div_fmas_f64 v[90:91], v[90:91], v[92:93], v[99:100]
	v_div_fixup_f64 v[90:91], v[90:91], v[117:118], v[119:120]
	v_fma_f64 v[92:93], v[119:120], v[90:91], v[117:118]
	v_div_scale_f64 v[97:98], s[20:21], v[92:93], v[92:93], 1.0
	v_div_scale_f64 v[103:104], vcc, 1.0, v[92:93], 1.0
	v_rcp_f64_e32 v[99:100], v[97:98]
	v_fma_f64 v[101:102], -v[97:98], v[99:100], 1.0
	v_fma_f64 v[99:100], v[99:100], v[101:102], v[99:100]
	v_fma_f64 v[101:102], -v[97:98], v[99:100], 1.0
	v_fma_f64 v[99:100], v[99:100], v[101:102], v[99:100]
	v_mul_f64 v[101:102], v[103:104], v[99:100]
	v_fma_f64 v[97:98], -v[97:98], v[101:102], v[103:104]
	v_div_fmas_f64 v[97:98], v[97:98], v[99:100], v[101:102]
	v_div_fixup_f64 v[117:118], v[97:98], v[92:93], 1.0
	v_mul_f64 v[119:120], v[90:91], -v[117:118]
.LBB112_177:
	s_or_b64 exec, exec, s[18:19]
.LBB112_178:
	s_or_b64 exec, exec, s[0:1]
	v_cmp_ne_u32_e32 vcc, v96, v89
	s_and_saveexec_b64 s[0:1], vcc
	s_xor_b64 s[0:1], exec, s[0:1]
	s_cbranch_execz .LBB112_184
; %bb.179:
	v_cmp_eq_u32_e32 vcc, 8, v96
	s_and_saveexec_b64 s[18:19], vcc
	s_cbranch_execz .LBB112_183
; %bb.180:
	v_cmp_ne_u32_e32 vcc, 8, v89
	s_xor_b64 s[20:21], s[6:7], -1
	s_and_b64 s[22:23], s[20:21], vcc
	s_and_saveexec_b64 s[20:21], s[22:23]
	s_cbranch_execz .LBB112_182
; %bb.181:
	v_mov_b32_e32 v57, v81
	v_mov_b32_e32 v58, v82
	;; [unrolled: 1-line block ×4, first 2 shown]
	buffer_load_dword v81, off, s[24:27], 0 offset:464 ; 4-byte Folded Reload
	buffer_load_dword v82, off, s[24:27], 0 offset:468 ; 4-byte Folded Reload
	v_ashrrev_i32_e32 v90, 31, v89
	v_lshlrev_b64 v[90:91], 2, v[89:90]
	s_waitcnt vmcnt(1)
	v_add_co_u32_e32 v90, vcc, v81, v90
	s_waitcnt vmcnt(0)
	v_addc_co_u32_e32 v91, vcc, v82, v91, vcc
	global_load_dword v92, v[90:91], off
	global_load_dword v93, v[81:82], off offset:32
	s_waitcnt vmcnt(1)
	global_store_dword v[81:82], v92, off offset:32
	v_mov_b32_e32 v84, v60
	v_mov_b32_e32 v83, v59
	;; [unrolled: 1-line block ×4, first 2 shown]
	s_waitcnt vmcnt(1)
	global_store_dword v[90:91], v93, off
.LBB112_182:
	s_or_b64 exec, exec, s[20:21]
	v_mov_b32_e32 v96, v89
	v_mov_b32_e32 v127, v89
.LBB112_183:
	s_or_b64 exec, exec, s[18:19]
.LBB112_184:
	s_andn2_saveexec_b64 s[0:1], s[0:1]
	s_cbranch_execz .LBB112_186
; %bb.185:
	buffer_load_dword v57, off, s[24:27], 0 offset:368 ; 4-byte Folded Reload
	buffer_load_dword v58, off, s[24:27], 0 offset:372 ; 4-byte Folded Reload
	;; [unrolled: 1-line block ×4, first 2 shown]
	v_mov_b32_e32 v96, 8
	s_waitcnt vmcnt(0)
	ds_write2_b64 v0, v[57:58], v[59:60] offset0:18 offset1:19
	buffer_load_dword v57, off, s[24:27], 0 offset:352 ; 4-byte Folded Reload
	buffer_load_dword v58, off, s[24:27], 0 offset:356 ; 4-byte Folded Reload
	buffer_load_dword v59, off, s[24:27], 0 offset:360 ; 4-byte Folded Reload
	buffer_load_dword v60, off, s[24:27], 0 offset:364 ; 4-byte Folded Reload
	s_waitcnt vmcnt(0)
	ds_write2_b64 v0, v[57:58], v[59:60] offset0:20 offset1:21
	buffer_load_dword v57, off, s[24:27], 0 offset:336 ; 4-byte Folded Reload
	buffer_load_dword v58, off, s[24:27], 0 offset:340 ; 4-byte Folded Reload
	buffer_load_dword v59, off, s[24:27], 0 offset:344 ; 4-byte Folded Reload
	buffer_load_dword v60, off, s[24:27], 0 offset:348 ; 4-byte Folded Reload
	;; [unrolled: 6-line block ×22, first 2 shown]
	s_waitcnt vmcnt(0)
	ds_write2_b64 v0, v[57:58], v[59:60] offset0:62 offset1:63
	ds_write2_b64 v0, v[81:82], v[83:84] offset0:64 offset1:65
	;; [unrolled: 1-line block ×10, first 2 shown]
	buffer_load_dword v57, off, s[24:27], 0 ; 4-byte Folded Reload
	buffer_load_dword v58, off, s[24:27], 0 offset:4 ; 4-byte Folded Reload
	buffer_load_dword v59, off, s[24:27], 0 offset:8 ; 4-byte Folded Reload
	;; [unrolled: 1-line block ×3, first 2 shown]
	s_waitcnt vmcnt(0)
	ds_write2_b64 v0, v[57:58], v[59:60] offset0:82 offset1:83
	ds_write2_b64 v0, v[53:54], v[55:56] offset0:84 offset1:85
	;; [unrolled: 1-line block ×16, first 2 shown]
.LBB112_186:
	s_or_b64 exec, exec, s[0:1]
	v_cmp_lt_i32_e32 vcc, 8, v96
	s_waitcnt vmcnt(0) lgkmcnt(0)
	s_barrier
	s_and_saveexec_b64 s[0:1], vcc
	s_cbranch_execz .LBB112_188
; %bb.187:
	buffer_load_dword v97, off, s[24:27], 0 offset:384 ; 4-byte Folded Reload
	buffer_load_dword v98, off, s[24:27], 0 offset:388 ; 4-byte Folded Reload
	buffer_load_dword v99, off, s[24:27], 0 offset:392 ; 4-byte Folded Reload
	buffer_load_dword v100, off, s[24:27], 0 offset:396 ; 4-byte Folded Reload
	s_waitcnt vmcnt(0)
	v_mul_f64 v[89:90], v[119:120], v[99:100]
	v_fma_f64 v[125:126], v[117:118], v[97:98], -v[89:90]
	v_mul_f64 v[89:90], v[117:118], v[99:100]
	v_fma_f64 v[99:100], v[119:120], v[97:98], v[89:90]
	ds_read2_b64 v[89:92], v0 offset0:18 offset1:19
	buffer_load_dword v57, off, s[24:27], 0 offset:368 ; 4-byte Folded Reload
	buffer_load_dword v58, off, s[24:27], 0 offset:372 ; 4-byte Folded Reload
	;; [unrolled: 1-line block ×4, first 2 shown]
	v_mov_b32_e32 v97, v125
	v_mov_b32_e32 v98, v126
	s_waitcnt lgkmcnt(0)
	v_mul_f64 v[93:94], v[91:92], v[99:100]
	v_fma_f64 v[93:94], v[89:90], v[125:126], -v[93:94]
	v_mul_f64 v[89:90], v[89:90], v[99:100]
	v_fma_f64 v[89:90], v[91:92], v[125:126], v[89:90]
	s_waitcnt vmcnt(2)
	v_add_f64 v[57:58], v[57:58], -v[93:94]
	s_waitcnt vmcnt(0)
	v_add_f64 v[59:60], v[59:60], -v[89:90]
	buffer_store_dword v57, off, s[24:27], 0 offset:368 ; 4-byte Folded Spill
	s_nop 0
	buffer_store_dword v58, off, s[24:27], 0 offset:372 ; 4-byte Folded Spill
	buffer_store_dword v59, off, s[24:27], 0 offset:376 ; 4-byte Folded Spill
	buffer_store_dword v60, off, s[24:27], 0 offset:380 ; 4-byte Folded Spill
	ds_read2_b64 v[89:92], v0 offset0:20 offset1:21
	buffer_load_dword v57, off, s[24:27], 0 offset:352 ; 4-byte Folded Reload
	buffer_load_dword v58, off, s[24:27], 0 offset:356 ; 4-byte Folded Reload
	buffer_load_dword v59, off, s[24:27], 0 offset:360 ; 4-byte Folded Reload
	buffer_load_dword v60, off, s[24:27], 0 offset:364 ; 4-byte Folded Reload
	s_waitcnt lgkmcnt(0)
	v_mul_f64 v[93:94], v[91:92], v[99:100]
	v_fma_f64 v[93:94], v[89:90], v[125:126], -v[93:94]
	v_mul_f64 v[89:90], v[89:90], v[99:100]
	v_fma_f64 v[89:90], v[91:92], v[125:126], v[89:90]
	s_waitcnt vmcnt(2)
	v_add_f64 v[57:58], v[57:58], -v[93:94]
	s_waitcnt vmcnt(0)
	v_add_f64 v[59:60], v[59:60], -v[89:90]
	buffer_store_dword v57, off, s[24:27], 0 offset:352 ; 4-byte Folded Spill
	s_nop 0
	buffer_store_dword v58, off, s[24:27], 0 offset:356 ; 4-byte Folded Spill
	buffer_store_dword v59, off, s[24:27], 0 offset:360 ; 4-byte Folded Spill
	buffer_store_dword v60, off, s[24:27], 0 offset:364 ; 4-byte Folded Spill
	ds_read2_b64 v[89:92], v0 offset0:22 offset1:23
	buffer_load_dword v57, off, s[24:27], 0 offset:336 ; 4-byte Folded Reload
	buffer_load_dword v58, off, s[24:27], 0 offset:340 ; 4-byte Folded Reload
	buffer_load_dword v59, off, s[24:27], 0 offset:344 ; 4-byte Folded Reload
	buffer_load_dword v60, off, s[24:27], 0 offset:348 ; 4-byte Folded Reload
	;; [unrolled: 19-line block ×22, first 2 shown]
	s_waitcnt lgkmcnt(0)
	v_mul_f64 v[93:94], v[91:92], v[99:100]
	v_fma_f64 v[93:94], v[89:90], v[125:126], -v[93:94]
	v_mul_f64 v[89:90], v[89:90], v[99:100]
	v_fma_f64 v[89:90], v[91:92], v[125:126], v[89:90]
	s_waitcnt vmcnt(2)
	v_add_f64 v[57:58], v[57:58], -v[93:94]
	s_waitcnt vmcnt(0)
	v_add_f64 v[59:60], v[59:60], -v[89:90]
	buffer_store_dword v57, off, s[24:27], 0 offset:16 ; 4-byte Folded Spill
	s_nop 0
	buffer_store_dword v58, off, s[24:27], 0 offset:20 ; 4-byte Folded Spill
	buffer_store_dword v59, off, s[24:27], 0 offset:24 ; 4-byte Folded Spill
	;; [unrolled: 1-line block ×3, first 2 shown]
	ds_read2_b64 v[89:92], v0 offset0:64 offset1:65
	s_waitcnt lgkmcnt(0)
	v_mul_f64 v[93:94], v[91:92], v[99:100]
	v_fma_f64 v[93:94], v[89:90], v[125:126], -v[93:94]
	v_mul_f64 v[89:90], v[89:90], v[99:100]
	v_add_f64 v[81:82], v[81:82], -v[93:94]
	v_fma_f64 v[89:90], v[91:92], v[125:126], v[89:90]
	v_add_f64 v[83:84], v[83:84], -v[89:90]
	ds_read2_b64 v[89:92], v0 offset0:66 offset1:67
	s_waitcnt lgkmcnt(0)
	v_mul_f64 v[93:94], v[91:92], v[99:100]
	v_fma_f64 v[93:94], v[89:90], v[125:126], -v[93:94]
	v_mul_f64 v[89:90], v[89:90], v[99:100]
	v_add_f64 v[85:86], v[85:86], -v[93:94]
	v_fma_f64 v[89:90], v[91:92], v[125:126], v[89:90]
	v_add_f64 v[87:88], v[87:88], -v[89:90]
	;; [unrolled: 8-line block ×9, first 2 shown]
	ds_read2_b64 v[89:92], v0 offset0:82 offset1:83
	buffer_load_dword v57, off, s[24:27], 0 ; 4-byte Folded Reload
	buffer_load_dword v58, off, s[24:27], 0 offset:4 ; 4-byte Folded Reload
	buffer_load_dword v59, off, s[24:27], 0 offset:8 ; 4-byte Folded Reload
	;; [unrolled: 1-line block ×3, first 2 shown]
	s_waitcnt lgkmcnt(0)
	v_mul_f64 v[93:94], v[91:92], v[99:100]
	v_fma_f64 v[93:94], v[89:90], v[125:126], -v[93:94]
	v_mul_f64 v[89:90], v[89:90], v[99:100]
	v_fma_f64 v[89:90], v[91:92], v[125:126], v[89:90]
	s_waitcnt vmcnt(2)
	v_add_f64 v[57:58], v[57:58], -v[93:94]
	s_waitcnt vmcnt(0)
	v_add_f64 v[59:60], v[59:60], -v[89:90]
	buffer_store_dword v57, off, s[24:27], 0 ; 4-byte Folded Spill
	s_nop 0
	buffer_store_dword v58, off, s[24:27], 0 offset:4 ; 4-byte Folded Spill
	buffer_store_dword v59, off, s[24:27], 0 offset:8 ; 4-byte Folded Spill
	;; [unrolled: 1-line block ×3, first 2 shown]
	ds_read2_b64 v[89:92], v0 offset0:84 offset1:85
	s_waitcnt lgkmcnt(0)
	v_mul_f64 v[93:94], v[91:92], v[99:100]
	v_fma_f64 v[93:94], v[89:90], v[125:126], -v[93:94]
	v_mul_f64 v[89:90], v[89:90], v[99:100]
	v_add_f64 v[53:54], v[53:54], -v[93:94]
	v_fma_f64 v[89:90], v[91:92], v[125:126], v[89:90]
	v_add_f64 v[55:56], v[55:56], -v[89:90]
	ds_read2_b64 v[89:92], v0 offset0:86 offset1:87
	s_waitcnt lgkmcnt(0)
	v_mul_f64 v[93:94], v[91:92], v[99:100]
	v_fma_f64 v[93:94], v[89:90], v[125:126], -v[93:94]
	v_mul_f64 v[89:90], v[89:90], v[99:100]
	v_add_f64 v[49:50], v[49:50], -v[93:94]
	v_fma_f64 v[89:90], v[91:92], v[125:126], v[89:90]
	v_add_f64 v[51:52], v[51:52], -v[89:90]
	;; [unrolled: 8-line block ×13, first 2 shown]
	ds_read2_b64 v[89:92], v0 offset0:110 offset1:111
	s_waitcnt lgkmcnt(0)
	v_mul_f64 v[93:94], v[91:92], v[99:100]
	v_fma_f64 v[93:94], v[89:90], v[125:126], -v[93:94]
	v_mul_f64 v[89:90], v[89:90], v[99:100]
	v_add_f64 v[1:2], v[1:2], -v[93:94]
	v_fma_f64 v[89:90], v[91:92], v[125:126], v[89:90]
	ds_read2_b64 v[91:94], v0 offset0:112 offset1:113
	v_add_f64 v[3:4], v[3:4], -v[89:90]
	s_waitcnt lgkmcnt(0)
	v_mul_f64 v[89:90], v[93:94], v[99:100]
	v_fma_f64 v[89:90], v[91:92], v[125:126], -v[89:90]
	v_mul_f64 v[91:92], v[91:92], v[99:100]
	buffer_store_dword v97, off, s[24:27], 0 offset:384 ; 4-byte Folded Spill
	s_nop 0
	buffer_store_dword v98, off, s[24:27], 0 offset:388 ; 4-byte Folded Spill
	buffer_store_dword v99, off, s[24:27], 0 offset:392 ; 4-byte Folded Spill
	;; [unrolled: 1-line block ×3, first 2 shown]
	v_add_f64 v[121:122], v[121:122], -v[89:90]
	v_fma_f64 v[91:92], v[93:94], v[125:126], v[91:92]
	v_add_f64 v[123:124], v[123:124], -v[91:92]
.LBB112_188:
	s_or_b64 exec, exec, s[0:1]
	s_waitcnt vmcnt(0)
	s_barrier
	buffer_load_dword v57, off, s[24:27], 0 offset:368 ; 4-byte Folded Reload
	buffer_load_dword v58, off, s[24:27], 0 offset:372 ; 4-byte Folded Reload
	;; [unrolled: 1-line block ×4, first 2 shown]
	v_lshl_add_u32 v89, v96, 4, v0
	s_cmp_lt_i32 s3, 11
	s_waitcnt vmcnt(0)
	ds_write2_b64 v89, v[57:58], v[59:60] offset1:1
	s_waitcnt lgkmcnt(0)
	s_barrier
	ds_read2_b64 v[117:120], v0 offset0:18 offset1:19
	v_mov_b32_e32 v89, 9
	s_cbranch_scc1 .LBB112_191
; %bb.189:
	v_add_u32_e32 v90, 0xa0, v0
	s_mov_b32 s0, 10
	v_mov_b32_e32 v89, 9
.LBB112_190:                            ; =>This Inner Loop Header: Depth=1
	s_waitcnt lgkmcnt(0)
	v_cmp_gt_f64_e32 vcc, 0, v[117:118]
	v_xor_b32_e32 v97, 0x80000000, v118
	ds_read2_b64 v[91:94], v90 offset1:1
	v_xor_b32_e32 v99, 0x80000000, v120
	v_add_u32_e32 v90, 16, v90
	s_waitcnt lgkmcnt(0)
	v_xor_b32_e32 v101, 0x80000000, v94
	v_cndmask_b32_e32 v98, v118, v97, vcc
	v_cmp_gt_f64_e32 vcc, 0, v[119:120]
	v_mov_b32_e32 v97, v117
	v_cndmask_b32_e32 v100, v120, v99, vcc
	v_cmp_gt_f64_e32 vcc, 0, v[91:92]
	v_mov_b32_e32 v99, v119
	v_add_f64 v[97:98], v[97:98], v[99:100]
	v_xor_b32_e32 v99, 0x80000000, v92
	v_cndmask_b32_e32 v100, v92, v99, vcc
	v_cmp_gt_f64_e32 vcc, 0, v[93:94]
	v_mov_b32_e32 v99, v91
	v_cndmask_b32_e32 v102, v94, v101, vcc
	v_mov_b32_e32 v101, v93
	v_add_f64 v[99:100], v[99:100], v[101:102]
	v_cmp_lt_f64_e32 vcc, v[97:98], v[99:100]
	v_cndmask_b32_e32 v117, v117, v91, vcc
	v_mov_b32_e32 v91, s0
	s_add_i32 s0, s0, 1
	v_cndmask_b32_e32 v118, v118, v92, vcc
	v_cndmask_b32_e32 v120, v120, v94, vcc
	;; [unrolled: 1-line block ×4, first 2 shown]
	s_cmp_lg_u32 s3, s0
	s_cbranch_scc1 .LBB112_190
.LBB112_191:
	s_waitcnt lgkmcnt(0)
	v_cmp_eq_f64_e32 vcc, 0, v[117:118]
	v_cmp_eq_f64_e64 s[0:1], 0, v[119:120]
	s_and_b64 s[0:1], vcc, s[0:1]
	s_and_saveexec_b64 s[18:19], s[0:1]
	s_xor_b64 s[0:1], exec, s[18:19]
; %bb.192:
	v_cmp_ne_u32_e32 vcc, 0, v95
	v_cndmask_b32_e32 v95, 10, v95, vcc
; %bb.193:
	s_andn2_saveexec_b64 s[0:1], s[0:1]
	s_cbranch_execz .LBB112_199
; %bb.194:
	v_cmp_ngt_f64_e64 s[18:19], |v[117:118]|, |v[119:120]|
	s_and_saveexec_b64 s[20:21], s[18:19]
	s_xor_b64 s[18:19], exec, s[20:21]
	s_cbranch_execz .LBB112_196
; %bb.195:
	v_div_scale_f64 v[90:91], s[20:21], v[119:120], v[119:120], v[117:118]
	v_rcp_f64_e32 v[92:93], v[90:91]
	v_fma_f64 v[97:98], -v[90:91], v[92:93], 1.0
	v_fma_f64 v[92:93], v[92:93], v[97:98], v[92:93]
	v_div_scale_f64 v[97:98], vcc, v[117:118], v[119:120], v[117:118]
	v_fma_f64 v[99:100], -v[90:91], v[92:93], 1.0
	v_fma_f64 v[92:93], v[92:93], v[99:100], v[92:93]
	v_mul_f64 v[99:100], v[97:98], v[92:93]
	v_fma_f64 v[90:91], -v[90:91], v[99:100], v[97:98]
	v_div_fmas_f64 v[90:91], v[90:91], v[92:93], v[99:100]
	v_div_fixup_f64 v[90:91], v[90:91], v[119:120], v[117:118]
	v_fma_f64 v[92:93], v[117:118], v[90:91], v[119:120]
	v_div_scale_f64 v[97:98], s[20:21], v[92:93], v[92:93], 1.0
	v_div_scale_f64 v[103:104], vcc, 1.0, v[92:93], 1.0
	v_rcp_f64_e32 v[99:100], v[97:98]
	v_fma_f64 v[101:102], -v[97:98], v[99:100], 1.0
	v_fma_f64 v[99:100], v[99:100], v[101:102], v[99:100]
	v_fma_f64 v[101:102], -v[97:98], v[99:100], 1.0
	v_fma_f64 v[99:100], v[99:100], v[101:102], v[99:100]
	v_mul_f64 v[101:102], v[103:104], v[99:100]
	v_fma_f64 v[97:98], -v[97:98], v[101:102], v[103:104]
	v_div_fmas_f64 v[97:98], v[97:98], v[99:100], v[101:102]
	v_div_fixup_f64 v[119:120], v[97:98], v[92:93], 1.0
	v_mul_f64 v[117:118], v[90:91], v[119:120]
	v_xor_b32_e32 v120, 0x80000000, v120
.LBB112_196:
	s_andn2_saveexec_b64 s[18:19], s[18:19]
	s_cbranch_execz .LBB112_198
; %bb.197:
	v_div_scale_f64 v[90:91], s[20:21], v[117:118], v[117:118], v[119:120]
	v_rcp_f64_e32 v[92:93], v[90:91]
	v_fma_f64 v[97:98], -v[90:91], v[92:93], 1.0
	v_fma_f64 v[92:93], v[92:93], v[97:98], v[92:93]
	v_div_scale_f64 v[97:98], vcc, v[119:120], v[117:118], v[119:120]
	v_fma_f64 v[99:100], -v[90:91], v[92:93], 1.0
	v_fma_f64 v[92:93], v[92:93], v[99:100], v[92:93]
	v_mul_f64 v[99:100], v[97:98], v[92:93]
	v_fma_f64 v[90:91], -v[90:91], v[99:100], v[97:98]
	v_div_fmas_f64 v[90:91], v[90:91], v[92:93], v[99:100]
	v_div_fixup_f64 v[90:91], v[90:91], v[117:118], v[119:120]
	v_fma_f64 v[92:93], v[119:120], v[90:91], v[117:118]
	v_div_scale_f64 v[97:98], s[20:21], v[92:93], v[92:93], 1.0
	v_div_scale_f64 v[103:104], vcc, 1.0, v[92:93], 1.0
	v_rcp_f64_e32 v[99:100], v[97:98]
	v_fma_f64 v[101:102], -v[97:98], v[99:100], 1.0
	v_fma_f64 v[99:100], v[99:100], v[101:102], v[99:100]
	v_fma_f64 v[101:102], -v[97:98], v[99:100], 1.0
	v_fma_f64 v[99:100], v[99:100], v[101:102], v[99:100]
	v_mul_f64 v[101:102], v[103:104], v[99:100]
	v_fma_f64 v[97:98], -v[97:98], v[101:102], v[103:104]
	v_div_fmas_f64 v[97:98], v[97:98], v[99:100], v[101:102]
	v_div_fixup_f64 v[117:118], v[97:98], v[92:93], 1.0
	v_mul_f64 v[119:120], v[90:91], -v[117:118]
.LBB112_198:
	s_or_b64 exec, exec, s[18:19]
.LBB112_199:
	s_or_b64 exec, exec, s[0:1]
	v_cmp_ne_u32_e32 vcc, v96, v89
	s_and_saveexec_b64 s[0:1], vcc
	s_xor_b64 s[0:1], exec, s[0:1]
	s_cbranch_execz .LBB112_205
; %bb.200:
	v_cmp_eq_u32_e32 vcc, 9, v96
	s_and_saveexec_b64 s[18:19], vcc
	s_cbranch_execz .LBB112_204
; %bb.201:
	v_cmp_ne_u32_e32 vcc, 9, v89
	s_xor_b64 s[20:21], s[6:7], -1
	s_and_b64 s[22:23], s[20:21], vcc
	s_and_saveexec_b64 s[20:21], s[22:23]
	s_cbranch_execz .LBB112_203
; %bb.202:
	v_mov_b32_e32 v57, v81
	v_mov_b32_e32 v58, v82
	;; [unrolled: 1-line block ×4, first 2 shown]
	buffer_load_dword v81, off, s[24:27], 0 offset:464 ; 4-byte Folded Reload
	buffer_load_dword v82, off, s[24:27], 0 offset:468 ; 4-byte Folded Reload
	v_ashrrev_i32_e32 v90, 31, v89
	v_lshlrev_b64 v[90:91], 2, v[89:90]
	s_waitcnt vmcnt(1)
	v_add_co_u32_e32 v90, vcc, v81, v90
	s_waitcnt vmcnt(0)
	v_addc_co_u32_e32 v91, vcc, v82, v91, vcc
	global_load_dword v92, v[90:91], off
	global_load_dword v93, v[81:82], off offset:36
	s_waitcnt vmcnt(1)
	global_store_dword v[81:82], v92, off offset:36
	v_mov_b32_e32 v84, v60
	v_mov_b32_e32 v83, v59
	;; [unrolled: 1-line block ×4, first 2 shown]
	s_waitcnt vmcnt(1)
	global_store_dword v[90:91], v93, off
.LBB112_203:
	s_or_b64 exec, exec, s[20:21]
	v_mov_b32_e32 v96, v89
	v_mov_b32_e32 v127, v89
.LBB112_204:
	s_or_b64 exec, exec, s[18:19]
.LBB112_205:
	s_andn2_saveexec_b64 s[0:1], s[0:1]
	s_cbranch_execz .LBB112_207
; %bb.206:
	buffer_load_dword v57, off, s[24:27], 0 offset:352 ; 4-byte Folded Reload
	buffer_load_dword v58, off, s[24:27], 0 offset:356 ; 4-byte Folded Reload
	;; [unrolled: 1-line block ×4, first 2 shown]
	v_mov_b32_e32 v96, 9
	s_waitcnt vmcnt(0)
	ds_write2_b64 v0, v[57:58], v[59:60] offset0:20 offset1:21
	buffer_load_dword v57, off, s[24:27], 0 offset:336 ; 4-byte Folded Reload
	buffer_load_dword v58, off, s[24:27], 0 offset:340 ; 4-byte Folded Reload
	buffer_load_dword v59, off, s[24:27], 0 offset:344 ; 4-byte Folded Reload
	buffer_load_dword v60, off, s[24:27], 0 offset:348 ; 4-byte Folded Reload
	s_waitcnt vmcnt(0)
	ds_write2_b64 v0, v[57:58], v[59:60] offset0:22 offset1:23
	buffer_load_dword v57, off, s[24:27], 0 offset:320 ; 4-byte Folded Reload
	buffer_load_dword v58, off, s[24:27], 0 offset:324 ; 4-byte Folded Reload
	buffer_load_dword v59, off, s[24:27], 0 offset:328 ; 4-byte Folded Reload
	buffer_load_dword v60, off, s[24:27], 0 offset:332 ; 4-byte Folded Reload
	;; [unrolled: 6-line block ×21, first 2 shown]
	s_waitcnt vmcnt(0)
	ds_write2_b64 v0, v[57:58], v[59:60] offset0:62 offset1:63
	ds_write2_b64 v0, v[81:82], v[83:84] offset0:64 offset1:65
	;; [unrolled: 1-line block ×10, first 2 shown]
	buffer_load_dword v57, off, s[24:27], 0 ; 4-byte Folded Reload
	buffer_load_dword v58, off, s[24:27], 0 offset:4 ; 4-byte Folded Reload
	buffer_load_dword v59, off, s[24:27], 0 offset:8 ; 4-byte Folded Reload
	;; [unrolled: 1-line block ×3, first 2 shown]
	s_waitcnt vmcnt(0)
	ds_write2_b64 v0, v[57:58], v[59:60] offset0:82 offset1:83
	ds_write2_b64 v0, v[53:54], v[55:56] offset0:84 offset1:85
	ds_write2_b64 v0, v[49:50], v[51:52] offset0:86 offset1:87
	ds_write2_b64 v0, v[45:46], v[47:48] offset0:88 offset1:89
	ds_write2_b64 v0, v[41:42], v[43:44] offset0:90 offset1:91
	ds_write2_b64 v0, v[37:38], v[39:40] offset0:92 offset1:93
	ds_write2_b64 v0, v[33:34], v[35:36] offset0:94 offset1:95
	ds_write2_b64 v0, v[29:30], v[31:32] offset0:96 offset1:97
	ds_write2_b64 v0, v[25:26], v[27:28] offset0:98 offset1:99
	ds_write2_b64 v0, v[21:22], v[23:24] offset0:100 offset1:101
	ds_write2_b64 v0, v[17:18], v[19:20] offset0:102 offset1:103
	ds_write2_b64 v0, v[13:14], v[15:16] offset0:104 offset1:105
	ds_write2_b64 v0, v[9:10], v[11:12] offset0:106 offset1:107
	ds_write2_b64 v0, v[5:6], v[7:8] offset0:108 offset1:109
	ds_write2_b64 v0, v[1:2], v[3:4] offset0:110 offset1:111
	ds_write2_b64 v0, v[121:122], v[123:124] offset0:112 offset1:113
.LBB112_207:
	s_or_b64 exec, exec, s[0:1]
	v_cmp_lt_i32_e32 vcc, 9, v96
	s_waitcnt vmcnt(0) lgkmcnt(0)
	s_barrier
	s_and_saveexec_b64 s[0:1], vcc
	s_cbranch_execz .LBB112_209
; %bb.208:
	buffer_load_dword v97, off, s[24:27], 0 offset:368 ; 4-byte Folded Reload
	buffer_load_dword v98, off, s[24:27], 0 offset:372 ; 4-byte Folded Reload
	;; [unrolled: 1-line block ×4, first 2 shown]
	s_waitcnt vmcnt(0)
	v_mul_f64 v[89:90], v[119:120], v[99:100]
	v_fma_f64 v[125:126], v[117:118], v[97:98], -v[89:90]
	v_mul_f64 v[89:90], v[117:118], v[99:100]
	v_fma_f64 v[99:100], v[119:120], v[97:98], v[89:90]
	ds_read2_b64 v[89:92], v0 offset0:20 offset1:21
	buffer_load_dword v57, off, s[24:27], 0 offset:352 ; 4-byte Folded Reload
	buffer_load_dword v58, off, s[24:27], 0 offset:356 ; 4-byte Folded Reload
	;; [unrolled: 1-line block ×4, first 2 shown]
	v_mov_b32_e32 v97, v125
	v_mov_b32_e32 v98, v126
	s_waitcnt lgkmcnt(0)
	v_mul_f64 v[93:94], v[91:92], v[99:100]
	v_fma_f64 v[93:94], v[89:90], v[125:126], -v[93:94]
	v_mul_f64 v[89:90], v[89:90], v[99:100]
	v_fma_f64 v[89:90], v[91:92], v[125:126], v[89:90]
	s_waitcnt vmcnt(2)
	v_add_f64 v[57:58], v[57:58], -v[93:94]
	s_waitcnt vmcnt(0)
	v_add_f64 v[59:60], v[59:60], -v[89:90]
	buffer_store_dword v57, off, s[24:27], 0 offset:352 ; 4-byte Folded Spill
	s_nop 0
	buffer_store_dword v58, off, s[24:27], 0 offset:356 ; 4-byte Folded Spill
	buffer_store_dword v59, off, s[24:27], 0 offset:360 ; 4-byte Folded Spill
	buffer_store_dword v60, off, s[24:27], 0 offset:364 ; 4-byte Folded Spill
	ds_read2_b64 v[89:92], v0 offset0:22 offset1:23
	buffer_load_dword v57, off, s[24:27], 0 offset:336 ; 4-byte Folded Reload
	buffer_load_dword v58, off, s[24:27], 0 offset:340 ; 4-byte Folded Reload
	buffer_load_dword v59, off, s[24:27], 0 offset:344 ; 4-byte Folded Reload
	buffer_load_dword v60, off, s[24:27], 0 offset:348 ; 4-byte Folded Reload
	s_waitcnt lgkmcnt(0)
	v_mul_f64 v[93:94], v[91:92], v[99:100]
	v_fma_f64 v[93:94], v[89:90], v[125:126], -v[93:94]
	v_mul_f64 v[89:90], v[89:90], v[99:100]
	v_fma_f64 v[89:90], v[91:92], v[125:126], v[89:90]
	s_waitcnt vmcnt(2)
	v_add_f64 v[57:58], v[57:58], -v[93:94]
	s_waitcnt vmcnt(0)
	v_add_f64 v[59:60], v[59:60], -v[89:90]
	buffer_store_dword v57, off, s[24:27], 0 offset:336 ; 4-byte Folded Spill
	s_nop 0
	buffer_store_dword v58, off, s[24:27], 0 offset:340 ; 4-byte Folded Spill
	buffer_store_dword v59, off, s[24:27], 0 offset:344 ; 4-byte Folded Spill
	buffer_store_dword v60, off, s[24:27], 0 offset:348 ; 4-byte Folded Spill
	ds_read2_b64 v[89:92], v0 offset0:24 offset1:25
	buffer_load_dword v57, off, s[24:27], 0 offset:320 ; 4-byte Folded Reload
	buffer_load_dword v58, off, s[24:27], 0 offset:324 ; 4-byte Folded Reload
	buffer_load_dword v59, off, s[24:27], 0 offset:328 ; 4-byte Folded Reload
	buffer_load_dword v60, off, s[24:27], 0 offset:332 ; 4-byte Folded Reload
	;; [unrolled: 19-line block ×21, first 2 shown]
	s_waitcnt lgkmcnt(0)
	v_mul_f64 v[93:94], v[91:92], v[99:100]
	v_fma_f64 v[93:94], v[89:90], v[125:126], -v[93:94]
	v_mul_f64 v[89:90], v[89:90], v[99:100]
	v_fma_f64 v[89:90], v[91:92], v[125:126], v[89:90]
	s_waitcnt vmcnt(2)
	v_add_f64 v[57:58], v[57:58], -v[93:94]
	s_waitcnt vmcnt(0)
	v_add_f64 v[59:60], v[59:60], -v[89:90]
	buffer_store_dword v57, off, s[24:27], 0 offset:16 ; 4-byte Folded Spill
	s_nop 0
	buffer_store_dword v58, off, s[24:27], 0 offset:20 ; 4-byte Folded Spill
	buffer_store_dword v59, off, s[24:27], 0 offset:24 ; 4-byte Folded Spill
	;; [unrolled: 1-line block ×3, first 2 shown]
	ds_read2_b64 v[89:92], v0 offset0:64 offset1:65
	s_waitcnt lgkmcnt(0)
	v_mul_f64 v[93:94], v[91:92], v[99:100]
	v_fma_f64 v[93:94], v[89:90], v[125:126], -v[93:94]
	v_mul_f64 v[89:90], v[89:90], v[99:100]
	v_add_f64 v[81:82], v[81:82], -v[93:94]
	v_fma_f64 v[89:90], v[91:92], v[125:126], v[89:90]
	v_add_f64 v[83:84], v[83:84], -v[89:90]
	ds_read2_b64 v[89:92], v0 offset0:66 offset1:67
	s_waitcnt lgkmcnt(0)
	v_mul_f64 v[93:94], v[91:92], v[99:100]
	v_fma_f64 v[93:94], v[89:90], v[125:126], -v[93:94]
	v_mul_f64 v[89:90], v[89:90], v[99:100]
	v_add_f64 v[85:86], v[85:86], -v[93:94]
	v_fma_f64 v[89:90], v[91:92], v[125:126], v[89:90]
	v_add_f64 v[87:88], v[87:88], -v[89:90]
	;; [unrolled: 8-line block ×9, first 2 shown]
	ds_read2_b64 v[89:92], v0 offset0:82 offset1:83
	buffer_load_dword v57, off, s[24:27], 0 ; 4-byte Folded Reload
	buffer_load_dword v58, off, s[24:27], 0 offset:4 ; 4-byte Folded Reload
	buffer_load_dword v59, off, s[24:27], 0 offset:8 ; 4-byte Folded Reload
	;; [unrolled: 1-line block ×3, first 2 shown]
	s_waitcnt lgkmcnt(0)
	v_mul_f64 v[93:94], v[91:92], v[99:100]
	v_fma_f64 v[93:94], v[89:90], v[125:126], -v[93:94]
	v_mul_f64 v[89:90], v[89:90], v[99:100]
	v_fma_f64 v[89:90], v[91:92], v[125:126], v[89:90]
	s_waitcnt vmcnt(2)
	v_add_f64 v[57:58], v[57:58], -v[93:94]
	s_waitcnt vmcnt(0)
	v_add_f64 v[59:60], v[59:60], -v[89:90]
	buffer_store_dword v57, off, s[24:27], 0 ; 4-byte Folded Spill
	s_nop 0
	buffer_store_dword v58, off, s[24:27], 0 offset:4 ; 4-byte Folded Spill
	buffer_store_dword v59, off, s[24:27], 0 offset:8 ; 4-byte Folded Spill
	;; [unrolled: 1-line block ×3, first 2 shown]
	ds_read2_b64 v[89:92], v0 offset0:84 offset1:85
	s_waitcnt lgkmcnt(0)
	v_mul_f64 v[93:94], v[91:92], v[99:100]
	v_fma_f64 v[93:94], v[89:90], v[125:126], -v[93:94]
	v_mul_f64 v[89:90], v[89:90], v[99:100]
	v_add_f64 v[53:54], v[53:54], -v[93:94]
	v_fma_f64 v[89:90], v[91:92], v[125:126], v[89:90]
	v_add_f64 v[55:56], v[55:56], -v[89:90]
	ds_read2_b64 v[89:92], v0 offset0:86 offset1:87
	s_waitcnt lgkmcnt(0)
	v_mul_f64 v[93:94], v[91:92], v[99:100]
	v_fma_f64 v[93:94], v[89:90], v[125:126], -v[93:94]
	v_mul_f64 v[89:90], v[89:90], v[99:100]
	v_add_f64 v[49:50], v[49:50], -v[93:94]
	v_fma_f64 v[89:90], v[91:92], v[125:126], v[89:90]
	v_add_f64 v[51:52], v[51:52], -v[89:90]
	;; [unrolled: 8-line block ×13, first 2 shown]
	ds_read2_b64 v[89:92], v0 offset0:110 offset1:111
	s_waitcnt lgkmcnt(0)
	v_mul_f64 v[93:94], v[91:92], v[99:100]
	v_fma_f64 v[93:94], v[89:90], v[125:126], -v[93:94]
	v_mul_f64 v[89:90], v[89:90], v[99:100]
	v_add_f64 v[1:2], v[1:2], -v[93:94]
	v_fma_f64 v[89:90], v[91:92], v[125:126], v[89:90]
	ds_read2_b64 v[91:94], v0 offset0:112 offset1:113
	v_add_f64 v[3:4], v[3:4], -v[89:90]
	s_waitcnt lgkmcnt(0)
	v_mul_f64 v[89:90], v[93:94], v[99:100]
	v_fma_f64 v[89:90], v[91:92], v[125:126], -v[89:90]
	v_mul_f64 v[91:92], v[91:92], v[99:100]
	buffer_store_dword v97, off, s[24:27], 0 offset:368 ; 4-byte Folded Spill
	s_nop 0
	buffer_store_dword v98, off, s[24:27], 0 offset:372 ; 4-byte Folded Spill
	buffer_store_dword v99, off, s[24:27], 0 offset:376 ; 4-byte Folded Spill
	;; [unrolled: 1-line block ×3, first 2 shown]
	v_add_f64 v[121:122], v[121:122], -v[89:90]
	v_fma_f64 v[91:92], v[93:94], v[125:126], v[91:92]
	v_add_f64 v[123:124], v[123:124], -v[91:92]
.LBB112_209:
	s_or_b64 exec, exec, s[0:1]
	s_waitcnt vmcnt(0)
	s_barrier
	buffer_load_dword v57, off, s[24:27], 0 offset:352 ; 4-byte Folded Reload
	buffer_load_dword v58, off, s[24:27], 0 offset:356 ; 4-byte Folded Reload
	;; [unrolled: 1-line block ×4, first 2 shown]
	v_lshl_add_u32 v89, v96, 4, v0
	s_cmp_lt_i32 s3, 12
	s_waitcnt vmcnt(0)
	ds_write2_b64 v89, v[57:58], v[59:60] offset1:1
	s_waitcnt lgkmcnt(0)
	s_barrier
	ds_read2_b64 v[117:120], v0 offset0:20 offset1:21
	v_mov_b32_e32 v89, 10
	s_cbranch_scc1 .LBB112_212
; %bb.210:
	v_add_u32_e32 v90, 0xb0, v0
	s_mov_b32 s0, 11
	v_mov_b32_e32 v89, 10
.LBB112_211:                            ; =>This Inner Loop Header: Depth=1
	s_waitcnt lgkmcnt(0)
	v_cmp_gt_f64_e32 vcc, 0, v[117:118]
	v_xor_b32_e32 v97, 0x80000000, v118
	ds_read2_b64 v[91:94], v90 offset1:1
	v_xor_b32_e32 v99, 0x80000000, v120
	v_add_u32_e32 v90, 16, v90
	s_waitcnt lgkmcnt(0)
	v_xor_b32_e32 v101, 0x80000000, v94
	v_cndmask_b32_e32 v98, v118, v97, vcc
	v_cmp_gt_f64_e32 vcc, 0, v[119:120]
	v_mov_b32_e32 v97, v117
	v_cndmask_b32_e32 v100, v120, v99, vcc
	v_cmp_gt_f64_e32 vcc, 0, v[91:92]
	v_mov_b32_e32 v99, v119
	v_add_f64 v[97:98], v[97:98], v[99:100]
	v_xor_b32_e32 v99, 0x80000000, v92
	v_cndmask_b32_e32 v100, v92, v99, vcc
	v_cmp_gt_f64_e32 vcc, 0, v[93:94]
	v_mov_b32_e32 v99, v91
	v_cndmask_b32_e32 v102, v94, v101, vcc
	v_mov_b32_e32 v101, v93
	v_add_f64 v[99:100], v[99:100], v[101:102]
	v_cmp_lt_f64_e32 vcc, v[97:98], v[99:100]
	v_cndmask_b32_e32 v117, v117, v91, vcc
	v_mov_b32_e32 v91, s0
	s_add_i32 s0, s0, 1
	v_cndmask_b32_e32 v118, v118, v92, vcc
	v_cndmask_b32_e32 v120, v120, v94, vcc
	;; [unrolled: 1-line block ×4, first 2 shown]
	s_cmp_lg_u32 s3, s0
	s_cbranch_scc1 .LBB112_211
.LBB112_212:
	s_waitcnt lgkmcnt(0)
	v_cmp_eq_f64_e32 vcc, 0, v[117:118]
	v_cmp_eq_f64_e64 s[0:1], 0, v[119:120]
	s_and_b64 s[0:1], vcc, s[0:1]
	s_and_saveexec_b64 s[18:19], s[0:1]
	s_xor_b64 s[0:1], exec, s[18:19]
; %bb.213:
	v_cmp_ne_u32_e32 vcc, 0, v95
	v_cndmask_b32_e32 v95, 11, v95, vcc
; %bb.214:
	s_andn2_saveexec_b64 s[0:1], s[0:1]
	s_cbranch_execz .LBB112_220
; %bb.215:
	v_cmp_ngt_f64_e64 s[18:19], |v[117:118]|, |v[119:120]|
	s_and_saveexec_b64 s[20:21], s[18:19]
	s_xor_b64 s[18:19], exec, s[20:21]
	s_cbranch_execz .LBB112_217
; %bb.216:
	v_div_scale_f64 v[90:91], s[20:21], v[119:120], v[119:120], v[117:118]
	v_rcp_f64_e32 v[92:93], v[90:91]
	v_fma_f64 v[97:98], -v[90:91], v[92:93], 1.0
	v_fma_f64 v[92:93], v[92:93], v[97:98], v[92:93]
	v_div_scale_f64 v[97:98], vcc, v[117:118], v[119:120], v[117:118]
	v_fma_f64 v[99:100], -v[90:91], v[92:93], 1.0
	v_fma_f64 v[92:93], v[92:93], v[99:100], v[92:93]
	v_mul_f64 v[99:100], v[97:98], v[92:93]
	v_fma_f64 v[90:91], -v[90:91], v[99:100], v[97:98]
	v_div_fmas_f64 v[90:91], v[90:91], v[92:93], v[99:100]
	v_div_fixup_f64 v[90:91], v[90:91], v[119:120], v[117:118]
	v_fma_f64 v[92:93], v[117:118], v[90:91], v[119:120]
	v_div_scale_f64 v[97:98], s[20:21], v[92:93], v[92:93], 1.0
	v_div_scale_f64 v[103:104], vcc, 1.0, v[92:93], 1.0
	v_rcp_f64_e32 v[99:100], v[97:98]
	v_fma_f64 v[101:102], -v[97:98], v[99:100], 1.0
	v_fma_f64 v[99:100], v[99:100], v[101:102], v[99:100]
	v_fma_f64 v[101:102], -v[97:98], v[99:100], 1.0
	v_fma_f64 v[99:100], v[99:100], v[101:102], v[99:100]
	v_mul_f64 v[101:102], v[103:104], v[99:100]
	v_fma_f64 v[97:98], -v[97:98], v[101:102], v[103:104]
	v_div_fmas_f64 v[97:98], v[97:98], v[99:100], v[101:102]
	v_div_fixup_f64 v[119:120], v[97:98], v[92:93], 1.0
	v_mul_f64 v[117:118], v[90:91], v[119:120]
	v_xor_b32_e32 v120, 0x80000000, v120
.LBB112_217:
	s_andn2_saveexec_b64 s[18:19], s[18:19]
	s_cbranch_execz .LBB112_219
; %bb.218:
	v_div_scale_f64 v[90:91], s[20:21], v[117:118], v[117:118], v[119:120]
	v_rcp_f64_e32 v[92:93], v[90:91]
	v_fma_f64 v[97:98], -v[90:91], v[92:93], 1.0
	v_fma_f64 v[92:93], v[92:93], v[97:98], v[92:93]
	v_div_scale_f64 v[97:98], vcc, v[119:120], v[117:118], v[119:120]
	v_fma_f64 v[99:100], -v[90:91], v[92:93], 1.0
	v_fma_f64 v[92:93], v[92:93], v[99:100], v[92:93]
	v_mul_f64 v[99:100], v[97:98], v[92:93]
	v_fma_f64 v[90:91], -v[90:91], v[99:100], v[97:98]
	v_div_fmas_f64 v[90:91], v[90:91], v[92:93], v[99:100]
	v_div_fixup_f64 v[90:91], v[90:91], v[117:118], v[119:120]
	v_fma_f64 v[92:93], v[119:120], v[90:91], v[117:118]
	v_div_scale_f64 v[97:98], s[20:21], v[92:93], v[92:93], 1.0
	v_div_scale_f64 v[103:104], vcc, 1.0, v[92:93], 1.0
	v_rcp_f64_e32 v[99:100], v[97:98]
	v_fma_f64 v[101:102], -v[97:98], v[99:100], 1.0
	v_fma_f64 v[99:100], v[99:100], v[101:102], v[99:100]
	v_fma_f64 v[101:102], -v[97:98], v[99:100], 1.0
	v_fma_f64 v[99:100], v[99:100], v[101:102], v[99:100]
	v_mul_f64 v[101:102], v[103:104], v[99:100]
	v_fma_f64 v[97:98], -v[97:98], v[101:102], v[103:104]
	v_div_fmas_f64 v[97:98], v[97:98], v[99:100], v[101:102]
	v_div_fixup_f64 v[117:118], v[97:98], v[92:93], 1.0
	v_mul_f64 v[119:120], v[90:91], -v[117:118]
.LBB112_219:
	s_or_b64 exec, exec, s[18:19]
.LBB112_220:
	s_or_b64 exec, exec, s[0:1]
	v_cmp_ne_u32_e32 vcc, v96, v89
	s_and_saveexec_b64 s[0:1], vcc
	s_xor_b64 s[0:1], exec, s[0:1]
	s_cbranch_execz .LBB112_226
; %bb.221:
	v_cmp_eq_u32_e32 vcc, 10, v96
	s_and_saveexec_b64 s[18:19], vcc
	s_cbranch_execz .LBB112_225
; %bb.222:
	v_cmp_ne_u32_e32 vcc, 10, v89
	s_xor_b64 s[20:21], s[6:7], -1
	s_and_b64 s[22:23], s[20:21], vcc
	s_and_saveexec_b64 s[20:21], s[22:23]
	s_cbranch_execz .LBB112_224
; %bb.223:
	v_mov_b32_e32 v57, v81
	v_mov_b32_e32 v58, v82
	;; [unrolled: 1-line block ×4, first 2 shown]
	buffer_load_dword v81, off, s[24:27], 0 offset:464 ; 4-byte Folded Reload
	buffer_load_dword v82, off, s[24:27], 0 offset:468 ; 4-byte Folded Reload
	v_ashrrev_i32_e32 v90, 31, v89
	v_lshlrev_b64 v[90:91], 2, v[89:90]
	s_waitcnt vmcnt(1)
	v_add_co_u32_e32 v90, vcc, v81, v90
	s_waitcnt vmcnt(0)
	v_addc_co_u32_e32 v91, vcc, v82, v91, vcc
	global_load_dword v92, v[90:91], off
	global_load_dword v93, v[81:82], off offset:40
	s_waitcnt vmcnt(1)
	global_store_dword v[81:82], v92, off offset:40
	v_mov_b32_e32 v84, v60
	v_mov_b32_e32 v83, v59
	;; [unrolled: 1-line block ×4, first 2 shown]
	s_waitcnt vmcnt(1)
	global_store_dword v[90:91], v93, off
.LBB112_224:
	s_or_b64 exec, exec, s[20:21]
	v_mov_b32_e32 v96, v89
	v_mov_b32_e32 v127, v89
.LBB112_225:
	s_or_b64 exec, exec, s[18:19]
.LBB112_226:
	s_andn2_saveexec_b64 s[0:1], s[0:1]
	s_cbranch_execz .LBB112_228
; %bb.227:
	buffer_load_dword v57, off, s[24:27], 0 offset:336 ; 4-byte Folded Reload
	buffer_load_dword v58, off, s[24:27], 0 offset:340 ; 4-byte Folded Reload
	;; [unrolled: 1-line block ×4, first 2 shown]
	v_mov_b32_e32 v96, 10
	s_waitcnt vmcnt(0)
	ds_write2_b64 v0, v[57:58], v[59:60] offset0:22 offset1:23
	buffer_load_dword v57, off, s[24:27], 0 offset:320 ; 4-byte Folded Reload
	buffer_load_dword v58, off, s[24:27], 0 offset:324 ; 4-byte Folded Reload
	buffer_load_dword v59, off, s[24:27], 0 offset:328 ; 4-byte Folded Reload
	buffer_load_dword v60, off, s[24:27], 0 offset:332 ; 4-byte Folded Reload
	s_waitcnt vmcnt(0)
	ds_write2_b64 v0, v[57:58], v[59:60] offset0:24 offset1:25
	buffer_load_dword v57, off, s[24:27], 0 offset:304 ; 4-byte Folded Reload
	buffer_load_dword v58, off, s[24:27], 0 offset:308 ; 4-byte Folded Reload
	buffer_load_dword v59, off, s[24:27], 0 offset:312 ; 4-byte Folded Reload
	buffer_load_dword v60, off, s[24:27], 0 offset:316 ; 4-byte Folded Reload
	;; [unrolled: 6-line block ×20, first 2 shown]
	s_waitcnt vmcnt(0)
	ds_write2_b64 v0, v[57:58], v[59:60] offset0:62 offset1:63
	ds_write2_b64 v0, v[81:82], v[83:84] offset0:64 offset1:65
	;; [unrolled: 1-line block ×10, first 2 shown]
	buffer_load_dword v57, off, s[24:27], 0 ; 4-byte Folded Reload
	buffer_load_dword v58, off, s[24:27], 0 offset:4 ; 4-byte Folded Reload
	buffer_load_dword v59, off, s[24:27], 0 offset:8 ; 4-byte Folded Reload
	;; [unrolled: 1-line block ×3, first 2 shown]
	s_waitcnt vmcnt(0)
	ds_write2_b64 v0, v[57:58], v[59:60] offset0:82 offset1:83
	ds_write2_b64 v0, v[53:54], v[55:56] offset0:84 offset1:85
	;; [unrolled: 1-line block ×16, first 2 shown]
.LBB112_228:
	s_or_b64 exec, exec, s[0:1]
	v_cmp_lt_i32_e32 vcc, 10, v96
	s_waitcnt vmcnt(0) lgkmcnt(0)
	s_barrier
	s_and_saveexec_b64 s[0:1], vcc
	s_cbranch_execz .LBB112_230
; %bb.229:
	buffer_load_dword v97, off, s[24:27], 0 offset:352 ; 4-byte Folded Reload
	buffer_load_dword v98, off, s[24:27], 0 offset:356 ; 4-byte Folded Reload
	;; [unrolled: 1-line block ×4, first 2 shown]
	s_waitcnt vmcnt(0)
	v_mul_f64 v[89:90], v[119:120], v[99:100]
	v_fma_f64 v[125:126], v[117:118], v[97:98], -v[89:90]
	v_mul_f64 v[89:90], v[117:118], v[99:100]
	v_fma_f64 v[99:100], v[119:120], v[97:98], v[89:90]
	ds_read2_b64 v[89:92], v0 offset0:22 offset1:23
	buffer_load_dword v57, off, s[24:27], 0 offset:336 ; 4-byte Folded Reload
	buffer_load_dword v58, off, s[24:27], 0 offset:340 ; 4-byte Folded Reload
	;; [unrolled: 1-line block ×4, first 2 shown]
	v_mov_b32_e32 v97, v125
	v_mov_b32_e32 v98, v126
	s_waitcnt lgkmcnt(0)
	v_mul_f64 v[93:94], v[91:92], v[99:100]
	v_fma_f64 v[93:94], v[89:90], v[125:126], -v[93:94]
	v_mul_f64 v[89:90], v[89:90], v[99:100]
	v_fma_f64 v[89:90], v[91:92], v[125:126], v[89:90]
	s_waitcnt vmcnt(2)
	v_add_f64 v[57:58], v[57:58], -v[93:94]
	s_waitcnt vmcnt(0)
	v_add_f64 v[59:60], v[59:60], -v[89:90]
	buffer_store_dword v57, off, s[24:27], 0 offset:336 ; 4-byte Folded Spill
	s_nop 0
	buffer_store_dword v58, off, s[24:27], 0 offset:340 ; 4-byte Folded Spill
	buffer_store_dword v59, off, s[24:27], 0 offset:344 ; 4-byte Folded Spill
	buffer_store_dword v60, off, s[24:27], 0 offset:348 ; 4-byte Folded Spill
	ds_read2_b64 v[89:92], v0 offset0:24 offset1:25
	buffer_load_dword v57, off, s[24:27], 0 offset:320 ; 4-byte Folded Reload
	buffer_load_dword v58, off, s[24:27], 0 offset:324 ; 4-byte Folded Reload
	buffer_load_dword v59, off, s[24:27], 0 offset:328 ; 4-byte Folded Reload
	buffer_load_dword v60, off, s[24:27], 0 offset:332 ; 4-byte Folded Reload
	s_waitcnt lgkmcnt(0)
	v_mul_f64 v[93:94], v[91:92], v[99:100]
	v_fma_f64 v[93:94], v[89:90], v[125:126], -v[93:94]
	v_mul_f64 v[89:90], v[89:90], v[99:100]
	v_fma_f64 v[89:90], v[91:92], v[125:126], v[89:90]
	s_waitcnt vmcnt(2)
	v_add_f64 v[57:58], v[57:58], -v[93:94]
	s_waitcnt vmcnt(0)
	v_add_f64 v[59:60], v[59:60], -v[89:90]
	buffer_store_dword v57, off, s[24:27], 0 offset:320 ; 4-byte Folded Spill
	s_nop 0
	buffer_store_dword v58, off, s[24:27], 0 offset:324 ; 4-byte Folded Spill
	buffer_store_dword v59, off, s[24:27], 0 offset:328 ; 4-byte Folded Spill
	buffer_store_dword v60, off, s[24:27], 0 offset:332 ; 4-byte Folded Spill
	ds_read2_b64 v[89:92], v0 offset0:26 offset1:27
	buffer_load_dword v57, off, s[24:27], 0 offset:304 ; 4-byte Folded Reload
	buffer_load_dword v58, off, s[24:27], 0 offset:308 ; 4-byte Folded Reload
	buffer_load_dword v59, off, s[24:27], 0 offset:312 ; 4-byte Folded Reload
	buffer_load_dword v60, off, s[24:27], 0 offset:316 ; 4-byte Folded Reload
	;; [unrolled: 19-line block ×20, first 2 shown]
	s_waitcnt lgkmcnt(0)
	v_mul_f64 v[93:94], v[91:92], v[99:100]
	v_fma_f64 v[93:94], v[89:90], v[125:126], -v[93:94]
	v_mul_f64 v[89:90], v[89:90], v[99:100]
	v_fma_f64 v[89:90], v[91:92], v[125:126], v[89:90]
	s_waitcnt vmcnt(2)
	v_add_f64 v[57:58], v[57:58], -v[93:94]
	s_waitcnt vmcnt(0)
	v_add_f64 v[59:60], v[59:60], -v[89:90]
	buffer_store_dword v57, off, s[24:27], 0 offset:16 ; 4-byte Folded Spill
	s_nop 0
	buffer_store_dword v58, off, s[24:27], 0 offset:20 ; 4-byte Folded Spill
	buffer_store_dword v59, off, s[24:27], 0 offset:24 ; 4-byte Folded Spill
	;; [unrolled: 1-line block ×3, first 2 shown]
	ds_read2_b64 v[89:92], v0 offset0:64 offset1:65
	s_waitcnt lgkmcnt(0)
	v_mul_f64 v[93:94], v[91:92], v[99:100]
	v_fma_f64 v[93:94], v[89:90], v[125:126], -v[93:94]
	v_mul_f64 v[89:90], v[89:90], v[99:100]
	v_add_f64 v[81:82], v[81:82], -v[93:94]
	v_fma_f64 v[89:90], v[91:92], v[125:126], v[89:90]
	v_add_f64 v[83:84], v[83:84], -v[89:90]
	ds_read2_b64 v[89:92], v0 offset0:66 offset1:67
	s_waitcnt lgkmcnt(0)
	v_mul_f64 v[93:94], v[91:92], v[99:100]
	v_fma_f64 v[93:94], v[89:90], v[125:126], -v[93:94]
	v_mul_f64 v[89:90], v[89:90], v[99:100]
	v_add_f64 v[85:86], v[85:86], -v[93:94]
	v_fma_f64 v[89:90], v[91:92], v[125:126], v[89:90]
	v_add_f64 v[87:88], v[87:88], -v[89:90]
	;; [unrolled: 8-line block ×9, first 2 shown]
	ds_read2_b64 v[89:92], v0 offset0:82 offset1:83
	buffer_load_dword v57, off, s[24:27], 0 ; 4-byte Folded Reload
	buffer_load_dword v58, off, s[24:27], 0 offset:4 ; 4-byte Folded Reload
	buffer_load_dword v59, off, s[24:27], 0 offset:8 ; 4-byte Folded Reload
	;; [unrolled: 1-line block ×3, first 2 shown]
	s_waitcnt lgkmcnt(0)
	v_mul_f64 v[93:94], v[91:92], v[99:100]
	v_fma_f64 v[93:94], v[89:90], v[125:126], -v[93:94]
	v_mul_f64 v[89:90], v[89:90], v[99:100]
	v_fma_f64 v[89:90], v[91:92], v[125:126], v[89:90]
	s_waitcnt vmcnt(2)
	v_add_f64 v[57:58], v[57:58], -v[93:94]
	s_waitcnt vmcnt(0)
	v_add_f64 v[59:60], v[59:60], -v[89:90]
	buffer_store_dword v57, off, s[24:27], 0 ; 4-byte Folded Spill
	s_nop 0
	buffer_store_dword v58, off, s[24:27], 0 offset:4 ; 4-byte Folded Spill
	buffer_store_dword v59, off, s[24:27], 0 offset:8 ; 4-byte Folded Spill
	;; [unrolled: 1-line block ×3, first 2 shown]
	ds_read2_b64 v[89:92], v0 offset0:84 offset1:85
	s_waitcnt lgkmcnt(0)
	v_mul_f64 v[93:94], v[91:92], v[99:100]
	v_fma_f64 v[93:94], v[89:90], v[125:126], -v[93:94]
	v_mul_f64 v[89:90], v[89:90], v[99:100]
	v_add_f64 v[53:54], v[53:54], -v[93:94]
	v_fma_f64 v[89:90], v[91:92], v[125:126], v[89:90]
	v_add_f64 v[55:56], v[55:56], -v[89:90]
	ds_read2_b64 v[89:92], v0 offset0:86 offset1:87
	s_waitcnt lgkmcnt(0)
	v_mul_f64 v[93:94], v[91:92], v[99:100]
	v_fma_f64 v[93:94], v[89:90], v[125:126], -v[93:94]
	v_mul_f64 v[89:90], v[89:90], v[99:100]
	v_add_f64 v[49:50], v[49:50], -v[93:94]
	v_fma_f64 v[89:90], v[91:92], v[125:126], v[89:90]
	v_add_f64 v[51:52], v[51:52], -v[89:90]
	ds_read2_b64 v[89:92], v0 offset0:88 offset1:89
	s_waitcnt lgkmcnt(0)
	v_mul_f64 v[93:94], v[91:92], v[99:100]
	v_fma_f64 v[93:94], v[89:90], v[125:126], -v[93:94]
	v_mul_f64 v[89:90], v[89:90], v[99:100]
	v_add_f64 v[45:46], v[45:46], -v[93:94]
	v_fma_f64 v[89:90], v[91:92], v[125:126], v[89:90]
	v_add_f64 v[47:48], v[47:48], -v[89:90]
	ds_read2_b64 v[89:92], v0 offset0:90 offset1:91
	s_waitcnt lgkmcnt(0)
	v_mul_f64 v[93:94], v[91:92], v[99:100]
	v_fma_f64 v[93:94], v[89:90], v[125:126], -v[93:94]
	v_mul_f64 v[89:90], v[89:90], v[99:100]
	v_add_f64 v[41:42], v[41:42], -v[93:94]
	v_fma_f64 v[89:90], v[91:92], v[125:126], v[89:90]
	v_add_f64 v[43:44], v[43:44], -v[89:90]
	ds_read2_b64 v[89:92], v0 offset0:92 offset1:93
	s_waitcnt lgkmcnt(0)
	v_mul_f64 v[93:94], v[91:92], v[99:100]
	v_fma_f64 v[93:94], v[89:90], v[125:126], -v[93:94]
	v_mul_f64 v[89:90], v[89:90], v[99:100]
	v_add_f64 v[37:38], v[37:38], -v[93:94]
	v_fma_f64 v[89:90], v[91:92], v[125:126], v[89:90]
	v_add_f64 v[39:40], v[39:40], -v[89:90]
	ds_read2_b64 v[89:92], v0 offset0:94 offset1:95
	s_waitcnt lgkmcnt(0)
	v_mul_f64 v[93:94], v[91:92], v[99:100]
	v_fma_f64 v[93:94], v[89:90], v[125:126], -v[93:94]
	v_mul_f64 v[89:90], v[89:90], v[99:100]
	v_add_f64 v[33:34], v[33:34], -v[93:94]
	v_fma_f64 v[89:90], v[91:92], v[125:126], v[89:90]
	v_add_f64 v[35:36], v[35:36], -v[89:90]
	ds_read2_b64 v[89:92], v0 offset0:96 offset1:97
	s_waitcnt lgkmcnt(0)
	v_mul_f64 v[93:94], v[91:92], v[99:100]
	v_fma_f64 v[93:94], v[89:90], v[125:126], -v[93:94]
	v_mul_f64 v[89:90], v[89:90], v[99:100]
	v_add_f64 v[29:30], v[29:30], -v[93:94]
	v_fma_f64 v[89:90], v[91:92], v[125:126], v[89:90]
	v_add_f64 v[31:32], v[31:32], -v[89:90]
	ds_read2_b64 v[89:92], v0 offset0:98 offset1:99
	s_waitcnt lgkmcnt(0)
	v_mul_f64 v[93:94], v[91:92], v[99:100]
	v_fma_f64 v[93:94], v[89:90], v[125:126], -v[93:94]
	v_mul_f64 v[89:90], v[89:90], v[99:100]
	v_add_f64 v[25:26], v[25:26], -v[93:94]
	v_fma_f64 v[89:90], v[91:92], v[125:126], v[89:90]
	v_add_f64 v[27:28], v[27:28], -v[89:90]
	ds_read2_b64 v[89:92], v0 offset0:100 offset1:101
	s_waitcnt lgkmcnt(0)
	v_mul_f64 v[93:94], v[91:92], v[99:100]
	v_fma_f64 v[93:94], v[89:90], v[125:126], -v[93:94]
	v_mul_f64 v[89:90], v[89:90], v[99:100]
	v_add_f64 v[21:22], v[21:22], -v[93:94]
	v_fma_f64 v[89:90], v[91:92], v[125:126], v[89:90]
	v_add_f64 v[23:24], v[23:24], -v[89:90]
	ds_read2_b64 v[89:92], v0 offset0:102 offset1:103
	s_waitcnt lgkmcnt(0)
	v_mul_f64 v[93:94], v[91:92], v[99:100]
	v_fma_f64 v[93:94], v[89:90], v[125:126], -v[93:94]
	v_mul_f64 v[89:90], v[89:90], v[99:100]
	v_add_f64 v[17:18], v[17:18], -v[93:94]
	v_fma_f64 v[89:90], v[91:92], v[125:126], v[89:90]
	v_add_f64 v[19:20], v[19:20], -v[89:90]
	ds_read2_b64 v[89:92], v0 offset0:104 offset1:105
	s_waitcnt lgkmcnt(0)
	v_mul_f64 v[93:94], v[91:92], v[99:100]
	v_fma_f64 v[93:94], v[89:90], v[125:126], -v[93:94]
	v_mul_f64 v[89:90], v[89:90], v[99:100]
	v_add_f64 v[13:14], v[13:14], -v[93:94]
	v_fma_f64 v[89:90], v[91:92], v[125:126], v[89:90]
	v_add_f64 v[15:16], v[15:16], -v[89:90]
	ds_read2_b64 v[89:92], v0 offset0:106 offset1:107
	s_waitcnt lgkmcnt(0)
	v_mul_f64 v[93:94], v[91:92], v[99:100]
	v_fma_f64 v[93:94], v[89:90], v[125:126], -v[93:94]
	v_mul_f64 v[89:90], v[89:90], v[99:100]
	v_add_f64 v[9:10], v[9:10], -v[93:94]
	v_fma_f64 v[89:90], v[91:92], v[125:126], v[89:90]
	v_add_f64 v[11:12], v[11:12], -v[89:90]
	ds_read2_b64 v[89:92], v0 offset0:108 offset1:109
	s_waitcnt lgkmcnt(0)
	v_mul_f64 v[93:94], v[91:92], v[99:100]
	v_fma_f64 v[93:94], v[89:90], v[125:126], -v[93:94]
	v_mul_f64 v[89:90], v[89:90], v[99:100]
	v_add_f64 v[5:6], v[5:6], -v[93:94]
	v_fma_f64 v[89:90], v[91:92], v[125:126], v[89:90]
	v_add_f64 v[7:8], v[7:8], -v[89:90]
	ds_read2_b64 v[89:92], v0 offset0:110 offset1:111
	s_waitcnt lgkmcnt(0)
	v_mul_f64 v[93:94], v[91:92], v[99:100]
	v_fma_f64 v[93:94], v[89:90], v[125:126], -v[93:94]
	v_mul_f64 v[89:90], v[89:90], v[99:100]
	v_add_f64 v[1:2], v[1:2], -v[93:94]
	v_fma_f64 v[89:90], v[91:92], v[125:126], v[89:90]
	ds_read2_b64 v[91:94], v0 offset0:112 offset1:113
	v_add_f64 v[3:4], v[3:4], -v[89:90]
	s_waitcnt lgkmcnt(0)
	v_mul_f64 v[89:90], v[93:94], v[99:100]
	v_fma_f64 v[89:90], v[91:92], v[125:126], -v[89:90]
	v_mul_f64 v[91:92], v[91:92], v[99:100]
	buffer_store_dword v97, off, s[24:27], 0 offset:352 ; 4-byte Folded Spill
	s_nop 0
	buffer_store_dword v98, off, s[24:27], 0 offset:356 ; 4-byte Folded Spill
	buffer_store_dword v99, off, s[24:27], 0 offset:360 ; 4-byte Folded Spill
	buffer_store_dword v100, off, s[24:27], 0 offset:364 ; 4-byte Folded Spill
	v_add_f64 v[121:122], v[121:122], -v[89:90]
	v_fma_f64 v[91:92], v[93:94], v[125:126], v[91:92]
	v_add_f64 v[123:124], v[123:124], -v[91:92]
.LBB112_230:
	s_or_b64 exec, exec, s[0:1]
	s_waitcnt vmcnt(0)
	s_barrier
	buffer_load_dword v57, off, s[24:27], 0 offset:336 ; 4-byte Folded Reload
	buffer_load_dword v58, off, s[24:27], 0 offset:340 ; 4-byte Folded Reload
	;; [unrolled: 1-line block ×4, first 2 shown]
	v_lshl_add_u32 v89, v96, 4, v0
	s_cmp_lt_i32 s3, 13
	s_waitcnt vmcnt(0)
	ds_write2_b64 v89, v[57:58], v[59:60] offset1:1
	s_waitcnt lgkmcnt(0)
	s_barrier
	ds_read2_b64 v[117:120], v0 offset0:22 offset1:23
	v_mov_b32_e32 v89, 11
	s_cbranch_scc1 .LBB112_233
; %bb.231:
	v_add_u32_e32 v90, 0xc0, v0
	s_mov_b32 s0, 12
	v_mov_b32_e32 v89, 11
.LBB112_232:                            ; =>This Inner Loop Header: Depth=1
	s_waitcnt lgkmcnt(0)
	v_cmp_gt_f64_e32 vcc, 0, v[117:118]
	v_xor_b32_e32 v97, 0x80000000, v118
	ds_read2_b64 v[91:94], v90 offset1:1
	v_xor_b32_e32 v99, 0x80000000, v120
	v_add_u32_e32 v90, 16, v90
	s_waitcnt lgkmcnt(0)
	v_xor_b32_e32 v101, 0x80000000, v94
	v_cndmask_b32_e32 v98, v118, v97, vcc
	v_cmp_gt_f64_e32 vcc, 0, v[119:120]
	v_mov_b32_e32 v97, v117
	v_cndmask_b32_e32 v100, v120, v99, vcc
	v_cmp_gt_f64_e32 vcc, 0, v[91:92]
	v_mov_b32_e32 v99, v119
	v_add_f64 v[97:98], v[97:98], v[99:100]
	v_xor_b32_e32 v99, 0x80000000, v92
	v_cndmask_b32_e32 v100, v92, v99, vcc
	v_cmp_gt_f64_e32 vcc, 0, v[93:94]
	v_mov_b32_e32 v99, v91
	v_cndmask_b32_e32 v102, v94, v101, vcc
	v_mov_b32_e32 v101, v93
	v_add_f64 v[99:100], v[99:100], v[101:102]
	v_cmp_lt_f64_e32 vcc, v[97:98], v[99:100]
	v_cndmask_b32_e32 v117, v117, v91, vcc
	v_mov_b32_e32 v91, s0
	s_add_i32 s0, s0, 1
	v_cndmask_b32_e32 v118, v118, v92, vcc
	v_cndmask_b32_e32 v120, v120, v94, vcc
	;; [unrolled: 1-line block ×4, first 2 shown]
	s_cmp_lg_u32 s3, s0
	s_cbranch_scc1 .LBB112_232
.LBB112_233:
	s_waitcnt lgkmcnt(0)
	v_cmp_eq_f64_e32 vcc, 0, v[117:118]
	v_cmp_eq_f64_e64 s[0:1], 0, v[119:120]
	s_and_b64 s[0:1], vcc, s[0:1]
	s_and_saveexec_b64 s[18:19], s[0:1]
	s_xor_b64 s[0:1], exec, s[18:19]
; %bb.234:
	v_cmp_ne_u32_e32 vcc, 0, v95
	v_cndmask_b32_e32 v95, 12, v95, vcc
; %bb.235:
	s_andn2_saveexec_b64 s[0:1], s[0:1]
	s_cbranch_execz .LBB112_241
; %bb.236:
	v_cmp_ngt_f64_e64 s[18:19], |v[117:118]|, |v[119:120]|
	s_and_saveexec_b64 s[20:21], s[18:19]
	s_xor_b64 s[18:19], exec, s[20:21]
	s_cbranch_execz .LBB112_238
; %bb.237:
	v_div_scale_f64 v[90:91], s[20:21], v[119:120], v[119:120], v[117:118]
	v_rcp_f64_e32 v[92:93], v[90:91]
	v_fma_f64 v[97:98], -v[90:91], v[92:93], 1.0
	v_fma_f64 v[92:93], v[92:93], v[97:98], v[92:93]
	v_div_scale_f64 v[97:98], vcc, v[117:118], v[119:120], v[117:118]
	v_fma_f64 v[99:100], -v[90:91], v[92:93], 1.0
	v_fma_f64 v[92:93], v[92:93], v[99:100], v[92:93]
	v_mul_f64 v[99:100], v[97:98], v[92:93]
	v_fma_f64 v[90:91], -v[90:91], v[99:100], v[97:98]
	v_div_fmas_f64 v[90:91], v[90:91], v[92:93], v[99:100]
	v_div_fixup_f64 v[90:91], v[90:91], v[119:120], v[117:118]
	v_fma_f64 v[92:93], v[117:118], v[90:91], v[119:120]
	v_div_scale_f64 v[97:98], s[20:21], v[92:93], v[92:93], 1.0
	v_div_scale_f64 v[103:104], vcc, 1.0, v[92:93], 1.0
	v_rcp_f64_e32 v[99:100], v[97:98]
	v_fma_f64 v[101:102], -v[97:98], v[99:100], 1.0
	v_fma_f64 v[99:100], v[99:100], v[101:102], v[99:100]
	v_fma_f64 v[101:102], -v[97:98], v[99:100], 1.0
	v_fma_f64 v[99:100], v[99:100], v[101:102], v[99:100]
	v_mul_f64 v[101:102], v[103:104], v[99:100]
	v_fma_f64 v[97:98], -v[97:98], v[101:102], v[103:104]
	v_div_fmas_f64 v[97:98], v[97:98], v[99:100], v[101:102]
	v_div_fixup_f64 v[119:120], v[97:98], v[92:93], 1.0
	v_mul_f64 v[117:118], v[90:91], v[119:120]
	v_xor_b32_e32 v120, 0x80000000, v120
.LBB112_238:
	s_andn2_saveexec_b64 s[18:19], s[18:19]
	s_cbranch_execz .LBB112_240
; %bb.239:
	v_div_scale_f64 v[90:91], s[20:21], v[117:118], v[117:118], v[119:120]
	v_rcp_f64_e32 v[92:93], v[90:91]
	v_fma_f64 v[97:98], -v[90:91], v[92:93], 1.0
	v_fma_f64 v[92:93], v[92:93], v[97:98], v[92:93]
	v_div_scale_f64 v[97:98], vcc, v[119:120], v[117:118], v[119:120]
	v_fma_f64 v[99:100], -v[90:91], v[92:93], 1.0
	v_fma_f64 v[92:93], v[92:93], v[99:100], v[92:93]
	v_mul_f64 v[99:100], v[97:98], v[92:93]
	v_fma_f64 v[90:91], -v[90:91], v[99:100], v[97:98]
	v_div_fmas_f64 v[90:91], v[90:91], v[92:93], v[99:100]
	v_div_fixup_f64 v[90:91], v[90:91], v[117:118], v[119:120]
	v_fma_f64 v[92:93], v[119:120], v[90:91], v[117:118]
	v_div_scale_f64 v[97:98], s[20:21], v[92:93], v[92:93], 1.0
	v_div_scale_f64 v[103:104], vcc, 1.0, v[92:93], 1.0
	v_rcp_f64_e32 v[99:100], v[97:98]
	v_fma_f64 v[101:102], -v[97:98], v[99:100], 1.0
	v_fma_f64 v[99:100], v[99:100], v[101:102], v[99:100]
	v_fma_f64 v[101:102], -v[97:98], v[99:100], 1.0
	v_fma_f64 v[99:100], v[99:100], v[101:102], v[99:100]
	v_mul_f64 v[101:102], v[103:104], v[99:100]
	v_fma_f64 v[97:98], -v[97:98], v[101:102], v[103:104]
	v_div_fmas_f64 v[97:98], v[97:98], v[99:100], v[101:102]
	v_div_fixup_f64 v[117:118], v[97:98], v[92:93], 1.0
	v_mul_f64 v[119:120], v[90:91], -v[117:118]
.LBB112_240:
	s_or_b64 exec, exec, s[18:19]
.LBB112_241:
	s_or_b64 exec, exec, s[0:1]
	v_cmp_ne_u32_e32 vcc, v96, v89
	s_and_saveexec_b64 s[0:1], vcc
	s_xor_b64 s[0:1], exec, s[0:1]
	s_cbranch_execz .LBB112_247
; %bb.242:
	v_cmp_eq_u32_e32 vcc, 11, v96
	s_and_saveexec_b64 s[18:19], vcc
	s_cbranch_execz .LBB112_246
; %bb.243:
	v_cmp_ne_u32_e32 vcc, 11, v89
	s_xor_b64 s[20:21], s[6:7], -1
	s_and_b64 s[22:23], s[20:21], vcc
	s_and_saveexec_b64 s[20:21], s[22:23]
	s_cbranch_execz .LBB112_245
; %bb.244:
	v_mov_b32_e32 v57, v81
	v_mov_b32_e32 v58, v82
	;; [unrolled: 1-line block ×4, first 2 shown]
	buffer_load_dword v81, off, s[24:27], 0 offset:464 ; 4-byte Folded Reload
	buffer_load_dword v82, off, s[24:27], 0 offset:468 ; 4-byte Folded Reload
	v_ashrrev_i32_e32 v90, 31, v89
	v_lshlrev_b64 v[90:91], 2, v[89:90]
	s_waitcnt vmcnt(1)
	v_add_co_u32_e32 v90, vcc, v81, v90
	s_waitcnt vmcnt(0)
	v_addc_co_u32_e32 v91, vcc, v82, v91, vcc
	global_load_dword v92, v[90:91], off
	global_load_dword v93, v[81:82], off offset:44
	s_waitcnt vmcnt(1)
	global_store_dword v[81:82], v92, off offset:44
	v_mov_b32_e32 v84, v60
	v_mov_b32_e32 v83, v59
	;; [unrolled: 1-line block ×4, first 2 shown]
	s_waitcnt vmcnt(1)
	global_store_dword v[90:91], v93, off
.LBB112_245:
	s_or_b64 exec, exec, s[20:21]
	v_mov_b32_e32 v96, v89
	v_mov_b32_e32 v127, v89
.LBB112_246:
	s_or_b64 exec, exec, s[18:19]
.LBB112_247:
	s_andn2_saveexec_b64 s[0:1], s[0:1]
	s_cbranch_execz .LBB112_249
; %bb.248:
	buffer_load_dword v57, off, s[24:27], 0 offset:320 ; 4-byte Folded Reload
	buffer_load_dword v58, off, s[24:27], 0 offset:324 ; 4-byte Folded Reload
	;; [unrolled: 1-line block ×4, first 2 shown]
	v_mov_b32_e32 v96, 11
	s_waitcnt vmcnt(0)
	ds_write2_b64 v0, v[57:58], v[59:60] offset0:24 offset1:25
	buffer_load_dword v57, off, s[24:27], 0 offset:304 ; 4-byte Folded Reload
	buffer_load_dword v58, off, s[24:27], 0 offset:308 ; 4-byte Folded Reload
	buffer_load_dword v59, off, s[24:27], 0 offset:312 ; 4-byte Folded Reload
	buffer_load_dword v60, off, s[24:27], 0 offset:316 ; 4-byte Folded Reload
	s_waitcnt vmcnt(0)
	ds_write2_b64 v0, v[57:58], v[59:60] offset0:26 offset1:27
	buffer_load_dword v57, off, s[24:27], 0 offset:288 ; 4-byte Folded Reload
	buffer_load_dword v58, off, s[24:27], 0 offset:292 ; 4-byte Folded Reload
	buffer_load_dword v59, off, s[24:27], 0 offset:296 ; 4-byte Folded Reload
	buffer_load_dword v60, off, s[24:27], 0 offset:300 ; 4-byte Folded Reload
	;; [unrolled: 6-line block ×19, first 2 shown]
	s_waitcnt vmcnt(0)
	ds_write2_b64 v0, v[57:58], v[59:60] offset0:62 offset1:63
	ds_write2_b64 v0, v[81:82], v[83:84] offset0:64 offset1:65
	;; [unrolled: 1-line block ×10, first 2 shown]
	buffer_load_dword v57, off, s[24:27], 0 ; 4-byte Folded Reload
	buffer_load_dword v58, off, s[24:27], 0 offset:4 ; 4-byte Folded Reload
	buffer_load_dword v59, off, s[24:27], 0 offset:8 ; 4-byte Folded Reload
	;; [unrolled: 1-line block ×3, first 2 shown]
	s_waitcnt vmcnt(0)
	ds_write2_b64 v0, v[57:58], v[59:60] offset0:82 offset1:83
	ds_write2_b64 v0, v[53:54], v[55:56] offset0:84 offset1:85
	;; [unrolled: 1-line block ×16, first 2 shown]
.LBB112_249:
	s_or_b64 exec, exec, s[0:1]
	v_cmp_lt_i32_e32 vcc, 11, v96
	s_waitcnt vmcnt(0) lgkmcnt(0)
	s_barrier
	s_and_saveexec_b64 s[0:1], vcc
	s_cbranch_execz .LBB112_251
; %bb.250:
	buffer_load_dword v97, off, s[24:27], 0 offset:336 ; 4-byte Folded Reload
	buffer_load_dword v98, off, s[24:27], 0 offset:340 ; 4-byte Folded Reload
	;; [unrolled: 1-line block ×4, first 2 shown]
	s_waitcnt vmcnt(0)
	v_mul_f64 v[89:90], v[119:120], v[99:100]
	v_fma_f64 v[125:126], v[117:118], v[97:98], -v[89:90]
	v_mul_f64 v[89:90], v[117:118], v[99:100]
	v_fma_f64 v[99:100], v[119:120], v[97:98], v[89:90]
	ds_read2_b64 v[89:92], v0 offset0:24 offset1:25
	buffer_load_dword v57, off, s[24:27], 0 offset:320 ; 4-byte Folded Reload
	buffer_load_dword v58, off, s[24:27], 0 offset:324 ; 4-byte Folded Reload
	;; [unrolled: 1-line block ×4, first 2 shown]
	v_mov_b32_e32 v97, v125
	v_mov_b32_e32 v98, v126
	s_waitcnt lgkmcnt(0)
	v_mul_f64 v[93:94], v[91:92], v[99:100]
	v_fma_f64 v[93:94], v[89:90], v[125:126], -v[93:94]
	v_mul_f64 v[89:90], v[89:90], v[99:100]
	v_fma_f64 v[89:90], v[91:92], v[125:126], v[89:90]
	s_waitcnt vmcnt(2)
	v_add_f64 v[57:58], v[57:58], -v[93:94]
	s_waitcnt vmcnt(0)
	v_add_f64 v[59:60], v[59:60], -v[89:90]
	buffer_store_dword v57, off, s[24:27], 0 offset:320 ; 4-byte Folded Spill
	s_nop 0
	buffer_store_dword v58, off, s[24:27], 0 offset:324 ; 4-byte Folded Spill
	buffer_store_dword v59, off, s[24:27], 0 offset:328 ; 4-byte Folded Spill
	buffer_store_dword v60, off, s[24:27], 0 offset:332 ; 4-byte Folded Spill
	ds_read2_b64 v[89:92], v0 offset0:26 offset1:27
	buffer_load_dword v57, off, s[24:27], 0 offset:304 ; 4-byte Folded Reload
	buffer_load_dword v58, off, s[24:27], 0 offset:308 ; 4-byte Folded Reload
	buffer_load_dword v59, off, s[24:27], 0 offset:312 ; 4-byte Folded Reload
	buffer_load_dword v60, off, s[24:27], 0 offset:316 ; 4-byte Folded Reload
	s_waitcnt lgkmcnt(0)
	v_mul_f64 v[93:94], v[91:92], v[99:100]
	v_fma_f64 v[93:94], v[89:90], v[125:126], -v[93:94]
	v_mul_f64 v[89:90], v[89:90], v[99:100]
	v_fma_f64 v[89:90], v[91:92], v[125:126], v[89:90]
	s_waitcnt vmcnt(2)
	v_add_f64 v[57:58], v[57:58], -v[93:94]
	s_waitcnt vmcnt(0)
	v_add_f64 v[59:60], v[59:60], -v[89:90]
	buffer_store_dword v57, off, s[24:27], 0 offset:304 ; 4-byte Folded Spill
	s_nop 0
	buffer_store_dword v58, off, s[24:27], 0 offset:308 ; 4-byte Folded Spill
	buffer_store_dword v59, off, s[24:27], 0 offset:312 ; 4-byte Folded Spill
	buffer_store_dword v60, off, s[24:27], 0 offset:316 ; 4-byte Folded Spill
	ds_read2_b64 v[89:92], v0 offset0:28 offset1:29
	buffer_load_dword v57, off, s[24:27], 0 offset:288 ; 4-byte Folded Reload
	buffer_load_dword v58, off, s[24:27], 0 offset:292 ; 4-byte Folded Reload
	buffer_load_dword v59, off, s[24:27], 0 offset:296 ; 4-byte Folded Reload
	buffer_load_dword v60, off, s[24:27], 0 offset:300 ; 4-byte Folded Reload
	;; [unrolled: 19-line block ×19, first 2 shown]
	s_waitcnt lgkmcnt(0)
	v_mul_f64 v[93:94], v[91:92], v[99:100]
	v_fma_f64 v[93:94], v[89:90], v[125:126], -v[93:94]
	v_mul_f64 v[89:90], v[89:90], v[99:100]
	v_fma_f64 v[89:90], v[91:92], v[125:126], v[89:90]
	s_waitcnt vmcnt(2)
	v_add_f64 v[57:58], v[57:58], -v[93:94]
	s_waitcnt vmcnt(0)
	v_add_f64 v[59:60], v[59:60], -v[89:90]
	buffer_store_dword v57, off, s[24:27], 0 offset:16 ; 4-byte Folded Spill
	s_nop 0
	buffer_store_dword v58, off, s[24:27], 0 offset:20 ; 4-byte Folded Spill
	buffer_store_dword v59, off, s[24:27], 0 offset:24 ; 4-byte Folded Spill
	;; [unrolled: 1-line block ×3, first 2 shown]
	ds_read2_b64 v[89:92], v0 offset0:64 offset1:65
	s_waitcnt lgkmcnt(0)
	v_mul_f64 v[93:94], v[91:92], v[99:100]
	v_fma_f64 v[93:94], v[89:90], v[125:126], -v[93:94]
	v_mul_f64 v[89:90], v[89:90], v[99:100]
	v_add_f64 v[81:82], v[81:82], -v[93:94]
	v_fma_f64 v[89:90], v[91:92], v[125:126], v[89:90]
	v_add_f64 v[83:84], v[83:84], -v[89:90]
	ds_read2_b64 v[89:92], v0 offset0:66 offset1:67
	s_waitcnt lgkmcnt(0)
	v_mul_f64 v[93:94], v[91:92], v[99:100]
	v_fma_f64 v[93:94], v[89:90], v[125:126], -v[93:94]
	v_mul_f64 v[89:90], v[89:90], v[99:100]
	v_add_f64 v[85:86], v[85:86], -v[93:94]
	v_fma_f64 v[89:90], v[91:92], v[125:126], v[89:90]
	v_add_f64 v[87:88], v[87:88], -v[89:90]
	;; [unrolled: 8-line block ×9, first 2 shown]
	ds_read2_b64 v[89:92], v0 offset0:82 offset1:83
	buffer_load_dword v57, off, s[24:27], 0 ; 4-byte Folded Reload
	buffer_load_dword v58, off, s[24:27], 0 offset:4 ; 4-byte Folded Reload
	buffer_load_dword v59, off, s[24:27], 0 offset:8 ; 4-byte Folded Reload
	;; [unrolled: 1-line block ×3, first 2 shown]
	s_waitcnt lgkmcnt(0)
	v_mul_f64 v[93:94], v[91:92], v[99:100]
	v_fma_f64 v[93:94], v[89:90], v[125:126], -v[93:94]
	v_mul_f64 v[89:90], v[89:90], v[99:100]
	v_fma_f64 v[89:90], v[91:92], v[125:126], v[89:90]
	s_waitcnt vmcnt(2)
	v_add_f64 v[57:58], v[57:58], -v[93:94]
	s_waitcnt vmcnt(0)
	v_add_f64 v[59:60], v[59:60], -v[89:90]
	buffer_store_dword v57, off, s[24:27], 0 ; 4-byte Folded Spill
	s_nop 0
	buffer_store_dword v58, off, s[24:27], 0 offset:4 ; 4-byte Folded Spill
	buffer_store_dword v59, off, s[24:27], 0 offset:8 ; 4-byte Folded Spill
	;; [unrolled: 1-line block ×3, first 2 shown]
	ds_read2_b64 v[89:92], v0 offset0:84 offset1:85
	s_waitcnt lgkmcnt(0)
	v_mul_f64 v[93:94], v[91:92], v[99:100]
	v_fma_f64 v[93:94], v[89:90], v[125:126], -v[93:94]
	v_mul_f64 v[89:90], v[89:90], v[99:100]
	v_add_f64 v[53:54], v[53:54], -v[93:94]
	v_fma_f64 v[89:90], v[91:92], v[125:126], v[89:90]
	v_add_f64 v[55:56], v[55:56], -v[89:90]
	ds_read2_b64 v[89:92], v0 offset0:86 offset1:87
	s_waitcnt lgkmcnt(0)
	v_mul_f64 v[93:94], v[91:92], v[99:100]
	v_fma_f64 v[93:94], v[89:90], v[125:126], -v[93:94]
	v_mul_f64 v[89:90], v[89:90], v[99:100]
	v_add_f64 v[49:50], v[49:50], -v[93:94]
	v_fma_f64 v[89:90], v[91:92], v[125:126], v[89:90]
	v_add_f64 v[51:52], v[51:52], -v[89:90]
	ds_read2_b64 v[89:92], v0 offset0:88 offset1:89
	s_waitcnt lgkmcnt(0)
	v_mul_f64 v[93:94], v[91:92], v[99:100]
	v_fma_f64 v[93:94], v[89:90], v[125:126], -v[93:94]
	v_mul_f64 v[89:90], v[89:90], v[99:100]
	v_add_f64 v[45:46], v[45:46], -v[93:94]
	v_fma_f64 v[89:90], v[91:92], v[125:126], v[89:90]
	v_add_f64 v[47:48], v[47:48], -v[89:90]
	ds_read2_b64 v[89:92], v0 offset0:90 offset1:91
	s_waitcnt lgkmcnt(0)
	v_mul_f64 v[93:94], v[91:92], v[99:100]
	v_fma_f64 v[93:94], v[89:90], v[125:126], -v[93:94]
	v_mul_f64 v[89:90], v[89:90], v[99:100]
	v_add_f64 v[41:42], v[41:42], -v[93:94]
	v_fma_f64 v[89:90], v[91:92], v[125:126], v[89:90]
	v_add_f64 v[43:44], v[43:44], -v[89:90]
	ds_read2_b64 v[89:92], v0 offset0:92 offset1:93
	s_waitcnt lgkmcnt(0)
	v_mul_f64 v[93:94], v[91:92], v[99:100]
	v_fma_f64 v[93:94], v[89:90], v[125:126], -v[93:94]
	v_mul_f64 v[89:90], v[89:90], v[99:100]
	v_add_f64 v[37:38], v[37:38], -v[93:94]
	v_fma_f64 v[89:90], v[91:92], v[125:126], v[89:90]
	v_add_f64 v[39:40], v[39:40], -v[89:90]
	ds_read2_b64 v[89:92], v0 offset0:94 offset1:95
	s_waitcnt lgkmcnt(0)
	v_mul_f64 v[93:94], v[91:92], v[99:100]
	v_fma_f64 v[93:94], v[89:90], v[125:126], -v[93:94]
	v_mul_f64 v[89:90], v[89:90], v[99:100]
	v_add_f64 v[33:34], v[33:34], -v[93:94]
	v_fma_f64 v[89:90], v[91:92], v[125:126], v[89:90]
	v_add_f64 v[35:36], v[35:36], -v[89:90]
	ds_read2_b64 v[89:92], v0 offset0:96 offset1:97
	s_waitcnt lgkmcnt(0)
	v_mul_f64 v[93:94], v[91:92], v[99:100]
	v_fma_f64 v[93:94], v[89:90], v[125:126], -v[93:94]
	v_mul_f64 v[89:90], v[89:90], v[99:100]
	v_add_f64 v[29:30], v[29:30], -v[93:94]
	v_fma_f64 v[89:90], v[91:92], v[125:126], v[89:90]
	v_add_f64 v[31:32], v[31:32], -v[89:90]
	ds_read2_b64 v[89:92], v0 offset0:98 offset1:99
	s_waitcnt lgkmcnt(0)
	v_mul_f64 v[93:94], v[91:92], v[99:100]
	v_fma_f64 v[93:94], v[89:90], v[125:126], -v[93:94]
	v_mul_f64 v[89:90], v[89:90], v[99:100]
	v_add_f64 v[25:26], v[25:26], -v[93:94]
	v_fma_f64 v[89:90], v[91:92], v[125:126], v[89:90]
	v_add_f64 v[27:28], v[27:28], -v[89:90]
	ds_read2_b64 v[89:92], v0 offset0:100 offset1:101
	s_waitcnt lgkmcnt(0)
	v_mul_f64 v[93:94], v[91:92], v[99:100]
	v_fma_f64 v[93:94], v[89:90], v[125:126], -v[93:94]
	v_mul_f64 v[89:90], v[89:90], v[99:100]
	v_add_f64 v[21:22], v[21:22], -v[93:94]
	v_fma_f64 v[89:90], v[91:92], v[125:126], v[89:90]
	v_add_f64 v[23:24], v[23:24], -v[89:90]
	ds_read2_b64 v[89:92], v0 offset0:102 offset1:103
	s_waitcnt lgkmcnt(0)
	v_mul_f64 v[93:94], v[91:92], v[99:100]
	v_fma_f64 v[93:94], v[89:90], v[125:126], -v[93:94]
	v_mul_f64 v[89:90], v[89:90], v[99:100]
	v_add_f64 v[17:18], v[17:18], -v[93:94]
	v_fma_f64 v[89:90], v[91:92], v[125:126], v[89:90]
	v_add_f64 v[19:20], v[19:20], -v[89:90]
	ds_read2_b64 v[89:92], v0 offset0:104 offset1:105
	s_waitcnt lgkmcnt(0)
	v_mul_f64 v[93:94], v[91:92], v[99:100]
	v_fma_f64 v[93:94], v[89:90], v[125:126], -v[93:94]
	v_mul_f64 v[89:90], v[89:90], v[99:100]
	v_add_f64 v[13:14], v[13:14], -v[93:94]
	v_fma_f64 v[89:90], v[91:92], v[125:126], v[89:90]
	v_add_f64 v[15:16], v[15:16], -v[89:90]
	ds_read2_b64 v[89:92], v0 offset0:106 offset1:107
	s_waitcnt lgkmcnt(0)
	v_mul_f64 v[93:94], v[91:92], v[99:100]
	v_fma_f64 v[93:94], v[89:90], v[125:126], -v[93:94]
	v_mul_f64 v[89:90], v[89:90], v[99:100]
	v_add_f64 v[9:10], v[9:10], -v[93:94]
	v_fma_f64 v[89:90], v[91:92], v[125:126], v[89:90]
	v_add_f64 v[11:12], v[11:12], -v[89:90]
	ds_read2_b64 v[89:92], v0 offset0:108 offset1:109
	s_waitcnt lgkmcnt(0)
	v_mul_f64 v[93:94], v[91:92], v[99:100]
	v_fma_f64 v[93:94], v[89:90], v[125:126], -v[93:94]
	v_mul_f64 v[89:90], v[89:90], v[99:100]
	v_add_f64 v[5:6], v[5:6], -v[93:94]
	v_fma_f64 v[89:90], v[91:92], v[125:126], v[89:90]
	v_add_f64 v[7:8], v[7:8], -v[89:90]
	ds_read2_b64 v[89:92], v0 offset0:110 offset1:111
	s_waitcnt lgkmcnt(0)
	v_mul_f64 v[93:94], v[91:92], v[99:100]
	v_fma_f64 v[93:94], v[89:90], v[125:126], -v[93:94]
	v_mul_f64 v[89:90], v[89:90], v[99:100]
	v_add_f64 v[1:2], v[1:2], -v[93:94]
	v_fma_f64 v[89:90], v[91:92], v[125:126], v[89:90]
	ds_read2_b64 v[91:94], v0 offset0:112 offset1:113
	v_add_f64 v[3:4], v[3:4], -v[89:90]
	s_waitcnt lgkmcnt(0)
	v_mul_f64 v[89:90], v[93:94], v[99:100]
	v_fma_f64 v[89:90], v[91:92], v[125:126], -v[89:90]
	v_mul_f64 v[91:92], v[91:92], v[99:100]
	buffer_store_dword v97, off, s[24:27], 0 offset:336 ; 4-byte Folded Spill
	s_nop 0
	buffer_store_dword v98, off, s[24:27], 0 offset:340 ; 4-byte Folded Spill
	buffer_store_dword v99, off, s[24:27], 0 offset:344 ; 4-byte Folded Spill
	;; [unrolled: 1-line block ×3, first 2 shown]
	v_add_f64 v[121:122], v[121:122], -v[89:90]
	v_fma_f64 v[91:92], v[93:94], v[125:126], v[91:92]
	v_add_f64 v[123:124], v[123:124], -v[91:92]
.LBB112_251:
	s_or_b64 exec, exec, s[0:1]
	s_waitcnt vmcnt(0)
	s_barrier
	buffer_load_dword v57, off, s[24:27], 0 offset:320 ; 4-byte Folded Reload
	buffer_load_dword v58, off, s[24:27], 0 offset:324 ; 4-byte Folded Reload
	;; [unrolled: 1-line block ×4, first 2 shown]
	v_lshl_add_u32 v89, v96, 4, v0
	s_cmp_lt_i32 s3, 14
	s_waitcnt vmcnt(0)
	ds_write2_b64 v89, v[57:58], v[59:60] offset1:1
	s_waitcnt lgkmcnt(0)
	s_barrier
	ds_read2_b64 v[117:120], v0 offset0:24 offset1:25
	v_mov_b32_e32 v89, 12
	s_cbranch_scc1 .LBB112_254
; %bb.252:
	v_add_u32_e32 v90, 0xd0, v0
	s_mov_b32 s0, 13
	v_mov_b32_e32 v89, 12
.LBB112_253:                            ; =>This Inner Loop Header: Depth=1
	s_waitcnt lgkmcnt(0)
	v_cmp_gt_f64_e32 vcc, 0, v[117:118]
	v_xor_b32_e32 v97, 0x80000000, v118
	ds_read2_b64 v[91:94], v90 offset1:1
	v_xor_b32_e32 v99, 0x80000000, v120
	v_add_u32_e32 v90, 16, v90
	s_waitcnt lgkmcnt(0)
	v_xor_b32_e32 v101, 0x80000000, v94
	v_cndmask_b32_e32 v98, v118, v97, vcc
	v_cmp_gt_f64_e32 vcc, 0, v[119:120]
	v_mov_b32_e32 v97, v117
	v_cndmask_b32_e32 v100, v120, v99, vcc
	v_cmp_gt_f64_e32 vcc, 0, v[91:92]
	v_mov_b32_e32 v99, v119
	v_add_f64 v[97:98], v[97:98], v[99:100]
	v_xor_b32_e32 v99, 0x80000000, v92
	v_cndmask_b32_e32 v100, v92, v99, vcc
	v_cmp_gt_f64_e32 vcc, 0, v[93:94]
	v_mov_b32_e32 v99, v91
	v_cndmask_b32_e32 v102, v94, v101, vcc
	v_mov_b32_e32 v101, v93
	v_add_f64 v[99:100], v[99:100], v[101:102]
	v_cmp_lt_f64_e32 vcc, v[97:98], v[99:100]
	v_cndmask_b32_e32 v117, v117, v91, vcc
	v_mov_b32_e32 v91, s0
	s_add_i32 s0, s0, 1
	v_cndmask_b32_e32 v118, v118, v92, vcc
	v_cndmask_b32_e32 v120, v120, v94, vcc
	;; [unrolled: 1-line block ×4, first 2 shown]
	s_cmp_lg_u32 s3, s0
	s_cbranch_scc1 .LBB112_253
.LBB112_254:
	s_waitcnt lgkmcnt(0)
	v_cmp_eq_f64_e32 vcc, 0, v[117:118]
	v_cmp_eq_f64_e64 s[0:1], 0, v[119:120]
	s_and_b64 s[0:1], vcc, s[0:1]
	s_and_saveexec_b64 s[18:19], s[0:1]
	s_xor_b64 s[0:1], exec, s[18:19]
; %bb.255:
	v_cmp_ne_u32_e32 vcc, 0, v95
	v_cndmask_b32_e32 v95, 13, v95, vcc
; %bb.256:
	s_andn2_saveexec_b64 s[0:1], s[0:1]
	s_cbranch_execz .LBB112_262
; %bb.257:
	v_cmp_ngt_f64_e64 s[18:19], |v[117:118]|, |v[119:120]|
	s_and_saveexec_b64 s[20:21], s[18:19]
	s_xor_b64 s[18:19], exec, s[20:21]
	s_cbranch_execz .LBB112_259
; %bb.258:
	v_div_scale_f64 v[90:91], s[20:21], v[119:120], v[119:120], v[117:118]
	v_rcp_f64_e32 v[92:93], v[90:91]
	v_fma_f64 v[97:98], -v[90:91], v[92:93], 1.0
	v_fma_f64 v[92:93], v[92:93], v[97:98], v[92:93]
	v_div_scale_f64 v[97:98], vcc, v[117:118], v[119:120], v[117:118]
	v_fma_f64 v[99:100], -v[90:91], v[92:93], 1.0
	v_fma_f64 v[92:93], v[92:93], v[99:100], v[92:93]
	v_mul_f64 v[99:100], v[97:98], v[92:93]
	v_fma_f64 v[90:91], -v[90:91], v[99:100], v[97:98]
	v_div_fmas_f64 v[90:91], v[90:91], v[92:93], v[99:100]
	v_div_fixup_f64 v[90:91], v[90:91], v[119:120], v[117:118]
	v_fma_f64 v[92:93], v[117:118], v[90:91], v[119:120]
	v_div_scale_f64 v[97:98], s[20:21], v[92:93], v[92:93], 1.0
	v_div_scale_f64 v[103:104], vcc, 1.0, v[92:93], 1.0
	v_rcp_f64_e32 v[99:100], v[97:98]
	v_fma_f64 v[101:102], -v[97:98], v[99:100], 1.0
	v_fma_f64 v[99:100], v[99:100], v[101:102], v[99:100]
	v_fma_f64 v[101:102], -v[97:98], v[99:100], 1.0
	v_fma_f64 v[99:100], v[99:100], v[101:102], v[99:100]
	v_mul_f64 v[101:102], v[103:104], v[99:100]
	v_fma_f64 v[97:98], -v[97:98], v[101:102], v[103:104]
	v_div_fmas_f64 v[97:98], v[97:98], v[99:100], v[101:102]
	v_div_fixup_f64 v[119:120], v[97:98], v[92:93], 1.0
	v_mul_f64 v[117:118], v[90:91], v[119:120]
	v_xor_b32_e32 v120, 0x80000000, v120
.LBB112_259:
	s_andn2_saveexec_b64 s[18:19], s[18:19]
	s_cbranch_execz .LBB112_261
; %bb.260:
	v_div_scale_f64 v[90:91], s[20:21], v[117:118], v[117:118], v[119:120]
	v_rcp_f64_e32 v[92:93], v[90:91]
	v_fma_f64 v[97:98], -v[90:91], v[92:93], 1.0
	v_fma_f64 v[92:93], v[92:93], v[97:98], v[92:93]
	v_div_scale_f64 v[97:98], vcc, v[119:120], v[117:118], v[119:120]
	v_fma_f64 v[99:100], -v[90:91], v[92:93], 1.0
	v_fma_f64 v[92:93], v[92:93], v[99:100], v[92:93]
	v_mul_f64 v[99:100], v[97:98], v[92:93]
	v_fma_f64 v[90:91], -v[90:91], v[99:100], v[97:98]
	v_div_fmas_f64 v[90:91], v[90:91], v[92:93], v[99:100]
	v_div_fixup_f64 v[90:91], v[90:91], v[117:118], v[119:120]
	v_fma_f64 v[92:93], v[119:120], v[90:91], v[117:118]
	v_div_scale_f64 v[97:98], s[20:21], v[92:93], v[92:93], 1.0
	v_div_scale_f64 v[103:104], vcc, 1.0, v[92:93], 1.0
	v_rcp_f64_e32 v[99:100], v[97:98]
	v_fma_f64 v[101:102], -v[97:98], v[99:100], 1.0
	v_fma_f64 v[99:100], v[99:100], v[101:102], v[99:100]
	v_fma_f64 v[101:102], -v[97:98], v[99:100], 1.0
	v_fma_f64 v[99:100], v[99:100], v[101:102], v[99:100]
	v_mul_f64 v[101:102], v[103:104], v[99:100]
	v_fma_f64 v[97:98], -v[97:98], v[101:102], v[103:104]
	v_div_fmas_f64 v[97:98], v[97:98], v[99:100], v[101:102]
	v_div_fixup_f64 v[117:118], v[97:98], v[92:93], 1.0
	v_mul_f64 v[119:120], v[90:91], -v[117:118]
.LBB112_261:
	s_or_b64 exec, exec, s[18:19]
.LBB112_262:
	s_or_b64 exec, exec, s[0:1]
	v_cmp_ne_u32_e32 vcc, v96, v89
	s_and_saveexec_b64 s[0:1], vcc
	s_xor_b64 s[0:1], exec, s[0:1]
	s_cbranch_execz .LBB112_268
; %bb.263:
	v_cmp_eq_u32_e32 vcc, 12, v96
	s_and_saveexec_b64 s[18:19], vcc
	s_cbranch_execz .LBB112_267
; %bb.264:
	v_cmp_ne_u32_e32 vcc, 12, v89
	s_xor_b64 s[20:21], s[6:7], -1
	s_and_b64 s[22:23], s[20:21], vcc
	s_and_saveexec_b64 s[20:21], s[22:23]
	s_cbranch_execz .LBB112_266
; %bb.265:
	v_mov_b32_e32 v57, v81
	v_mov_b32_e32 v58, v82
	;; [unrolled: 1-line block ×4, first 2 shown]
	buffer_load_dword v81, off, s[24:27], 0 offset:464 ; 4-byte Folded Reload
	buffer_load_dword v82, off, s[24:27], 0 offset:468 ; 4-byte Folded Reload
	v_ashrrev_i32_e32 v90, 31, v89
	v_lshlrev_b64 v[90:91], 2, v[89:90]
	s_waitcnt vmcnt(1)
	v_add_co_u32_e32 v90, vcc, v81, v90
	s_waitcnt vmcnt(0)
	v_addc_co_u32_e32 v91, vcc, v82, v91, vcc
	global_load_dword v92, v[90:91], off
	global_load_dword v93, v[81:82], off offset:48
	s_waitcnt vmcnt(1)
	global_store_dword v[81:82], v92, off offset:48
	v_mov_b32_e32 v84, v60
	v_mov_b32_e32 v83, v59
	;; [unrolled: 1-line block ×4, first 2 shown]
	s_waitcnt vmcnt(1)
	global_store_dword v[90:91], v93, off
.LBB112_266:
	s_or_b64 exec, exec, s[20:21]
	v_mov_b32_e32 v96, v89
	v_mov_b32_e32 v127, v89
.LBB112_267:
	s_or_b64 exec, exec, s[18:19]
.LBB112_268:
	s_andn2_saveexec_b64 s[0:1], s[0:1]
	s_cbranch_execz .LBB112_270
; %bb.269:
	buffer_load_dword v57, off, s[24:27], 0 offset:304 ; 4-byte Folded Reload
	buffer_load_dword v58, off, s[24:27], 0 offset:308 ; 4-byte Folded Reload
	;; [unrolled: 1-line block ×4, first 2 shown]
	v_mov_b32_e32 v96, 12
	s_waitcnt vmcnt(0)
	ds_write2_b64 v0, v[57:58], v[59:60] offset0:26 offset1:27
	buffer_load_dword v57, off, s[24:27], 0 offset:288 ; 4-byte Folded Reload
	buffer_load_dword v58, off, s[24:27], 0 offset:292 ; 4-byte Folded Reload
	buffer_load_dword v59, off, s[24:27], 0 offset:296 ; 4-byte Folded Reload
	buffer_load_dword v60, off, s[24:27], 0 offset:300 ; 4-byte Folded Reload
	s_waitcnt vmcnt(0)
	ds_write2_b64 v0, v[57:58], v[59:60] offset0:28 offset1:29
	buffer_load_dword v57, off, s[24:27], 0 offset:272 ; 4-byte Folded Reload
	buffer_load_dword v58, off, s[24:27], 0 offset:276 ; 4-byte Folded Reload
	buffer_load_dword v59, off, s[24:27], 0 offset:280 ; 4-byte Folded Reload
	buffer_load_dword v60, off, s[24:27], 0 offset:284 ; 4-byte Folded Reload
	;; [unrolled: 6-line block ×18, first 2 shown]
	s_waitcnt vmcnt(0)
	ds_write2_b64 v0, v[57:58], v[59:60] offset0:62 offset1:63
	ds_write2_b64 v0, v[81:82], v[83:84] offset0:64 offset1:65
	;; [unrolled: 1-line block ×10, first 2 shown]
	buffer_load_dword v57, off, s[24:27], 0 ; 4-byte Folded Reload
	buffer_load_dword v58, off, s[24:27], 0 offset:4 ; 4-byte Folded Reload
	buffer_load_dword v59, off, s[24:27], 0 offset:8 ; 4-byte Folded Reload
	;; [unrolled: 1-line block ×3, first 2 shown]
	s_waitcnt vmcnt(0)
	ds_write2_b64 v0, v[57:58], v[59:60] offset0:82 offset1:83
	ds_write2_b64 v0, v[53:54], v[55:56] offset0:84 offset1:85
	;; [unrolled: 1-line block ×16, first 2 shown]
.LBB112_270:
	s_or_b64 exec, exec, s[0:1]
	v_cmp_lt_i32_e32 vcc, 12, v96
	s_waitcnt vmcnt(0) lgkmcnt(0)
	s_barrier
	s_and_saveexec_b64 s[0:1], vcc
	s_cbranch_execz .LBB112_272
; %bb.271:
	buffer_load_dword v97, off, s[24:27], 0 offset:320 ; 4-byte Folded Reload
	buffer_load_dword v98, off, s[24:27], 0 offset:324 ; 4-byte Folded Reload
	;; [unrolled: 1-line block ×4, first 2 shown]
	s_waitcnt vmcnt(0)
	v_mul_f64 v[89:90], v[119:120], v[99:100]
	v_fma_f64 v[125:126], v[117:118], v[97:98], -v[89:90]
	v_mul_f64 v[89:90], v[117:118], v[99:100]
	v_fma_f64 v[99:100], v[119:120], v[97:98], v[89:90]
	ds_read2_b64 v[89:92], v0 offset0:26 offset1:27
	buffer_load_dword v57, off, s[24:27], 0 offset:304 ; 4-byte Folded Reload
	buffer_load_dword v58, off, s[24:27], 0 offset:308 ; 4-byte Folded Reload
	;; [unrolled: 1-line block ×4, first 2 shown]
	v_mov_b32_e32 v97, v125
	v_mov_b32_e32 v98, v126
	s_waitcnt lgkmcnt(0)
	v_mul_f64 v[93:94], v[91:92], v[99:100]
	v_fma_f64 v[93:94], v[89:90], v[125:126], -v[93:94]
	v_mul_f64 v[89:90], v[89:90], v[99:100]
	v_fma_f64 v[89:90], v[91:92], v[125:126], v[89:90]
	s_waitcnt vmcnt(2)
	v_add_f64 v[57:58], v[57:58], -v[93:94]
	s_waitcnt vmcnt(0)
	v_add_f64 v[59:60], v[59:60], -v[89:90]
	buffer_store_dword v57, off, s[24:27], 0 offset:304 ; 4-byte Folded Spill
	s_nop 0
	buffer_store_dword v58, off, s[24:27], 0 offset:308 ; 4-byte Folded Spill
	buffer_store_dword v59, off, s[24:27], 0 offset:312 ; 4-byte Folded Spill
	buffer_store_dword v60, off, s[24:27], 0 offset:316 ; 4-byte Folded Spill
	ds_read2_b64 v[89:92], v0 offset0:28 offset1:29
	buffer_load_dword v57, off, s[24:27], 0 offset:288 ; 4-byte Folded Reload
	buffer_load_dword v58, off, s[24:27], 0 offset:292 ; 4-byte Folded Reload
	buffer_load_dword v59, off, s[24:27], 0 offset:296 ; 4-byte Folded Reload
	buffer_load_dword v60, off, s[24:27], 0 offset:300 ; 4-byte Folded Reload
	s_waitcnt lgkmcnt(0)
	v_mul_f64 v[93:94], v[91:92], v[99:100]
	v_fma_f64 v[93:94], v[89:90], v[125:126], -v[93:94]
	v_mul_f64 v[89:90], v[89:90], v[99:100]
	v_fma_f64 v[89:90], v[91:92], v[125:126], v[89:90]
	s_waitcnt vmcnt(2)
	v_add_f64 v[57:58], v[57:58], -v[93:94]
	s_waitcnt vmcnt(0)
	v_add_f64 v[59:60], v[59:60], -v[89:90]
	buffer_store_dword v57, off, s[24:27], 0 offset:288 ; 4-byte Folded Spill
	s_nop 0
	buffer_store_dword v58, off, s[24:27], 0 offset:292 ; 4-byte Folded Spill
	buffer_store_dword v59, off, s[24:27], 0 offset:296 ; 4-byte Folded Spill
	buffer_store_dword v60, off, s[24:27], 0 offset:300 ; 4-byte Folded Spill
	ds_read2_b64 v[89:92], v0 offset0:30 offset1:31
	buffer_load_dword v57, off, s[24:27], 0 offset:272 ; 4-byte Folded Reload
	buffer_load_dword v58, off, s[24:27], 0 offset:276 ; 4-byte Folded Reload
	buffer_load_dword v59, off, s[24:27], 0 offset:280 ; 4-byte Folded Reload
	buffer_load_dword v60, off, s[24:27], 0 offset:284 ; 4-byte Folded Reload
	;; [unrolled: 19-line block ×18, first 2 shown]
	s_waitcnt lgkmcnt(0)
	v_mul_f64 v[93:94], v[91:92], v[99:100]
	v_fma_f64 v[93:94], v[89:90], v[125:126], -v[93:94]
	v_mul_f64 v[89:90], v[89:90], v[99:100]
	v_fma_f64 v[89:90], v[91:92], v[125:126], v[89:90]
	s_waitcnt vmcnt(2)
	v_add_f64 v[57:58], v[57:58], -v[93:94]
	s_waitcnt vmcnt(0)
	v_add_f64 v[59:60], v[59:60], -v[89:90]
	buffer_store_dword v57, off, s[24:27], 0 offset:16 ; 4-byte Folded Spill
	s_nop 0
	buffer_store_dword v58, off, s[24:27], 0 offset:20 ; 4-byte Folded Spill
	buffer_store_dword v59, off, s[24:27], 0 offset:24 ; 4-byte Folded Spill
	;; [unrolled: 1-line block ×3, first 2 shown]
	ds_read2_b64 v[89:92], v0 offset0:64 offset1:65
	s_waitcnt lgkmcnt(0)
	v_mul_f64 v[93:94], v[91:92], v[99:100]
	v_fma_f64 v[93:94], v[89:90], v[125:126], -v[93:94]
	v_mul_f64 v[89:90], v[89:90], v[99:100]
	v_add_f64 v[81:82], v[81:82], -v[93:94]
	v_fma_f64 v[89:90], v[91:92], v[125:126], v[89:90]
	v_add_f64 v[83:84], v[83:84], -v[89:90]
	ds_read2_b64 v[89:92], v0 offset0:66 offset1:67
	s_waitcnt lgkmcnt(0)
	v_mul_f64 v[93:94], v[91:92], v[99:100]
	v_fma_f64 v[93:94], v[89:90], v[125:126], -v[93:94]
	v_mul_f64 v[89:90], v[89:90], v[99:100]
	v_add_f64 v[85:86], v[85:86], -v[93:94]
	v_fma_f64 v[89:90], v[91:92], v[125:126], v[89:90]
	v_add_f64 v[87:88], v[87:88], -v[89:90]
	;; [unrolled: 8-line block ×9, first 2 shown]
	ds_read2_b64 v[89:92], v0 offset0:82 offset1:83
	buffer_load_dword v57, off, s[24:27], 0 ; 4-byte Folded Reload
	buffer_load_dword v58, off, s[24:27], 0 offset:4 ; 4-byte Folded Reload
	buffer_load_dword v59, off, s[24:27], 0 offset:8 ; 4-byte Folded Reload
	;; [unrolled: 1-line block ×3, first 2 shown]
	s_waitcnt lgkmcnt(0)
	v_mul_f64 v[93:94], v[91:92], v[99:100]
	v_fma_f64 v[93:94], v[89:90], v[125:126], -v[93:94]
	v_mul_f64 v[89:90], v[89:90], v[99:100]
	v_fma_f64 v[89:90], v[91:92], v[125:126], v[89:90]
	s_waitcnt vmcnt(2)
	v_add_f64 v[57:58], v[57:58], -v[93:94]
	s_waitcnt vmcnt(0)
	v_add_f64 v[59:60], v[59:60], -v[89:90]
	buffer_store_dword v57, off, s[24:27], 0 ; 4-byte Folded Spill
	s_nop 0
	buffer_store_dword v58, off, s[24:27], 0 offset:4 ; 4-byte Folded Spill
	buffer_store_dword v59, off, s[24:27], 0 offset:8 ; 4-byte Folded Spill
	buffer_store_dword v60, off, s[24:27], 0 offset:12 ; 4-byte Folded Spill
	ds_read2_b64 v[89:92], v0 offset0:84 offset1:85
	s_waitcnt lgkmcnt(0)
	v_mul_f64 v[93:94], v[91:92], v[99:100]
	v_fma_f64 v[93:94], v[89:90], v[125:126], -v[93:94]
	v_mul_f64 v[89:90], v[89:90], v[99:100]
	v_add_f64 v[53:54], v[53:54], -v[93:94]
	v_fma_f64 v[89:90], v[91:92], v[125:126], v[89:90]
	v_add_f64 v[55:56], v[55:56], -v[89:90]
	ds_read2_b64 v[89:92], v0 offset0:86 offset1:87
	s_waitcnt lgkmcnt(0)
	v_mul_f64 v[93:94], v[91:92], v[99:100]
	v_fma_f64 v[93:94], v[89:90], v[125:126], -v[93:94]
	v_mul_f64 v[89:90], v[89:90], v[99:100]
	v_add_f64 v[49:50], v[49:50], -v[93:94]
	v_fma_f64 v[89:90], v[91:92], v[125:126], v[89:90]
	v_add_f64 v[51:52], v[51:52], -v[89:90]
	;; [unrolled: 8-line block ×13, first 2 shown]
	ds_read2_b64 v[89:92], v0 offset0:110 offset1:111
	s_waitcnt lgkmcnt(0)
	v_mul_f64 v[93:94], v[91:92], v[99:100]
	v_fma_f64 v[93:94], v[89:90], v[125:126], -v[93:94]
	v_mul_f64 v[89:90], v[89:90], v[99:100]
	v_add_f64 v[1:2], v[1:2], -v[93:94]
	v_fma_f64 v[89:90], v[91:92], v[125:126], v[89:90]
	ds_read2_b64 v[91:94], v0 offset0:112 offset1:113
	v_add_f64 v[3:4], v[3:4], -v[89:90]
	s_waitcnt lgkmcnt(0)
	v_mul_f64 v[89:90], v[93:94], v[99:100]
	v_fma_f64 v[89:90], v[91:92], v[125:126], -v[89:90]
	v_mul_f64 v[91:92], v[91:92], v[99:100]
	buffer_store_dword v97, off, s[24:27], 0 offset:320 ; 4-byte Folded Spill
	s_nop 0
	buffer_store_dword v98, off, s[24:27], 0 offset:324 ; 4-byte Folded Spill
	buffer_store_dword v99, off, s[24:27], 0 offset:328 ; 4-byte Folded Spill
	;; [unrolled: 1-line block ×3, first 2 shown]
	v_add_f64 v[121:122], v[121:122], -v[89:90]
	v_fma_f64 v[91:92], v[93:94], v[125:126], v[91:92]
	v_add_f64 v[123:124], v[123:124], -v[91:92]
.LBB112_272:
	s_or_b64 exec, exec, s[0:1]
	s_waitcnt vmcnt(0)
	s_barrier
	buffer_load_dword v57, off, s[24:27], 0 offset:304 ; 4-byte Folded Reload
	buffer_load_dword v58, off, s[24:27], 0 offset:308 ; 4-byte Folded Reload
	;; [unrolled: 1-line block ×4, first 2 shown]
	v_lshl_add_u32 v89, v96, 4, v0
	s_cmp_lt_i32 s3, 15
	s_waitcnt vmcnt(0)
	ds_write2_b64 v89, v[57:58], v[59:60] offset1:1
	s_waitcnt lgkmcnt(0)
	s_barrier
	ds_read2_b64 v[117:120], v0 offset0:26 offset1:27
	v_mov_b32_e32 v89, 13
	s_cbranch_scc1 .LBB112_275
; %bb.273:
	v_add_u32_e32 v90, 0xe0, v0
	s_mov_b32 s0, 14
	v_mov_b32_e32 v89, 13
.LBB112_274:                            ; =>This Inner Loop Header: Depth=1
	s_waitcnt lgkmcnt(0)
	v_cmp_gt_f64_e32 vcc, 0, v[117:118]
	v_xor_b32_e32 v97, 0x80000000, v118
	ds_read2_b64 v[91:94], v90 offset1:1
	v_xor_b32_e32 v99, 0x80000000, v120
	v_add_u32_e32 v90, 16, v90
	s_waitcnt lgkmcnt(0)
	v_xor_b32_e32 v101, 0x80000000, v94
	v_cndmask_b32_e32 v98, v118, v97, vcc
	v_cmp_gt_f64_e32 vcc, 0, v[119:120]
	v_mov_b32_e32 v97, v117
	v_cndmask_b32_e32 v100, v120, v99, vcc
	v_cmp_gt_f64_e32 vcc, 0, v[91:92]
	v_mov_b32_e32 v99, v119
	v_add_f64 v[97:98], v[97:98], v[99:100]
	v_xor_b32_e32 v99, 0x80000000, v92
	v_cndmask_b32_e32 v100, v92, v99, vcc
	v_cmp_gt_f64_e32 vcc, 0, v[93:94]
	v_mov_b32_e32 v99, v91
	v_cndmask_b32_e32 v102, v94, v101, vcc
	v_mov_b32_e32 v101, v93
	v_add_f64 v[99:100], v[99:100], v[101:102]
	v_cmp_lt_f64_e32 vcc, v[97:98], v[99:100]
	v_cndmask_b32_e32 v117, v117, v91, vcc
	v_mov_b32_e32 v91, s0
	s_add_i32 s0, s0, 1
	v_cndmask_b32_e32 v118, v118, v92, vcc
	v_cndmask_b32_e32 v120, v120, v94, vcc
	;; [unrolled: 1-line block ×4, first 2 shown]
	s_cmp_lg_u32 s3, s0
	s_cbranch_scc1 .LBB112_274
.LBB112_275:
	s_waitcnt lgkmcnt(0)
	v_cmp_eq_f64_e32 vcc, 0, v[117:118]
	v_cmp_eq_f64_e64 s[0:1], 0, v[119:120]
	s_and_b64 s[0:1], vcc, s[0:1]
	s_and_saveexec_b64 s[18:19], s[0:1]
	s_xor_b64 s[0:1], exec, s[18:19]
; %bb.276:
	v_cmp_ne_u32_e32 vcc, 0, v95
	v_cndmask_b32_e32 v95, 14, v95, vcc
; %bb.277:
	s_andn2_saveexec_b64 s[0:1], s[0:1]
	s_cbranch_execz .LBB112_283
; %bb.278:
	v_cmp_ngt_f64_e64 s[18:19], |v[117:118]|, |v[119:120]|
	s_and_saveexec_b64 s[20:21], s[18:19]
	s_xor_b64 s[18:19], exec, s[20:21]
	s_cbranch_execz .LBB112_280
; %bb.279:
	v_div_scale_f64 v[90:91], s[20:21], v[119:120], v[119:120], v[117:118]
	v_rcp_f64_e32 v[92:93], v[90:91]
	v_fma_f64 v[97:98], -v[90:91], v[92:93], 1.0
	v_fma_f64 v[92:93], v[92:93], v[97:98], v[92:93]
	v_div_scale_f64 v[97:98], vcc, v[117:118], v[119:120], v[117:118]
	v_fma_f64 v[99:100], -v[90:91], v[92:93], 1.0
	v_fma_f64 v[92:93], v[92:93], v[99:100], v[92:93]
	v_mul_f64 v[99:100], v[97:98], v[92:93]
	v_fma_f64 v[90:91], -v[90:91], v[99:100], v[97:98]
	v_div_fmas_f64 v[90:91], v[90:91], v[92:93], v[99:100]
	v_div_fixup_f64 v[90:91], v[90:91], v[119:120], v[117:118]
	v_fma_f64 v[92:93], v[117:118], v[90:91], v[119:120]
	v_div_scale_f64 v[97:98], s[20:21], v[92:93], v[92:93], 1.0
	v_div_scale_f64 v[103:104], vcc, 1.0, v[92:93], 1.0
	v_rcp_f64_e32 v[99:100], v[97:98]
	v_fma_f64 v[101:102], -v[97:98], v[99:100], 1.0
	v_fma_f64 v[99:100], v[99:100], v[101:102], v[99:100]
	v_fma_f64 v[101:102], -v[97:98], v[99:100], 1.0
	v_fma_f64 v[99:100], v[99:100], v[101:102], v[99:100]
	v_mul_f64 v[101:102], v[103:104], v[99:100]
	v_fma_f64 v[97:98], -v[97:98], v[101:102], v[103:104]
	v_div_fmas_f64 v[97:98], v[97:98], v[99:100], v[101:102]
	v_div_fixup_f64 v[119:120], v[97:98], v[92:93], 1.0
	v_mul_f64 v[117:118], v[90:91], v[119:120]
	v_xor_b32_e32 v120, 0x80000000, v120
.LBB112_280:
	s_andn2_saveexec_b64 s[18:19], s[18:19]
	s_cbranch_execz .LBB112_282
; %bb.281:
	v_div_scale_f64 v[90:91], s[20:21], v[117:118], v[117:118], v[119:120]
	v_rcp_f64_e32 v[92:93], v[90:91]
	v_fma_f64 v[97:98], -v[90:91], v[92:93], 1.0
	v_fma_f64 v[92:93], v[92:93], v[97:98], v[92:93]
	v_div_scale_f64 v[97:98], vcc, v[119:120], v[117:118], v[119:120]
	v_fma_f64 v[99:100], -v[90:91], v[92:93], 1.0
	v_fma_f64 v[92:93], v[92:93], v[99:100], v[92:93]
	v_mul_f64 v[99:100], v[97:98], v[92:93]
	v_fma_f64 v[90:91], -v[90:91], v[99:100], v[97:98]
	v_div_fmas_f64 v[90:91], v[90:91], v[92:93], v[99:100]
	v_div_fixup_f64 v[90:91], v[90:91], v[117:118], v[119:120]
	v_fma_f64 v[92:93], v[119:120], v[90:91], v[117:118]
	v_div_scale_f64 v[97:98], s[20:21], v[92:93], v[92:93], 1.0
	v_div_scale_f64 v[103:104], vcc, 1.0, v[92:93], 1.0
	v_rcp_f64_e32 v[99:100], v[97:98]
	v_fma_f64 v[101:102], -v[97:98], v[99:100], 1.0
	v_fma_f64 v[99:100], v[99:100], v[101:102], v[99:100]
	v_fma_f64 v[101:102], -v[97:98], v[99:100], 1.0
	v_fma_f64 v[99:100], v[99:100], v[101:102], v[99:100]
	v_mul_f64 v[101:102], v[103:104], v[99:100]
	v_fma_f64 v[97:98], -v[97:98], v[101:102], v[103:104]
	v_div_fmas_f64 v[97:98], v[97:98], v[99:100], v[101:102]
	v_div_fixup_f64 v[117:118], v[97:98], v[92:93], 1.0
	v_mul_f64 v[119:120], v[90:91], -v[117:118]
.LBB112_282:
	s_or_b64 exec, exec, s[18:19]
.LBB112_283:
	s_or_b64 exec, exec, s[0:1]
	v_cmp_ne_u32_e32 vcc, v96, v89
	s_and_saveexec_b64 s[0:1], vcc
	s_xor_b64 s[0:1], exec, s[0:1]
	s_cbranch_execz .LBB112_289
; %bb.284:
	v_cmp_eq_u32_e32 vcc, 13, v96
	s_and_saveexec_b64 s[18:19], vcc
	s_cbranch_execz .LBB112_288
; %bb.285:
	v_cmp_ne_u32_e32 vcc, 13, v89
	s_xor_b64 s[20:21], s[6:7], -1
	s_and_b64 s[22:23], s[20:21], vcc
	s_and_saveexec_b64 s[20:21], s[22:23]
	s_cbranch_execz .LBB112_287
; %bb.286:
	v_mov_b32_e32 v57, v81
	v_mov_b32_e32 v58, v82
	;; [unrolled: 1-line block ×4, first 2 shown]
	buffer_load_dword v81, off, s[24:27], 0 offset:464 ; 4-byte Folded Reload
	buffer_load_dword v82, off, s[24:27], 0 offset:468 ; 4-byte Folded Reload
	v_ashrrev_i32_e32 v90, 31, v89
	v_lshlrev_b64 v[90:91], 2, v[89:90]
	s_waitcnt vmcnt(1)
	v_add_co_u32_e32 v90, vcc, v81, v90
	s_waitcnt vmcnt(0)
	v_addc_co_u32_e32 v91, vcc, v82, v91, vcc
	global_load_dword v92, v[90:91], off
	global_load_dword v93, v[81:82], off offset:52
	s_waitcnt vmcnt(1)
	global_store_dword v[81:82], v92, off offset:52
	v_mov_b32_e32 v84, v60
	v_mov_b32_e32 v83, v59
	;; [unrolled: 1-line block ×4, first 2 shown]
	s_waitcnt vmcnt(1)
	global_store_dword v[90:91], v93, off
.LBB112_287:
	s_or_b64 exec, exec, s[20:21]
	v_mov_b32_e32 v96, v89
	v_mov_b32_e32 v127, v89
.LBB112_288:
	s_or_b64 exec, exec, s[18:19]
.LBB112_289:
	s_andn2_saveexec_b64 s[0:1], s[0:1]
	s_cbranch_execz .LBB112_291
; %bb.290:
	buffer_load_dword v57, off, s[24:27], 0 offset:288 ; 4-byte Folded Reload
	buffer_load_dword v58, off, s[24:27], 0 offset:292 ; 4-byte Folded Reload
	;; [unrolled: 1-line block ×4, first 2 shown]
	v_mov_b32_e32 v96, 13
	s_waitcnt vmcnt(0)
	ds_write2_b64 v0, v[57:58], v[59:60] offset0:28 offset1:29
	buffer_load_dword v57, off, s[24:27], 0 offset:272 ; 4-byte Folded Reload
	buffer_load_dword v58, off, s[24:27], 0 offset:276 ; 4-byte Folded Reload
	buffer_load_dword v59, off, s[24:27], 0 offset:280 ; 4-byte Folded Reload
	buffer_load_dword v60, off, s[24:27], 0 offset:284 ; 4-byte Folded Reload
	s_waitcnt vmcnt(0)
	ds_write2_b64 v0, v[57:58], v[59:60] offset0:30 offset1:31
	buffer_load_dword v57, off, s[24:27], 0 offset:256 ; 4-byte Folded Reload
	buffer_load_dword v58, off, s[24:27], 0 offset:260 ; 4-byte Folded Reload
	buffer_load_dword v59, off, s[24:27], 0 offset:264 ; 4-byte Folded Reload
	buffer_load_dword v60, off, s[24:27], 0 offset:268 ; 4-byte Folded Reload
	;; [unrolled: 6-line block ×17, first 2 shown]
	s_waitcnt vmcnt(0)
	ds_write2_b64 v0, v[57:58], v[59:60] offset0:62 offset1:63
	ds_write2_b64 v0, v[81:82], v[83:84] offset0:64 offset1:65
	;; [unrolled: 1-line block ×10, first 2 shown]
	buffer_load_dword v57, off, s[24:27], 0 ; 4-byte Folded Reload
	buffer_load_dword v58, off, s[24:27], 0 offset:4 ; 4-byte Folded Reload
	buffer_load_dword v59, off, s[24:27], 0 offset:8 ; 4-byte Folded Reload
	;; [unrolled: 1-line block ×3, first 2 shown]
	s_waitcnt vmcnt(0)
	ds_write2_b64 v0, v[57:58], v[59:60] offset0:82 offset1:83
	ds_write2_b64 v0, v[53:54], v[55:56] offset0:84 offset1:85
	;; [unrolled: 1-line block ×16, first 2 shown]
.LBB112_291:
	s_or_b64 exec, exec, s[0:1]
	v_cmp_lt_i32_e32 vcc, 13, v96
	s_waitcnt vmcnt(0) lgkmcnt(0)
	s_barrier
	s_and_saveexec_b64 s[0:1], vcc
	s_cbranch_execz .LBB112_293
; %bb.292:
	buffer_load_dword v97, off, s[24:27], 0 offset:304 ; 4-byte Folded Reload
	buffer_load_dword v98, off, s[24:27], 0 offset:308 ; 4-byte Folded Reload
	;; [unrolled: 1-line block ×4, first 2 shown]
	s_waitcnt vmcnt(0)
	v_mul_f64 v[89:90], v[119:120], v[99:100]
	v_fma_f64 v[125:126], v[117:118], v[97:98], -v[89:90]
	v_mul_f64 v[89:90], v[117:118], v[99:100]
	v_fma_f64 v[99:100], v[119:120], v[97:98], v[89:90]
	ds_read2_b64 v[89:92], v0 offset0:28 offset1:29
	buffer_load_dword v57, off, s[24:27], 0 offset:288 ; 4-byte Folded Reload
	buffer_load_dword v58, off, s[24:27], 0 offset:292 ; 4-byte Folded Reload
	;; [unrolled: 1-line block ×4, first 2 shown]
	v_mov_b32_e32 v97, v125
	v_mov_b32_e32 v98, v126
	s_waitcnt lgkmcnt(0)
	v_mul_f64 v[93:94], v[91:92], v[99:100]
	v_fma_f64 v[93:94], v[89:90], v[125:126], -v[93:94]
	v_mul_f64 v[89:90], v[89:90], v[99:100]
	v_fma_f64 v[89:90], v[91:92], v[125:126], v[89:90]
	s_waitcnt vmcnt(2)
	v_add_f64 v[57:58], v[57:58], -v[93:94]
	s_waitcnt vmcnt(0)
	v_add_f64 v[59:60], v[59:60], -v[89:90]
	buffer_store_dword v57, off, s[24:27], 0 offset:288 ; 4-byte Folded Spill
	s_nop 0
	buffer_store_dword v58, off, s[24:27], 0 offset:292 ; 4-byte Folded Spill
	buffer_store_dword v59, off, s[24:27], 0 offset:296 ; 4-byte Folded Spill
	buffer_store_dword v60, off, s[24:27], 0 offset:300 ; 4-byte Folded Spill
	ds_read2_b64 v[89:92], v0 offset0:30 offset1:31
	buffer_load_dword v57, off, s[24:27], 0 offset:272 ; 4-byte Folded Reload
	buffer_load_dword v58, off, s[24:27], 0 offset:276 ; 4-byte Folded Reload
	buffer_load_dword v59, off, s[24:27], 0 offset:280 ; 4-byte Folded Reload
	buffer_load_dword v60, off, s[24:27], 0 offset:284 ; 4-byte Folded Reload
	s_waitcnt lgkmcnt(0)
	v_mul_f64 v[93:94], v[91:92], v[99:100]
	v_fma_f64 v[93:94], v[89:90], v[125:126], -v[93:94]
	v_mul_f64 v[89:90], v[89:90], v[99:100]
	v_fma_f64 v[89:90], v[91:92], v[125:126], v[89:90]
	s_waitcnt vmcnt(2)
	v_add_f64 v[57:58], v[57:58], -v[93:94]
	s_waitcnt vmcnt(0)
	v_add_f64 v[59:60], v[59:60], -v[89:90]
	buffer_store_dword v57, off, s[24:27], 0 offset:272 ; 4-byte Folded Spill
	s_nop 0
	buffer_store_dword v58, off, s[24:27], 0 offset:276 ; 4-byte Folded Spill
	buffer_store_dword v59, off, s[24:27], 0 offset:280 ; 4-byte Folded Spill
	buffer_store_dword v60, off, s[24:27], 0 offset:284 ; 4-byte Folded Spill
	ds_read2_b64 v[89:92], v0 offset0:32 offset1:33
	buffer_load_dword v57, off, s[24:27], 0 offset:256 ; 4-byte Folded Reload
	buffer_load_dword v58, off, s[24:27], 0 offset:260 ; 4-byte Folded Reload
	buffer_load_dword v59, off, s[24:27], 0 offset:264 ; 4-byte Folded Reload
	buffer_load_dword v60, off, s[24:27], 0 offset:268 ; 4-byte Folded Reload
	;; [unrolled: 19-line block ×17, first 2 shown]
	s_waitcnt lgkmcnt(0)
	v_mul_f64 v[93:94], v[91:92], v[99:100]
	v_fma_f64 v[93:94], v[89:90], v[125:126], -v[93:94]
	v_mul_f64 v[89:90], v[89:90], v[99:100]
	v_fma_f64 v[89:90], v[91:92], v[125:126], v[89:90]
	s_waitcnt vmcnt(2)
	v_add_f64 v[57:58], v[57:58], -v[93:94]
	s_waitcnt vmcnt(0)
	v_add_f64 v[59:60], v[59:60], -v[89:90]
	buffer_store_dword v57, off, s[24:27], 0 offset:16 ; 4-byte Folded Spill
	s_nop 0
	buffer_store_dword v58, off, s[24:27], 0 offset:20 ; 4-byte Folded Spill
	buffer_store_dword v59, off, s[24:27], 0 offset:24 ; 4-byte Folded Spill
	;; [unrolled: 1-line block ×3, first 2 shown]
	ds_read2_b64 v[89:92], v0 offset0:64 offset1:65
	s_waitcnt lgkmcnt(0)
	v_mul_f64 v[93:94], v[91:92], v[99:100]
	v_fma_f64 v[93:94], v[89:90], v[125:126], -v[93:94]
	v_mul_f64 v[89:90], v[89:90], v[99:100]
	v_add_f64 v[81:82], v[81:82], -v[93:94]
	v_fma_f64 v[89:90], v[91:92], v[125:126], v[89:90]
	v_add_f64 v[83:84], v[83:84], -v[89:90]
	ds_read2_b64 v[89:92], v0 offset0:66 offset1:67
	s_waitcnt lgkmcnt(0)
	v_mul_f64 v[93:94], v[91:92], v[99:100]
	v_fma_f64 v[93:94], v[89:90], v[125:126], -v[93:94]
	v_mul_f64 v[89:90], v[89:90], v[99:100]
	v_add_f64 v[85:86], v[85:86], -v[93:94]
	v_fma_f64 v[89:90], v[91:92], v[125:126], v[89:90]
	v_add_f64 v[87:88], v[87:88], -v[89:90]
	;; [unrolled: 8-line block ×9, first 2 shown]
	ds_read2_b64 v[89:92], v0 offset0:82 offset1:83
	buffer_load_dword v57, off, s[24:27], 0 ; 4-byte Folded Reload
	buffer_load_dword v58, off, s[24:27], 0 offset:4 ; 4-byte Folded Reload
	buffer_load_dword v59, off, s[24:27], 0 offset:8 ; 4-byte Folded Reload
	;; [unrolled: 1-line block ×3, first 2 shown]
	s_waitcnt lgkmcnt(0)
	v_mul_f64 v[93:94], v[91:92], v[99:100]
	v_fma_f64 v[93:94], v[89:90], v[125:126], -v[93:94]
	v_mul_f64 v[89:90], v[89:90], v[99:100]
	v_fma_f64 v[89:90], v[91:92], v[125:126], v[89:90]
	s_waitcnt vmcnt(2)
	v_add_f64 v[57:58], v[57:58], -v[93:94]
	s_waitcnt vmcnt(0)
	v_add_f64 v[59:60], v[59:60], -v[89:90]
	buffer_store_dword v57, off, s[24:27], 0 ; 4-byte Folded Spill
	s_nop 0
	buffer_store_dword v58, off, s[24:27], 0 offset:4 ; 4-byte Folded Spill
	buffer_store_dword v59, off, s[24:27], 0 offset:8 ; 4-byte Folded Spill
	;; [unrolled: 1-line block ×3, first 2 shown]
	ds_read2_b64 v[89:92], v0 offset0:84 offset1:85
	s_waitcnt lgkmcnt(0)
	v_mul_f64 v[93:94], v[91:92], v[99:100]
	v_fma_f64 v[93:94], v[89:90], v[125:126], -v[93:94]
	v_mul_f64 v[89:90], v[89:90], v[99:100]
	v_add_f64 v[53:54], v[53:54], -v[93:94]
	v_fma_f64 v[89:90], v[91:92], v[125:126], v[89:90]
	v_add_f64 v[55:56], v[55:56], -v[89:90]
	ds_read2_b64 v[89:92], v0 offset0:86 offset1:87
	s_waitcnt lgkmcnt(0)
	v_mul_f64 v[93:94], v[91:92], v[99:100]
	v_fma_f64 v[93:94], v[89:90], v[125:126], -v[93:94]
	v_mul_f64 v[89:90], v[89:90], v[99:100]
	v_add_f64 v[49:50], v[49:50], -v[93:94]
	v_fma_f64 v[89:90], v[91:92], v[125:126], v[89:90]
	v_add_f64 v[51:52], v[51:52], -v[89:90]
	;; [unrolled: 8-line block ×13, first 2 shown]
	ds_read2_b64 v[89:92], v0 offset0:110 offset1:111
	s_waitcnt lgkmcnt(0)
	v_mul_f64 v[93:94], v[91:92], v[99:100]
	v_fma_f64 v[93:94], v[89:90], v[125:126], -v[93:94]
	v_mul_f64 v[89:90], v[89:90], v[99:100]
	v_add_f64 v[1:2], v[1:2], -v[93:94]
	v_fma_f64 v[89:90], v[91:92], v[125:126], v[89:90]
	ds_read2_b64 v[91:94], v0 offset0:112 offset1:113
	v_add_f64 v[3:4], v[3:4], -v[89:90]
	s_waitcnt lgkmcnt(0)
	v_mul_f64 v[89:90], v[93:94], v[99:100]
	v_fma_f64 v[89:90], v[91:92], v[125:126], -v[89:90]
	v_mul_f64 v[91:92], v[91:92], v[99:100]
	buffer_store_dword v97, off, s[24:27], 0 offset:304 ; 4-byte Folded Spill
	s_nop 0
	buffer_store_dword v98, off, s[24:27], 0 offset:308 ; 4-byte Folded Spill
	buffer_store_dword v99, off, s[24:27], 0 offset:312 ; 4-byte Folded Spill
	buffer_store_dword v100, off, s[24:27], 0 offset:316 ; 4-byte Folded Spill
	v_add_f64 v[121:122], v[121:122], -v[89:90]
	v_fma_f64 v[91:92], v[93:94], v[125:126], v[91:92]
	v_add_f64 v[123:124], v[123:124], -v[91:92]
.LBB112_293:
	s_or_b64 exec, exec, s[0:1]
	s_waitcnt vmcnt(0)
	s_barrier
	buffer_load_dword v57, off, s[24:27], 0 offset:288 ; 4-byte Folded Reload
	buffer_load_dword v58, off, s[24:27], 0 offset:292 ; 4-byte Folded Reload
	;; [unrolled: 1-line block ×4, first 2 shown]
	v_lshl_add_u32 v89, v96, 4, v0
	s_cmp_lt_i32 s3, 16
	s_waitcnt vmcnt(0)
	ds_write2_b64 v89, v[57:58], v[59:60] offset1:1
	s_waitcnt lgkmcnt(0)
	s_barrier
	ds_read2_b64 v[117:120], v0 offset0:28 offset1:29
	v_mov_b32_e32 v89, 14
	s_cbranch_scc1 .LBB112_296
; %bb.294:
	v_add_u32_e32 v90, 0xf0, v0
	s_mov_b32 s0, 15
	v_mov_b32_e32 v89, 14
.LBB112_295:                            ; =>This Inner Loop Header: Depth=1
	s_waitcnt lgkmcnt(0)
	v_cmp_gt_f64_e32 vcc, 0, v[117:118]
	v_xor_b32_e32 v97, 0x80000000, v118
	ds_read2_b64 v[91:94], v90 offset1:1
	v_xor_b32_e32 v99, 0x80000000, v120
	v_add_u32_e32 v90, 16, v90
	s_waitcnt lgkmcnt(0)
	v_xor_b32_e32 v101, 0x80000000, v94
	v_cndmask_b32_e32 v98, v118, v97, vcc
	v_cmp_gt_f64_e32 vcc, 0, v[119:120]
	v_mov_b32_e32 v97, v117
	v_cndmask_b32_e32 v100, v120, v99, vcc
	v_cmp_gt_f64_e32 vcc, 0, v[91:92]
	v_mov_b32_e32 v99, v119
	v_add_f64 v[97:98], v[97:98], v[99:100]
	v_xor_b32_e32 v99, 0x80000000, v92
	v_cndmask_b32_e32 v100, v92, v99, vcc
	v_cmp_gt_f64_e32 vcc, 0, v[93:94]
	v_mov_b32_e32 v99, v91
	v_cndmask_b32_e32 v102, v94, v101, vcc
	v_mov_b32_e32 v101, v93
	v_add_f64 v[99:100], v[99:100], v[101:102]
	v_cmp_lt_f64_e32 vcc, v[97:98], v[99:100]
	v_cndmask_b32_e32 v117, v117, v91, vcc
	v_mov_b32_e32 v91, s0
	s_add_i32 s0, s0, 1
	v_cndmask_b32_e32 v118, v118, v92, vcc
	v_cndmask_b32_e32 v120, v120, v94, vcc
	;; [unrolled: 1-line block ×4, first 2 shown]
	s_cmp_lg_u32 s3, s0
	s_cbranch_scc1 .LBB112_295
.LBB112_296:
	s_waitcnt lgkmcnt(0)
	v_cmp_eq_f64_e32 vcc, 0, v[117:118]
	v_cmp_eq_f64_e64 s[0:1], 0, v[119:120]
	s_and_b64 s[0:1], vcc, s[0:1]
	s_and_saveexec_b64 s[18:19], s[0:1]
	s_xor_b64 s[0:1], exec, s[18:19]
; %bb.297:
	v_cmp_ne_u32_e32 vcc, 0, v95
	v_cndmask_b32_e32 v95, 15, v95, vcc
; %bb.298:
	s_andn2_saveexec_b64 s[0:1], s[0:1]
	s_cbranch_execz .LBB112_304
; %bb.299:
	v_cmp_ngt_f64_e64 s[18:19], |v[117:118]|, |v[119:120]|
	s_and_saveexec_b64 s[20:21], s[18:19]
	s_xor_b64 s[18:19], exec, s[20:21]
	s_cbranch_execz .LBB112_301
; %bb.300:
	v_div_scale_f64 v[90:91], s[20:21], v[119:120], v[119:120], v[117:118]
	v_rcp_f64_e32 v[92:93], v[90:91]
	v_fma_f64 v[97:98], -v[90:91], v[92:93], 1.0
	v_fma_f64 v[92:93], v[92:93], v[97:98], v[92:93]
	v_div_scale_f64 v[97:98], vcc, v[117:118], v[119:120], v[117:118]
	v_fma_f64 v[99:100], -v[90:91], v[92:93], 1.0
	v_fma_f64 v[92:93], v[92:93], v[99:100], v[92:93]
	v_mul_f64 v[99:100], v[97:98], v[92:93]
	v_fma_f64 v[90:91], -v[90:91], v[99:100], v[97:98]
	v_div_fmas_f64 v[90:91], v[90:91], v[92:93], v[99:100]
	v_div_fixup_f64 v[90:91], v[90:91], v[119:120], v[117:118]
	v_fma_f64 v[92:93], v[117:118], v[90:91], v[119:120]
	v_div_scale_f64 v[97:98], s[20:21], v[92:93], v[92:93], 1.0
	v_div_scale_f64 v[103:104], vcc, 1.0, v[92:93], 1.0
	v_rcp_f64_e32 v[99:100], v[97:98]
	v_fma_f64 v[101:102], -v[97:98], v[99:100], 1.0
	v_fma_f64 v[99:100], v[99:100], v[101:102], v[99:100]
	v_fma_f64 v[101:102], -v[97:98], v[99:100], 1.0
	v_fma_f64 v[99:100], v[99:100], v[101:102], v[99:100]
	v_mul_f64 v[101:102], v[103:104], v[99:100]
	v_fma_f64 v[97:98], -v[97:98], v[101:102], v[103:104]
	v_div_fmas_f64 v[97:98], v[97:98], v[99:100], v[101:102]
	v_div_fixup_f64 v[119:120], v[97:98], v[92:93], 1.0
	v_mul_f64 v[117:118], v[90:91], v[119:120]
	v_xor_b32_e32 v120, 0x80000000, v120
.LBB112_301:
	s_andn2_saveexec_b64 s[18:19], s[18:19]
	s_cbranch_execz .LBB112_303
; %bb.302:
	v_div_scale_f64 v[90:91], s[20:21], v[117:118], v[117:118], v[119:120]
	v_rcp_f64_e32 v[92:93], v[90:91]
	v_fma_f64 v[97:98], -v[90:91], v[92:93], 1.0
	v_fma_f64 v[92:93], v[92:93], v[97:98], v[92:93]
	v_div_scale_f64 v[97:98], vcc, v[119:120], v[117:118], v[119:120]
	v_fma_f64 v[99:100], -v[90:91], v[92:93], 1.0
	v_fma_f64 v[92:93], v[92:93], v[99:100], v[92:93]
	v_mul_f64 v[99:100], v[97:98], v[92:93]
	v_fma_f64 v[90:91], -v[90:91], v[99:100], v[97:98]
	v_div_fmas_f64 v[90:91], v[90:91], v[92:93], v[99:100]
	v_div_fixup_f64 v[90:91], v[90:91], v[117:118], v[119:120]
	v_fma_f64 v[92:93], v[119:120], v[90:91], v[117:118]
	v_div_scale_f64 v[97:98], s[20:21], v[92:93], v[92:93], 1.0
	v_div_scale_f64 v[103:104], vcc, 1.0, v[92:93], 1.0
	v_rcp_f64_e32 v[99:100], v[97:98]
	v_fma_f64 v[101:102], -v[97:98], v[99:100], 1.0
	v_fma_f64 v[99:100], v[99:100], v[101:102], v[99:100]
	v_fma_f64 v[101:102], -v[97:98], v[99:100], 1.0
	v_fma_f64 v[99:100], v[99:100], v[101:102], v[99:100]
	v_mul_f64 v[101:102], v[103:104], v[99:100]
	v_fma_f64 v[97:98], -v[97:98], v[101:102], v[103:104]
	v_div_fmas_f64 v[97:98], v[97:98], v[99:100], v[101:102]
	v_div_fixup_f64 v[117:118], v[97:98], v[92:93], 1.0
	v_mul_f64 v[119:120], v[90:91], -v[117:118]
.LBB112_303:
	s_or_b64 exec, exec, s[18:19]
.LBB112_304:
	s_or_b64 exec, exec, s[0:1]
	v_cmp_ne_u32_e32 vcc, v96, v89
	s_and_saveexec_b64 s[0:1], vcc
	s_xor_b64 s[0:1], exec, s[0:1]
	s_cbranch_execz .LBB112_310
; %bb.305:
	v_cmp_eq_u32_e32 vcc, 14, v96
	s_and_saveexec_b64 s[18:19], vcc
	s_cbranch_execz .LBB112_309
; %bb.306:
	v_cmp_ne_u32_e32 vcc, 14, v89
	s_xor_b64 s[20:21], s[6:7], -1
	s_and_b64 s[22:23], s[20:21], vcc
	s_and_saveexec_b64 s[20:21], s[22:23]
	s_cbranch_execz .LBB112_308
; %bb.307:
	v_mov_b32_e32 v57, v81
	v_mov_b32_e32 v58, v82
	v_mov_b32_e32 v59, v83
	v_mov_b32_e32 v60, v84
	buffer_load_dword v81, off, s[24:27], 0 offset:464 ; 4-byte Folded Reload
	buffer_load_dword v82, off, s[24:27], 0 offset:468 ; 4-byte Folded Reload
	v_ashrrev_i32_e32 v90, 31, v89
	v_lshlrev_b64 v[90:91], 2, v[89:90]
	s_waitcnt vmcnt(1)
	v_add_co_u32_e32 v90, vcc, v81, v90
	s_waitcnt vmcnt(0)
	v_addc_co_u32_e32 v91, vcc, v82, v91, vcc
	global_load_dword v92, v[90:91], off
	global_load_dword v93, v[81:82], off offset:56
	s_waitcnt vmcnt(1)
	global_store_dword v[81:82], v92, off offset:56
	v_mov_b32_e32 v84, v60
	v_mov_b32_e32 v83, v59
	;; [unrolled: 1-line block ×4, first 2 shown]
	s_waitcnt vmcnt(1)
	global_store_dword v[90:91], v93, off
.LBB112_308:
	s_or_b64 exec, exec, s[20:21]
	v_mov_b32_e32 v96, v89
	v_mov_b32_e32 v127, v89
.LBB112_309:
	s_or_b64 exec, exec, s[18:19]
.LBB112_310:
	s_andn2_saveexec_b64 s[0:1], s[0:1]
	s_cbranch_execz .LBB112_312
; %bb.311:
	buffer_load_dword v57, off, s[24:27], 0 offset:272 ; 4-byte Folded Reload
	buffer_load_dword v58, off, s[24:27], 0 offset:276 ; 4-byte Folded Reload
	buffer_load_dword v59, off, s[24:27], 0 offset:280 ; 4-byte Folded Reload
	buffer_load_dword v60, off, s[24:27], 0 offset:284 ; 4-byte Folded Reload
	v_mov_b32_e32 v96, 14
	s_waitcnt vmcnt(0)
	ds_write2_b64 v0, v[57:58], v[59:60] offset0:30 offset1:31
	buffer_load_dword v57, off, s[24:27], 0 offset:256 ; 4-byte Folded Reload
	buffer_load_dword v58, off, s[24:27], 0 offset:260 ; 4-byte Folded Reload
	buffer_load_dword v59, off, s[24:27], 0 offset:264 ; 4-byte Folded Reload
	buffer_load_dword v60, off, s[24:27], 0 offset:268 ; 4-byte Folded Reload
	s_waitcnt vmcnt(0)
	ds_write2_b64 v0, v[57:58], v[59:60] offset0:32 offset1:33
	buffer_load_dword v57, off, s[24:27], 0 offset:240 ; 4-byte Folded Reload
	buffer_load_dword v58, off, s[24:27], 0 offset:244 ; 4-byte Folded Reload
	buffer_load_dword v59, off, s[24:27], 0 offset:248 ; 4-byte Folded Reload
	buffer_load_dword v60, off, s[24:27], 0 offset:252 ; 4-byte Folded Reload
	;; [unrolled: 6-line block ×16, first 2 shown]
	s_waitcnt vmcnt(0)
	ds_write2_b64 v0, v[57:58], v[59:60] offset0:62 offset1:63
	ds_write2_b64 v0, v[81:82], v[83:84] offset0:64 offset1:65
	;; [unrolled: 1-line block ×10, first 2 shown]
	buffer_load_dword v57, off, s[24:27], 0 ; 4-byte Folded Reload
	buffer_load_dword v58, off, s[24:27], 0 offset:4 ; 4-byte Folded Reload
	buffer_load_dword v59, off, s[24:27], 0 offset:8 ; 4-byte Folded Reload
	;; [unrolled: 1-line block ×3, first 2 shown]
	s_waitcnt vmcnt(0)
	ds_write2_b64 v0, v[57:58], v[59:60] offset0:82 offset1:83
	ds_write2_b64 v0, v[53:54], v[55:56] offset0:84 offset1:85
	;; [unrolled: 1-line block ×16, first 2 shown]
.LBB112_312:
	s_or_b64 exec, exec, s[0:1]
	v_cmp_lt_i32_e32 vcc, 14, v96
	s_waitcnt vmcnt(0) lgkmcnt(0)
	s_barrier
	s_and_saveexec_b64 s[0:1], vcc
	s_cbranch_execz .LBB112_314
; %bb.313:
	buffer_load_dword v97, off, s[24:27], 0 offset:288 ; 4-byte Folded Reload
	buffer_load_dword v98, off, s[24:27], 0 offset:292 ; 4-byte Folded Reload
	;; [unrolled: 1-line block ×4, first 2 shown]
	s_waitcnt vmcnt(0)
	v_mul_f64 v[89:90], v[119:120], v[99:100]
	v_fma_f64 v[125:126], v[117:118], v[97:98], -v[89:90]
	v_mul_f64 v[89:90], v[117:118], v[99:100]
	v_fma_f64 v[99:100], v[119:120], v[97:98], v[89:90]
	ds_read2_b64 v[89:92], v0 offset0:30 offset1:31
	buffer_load_dword v57, off, s[24:27], 0 offset:272 ; 4-byte Folded Reload
	buffer_load_dword v58, off, s[24:27], 0 offset:276 ; 4-byte Folded Reload
	;; [unrolled: 1-line block ×4, first 2 shown]
	v_mov_b32_e32 v97, v125
	v_mov_b32_e32 v98, v126
	s_waitcnt lgkmcnt(0)
	v_mul_f64 v[93:94], v[91:92], v[99:100]
	v_fma_f64 v[93:94], v[89:90], v[125:126], -v[93:94]
	v_mul_f64 v[89:90], v[89:90], v[99:100]
	v_fma_f64 v[89:90], v[91:92], v[125:126], v[89:90]
	s_waitcnt vmcnt(2)
	v_add_f64 v[57:58], v[57:58], -v[93:94]
	s_waitcnt vmcnt(0)
	v_add_f64 v[59:60], v[59:60], -v[89:90]
	buffer_store_dword v57, off, s[24:27], 0 offset:272 ; 4-byte Folded Spill
	s_nop 0
	buffer_store_dword v58, off, s[24:27], 0 offset:276 ; 4-byte Folded Spill
	buffer_store_dword v59, off, s[24:27], 0 offset:280 ; 4-byte Folded Spill
	buffer_store_dword v60, off, s[24:27], 0 offset:284 ; 4-byte Folded Spill
	ds_read2_b64 v[89:92], v0 offset0:32 offset1:33
	buffer_load_dword v57, off, s[24:27], 0 offset:256 ; 4-byte Folded Reload
	buffer_load_dword v58, off, s[24:27], 0 offset:260 ; 4-byte Folded Reload
	buffer_load_dword v59, off, s[24:27], 0 offset:264 ; 4-byte Folded Reload
	buffer_load_dword v60, off, s[24:27], 0 offset:268 ; 4-byte Folded Reload
	s_waitcnt lgkmcnt(0)
	v_mul_f64 v[93:94], v[91:92], v[99:100]
	v_fma_f64 v[93:94], v[89:90], v[125:126], -v[93:94]
	v_mul_f64 v[89:90], v[89:90], v[99:100]
	v_fma_f64 v[89:90], v[91:92], v[125:126], v[89:90]
	s_waitcnt vmcnt(2)
	v_add_f64 v[57:58], v[57:58], -v[93:94]
	s_waitcnt vmcnt(0)
	v_add_f64 v[59:60], v[59:60], -v[89:90]
	buffer_store_dword v57, off, s[24:27], 0 offset:256 ; 4-byte Folded Spill
	s_nop 0
	buffer_store_dword v58, off, s[24:27], 0 offset:260 ; 4-byte Folded Spill
	buffer_store_dword v59, off, s[24:27], 0 offset:264 ; 4-byte Folded Spill
	buffer_store_dword v60, off, s[24:27], 0 offset:268 ; 4-byte Folded Spill
	ds_read2_b64 v[89:92], v0 offset0:34 offset1:35
	buffer_load_dword v57, off, s[24:27], 0 offset:240 ; 4-byte Folded Reload
	buffer_load_dword v58, off, s[24:27], 0 offset:244 ; 4-byte Folded Reload
	buffer_load_dword v59, off, s[24:27], 0 offset:248 ; 4-byte Folded Reload
	buffer_load_dword v60, off, s[24:27], 0 offset:252 ; 4-byte Folded Reload
	;; [unrolled: 19-line block ×16, first 2 shown]
	s_waitcnt lgkmcnt(0)
	v_mul_f64 v[93:94], v[91:92], v[99:100]
	v_fma_f64 v[93:94], v[89:90], v[125:126], -v[93:94]
	v_mul_f64 v[89:90], v[89:90], v[99:100]
	v_fma_f64 v[89:90], v[91:92], v[125:126], v[89:90]
	s_waitcnt vmcnt(2)
	v_add_f64 v[57:58], v[57:58], -v[93:94]
	s_waitcnt vmcnt(0)
	v_add_f64 v[59:60], v[59:60], -v[89:90]
	buffer_store_dword v57, off, s[24:27], 0 offset:16 ; 4-byte Folded Spill
	s_nop 0
	buffer_store_dword v58, off, s[24:27], 0 offset:20 ; 4-byte Folded Spill
	buffer_store_dword v59, off, s[24:27], 0 offset:24 ; 4-byte Folded Spill
	;; [unrolled: 1-line block ×3, first 2 shown]
	ds_read2_b64 v[89:92], v0 offset0:64 offset1:65
	s_waitcnt lgkmcnt(0)
	v_mul_f64 v[93:94], v[91:92], v[99:100]
	v_fma_f64 v[93:94], v[89:90], v[125:126], -v[93:94]
	v_mul_f64 v[89:90], v[89:90], v[99:100]
	v_add_f64 v[81:82], v[81:82], -v[93:94]
	v_fma_f64 v[89:90], v[91:92], v[125:126], v[89:90]
	v_add_f64 v[83:84], v[83:84], -v[89:90]
	ds_read2_b64 v[89:92], v0 offset0:66 offset1:67
	s_waitcnt lgkmcnt(0)
	v_mul_f64 v[93:94], v[91:92], v[99:100]
	v_fma_f64 v[93:94], v[89:90], v[125:126], -v[93:94]
	v_mul_f64 v[89:90], v[89:90], v[99:100]
	v_add_f64 v[85:86], v[85:86], -v[93:94]
	v_fma_f64 v[89:90], v[91:92], v[125:126], v[89:90]
	v_add_f64 v[87:88], v[87:88], -v[89:90]
	;; [unrolled: 8-line block ×9, first 2 shown]
	ds_read2_b64 v[89:92], v0 offset0:82 offset1:83
	buffer_load_dword v57, off, s[24:27], 0 ; 4-byte Folded Reload
	buffer_load_dword v58, off, s[24:27], 0 offset:4 ; 4-byte Folded Reload
	buffer_load_dword v59, off, s[24:27], 0 offset:8 ; 4-byte Folded Reload
	;; [unrolled: 1-line block ×3, first 2 shown]
	s_waitcnt lgkmcnt(0)
	v_mul_f64 v[93:94], v[91:92], v[99:100]
	v_fma_f64 v[93:94], v[89:90], v[125:126], -v[93:94]
	v_mul_f64 v[89:90], v[89:90], v[99:100]
	v_fma_f64 v[89:90], v[91:92], v[125:126], v[89:90]
	s_waitcnt vmcnt(2)
	v_add_f64 v[57:58], v[57:58], -v[93:94]
	s_waitcnt vmcnt(0)
	v_add_f64 v[59:60], v[59:60], -v[89:90]
	buffer_store_dword v57, off, s[24:27], 0 ; 4-byte Folded Spill
	s_nop 0
	buffer_store_dword v58, off, s[24:27], 0 offset:4 ; 4-byte Folded Spill
	buffer_store_dword v59, off, s[24:27], 0 offset:8 ; 4-byte Folded Spill
	;; [unrolled: 1-line block ×3, first 2 shown]
	ds_read2_b64 v[89:92], v0 offset0:84 offset1:85
	s_waitcnt lgkmcnt(0)
	v_mul_f64 v[93:94], v[91:92], v[99:100]
	v_fma_f64 v[93:94], v[89:90], v[125:126], -v[93:94]
	v_mul_f64 v[89:90], v[89:90], v[99:100]
	v_add_f64 v[53:54], v[53:54], -v[93:94]
	v_fma_f64 v[89:90], v[91:92], v[125:126], v[89:90]
	v_add_f64 v[55:56], v[55:56], -v[89:90]
	ds_read2_b64 v[89:92], v0 offset0:86 offset1:87
	s_waitcnt lgkmcnt(0)
	v_mul_f64 v[93:94], v[91:92], v[99:100]
	v_fma_f64 v[93:94], v[89:90], v[125:126], -v[93:94]
	v_mul_f64 v[89:90], v[89:90], v[99:100]
	v_add_f64 v[49:50], v[49:50], -v[93:94]
	v_fma_f64 v[89:90], v[91:92], v[125:126], v[89:90]
	v_add_f64 v[51:52], v[51:52], -v[89:90]
	;; [unrolled: 8-line block ×14, first 2 shown]
	ds_read2_b64 v[89:92], v0 offset0:112 offset1:113
	s_waitcnt lgkmcnt(0)
	v_mul_f64 v[93:94], v[91:92], v[99:100]
	v_fma_f64 v[93:94], v[89:90], v[125:126], -v[93:94]
	v_mul_f64 v[89:90], v[89:90], v[99:100]
	buffer_store_dword v97, off, s[24:27], 0 offset:288 ; 4-byte Folded Spill
	s_nop 0
	buffer_store_dword v98, off, s[24:27], 0 offset:292 ; 4-byte Folded Spill
	buffer_store_dword v99, off, s[24:27], 0 offset:296 ; 4-byte Folded Spill
	;; [unrolled: 1-line block ×3, first 2 shown]
	v_add_f64 v[121:122], v[121:122], -v[93:94]
	v_fma_f64 v[89:90], v[91:92], v[125:126], v[89:90]
	v_add_f64 v[123:124], v[123:124], -v[89:90]
.LBB112_314:
	s_or_b64 exec, exec, s[0:1]
	s_waitcnt vmcnt(0)
	s_barrier
	buffer_load_dword v57, off, s[24:27], 0 offset:272 ; 4-byte Folded Reload
	buffer_load_dword v58, off, s[24:27], 0 offset:276 ; 4-byte Folded Reload
	;; [unrolled: 1-line block ×4, first 2 shown]
	v_lshl_add_u32 v89, v96, 4, v0
	s_cmp_lt_i32 s3, 17
	s_waitcnt vmcnt(0)
	ds_write2_b64 v89, v[57:58], v[59:60] offset1:1
	s_waitcnt lgkmcnt(0)
	s_barrier
	ds_read2_b64 v[117:120], v0 offset0:30 offset1:31
	v_mov_b32_e32 v89, 15
	s_cbranch_scc1 .LBB112_317
; %bb.315:
	v_add_u32_e32 v90, 0x100, v0
	s_mov_b32 s0, 16
	v_mov_b32_e32 v89, 15
.LBB112_316:                            ; =>This Inner Loop Header: Depth=1
	s_waitcnt lgkmcnt(0)
	v_cmp_gt_f64_e32 vcc, 0, v[117:118]
	v_xor_b32_e32 v97, 0x80000000, v118
	ds_read2_b64 v[91:94], v90 offset1:1
	v_xor_b32_e32 v99, 0x80000000, v120
	v_add_u32_e32 v90, 16, v90
	s_waitcnt lgkmcnt(0)
	v_xor_b32_e32 v101, 0x80000000, v94
	v_cndmask_b32_e32 v98, v118, v97, vcc
	v_cmp_gt_f64_e32 vcc, 0, v[119:120]
	v_mov_b32_e32 v97, v117
	v_cndmask_b32_e32 v100, v120, v99, vcc
	v_cmp_gt_f64_e32 vcc, 0, v[91:92]
	v_mov_b32_e32 v99, v119
	v_add_f64 v[97:98], v[97:98], v[99:100]
	v_xor_b32_e32 v99, 0x80000000, v92
	v_cndmask_b32_e32 v100, v92, v99, vcc
	v_cmp_gt_f64_e32 vcc, 0, v[93:94]
	v_mov_b32_e32 v99, v91
	v_cndmask_b32_e32 v102, v94, v101, vcc
	v_mov_b32_e32 v101, v93
	v_add_f64 v[99:100], v[99:100], v[101:102]
	v_cmp_lt_f64_e32 vcc, v[97:98], v[99:100]
	v_cndmask_b32_e32 v117, v117, v91, vcc
	v_mov_b32_e32 v91, s0
	s_add_i32 s0, s0, 1
	v_cndmask_b32_e32 v118, v118, v92, vcc
	v_cndmask_b32_e32 v120, v120, v94, vcc
	;; [unrolled: 1-line block ×4, first 2 shown]
	s_cmp_lg_u32 s3, s0
	s_cbranch_scc1 .LBB112_316
.LBB112_317:
	s_waitcnt lgkmcnt(0)
	v_cmp_eq_f64_e32 vcc, 0, v[117:118]
	v_cmp_eq_f64_e64 s[0:1], 0, v[119:120]
	s_and_b64 s[0:1], vcc, s[0:1]
	s_and_saveexec_b64 s[18:19], s[0:1]
	s_xor_b64 s[0:1], exec, s[18:19]
; %bb.318:
	v_cmp_ne_u32_e32 vcc, 0, v95
	v_cndmask_b32_e32 v95, 16, v95, vcc
; %bb.319:
	s_andn2_saveexec_b64 s[0:1], s[0:1]
	s_cbranch_execz .LBB112_325
; %bb.320:
	v_cmp_ngt_f64_e64 s[18:19], |v[117:118]|, |v[119:120]|
	s_and_saveexec_b64 s[20:21], s[18:19]
	s_xor_b64 s[18:19], exec, s[20:21]
	s_cbranch_execz .LBB112_322
; %bb.321:
	v_div_scale_f64 v[90:91], s[20:21], v[119:120], v[119:120], v[117:118]
	v_rcp_f64_e32 v[92:93], v[90:91]
	v_fma_f64 v[97:98], -v[90:91], v[92:93], 1.0
	v_fma_f64 v[92:93], v[92:93], v[97:98], v[92:93]
	v_div_scale_f64 v[97:98], vcc, v[117:118], v[119:120], v[117:118]
	v_fma_f64 v[99:100], -v[90:91], v[92:93], 1.0
	v_fma_f64 v[92:93], v[92:93], v[99:100], v[92:93]
	v_mul_f64 v[99:100], v[97:98], v[92:93]
	v_fma_f64 v[90:91], -v[90:91], v[99:100], v[97:98]
	v_div_fmas_f64 v[90:91], v[90:91], v[92:93], v[99:100]
	v_div_fixup_f64 v[90:91], v[90:91], v[119:120], v[117:118]
	v_fma_f64 v[92:93], v[117:118], v[90:91], v[119:120]
	v_div_scale_f64 v[97:98], s[20:21], v[92:93], v[92:93], 1.0
	v_div_scale_f64 v[103:104], vcc, 1.0, v[92:93], 1.0
	v_rcp_f64_e32 v[99:100], v[97:98]
	v_fma_f64 v[101:102], -v[97:98], v[99:100], 1.0
	v_fma_f64 v[99:100], v[99:100], v[101:102], v[99:100]
	v_fma_f64 v[101:102], -v[97:98], v[99:100], 1.0
	v_fma_f64 v[99:100], v[99:100], v[101:102], v[99:100]
	v_mul_f64 v[101:102], v[103:104], v[99:100]
	v_fma_f64 v[97:98], -v[97:98], v[101:102], v[103:104]
	v_div_fmas_f64 v[97:98], v[97:98], v[99:100], v[101:102]
	v_div_fixup_f64 v[119:120], v[97:98], v[92:93], 1.0
	v_mul_f64 v[117:118], v[90:91], v[119:120]
	v_xor_b32_e32 v120, 0x80000000, v120
.LBB112_322:
	s_andn2_saveexec_b64 s[18:19], s[18:19]
	s_cbranch_execz .LBB112_324
; %bb.323:
	v_div_scale_f64 v[90:91], s[20:21], v[117:118], v[117:118], v[119:120]
	v_rcp_f64_e32 v[92:93], v[90:91]
	v_fma_f64 v[97:98], -v[90:91], v[92:93], 1.0
	v_fma_f64 v[92:93], v[92:93], v[97:98], v[92:93]
	v_div_scale_f64 v[97:98], vcc, v[119:120], v[117:118], v[119:120]
	v_fma_f64 v[99:100], -v[90:91], v[92:93], 1.0
	v_fma_f64 v[92:93], v[92:93], v[99:100], v[92:93]
	v_mul_f64 v[99:100], v[97:98], v[92:93]
	v_fma_f64 v[90:91], -v[90:91], v[99:100], v[97:98]
	v_div_fmas_f64 v[90:91], v[90:91], v[92:93], v[99:100]
	v_div_fixup_f64 v[90:91], v[90:91], v[117:118], v[119:120]
	v_fma_f64 v[92:93], v[119:120], v[90:91], v[117:118]
	v_div_scale_f64 v[97:98], s[20:21], v[92:93], v[92:93], 1.0
	v_div_scale_f64 v[103:104], vcc, 1.0, v[92:93], 1.0
	v_rcp_f64_e32 v[99:100], v[97:98]
	v_fma_f64 v[101:102], -v[97:98], v[99:100], 1.0
	v_fma_f64 v[99:100], v[99:100], v[101:102], v[99:100]
	v_fma_f64 v[101:102], -v[97:98], v[99:100], 1.0
	v_fma_f64 v[99:100], v[99:100], v[101:102], v[99:100]
	v_mul_f64 v[101:102], v[103:104], v[99:100]
	v_fma_f64 v[97:98], -v[97:98], v[101:102], v[103:104]
	v_div_fmas_f64 v[97:98], v[97:98], v[99:100], v[101:102]
	v_div_fixup_f64 v[117:118], v[97:98], v[92:93], 1.0
	v_mul_f64 v[119:120], v[90:91], -v[117:118]
.LBB112_324:
	s_or_b64 exec, exec, s[18:19]
.LBB112_325:
	s_or_b64 exec, exec, s[0:1]
	v_cmp_ne_u32_e32 vcc, v96, v89
	s_and_saveexec_b64 s[0:1], vcc
	s_xor_b64 s[0:1], exec, s[0:1]
	s_cbranch_execz .LBB112_331
; %bb.326:
	v_cmp_eq_u32_e32 vcc, 15, v96
	s_and_saveexec_b64 s[18:19], vcc
	s_cbranch_execz .LBB112_330
; %bb.327:
	v_cmp_ne_u32_e32 vcc, 15, v89
	s_xor_b64 s[20:21], s[6:7], -1
	s_and_b64 s[22:23], s[20:21], vcc
	s_and_saveexec_b64 s[20:21], s[22:23]
	s_cbranch_execz .LBB112_329
; %bb.328:
	v_mov_b32_e32 v57, v81
	v_mov_b32_e32 v58, v82
	;; [unrolled: 1-line block ×4, first 2 shown]
	buffer_load_dword v81, off, s[24:27], 0 offset:464 ; 4-byte Folded Reload
	buffer_load_dword v82, off, s[24:27], 0 offset:468 ; 4-byte Folded Reload
	v_ashrrev_i32_e32 v90, 31, v89
	v_lshlrev_b64 v[90:91], 2, v[89:90]
	s_waitcnt vmcnt(1)
	v_add_co_u32_e32 v90, vcc, v81, v90
	s_waitcnt vmcnt(0)
	v_addc_co_u32_e32 v91, vcc, v82, v91, vcc
	global_load_dword v92, v[90:91], off
	global_load_dword v93, v[81:82], off offset:60
	s_waitcnt vmcnt(1)
	global_store_dword v[81:82], v92, off offset:60
	v_mov_b32_e32 v84, v60
	v_mov_b32_e32 v83, v59
	v_mov_b32_e32 v82, v58
	v_mov_b32_e32 v81, v57
	s_waitcnt vmcnt(1)
	global_store_dword v[90:91], v93, off
.LBB112_329:
	s_or_b64 exec, exec, s[20:21]
	v_mov_b32_e32 v96, v89
	v_mov_b32_e32 v127, v89
.LBB112_330:
	s_or_b64 exec, exec, s[18:19]
.LBB112_331:
	s_andn2_saveexec_b64 s[0:1], s[0:1]
	s_cbranch_execz .LBB112_333
; %bb.332:
	buffer_load_dword v57, off, s[24:27], 0 offset:256 ; 4-byte Folded Reload
	buffer_load_dword v58, off, s[24:27], 0 offset:260 ; 4-byte Folded Reload
	;; [unrolled: 1-line block ×4, first 2 shown]
	v_mov_b32_e32 v96, 15
	s_waitcnt vmcnt(0)
	ds_write2_b64 v0, v[57:58], v[59:60] offset0:32 offset1:33
	buffer_load_dword v57, off, s[24:27], 0 offset:240 ; 4-byte Folded Reload
	buffer_load_dword v58, off, s[24:27], 0 offset:244 ; 4-byte Folded Reload
	buffer_load_dword v59, off, s[24:27], 0 offset:248 ; 4-byte Folded Reload
	buffer_load_dword v60, off, s[24:27], 0 offset:252 ; 4-byte Folded Reload
	s_waitcnt vmcnt(0)
	ds_write2_b64 v0, v[57:58], v[59:60] offset0:34 offset1:35
	buffer_load_dword v57, off, s[24:27], 0 offset:224 ; 4-byte Folded Reload
	buffer_load_dword v58, off, s[24:27], 0 offset:228 ; 4-byte Folded Reload
	buffer_load_dword v59, off, s[24:27], 0 offset:232 ; 4-byte Folded Reload
	buffer_load_dword v60, off, s[24:27], 0 offset:236 ; 4-byte Folded Reload
	s_waitcnt vmcnt(0)
	ds_write2_b64 v0, v[57:58], v[59:60] offset0:36 offset1:37
	buffer_load_dword v57, off, s[24:27], 0 offset:208 ; 4-byte Folded Reload
	buffer_load_dword v58, off, s[24:27], 0 offset:212 ; 4-byte Folded Reload
	buffer_load_dword v59, off, s[24:27], 0 offset:216 ; 4-byte Folded Reload
	buffer_load_dword v60, off, s[24:27], 0 offset:220 ; 4-byte Folded Reload
	s_waitcnt vmcnt(0)
	ds_write2_b64 v0, v[57:58], v[59:60] offset0:38 offset1:39
	buffer_load_dword v57, off, s[24:27], 0 offset:192 ; 4-byte Folded Reload
	buffer_load_dword v58, off, s[24:27], 0 offset:196 ; 4-byte Folded Reload
	buffer_load_dword v59, off, s[24:27], 0 offset:200 ; 4-byte Folded Reload
	buffer_load_dword v60, off, s[24:27], 0 offset:204 ; 4-byte Folded Reload
	s_waitcnt vmcnt(0)
	ds_write2_b64 v0, v[57:58], v[59:60] offset0:40 offset1:41
	buffer_load_dword v57, off, s[24:27], 0 offset:176 ; 4-byte Folded Reload
	buffer_load_dword v58, off, s[24:27], 0 offset:180 ; 4-byte Folded Reload
	buffer_load_dword v59, off, s[24:27], 0 offset:184 ; 4-byte Folded Reload
	buffer_load_dword v60, off, s[24:27], 0 offset:188 ; 4-byte Folded Reload
	s_waitcnt vmcnt(0)
	ds_write2_b64 v0, v[57:58], v[59:60] offset0:42 offset1:43
	buffer_load_dword v57, off, s[24:27], 0 offset:160 ; 4-byte Folded Reload
	buffer_load_dword v58, off, s[24:27], 0 offset:164 ; 4-byte Folded Reload
	buffer_load_dword v59, off, s[24:27], 0 offset:168 ; 4-byte Folded Reload
	buffer_load_dword v60, off, s[24:27], 0 offset:172 ; 4-byte Folded Reload
	s_waitcnt vmcnt(0)
	ds_write2_b64 v0, v[57:58], v[59:60] offset0:44 offset1:45
	buffer_load_dword v57, off, s[24:27], 0 offset:144 ; 4-byte Folded Reload
	buffer_load_dword v58, off, s[24:27], 0 offset:148 ; 4-byte Folded Reload
	buffer_load_dword v59, off, s[24:27], 0 offset:152 ; 4-byte Folded Reload
	buffer_load_dword v60, off, s[24:27], 0 offset:156 ; 4-byte Folded Reload
	s_waitcnt vmcnt(0)
	ds_write2_b64 v0, v[57:58], v[59:60] offset0:46 offset1:47
	buffer_load_dword v57, off, s[24:27], 0 offset:128 ; 4-byte Folded Reload
	buffer_load_dword v58, off, s[24:27], 0 offset:132 ; 4-byte Folded Reload
	buffer_load_dword v59, off, s[24:27], 0 offset:136 ; 4-byte Folded Reload
	buffer_load_dword v60, off, s[24:27], 0 offset:140 ; 4-byte Folded Reload
	s_waitcnt vmcnt(0)
	ds_write2_b64 v0, v[57:58], v[59:60] offset0:48 offset1:49
	buffer_load_dword v57, off, s[24:27], 0 offset:112 ; 4-byte Folded Reload
	buffer_load_dword v58, off, s[24:27], 0 offset:116 ; 4-byte Folded Reload
	buffer_load_dword v59, off, s[24:27], 0 offset:120 ; 4-byte Folded Reload
	buffer_load_dword v60, off, s[24:27], 0 offset:124 ; 4-byte Folded Reload
	s_waitcnt vmcnt(0)
	ds_write2_b64 v0, v[57:58], v[59:60] offset0:50 offset1:51
	buffer_load_dword v57, off, s[24:27], 0 offset:96 ; 4-byte Folded Reload
	buffer_load_dword v58, off, s[24:27], 0 offset:100 ; 4-byte Folded Reload
	buffer_load_dword v59, off, s[24:27], 0 offset:104 ; 4-byte Folded Reload
	buffer_load_dword v60, off, s[24:27], 0 offset:108 ; 4-byte Folded Reload
	s_waitcnt vmcnt(0)
	ds_write2_b64 v0, v[57:58], v[59:60] offset0:52 offset1:53
	buffer_load_dword v57, off, s[24:27], 0 offset:80 ; 4-byte Folded Reload
	buffer_load_dword v58, off, s[24:27], 0 offset:84 ; 4-byte Folded Reload
	buffer_load_dword v59, off, s[24:27], 0 offset:88 ; 4-byte Folded Reload
	buffer_load_dword v60, off, s[24:27], 0 offset:92 ; 4-byte Folded Reload
	s_waitcnt vmcnt(0)
	ds_write2_b64 v0, v[57:58], v[59:60] offset0:54 offset1:55
	buffer_load_dword v57, off, s[24:27], 0 offset:64 ; 4-byte Folded Reload
	buffer_load_dword v58, off, s[24:27], 0 offset:68 ; 4-byte Folded Reload
	buffer_load_dword v59, off, s[24:27], 0 offset:72 ; 4-byte Folded Reload
	buffer_load_dword v60, off, s[24:27], 0 offset:76 ; 4-byte Folded Reload
	s_waitcnt vmcnt(0)
	ds_write2_b64 v0, v[57:58], v[59:60] offset0:56 offset1:57
	buffer_load_dword v57, off, s[24:27], 0 offset:48 ; 4-byte Folded Reload
	buffer_load_dword v58, off, s[24:27], 0 offset:52 ; 4-byte Folded Reload
	buffer_load_dword v59, off, s[24:27], 0 offset:56 ; 4-byte Folded Reload
	buffer_load_dword v60, off, s[24:27], 0 offset:60 ; 4-byte Folded Reload
	s_waitcnt vmcnt(0)
	ds_write2_b64 v0, v[57:58], v[59:60] offset0:58 offset1:59
	buffer_load_dword v57, off, s[24:27], 0 offset:32 ; 4-byte Folded Reload
	buffer_load_dword v58, off, s[24:27], 0 offset:36 ; 4-byte Folded Reload
	buffer_load_dword v59, off, s[24:27], 0 offset:40 ; 4-byte Folded Reload
	buffer_load_dword v60, off, s[24:27], 0 offset:44 ; 4-byte Folded Reload
	s_waitcnt vmcnt(0)
	ds_write2_b64 v0, v[57:58], v[59:60] offset0:60 offset1:61
	buffer_load_dword v57, off, s[24:27], 0 offset:16 ; 4-byte Folded Reload
	buffer_load_dword v58, off, s[24:27], 0 offset:20 ; 4-byte Folded Reload
	buffer_load_dword v59, off, s[24:27], 0 offset:24 ; 4-byte Folded Reload
	buffer_load_dword v60, off, s[24:27], 0 offset:28 ; 4-byte Folded Reload
	s_waitcnt vmcnt(0)
	ds_write2_b64 v0, v[57:58], v[59:60] offset0:62 offset1:63
	ds_write2_b64 v0, v[81:82], v[83:84] offset0:64 offset1:65
	;; [unrolled: 1-line block ×10, first 2 shown]
	buffer_load_dword v57, off, s[24:27], 0 ; 4-byte Folded Reload
	buffer_load_dword v58, off, s[24:27], 0 offset:4 ; 4-byte Folded Reload
	buffer_load_dword v59, off, s[24:27], 0 offset:8 ; 4-byte Folded Reload
	;; [unrolled: 1-line block ×3, first 2 shown]
	s_waitcnt vmcnt(0)
	ds_write2_b64 v0, v[57:58], v[59:60] offset0:82 offset1:83
	ds_write2_b64 v0, v[53:54], v[55:56] offset0:84 offset1:85
	ds_write2_b64 v0, v[49:50], v[51:52] offset0:86 offset1:87
	ds_write2_b64 v0, v[45:46], v[47:48] offset0:88 offset1:89
	ds_write2_b64 v0, v[41:42], v[43:44] offset0:90 offset1:91
	ds_write2_b64 v0, v[37:38], v[39:40] offset0:92 offset1:93
	ds_write2_b64 v0, v[33:34], v[35:36] offset0:94 offset1:95
	ds_write2_b64 v0, v[29:30], v[31:32] offset0:96 offset1:97
	ds_write2_b64 v0, v[25:26], v[27:28] offset0:98 offset1:99
	ds_write2_b64 v0, v[21:22], v[23:24] offset0:100 offset1:101
	ds_write2_b64 v0, v[17:18], v[19:20] offset0:102 offset1:103
	ds_write2_b64 v0, v[13:14], v[15:16] offset0:104 offset1:105
	ds_write2_b64 v0, v[9:10], v[11:12] offset0:106 offset1:107
	ds_write2_b64 v0, v[5:6], v[7:8] offset0:108 offset1:109
	ds_write2_b64 v0, v[1:2], v[3:4] offset0:110 offset1:111
	ds_write2_b64 v0, v[121:122], v[123:124] offset0:112 offset1:113
.LBB112_333:
	s_or_b64 exec, exec, s[0:1]
	v_cmp_lt_i32_e32 vcc, 15, v96
	s_waitcnt vmcnt(0) lgkmcnt(0)
	s_barrier
	s_and_saveexec_b64 s[0:1], vcc
	s_cbranch_execz .LBB112_335
; %bb.334:
	buffer_load_dword v97, off, s[24:27], 0 offset:272 ; 4-byte Folded Reload
	buffer_load_dword v98, off, s[24:27], 0 offset:276 ; 4-byte Folded Reload
	;; [unrolled: 1-line block ×4, first 2 shown]
	s_waitcnt vmcnt(0)
	v_mul_f64 v[89:90], v[119:120], v[99:100]
	v_fma_f64 v[125:126], v[117:118], v[97:98], -v[89:90]
	v_mul_f64 v[89:90], v[117:118], v[99:100]
	v_fma_f64 v[99:100], v[119:120], v[97:98], v[89:90]
	ds_read2_b64 v[89:92], v0 offset0:32 offset1:33
	buffer_load_dword v57, off, s[24:27], 0 offset:256 ; 4-byte Folded Reload
	buffer_load_dword v58, off, s[24:27], 0 offset:260 ; 4-byte Folded Reload
	buffer_load_dword v59, off, s[24:27], 0 offset:264 ; 4-byte Folded Reload
	buffer_load_dword v60, off, s[24:27], 0 offset:268 ; 4-byte Folded Reload
	v_mov_b32_e32 v97, v125
	v_mov_b32_e32 v98, v126
	s_waitcnt lgkmcnt(0)
	v_mul_f64 v[93:94], v[91:92], v[99:100]
	v_fma_f64 v[93:94], v[89:90], v[125:126], -v[93:94]
	v_mul_f64 v[89:90], v[89:90], v[99:100]
	v_fma_f64 v[89:90], v[91:92], v[125:126], v[89:90]
	s_waitcnt vmcnt(2)
	v_add_f64 v[57:58], v[57:58], -v[93:94]
	s_waitcnt vmcnt(0)
	v_add_f64 v[59:60], v[59:60], -v[89:90]
	buffer_store_dword v57, off, s[24:27], 0 offset:256 ; 4-byte Folded Spill
	s_nop 0
	buffer_store_dword v58, off, s[24:27], 0 offset:260 ; 4-byte Folded Spill
	buffer_store_dword v59, off, s[24:27], 0 offset:264 ; 4-byte Folded Spill
	buffer_store_dword v60, off, s[24:27], 0 offset:268 ; 4-byte Folded Spill
	ds_read2_b64 v[89:92], v0 offset0:34 offset1:35
	buffer_load_dword v57, off, s[24:27], 0 offset:240 ; 4-byte Folded Reload
	buffer_load_dword v58, off, s[24:27], 0 offset:244 ; 4-byte Folded Reload
	buffer_load_dword v59, off, s[24:27], 0 offset:248 ; 4-byte Folded Reload
	buffer_load_dword v60, off, s[24:27], 0 offset:252 ; 4-byte Folded Reload
	s_waitcnt lgkmcnt(0)
	v_mul_f64 v[93:94], v[91:92], v[99:100]
	v_fma_f64 v[93:94], v[89:90], v[125:126], -v[93:94]
	v_mul_f64 v[89:90], v[89:90], v[99:100]
	v_fma_f64 v[89:90], v[91:92], v[125:126], v[89:90]
	s_waitcnt vmcnt(2)
	v_add_f64 v[57:58], v[57:58], -v[93:94]
	s_waitcnt vmcnt(0)
	v_add_f64 v[59:60], v[59:60], -v[89:90]
	buffer_store_dword v57, off, s[24:27], 0 offset:240 ; 4-byte Folded Spill
	s_nop 0
	buffer_store_dword v58, off, s[24:27], 0 offset:244 ; 4-byte Folded Spill
	buffer_store_dword v59, off, s[24:27], 0 offset:248 ; 4-byte Folded Spill
	buffer_store_dword v60, off, s[24:27], 0 offset:252 ; 4-byte Folded Spill
	ds_read2_b64 v[89:92], v0 offset0:36 offset1:37
	buffer_load_dword v57, off, s[24:27], 0 offset:224 ; 4-byte Folded Reload
	buffer_load_dword v58, off, s[24:27], 0 offset:228 ; 4-byte Folded Reload
	buffer_load_dword v59, off, s[24:27], 0 offset:232 ; 4-byte Folded Reload
	buffer_load_dword v60, off, s[24:27], 0 offset:236 ; 4-byte Folded Reload
	;; [unrolled: 19-line block ×15, first 2 shown]
	s_waitcnt lgkmcnt(0)
	v_mul_f64 v[93:94], v[91:92], v[99:100]
	v_fma_f64 v[93:94], v[89:90], v[125:126], -v[93:94]
	v_mul_f64 v[89:90], v[89:90], v[99:100]
	v_fma_f64 v[89:90], v[91:92], v[125:126], v[89:90]
	s_waitcnt vmcnt(2)
	v_add_f64 v[57:58], v[57:58], -v[93:94]
	s_waitcnt vmcnt(0)
	v_add_f64 v[59:60], v[59:60], -v[89:90]
	buffer_store_dword v57, off, s[24:27], 0 offset:16 ; 4-byte Folded Spill
	s_nop 0
	buffer_store_dword v58, off, s[24:27], 0 offset:20 ; 4-byte Folded Spill
	buffer_store_dword v59, off, s[24:27], 0 offset:24 ; 4-byte Folded Spill
	;; [unrolled: 1-line block ×3, first 2 shown]
	ds_read2_b64 v[89:92], v0 offset0:64 offset1:65
	s_waitcnt lgkmcnt(0)
	v_mul_f64 v[93:94], v[91:92], v[99:100]
	v_fma_f64 v[93:94], v[89:90], v[125:126], -v[93:94]
	v_mul_f64 v[89:90], v[89:90], v[99:100]
	v_add_f64 v[81:82], v[81:82], -v[93:94]
	v_fma_f64 v[89:90], v[91:92], v[125:126], v[89:90]
	v_add_f64 v[83:84], v[83:84], -v[89:90]
	ds_read2_b64 v[89:92], v0 offset0:66 offset1:67
	s_waitcnt lgkmcnt(0)
	v_mul_f64 v[93:94], v[91:92], v[99:100]
	v_fma_f64 v[93:94], v[89:90], v[125:126], -v[93:94]
	v_mul_f64 v[89:90], v[89:90], v[99:100]
	v_add_f64 v[85:86], v[85:86], -v[93:94]
	v_fma_f64 v[89:90], v[91:92], v[125:126], v[89:90]
	v_add_f64 v[87:88], v[87:88], -v[89:90]
	;; [unrolled: 8-line block ×9, first 2 shown]
	ds_read2_b64 v[89:92], v0 offset0:82 offset1:83
	buffer_load_dword v57, off, s[24:27], 0 ; 4-byte Folded Reload
	buffer_load_dword v58, off, s[24:27], 0 offset:4 ; 4-byte Folded Reload
	buffer_load_dword v59, off, s[24:27], 0 offset:8 ; 4-byte Folded Reload
	;; [unrolled: 1-line block ×3, first 2 shown]
	s_waitcnt lgkmcnt(0)
	v_mul_f64 v[93:94], v[91:92], v[99:100]
	v_fma_f64 v[93:94], v[89:90], v[125:126], -v[93:94]
	v_mul_f64 v[89:90], v[89:90], v[99:100]
	v_fma_f64 v[89:90], v[91:92], v[125:126], v[89:90]
	s_waitcnt vmcnt(2)
	v_add_f64 v[57:58], v[57:58], -v[93:94]
	s_waitcnt vmcnt(0)
	v_add_f64 v[59:60], v[59:60], -v[89:90]
	buffer_store_dword v57, off, s[24:27], 0 ; 4-byte Folded Spill
	s_nop 0
	buffer_store_dword v58, off, s[24:27], 0 offset:4 ; 4-byte Folded Spill
	buffer_store_dword v59, off, s[24:27], 0 offset:8 ; 4-byte Folded Spill
	;; [unrolled: 1-line block ×3, first 2 shown]
	ds_read2_b64 v[89:92], v0 offset0:84 offset1:85
	s_waitcnt lgkmcnt(0)
	v_mul_f64 v[93:94], v[91:92], v[99:100]
	v_fma_f64 v[93:94], v[89:90], v[125:126], -v[93:94]
	v_mul_f64 v[89:90], v[89:90], v[99:100]
	v_add_f64 v[53:54], v[53:54], -v[93:94]
	v_fma_f64 v[89:90], v[91:92], v[125:126], v[89:90]
	v_add_f64 v[55:56], v[55:56], -v[89:90]
	ds_read2_b64 v[89:92], v0 offset0:86 offset1:87
	s_waitcnt lgkmcnt(0)
	v_mul_f64 v[93:94], v[91:92], v[99:100]
	v_fma_f64 v[93:94], v[89:90], v[125:126], -v[93:94]
	v_mul_f64 v[89:90], v[89:90], v[99:100]
	v_add_f64 v[49:50], v[49:50], -v[93:94]
	v_fma_f64 v[89:90], v[91:92], v[125:126], v[89:90]
	v_add_f64 v[51:52], v[51:52], -v[89:90]
	;; [unrolled: 8-line block ×14, first 2 shown]
	ds_read2_b64 v[89:92], v0 offset0:112 offset1:113
	s_waitcnt lgkmcnt(0)
	v_mul_f64 v[93:94], v[91:92], v[99:100]
	v_fma_f64 v[93:94], v[89:90], v[125:126], -v[93:94]
	v_mul_f64 v[89:90], v[89:90], v[99:100]
	buffer_store_dword v97, off, s[24:27], 0 offset:272 ; 4-byte Folded Spill
	s_nop 0
	buffer_store_dword v98, off, s[24:27], 0 offset:276 ; 4-byte Folded Spill
	buffer_store_dword v99, off, s[24:27], 0 offset:280 ; 4-byte Folded Spill
	;; [unrolled: 1-line block ×3, first 2 shown]
	v_add_f64 v[121:122], v[121:122], -v[93:94]
	v_fma_f64 v[89:90], v[91:92], v[125:126], v[89:90]
	v_add_f64 v[123:124], v[123:124], -v[89:90]
.LBB112_335:
	s_or_b64 exec, exec, s[0:1]
	s_waitcnt vmcnt(0)
	s_barrier
	buffer_load_dword v57, off, s[24:27], 0 offset:256 ; 4-byte Folded Reload
	buffer_load_dword v58, off, s[24:27], 0 offset:260 ; 4-byte Folded Reload
	buffer_load_dword v59, off, s[24:27], 0 offset:264 ; 4-byte Folded Reload
	buffer_load_dword v60, off, s[24:27], 0 offset:268 ; 4-byte Folded Reload
	v_lshl_add_u32 v89, v96, 4, v0
	s_cmp_lt_i32 s3, 18
	s_waitcnt vmcnt(0)
	ds_write2_b64 v89, v[57:58], v[59:60] offset1:1
	s_waitcnt lgkmcnt(0)
	s_barrier
	ds_read2_b64 v[117:120], v0 offset0:32 offset1:33
	v_mov_b32_e32 v89, 16
	s_cbranch_scc1 .LBB112_338
; %bb.336:
	v_add_u32_e32 v90, 0x110, v0
	s_mov_b32 s0, 17
	v_mov_b32_e32 v89, 16
.LBB112_337:                            ; =>This Inner Loop Header: Depth=1
	s_waitcnt lgkmcnt(0)
	v_cmp_gt_f64_e32 vcc, 0, v[117:118]
	v_xor_b32_e32 v97, 0x80000000, v118
	ds_read2_b64 v[91:94], v90 offset1:1
	v_xor_b32_e32 v99, 0x80000000, v120
	v_add_u32_e32 v90, 16, v90
	s_waitcnt lgkmcnt(0)
	v_xor_b32_e32 v101, 0x80000000, v94
	v_cndmask_b32_e32 v98, v118, v97, vcc
	v_cmp_gt_f64_e32 vcc, 0, v[119:120]
	v_mov_b32_e32 v97, v117
	v_cndmask_b32_e32 v100, v120, v99, vcc
	v_cmp_gt_f64_e32 vcc, 0, v[91:92]
	v_mov_b32_e32 v99, v119
	v_add_f64 v[97:98], v[97:98], v[99:100]
	v_xor_b32_e32 v99, 0x80000000, v92
	v_cndmask_b32_e32 v100, v92, v99, vcc
	v_cmp_gt_f64_e32 vcc, 0, v[93:94]
	v_mov_b32_e32 v99, v91
	v_cndmask_b32_e32 v102, v94, v101, vcc
	v_mov_b32_e32 v101, v93
	v_add_f64 v[99:100], v[99:100], v[101:102]
	v_cmp_lt_f64_e32 vcc, v[97:98], v[99:100]
	v_cndmask_b32_e32 v117, v117, v91, vcc
	v_mov_b32_e32 v91, s0
	s_add_i32 s0, s0, 1
	v_cndmask_b32_e32 v118, v118, v92, vcc
	v_cndmask_b32_e32 v120, v120, v94, vcc
	;; [unrolled: 1-line block ×4, first 2 shown]
	s_cmp_lg_u32 s3, s0
	s_cbranch_scc1 .LBB112_337
.LBB112_338:
	s_waitcnt lgkmcnt(0)
	v_cmp_eq_f64_e32 vcc, 0, v[117:118]
	v_cmp_eq_f64_e64 s[0:1], 0, v[119:120]
	s_and_b64 s[0:1], vcc, s[0:1]
	s_and_saveexec_b64 s[18:19], s[0:1]
	s_xor_b64 s[0:1], exec, s[18:19]
; %bb.339:
	v_cmp_ne_u32_e32 vcc, 0, v95
	v_cndmask_b32_e32 v95, 17, v95, vcc
; %bb.340:
	s_andn2_saveexec_b64 s[0:1], s[0:1]
	s_cbranch_execz .LBB112_346
; %bb.341:
	v_cmp_ngt_f64_e64 s[18:19], |v[117:118]|, |v[119:120]|
	s_and_saveexec_b64 s[20:21], s[18:19]
	s_xor_b64 s[18:19], exec, s[20:21]
	s_cbranch_execz .LBB112_343
; %bb.342:
	v_div_scale_f64 v[90:91], s[20:21], v[119:120], v[119:120], v[117:118]
	v_rcp_f64_e32 v[92:93], v[90:91]
	v_fma_f64 v[97:98], -v[90:91], v[92:93], 1.0
	v_fma_f64 v[92:93], v[92:93], v[97:98], v[92:93]
	v_div_scale_f64 v[97:98], vcc, v[117:118], v[119:120], v[117:118]
	v_fma_f64 v[99:100], -v[90:91], v[92:93], 1.0
	v_fma_f64 v[92:93], v[92:93], v[99:100], v[92:93]
	v_mul_f64 v[99:100], v[97:98], v[92:93]
	v_fma_f64 v[90:91], -v[90:91], v[99:100], v[97:98]
	v_div_fmas_f64 v[90:91], v[90:91], v[92:93], v[99:100]
	v_div_fixup_f64 v[90:91], v[90:91], v[119:120], v[117:118]
	v_fma_f64 v[92:93], v[117:118], v[90:91], v[119:120]
	v_div_scale_f64 v[97:98], s[20:21], v[92:93], v[92:93], 1.0
	v_div_scale_f64 v[103:104], vcc, 1.0, v[92:93], 1.0
	v_rcp_f64_e32 v[99:100], v[97:98]
	v_fma_f64 v[101:102], -v[97:98], v[99:100], 1.0
	v_fma_f64 v[99:100], v[99:100], v[101:102], v[99:100]
	v_fma_f64 v[101:102], -v[97:98], v[99:100], 1.0
	v_fma_f64 v[99:100], v[99:100], v[101:102], v[99:100]
	v_mul_f64 v[101:102], v[103:104], v[99:100]
	v_fma_f64 v[97:98], -v[97:98], v[101:102], v[103:104]
	v_div_fmas_f64 v[97:98], v[97:98], v[99:100], v[101:102]
	v_div_fixup_f64 v[119:120], v[97:98], v[92:93], 1.0
	v_mul_f64 v[117:118], v[90:91], v[119:120]
	v_xor_b32_e32 v120, 0x80000000, v120
.LBB112_343:
	s_andn2_saveexec_b64 s[18:19], s[18:19]
	s_cbranch_execz .LBB112_345
; %bb.344:
	v_div_scale_f64 v[90:91], s[20:21], v[117:118], v[117:118], v[119:120]
	v_rcp_f64_e32 v[92:93], v[90:91]
	v_fma_f64 v[97:98], -v[90:91], v[92:93], 1.0
	v_fma_f64 v[92:93], v[92:93], v[97:98], v[92:93]
	v_div_scale_f64 v[97:98], vcc, v[119:120], v[117:118], v[119:120]
	v_fma_f64 v[99:100], -v[90:91], v[92:93], 1.0
	v_fma_f64 v[92:93], v[92:93], v[99:100], v[92:93]
	v_mul_f64 v[99:100], v[97:98], v[92:93]
	v_fma_f64 v[90:91], -v[90:91], v[99:100], v[97:98]
	v_div_fmas_f64 v[90:91], v[90:91], v[92:93], v[99:100]
	v_div_fixup_f64 v[90:91], v[90:91], v[117:118], v[119:120]
	v_fma_f64 v[92:93], v[119:120], v[90:91], v[117:118]
	v_div_scale_f64 v[97:98], s[20:21], v[92:93], v[92:93], 1.0
	v_div_scale_f64 v[103:104], vcc, 1.0, v[92:93], 1.0
	v_rcp_f64_e32 v[99:100], v[97:98]
	v_fma_f64 v[101:102], -v[97:98], v[99:100], 1.0
	v_fma_f64 v[99:100], v[99:100], v[101:102], v[99:100]
	v_fma_f64 v[101:102], -v[97:98], v[99:100], 1.0
	v_fma_f64 v[99:100], v[99:100], v[101:102], v[99:100]
	v_mul_f64 v[101:102], v[103:104], v[99:100]
	v_fma_f64 v[97:98], -v[97:98], v[101:102], v[103:104]
	v_div_fmas_f64 v[97:98], v[97:98], v[99:100], v[101:102]
	v_div_fixup_f64 v[117:118], v[97:98], v[92:93], 1.0
	v_mul_f64 v[119:120], v[90:91], -v[117:118]
.LBB112_345:
	s_or_b64 exec, exec, s[18:19]
.LBB112_346:
	s_or_b64 exec, exec, s[0:1]
	v_cmp_ne_u32_e32 vcc, v96, v89
	s_and_saveexec_b64 s[0:1], vcc
	s_xor_b64 s[0:1], exec, s[0:1]
	s_cbranch_execz .LBB112_352
; %bb.347:
	v_cmp_eq_u32_e32 vcc, 16, v96
	s_and_saveexec_b64 s[18:19], vcc
	s_cbranch_execz .LBB112_351
; %bb.348:
	v_cmp_ne_u32_e32 vcc, 16, v89
	s_xor_b64 s[20:21], s[6:7], -1
	s_and_b64 s[22:23], s[20:21], vcc
	s_and_saveexec_b64 s[20:21], s[22:23]
	s_cbranch_execz .LBB112_350
; %bb.349:
	v_mov_b32_e32 v57, v81
	v_mov_b32_e32 v58, v82
	;; [unrolled: 1-line block ×4, first 2 shown]
	buffer_load_dword v81, off, s[24:27], 0 offset:464 ; 4-byte Folded Reload
	buffer_load_dword v82, off, s[24:27], 0 offset:468 ; 4-byte Folded Reload
	v_ashrrev_i32_e32 v90, 31, v89
	v_lshlrev_b64 v[90:91], 2, v[89:90]
	s_waitcnt vmcnt(1)
	v_add_co_u32_e32 v90, vcc, v81, v90
	s_waitcnt vmcnt(0)
	v_addc_co_u32_e32 v91, vcc, v82, v91, vcc
	global_load_dword v92, v[90:91], off
	global_load_dword v93, v[81:82], off offset:64
	s_waitcnt vmcnt(1)
	global_store_dword v[81:82], v92, off offset:64
	v_mov_b32_e32 v84, v60
	v_mov_b32_e32 v83, v59
	;; [unrolled: 1-line block ×4, first 2 shown]
	s_waitcnt vmcnt(1)
	global_store_dword v[90:91], v93, off
.LBB112_350:
	s_or_b64 exec, exec, s[20:21]
	v_mov_b32_e32 v96, v89
	v_mov_b32_e32 v127, v89
.LBB112_351:
	s_or_b64 exec, exec, s[18:19]
.LBB112_352:
	s_andn2_saveexec_b64 s[0:1], s[0:1]
	s_cbranch_execz .LBB112_354
; %bb.353:
	buffer_load_dword v57, off, s[24:27], 0 offset:240 ; 4-byte Folded Reload
	buffer_load_dword v58, off, s[24:27], 0 offset:244 ; 4-byte Folded Reload
	;; [unrolled: 1-line block ×4, first 2 shown]
	v_mov_b32_e32 v96, 16
	s_waitcnt vmcnt(0)
	ds_write2_b64 v0, v[57:58], v[59:60] offset0:34 offset1:35
	buffer_load_dword v57, off, s[24:27], 0 offset:224 ; 4-byte Folded Reload
	buffer_load_dword v58, off, s[24:27], 0 offset:228 ; 4-byte Folded Reload
	buffer_load_dword v59, off, s[24:27], 0 offset:232 ; 4-byte Folded Reload
	buffer_load_dword v60, off, s[24:27], 0 offset:236 ; 4-byte Folded Reload
	s_waitcnt vmcnt(0)
	ds_write2_b64 v0, v[57:58], v[59:60] offset0:36 offset1:37
	buffer_load_dword v57, off, s[24:27], 0 offset:208 ; 4-byte Folded Reload
	buffer_load_dword v58, off, s[24:27], 0 offset:212 ; 4-byte Folded Reload
	buffer_load_dword v59, off, s[24:27], 0 offset:216 ; 4-byte Folded Reload
	buffer_load_dword v60, off, s[24:27], 0 offset:220 ; 4-byte Folded Reload
	;; [unrolled: 6-line block ×14, first 2 shown]
	s_waitcnt vmcnt(0)
	ds_write2_b64 v0, v[57:58], v[59:60] offset0:62 offset1:63
	ds_write2_b64 v0, v[81:82], v[83:84] offset0:64 offset1:65
	ds_write2_b64 v0, v[85:86], v[87:88] offset0:66 offset1:67
	ds_write2_b64 v0, v[109:110], v[111:112] offset0:68 offset1:69
	ds_write2_b64 v0, v[113:114], v[115:116] offset0:70 offset1:71
	ds_write2_b64 v0, v[77:78], v[79:80] offset0:72 offset1:73
	ds_write2_b64 v0, v[73:74], v[75:76] offset0:74 offset1:75
	ds_write2_b64 v0, v[69:70], v[71:72] offset0:76 offset1:77
	ds_write2_b64 v0, v[65:66], v[67:68] offset0:78 offset1:79
	ds_write2_b64 v0, v[61:62], v[63:64] offset0:80 offset1:81
	buffer_load_dword v57, off, s[24:27], 0 ; 4-byte Folded Reload
	buffer_load_dword v58, off, s[24:27], 0 offset:4 ; 4-byte Folded Reload
	buffer_load_dword v59, off, s[24:27], 0 offset:8 ; 4-byte Folded Reload
	buffer_load_dword v60, off, s[24:27], 0 offset:12 ; 4-byte Folded Reload
	s_waitcnt vmcnt(0)
	ds_write2_b64 v0, v[57:58], v[59:60] offset0:82 offset1:83
	ds_write2_b64 v0, v[53:54], v[55:56] offset0:84 offset1:85
	;; [unrolled: 1-line block ×16, first 2 shown]
.LBB112_354:
	s_or_b64 exec, exec, s[0:1]
	v_cmp_lt_i32_e32 vcc, 16, v96
	s_waitcnt vmcnt(0) lgkmcnt(0)
	s_barrier
	s_and_saveexec_b64 s[0:1], vcc
	s_cbranch_execz .LBB112_356
; %bb.355:
	buffer_load_dword v97, off, s[24:27], 0 offset:256 ; 4-byte Folded Reload
	buffer_load_dword v98, off, s[24:27], 0 offset:260 ; 4-byte Folded Reload
	buffer_load_dword v99, off, s[24:27], 0 offset:264 ; 4-byte Folded Reload
	buffer_load_dword v100, off, s[24:27], 0 offset:268 ; 4-byte Folded Reload
	s_waitcnt vmcnt(0)
	v_mul_f64 v[89:90], v[119:120], v[99:100]
	v_fma_f64 v[125:126], v[117:118], v[97:98], -v[89:90]
	v_mul_f64 v[89:90], v[117:118], v[99:100]
	v_fma_f64 v[99:100], v[119:120], v[97:98], v[89:90]
	ds_read2_b64 v[89:92], v0 offset0:34 offset1:35
	buffer_load_dword v57, off, s[24:27], 0 offset:240 ; 4-byte Folded Reload
	buffer_load_dword v58, off, s[24:27], 0 offset:244 ; 4-byte Folded Reload
	;; [unrolled: 1-line block ×4, first 2 shown]
	v_mov_b32_e32 v97, v125
	v_mov_b32_e32 v98, v126
	s_waitcnt lgkmcnt(0)
	v_mul_f64 v[93:94], v[91:92], v[99:100]
	v_fma_f64 v[93:94], v[89:90], v[125:126], -v[93:94]
	v_mul_f64 v[89:90], v[89:90], v[99:100]
	v_fma_f64 v[89:90], v[91:92], v[125:126], v[89:90]
	s_waitcnt vmcnt(2)
	v_add_f64 v[57:58], v[57:58], -v[93:94]
	s_waitcnt vmcnt(0)
	v_add_f64 v[59:60], v[59:60], -v[89:90]
	buffer_store_dword v57, off, s[24:27], 0 offset:240 ; 4-byte Folded Spill
	s_nop 0
	buffer_store_dword v58, off, s[24:27], 0 offset:244 ; 4-byte Folded Spill
	buffer_store_dword v59, off, s[24:27], 0 offset:248 ; 4-byte Folded Spill
	buffer_store_dword v60, off, s[24:27], 0 offset:252 ; 4-byte Folded Spill
	ds_read2_b64 v[89:92], v0 offset0:36 offset1:37
	buffer_load_dword v57, off, s[24:27], 0 offset:224 ; 4-byte Folded Reload
	buffer_load_dword v58, off, s[24:27], 0 offset:228 ; 4-byte Folded Reload
	buffer_load_dword v59, off, s[24:27], 0 offset:232 ; 4-byte Folded Reload
	buffer_load_dword v60, off, s[24:27], 0 offset:236 ; 4-byte Folded Reload
	s_waitcnt lgkmcnt(0)
	v_mul_f64 v[93:94], v[91:92], v[99:100]
	v_fma_f64 v[93:94], v[89:90], v[125:126], -v[93:94]
	v_mul_f64 v[89:90], v[89:90], v[99:100]
	v_fma_f64 v[89:90], v[91:92], v[125:126], v[89:90]
	s_waitcnt vmcnt(2)
	v_add_f64 v[57:58], v[57:58], -v[93:94]
	s_waitcnt vmcnt(0)
	v_add_f64 v[59:60], v[59:60], -v[89:90]
	buffer_store_dword v57, off, s[24:27], 0 offset:224 ; 4-byte Folded Spill
	s_nop 0
	buffer_store_dword v58, off, s[24:27], 0 offset:228 ; 4-byte Folded Spill
	buffer_store_dword v59, off, s[24:27], 0 offset:232 ; 4-byte Folded Spill
	buffer_store_dword v60, off, s[24:27], 0 offset:236 ; 4-byte Folded Spill
	ds_read2_b64 v[89:92], v0 offset0:38 offset1:39
	buffer_load_dword v57, off, s[24:27], 0 offset:208 ; 4-byte Folded Reload
	buffer_load_dword v58, off, s[24:27], 0 offset:212 ; 4-byte Folded Reload
	buffer_load_dword v59, off, s[24:27], 0 offset:216 ; 4-byte Folded Reload
	buffer_load_dword v60, off, s[24:27], 0 offset:220 ; 4-byte Folded Reload
	s_waitcnt lgkmcnt(0)
	v_mul_f64 v[93:94], v[91:92], v[99:100]
	v_fma_f64 v[93:94], v[89:90], v[125:126], -v[93:94]
	v_mul_f64 v[89:90], v[89:90], v[99:100]
	v_fma_f64 v[89:90], v[91:92], v[125:126], v[89:90]
	s_waitcnt vmcnt(2)
	v_add_f64 v[57:58], v[57:58], -v[93:94]
	s_waitcnt vmcnt(0)
	v_add_f64 v[59:60], v[59:60], -v[89:90]
	buffer_store_dword v57, off, s[24:27], 0 offset:208 ; 4-byte Folded Spill
	s_nop 0
	buffer_store_dword v58, off, s[24:27], 0 offset:212 ; 4-byte Folded Spill
	buffer_store_dword v59, off, s[24:27], 0 offset:216 ; 4-byte Folded Spill
	buffer_store_dword v60, off, s[24:27], 0 offset:220 ; 4-byte Folded Spill
	ds_read2_b64 v[89:92], v0 offset0:40 offset1:41
	buffer_load_dword v57, off, s[24:27], 0 offset:192 ; 4-byte Folded Reload
	buffer_load_dword v58, off, s[24:27], 0 offset:196 ; 4-byte Folded Reload
	buffer_load_dword v59, off, s[24:27], 0 offset:200 ; 4-byte Folded Reload
	buffer_load_dword v60, off, s[24:27], 0 offset:204 ; 4-byte Folded Reload
	s_waitcnt lgkmcnt(0)
	v_mul_f64 v[93:94], v[91:92], v[99:100]
	v_fma_f64 v[93:94], v[89:90], v[125:126], -v[93:94]
	v_mul_f64 v[89:90], v[89:90], v[99:100]
	v_fma_f64 v[89:90], v[91:92], v[125:126], v[89:90]
	s_waitcnt vmcnt(2)
	v_add_f64 v[57:58], v[57:58], -v[93:94]
	s_waitcnt vmcnt(0)
	v_add_f64 v[59:60], v[59:60], -v[89:90]
	buffer_store_dword v57, off, s[24:27], 0 offset:192 ; 4-byte Folded Spill
	s_nop 0
	buffer_store_dword v58, off, s[24:27], 0 offset:196 ; 4-byte Folded Spill
	buffer_store_dword v59, off, s[24:27], 0 offset:200 ; 4-byte Folded Spill
	buffer_store_dword v60, off, s[24:27], 0 offset:204 ; 4-byte Folded Spill
	ds_read2_b64 v[89:92], v0 offset0:42 offset1:43
	buffer_load_dword v57, off, s[24:27], 0 offset:176 ; 4-byte Folded Reload
	buffer_load_dword v58, off, s[24:27], 0 offset:180 ; 4-byte Folded Reload
	buffer_load_dword v59, off, s[24:27], 0 offset:184 ; 4-byte Folded Reload
	buffer_load_dword v60, off, s[24:27], 0 offset:188 ; 4-byte Folded Reload
	s_waitcnt lgkmcnt(0)
	v_mul_f64 v[93:94], v[91:92], v[99:100]
	v_fma_f64 v[93:94], v[89:90], v[125:126], -v[93:94]
	v_mul_f64 v[89:90], v[89:90], v[99:100]
	v_fma_f64 v[89:90], v[91:92], v[125:126], v[89:90]
	s_waitcnt vmcnt(2)
	v_add_f64 v[57:58], v[57:58], -v[93:94]
	s_waitcnt vmcnt(0)
	v_add_f64 v[59:60], v[59:60], -v[89:90]
	buffer_store_dword v57, off, s[24:27], 0 offset:176 ; 4-byte Folded Spill
	s_nop 0
	buffer_store_dword v58, off, s[24:27], 0 offset:180 ; 4-byte Folded Spill
	buffer_store_dword v59, off, s[24:27], 0 offset:184 ; 4-byte Folded Spill
	buffer_store_dword v60, off, s[24:27], 0 offset:188 ; 4-byte Folded Spill
	ds_read2_b64 v[89:92], v0 offset0:44 offset1:45
	buffer_load_dword v57, off, s[24:27], 0 offset:160 ; 4-byte Folded Reload
	buffer_load_dword v58, off, s[24:27], 0 offset:164 ; 4-byte Folded Reload
	buffer_load_dword v59, off, s[24:27], 0 offset:168 ; 4-byte Folded Reload
	buffer_load_dword v60, off, s[24:27], 0 offset:172 ; 4-byte Folded Reload
	s_waitcnt lgkmcnt(0)
	v_mul_f64 v[93:94], v[91:92], v[99:100]
	v_fma_f64 v[93:94], v[89:90], v[125:126], -v[93:94]
	v_mul_f64 v[89:90], v[89:90], v[99:100]
	v_fma_f64 v[89:90], v[91:92], v[125:126], v[89:90]
	s_waitcnt vmcnt(2)
	v_add_f64 v[57:58], v[57:58], -v[93:94]
	s_waitcnt vmcnt(0)
	v_add_f64 v[59:60], v[59:60], -v[89:90]
	buffer_store_dword v57, off, s[24:27], 0 offset:160 ; 4-byte Folded Spill
	s_nop 0
	buffer_store_dword v58, off, s[24:27], 0 offset:164 ; 4-byte Folded Spill
	buffer_store_dword v59, off, s[24:27], 0 offset:168 ; 4-byte Folded Spill
	buffer_store_dword v60, off, s[24:27], 0 offset:172 ; 4-byte Folded Spill
	ds_read2_b64 v[89:92], v0 offset0:46 offset1:47
	buffer_load_dword v57, off, s[24:27], 0 offset:144 ; 4-byte Folded Reload
	buffer_load_dword v58, off, s[24:27], 0 offset:148 ; 4-byte Folded Reload
	buffer_load_dword v59, off, s[24:27], 0 offset:152 ; 4-byte Folded Reload
	buffer_load_dword v60, off, s[24:27], 0 offset:156 ; 4-byte Folded Reload
	s_waitcnt lgkmcnt(0)
	v_mul_f64 v[93:94], v[91:92], v[99:100]
	v_fma_f64 v[93:94], v[89:90], v[125:126], -v[93:94]
	v_mul_f64 v[89:90], v[89:90], v[99:100]
	v_fma_f64 v[89:90], v[91:92], v[125:126], v[89:90]
	s_waitcnt vmcnt(2)
	v_add_f64 v[57:58], v[57:58], -v[93:94]
	s_waitcnt vmcnt(0)
	v_add_f64 v[59:60], v[59:60], -v[89:90]
	buffer_store_dword v57, off, s[24:27], 0 offset:144 ; 4-byte Folded Spill
	s_nop 0
	buffer_store_dword v58, off, s[24:27], 0 offset:148 ; 4-byte Folded Spill
	buffer_store_dword v59, off, s[24:27], 0 offset:152 ; 4-byte Folded Spill
	buffer_store_dword v60, off, s[24:27], 0 offset:156 ; 4-byte Folded Spill
	ds_read2_b64 v[89:92], v0 offset0:48 offset1:49
	buffer_load_dword v57, off, s[24:27], 0 offset:128 ; 4-byte Folded Reload
	buffer_load_dword v58, off, s[24:27], 0 offset:132 ; 4-byte Folded Reload
	buffer_load_dword v59, off, s[24:27], 0 offset:136 ; 4-byte Folded Reload
	buffer_load_dword v60, off, s[24:27], 0 offset:140 ; 4-byte Folded Reload
	s_waitcnt lgkmcnt(0)
	v_mul_f64 v[93:94], v[91:92], v[99:100]
	v_fma_f64 v[93:94], v[89:90], v[125:126], -v[93:94]
	v_mul_f64 v[89:90], v[89:90], v[99:100]
	v_fma_f64 v[89:90], v[91:92], v[125:126], v[89:90]
	s_waitcnt vmcnt(2)
	v_add_f64 v[57:58], v[57:58], -v[93:94]
	s_waitcnt vmcnt(0)
	v_add_f64 v[59:60], v[59:60], -v[89:90]
	buffer_store_dword v57, off, s[24:27], 0 offset:128 ; 4-byte Folded Spill
	s_nop 0
	buffer_store_dword v58, off, s[24:27], 0 offset:132 ; 4-byte Folded Spill
	buffer_store_dword v59, off, s[24:27], 0 offset:136 ; 4-byte Folded Spill
	buffer_store_dword v60, off, s[24:27], 0 offset:140 ; 4-byte Folded Spill
	ds_read2_b64 v[89:92], v0 offset0:50 offset1:51
	buffer_load_dword v57, off, s[24:27], 0 offset:112 ; 4-byte Folded Reload
	buffer_load_dword v58, off, s[24:27], 0 offset:116 ; 4-byte Folded Reload
	buffer_load_dword v59, off, s[24:27], 0 offset:120 ; 4-byte Folded Reload
	buffer_load_dword v60, off, s[24:27], 0 offset:124 ; 4-byte Folded Reload
	s_waitcnt lgkmcnt(0)
	v_mul_f64 v[93:94], v[91:92], v[99:100]
	v_fma_f64 v[93:94], v[89:90], v[125:126], -v[93:94]
	v_mul_f64 v[89:90], v[89:90], v[99:100]
	v_fma_f64 v[89:90], v[91:92], v[125:126], v[89:90]
	s_waitcnt vmcnt(2)
	v_add_f64 v[57:58], v[57:58], -v[93:94]
	s_waitcnt vmcnt(0)
	v_add_f64 v[59:60], v[59:60], -v[89:90]
	buffer_store_dword v57, off, s[24:27], 0 offset:112 ; 4-byte Folded Spill
	s_nop 0
	buffer_store_dword v58, off, s[24:27], 0 offset:116 ; 4-byte Folded Spill
	buffer_store_dword v59, off, s[24:27], 0 offset:120 ; 4-byte Folded Spill
	buffer_store_dword v60, off, s[24:27], 0 offset:124 ; 4-byte Folded Spill
	ds_read2_b64 v[89:92], v0 offset0:52 offset1:53
	buffer_load_dword v57, off, s[24:27], 0 offset:96 ; 4-byte Folded Reload
	buffer_load_dword v58, off, s[24:27], 0 offset:100 ; 4-byte Folded Reload
	buffer_load_dword v59, off, s[24:27], 0 offset:104 ; 4-byte Folded Reload
	buffer_load_dword v60, off, s[24:27], 0 offset:108 ; 4-byte Folded Reload
	s_waitcnt lgkmcnt(0)
	v_mul_f64 v[93:94], v[91:92], v[99:100]
	v_fma_f64 v[93:94], v[89:90], v[125:126], -v[93:94]
	v_mul_f64 v[89:90], v[89:90], v[99:100]
	v_fma_f64 v[89:90], v[91:92], v[125:126], v[89:90]
	s_waitcnt vmcnt(2)
	v_add_f64 v[57:58], v[57:58], -v[93:94]
	s_waitcnt vmcnt(0)
	v_add_f64 v[59:60], v[59:60], -v[89:90]
	buffer_store_dword v57, off, s[24:27], 0 offset:96 ; 4-byte Folded Spill
	s_nop 0
	buffer_store_dword v58, off, s[24:27], 0 offset:100 ; 4-byte Folded Spill
	buffer_store_dword v59, off, s[24:27], 0 offset:104 ; 4-byte Folded Spill
	buffer_store_dword v60, off, s[24:27], 0 offset:108 ; 4-byte Folded Spill
	ds_read2_b64 v[89:92], v0 offset0:54 offset1:55
	buffer_load_dword v57, off, s[24:27], 0 offset:80 ; 4-byte Folded Reload
	buffer_load_dword v58, off, s[24:27], 0 offset:84 ; 4-byte Folded Reload
	buffer_load_dword v59, off, s[24:27], 0 offset:88 ; 4-byte Folded Reload
	buffer_load_dword v60, off, s[24:27], 0 offset:92 ; 4-byte Folded Reload
	s_waitcnt lgkmcnt(0)
	v_mul_f64 v[93:94], v[91:92], v[99:100]
	v_fma_f64 v[93:94], v[89:90], v[125:126], -v[93:94]
	v_mul_f64 v[89:90], v[89:90], v[99:100]
	v_fma_f64 v[89:90], v[91:92], v[125:126], v[89:90]
	s_waitcnt vmcnt(2)
	v_add_f64 v[57:58], v[57:58], -v[93:94]
	s_waitcnt vmcnt(0)
	v_add_f64 v[59:60], v[59:60], -v[89:90]
	buffer_store_dword v57, off, s[24:27], 0 offset:80 ; 4-byte Folded Spill
	s_nop 0
	buffer_store_dword v58, off, s[24:27], 0 offset:84 ; 4-byte Folded Spill
	buffer_store_dword v59, off, s[24:27], 0 offset:88 ; 4-byte Folded Spill
	buffer_store_dword v60, off, s[24:27], 0 offset:92 ; 4-byte Folded Spill
	ds_read2_b64 v[89:92], v0 offset0:56 offset1:57
	buffer_load_dword v57, off, s[24:27], 0 offset:64 ; 4-byte Folded Reload
	buffer_load_dword v58, off, s[24:27], 0 offset:68 ; 4-byte Folded Reload
	buffer_load_dword v59, off, s[24:27], 0 offset:72 ; 4-byte Folded Reload
	buffer_load_dword v60, off, s[24:27], 0 offset:76 ; 4-byte Folded Reload
	s_waitcnt lgkmcnt(0)
	v_mul_f64 v[93:94], v[91:92], v[99:100]
	v_fma_f64 v[93:94], v[89:90], v[125:126], -v[93:94]
	v_mul_f64 v[89:90], v[89:90], v[99:100]
	v_fma_f64 v[89:90], v[91:92], v[125:126], v[89:90]
	s_waitcnt vmcnt(2)
	v_add_f64 v[57:58], v[57:58], -v[93:94]
	s_waitcnt vmcnt(0)
	v_add_f64 v[59:60], v[59:60], -v[89:90]
	buffer_store_dword v57, off, s[24:27], 0 offset:64 ; 4-byte Folded Spill
	s_nop 0
	buffer_store_dword v58, off, s[24:27], 0 offset:68 ; 4-byte Folded Spill
	buffer_store_dword v59, off, s[24:27], 0 offset:72 ; 4-byte Folded Spill
	buffer_store_dword v60, off, s[24:27], 0 offset:76 ; 4-byte Folded Spill
	ds_read2_b64 v[89:92], v0 offset0:58 offset1:59
	buffer_load_dword v57, off, s[24:27], 0 offset:48 ; 4-byte Folded Reload
	buffer_load_dword v58, off, s[24:27], 0 offset:52 ; 4-byte Folded Reload
	buffer_load_dword v59, off, s[24:27], 0 offset:56 ; 4-byte Folded Reload
	buffer_load_dword v60, off, s[24:27], 0 offset:60 ; 4-byte Folded Reload
	s_waitcnt lgkmcnt(0)
	v_mul_f64 v[93:94], v[91:92], v[99:100]
	v_fma_f64 v[93:94], v[89:90], v[125:126], -v[93:94]
	v_mul_f64 v[89:90], v[89:90], v[99:100]
	v_fma_f64 v[89:90], v[91:92], v[125:126], v[89:90]
	s_waitcnt vmcnt(2)
	v_add_f64 v[57:58], v[57:58], -v[93:94]
	s_waitcnt vmcnt(0)
	v_add_f64 v[59:60], v[59:60], -v[89:90]
	buffer_store_dword v57, off, s[24:27], 0 offset:48 ; 4-byte Folded Spill
	s_nop 0
	buffer_store_dword v58, off, s[24:27], 0 offset:52 ; 4-byte Folded Spill
	buffer_store_dword v59, off, s[24:27], 0 offset:56 ; 4-byte Folded Spill
	buffer_store_dword v60, off, s[24:27], 0 offset:60 ; 4-byte Folded Spill
	ds_read2_b64 v[89:92], v0 offset0:60 offset1:61
	buffer_load_dword v57, off, s[24:27], 0 offset:32 ; 4-byte Folded Reload
	buffer_load_dword v58, off, s[24:27], 0 offset:36 ; 4-byte Folded Reload
	buffer_load_dword v59, off, s[24:27], 0 offset:40 ; 4-byte Folded Reload
	buffer_load_dword v60, off, s[24:27], 0 offset:44 ; 4-byte Folded Reload
	s_waitcnt lgkmcnt(0)
	v_mul_f64 v[93:94], v[91:92], v[99:100]
	v_fma_f64 v[93:94], v[89:90], v[125:126], -v[93:94]
	v_mul_f64 v[89:90], v[89:90], v[99:100]
	v_fma_f64 v[89:90], v[91:92], v[125:126], v[89:90]
	s_waitcnt vmcnt(2)
	v_add_f64 v[57:58], v[57:58], -v[93:94]
	s_waitcnt vmcnt(0)
	v_add_f64 v[59:60], v[59:60], -v[89:90]
	buffer_store_dword v57, off, s[24:27], 0 offset:32 ; 4-byte Folded Spill
	s_nop 0
	buffer_store_dword v58, off, s[24:27], 0 offset:36 ; 4-byte Folded Spill
	buffer_store_dword v59, off, s[24:27], 0 offset:40 ; 4-byte Folded Spill
	buffer_store_dword v60, off, s[24:27], 0 offset:44 ; 4-byte Folded Spill
	ds_read2_b64 v[89:92], v0 offset0:62 offset1:63
	buffer_load_dword v57, off, s[24:27], 0 offset:16 ; 4-byte Folded Reload
	buffer_load_dword v58, off, s[24:27], 0 offset:20 ; 4-byte Folded Reload
	buffer_load_dword v59, off, s[24:27], 0 offset:24 ; 4-byte Folded Reload
	buffer_load_dword v60, off, s[24:27], 0 offset:28 ; 4-byte Folded Reload
	s_waitcnt lgkmcnt(0)
	v_mul_f64 v[93:94], v[91:92], v[99:100]
	v_fma_f64 v[93:94], v[89:90], v[125:126], -v[93:94]
	v_mul_f64 v[89:90], v[89:90], v[99:100]
	v_fma_f64 v[89:90], v[91:92], v[125:126], v[89:90]
	s_waitcnt vmcnt(2)
	v_add_f64 v[57:58], v[57:58], -v[93:94]
	s_waitcnt vmcnt(0)
	v_add_f64 v[59:60], v[59:60], -v[89:90]
	buffer_store_dword v57, off, s[24:27], 0 offset:16 ; 4-byte Folded Spill
	s_nop 0
	buffer_store_dword v58, off, s[24:27], 0 offset:20 ; 4-byte Folded Spill
	buffer_store_dword v59, off, s[24:27], 0 offset:24 ; 4-byte Folded Spill
	;; [unrolled: 1-line block ×3, first 2 shown]
	ds_read2_b64 v[89:92], v0 offset0:64 offset1:65
	s_waitcnt lgkmcnt(0)
	v_mul_f64 v[93:94], v[91:92], v[99:100]
	v_fma_f64 v[93:94], v[89:90], v[125:126], -v[93:94]
	v_mul_f64 v[89:90], v[89:90], v[99:100]
	v_add_f64 v[81:82], v[81:82], -v[93:94]
	v_fma_f64 v[89:90], v[91:92], v[125:126], v[89:90]
	v_add_f64 v[83:84], v[83:84], -v[89:90]
	ds_read2_b64 v[89:92], v0 offset0:66 offset1:67
	s_waitcnt lgkmcnt(0)
	v_mul_f64 v[93:94], v[91:92], v[99:100]
	v_fma_f64 v[93:94], v[89:90], v[125:126], -v[93:94]
	v_mul_f64 v[89:90], v[89:90], v[99:100]
	v_add_f64 v[85:86], v[85:86], -v[93:94]
	v_fma_f64 v[89:90], v[91:92], v[125:126], v[89:90]
	v_add_f64 v[87:88], v[87:88], -v[89:90]
	;; [unrolled: 8-line block ×9, first 2 shown]
	ds_read2_b64 v[89:92], v0 offset0:82 offset1:83
	buffer_load_dword v57, off, s[24:27], 0 ; 4-byte Folded Reload
	buffer_load_dword v58, off, s[24:27], 0 offset:4 ; 4-byte Folded Reload
	buffer_load_dword v59, off, s[24:27], 0 offset:8 ; 4-byte Folded Reload
	;; [unrolled: 1-line block ×3, first 2 shown]
	s_waitcnt lgkmcnt(0)
	v_mul_f64 v[93:94], v[91:92], v[99:100]
	v_fma_f64 v[93:94], v[89:90], v[125:126], -v[93:94]
	v_mul_f64 v[89:90], v[89:90], v[99:100]
	v_fma_f64 v[89:90], v[91:92], v[125:126], v[89:90]
	s_waitcnt vmcnt(2)
	v_add_f64 v[57:58], v[57:58], -v[93:94]
	s_waitcnt vmcnt(0)
	v_add_f64 v[59:60], v[59:60], -v[89:90]
	buffer_store_dword v57, off, s[24:27], 0 ; 4-byte Folded Spill
	s_nop 0
	buffer_store_dword v58, off, s[24:27], 0 offset:4 ; 4-byte Folded Spill
	buffer_store_dword v59, off, s[24:27], 0 offset:8 ; 4-byte Folded Spill
	;; [unrolled: 1-line block ×3, first 2 shown]
	ds_read2_b64 v[89:92], v0 offset0:84 offset1:85
	s_waitcnt lgkmcnt(0)
	v_mul_f64 v[93:94], v[91:92], v[99:100]
	v_fma_f64 v[93:94], v[89:90], v[125:126], -v[93:94]
	v_mul_f64 v[89:90], v[89:90], v[99:100]
	v_add_f64 v[53:54], v[53:54], -v[93:94]
	v_fma_f64 v[89:90], v[91:92], v[125:126], v[89:90]
	v_add_f64 v[55:56], v[55:56], -v[89:90]
	ds_read2_b64 v[89:92], v0 offset0:86 offset1:87
	s_waitcnt lgkmcnt(0)
	v_mul_f64 v[93:94], v[91:92], v[99:100]
	v_fma_f64 v[93:94], v[89:90], v[125:126], -v[93:94]
	v_mul_f64 v[89:90], v[89:90], v[99:100]
	v_add_f64 v[49:50], v[49:50], -v[93:94]
	v_fma_f64 v[89:90], v[91:92], v[125:126], v[89:90]
	v_add_f64 v[51:52], v[51:52], -v[89:90]
	;; [unrolled: 8-line block ×14, first 2 shown]
	ds_read2_b64 v[89:92], v0 offset0:112 offset1:113
	s_waitcnt lgkmcnt(0)
	v_mul_f64 v[93:94], v[91:92], v[99:100]
	v_fma_f64 v[93:94], v[89:90], v[125:126], -v[93:94]
	v_mul_f64 v[89:90], v[89:90], v[99:100]
	buffer_store_dword v97, off, s[24:27], 0 offset:256 ; 4-byte Folded Spill
	s_nop 0
	buffer_store_dword v98, off, s[24:27], 0 offset:260 ; 4-byte Folded Spill
	buffer_store_dword v99, off, s[24:27], 0 offset:264 ; 4-byte Folded Spill
	;; [unrolled: 1-line block ×3, first 2 shown]
	v_add_f64 v[121:122], v[121:122], -v[93:94]
	v_fma_f64 v[89:90], v[91:92], v[125:126], v[89:90]
	v_add_f64 v[123:124], v[123:124], -v[89:90]
.LBB112_356:
	s_or_b64 exec, exec, s[0:1]
	s_waitcnt vmcnt(0)
	s_barrier
	buffer_load_dword v57, off, s[24:27], 0 offset:240 ; 4-byte Folded Reload
	buffer_load_dword v58, off, s[24:27], 0 offset:244 ; 4-byte Folded Reload
	;; [unrolled: 1-line block ×4, first 2 shown]
	v_lshl_add_u32 v89, v96, 4, v0
	s_cmp_lt_i32 s3, 19
	s_waitcnt vmcnt(0)
	ds_write2_b64 v89, v[57:58], v[59:60] offset1:1
	s_waitcnt lgkmcnt(0)
	s_barrier
	ds_read2_b64 v[117:120], v0 offset0:34 offset1:35
	v_mov_b32_e32 v89, 17
	s_cbranch_scc1 .LBB112_359
; %bb.357:
	v_add_u32_e32 v90, 0x120, v0
	s_mov_b32 s0, 18
	v_mov_b32_e32 v89, 17
.LBB112_358:                            ; =>This Inner Loop Header: Depth=1
	s_waitcnt lgkmcnt(0)
	v_cmp_gt_f64_e32 vcc, 0, v[117:118]
	v_xor_b32_e32 v97, 0x80000000, v118
	ds_read2_b64 v[91:94], v90 offset1:1
	v_xor_b32_e32 v99, 0x80000000, v120
	v_add_u32_e32 v90, 16, v90
	s_waitcnt lgkmcnt(0)
	v_xor_b32_e32 v101, 0x80000000, v94
	v_cndmask_b32_e32 v98, v118, v97, vcc
	v_cmp_gt_f64_e32 vcc, 0, v[119:120]
	v_mov_b32_e32 v97, v117
	v_cndmask_b32_e32 v100, v120, v99, vcc
	v_cmp_gt_f64_e32 vcc, 0, v[91:92]
	v_mov_b32_e32 v99, v119
	v_add_f64 v[97:98], v[97:98], v[99:100]
	v_xor_b32_e32 v99, 0x80000000, v92
	v_cndmask_b32_e32 v100, v92, v99, vcc
	v_cmp_gt_f64_e32 vcc, 0, v[93:94]
	v_mov_b32_e32 v99, v91
	v_cndmask_b32_e32 v102, v94, v101, vcc
	v_mov_b32_e32 v101, v93
	v_add_f64 v[99:100], v[99:100], v[101:102]
	v_cmp_lt_f64_e32 vcc, v[97:98], v[99:100]
	v_cndmask_b32_e32 v117, v117, v91, vcc
	v_mov_b32_e32 v91, s0
	s_add_i32 s0, s0, 1
	v_cndmask_b32_e32 v118, v118, v92, vcc
	v_cndmask_b32_e32 v120, v120, v94, vcc
	;; [unrolled: 1-line block ×4, first 2 shown]
	s_cmp_lg_u32 s3, s0
	s_cbranch_scc1 .LBB112_358
.LBB112_359:
	s_waitcnt lgkmcnt(0)
	v_cmp_eq_f64_e32 vcc, 0, v[117:118]
	v_cmp_eq_f64_e64 s[0:1], 0, v[119:120]
	s_and_b64 s[0:1], vcc, s[0:1]
	s_and_saveexec_b64 s[18:19], s[0:1]
	s_xor_b64 s[0:1], exec, s[18:19]
; %bb.360:
	v_cmp_ne_u32_e32 vcc, 0, v95
	v_cndmask_b32_e32 v95, 18, v95, vcc
; %bb.361:
	s_andn2_saveexec_b64 s[0:1], s[0:1]
	s_cbranch_execz .LBB112_367
; %bb.362:
	v_cmp_ngt_f64_e64 s[18:19], |v[117:118]|, |v[119:120]|
	s_and_saveexec_b64 s[20:21], s[18:19]
	s_xor_b64 s[18:19], exec, s[20:21]
	s_cbranch_execz .LBB112_364
; %bb.363:
	v_div_scale_f64 v[90:91], s[20:21], v[119:120], v[119:120], v[117:118]
	v_rcp_f64_e32 v[92:93], v[90:91]
	v_fma_f64 v[97:98], -v[90:91], v[92:93], 1.0
	v_fma_f64 v[92:93], v[92:93], v[97:98], v[92:93]
	v_div_scale_f64 v[97:98], vcc, v[117:118], v[119:120], v[117:118]
	v_fma_f64 v[99:100], -v[90:91], v[92:93], 1.0
	v_fma_f64 v[92:93], v[92:93], v[99:100], v[92:93]
	v_mul_f64 v[99:100], v[97:98], v[92:93]
	v_fma_f64 v[90:91], -v[90:91], v[99:100], v[97:98]
	v_div_fmas_f64 v[90:91], v[90:91], v[92:93], v[99:100]
	v_div_fixup_f64 v[90:91], v[90:91], v[119:120], v[117:118]
	v_fma_f64 v[92:93], v[117:118], v[90:91], v[119:120]
	v_div_scale_f64 v[97:98], s[20:21], v[92:93], v[92:93], 1.0
	v_div_scale_f64 v[103:104], vcc, 1.0, v[92:93], 1.0
	v_rcp_f64_e32 v[99:100], v[97:98]
	v_fma_f64 v[101:102], -v[97:98], v[99:100], 1.0
	v_fma_f64 v[99:100], v[99:100], v[101:102], v[99:100]
	v_fma_f64 v[101:102], -v[97:98], v[99:100], 1.0
	v_fma_f64 v[99:100], v[99:100], v[101:102], v[99:100]
	v_mul_f64 v[101:102], v[103:104], v[99:100]
	v_fma_f64 v[97:98], -v[97:98], v[101:102], v[103:104]
	v_div_fmas_f64 v[97:98], v[97:98], v[99:100], v[101:102]
	v_div_fixup_f64 v[119:120], v[97:98], v[92:93], 1.0
	v_mul_f64 v[117:118], v[90:91], v[119:120]
	v_xor_b32_e32 v120, 0x80000000, v120
.LBB112_364:
	s_andn2_saveexec_b64 s[18:19], s[18:19]
	s_cbranch_execz .LBB112_366
; %bb.365:
	v_div_scale_f64 v[90:91], s[20:21], v[117:118], v[117:118], v[119:120]
	v_rcp_f64_e32 v[92:93], v[90:91]
	v_fma_f64 v[97:98], -v[90:91], v[92:93], 1.0
	v_fma_f64 v[92:93], v[92:93], v[97:98], v[92:93]
	v_div_scale_f64 v[97:98], vcc, v[119:120], v[117:118], v[119:120]
	v_fma_f64 v[99:100], -v[90:91], v[92:93], 1.0
	v_fma_f64 v[92:93], v[92:93], v[99:100], v[92:93]
	v_mul_f64 v[99:100], v[97:98], v[92:93]
	v_fma_f64 v[90:91], -v[90:91], v[99:100], v[97:98]
	v_div_fmas_f64 v[90:91], v[90:91], v[92:93], v[99:100]
	v_div_fixup_f64 v[90:91], v[90:91], v[117:118], v[119:120]
	v_fma_f64 v[92:93], v[119:120], v[90:91], v[117:118]
	v_div_scale_f64 v[97:98], s[20:21], v[92:93], v[92:93], 1.0
	v_div_scale_f64 v[103:104], vcc, 1.0, v[92:93], 1.0
	v_rcp_f64_e32 v[99:100], v[97:98]
	v_fma_f64 v[101:102], -v[97:98], v[99:100], 1.0
	v_fma_f64 v[99:100], v[99:100], v[101:102], v[99:100]
	v_fma_f64 v[101:102], -v[97:98], v[99:100], 1.0
	v_fma_f64 v[99:100], v[99:100], v[101:102], v[99:100]
	v_mul_f64 v[101:102], v[103:104], v[99:100]
	v_fma_f64 v[97:98], -v[97:98], v[101:102], v[103:104]
	v_div_fmas_f64 v[97:98], v[97:98], v[99:100], v[101:102]
	v_div_fixup_f64 v[117:118], v[97:98], v[92:93], 1.0
	v_mul_f64 v[119:120], v[90:91], -v[117:118]
.LBB112_366:
	s_or_b64 exec, exec, s[18:19]
.LBB112_367:
	s_or_b64 exec, exec, s[0:1]
	v_cmp_ne_u32_e32 vcc, v96, v89
	s_and_saveexec_b64 s[0:1], vcc
	s_xor_b64 s[0:1], exec, s[0:1]
	s_cbranch_execz .LBB112_373
; %bb.368:
	v_cmp_eq_u32_e32 vcc, 17, v96
	s_and_saveexec_b64 s[18:19], vcc
	s_cbranch_execz .LBB112_372
; %bb.369:
	v_cmp_ne_u32_e32 vcc, 17, v89
	s_xor_b64 s[20:21], s[6:7], -1
	s_and_b64 s[22:23], s[20:21], vcc
	s_and_saveexec_b64 s[20:21], s[22:23]
	s_cbranch_execz .LBB112_371
; %bb.370:
	v_mov_b32_e32 v57, v81
	v_mov_b32_e32 v58, v82
	;; [unrolled: 1-line block ×4, first 2 shown]
	buffer_load_dword v81, off, s[24:27], 0 offset:464 ; 4-byte Folded Reload
	buffer_load_dword v82, off, s[24:27], 0 offset:468 ; 4-byte Folded Reload
	v_ashrrev_i32_e32 v90, 31, v89
	v_lshlrev_b64 v[90:91], 2, v[89:90]
	s_waitcnt vmcnt(1)
	v_add_co_u32_e32 v90, vcc, v81, v90
	s_waitcnt vmcnt(0)
	v_addc_co_u32_e32 v91, vcc, v82, v91, vcc
	global_load_dword v92, v[90:91], off
	global_load_dword v93, v[81:82], off offset:68
	s_waitcnt vmcnt(1)
	global_store_dword v[81:82], v92, off offset:68
	v_mov_b32_e32 v84, v60
	v_mov_b32_e32 v83, v59
	;; [unrolled: 1-line block ×4, first 2 shown]
	s_waitcnt vmcnt(1)
	global_store_dword v[90:91], v93, off
.LBB112_371:
	s_or_b64 exec, exec, s[20:21]
	v_mov_b32_e32 v96, v89
	v_mov_b32_e32 v127, v89
.LBB112_372:
	s_or_b64 exec, exec, s[18:19]
.LBB112_373:
	s_andn2_saveexec_b64 s[0:1], s[0:1]
	s_cbranch_execz .LBB112_375
; %bb.374:
	buffer_load_dword v57, off, s[24:27], 0 offset:224 ; 4-byte Folded Reload
	buffer_load_dword v58, off, s[24:27], 0 offset:228 ; 4-byte Folded Reload
	;; [unrolled: 1-line block ×4, first 2 shown]
	v_mov_b32_e32 v96, 17
	s_waitcnt vmcnt(0)
	ds_write2_b64 v0, v[57:58], v[59:60] offset0:36 offset1:37
	buffer_load_dword v57, off, s[24:27], 0 offset:208 ; 4-byte Folded Reload
	buffer_load_dword v58, off, s[24:27], 0 offset:212 ; 4-byte Folded Reload
	buffer_load_dword v59, off, s[24:27], 0 offset:216 ; 4-byte Folded Reload
	buffer_load_dword v60, off, s[24:27], 0 offset:220 ; 4-byte Folded Reload
	s_waitcnt vmcnt(0)
	ds_write2_b64 v0, v[57:58], v[59:60] offset0:38 offset1:39
	buffer_load_dword v57, off, s[24:27], 0 offset:192 ; 4-byte Folded Reload
	buffer_load_dword v58, off, s[24:27], 0 offset:196 ; 4-byte Folded Reload
	buffer_load_dword v59, off, s[24:27], 0 offset:200 ; 4-byte Folded Reload
	buffer_load_dword v60, off, s[24:27], 0 offset:204 ; 4-byte Folded Reload
	;; [unrolled: 6-line block ×13, first 2 shown]
	s_waitcnt vmcnt(0)
	ds_write2_b64 v0, v[57:58], v[59:60] offset0:62 offset1:63
	ds_write2_b64 v0, v[81:82], v[83:84] offset0:64 offset1:65
	;; [unrolled: 1-line block ×10, first 2 shown]
	buffer_load_dword v57, off, s[24:27], 0 ; 4-byte Folded Reload
	buffer_load_dword v58, off, s[24:27], 0 offset:4 ; 4-byte Folded Reload
	buffer_load_dword v59, off, s[24:27], 0 offset:8 ; 4-byte Folded Reload
	;; [unrolled: 1-line block ×3, first 2 shown]
	s_waitcnt vmcnt(0)
	ds_write2_b64 v0, v[57:58], v[59:60] offset0:82 offset1:83
	ds_write2_b64 v0, v[53:54], v[55:56] offset0:84 offset1:85
	;; [unrolled: 1-line block ×16, first 2 shown]
.LBB112_375:
	s_or_b64 exec, exec, s[0:1]
	v_cmp_lt_i32_e32 vcc, 17, v96
	s_waitcnt vmcnt(0) lgkmcnt(0)
	s_barrier
	s_and_saveexec_b64 s[0:1], vcc
	s_cbranch_execz .LBB112_377
; %bb.376:
	buffer_load_dword v97, off, s[24:27], 0 offset:240 ; 4-byte Folded Reload
	buffer_load_dword v98, off, s[24:27], 0 offset:244 ; 4-byte Folded Reload
	;; [unrolled: 1-line block ×4, first 2 shown]
	s_waitcnt vmcnt(0)
	v_mul_f64 v[89:90], v[119:120], v[99:100]
	v_fma_f64 v[125:126], v[117:118], v[97:98], -v[89:90]
	v_mul_f64 v[89:90], v[117:118], v[99:100]
	v_fma_f64 v[99:100], v[119:120], v[97:98], v[89:90]
	ds_read2_b64 v[89:92], v0 offset0:36 offset1:37
	buffer_load_dword v57, off, s[24:27], 0 offset:224 ; 4-byte Folded Reload
	buffer_load_dword v58, off, s[24:27], 0 offset:228 ; 4-byte Folded Reload
	;; [unrolled: 1-line block ×4, first 2 shown]
	v_mov_b32_e32 v97, v125
	v_mov_b32_e32 v98, v126
	s_waitcnt lgkmcnt(0)
	v_mul_f64 v[93:94], v[91:92], v[99:100]
	v_fma_f64 v[93:94], v[89:90], v[125:126], -v[93:94]
	v_mul_f64 v[89:90], v[89:90], v[99:100]
	v_fma_f64 v[89:90], v[91:92], v[125:126], v[89:90]
	s_waitcnt vmcnt(2)
	v_add_f64 v[57:58], v[57:58], -v[93:94]
	s_waitcnt vmcnt(0)
	v_add_f64 v[59:60], v[59:60], -v[89:90]
	buffer_store_dword v57, off, s[24:27], 0 offset:224 ; 4-byte Folded Spill
	s_nop 0
	buffer_store_dword v58, off, s[24:27], 0 offset:228 ; 4-byte Folded Spill
	buffer_store_dword v59, off, s[24:27], 0 offset:232 ; 4-byte Folded Spill
	buffer_store_dword v60, off, s[24:27], 0 offset:236 ; 4-byte Folded Spill
	ds_read2_b64 v[89:92], v0 offset0:38 offset1:39
	buffer_load_dword v57, off, s[24:27], 0 offset:208 ; 4-byte Folded Reload
	buffer_load_dword v58, off, s[24:27], 0 offset:212 ; 4-byte Folded Reload
	buffer_load_dword v59, off, s[24:27], 0 offset:216 ; 4-byte Folded Reload
	buffer_load_dword v60, off, s[24:27], 0 offset:220 ; 4-byte Folded Reload
	s_waitcnt lgkmcnt(0)
	v_mul_f64 v[93:94], v[91:92], v[99:100]
	v_fma_f64 v[93:94], v[89:90], v[125:126], -v[93:94]
	v_mul_f64 v[89:90], v[89:90], v[99:100]
	v_fma_f64 v[89:90], v[91:92], v[125:126], v[89:90]
	s_waitcnt vmcnt(2)
	v_add_f64 v[57:58], v[57:58], -v[93:94]
	s_waitcnt vmcnt(0)
	v_add_f64 v[59:60], v[59:60], -v[89:90]
	buffer_store_dword v57, off, s[24:27], 0 offset:208 ; 4-byte Folded Spill
	s_nop 0
	buffer_store_dword v58, off, s[24:27], 0 offset:212 ; 4-byte Folded Spill
	buffer_store_dword v59, off, s[24:27], 0 offset:216 ; 4-byte Folded Spill
	buffer_store_dword v60, off, s[24:27], 0 offset:220 ; 4-byte Folded Spill
	ds_read2_b64 v[89:92], v0 offset0:40 offset1:41
	buffer_load_dword v57, off, s[24:27], 0 offset:192 ; 4-byte Folded Reload
	buffer_load_dword v58, off, s[24:27], 0 offset:196 ; 4-byte Folded Reload
	buffer_load_dword v59, off, s[24:27], 0 offset:200 ; 4-byte Folded Reload
	buffer_load_dword v60, off, s[24:27], 0 offset:204 ; 4-byte Folded Reload
	s_waitcnt lgkmcnt(0)
	v_mul_f64 v[93:94], v[91:92], v[99:100]
	v_fma_f64 v[93:94], v[89:90], v[125:126], -v[93:94]
	v_mul_f64 v[89:90], v[89:90], v[99:100]
	v_fma_f64 v[89:90], v[91:92], v[125:126], v[89:90]
	s_waitcnt vmcnt(2)
	v_add_f64 v[57:58], v[57:58], -v[93:94]
	s_waitcnt vmcnt(0)
	v_add_f64 v[59:60], v[59:60], -v[89:90]
	buffer_store_dword v57, off, s[24:27], 0 offset:192 ; 4-byte Folded Spill
	s_nop 0
	buffer_store_dword v58, off, s[24:27], 0 offset:196 ; 4-byte Folded Spill
	buffer_store_dword v59, off, s[24:27], 0 offset:200 ; 4-byte Folded Spill
	buffer_store_dword v60, off, s[24:27], 0 offset:204 ; 4-byte Folded Spill
	ds_read2_b64 v[89:92], v0 offset0:42 offset1:43
	buffer_load_dword v57, off, s[24:27], 0 offset:176 ; 4-byte Folded Reload
	buffer_load_dword v58, off, s[24:27], 0 offset:180 ; 4-byte Folded Reload
	buffer_load_dword v59, off, s[24:27], 0 offset:184 ; 4-byte Folded Reload
	buffer_load_dword v60, off, s[24:27], 0 offset:188 ; 4-byte Folded Reload
	s_waitcnt lgkmcnt(0)
	v_mul_f64 v[93:94], v[91:92], v[99:100]
	v_fma_f64 v[93:94], v[89:90], v[125:126], -v[93:94]
	v_mul_f64 v[89:90], v[89:90], v[99:100]
	v_fma_f64 v[89:90], v[91:92], v[125:126], v[89:90]
	s_waitcnt vmcnt(2)
	v_add_f64 v[57:58], v[57:58], -v[93:94]
	s_waitcnt vmcnt(0)
	v_add_f64 v[59:60], v[59:60], -v[89:90]
	buffer_store_dword v57, off, s[24:27], 0 offset:176 ; 4-byte Folded Spill
	s_nop 0
	buffer_store_dword v58, off, s[24:27], 0 offset:180 ; 4-byte Folded Spill
	buffer_store_dword v59, off, s[24:27], 0 offset:184 ; 4-byte Folded Spill
	buffer_store_dword v60, off, s[24:27], 0 offset:188 ; 4-byte Folded Spill
	ds_read2_b64 v[89:92], v0 offset0:44 offset1:45
	buffer_load_dword v57, off, s[24:27], 0 offset:160 ; 4-byte Folded Reload
	buffer_load_dword v58, off, s[24:27], 0 offset:164 ; 4-byte Folded Reload
	buffer_load_dword v59, off, s[24:27], 0 offset:168 ; 4-byte Folded Reload
	buffer_load_dword v60, off, s[24:27], 0 offset:172 ; 4-byte Folded Reload
	s_waitcnt lgkmcnt(0)
	v_mul_f64 v[93:94], v[91:92], v[99:100]
	v_fma_f64 v[93:94], v[89:90], v[125:126], -v[93:94]
	v_mul_f64 v[89:90], v[89:90], v[99:100]
	v_fma_f64 v[89:90], v[91:92], v[125:126], v[89:90]
	s_waitcnt vmcnt(2)
	v_add_f64 v[57:58], v[57:58], -v[93:94]
	s_waitcnt vmcnt(0)
	v_add_f64 v[59:60], v[59:60], -v[89:90]
	buffer_store_dword v57, off, s[24:27], 0 offset:160 ; 4-byte Folded Spill
	s_nop 0
	buffer_store_dword v58, off, s[24:27], 0 offset:164 ; 4-byte Folded Spill
	buffer_store_dword v59, off, s[24:27], 0 offset:168 ; 4-byte Folded Spill
	buffer_store_dword v60, off, s[24:27], 0 offset:172 ; 4-byte Folded Spill
	ds_read2_b64 v[89:92], v0 offset0:46 offset1:47
	buffer_load_dword v57, off, s[24:27], 0 offset:144 ; 4-byte Folded Reload
	buffer_load_dword v58, off, s[24:27], 0 offset:148 ; 4-byte Folded Reload
	buffer_load_dword v59, off, s[24:27], 0 offset:152 ; 4-byte Folded Reload
	buffer_load_dword v60, off, s[24:27], 0 offset:156 ; 4-byte Folded Reload
	s_waitcnt lgkmcnt(0)
	v_mul_f64 v[93:94], v[91:92], v[99:100]
	v_fma_f64 v[93:94], v[89:90], v[125:126], -v[93:94]
	v_mul_f64 v[89:90], v[89:90], v[99:100]
	v_fma_f64 v[89:90], v[91:92], v[125:126], v[89:90]
	s_waitcnt vmcnt(2)
	v_add_f64 v[57:58], v[57:58], -v[93:94]
	s_waitcnt vmcnt(0)
	v_add_f64 v[59:60], v[59:60], -v[89:90]
	buffer_store_dword v57, off, s[24:27], 0 offset:144 ; 4-byte Folded Spill
	s_nop 0
	buffer_store_dword v58, off, s[24:27], 0 offset:148 ; 4-byte Folded Spill
	buffer_store_dword v59, off, s[24:27], 0 offset:152 ; 4-byte Folded Spill
	buffer_store_dword v60, off, s[24:27], 0 offset:156 ; 4-byte Folded Spill
	ds_read2_b64 v[89:92], v0 offset0:48 offset1:49
	buffer_load_dword v57, off, s[24:27], 0 offset:128 ; 4-byte Folded Reload
	buffer_load_dword v58, off, s[24:27], 0 offset:132 ; 4-byte Folded Reload
	buffer_load_dword v59, off, s[24:27], 0 offset:136 ; 4-byte Folded Reload
	buffer_load_dword v60, off, s[24:27], 0 offset:140 ; 4-byte Folded Reload
	s_waitcnt lgkmcnt(0)
	v_mul_f64 v[93:94], v[91:92], v[99:100]
	v_fma_f64 v[93:94], v[89:90], v[125:126], -v[93:94]
	v_mul_f64 v[89:90], v[89:90], v[99:100]
	v_fma_f64 v[89:90], v[91:92], v[125:126], v[89:90]
	s_waitcnt vmcnt(2)
	v_add_f64 v[57:58], v[57:58], -v[93:94]
	s_waitcnt vmcnt(0)
	v_add_f64 v[59:60], v[59:60], -v[89:90]
	buffer_store_dword v57, off, s[24:27], 0 offset:128 ; 4-byte Folded Spill
	s_nop 0
	buffer_store_dword v58, off, s[24:27], 0 offset:132 ; 4-byte Folded Spill
	buffer_store_dword v59, off, s[24:27], 0 offset:136 ; 4-byte Folded Spill
	buffer_store_dword v60, off, s[24:27], 0 offset:140 ; 4-byte Folded Spill
	ds_read2_b64 v[89:92], v0 offset0:50 offset1:51
	buffer_load_dword v57, off, s[24:27], 0 offset:112 ; 4-byte Folded Reload
	buffer_load_dword v58, off, s[24:27], 0 offset:116 ; 4-byte Folded Reload
	buffer_load_dword v59, off, s[24:27], 0 offset:120 ; 4-byte Folded Reload
	buffer_load_dword v60, off, s[24:27], 0 offset:124 ; 4-byte Folded Reload
	s_waitcnt lgkmcnt(0)
	v_mul_f64 v[93:94], v[91:92], v[99:100]
	v_fma_f64 v[93:94], v[89:90], v[125:126], -v[93:94]
	v_mul_f64 v[89:90], v[89:90], v[99:100]
	v_fma_f64 v[89:90], v[91:92], v[125:126], v[89:90]
	s_waitcnt vmcnt(2)
	v_add_f64 v[57:58], v[57:58], -v[93:94]
	s_waitcnt vmcnt(0)
	v_add_f64 v[59:60], v[59:60], -v[89:90]
	buffer_store_dword v57, off, s[24:27], 0 offset:112 ; 4-byte Folded Spill
	s_nop 0
	buffer_store_dword v58, off, s[24:27], 0 offset:116 ; 4-byte Folded Spill
	buffer_store_dword v59, off, s[24:27], 0 offset:120 ; 4-byte Folded Spill
	buffer_store_dword v60, off, s[24:27], 0 offset:124 ; 4-byte Folded Spill
	ds_read2_b64 v[89:92], v0 offset0:52 offset1:53
	buffer_load_dword v57, off, s[24:27], 0 offset:96 ; 4-byte Folded Reload
	buffer_load_dword v58, off, s[24:27], 0 offset:100 ; 4-byte Folded Reload
	buffer_load_dword v59, off, s[24:27], 0 offset:104 ; 4-byte Folded Reload
	buffer_load_dword v60, off, s[24:27], 0 offset:108 ; 4-byte Folded Reload
	s_waitcnt lgkmcnt(0)
	v_mul_f64 v[93:94], v[91:92], v[99:100]
	v_fma_f64 v[93:94], v[89:90], v[125:126], -v[93:94]
	v_mul_f64 v[89:90], v[89:90], v[99:100]
	v_fma_f64 v[89:90], v[91:92], v[125:126], v[89:90]
	s_waitcnt vmcnt(2)
	v_add_f64 v[57:58], v[57:58], -v[93:94]
	s_waitcnt vmcnt(0)
	v_add_f64 v[59:60], v[59:60], -v[89:90]
	buffer_store_dword v57, off, s[24:27], 0 offset:96 ; 4-byte Folded Spill
	s_nop 0
	buffer_store_dword v58, off, s[24:27], 0 offset:100 ; 4-byte Folded Spill
	buffer_store_dword v59, off, s[24:27], 0 offset:104 ; 4-byte Folded Spill
	buffer_store_dword v60, off, s[24:27], 0 offset:108 ; 4-byte Folded Spill
	ds_read2_b64 v[89:92], v0 offset0:54 offset1:55
	buffer_load_dword v57, off, s[24:27], 0 offset:80 ; 4-byte Folded Reload
	buffer_load_dword v58, off, s[24:27], 0 offset:84 ; 4-byte Folded Reload
	buffer_load_dword v59, off, s[24:27], 0 offset:88 ; 4-byte Folded Reload
	buffer_load_dword v60, off, s[24:27], 0 offset:92 ; 4-byte Folded Reload
	s_waitcnt lgkmcnt(0)
	v_mul_f64 v[93:94], v[91:92], v[99:100]
	v_fma_f64 v[93:94], v[89:90], v[125:126], -v[93:94]
	v_mul_f64 v[89:90], v[89:90], v[99:100]
	v_fma_f64 v[89:90], v[91:92], v[125:126], v[89:90]
	s_waitcnt vmcnt(2)
	v_add_f64 v[57:58], v[57:58], -v[93:94]
	s_waitcnt vmcnt(0)
	v_add_f64 v[59:60], v[59:60], -v[89:90]
	buffer_store_dword v57, off, s[24:27], 0 offset:80 ; 4-byte Folded Spill
	s_nop 0
	buffer_store_dword v58, off, s[24:27], 0 offset:84 ; 4-byte Folded Spill
	buffer_store_dword v59, off, s[24:27], 0 offset:88 ; 4-byte Folded Spill
	buffer_store_dword v60, off, s[24:27], 0 offset:92 ; 4-byte Folded Spill
	ds_read2_b64 v[89:92], v0 offset0:56 offset1:57
	buffer_load_dword v57, off, s[24:27], 0 offset:64 ; 4-byte Folded Reload
	buffer_load_dword v58, off, s[24:27], 0 offset:68 ; 4-byte Folded Reload
	buffer_load_dword v59, off, s[24:27], 0 offset:72 ; 4-byte Folded Reload
	buffer_load_dword v60, off, s[24:27], 0 offset:76 ; 4-byte Folded Reload
	s_waitcnt lgkmcnt(0)
	v_mul_f64 v[93:94], v[91:92], v[99:100]
	v_fma_f64 v[93:94], v[89:90], v[125:126], -v[93:94]
	v_mul_f64 v[89:90], v[89:90], v[99:100]
	v_fma_f64 v[89:90], v[91:92], v[125:126], v[89:90]
	s_waitcnt vmcnt(2)
	v_add_f64 v[57:58], v[57:58], -v[93:94]
	s_waitcnt vmcnt(0)
	v_add_f64 v[59:60], v[59:60], -v[89:90]
	buffer_store_dword v57, off, s[24:27], 0 offset:64 ; 4-byte Folded Spill
	s_nop 0
	buffer_store_dword v58, off, s[24:27], 0 offset:68 ; 4-byte Folded Spill
	buffer_store_dword v59, off, s[24:27], 0 offset:72 ; 4-byte Folded Spill
	buffer_store_dword v60, off, s[24:27], 0 offset:76 ; 4-byte Folded Spill
	ds_read2_b64 v[89:92], v0 offset0:58 offset1:59
	buffer_load_dword v57, off, s[24:27], 0 offset:48 ; 4-byte Folded Reload
	buffer_load_dword v58, off, s[24:27], 0 offset:52 ; 4-byte Folded Reload
	buffer_load_dword v59, off, s[24:27], 0 offset:56 ; 4-byte Folded Reload
	buffer_load_dword v60, off, s[24:27], 0 offset:60 ; 4-byte Folded Reload
	s_waitcnt lgkmcnt(0)
	v_mul_f64 v[93:94], v[91:92], v[99:100]
	v_fma_f64 v[93:94], v[89:90], v[125:126], -v[93:94]
	v_mul_f64 v[89:90], v[89:90], v[99:100]
	v_fma_f64 v[89:90], v[91:92], v[125:126], v[89:90]
	s_waitcnt vmcnt(2)
	v_add_f64 v[57:58], v[57:58], -v[93:94]
	s_waitcnt vmcnt(0)
	v_add_f64 v[59:60], v[59:60], -v[89:90]
	buffer_store_dword v57, off, s[24:27], 0 offset:48 ; 4-byte Folded Spill
	s_nop 0
	buffer_store_dword v58, off, s[24:27], 0 offset:52 ; 4-byte Folded Spill
	buffer_store_dword v59, off, s[24:27], 0 offset:56 ; 4-byte Folded Spill
	buffer_store_dword v60, off, s[24:27], 0 offset:60 ; 4-byte Folded Spill
	ds_read2_b64 v[89:92], v0 offset0:60 offset1:61
	buffer_load_dword v57, off, s[24:27], 0 offset:32 ; 4-byte Folded Reload
	buffer_load_dword v58, off, s[24:27], 0 offset:36 ; 4-byte Folded Reload
	buffer_load_dword v59, off, s[24:27], 0 offset:40 ; 4-byte Folded Reload
	buffer_load_dword v60, off, s[24:27], 0 offset:44 ; 4-byte Folded Reload
	s_waitcnt lgkmcnt(0)
	v_mul_f64 v[93:94], v[91:92], v[99:100]
	v_fma_f64 v[93:94], v[89:90], v[125:126], -v[93:94]
	v_mul_f64 v[89:90], v[89:90], v[99:100]
	v_fma_f64 v[89:90], v[91:92], v[125:126], v[89:90]
	s_waitcnt vmcnt(2)
	v_add_f64 v[57:58], v[57:58], -v[93:94]
	s_waitcnt vmcnt(0)
	v_add_f64 v[59:60], v[59:60], -v[89:90]
	buffer_store_dword v57, off, s[24:27], 0 offset:32 ; 4-byte Folded Spill
	s_nop 0
	buffer_store_dword v58, off, s[24:27], 0 offset:36 ; 4-byte Folded Spill
	buffer_store_dword v59, off, s[24:27], 0 offset:40 ; 4-byte Folded Spill
	buffer_store_dword v60, off, s[24:27], 0 offset:44 ; 4-byte Folded Spill
	ds_read2_b64 v[89:92], v0 offset0:62 offset1:63
	buffer_load_dword v57, off, s[24:27], 0 offset:16 ; 4-byte Folded Reload
	buffer_load_dword v58, off, s[24:27], 0 offset:20 ; 4-byte Folded Reload
	buffer_load_dword v59, off, s[24:27], 0 offset:24 ; 4-byte Folded Reload
	buffer_load_dword v60, off, s[24:27], 0 offset:28 ; 4-byte Folded Reload
	s_waitcnt lgkmcnt(0)
	v_mul_f64 v[93:94], v[91:92], v[99:100]
	v_fma_f64 v[93:94], v[89:90], v[125:126], -v[93:94]
	v_mul_f64 v[89:90], v[89:90], v[99:100]
	v_fma_f64 v[89:90], v[91:92], v[125:126], v[89:90]
	s_waitcnt vmcnt(2)
	v_add_f64 v[57:58], v[57:58], -v[93:94]
	s_waitcnt vmcnt(0)
	v_add_f64 v[59:60], v[59:60], -v[89:90]
	buffer_store_dword v57, off, s[24:27], 0 offset:16 ; 4-byte Folded Spill
	s_nop 0
	buffer_store_dword v58, off, s[24:27], 0 offset:20 ; 4-byte Folded Spill
	buffer_store_dword v59, off, s[24:27], 0 offset:24 ; 4-byte Folded Spill
	;; [unrolled: 1-line block ×3, first 2 shown]
	ds_read2_b64 v[89:92], v0 offset0:64 offset1:65
	s_waitcnt lgkmcnt(0)
	v_mul_f64 v[93:94], v[91:92], v[99:100]
	v_fma_f64 v[93:94], v[89:90], v[125:126], -v[93:94]
	v_mul_f64 v[89:90], v[89:90], v[99:100]
	v_add_f64 v[81:82], v[81:82], -v[93:94]
	v_fma_f64 v[89:90], v[91:92], v[125:126], v[89:90]
	v_add_f64 v[83:84], v[83:84], -v[89:90]
	ds_read2_b64 v[89:92], v0 offset0:66 offset1:67
	s_waitcnt lgkmcnt(0)
	v_mul_f64 v[93:94], v[91:92], v[99:100]
	v_fma_f64 v[93:94], v[89:90], v[125:126], -v[93:94]
	v_mul_f64 v[89:90], v[89:90], v[99:100]
	v_add_f64 v[85:86], v[85:86], -v[93:94]
	v_fma_f64 v[89:90], v[91:92], v[125:126], v[89:90]
	v_add_f64 v[87:88], v[87:88], -v[89:90]
	;; [unrolled: 8-line block ×9, first 2 shown]
	ds_read2_b64 v[89:92], v0 offset0:82 offset1:83
	buffer_load_dword v57, off, s[24:27], 0 ; 4-byte Folded Reload
	buffer_load_dword v58, off, s[24:27], 0 offset:4 ; 4-byte Folded Reload
	buffer_load_dword v59, off, s[24:27], 0 offset:8 ; 4-byte Folded Reload
	;; [unrolled: 1-line block ×3, first 2 shown]
	s_waitcnt lgkmcnt(0)
	v_mul_f64 v[93:94], v[91:92], v[99:100]
	v_fma_f64 v[93:94], v[89:90], v[125:126], -v[93:94]
	v_mul_f64 v[89:90], v[89:90], v[99:100]
	v_fma_f64 v[89:90], v[91:92], v[125:126], v[89:90]
	s_waitcnt vmcnt(2)
	v_add_f64 v[57:58], v[57:58], -v[93:94]
	s_waitcnt vmcnt(0)
	v_add_f64 v[59:60], v[59:60], -v[89:90]
	buffer_store_dword v57, off, s[24:27], 0 ; 4-byte Folded Spill
	s_nop 0
	buffer_store_dword v58, off, s[24:27], 0 offset:4 ; 4-byte Folded Spill
	buffer_store_dword v59, off, s[24:27], 0 offset:8 ; 4-byte Folded Spill
	;; [unrolled: 1-line block ×3, first 2 shown]
	ds_read2_b64 v[89:92], v0 offset0:84 offset1:85
	s_waitcnt lgkmcnt(0)
	v_mul_f64 v[93:94], v[91:92], v[99:100]
	v_fma_f64 v[93:94], v[89:90], v[125:126], -v[93:94]
	v_mul_f64 v[89:90], v[89:90], v[99:100]
	v_add_f64 v[53:54], v[53:54], -v[93:94]
	v_fma_f64 v[89:90], v[91:92], v[125:126], v[89:90]
	v_add_f64 v[55:56], v[55:56], -v[89:90]
	ds_read2_b64 v[89:92], v0 offset0:86 offset1:87
	s_waitcnt lgkmcnt(0)
	v_mul_f64 v[93:94], v[91:92], v[99:100]
	v_fma_f64 v[93:94], v[89:90], v[125:126], -v[93:94]
	v_mul_f64 v[89:90], v[89:90], v[99:100]
	v_add_f64 v[49:50], v[49:50], -v[93:94]
	v_fma_f64 v[89:90], v[91:92], v[125:126], v[89:90]
	v_add_f64 v[51:52], v[51:52], -v[89:90]
	;; [unrolled: 8-line block ×14, first 2 shown]
	ds_read2_b64 v[89:92], v0 offset0:112 offset1:113
	s_waitcnt lgkmcnt(0)
	v_mul_f64 v[93:94], v[91:92], v[99:100]
	v_fma_f64 v[93:94], v[89:90], v[125:126], -v[93:94]
	v_mul_f64 v[89:90], v[89:90], v[99:100]
	buffer_store_dword v97, off, s[24:27], 0 offset:240 ; 4-byte Folded Spill
	s_nop 0
	buffer_store_dword v98, off, s[24:27], 0 offset:244 ; 4-byte Folded Spill
	buffer_store_dword v99, off, s[24:27], 0 offset:248 ; 4-byte Folded Spill
	;; [unrolled: 1-line block ×3, first 2 shown]
	v_add_f64 v[121:122], v[121:122], -v[93:94]
	v_fma_f64 v[89:90], v[91:92], v[125:126], v[89:90]
	v_add_f64 v[123:124], v[123:124], -v[89:90]
.LBB112_377:
	s_or_b64 exec, exec, s[0:1]
	s_waitcnt vmcnt(0)
	s_barrier
	buffer_load_dword v57, off, s[24:27], 0 offset:224 ; 4-byte Folded Reload
	buffer_load_dword v58, off, s[24:27], 0 offset:228 ; 4-byte Folded Reload
	;; [unrolled: 1-line block ×4, first 2 shown]
	v_lshl_add_u32 v89, v96, 4, v0
	s_cmp_lt_i32 s3, 20
	s_waitcnt vmcnt(0)
	ds_write2_b64 v89, v[57:58], v[59:60] offset1:1
	s_waitcnt lgkmcnt(0)
	s_barrier
	ds_read2_b64 v[117:120], v0 offset0:36 offset1:37
	v_mov_b32_e32 v89, 18
	s_cbranch_scc1 .LBB112_380
; %bb.378:
	v_add_u32_e32 v90, 0x130, v0
	s_mov_b32 s0, 19
	v_mov_b32_e32 v89, 18
.LBB112_379:                            ; =>This Inner Loop Header: Depth=1
	s_waitcnt lgkmcnt(0)
	v_cmp_gt_f64_e32 vcc, 0, v[117:118]
	v_xor_b32_e32 v97, 0x80000000, v118
	ds_read2_b64 v[91:94], v90 offset1:1
	v_xor_b32_e32 v99, 0x80000000, v120
	v_add_u32_e32 v90, 16, v90
	s_waitcnt lgkmcnt(0)
	v_xor_b32_e32 v101, 0x80000000, v94
	v_cndmask_b32_e32 v98, v118, v97, vcc
	v_cmp_gt_f64_e32 vcc, 0, v[119:120]
	v_mov_b32_e32 v97, v117
	v_cndmask_b32_e32 v100, v120, v99, vcc
	v_cmp_gt_f64_e32 vcc, 0, v[91:92]
	v_mov_b32_e32 v99, v119
	v_add_f64 v[97:98], v[97:98], v[99:100]
	v_xor_b32_e32 v99, 0x80000000, v92
	v_cndmask_b32_e32 v100, v92, v99, vcc
	v_cmp_gt_f64_e32 vcc, 0, v[93:94]
	v_mov_b32_e32 v99, v91
	v_cndmask_b32_e32 v102, v94, v101, vcc
	v_mov_b32_e32 v101, v93
	v_add_f64 v[99:100], v[99:100], v[101:102]
	v_cmp_lt_f64_e32 vcc, v[97:98], v[99:100]
	v_cndmask_b32_e32 v117, v117, v91, vcc
	v_mov_b32_e32 v91, s0
	s_add_i32 s0, s0, 1
	v_cndmask_b32_e32 v118, v118, v92, vcc
	v_cndmask_b32_e32 v120, v120, v94, vcc
	;; [unrolled: 1-line block ×4, first 2 shown]
	s_cmp_lg_u32 s3, s0
	s_cbranch_scc1 .LBB112_379
.LBB112_380:
	s_waitcnt lgkmcnt(0)
	v_cmp_eq_f64_e32 vcc, 0, v[117:118]
	v_cmp_eq_f64_e64 s[0:1], 0, v[119:120]
	s_and_b64 s[0:1], vcc, s[0:1]
	s_and_saveexec_b64 s[18:19], s[0:1]
	s_xor_b64 s[0:1], exec, s[18:19]
; %bb.381:
	v_cmp_ne_u32_e32 vcc, 0, v95
	v_cndmask_b32_e32 v95, 19, v95, vcc
; %bb.382:
	s_andn2_saveexec_b64 s[0:1], s[0:1]
	s_cbranch_execz .LBB112_388
; %bb.383:
	v_cmp_ngt_f64_e64 s[18:19], |v[117:118]|, |v[119:120]|
	s_and_saveexec_b64 s[20:21], s[18:19]
	s_xor_b64 s[18:19], exec, s[20:21]
	s_cbranch_execz .LBB112_385
; %bb.384:
	v_div_scale_f64 v[90:91], s[20:21], v[119:120], v[119:120], v[117:118]
	v_rcp_f64_e32 v[92:93], v[90:91]
	v_fma_f64 v[97:98], -v[90:91], v[92:93], 1.0
	v_fma_f64 v[92:93], v[92:93], v[97:98], v[92:93]
	v_div_scale_f64 v[97:98], vcc, v[117:118], v[119:120], v[117:118]
	v_fma_f64 v[99:100], -v[90:91], v[92:93], 1.0
	v_fma_f64 v[92:93], v[92:93], v[99:100], v[92:93]
	v_mul_f64 v[99:100], v[97:98], v[92:93]
	v_fma_f64 v[90:91], -v[90:91], v[99:100], v[97:98]
	v_div_fmas_f64 v[90:91], v[90:91], v[92:93], v[99:100]
	v_div_fixup_f64 v[90:91], v[90:91], v[119:120], v[117:118]
	v_fma_f64 v[92:93], v[117:118], v[90:91], v[119:120]
	v_div_scale_f64 v[97:98], s[20:21], v[92:93], v[92:93], 1.0
	v_div_scale_f64 v[103:104], vcc, 1.0, v[92:93], 1.0
	v_rcp_f64_e32 v[99:100], v[97:98]
	v_fma_f64 v[101:102], -v[97:98], v[99:100], 1.0
	v_fma_f64 v[99:100], v[99:100], v[101:102], v[99:100]
	v_fma_f64 v[101:102], -v[97:98], v[99:100], 1.0
	v_fma_f64 v[99:100], v[99:100], v[101:102], v[99:100]
	v_mul_f64 v[101:102], v[103:104], v[99:100]
	v_fma_f64 v[97:98], -v[97:98], v[101:102], v[103:104]
	v_div_fmas_f64 v[97:98], v[97:98], v[99:100], v[101:102]
	v_div_fixup_f64 v[119:120], v[97:98], v[92:93], 1.0
	v_mul_f64 v[117:118], v[90:91], v[119:120]
	v_xor_b32_e32 v120, 0x80000000, v120
.LBB112_385:
	s_andn2_saveexec_b64 s[18:19], s[18:19]
	s_cbranch_execz .LBB112_387
; %bb.386:
	v_div_scale_f64 v[90:91], s[20:21], v[117:118], v[117:118], v[119:120]
	v_rcp_f64_e32 v[92:93], v[90:91]
	v_fma_f64 v[97:98], -v[90:91], v[92:93], 1.0
	v_fma_f64 v[92:93], v[92:93], v[97:98], v[92:93]
	v_div_scale_f64 v[97:98], vcc, v[119:120], v[117:118], v[119:120]
	v_fma_f64 v[99:100], -v[90:91], v[92:93], 1.0
	v_fma_f64 v[92:93], v[92:93], v[99:100], v[92:93]
	v_mul_f64 v[99:100], v[97:98], v[92:93]
	v_fma_f64 v[90:91], -v[90:91], v[99:100], v[97:98]
	v_div_fmas_f64 v[90:91], v[90:91], v[92:93], v[99:100]
	v_div_fixup_f64 v[90:91], v[90:91], v[117:118], v[119:120]
	v_fma_f64 v[92:93], v[119:120], v[90:91], v[117:118]
	v_div_scale_f64 v[97:98], s[20:21], v[92:93], v[92:93], 1.0
	v_div_scale_f64 v[103:104], vcc, 1.0, v[92:93], 1.0
	v_rcp_f64_e32 v[99:100], v[97:98]
	v_fma_f64 v[101:102], -v[97:98], v[99:100], 1.0
	v_fma_f64 v[99:100], v[99:100], v[101:102], v[99:100]
	v_fma_f64 v[101:102], -v[97:98], v[99:100], 1.0
	v_fma_f64 v[99:100], v[99:100], v[101:102], v[99:100]
	v_mul_f64 v[101:102], v[103:104], v[99:100]
	v_fma_f64 v[97:98], -v[97:98], v[101:102], v[103:104]
	v_div_fmas_f64 v[97:98], v[97:98], v[99:100], v[101:102]
	v_div_fixup_f64 v[117:118], v[97:98], v[92:93], 1.0
	v_mul_f64 v[119:120], v[90:91], -v[117:118]
.LBB112_387:
	s_or_b64 exec, exec, s[18:19]
.LBB112_388:
	s_or_b64 exec, exec, s[0:1]
	v_cmp_ne_u32_e32 vcc, v96, v89
	s_and_saveexec_b64 s[0:1], vcc
	s_xor_b64 s[0:1], exec, s[0:1]
	s_cbranch_execz .LBB112_394
; %bb.389:
	v_cmp_eq_u32_e32 vcc, 18, v96
	s_and_saveexec_b64 s[18:19], vcc
	s_cbranch_execz .LBB112_393
; %bb.390:
	v_cmp_ne_u32_e32 vcc, 18, v89
	s_xor_b64 s[20:21], s[6:7], -1
	s_and_b64 s[22:23], s[20:21], vcc
	s_and_saveexec_b64 s[20:21], s[22:23]
	s_cbranch_execz .LBB112_392
; %bb.391:
	v_mov_b32_e32 v57, v81
	v_mov_b32_e32 v58, v82
	;; [unrolled: 1-line block ×4, first 2 shown]
	buffer_load_dword v81, off, s[24:27], 0 offset:464 ; 4-byte Folded Reload
	buffer_load_dword v82, off, s[24:27], 0 offset:468 ; 4-byte Folded Reload
	v_ashrrev_i32_e32 v90, 31, v89
	v_lshlrev_b64 v[90:91], 2, v[89:90]
	s_waitcnt vmcnt(1)
	v_add_co_u32_e32 v90, vcc, v81, v90
	s_waitcnt vmcnt(0)
	v_addc_co_u32_e32 v91, vcc, v82, v91, vcc
	global_load_dword v92, v[90:91], off
	global_load_dword v93, v[81:82], off offset:72
	s_waitcnt vmcnt(1)
	global_store_dword v[81:82], v92, off offset:72
	v_mov_b32_e32 v84, v60
	v_mov_b32_e32 v83, v59
	;; [unrolled: 1-line block ×4, first 2 shown]
	s_waitcnt vmcnt(1)
	global_store_dword v[90:91], v93, off
.LBB112_392:
	s_or_b64 exec, exec, s[20:21]
	v_mov_b32_e32 v96, v89
	v_mov_b32_e32 v127, v89
.LBB112_393:
	s_or_b64 exec, exec, s[18:19]
.LBB112_394:
	s_andn2_saveexec_b64 s[0:1], s[0:1]
	s_cbranch_execz .LBB112_396
; %bb.395:
	buffer_load_dword v57, off, s[24:27], 0 offset:208 ; 4-byte Folded Reload
	buffer_load_dword v58, off, s[24:27], 0 offset:212 ; 4-byte Folded Reload
	;; [unrolled: 1-line block ×4, first 2 shown]
	v_mov_b32_e32 v96, 18
	s_waitcnt vmcnt(0)
	ds_write2_b64 v0, v[57:58], v[59:60] offset0:38 offset1:39
	buffer_load_dword v57, off, s[24:27], 0 offset:192 ; 4-byte Folded Reload
	buffer_load_dword v58, off, s[24:27], 0 offset:196 ; 4-byte Folded Reload
	buffer_load_dword v59, off, s[24:27], 0 offset:200 ; 4-byte Folded Reload
	buffer_load_dword v60, off, s[24:27], 0 offset:204 ; 4-byte Folded Reload
	s_waitcnt vmcnt(0)
	ds_write2_b64 v0, v[57:58], v[59:60] offset0:40 offset1:41
	buffer_load_dword v57, off, s[24:27], 0 offset:176 ; 4-byte Folded Reload
	buffer_load_dword v58, off, s[24:27], 0 offset:180 ; 4-byte Folded Reload
	buffer_load_dword v59, off, s[24:27], 0 offset:184 ; 4-byte Folded Reload
	buffer_load_dword v60, off, s[24:27], 0 offset:188 ; 4-byte Folded Reload
	;; [unrolled: 6-line block ×12, first 2 shown]
	s_waitcnt vmcnt(0)
	ds_write2_b64 v0, v[57:58], v[59:60] offset0:62 offset1:63
	ds_write2_b64 v0, v[81:82], v[83:84] offset0:64 offset1:65
	;; [unrolled: 1-line block ×10, first 2 shown]
	buffer_load_dword v57, off, s[24:27], 0 ; 4-byte Folded Reload
	buffer_load_dword v58, off, s[24:27], 0 offset:4 ; 4-byte Folded Reload
	buffer_load_dword v59, off, s[24:27], 0 offset:8 ; 4-byte Folded Reload
	;; [unrolled: 1-line block ×3, first 2 shown]
	s_waitcnt vmcnt(0)
	ds_write2_b64 v0, v[57:58], v[59:60] offset0:82 offset1:83
	ds_write2_b64 v0, v[53:54], v[55:56] offset0:84 offset1:85
	;; [unrolled: 1-line block ×16, first 2 shown]
.LBB112_396:
	s_or_b64 exec, exec, s[0:1]
	v_cmp_lt_i32_e32 vcc, 18, v96
	s_waitcnt vmcnt(0) lgkmcnt(0)
	s_barrier
	s_and_saveexec_b64 s[0:1], vcc
	s_cbranch_execz .LBB112_398
; %bb.397:
	buffer_load_dword v97, off, s[24:27], 0 offset:224 ; 4-byte Folded Reload
	buffer_load_dword v98, off, s[24:27], 0 offset:228 ; 4-byte Folded Reload
	;; [unrolled: 1-line block ×4, first 2 shown]
	s_waitcnt vmcnt(0)
	v_mul_f64 v[89:90], v[119:120], v[99:100]
	v_fma_f64 v[125:126], v[117:118], v[97:98], -v[89:90]
	v_mul_f64 v[89:90], v[117:118], v[99:100]
	v_fma_f64 v[99:100], v[119:120], v[97:98], v[89:90]
	ds_read2_b64 v[89:92], v0 offset0:38 offset1:39
	buffer_load_dword v57, off, s[24:27], 0 offset:208 ; 4-byte Folded Reload
	buffer_load_dword v58, off, s[24:27], 0 offset:212 ; 4-byte Folded Reload
	;; [unrolled: 1-line block ×4, first 2 shown]
	v_mov_b32_e32 v97, v125
	v_mov_b32_e32 v98, v126
	s_waitcnt lgkmcnt(0)
	v_mul_f64 v[93:94], v[91:92], v[99:100]
	v_fma_f64 v[93:94], v[89:90], v[125:126], -v[93:94]
	v_mul_f64 v[89:90], v[89:90], v[99:100]
	v_fma_f64 v[89:90], v[91:92], v[125:126], v[89:90]
	s_waitcnt vmcnt(2)
	v_add_f64 v[57:58], v[57:58], -v[93:94]
	s_waitcnt vmcnt(0)
	v_add_f64 v[59:60], v[59:60], -v[89:90]
	buffer_store_dword v57, off, s[24:27], 0 offset:208 ; 4-byte Folded Spill
	s_nop 0
	buffer_store_dword v58, off, s[24:27], 0 offset:212 ; 4-byte Folded Spill
	buffer_store_dword v59, off, s[24:27], 0 offset:216 ; 4-byte Folded Spill
	buffer_store_dword v60, off, s[24:27], 0 offset:220 ; 4-byte Folded Spill
	ds_read2_b64 v[89:92], v0 offset0:40 offset1:41
	buffer_load_dword v57, off, s[24:27], 0 offset:192 ; 4-byte Folded Reload
	buffer_load_dword v58, off, s[24:27], 0 offset:196 ; 4-byte Folded Reload
	buffer_load_dword v59, off, s[24:27], 0 offset:200 ; 4-byte Folded Reload
	buffer_load_dword v60, off, s[24:27], 0 offset:204 ; 4-byte Folded Reload
	s_waitcnt lgkmcnt(0)
	v_mul_f64 v[93:94], v[91:92], v[99:100]
	v_fma_f64 v[93:94], v[89:90], v[125:126], -v[93:94]
	v_mul_f64 v[89:90], v[89:90], v[99:100]
	v_fma_f64 v[89:90], v[91:92], v[125:126], v[89:90]
	s_waitcnt vmcnt(2)
	v_add_f64 v[57:58], v[57:58], -v[93:94]
	s_waitcnt vmcnt(0)
	v_add_f64 v[59:60], v[59:60], -v[89:90]
	buffer_store_dword v57, off, s[24:27], 0 offset:192 ; 4-byte Folded Spill
	s_nop 0
	buffer_store_dword v58, off, s[24:27], 0 offset:196 ; 4-byte Folded Spill
	buffer_store_dword v59, off, s[24:27], 0 offset:200 ; 4-byte Folded Spill
	buffer_store_dword v60, off, s[24:27], 0 offset:204 ; 4-byte Folded Spill
	ds_read2_b64 v[89:92], v0 offset0:42 offset1:43
	buffer_load_dword v57, off, s[24:27], 0 offset:176 ; 4-byte Folded Reload
	buffer_load_dword v58, off, s[24:27], 0 offset:180 ; 4-byte Folded Reload
	buffer_load_dword v59, off, s[24:27], 0 offset:184 ; 4-byte Folded Reload
	buffer_load_dword v60, off, s[24:27], 0 offset:188 ; 4-byte Folded Reload
	;; [unrolled: 19-line block ×12, first 2 shown]
	s_waitcnt lgkmcnt(0)
	v_mul_f64 v[93:94], v[91:92], v[99:100]
	v_fma_f64 v[93:94], v[89:90], v[125:126], -v[93:94]
	v_mul_f64 v[89:90], v[89:90], v[99:100]
	v_fma_f64 v[89:90], v[91:92], v[125:126], v[89:90]
	s_waitcnt vmcnt(2)
	v_add_f64 v[57:58], v[57:58], -v[93:94]
	s_waitcnt vmcnt(0)
	v_add_f64 v[59:60], v[59:60], -v[89:90]
	buffer_store_dword v57, off, s[24:27], 0 offset:16 ; 4-byte Folded Spill
	s_nop 0
	buffer_store_dword v58, off, s[24:27], 0 offset:20 ; 4-byte Folded Spill
	buffer_store_dword v59, off, s[24:27], 0 offset:24 ; 4-byte Folded Spill
	;; [unrolled: 1-line block ×3, first 2 shown]
	ds_read2_b64 v[89:92], v0 offset0:64 offset1:65
	s_waitcnt lgkmcnt(0)
	v_mul_f64 v[93:94], v[91:92], v[99:100]
	v_fma_f64 v[93:94], v[89:90], v[125:126], -v[93:94]
	v_mul_f64 v[89:90], v[89:90], v[99:100]
	v_add_f64 v[81:82], v[81:82], -v[93:94]
	v_fma_f64 v[89:90], v[91:92], v[125:126], v[89:90]
	v_add_f64 v[83:84], v[83:84], -v[89:90]
	ds_read2_b64 v[89:92], v0 offset0:66 offset1:67
	s_waitcnt lgkmcnt(0)
	v_mul_f64 v[93:94], v[91:92], v[99:100]
	v_fma_f64 v[93:94], v[89:90], v[125:126], -v[93:94]
	v_mul_f64 v[89:90], v[89:90], v[99:100]
	v_add_f64 v[85:86], v[85:86], -v[93:94]
	v_fma_f64 v[89:90], v[91:92], v[125:126], v[89:90]
	v_add_f64 v[87:88], v[87:88], -v[89:90]
	;; [unrolled: 8-line block ×9, first 2 shown]
	ds_read2_b64 v[89:92], v0 offset0:82 offset1:83
	buffer_load_dword v57, off, s[24:27], 0 ; 4-byte Folded Reload
	buffer_load_dword v58, off, s[24:27], 0 offset:4 ; 4-byte Folded Reload
	buffer_load_dword v59, off, s[24:27], 0 offset:8 ; 4-byte Folded Reload
	buffer_load_dword v60, off, s[24:27], 0 offset:12 ; 4-byte Folded Reload
	s_waitcnt lgkmcnt(0)
	v_mul_f64 v[93:94], v[91:92], v[99:100]
	v_fma_f64 v[93:94], v[89:90], v[125:126], -v[93:94]
	v_mul_f64 v[89:90], v[89:90], v[99:100]
	v_fma_f64 v[89:90], v[91:92], v[125:126], v[89:90]
	s_waitcnt vmcnt(2)
	v_add_f64 v[57:58], v[57:58], -v[93:94]
	s_waitcnt vmcnt(0)
	v_add_f64 v[59:60], v[59:60], -v[89:90]
	buffer_store_dword v57, off, s[24:27], 0 ; 4-byte Folded Spill
	s_nop 0
	buffer_store_dword v58, off, s[24:27], 0 offset:4 ; 4-byte Folded Spill
	buffer_store_dword v59, off, s[24:27], 0 offset:8 ; 4-byte Folded Spill
	;; [unrolled: 1-line block ×3, first 2 shown]
	ds_read2_b64 v[89:92], v0 offset0:84 offset1:85
	s_waitcnt lgkmcnt(0)
	v_mul_f64 v[93:94], v[91:92], v[99:100]
	v_fma_f64 v[93:94], v[89:90], v[125:126], -v[93:94]
	v_mul_f64 v[89:90], v[89:90], v[99:100]
	v_add_f64 v[53:54], v[53:54], -v[93:94]
	v_fma_f64 v[89:90], v[91:92], v[125:126], v[89:90]
	v_add_f64 v[55:56], v[55:56], -v[89:90]
	ds_read2_b64 v[89:92], v0 offset0:86 offset1:87
	s_waitcnt lgkmcnt(0)
	v_mul_f64 v[93:94], v[91:92], v[99:100]
	v_fma_f64 v[93:94], v[89:90], v[125:126], -v[93:94]
	v_mul_f64 v[89:90], v[89:90], v[99:100]
	v_add_f64 v[49:50], v[49:50], -v[93:94]
	v_fma_f64 v[89:90], v[91:92], v[125:126], v[89:90]
	v_add_f64 v[51:52], v[51:52], -v[89:90]
	;; [unrolled: 8-line block ×14, first 2 shown]
	ds_read2_b64 v[89:92], v0 offset0:112 offset1:113
	s_waitcnt lgkmcnt(0)
	v_mul_f64 v[93:94], v[91:92], v[99:100]
	v_fma_f64 v[93:94], v[89:90], v[125:126], -v[93:94]
	v_mul_f64 v[89:90], v[89:90], v[99:100]
	buffer_store_dword v97, off, s[24:27], 0 offset:224 ; 4-byte Folded Spill
	s_nop 0
	buffer_store_dword v98, off, s[24:27], 0 offset:228 ; 4-byte Folded Spill
	buffer_store_dword v99, off, s[24:27], 0 offset:232 ; 4-byte Folded Spill
	;; [unrolled: 1-line block ×3, first 2 shown]
	v_add_f64 v[121:122], v[121:122], -v[93:94]
	v_fma_f64 v[89:90], v[91:92], v[125:126], v[89:90]
	v_add_f64 v[123:124], v[123:124], -v[89:90]
.LBB112_398:
	s_or_b64 exec, exec, s[0:1]
	s_waitcnt vmcnt(0)
	s_barrier
	buffer_load_dword v57, off, s[24:27], 0 offset:208 ; 4-byte Folded Reload
	buffer_load_dword v58, off, s[24:27], 0 offset:212 ; 4-byte Folded Reload
	;; [unrolled: 1-line block ×4, first 2 shown]
	v_lshl_add_u32 v89, v96, 4, v0
	s_cmp_lt_i32 s3, 21
	s_waitcnt vmcnt(0)
	ds_write2_b64 v89, v[57:58], v[59:60] offset1:1
	s_waitcnt lgkmcnt(0)
	s_barrier
	ds_read2_b64 v[117:120], v0 offset0:38 offset1:39
	v_mov_b32_e32 v89, 19
	s_cbranch_scc1 .LBB112_401
; %bb.399:
	v_add_u32_e32 v90, 0x140, v0
	s_mov_b32 s0, 20
	v_mov_b32_e32 v89, 19
.LBB112_400:                            ; =>This Inner Loop Header: Depth=1
	s_waitcnt lgkmcnt(0)
	v_cmp_gt_f64_e32 vcc, 0, v[117:118]
	v_xor_b32_e32 v97, 0x80000000, v118
	ds_read2_b64 v[91:94], v90 offset1:1
	v_xor_b32_e32 v99, 0x80000000, v120
	v_add_u32_e32 v90, 16, v90
	s_waitcnt lgkmcnt(0)
	v_xor_b32_e32 v101, 0x80000000, v94
	v_cndmask_b32_e32 v98, v118, v97, vcc
	v_cmp_gt_f64_e32 vcc, 0, v[119:120]
	v_mov_b32_e32 v97, v117
	v_cndmask_b32_e32 v100, v120, v99, vcc
	v_cmp_gt_f64_e32 vcc, 0, v[91:92]
	v_mov_b32_e32 v99, v119
	v_add_f64 v[97:98], v[97:98], v[99:100]
	v_xor_b32_e32 v99, 0x80000000, v92
	v_cndmask_b32_e32 v100, v92, v99, vcc
	v_cmp_gt_f64_e32 vcc, 0, v[93:94]
	v_mov_b32_e32 v99, v91
	v_cndmask_b32_e32 v102, v94, v101, vcc
	v_mov_b32_e32 v101, v93
	v_add_f64 v[99:100], v[99:100], v[101:102]
	v_cmp_lt_f64_e32 vcc, v[97:98], v[99:100]
	v_cndmask_b32_e32 v117, v117, v91, vcc
	v_mov_b32_e32 v91, s0
	s_add_i32 s0, s0, 1
	v_cndmask_b32_e32 v118, v118, v92, vcc
	v_cndmask_b32_e32 v120, v120, v94, vcc
	;; [unrolled: 1-line block ×4, first 2 shown]
	s_cmp_lg_u32 s3, s0
	s_cbranch_scc1 .LBB112_400
.LBB112_401:
	s_waitcnt lgkmcnt(0)
	v_cmp_eq_f64_e32 vcc, 0, v[117:118]
	v_cmp_eq_f64_e64 s[0:1], 0, v[119:120]
	s_and_b64 s[0:1], vcc, s[0:1]
	s_and_saveexec_b64 s[18:19], s[0:1]
	s_xor_b64 s[0:1], exec, s[18:19]
; %bb.402:
	v_cmp_ne_u32_e32 vcc, 0, v95
	v_cndmask_b32_e32 v95, 20, v95, vcc
; %bb.403:
	s_andn2_saveexec_b64 s[0:1], s[0:1]
	s_cbranch_execz .LBB112_409
; %bb.404:
	v_cmp_ngt_f64_e64 s[18:19], |v[117:118]|, |v[119:120]|
	s_and_saveexec_b64 s[20:21], s[18:19]
	s_xor_b64 s[18:19], exec, s[20:21]
	s_cbranch_execz .LBB112_406
; %bb.405:
	v_div_scale_f64 v[90:91], s[20:21], v[119:120], v[119:120], v[117:118]
	v_rcp_f64_e32 v[92:93], v[90:91]
	v_fma_f64 v[97:98], -v[90:91], v[92:93], 1.0
	v_fma_f64 v[92:93], v[92:93], v[97:98], v[92:93]
	v_div_scale_f64 v[97:98], vcc, v[117:118], v[119:120], v[117:118]
	v_fma_f64 v[99:100], -v[90:91], v[92:93], 1.0
	v_fma_f64 v[92:93], v[92:93], v[99:100], v[92:93]
	v_mul_f64 v[99:100], v[97:98], v[92:93]
	v_fma_f64 v[90:91], -v[90:91], v[99:100], v[97:98]
	v_div_fmas_f64 v[90:91], v[90:91], v[92:93], v[99:100]
	v_div_fixup_f64 v[90:91], v[90:91], v[119:120], v[117:118]
	v_fma_f64 v[92:93], v[117:118], v[90:91], v[119:120]
	v_div_scale_f64 v[97:98], s[20:21], v[92:93], v[92:93], 1.0
	v_div_scale_f64 v[103:104], vcc, 1.0, v[92:93], 1.0
	v_rcp_f64_e32 v[99:100], v[97:98]
	v_fma_f64 v[101:102], -v[97:98], v[99:100], 1.0
	v_fma_f64 v[99:100], v[99:100], v[101:102], v[99:100]
	v_fma_f64 v[101:102], -v[97:98], v[99:100], 1.0
	v_fma_f64 v[99:100], v[99:100], v[101:102], v[99:100]
	v_mul_f64 v[101:102], v[103:104], v[99:100]
	v_fma_f64 v[97:98], -v[97:98], v[101:102], v[103:104]
	v_div_fmas_f64 v[97:98], v[97:98], v[99:100], v[101:102]
	v_div_fixup_f64 v[119:120], v[97:98], v[92:93], 1.0
	v_mul_f64 v[117:118], v[90:91], v[119:120]
	v_xor_b32_e32 v120, 0x80000000, v120
.LBB112_406:
	s_andn2_saveexec_b64 s[18:19], s[18:19]
	s_cbranch_execz .LBB112_408
; %bb.407:
	v_div_scale_f64 v[90:91], s[20:21], v[117:118], v[117:118], v[119:120]
	v_rcp_f64_e32 v[92:93], v[90:91]
	v_fma_f64 v[97:98], -v[90:91], v[92:93], 1.0
	v_fma_f64 v[92:93], v[92:93], v[97:98], v[92:93]
	v_div_scale_f64 v[97:98], vcc, v[119:120], v[117:118], v[119:120]
	v_fma_f64 v[99:100], -v[90:91], v[92:93], 1.0
	v_fma_f64 v[92:93], v[92:93], v[99:100], v[92:93]
	v_mul_f64 v[99:100], v[97:98], v[92:93]
	v_fma_f64 v[90:91], -v[90:91], v[99:100], v[97:98]
	v_div_fmas_f64 v[90:91], v[90:91], v[92:93], v[99:100]
	v_div_fixup_f64 v[90:91], v[90:91], v[117:118], v[119:120]
	v_fma_f64 v[92:93], v[119:120], v[90:91], v[117:118]
	v_div_scale_f64 v[97:98], s[20:21], v[92:93], v[92:93], 1.0
	v_div_scale_f64 v[103:104], vcc, 1.0, v[92:93], 1.0
	v_rcp_f64_e32 v[99:100], v[97:98]
	v_fma_f64 v[101:102], -v[97:98], v[99:100], 1.0
	v_fma_f64 v[99:100], v[99:100], v[101:102], v[99:100]
	v_fma_f64 v[101:102], -v[97:98], v[99:100], 1.0
	v_fma_f64 v[99:100], v[99:100], v[101:102], v[99:100]
	v_mul_f64 v[101:102], v[103:104], v[99:100]
	v_fma_f64 v[97:98], -v[97:98], v[101:102], v[103:104]
	v_div_fmas_f64 v[97:98], v[97:98], v[99:100], v[101:102]
	v_div_fixup_f64 v[117:118], v[97:98], v[92:93], 1.0
	v_mul_f64 v[119:120], v[90:91], -v[117:118]
.LBB112_408:
	s_or_b64 exec, exec, s[18:19]
.LBB112_409:
	s_or_b64 exec, exec, s[0:1]
	v_cmp_ne_u32_e32 vcc, v96, v89
	s_and_saveexec_b64 s[0:1], vcc
	s_xor_b64 s[0:1], exec, s[0:1]
	s_cbranch_execz .LBB112_415
; %bb.410:
	v_cmp_eq_u32_e32 vcc, 19, v96
	s_and_saveexec_b64 s[18:19], vcc
	s_cbranch_execz .LBB112_414
; %bb.411:
	v_cmp_ne_u32_e32 vcc, 19, v89
	s_xor_b64 s[20:21], s[6:7], -1
	s_and_b64 s[22:23], s[20:21], vcc
	s_and_saveexec_b64 s[20:21], s[22:23]
	s_cbranch_execz .LBB112_413
; %bb.412:
	v_mov_b32_e32 v57, v81
	v_mov_b32_e32 v58, v82
	;; [unrolled: 1-line block ×4, first 2 shown]
	buffer_load_dword v81, off, s[24:27], 0 offset:464 ; 4-byte Folded Reload
	buffer_load_dword v82, off, s[24:27], 0 offset:468 ; 4-byte Folded Reload
	v_ashrrev_i32_e32 v90, 31, v89
	v_lshlrev_b64 v[90:91], 2, v[89:90]
	s_waitcnt vmcnt(1)
	v_add_co_u32_e32 v90, vcc, v81, v90
	s_waitcnt vmcnt(0)
	v_addc_co_u32_e32 v91, vcc, v82, v91, vcc
	global_load_dword v92, v[90:91], off
	global_load_dword v93, v[81:82], off offset:76
	s_waitcnt vmcnt(1)
	global_store_dword v[81:82], v92, off offset:76
	v_mov_b32_e32 v84, v60
	v_mov_b32_e32 v83, v59
	;; [unrolled: 1-line block ×4, first 2 shown]
	s_waitcnt vmcnt(1)
	global_store_dword v[90:91], v93, off
.LBB112_413:
	s_or_b64 exec, exec, s[20:21]
	v_mov_b32_e32 v96, v89
	v_mov_b32_e32 v127, v89
.LBB112_414:
	s_or_b64 exec, exec, s[18:19]
.LBB112_415:
	s_andn2_saveexec_b64 s[0:1], s[0:1]
	s_cbranch_execz .LBB112_417
; %bb.416:
	buffer_load_dword v57, off, s[24:27], 0 offset:192 ; 4-byte Folded Reload
	buffer_load_dword v58, off, s[24:27], 0 offset:196 ; 4-byte Folded Reload
	;; [unrolled: 1-line block ×4, first 2 shown]
	v_mov_b32_e32 v96, 19
	s_waitcnt vmcnt(0)
	ds_write2_b64 v0, v[57:58], v[59:60] offset0:40 offset1:41
	buffer_load_dword v57, off, s[24:27], 0 offset:176 ; 4-byte Folded Reload
	buffer_load_dword v58, off, s[24:27], 0 offset:180 ; 4-byte Folded Reload
	buffer_load_dword v59, off, s[24:27], 0 offset:184 ; 4-byte Folded Reload
	buffer_load_dword v60, off, s[24:27], 0 offset:188 ; 4-byte Folded Reload
	s_waitcnt vmcnt(0)
	ds_write2_b64 v0, v[57:58], v[59:60] offset0:42 offset1:43
	buffer_load_dword v57, off, s[24:27], 0 offset:160 ; 4-byte Folded Reload
	buffer_load_dword v58, off, s[24:27], 0 offset:164 ; 4-byte Folded Reload
	buffer_load_dword v59, off, s[24:27], 0 offset:168 ; 4-byte Folded Reload
	buffer_load_dword v60, off, s[24:27], 0 offset:172 ; 4-byte Folded Reload
	;; [unrolled: 6-line block ×11, first 2 shown]
	s_waitcnt vmcnt(0)
	ds_write2_b64 v0, v[57:58], v[59:60] offset0:62 offset1:63
	ds_write2_b64 v0, v[81:82], v[83:84] offset0:64 offset1:65
	;; [unrolled: 1-line block ×10, first 2 shown]
	buffer_load_dword v57, off, s[24:27], 0 ; 4-byte Folded Reload
	buffer_load_dword v58, off, s[24:27], 0 offset:4 ; 4-byte Folded Reload
	buffer_load_dword v59, off, s[24:27], 0 offset:8 ; 4-byte Folded Reload
	;; [unrolled: 1-line block ×3, first 2 shown]
	s_waitcnt vmcnt(0)
	ds_write2_b64 v0, v[57:58], v[59:60] offset0:82 offset1:83
	ds_write2_b64 v0, v[53:54], v[55:56] offset0:84 offset1:85
	;; [unrolled: 1-line block ×16, first 2 shown]
.LBB112_417:
	s_or_b64 exec, exec, s[0:1]
	v_cmp_lt_i32_e32 vcc, 19, v96
	s_waitcnt vmcnt(0) lgkmcnt(0)
	s_barrier
	s_and_saveexec_b64 s[0:1], vcc
	s_cbranch_execz .LBB112_419
; %bb.418:
	buffer_load_dword v97, off, s[24:27], 0 offset:208 ; 4-byte Folded Reload
	buffer_load_dword v98, off, s[24:27], 0 offset:212 ; 4-byte Folded Reload
	;; [unrolled: 1-line block ×4, first 2 shown]
	s_waitcnt vmcnt(0)
	v_mul_f64 v[89:90], v[119:120], v[99:100]
	v_fma_f64 v[125:126], v[117:118], v[97:98], -v[89:90]
	v_mul_f64 v[89:90], v[117:118], v[99:100]
	v_fma_f64 v[99:100], v[119:120], v[97:98], v[89:90]
	ds_read2_b64 v[89:92], v0 offset0:40 offset1:41
	buffer_load_dword v57, off, s[24:27], 0 offset:192 ; 4-byte Folded Reload
	buffer_load_dword v58, off, s[24:27], 0 offset:196 ; 4-byte Folded Reload
	;; [unrolled: 1-line block ×4, first 2 shown]
	v_mov_b32_e32 v97, v125
	v_mov_b32_e32 v98, v126
	s_waitcnt lgkmcnt(0)
	v_mul_f64 v[93:94], v[91:92], v[99:100]
	v_fma_f64 v[93:94], v[89:90], v[125:126], -v[93:94]
	v_mul_f64 v[89:90], v[89:90], v[99:100]
	v_fma_f64 v[89:90], v[91:92], v[125:126], v[89:90]
	s_waitcnt vmcnt(2)
	v_add_f64 v[57:58], v[57:58], -v[93:94]
	s_waitcnt vmcnt(0)
	v_add_f64 v[59:60], v[59:60], -v[89:90]
	buffer_store_dword v57, off, s[24:27], 0 offset:192 ; 4-byte Folded Spill
	s_nop 0
	buffer_store_dword v58, off, s[24:27], 0 offset:196 ; 4-byte Folded Spill
	buffer_store_dword v59, off, s[24:27], 0 offset:200 ; 4-byte Folded Spill
	buffer_store_dword v60, off, s[24:27], 0 offset:204 ; 4-byte Folded Spill
	ds_read2_b64 v[89:92], v0 offset0:42 offset1:43
	buffer_load_dword v57, off, s[24:27], 0 offset:176 ; 4-byte Folded Reload
	buffer_load_dword v58, off, s[24:27], 0 offset:180 ; 4-byte Folded Reload
	buffer_load_dword v59, off, s[24:27], 0 offset:184 ; 4-byte Folded Reload
	buffer_load_dword v60, off, s[24:27], 0 offset:188 ; 4-byte Folded Reload
	s_waitcnt lgkmcnt(0)
	v_mul_f64 v[93:94], v[91:92], v[99:100]
	v_fma_f64 v[93:94], v[89:90], v[125:126], -v[93:94]
	v_mul_f64 v[89:90], v[89:90], v[99:100]
	v_fma_f64 v[89:90], v[91:92], v[125:126], v[89:90]
	s_waitcnt vmcnt(2)
	v_add_f64 v[57:58], v[57:58], -v[93:94]
	s_waitcnt vmcnt(0)
	v_add_f64 v[59:60], v[59:60], -v[89:90]
	buffer_store_dword v57, off, s[24:27], 0 offset:176 ; 4-byte Folded Spill
	s_nop 0
	buffer_store_dword v58, off, s[24:27], 0 offset:180 ; 4-byte Folded Spill
	buffer_store_dword v59, off, s[24:27], 0 offset:184 ; 4-byte Folded Spill
	buffer_store_dword v60, off, s[24:27], 0 offset:188 ; 4-byte Folded Spill
	ds_read2_b64 v[89:92], v0 offset0:44 offset1:45
	buffer_load_dword v57, off, s[24:27], 0 offset:160 ; 4-byte Folded Reload
	buffer_load_dword v58, off, s[24:27], 0 offset:164 ; 4-byte Folded Reload
	buffer_load_dword v59, off, s[24:27], 0 offset:168 ; 4-byte Folded Reload
	buffer_load_dword v60, off, s[24:27], 0 offset:172 ; 4-byte Folded Reload
	s_waitcnt lgkmcnt(0)
	v_mul_f64 v[93:94], v[91:92], v[99:100]
	v_fma_f64 v[93:94], v[89:90], v[125:126], -v[93:94]
	v_mul_f64 v[89:90], v[89:90], v[99:100]
	v_fma_f64 v[89:90], v[91:92], v[125:126], v[89:90]
	s_waitcnt vmcnt(2)
	v_add_f64 v[57:58], v[57:58], -v[93:94]
	s_waitcnt vmcnt(0)
	v_add_f64 v[59:60], v[59:60], -v[89:90]
	buffer_store_dword v57, off, s[24:27], 0 offset:160 ; 4-byte Folded Spill
	s_nop 0
	buffer_store_dword v58, off, s[24:27], 0 offset:164 ; 4-byte Folded Spill
	buffer_store_dword v59, off, s[24:27], 0 offset:168 ; 4-byte Folded Spill
	buffer_store_dword v60, off, s[24:27], 0 offset:172 ; 4-byte Folded Spill
	ds_read2_b64 v[89:92], v0 offset0:46 offset1:47
	buffer_load_dword v57, off, s[24:27], 0 offset:144 ; 4-byte Folded Reload
	buffer_load_dword v58, off, s[24:27], 0 offset:148 ; 4-byte Folded Reload
	buffer_load_dword v59, off, s[24:27], 0 offset:152 ; 4-byte Folded Reload
	buffer_load_dword v60, off, s[24:27], 0 offset:156 ; 4-byte Folded Reload
	s_waitcnt lgkmcnt(0)
	v_mul_f64 v[93:94], v[91:92], v[99:100]
	v_fma_f64 v[93:94], v[89:90], v[125:126], -v[93:94]
	v_mul_f64 v[89:90], v[89:90], v[99:100]
	v_fma_f64 v[89:90], v[91:92], v[125:126], v[89:90]
	s_waitcnt vmcnt(2)
	v_add_f64 v[57:58], v[57:58], -v[93:94]
	s_waitcnt vmcnt(0)
	v_add_f64 v[59:60], v[59:60], -v[89:90]
	buffer_store_dword v57, off, s[24:27], 0 offset:144 ; 4-byte Folded Spill
	s_nop 0
	buffer_store_dword v58, off, s[24:27], 0 offset:148 ; 4-byte Folded Spill
	buffer_store_dword v59, off, s[24:27], 0 offset:152 ; 4-byte Folded Spill
	buffer_store_dword v60, off, s[24:27], 0 offset:156 ; 4-byte Folded Spill
	ds_read2_b64 v[89:92], v0 offset0:48 offset1:49
	buffer_load_dword v57, off, s[24:27], 0 offset:128 ; 4-byte Folded Reload
	buffer_load_dword v58, off, s[24:27], 0 offset:132 ; 4-byte Folded Reload
	buffer_load_dword v59, off, s[24:27], 0 offset:136 ; 4-byte Folded Reload
	buffer_load_dword v60, off, s[24:27], 0 offset:140 ; 4-byte Folded Reload
	s_waitcnt lgkmcnt(0)
	v_mul_f64 v[93:94], v[91:92], v[99:100]
	v_fma_f64 v[93:94], v[89:90], v[125:126], -v[93:94]
	v_mul_f64 v[89:90], v[89:90], v[99:100]
	v_fma_f64 v[89:90], v[91:92], v[125:126], v[89:90]
	s_waitcnt vmcnt(2)
	v_add_f64 v[57:58], v[57:58], -v[93:94]
	s_waitcnt vmcnt(0)
	v_add_f64 v[59:60], v[59:60], -v[89:90]
	buffer_store_dword v57, off, s[24:27], 0 offset:128 ; 4-byte Folded Spill
	s_nop 0
	buffer_store_dword v58, off, s[24:27], 0 offset:132 ; 4-byte Folded Spill
	buffer_store_dword v59, off, s[24:27], 0 offset:136 ; 4-byte Folded Spill
	buffer_store_dword v60, off, s[24:27], 0 offset:140 ; 4-byte Folded Spill
	ds_read2_b64 v[89:92], v0 offset0:50 offset1:51
	buffer_load_dword v57, off, s[24:27], 0 offset:112 ; 4-byte Folded Reload
	buffer_load_dword v58, off, s[24:27], 0 offset:116 ; 4-byte Folded Reload
	buffer_load_dword v59, off, s[24:27], 0 offset:120 ; 4-byte Folded Reload
	buffer_load_dword v60, off, s[24:27], 0 offset:124 ; 4-byte Folded Reload
	s_waitcnt lgkmcnt(0)
	v_mul_f64 v[93:94], v[91:92], v[99:100]
	v_fma_f64 v[93:94], v[89:90], v[125:126], -v[93:94]
	v_mul_f64 v[89:90], v[89:90], v[99:100]
	v_fma_f64 v[89:90], v[91:92], v[125:126], v[89:90]
	s_waitcnt vmcnt(2)
	v_add_f64 v[57:58], v[57:58], -v[93:94]
	s_waitcnt vmcnt(0)
	v_add_f64 v[59:60], v[59:60], -v[89:90]
	buffer_store_dword v57, off, s[24:27], 0 offset:112 ; 4-byte Folded Spill
	s_nop 0
	buffer_store_dword v58, off, s[24:27], 0 offset:116 ; 4-byte Folded Spill
	buffer_store_dword v59, off, s[24:27], 0 offset:120 ; 4-byte Folded Spill
	buffer_store_dword v60, off, s[24:27], 0 offset:124 ; 4-byte Folded Spill
	ds_read2_b64 v[89:92], v0 offset0:52 offset1:53
	buffer_load_dword v57, off, s[24:27], 0 offset:96 ; 4-byte Folded Reload
	buffer_load_dword v58, off, s[24:27], 0 offset:100 ; 4-byte Folded Reload
	buffer_load_dword v59, off, s[24:27], 0 offset:104 ; 4-byte Folded Reload
	buffer_load_dword v60, off, s[24:27], 0 offset:108 ; 4-byte Folded Reload
	s_waitcnt lgkmcnt(0)
	v_mul_f64 v[93:94], v[91:92], v[99:100]
	v_fma_f64 v[93:94], v[89:90], v[125:126], -v[93:94]
	v_mul_f64 v[89:90], v[89:90], v[99:100]
	v_fma_f64 v[89:90], v[91:92], v[125:126], v[89:90]
	s_waitcnt vmcnt(2)
	v_add_f64 v[57:58], v[57:58], -v[93:94]
	s_waitcnt vmcnt(0)
	v_add_f64 v[59:60], v[59:60], -v[89:90]
	buffer_store_dword v57, off, s[24:27], 0 offset:96 ; 4-byte Folded Spill
	s_nop 0
	buffer_store_dword v58, off, s[24:27], 0 offset:100 ; 4-byte Folded Spill
	buffer_store_dword v59, off, s[24:27], 0 offset:104 ; 4-byte Folded Spill
	buffer_store_dword v60, off, s[24:27], 0 offset:108 ; 4-byte Folded Spill
	ds_read2_b64 v[89:92], v0 offset0:54 offset1:55
	buffer_load_dword v57, off, s[24:27], 0 offset:80 ; 4-byte Folded Reload
	buffer_load_dword v58, off, s[24:27], 0 offset:84 ; 4-byte Folded Reload
	buffer_load_dword v59, off, s[24:27], 0 offset:88 ; 4-byte Folded Reload
	buffer_load_dword v60, off, s[24:27], 0 offset:92 ; 4-byte Folded Reload
	s_waitcnt lgkmcnt(0)
	v_mul_f64 v[93:94], v[91:92], v[99:100]
	v_fma_f64 v[93:94], v[89:90], v[125:126], -v[93:94]
	v_mul_f64 v[89:90], v[89:90], v[99:100]
	v_fma_f64 v[89:90], v[91:92], v[125:126], v[89:90]
	s_waitcnt vmcnt(2)
	v_add_f64 v[57:58], v[57:58], -v[93:94]
	s_waitcnt vmcnt(0)
	v_add_f64 v[59:60], v[59:60], -v[89:90]
	buffer_store_dword v57, off, s[24:27], 0 offset:80 ; 4-byte Folded Spill
	s_nop 0
	buffer_store_dword v58, off, s[24:27], 0 offset:84 ; 4-byte Folded Spill
	buffer_store_dword v59, off, s[24:27], 0 offset:88 ; 4-byte Folded Spill
	buffer_store_dword v60, off, s[24:27], 0 offset:92 ; 4-byte Folded Spill
	ds_read2_b64 v[89:92], v0 offset0:56 offset1:57
	buffer_load_dword v57, off, s[24:27], 0 offset:64 ; 4-byte Folded Reload
	buffer_load_dword v58, off, s[24:27], 0 offset:68 ; 4-byte Folded Reload
	buffer_load_dword v59, off, s[24:27], 0 offset:72 ; 4-byte Folded Reload
	buffer_load_dword v60, off, s[24:27], 0 offset:76 ; 4-byte Folded Reload
	s_waitcnt lgkmcnt(0)
	v_mul_f64 v[93:94], v[91:92], v[99:100]
	v_fma_f64 v[93:94], v[89:90], v[125:126], -v[93:94]
	v_mul_f64 v[89:90], v[89:90], v[99:100]
	v_fma_f64 v[89:90], v[91:92], v[125:126], v[89:90]
	s_waitcnt vmcnt(2)
	v_add_f64 v[57:58], v[57:58], -v[93:94]
	s_waitcnt vmcnt(0)
	v_add_f64 v[59:60], v[59:60], -v[89:90]
	buffer_store_dword v57, off, s[24:27], 0 offset:64 ; 4-byte Folded Spill
	s_nop 0
	buffer_store_dword v58, off, s[24:27], 0 offset:68 ; 4-byte Folded Spill
	buffer_store_dword v59, off, s[24:27], 0 offset:72 ; 4-byte Folded Spill
	buffer_store_dword v60, off, s[24:27], 0 offset:76 ; 4-byte Folded Spill
	ds_read2_b64 v[89:92], v0 offset0:58 offset1:59
	buffer_load_dword v57, off, s[24:27], 0 offset:48 ; 4-byte Folded Reload
	buffer_load_dword v58, off, s[24:27], 0 offset:52 ; 4-byte Folded Reload
	buffer_load_dword v59, off, s[24:27], 0 offset:56 ; 4-byte Folded Reload
	buffer_load_dword v60, off, s[24:27], 0 offset:60 ; 4-byte Folded Reload
	s_waitcnt lgkmcnt(0)
	v_mul_f64 v[93:94], v[91:92], v[99:100]
	v_fma_f64 v[93:94], v[89:90], v[125:126], -v[93:94]
	v_mul_f64 v[89:90], v[89:90], v[99:100]
	v_fma_f64 v[89:90], v[91:92], v[125:126], v[89:90]
	s_waitcnt vmcnt(2)
	v_add_f64 v[57:58], v[57:58], -v[93:94]
	s_waitcnt vmcnt(0)
	v_add_f64 v[59:60], v[59:60], -v[89:90]
	buffer_store_dword v57, off, s[24:27], 0 offset:48 ; 4-byte Folded Spill
	s_nop 0
	buffer_store_dword v58, off, s[24:27], 0 offset:52 ; 4-byte Folded Spill
	buffer_store_dword v59, off, s[24:27], 0 offset:56 ; 4-byte Folded Spill
	buffer_store_dword v60, off, s[24:27], 0 offset:60 ; 4-byte Folded Spill
	ds_read2_b64 v[89:92], v0 offset0:60 offset1:61
	buffer_load_dword v57, off, s[24:27], 0 offset:32 ; 4-byte Folded Reload
	buffer_load_dword v58, off, s[24:27], 0 offset:36 ; 4-byte Folded Reload
	buffer_load_dword v59, off, s[24:27], 0 offset:40 ; 4-byte Folded Reload
	buffer_load_dword v60, off, s[24:27], 0 offset:44 ; 4-byte Folded Reload
	s_waitcnt lgkmcnt(0)
	v_mul_f64 v[93:94], v[91:92], v[99:100]
	v_fma_f64 v[93:94], v[89:90], v[125:126], -v[93:94]
	v_mul_f64 v[89:90], v[89:90], v[99:100]
	v_fma_f64 v[89:90], v[91:92], v[125:126], v[89:90]
	s_waitcnt vmcnt(2)
	v_add_f64 v[57:58], v[57:58], -v[93:94]
	s_waitcnt vmcnt(0)
	v_add_f64 v[59:60], v[59:60], -v[89:90]
	buffer_store_dword v57, off, s[24:27], 0 offset:32 ; 4-byte Folded Spill
	s_nop 0
	buffer_store_dword v58, off, s[24:27], 0 offset:36 ; 4-byte Folded Spill
	buffer_store_dword v59, off, s[24:27], 0 offset:40 ; 4-byte Folded Spill
	buffer_store_dword v60, off, s[24:27], 0 offset:44 ; 4-byte Folded Spill
	ds_read2_b64 v[89:92], v0 offset0:62 offset1:63
	buffer_load_dword v57, off, s[24:27], 0 offset:16 ; 4-byte Folded Reload
	buffer_load_dword v58, off, s[24:27], 0 offset:20 ; 4-byte Folded Reload
	buffer_load_dword v59, off, s[24:27], 0 offset:24 ; 4-byte Folded Reload
	buffer_load_dword v60, off, s[24:27], 0 offset:28 ; 4-byte Folded Reload
	s_waitcnt lgkmcnt(0)
	v_mul_f64 v[93:94], v[91:92], v[99:100]
	v_fma_f64 v[93:94], v[89:90], v[125:126], -v[93:94]
	v_mul_f64 v[89:90], v[89:90], v[99:100]
	v_fma_f64 v[89:90], v[91:92], v[125:126], v[89:90]
	s_waitcnt vmcnt(2)
	v_add_f64 v[57:58], v[57:58], -v[93:94]
	s_waitcnt vmcnt(0)
	v_add_f64 v[59:60], v[59:60], -v[89:90]
	buffer_store_dword v57, off, s[24:27], 0 offset:16 ; 4-byte Folded Spill
	s_nop 0
	buffer_store_dword v58, off, s[24:27], 0 offset:20 ; 4-byte Folded Spill
	buffer_store_dword v59, off, s[24:27], 0 offset:24 ; 4-byte Folded Spill
	;; [unrolled: 1-line block ×3, first 2 shown]
	ds_read2_b64 v[89:92], v0 offset0:64 offset1:65
	s_waitcnt lgkmcnt(0)
	v_mul_f64 v[93:94], v[91:92], v[99:100]
	v_fma_f64 v[93:94], v[89:90], v[125:126], -v[93:94]
	v_mul_f64 v[89:90], v[89:90], v[99:100]
	v_add_f64 v[81:82], v[81:82], -v[93:94]
	v_fma_f64 v[89:90], v[91:92], v[125:126], v[89:90]
	v_add_f64 v[83:84], v[83:84], -v[89:90]
	ds_read2_b64 v[89:92], v0 offset0:66 offset1:67
	s_waitcnt lgkmcnt(0)
	v_mul_f64 v[93:94], v[91:92], v[99:100]
	v_fma_f64 v[93:94], v[89:90], v[125:126], -v[93:94]
	v_mul_f64 v[89:90], v[89:90], v[99:100]
	v_add_f64 v[85:86], v[85:86], -v[93:94]
	v_fma_f64 v[89:90], v[91:92], v[125:126], v[89:90]
	v_add_f64 v[87:88], v[87:88], -v[89:90]
	;; [unrolled: 8-line block ×9, first 2 shown]
	ds_read2_b64 v[89:92], v0 offset0:82 offset1:83
	buffer_load_dword v57, off, s[24:27], 0 ; 4-byte Folded Reload
	buffer_load_dword v58, off, s[24:27], 0 offset:4 ; 4-byte Folded Reload
	buffer_load_dword v59, off, s[24:27], 0 offset:8 ; 4-byte Folded Reload
	;; [unrolled: 1-line block ×3, first 2 shown]
	s_waitcnt lgkmcnt(0)
	v_mul_f64 v[93:94], v[91:92], v[99:100]
	v_fma_f64 v[93:94], v[89:90], v[125:126], -v[93:94]
	v_mul_f64 v[89:90], v[89:90], v[99:100]
	v_fma_f64 v[89:90], v[91:92], v[125:126], v[89:90]
	s_waitcnt vmcnt(2)
	v_add_f64 v[57:58], v[57:58], -v[93:94]
	s_waitcnt vmcnt(0)
	v_add_f64 v[59:60], v[59:60], -v[89:90]
	buffer_store_dword v57, off, s[24:27], 0 ; 4-byte Folded Spill
	s_nop 0
	buffer_store_dword v58, off, s[24:27], 0 offset:4 ; 4-byte Folded Spill
	buffer_store_dword v59, off, s[24:27], 0 offset:8 ; 4-byte Folded Spill
	;; [unrolled: 1-line block ×3, first 2 shown]
	ds_read2_b64 v[89:92], v0 offset0:84 offset1:85
	s_waitcnt lgkmcnt(0)
	v_mul_f64 v[93:94], v[91:92], v[99:100]
	v_fma_f64 v[93:94], v[89:90], v[125:126], -v[93:94]
	v_mul_f64 v[89:90], v[89:90], v[99:100]
	v_add_f64 v[53:54], v[53:54], -v[93:94]
	v_fma_f64 v[89:90], v[91:92], v[125:126], v[89:90]
	v_add_f64 v[55:56], v[55:56], -v[89:90]
	ds_read2_b64 v[89:92], v0 offset0:86 offset1:87
	s_waitcnt lgkmcnt(0)
	v_mul_f64 v[93:94], v[91:92], v[99:100]
	v_fma_f64 v[93:94], v[89:90], v[125:126], -v[93:94]
	v_mul_f64 v[89:90], v[89:90], v[99:100]
	v_add_f64 v[49:50], v[49:50], -v[93:94]
	v_fma_f64 v[89:90], v[91:92], v[125:126], v[89:90]
	v_add_f64 v[51:52], v[51:52], -v[89:90]
	;; [unrolled: 8-line block ×14, first 2 shown]
	ds_read2_b64 v[89:92], v0 offset0:112 offset1:113
	s_waitcnt lgkmcnt(0)
	v_mul_f64 v[93:94], v[91:92], v[99:100]
	v_fma_f64 v[93:94], v[89:90], v[125:126], -v[93:94]
	v_mul_f64 v[89:90], v[89:90], v[99:100]
	buffer_store_dword v97, off, s[24:27], 0 offset:208 ; 4-byte Folded Spill
	s_nop 0
	buffer_store_dword v98, off, s[24:27], 0 offset:212 ; 4-byte Folded Spill
	buffer_store_dword v99, off, s[24:27], 0 offset:216 ; 4-byte Folded Spill
	;; [unrolled: 1-line block ×3, first 2 shown]
	v_add_f64 v[121:122], v[121:122], -v[93:94]
	v_fma_f64 v[89:90], v[91:92], v[125:126], v[89:90]
	v_add_f64 v[123:124], v[123:124], -v[89:90]
.LBB112_419:
	s_or_b64 exec, exec, s[0:1]
	s_waitcnt vmcnt(0)
	s_barrier
	buffer_load_dword v57, off, s[24:27], 0 offset:192 ; 4-byte Folded Reload
	buffer_load_dword v58, off, s[24:27], 0 offset:196 ; 4-byte Folded Reload
	;; [unrolled: 1-line block ×4, first 2 shown]
	v_lshl_add_u32 v89, v96, 4, v0
	s_cmp_lt_i32 s3, 22
	s_waitcnt vmcnt(0)
	ds_write2_b64 v89, v[57:58], v[59:60] offset1:1
	s_waitcnt lgkmcnt(0)
	s_barrier
	ds_read2_b64 v[117:120], v0 offset0:40 offset1:41
	v_mov_b32_e32 v89, 20
	s_cbranch_scc1 .LBB112_422
; %bb.420:
	v_add_u32_e32 v90, 0x150, v0
	s_mov_b32 s0, 21
	v_mov_b32_e32 v89, 20
.LBB112_421:                            ; =>This Inner Loop Header: Depth=1
	s_waitcnt lgkmcnt(0)
	v_cmp_gt_f64_e32 vcc, 0, v[117:118]
	v_xor_b32_e32 v97, 0x80000000, v118
	ds_read2_b64 v[91:94], v90 offset1:1
	v_xor_b32_e32 v99, 0x80000000, v120
	v_add_u32_e32 v90, 16, v90
	s_waitcnt lgkmcnt(0)
	v_xor_b32_e32 v101, 0x80000000, v94
	v_cndmask_b32_e32 v98, v118, v97, vcc
	v_cmp_gt_f64_e32 vcc, 0, v[119:120]
	v_mov_b32_e32 v97, v117
	v_cndmask_b32_e32 v100, v120, v99, vcc
	v_cmp_gt_f64_e32 vcc, 0, v[91:92]
	v_mov_b32_e32 v99, v119
	v_add_f64 v[97:98], v[97:98], v[99:100]
	v_xor_b32_e32 v99, 0x80000000, v92
	v_cndmask_b32_e32 v100, v92, v99, vcc
	v_cmp_gt_f64_e32 vcc, 0, v[93:94]
	v_mov_b32_e32 v99, v91
	v_cndmask_b32_e32 v102, v94, v101, vcc
	v_mov_b32_e32 v101, v93
	v_add_f64 v[99:100], v[99:100], v[101:102]
	v_cmp_lt_f64_e32 vcc, v[97:98], v[99:100]
	v_cndmask_b32_e32 v117, v117, v91, vcc
	v_mov_b32_e32 v91, s0
	s_add_i32 s0, s0, 1
	v_cndmask_b32_e32 v118, v118, v92, vcc
	v_cndmask_b32_e32 v120, v120, v94, vcc
	;; [unrolled: 1-line block ×4, first 2 shown]
	s_cmp_lg_u32 s3, s0
	s_cbranch_scc1 .LBB112_421
.LBB112_422:
	s_waitcnt lgkmcnt(0)
	v_cmp_eq_f64_e32 vcc, 0, v[117:118]
	v_cmp_eq_f64_e64 s[0:1], 0, v[119:120]
	s_and_b64 s[0:1], vcc, s[0:1]
	s_and_saveexec_b64 s[18:19], s[0:1]
	s_xor_b64 s[0:1], exec, s[18:19]
; %bb.423:
	v_cmp_ne_u32_e32 vcc, 0, v95
	v_cndmask_b32_e32 v95, 21, v95, vcc
; %bb.424:
	s_andn2_saveexec_b64 s[0:1], s[0:1]
	s_cbranch_execz .LBB112_430
; %bb.425:
	v_cmp_ngt_f64_e64 s[18:19], |v[117:118]|, |v[119:120]|
	s_and_saveexec_b64 s[20:21], s[18:19]
	s_xor_b64 s[18:19], exec, s[20:21]
	s_cbranch_execz .LBB112_427
; %bb.426:
	v_div_scale_f64 v[90:91], s[20:21], v[119:120], v[119:120], v[117:118]
	v_rcp_f64_e32 v[92:93], v[90:91]
	v_fma_f64 v[97:98], -v[90:91], v[92:93], 1.0
	v_fma_f64 v[92:93], v[92:93], v[97:98], v[92:93]
	v_div_scale_f64 v[97:98], vcc, v[117:118], v[119:120], v[117:118]
	v_fma_f64 v[99:100], -v[90:91], v[92:93], 1.0
	v_fma_f64 v[92:93], v[92:93], v[99:100], v[92:93]
	v_mul_f64 v[99:100], v[97:98], v[92:93]
	v_fma_f64 v[90:91], -v[90:91], v[99:100], v[97:98]
	v_div_fmas_f64 v[90:91], v[90:91], v[92:93], v[99:100]
	v_div_fixup_f64 v[90:91], v[90:91], v[119:120], v[117:118]
	v_fma_f64 v[92:93], v[117:118], v[90:91], v[119:120]
	v_div_scale_f64 v[97:98], s[20:21], v[92:93], v[92:93], 1.0
	v_div_scale_f64 v[103:104], vcc, 1.0, v[92:93], 1.0
	v_rcp_f64_e32 v[99:100], v[97:98]
	v_fma_f64 v[101:102], -v[97:98], v[99:100], 1.0
	v_fma_f64 v[99:100], v[99:100], v[101:102], v[99:100]
	v_fma_f64 v[101:102], -v[97:98], v[99:100], 1.0
	v_fma_f64 v[99:100], v[99:100], v[101:102], v[99:100]
	v_mul_f64 v[101:102], v[103:104], v[99:100]
	v_fma_f64 v[97:98], -v[97:98], v[101:102], v[103:104]
	v_div_fmas_f64 v[97:98], v[97:98], v[99:100], v[101:102]
	v_div_fixup_f64 v[119:120], v[97:98], v[92:93], 1.0
	v_mul_f64 v[117:118], v[90:91], v[119:120]
	v_xor_b32_e32 v120, 0x80000000, v120
.LBB112_427:
	s_andn2_saveexec_b64 s[18:19], s[18:19]
	s_cbranch_execz .LBB112_429
; %bb.428:
	v_div_scale_f64 v[90:91], s[20:21], v[117:118], v[117:118], v[119:120]
	v_rcp_f64_e32 v[92:93], v[90:91]
	v_fma_f64 v[97:98], -v[90:91], v[92:93], 1.0
	v_fma_f64 v[92:93], v[92:93], v[97:98], v[92:93]
	v_div_scale_f64 v[97:98], vcc, v[119:120], v[117:118], v[119:120]
	v_fma_f64 v[99:100], -v[90:91], v[92:93], 1.0
	v_fma_f64 v[92:93], v[92:93], v[99:100], v[92:93]
	v_mul_f64 v[99:100], v[97:98], v[92:93]
	v_fma_f64 v[90:91], -v[90:91], v[99:100], v[97:98]
	v_div_fmas_f64 v[90:91], v[90:91], v[92:93], v[99:100]
	v_div_fixup_f64 v[90:91], v[90:91], v[117:118], v[119:120]
	v_fma_f64 v[92:93], v[119:120], v[90:91], v[117:118]
	v_div_scale_f64 v[97:98], s[20:21], v[92:93], v[92:93], 1.0
	v_div_scale_f64 v[103:104], vcc, 1.0, v[92:93], 1.0
	v_rcp_f64_e32 v[99:100], v[97:98]
	v_fma_f64 v[101:102], -v[97:98], v[99:100], 1.0
	v_fma_f64 v[99:100], v[99:100], v[101:102], v[99:100]
	v_fma_f64 v[101:102], -v[97:98], v[99:100], 1.0
	v_fma_f64 v[99:100], v[99:100], v[101:102], v[99:100]
	v_mul_f64 v[101:102], v[103:104], v[99:100]
	v_fma_f64 v[97:98], -v[97:98], v[101:102], v[103:104]
	v_div_fmas_f64 v[97:98], v[97:98], v[99:100], v[101:102]
	v_div_fixup_f64 v[117:118], v[97:98], v[92:93], 1.0
	v_mul_f64 v[119:120], v[90:91], -v[117:118]
.LBB112_429:
	s_or_b64 exec, exec, s[18:19]
.LBB112_430:
	s_or_b64 exec, exec, s[0:1]
	v_cmp_ne_u32_e32 vcc, v96, v89
	s_and_saveexec_b64 s[0:1], vcc
	s_xor_b64 s[0:1], exec, s[0:1]
	s_cbranch_execz .LBB112_436
; %bb.431:
	v_cmp_eq_u32_e32 vcc, 20, v96
	s_and_saveexec_b64 s[18:19], vcc
	s_cbranch_execz .LBB112_435
; %bb.432:
	v_cmp_ne_u32_e32 vcc, 20, v89
	s_xor_b64 s[20:21], s[6:7], -1
	s_and_b64 s[22:23], s[20:21], vcc
	s_and_saveexec_b64 s[20:21], s[22:23]
	s_cbranch_execz .LBB112_434
; %bb.433:
	v_mov_b32_e32 v57, v81
	v_mov_b32_e32 v58, v82
	;; [unrolled: 1-line block ×4, first 2 shown]
	buffer_load_dword v81, off, s[24:27], 0 offset:464 ; 4-byte Folded Reload
	buffer_load_dword v82, off, s[24:27], 0 offset:468 ; 4-byte Folded Reload
	v_ashrrev_i32_e32 v90, 31, v89
	v_lshlrev_b64 v[90:91], 2, v[89:90]
	s_waitcnt vmcnt(1)
	v_add_co_u32_e32 v90, vcc, v81, v90
	s_waitcnt vmcnt(0)
	v_addc_co_u32_e32 v91, vcc, v82, v91, vcc
	global_load_dword v92, v[90:91], off
	global_load_dword v93, v[81:82], off offset:80
	s_waitcnt vmcnt(1)
	global_store_dword v[81:82], v92, off offset:80
	v_mov_b32_e32 v84, v60
	v_mov_b32_e32 v83, v59
	;; [unrolled: 1-line block ×4, first 2 shown]
	s_waitcnt vmcnt(1)
	global_store_dword v[90:91], v93, off
.LBB112_434:
	s_or_b64 exec, exec, s[20:21]
	v_mov_b32_e32 v96, v89
	v_mov_b32_e32 v127, v89
.LBB112_435:
	s_or_b64 exec, exec, s[18:19]
.LBB112_436:
	s_andn2_saveexec_b64 s[0:1], s[0:1]
	s_cbranch_execz .LBB112_438
; %bb.437:
	buffer_load_dword v57, off, s[24:27], 0 offset:176 ; 4-byte Folded Reload
	buffer_load_dword v58, off, s[24:27], 0 offset:180 ; 4-byte Folded Reload
	;; [unrolled: 1-line block ×4, first 2 shown]
	v_mov_b32_e32 v96, 20
	s_waitcnt vmcnt(0)
	ds_write2_b64 v0, v[57:58], v[59:60] offset0:42 offset1:43
	buffer_load_dword v57, off, s[24:27], 0 offset:160 ; 4-byte Folded Reload
	buffer_load_dword v58, off, s[24:27], 0 offset:164 ; 4-byte Folded Reload
	buffer_load_dword v59, off, s[24:27], 0 offset:168 ; 4-byte Folded Reload
	buffer_load_dword v60, off, s[24:27], 0 offset:172 ; 4-byte Folded Reload
	s_waitcnt vmcnt(0)
	ds_write2_b64 v0, v[57:58], v[59:60] offset0:44 offset1:45
	buffer_load_dword v57, off, s[24:27], 0 offset:144 ; 4-byte Folded Reload
	buffer_load_dword v58, off, s[24:27], 0 offset:148 ; 4-byte Folded Reload
	buffer_load_dword v59, off, s[24:27], 0 offset:152 ; 4-byte Folded Reload
	buffer_load_dword v60, off, s[24:27], 0 offset:156 ; 4-byte Folded Reload
	;; [unrolled: 6-line block ×10, first 2 shown]
	s_waitcnt vmcnt(0)
	ds_write2_b64 v0, v[57:58], v[59:60] offset0:62 offset1:63
	ds_write2_b64 v0, v[81:82], v[83:84] offset0:64 offset1:65
	;; [unrolled: 1-line block ×10, first 2 shown]
	buffer_load_dword v57, off, s[24:27], 0 ; 4-byte Folded Reload
	buffer_load_dword v58, off, s[24:27], 0 offset:4 ; 4-byte Folded Reload
	buffer_load_dword v59, off, s[24:27], 0 offset:8 ; 4-byte Folded Reload
	;; [unrolled: 1-line block ×3, first 2 shown]
	s_waitcnt vmcnt(0)
	ds_write2_b64 v0, v[57:58], v[59:60] offset0:82 offset1:83
	ds_write2_b64 v0, v[53:54], v[55:56] offset0:84 offset1:85
	;; [unrolled: 1-line block ×16, first 2 shown]
.LBB112_438:
	s_or_b64 exec, exec, s[0:1]
	v_cmp_lt_i32_e32 vcc, 20, v96
	s_waitcnt vmcnt(0) lgkmcnt(0)
	s_barrier
	s_and_saveexec_b64 s[0:1], vcc
	s_cbranch_execz .LBB112_440
; %bb.439:
	buffer_load_dword v97, off, s[24:27], 0 offset:192 ; 4-byte Folded Reload
	buffer_load_dword v98, off, s[24:27], 0 offset:196 ; 4-byte Folded Reload
	;; [unrolled: 1-line block ×4, first 2 shown]
	s_waitcnt vmcnt(0)
	v_mul_f64 v[89:90], v[119:120], v[99:100]
	v_fma_f64 v[125:126], v[117:118], v[97:98], -v[89:90]
	v_mul_f64 v[89:90], v[117:118], v[99:100]
	v_fma_f64 v[99:100], v[119:120], v[97:98], v[89:90]
	ds_read2_b64 v[89:92], v0 offset0:42 offset1:43
	buffer_load_dword v57, off, s[24:27], 0 offset:176 ; 4-byte Folded Reload
	buffer_load_dword v58, off, s[24:27], 0 offset:180 ; 4-byte Folded Reload
	;; [unrolled: 1-line block ×4, first 2 shown]
	v_mov_b32_e32 v97, v125
	v_mov_b32_e32 v98, v126
	s_waitcnt lgkmcnt(0)
	v_mul_f64 v[93:94], v[91:92], v[99:100]
	v_fma_f64 v[93:94], v[89:90], v[125:126], -v[93:94]
	v_mul_f64 v[89:90], v[89:90], v[99:100]
	v_fma_f64 v[89:90], v[91:92], v[125:126], v[89:90]
	s_waitcnt vmcnt(2)
	v_add_f64 v[57:58], v[57:58], -v[93:94]
	s_waitcnt vmcnt(0)
	v_add_f64 v[59:60], v[59:60], -v[89:90]
	buffer_store_dword v57, off, s[24:27], 0 offset:176 ; 4-byte Folded Spill
	s_nop 0
	buffer_store_dword v58, off, s[24:27], 0 offset:180 ; 4-byte Folded Spill
	buffer_store_dword v59, off, s[24:27], 0 offset:184 ; 4-byte Folded Spill
	buffer_store_dword v60, off, s[24:27], 0 offset:188 ; 4-byte Folded Spill
	ds_read2_b64 v[89:92], v0 offset0:44 offset1:45
	buffer_load_dword v57, off, s[24:27], 0 offset:160 ; 4-byte Folded Reload
	buffer_load_dword v58, off, s[24:27], 0 offset:164 ; 4-byte Folded Reload
	buffer_load_dword v59, off, s[24:27], 0 offset:168 ; 4-byte Folded Reload
	buffer_load_dword v60, off, s[24:27], 0 offset:172 ; 4-byte Folded Reload
	s_waitcnt lgkmcnt(0)
	v_mul_f64 v[93:94], v[91:92], v[99:100]
	v_fma_f64 v[93:94], v[89:90], v[125:126], -v[93:94]
	v_mul_f64 v[89:90], v[89:90], v[99:100]
	v_fma_f64 v[89:90], v[91:92], v[125:126], v[89:90]
	s_waitcnt vmcnt(2)
	v_add_f64 v[57:58], v[57:58], -v[93:94]
	s_waitcnt vmcnt(0)
	v_add_f64 v[59:60], v[59:60], -v[89:90]
	buffer_store_dword v57, off, s[24:27], 0 offset:160 ; 4-byte Folded Spill
	s_nop 0
	buffer_store_dword v58, off, s[24:27], 0 offset:164 ; 4-byte Folded Spill
	buffer_store_dword v59, off, s[24:27], 0 offset:168 ; 4-byte Folded Spill
	buffer_store_dword v60, off, s[24:27], 0 offset:172 ; 4-byte Folded Spill
	ds_read2_b64 v[89:92], v0 offset0:46 offset1:47
	buffer_load_dword v57, off, s[24:27], 0 offset:144 ; 4-byte Folded Reload
	buffer_load_dword v58, off, s[24:27], 0 offset:148 ; 4-byte Folded Reload
	buffer_load_dword v59, off, s[24:27], 0 offset:152 ; 4-byte Folded Reload
	buffer_load_dword v60, off, s[24:27], 0 offset:156 ; 4-byte Folded Reload
	;; [unrolled: 19-line block ×10, first 2 shown]
	s_waitcnt lgkmcnt(0)
	v_mul_f64 v[93:94], v[91:92], v[99:100]
	v_fma_f64 v[93:94], v[89:90], v[125:126], -v[93:94]
	v_mul_f64 v[89:90], v[89:90], v[99:100]
	v_fma_f64 v[89:90], v[91:92], v[125:126], v[89:90]
	s_waitcnt vmcnt(2)
	v_add_f64 v[57:58], v[57:58], -v[93:94]
	s_waitcnt vmcnt(0)
	v_add_f64 v[59:60], v[59:60], -v[89:90]
	buffer_store_dword v57, off, s[24:27], 0 offset:16 ; 4-byte Folded Spill
	s_nop 0
	buffer_store_dword v58, off, s[24:27], 0 offset:20 ; 4-byte Folded Spill
	buffer_store_dword v59, off, s[24:27], 0 offset:24 ; 4-byte Folded Spill
	;; [unrolled: 1-line block ×3, first 2 shown]
	ds_read2_b64 v[89:92], v0 offset0:64 offset1:65
	s_waitcnt lgkmcnt(0)
	v_mul_f64 v[93:94], v[91:92], v[99:100]
	v_fma_f64 v[93:94], v[89:90], v[125:126], -v[93:94]
	v_mul_f64 v[89:90], v[89:90], v[99:100]
	v_add_f64 v[81:82], v[81:82], -v[93:94]
	v_fma_f64 v[89:90], v[91:92], v[125:126], v[89:90]
	v_add_f64 v[83:84], v[83:84], -v[89:90]
	ds_read2_b64 v[89:92], v0 offset0:66 offset1:67
	s_waitcnt lgkmcnt(0)
	v_mul_f64 v[93:94], v[91:92], v[99:100]
	v_fma_f64 v[93:94], v[89:90], v[125:126], -v[93:94]
	v_mul_f64 v[89:90], v[89:90], v[99:100]
	v_add_f64 v[85:86], v[85:86], -v[93:94]
	v_fma_f64 v[89:90], v[91:92], v[125:126], v[89:90]
	v_add_f64 v[87:88], v[87:88], -v[89:90]
	;; [unrolled: 8-line block ×9, first 2 shown]
	ds_read2_b64 v[89:92], v0 offset0:82 offset1:83
	buffer_load_dword v57, off, s[24:27], 0 ; 4-byte Folded Reload
	buffer_load_dword v58, off, s[24:27], 0 offset:4 ; 4-byte Folded Reload
	buffer_load_dword v59, off, s[24:27], 0 offset:8 ; 4-byte Folded Reload
	;; [unrolled: 1-line block ×3, first 2 shown]
	s_waitcnt lgkmcnt(0)
	v_mul_f64 v[93:94], v[91:92], v[99:100]
	v_fma_f64 v[93:94], v[89:90], v[125:126], -v[93:94]
	v_mul_f64 v[89:90], v[89:90], v[99:100]
	v_fma_f64 v[89:90], v[91:92], v[125:126], v[89:90]
	s_waitcnt vmcnt(2)
	v_add_f64 v[57:58], v[57:58], -v[93:94]
	s_waitcnt vmcnt(0)
	v_add_f64 v[59:60], v[59:60], -v[89:90]
	buffer_store_dword v57, off, s[24:27], 0 ; 4-byte Folded Spill
	s_nop 0
	buffer_store_dword v58, off, s[24:27], 0 offset:4 ; 4-byte Folded Spill
	buffer_store_dword v59, off, s[24:27], 0 offset:8 ; 4-byte Folded Spill
	buffer_store_dword v60, off, s[24:27], 0 offset:12 ; 4-byte Folded Spill
	ds_read2_b64 v[89:92], v0 offset0:84 offset1:85
	s_waitcnt lgkmcnt(0)
	v_mul_f64 v[93:94], v[91:92], v[99:100]
	v_fma_f64 v[93:94], v[89:90], v[125:126], -v[93:94]
	v_mul_f64 v[89:90], v[89:90], v[99:100]
	v_add_f64 v[53:54], v[53:54], -v[93:94]
	v_fma_f64 v[89:90], v[91:92], v[125:126], v[89:90]
	v_add_f64 v[55:56], v[55:56], -v[89:90]
	ds_read2_b64 v[89:92], v0 offset0:86 offset1:87
	s_waitcnt lgkmcnt(0)
	v_mul_f64 v[93:94], v[91:92], v[99:100]
	v_fma_f64 v[93:94], v[89:90], v[125:126], -v[93:94]
	v_mul_f64 v[89:90], v[89:90], v[99:100]
	v_add_f64 v[49:50], v[49:50], -v[93:94]
	v_fma_f64 v[89:90], v[91:92], v[125:126], v[89:90]
	v_add_f64 v[51:52], v[51:52], -v[89:90]
	;; [unrolled: 8-line block ×14, first 2 shown]
	ds_read2_b64 v[89:92], v0 offset0:112 offset1:113
	s_waitcnt lgkmcnt(0)
	v_mul_f64 v[93:94], v[91:92], v[99:100]
	v_fma_f64 v[93:94], v[89:90], v[125:126], -v[93:94]
	v_mul_f64 v[89:90], v[89:90], v[99:100]
	buffer_store_dword v97, off, s[24:27], 0 offset:192 ; 4-byte Folded Spill
	s_nop 0
	buffer_store_dword v98, off, s[24:27], 0 offset:196 ; 4-byte Folded Spill
	buffer_store_dword v99, off, s[24:27], 0 offset:200 ; 4-byte Folded Spill
	;; [unrolled: 1-line block ×3, first 2 shown]
	v_add_f64 v[121:122], v[121:122], -v[93:94]
	v_fma_f64 v[89:90], v[91:92], v[125:126], v[89:90]
	v_add_f64 v[123:124], v[123:124], -v[89:90]
.LBB112_440:
	s_or_b64 exec, exec, s[0:1]
	s_waitcnt vmcnt(0)
	s_barrier
	buffer_load_dword v57, off, s[24:27], 0 offset:176 ; 4-byte Folded Reload
	buffer_load_dword v58, off, s[24:27], 0 offset:180 ; 4-byte Folded Reload
	;; [unrolled: 1-line block ×4, first 2 shown]
	v_lshl_add_u32 v89, v96, 4, v0
	s_cmp_lt_i32 s3, 23
	s_waitcnt vmcnt(0)
	ds_write2_b64 v89, v[57:58], v[59:60] offset1:1
	s_waitcnt lgkmcnt(0)
	s_barrier
	ds_read2_b64 v[117:120], v0 offset0:42 offset1:43
	v_mov_b32_e32 v89, 21
	s_cbranch_scc1 .LBB112_443
; %bb.441:
	v_add_u32_e32 v90, 0x160, v0
	s_mov_b32 s0, 22
	v_mov_b32_e32 v89, 21
.LBB112_442:                            ; =>This Inner Loop Header: Depth=1
	s_waitcnt lgkmcnt(0)
	v_cmp_gt_f64_e32 vcc, 0, v[117:118]
	v_xor_b32_e32 v97, 0x80000000, v118
	ds_read2_b64 v[91:94], v90 offset1:1
	v_xor_b32_e32 v99, 0x80000000, v120
	v_add_u32_e32 v90, 16, v90
	s_waitcnt lgkmcnt(0)
	v_xor_b32_e32 v101, 0x80000000, v94
	v_cndmask_b32_e32 v98, v118, v97, vcc
	v_cmp_gt_f64_e32 vcc, 0, v[119:120]
	v_mov_b32_e32 v97, v117
	v_cndmask_b32_e32 v100, v120, v99, vcc
	v_cmp_gt_f64_e32 vcc, 0, v[91:92]
	v_mov_b32_e32 v99, v119
	v_add_f64 v[97:98], v[97:98], v[99:100]
	v_xor_b32_e32 v99, 0x80000000, v92
	v_cndmask_b32_e32 v100, v92, v99, vcc
	v_cmp_gt_f64_e32 vcc, 0, v[93:94]
	v_mov_b32_e32 v99, v91
	v_cndmask_b32_e32 v102, v94, v101, vcc
	v_mov_b32_e32 v101, v93
	v_add_f64 v[99:100], v[99:100], v[101:102]
	v_cmp_lt_f64_e32 vcc, v[97:98], v[99:100]
	v_cndmask_b32_e32 v117, v117, v91, vcc
	v_mov_b32_e32 v91, s0
	s_add_i32 s0, s0, 1
	v_cndmask_b32_e32 v118, v118, v92, vcc
	v_cndmask_b32_e32 v120, v120, v94, vcc
	;; [unrolled: 1-line block ×4, first 2 shown]
	s_cmp_lg_u32 s3, s0
	s_cbranch_scc1 .LBB112_442
.LBB112_443:
	s_waitcnt lgkmcnt(0)
	v_cmp_eq_f64_e32 vcc, 0, v[117:118]
	v_cmp_eq_f64_e64 s[0:1], 0, v[119:120]
	s_and_b64 s[0:1], vcc, s[0:1]
	s_and_saveexec_b64 s[18:19], s[0:1]
	s_xor_b64 s[0:1], exec, s[18:19]
; %bb.444:
	v_cmp_ne_u32_e32 vcc, 0, v95
	v_cndmask_b32_e32 v95, 22, v95, vcc
; %bb.445:
	s_andn2_saveexec_b64 s[0:1], s[0:1]
	s_cbranch_execz .LBB112_451
; %bb.446:
	v_cmp_ngt_f64_e64 s[18:19], |v[117:118]|, |v[119:120]|
	s_and_saveexec_b64 s[20:21], s[18:19]
	s_xor_b64 s[18:19], exec, s[20:21]
	s_cbranch_execz .LBB112_448
; %bb.447:
	v_div_scale_f64 v[90:91], s[20:21], v[119:120], v[119:120], v[117:118]
	v_rcp_f64_e32 v[92:93], v[90:91]
	v_fma_f64 v[97:98], -v[90:91], v[92:93], 1.0
	v_fma_f64 v[92:93], v[92:93], v[97:98], v[92:93]
	v_div_scale_f64 v[97:98], vcc, v[117:118], v[119:120], v[117:118]
	v_fma_f64 v[99:100], -v[90:91], v[92:93], 1.0
	v_fma_f64 v[92:93], v[92:93], v[99:100], v[92:93]
	v_mul_f64 v[99:100], v[97:98], v[92:93]
	v_fma_f64 v[90:91], -v[90:91], v[99:100], v[97:98]
	v_div_fmas_f64 v[90:91], v[90:91], v[92:93], v[99:100]
	v_div_fixup_f64 v[90:91], v[90:91], v[119:120], v[117:118]
	v_fma_f64 v[92:93], v[117:118], v[90:91], v[119:120]
	v_div_scale_f64 v[97:98], s[20:21], v[92:93], v[92:93], 1.0
	v_div_scale_f64 v[103:104], vcc, 1.0, v[92:93], 1.0
	v_rcp_f64_e32 v[99:100], v[97:98]
	v_fma_f64 v[101:102], -v[97:98], v[99:100], 1.0
	v_fma_f64 v[99:100], v[99:100], v[101:102], v[99:100]
	v_fma_f64 v[101:102], -v[97:98], v[99:100], 1.0
	v_fma_f64 v[99:100], v[99:100], v[101:102], v[99:100]
	v_mul_f64 v[101:102], v[103:104], v[99:100]
	v_fma_f64 v[97:98], -v[97:98], v[101:102], v[103:104]
	v_div_fmas_f64 v[97:98], v[97:98], v[99:100], v[101:102]
	v_div_fixup_f64 v[119:120], v[97:98], v[92:93], 1.0
	v_mul_f64 v[117:118], v[90:91], v[119:120]
	v_xor_b32_e32 v120, 0x80000000, v120
.LBB112_448:
	s_andn2_saveexec_b64 s[18:19], s[18:19]
	s_cbranch_execz .LBB112_450
; %bb.449:
	v_div_scale_f64 v[90:91], s[20:21], v[117:118], v[117:118], v[119:120]
	v_rcp_f64_e32 v[92:93], v[90:91]
	v_fma_f64 v[97:98], -v[90:91], v[92:93], 1.0
	v_fma_f64 v[92:93], v[92:93], v[97:98], v[92:93]
	v_div_scale_f64 v[97:98], vcc, v[119:120], v[117:118], v[119:120]
	v_fma_f64 v[99:100], -v[90:91], v[92:93], 1.0
	v_fma_f64 v[92:93], v[92:93], v[99:100], v[92:93]
	v_mul_f64 v[99:100], v[97:98], v[92:93]
	v_fma_f64 v[90:91], -v[90:91], v[99:100], v[97:98]
	v_div_fmas_f64 v[90:91], v[90:91], v[92:93], v[99:100]
	v_div_fixup_f64 v[90:91], v[90:91], v[117:118], v[119:120]
	v_fma_f64 v[92:93], v[119:120], v[90:91], v[117:118]
	v_div_scale_f64 v[97:98], s[20:21], v[92:93], v[92:93], 1.0
	v_div_scale_f64 v[103:104], vcc, 1.0, v[92:93], 1.0
	v_rcp_f64_e32 v[99:100], v[97:98]
	v_fma_f64 v[101:102], -v[97:98], v[99:100], 1.0
	v_fma_f64 v[99:100], v[99:100], v[101:102], v[99:100]
	v_fma_f64 v[101:102], -v[97:98], v[99:100], 1.0
	v_fma_f64 v[99:100], v[99:100], v[101:102], v[99:100]
	v_mul_f64 v[101:102], v[103:104], v[99:100]
	v_fma_f64 v[97:98], -v[97:98], v[101:102], v[103:104]
	v_div_fmas_f64 v[97:98], v[97:98], v[99:100], v[101:102]
	v_div_fixup_f64 v[117:118], v[97:98], v[92:93], 1.0
	v_mul_f64 v[119:120], v[90:91], -v[117:118]
.LBB112_450:
	s_or_b64 exec, exec, s[18:19]
.LBB112_451:
	s_or_b64 exec, exec, s[0:1]
	v_cmp_ne_u32_e32 vcc, v96, v89
	s_and_saveexec_b64 s[0:1], vcc
	s_xor_b64 s[0:1], exec, s[0:1]
	s_cbranch_execz .LBB112_457
; %bb.452:
	v_cmp_eq_u32_e32 vcc, 21, v96
	s_and_saveexec_b64 s[18:19], vcc
	s_cbranch_execz .LBB112_456
; %bb.453:
	v_cmp_ne_u32_e32 vcc, 21, v89
	s_xor_b64 s[20:21], s[6:7], -1
	s_and_b64 s[22:23], s[20:21], vcc
	s_and_saveexec_b64 s[20:21], s[22:23]
	s_cbranch_execz .LBB112_455
; %bb.454:
	v_mov_b32_e32 v57, v81
	v_mov_b32_e32 v58, v82
	;; [unrolled: 1-line block ×4, first 2 shown]
	buffer_load_dword v81, off, s[24:27], 0 offset:464 ; 4-byte Folded Reload
	buffer_load_dword v82, off, s[24:27], 0 offset:468 ; 4-byte Folded Reload
	v_ashrrev_i32_e32 v90, 31, v89
	v_lshlrev_b64 v[90:91], 2, v[89:90]
	s_waitcnt vmcnt(1)
	v_add_co_u32_e32 v90, vcc, v81, v90
	s_waitcnt vmcnt(0)
	v_addc_co_u32_e32 v91, vcc, v82, v91, vcc
	global_load_dword v92, v[90:91], off
	global_load_dword v93, v[81:82], off offset:84
	s_waitcnt vmcnt(1)
	global_store_dword v[81:82], v92, off offset:84
	v_mov_b32_e32 v84, v60
	v_mov_b32_e32 v83, v59
	;; [unrolled: 1-line block ×4, first 2 shown]
	s_waitcnt vmcnt(1)
	global_store_dword v[90:91], v93, off
.LBB112_455:
	s_or_b64 exec, exec, s[20:21]
	v_mov_b32_e32 v96, v89
	v_mov_b32_e32 v127, v89
.LBB112_456:
	s_or_b64 exec, exec, s[18:19]
.LBB112_457:
	s_andn2_saveexec_b64 s[0:1], s[0:1]
	s_cbranch_execz .LBB112_459
; %bb.458:
	buffer_load_dword v57, off, s[24:27], 0 offset:160 ; 4-byte Folded Reload
	buffer_load_dword v58, off, s[24:27], 0 offset:164 ; 4-byte Folded Reload
	;; [unrolled: 1-line block ×4, first 2 shown]
	v_mov_b32_e32 v96, 21
	s_waitcnt vmcnt(0)
	ds_write2_b64 v0, v[57:58], v[59:60] offset0:44 offset1:45
	buffer_load_dword v57, off, s[24:27], 0 offset:144 ; 4-byte Folded Reload
	buffer_load_dword v58, off, s[24:27], 0 offset:148 ; 4-byte Folded Reload
	buffer_load_dword v59, off, s[24:27], 0 offset:152 ; 4-byte Folded Reload
	buffer_load_dword v60, off, s[24:27], 0 offset:156 ; 4-byte Folded Reload
	s_waitcnt vmcnt(0)
	ds_write2_b64 v0, v[57:58], v[59:60] offset0:46 offset1:47
	buffer_load_dword v57, off, s[24:27], 0 offset:128 ; 4-byte Folded Reload
	buffer_load_dword v58, off, s[24:27], 0 offset:132 ; 4-byte Folded Reload
	buffer_load_dword v59, off, s[24:27], 0 offset:136 ; 4-byte Folded Reload
	buffer_load_dword v60, off, s[24:27], 0 offset:140 ; 4-byte Folded Reload
	;; [unrolled: 6-line block ×9, first 2 shown]
	s_waitcnt vmcnt(0)
	ds_write2_b64 v0, v[57:58], v[59:60] offset0:62 offset1:63
	ds_write2_b64 v0, v[81:82], v[83:84] offset0:64 offset1:65
	;; [unrolled: 1-line block ×10, first 2 shown]
	buffer_load_dword v57, off, s[24:27], 0 ; 4-byte Folded Reload
	buffer_load_dword v58, off, s[24:27], 0 offset:4 ; 4-byte Folded Reload
	buffer_load_dword v59, off, s[24:27], 0 offset:8 ; 4-byte Folded Reload
	;; [unrolled: 1-line block ×3, first 2 shown]
	s_waitcnt vmcnt(0)
	ds_write2_b64 v0, v[57:58], v[59:60] offset0:82 offset1:83
	ds_write2_b64 v0, v[53:54], v[55:56] offset0:84 offset1:85
	;; [unrolled: 1-line block ×16, first 2 shown]
.LBB112_459:
	s_or_b64 exec, exec, s[0:1]
	v_cmp_lt_i32_e32 vcc, 21, v96
	s_waitcnt vmcnt(0) lgkmcnt(0)
	s_barrier
	s_and_saveexec_b64 s[0:1], vcc
	s_cbranch_execz .LBB112_461
; %bb.460:
	buffer_load_dword v97, off, s[24:27], 0 offset:176 ; 4-byte Folded Reload
	buffer_load_dword v98, off, s[24:27], 0 offset:180 ; 4-byte Folded Reload
	;; [unrolled: 1-line block ×4, first 2 shown]
	s_waitcnt vmcnt(0)
	v_mul_f64 v[89:90], v[119:120], v[99:100]
	v_fma_f64 v[125:126], v[117:118], v[97:98], -v[89:90]
	v_mul_f64 v[89:90], v[117:118], v[99:100]
	v_fma_f64 v[99:100], v[119:120], v[97:98], v[89:90]
	ds_read2_b64 v[89:92], v0 offset0:44 offset1:45
	buffer_load_dword v57, off, s[24:27], 0 offset:160 ; 4-byte Folded Reload
	buffer_load_dword v58, off, s[24:27], 0 offset:164 ; 4-byte Folded Reload
	;; [unrolled: 1-line block ×4, first 2 shown]
	v_mov_b32_e32 v97, v125
	v_mov_b32_e32 v98, v126
	s_waitcnt lgkmcnt(0)
	v_mul_f64 v[93:94], v[91:92], v[99:100]
	v_fma_f64 v[93:94], v[89:90], v[125:126], -v[93:94]
	v_mul_f64 v[89:90], v[89:90], v[99:100]
	v_fma_f64 v[89:90], v[91:92], v[125:126], v[89:90]
	s_waitcnt vmcnt(2)
	v_add_f64 v[57:58], v[57:58], -v[93:94]
	s_waitcnt vmcnt(0)
	v_add_f64 v[59:60], v[59:60], -v[89:90]
	buffer_store_dword v57, off, s[24:27], 0 offset:160 ; 4-byte Folded Spill
	s_nop 0
	buffer_store_dword v58, off, s[24:27], 0 offset:164 ; 4-byte Folded Spill
	buffer_store_dword v59, off, s[24:27], 0 offset:168 ; 4-byte Folded Spill
	buffer_store_dword v60, off, s[24:27], 0 offset:172 ; 4-byte Folded Spill
	ds_read2_b64 v[89:92], v0 offset0:46 offset1:47
	buffer_load_dword v57, off, s[24:27], 0 offset:144 ; 4-byte Folded Reload
	buffer_load_dword v58, off, s[24:27], 0 offset:148 ; 4-byte Folded Reload
	buffer_load_dword v59, off, s[24:27], 0 offset:152 ; 4-byte Folded Reload
	buffer_load_dword v60, off, s[24:27], 0 offset:156 ; 4-byte Folded Reload
	s_waitcnt lgkmcnt(0)
	v_mul_f64 v[93:94], v[91:92], v[99:100]
	v_fma_f64 v[93:94], v[89:90], v[125:126], -v[93:94]
	v_mul_f64 v[89:90], v[89:90], v[99:100]
	v_fma_f64 v[89:90], v[91:92], v[125:126], v[89:90]
	s_waitcnt vmcnt(2)
	v_add_f64 v[57:58], v[57:58], -v[93:94]
	s_waitcnt vmcnt(0)
	v_add_f64 v[59:60], v[59:60], -v[89:90]
	buffer_store_dword v57, off, s[24:27], 0 offset:144 ; 4-byte Folded Spill
	s_nop 0
	buffer_store_dword v58, off, s[24:27], 0 offset:148 ; 4-byte Folded Spill
	buffer_store_dword v59, off, s[24:27], 0 offset:152 ; 4-byte Folded Spill
	buffer_store_dword v60, off, s[24:27], 0 offset:156 ; 4-byte Folded Spill
	ds_read2_b64 v[89:92], v0 offset0:48 offset1:49
	buffer_load_dword v57, off, s[24:27], 0 offset:128 ; 4-byte Folded Reload
	buffer_load_dword v58, off, s[24:27], 0 offset:132 ; 4-byte Folded Reload
	buffer_load_dword v59, off, s[24:27], 0 offset:136 ; 4-byte Folded Reload
	buffer_load_dword v60, off, s[24:27], 0 offset:140 ; 4-byte Folded Reload
	;; [unrolled: 19-line block ×9, first 2 shown]
	s_waitcnt lgkmcnt(0)
	v_mul_f64 v[93:94], v[91:92], v[99:100]
	v_fma_f64 v[93:94], v[89:90], v[125:126], -v[93:94]
	v_mul_f64 v[89:90], v[89:90], v[99:100]
	v_fma_f64 v[89:90], v[91:92], v[125:126], v[89:90]
	s_waitcnt vmcnt(2)
	v_add_f64 v[57:58], v[57:58], -v[93:94]
	s_waitcnt vmcnt(0)
	v_add_f64 v[59:60], v[59:60], -v[89:90]
	buffer_store_dword v57, off, s[24:27], 0 offset:16 ; 4-byte Folded Spill
	s_nop 0
	buffer_store_dword v58, off, s[24:27], 0 offset:20 ; 4-byte Folded Spill
	buffer_store_dword v59, off, s[24:27], 0 offset:24 ; 4-byte Folded Spill
	;; [unrolled: 1-line block ×3, first 2 shown]
	ds_read2_b64 v[89:92], v0 offset0:64 offset1:65
	s_waitcnt lgkmcnt(0)
	v_mul_f64 v[93:94], v[91:92], v[99:100]
	v_fma_f64 v[93:94], v[89:90], v[125:126], -v[93:94]
	v_mul_f64 v[89:90], v[89:90], v[99:100]
	v_add_f64 v[81:82], v[81:82], -v[93:94]
	v_fma_f64 v[89:90], v[91:92], v[125:126], v[89:90]
	v_add_f64 v[83:84], v[83:84], -v[89:90]
	ds_read2_b64 v[89:92], v0 offset0:66 offset1:67
	s_waitcnt lgkmcnt(0)
	v_mul_f64 v[93:94], v[91:92], v[99:100]
	v_fma_f64 v[93:94], v[89:90], v[125:126], -v[93:94]
	v_mul_f64 v[89:90], v[89:90], v[99:100]
	v_add_f64 v[85:86], v[85:86], -v[93:94]
	v_fma_f64 v[89:90], v[91:92], v[125:126], v[89:90]
	v_add_f64 v[87:88], v[87:88], -v[89:90]
	;; [unrolled: 8-line block ×9, first 2 shown]
	ds_read2_b64 v[89:92], v0 offset0:82 offset1:83
	buffer_load_dword v57, off, s[24:27], 0 ; 4-byte Folded Reload
	buffer_load_dword v58, off, s[24:27], 0 offset:4 ; 4-byte Folded Reload
	buffer_load_dword v59, off, s[24:27], 0 offset:8 ; 4-byte Folded Reload
	;; [unrolled: 1-line block ×3, first 2 shown]
	s_waitcnt lgkmcnt(0)
	v_mul_f64 v[93:94], v[91:92], v[99:100]
	v_fma_f64 v[93:94], v[89:90], v[125:126], -v[93:94]
	v_mul_f64 v[89:90], v[89:90], v[99:100]
	v_fma_f64 v[89:90], v[91:92], v[125:126], v[89:90]
	s_waitcnt vmcnt(2)
	v_add_f64 v[57:58], v[57:58], -v[93:94]
	s_waitcnt vmcnt(0)
	v_add_f64 v[59:60], v[59:60], -v[89:90]
	buffer_store_dword v57, off, s[24:27], 0 ; 4-byte Folded Spill
	s_nop 0
	buffer_store_dword v58, off, s[24:27], 0 offset:4 ; 4-byte Folded Spill
	buffer_store_dword v59, off, s[24:27], 0 offset:8 ; 4-byte Folded Spill
	;; [unrolled: 1-line block ×3, first 2 shown]
	ds_read2_b64 v[89:92], v0 offset0:84 offset1:85
	s_waitcnt lgkmcnt(0)
	v_mul_f64 v[93:94], v[91:92], v[99:100]
	v_fma_f64 v[93:94], v[89:90], v[125:126], -v[93:94]
	v_mul_f64 v[89:90], v[89:90], v[99:100]
	v_add_f64 v[53:54], v[53:54], -v[93:94]
	v_fma_f64 v[89:90], v[91:92], v[125:126], v[89:90]
	v_add_f64 v[55:56], v[55:56], -v[89:90]
	ds_read2_b64 v[89:92], v0 offset0:86 offset1:87
	s_waitcnt lgkmcnt(0)
	v_mul_f64 v[93:94], v[91:92], v[99:100]
	v_fma_f64 v[93:94], v[89:90], v[125:126], -v[93:94]
	v_mul_f64 v[89:90], v[89:90], v[99:100]
	v_add_f64 v[49:50], v[49:50], -v[93:94]
	v_fma_f64 v[89:90], v[91:92], v[125:126], v[89:90]
	v_add_f64 v[51:52], v[51:52], -v[89:90]
	;; [unrolled: 8-line block ×14, first 2 shown]
	ds_read2_b64 v[89:92], v0 offset0:112 offset1:113
	s_waitcnt lgkmcnt(0)
	v_mul_f64 v[93:94], v[91:92], v[99:100]
	v_fma_f64 v[93:94], v[89:90], v[125:126], -v[93:94]
	v_mul_f64 v[89:90], v[89:90], v[99:100]
	buffer_store_dword v97, off, s[24:27], 0 offset:176 ; 4-byte Folded Spill
	s_nop 0
	buffer_store_dword v98, off, s[24:27], 0 offset:180 ; 4-byte Folded Spill
	buffer_store_dword v99, off, s[24:27], 0 offset:184 ; 4-byte Folded Spill
	buffer_store_dword v100, off, s[24:27], 0 offset:188 ; 4-byte Folded Spill
	v_add_f64 v[121:122], v[121:122], -v[93:94]
	v_fma_f64 v[89:90], v[91:92], v[125:126], v[89:90]
	v_add_f64 v[123:124], v[123:124], -v[89:90]
.LBB112_461:
	s_or_b64 exec, exec, s[0:1]
	s_waitcnt vmcnt(0)
	s_barrier
	buffer_load_dword v57, off, s[24:27], 0 offset:160 ; 4-byte Folded Reload
	buffer_load_dword v58, off, s[24:27], 0 offset:164 ; 4-byte Folded Reload
	buffer_load_dword v59, off, s[24:27], 0 offset:168 ; 4-byte Folded Reload
	buffer_load_dword v60, off, s[24:27], 0 offset:172 ; 4-byte Folded Reload
	v_lshl_add_u32 v89, v96, 4, v0
	s_cmp_lt_i32 s3, 24
	s_waitcnt vmcnt(0)
	ds_write2_b64 v89, v[57:58], v[59:60] offset1:1
	s_waitcnt lgkmcnt(0)
	s_barrier
	ds_read2_b64 v[117:120], v0 offset0:44 offset1:45
	v_mov_b32_e32 v89, 22
	s_cbranch_scc1 .LBB112_464
; %bb.462:
	v_add_u32_e32 v90, 0x170, v0
	s_mov_b32 s0, 23
	v_mov_b32_e32 v89, 22
.LBB112_463:                            ; =>This Inner Loop Header: Depth=1
	s_waitcnt lgkmcnt(0)
	v_cmp_gt_f64_e32 vcc, 0, v[117:118]
	v_xor_b32_e32 v97, 0x80000000, v118
	ds_read2_b64 v[91:94], v90 offset1:1
	v_xor_b32_e32 v99, 0x80000000, v120
	v_add_u32_e32 v90, 16, v90
	s_waitcnt lgkmcnt(0)
	v_xor_b32_e32 v101, 0x80000000, v94
	v_cndmask_b32_e32 v98, v118, v97, vcc
	v_cmp_gt_f64_e32 vcc, 0, v[119:120]
	v_mov_b32_e32 v97, v117
	v_cndmask_b32_e32 v100, v120, v99, vcc
	v_cmp_gt_f64_e32 vcc, 0, v[91:92]
	v_mov_b32_e32 v99, v119
	v_add_f64 v[97:98], v[97:98], v[99:100]
	v_xor_b32_e32 v99, 0x80000000, v92
	v_cndmask_b32_e32 v100, v92, v99, vcc
	v_cmp_gt_f64_e32 vcc, 0, v[93:94]
	v_mov_b32_e32 v99, v91
	v_cndmask_b32_e32 v102, v94, v101, vcc
	v_mov_b32_e32 v101, v93
	v_add_f64 v[99:100], v[99:100], v[101:102]
	v_cmp_lt_f64_e32 vcc, v[97:98], v[99:100]
	v_cndmask_b32_e32 v117, v117, v91, vcc
	v_mov_b32_e32 v91, s0
	s_add_i32 s0, s0, 1
	v_cndmask_b32_e32 v118, v118, v92, vcc
	v_cndmask_b32_e32 v120, v120, v94, vcc
	;; [unrolled: 1-line block ×4, first 2 shown]
	s_cmp_lg_u32 s3, s0
	s_cbranch_scc1 .LBB112_463
.LBB112_464:
	s_waitcnt lgkmcnt(0)
	v_cmp_eq_f64_e32 vcc, 0, v[117:118]
	v_cmp_eq_f64_e64 s[0:1], 0, v[119:120]
	s_and_b64 s[0:1], vcc, s[0:1]
	s_and_saveexec_b64 s[18:19], s[0:1]
	s_xor_b64 s[0:1], exec, s[18:19]
; %bb.465:
	v_cmp_ne_u32_e32 vcc, 0, v95
	v_cndmask_b32_e32 v95, 23, v95, vcc
; %bb.466:
	s_andn2_saveexec_b64 s[0:1], s[0:1]
	s_cbranch_execz .LBB112_472
; %bb.467:
	v_cmp_ngt_f64_e64 s[18:19], |v[117:118]|, |v[119:120]|
	s_and_saveexec_b64 s[20:21], s[18:19]
	s_xor_b64 s[18:19], exec, s[20:21]
	s_cbranch_execz .LBB112_469
; %bb.468:
	v_div_scale_f64 v[90:91], s[20:21], v[119:120], v[119:120], v[117:118]
	v_rcp_f64_e32 v[92:93], v[90:91]
	v_fma_f64 v[97:98], -v[90:91], v[92:93], 1.0
	v_fma_f64 v[92:93], v[92:93], v[97:98], v[92:93]
	v_div_scale_f64 v[97:98], vcc, v[117:118], v[119:120], v[117:118]
	v_fma_f64 v[99:100], -v[90:91], v[92:93], 1.0
	v_fma_f64 v[92:93], v[92:93], v[99:100], v[92:93]
	v_mul_f64 v[99:100], v[97:98], v[92:93]
	v_fma_f64 v[90:91], -v[90:91], v[99:100], v[97:98]
	v_div_fmas_f64 v[90:91], v[90:91], v[92:93], v[99:100]
	v_div_fixup_f64 v[90:91], v[90:91], v[119:120], v[117:118]
	v_fma_f64 v[92:93], v[117:118], v[90:91], v[119:120]
	v_div_scale_f64 v[97:98], s[20:21], v[92:93], v[92:93], 1.0
	v_div_scale_f64 v[103:104], vcc, 1.0, v[92:93], 1.0
	v_rcp_f64_e32 v[99:100], v[97:98]
	v_fma_f64 v[101:102], -v[97:98], v[99:100], 1.0
	v_fma_f64 v[99:100], v[99:100], v[101:102], v[99:100]
	v_fma_f64 v[101:102], -v[97:98], v[99:100], 1.0
	v_fma_f64 v[99:100], v[99:100], v[101:102], v[99:100]
	v_mul_f64 v[101:102], v[103:104], v[99:100]
	v_fma_f64 v[97:98], -v[97:98], v[101:102], v[103:104]
	v_div_fmas_f64 v[97:98], v[97:98], v[99:100], v[101:102]
	v_div_fixup_f64 v[119:120], v[97:98], v[92:93], 1.0
	v_mul_f64 v[117:118], v[90:91], v[119:120]
	v_xor_b32_e32 v120, 0x80000000, v120
.LBB112_469:
	s_andn2_saveexec_b64 s[18:19], s[18:19]
	s_cbranch_execz .LBB112_471
; %bb.470:
	v_div_scale_f64 v[90:91], s[20:21], v[117:118], v[117:118], v[119:120]
	v_rcp_f64_e32 v[92:93], v[90:91]
	v_fma_f64 v[97:98], -v[90:91], v[92:93], 1.0
	v_fma_f64 v[92:93], v[92:93], v[97:98], v[92:93]
	v_div_scale_f64 v[97:98], vcc, v[119:120], v[117:118], v[119:120]
	v_fma_f64 v[99:100], -v[90:91], v[92:93], 1.0
	v_fma_f64 v[92:93], v[92:93], v[99:100], v[92:93]
	v_mul_f64 v[99:100], v[97:98], v[92:93]
	v_fma_f64 v[90:91], -v[90:91], v[99:100], v[97:98]
	v_div_fmas_f64 v[90:91], v[90:91], v[92:93], v[99:100]
	v_div_fixup_f64 v[90:91], v[90:91], v[117:118], v[119:120]
	v_fma_f64 v[92:93], v[119:120], v[90:91], v[117:118]
	v_div_scale_f64 v[97:98], s[20:21], v[92:93], v[92:93], 1.0
	v_div_scale_f64 v[103:104], vcc, 1.0, v[92:93], 1.0
	v_rcp_f64_e32 v[99:100], v[97:98]
	v_fma_f64 v[101:102], -v[97:98], v[99:100], 1.0
	v_fma_f64 v[99:100], v[99:100], v[101:102], v[99:100]
	v_fma_f64 v[101:102], -v[97:98], v[99:100], 1.0
	v_fma_f64 v[99:100], v[99:100], v[101:102], v[99:100]
	v_mul_f64 v[101:102], v[103:104], v[99:100]
	v_fma_f64 v[97:98], -v[97:98], v[101:102], v[103:104]
	v_div_fmas_f64 v[97:98], v[97:98], v[99:100], v[101:102]
	v_div_fixup_f64 v[117:118], v[97:98], v[92:93], 1.0
	v_mul_f64 v[119:120], v[90:91], -v[117:118]
.LBB112_471:
	s_or_b64 exec, exec, s[18:19]
.LBB112_472:
	s_or_b64 exec, exec, s[0:1]
	v_cmp_ne_u32_e32 vcc, v96, v89
	s_and_saveexec_b64 s[0:1], vcc
	s_xor_b64 s[0:1], exec, s[0:1]
	s_cbranch_execz .LBB112_478
; %bb.473:
	v_cmp_eq_u32_e32 vcc, 22, v96
	s_and_saveexec_b64 s[18:19], vcc
	s_cbranch_execz .LBB112_477
; %bb.474:
	v_cmp_ne_u32_e32 vcc, 22, v89
	s_xor_b64 s[20:21], s[6:7], -1
	s_and_b64 s[22:23], s[20:21], vcc
	s_and_saveexec_b64 s[20:21], s[22:23]
	s_cbranch_execz .LBB112_476
; %bb.475:
	v_mov_b32_e32 v57, v81
	v_mov_b32_e32 v58, v82
	;; [unrolled: 1-line block ×4, first 2 shown]
	buffer_load_dword v81, off, s[24:27], 0 offset:464 ; 4-byte Folded Reload
	buffer_load_dword v82, off, s[24:27], 0 offset:468 ; 4-byte Folded Reload
	v_ashrrev_i32_e32 v90, 31, v89
	v_lshlrev_b64 v[90:91], 2, v[89:90]
	s_waitcnt vmcnt(1)
	v_add_co_u32_e32 v90, vcc, v81, v90
	s_waitcnt vmcnt(0)
	v_addc_co_u32_e32 v91, vcc, v82, v91, vcc
	global_load_dword v92, v[90:91], off
	global_load_dword v93, v[81:82], off offset:88
	s_waitcnt vmcnt(1)
	global_store_dword v[81:82], v92, off offset:88
	v_mov_b32_e32 v84, v60
	v_mov_b32_e32 v83, v59
	;; [unrolled: 1-line block ×4, first 2 shown]
	s_waitcnt vmcnt(1)
	global_store_dword v[90:91], v93, off
.LBB112_476:
	s_or_b64 exec, exec, s[20:21]
	v_mov_b32_e32 v96, v89
	v_mov_b32_e32 v127, v89
.LBB112_477:
	s_or_b64 exec, exec, s[18:19]
.LBB112_478:
	s_andn2_saveexec_b64 s[0:1], s[0:1]
	s_cbranch_execz .LBB112_480
; %bb.479:
	buffer_load_dword v57, off, s[24:27], 0 offset:144 ; 4-byte Folded Reload
	buffer_load_dword v58, off, s[24:27], 0 offset:148 ; 4-byte Folded Reload
	;; [unrolled: 1-line block ×4, first 2 shown]
	v_mov_b32_e32 v96, 22
	s_waitcnt vmcnt(0)
	ds_write2_b64 v0, v[57:58], v[59:60] offset0:46 offset1:47
	buffer_load_dword v57, off, s[24:27], 0 offset:128 ; 4-byte Folded Reload
	buffer_load_dword v58, off, s[24:27], 0 offset:132 ; 4-byte Folded Reload
	buffer_load_dword v59, off, s[24:27], 0 offset:136 ; 4-byte Folded Reload
	buffer_load_dword v60, off, s[24:27], 0 offset:140 ; 4-byte Folded Reload
	s_waitcnt vmcnt(0)
	ds_write2_b64 v0, v[57:58], v[59:60] offset0:48 offset1:49
	buffer_load_dword v57, off, s[24:27], 0 offset:112 ; 4-byte Folded Reload
	buffer_load_dword v58, off, s[24:27], 0 offset:116 ; 4-byte Folded Reload
	buffer_load_dword v59, off, s[24:27], 0 offset:120 ; 4-byte Folded Reload
	buffer_load_dword v60, off, s[24:27], 0 offset:124 ; 4-byte Folded Reload
	s_waitcnt vmcnt(0)
	ds_write2_b64 v0, v[57:58], v[59:60] offset0:50 offset1:51
	buffer_load_dword v57, off, s[24:27], 0 offset:96 ; 4-byte Folded Reload
	buffer_load_dword v58, off, s[24:27], 0 offset:100 ; 4-byte Folded Reload
	buffer_load_dword v59, off, s[24:27], 0 offset:104 ; 4-byte Folded Reload
	buffer_load_dword v60, off, s[24:27], 0 offset:108 ; 4-byte Folded Reload
	s_waitcnt vmcnt(0)
	ds_write2_b64 v0, v[57:58], v[59:60] offset0:52 offset1:53
	buffer_load_dword v57, off, s[24:27], 0 offset:80 ; 4-byte Folded Reload
	buffer_load_dword v58, off, s[24:27], 0 offset:84 ; 4-byte Folded Reload
	buffer_load_dword v59, off, s[24:27], 0 offset:88 ; 4-byte Folded Reload
	buffer_load_dword v60, off, s[24:27], 0 offset:92 ; 4-byte Folded Reload
	s_waitcnt vmcnt(0)
	ds_write2_b64 v0, v[57:58], v[59:60] offset0:54 offset1:55
	buffer_load_dword v57, off, s[24:27], 0 offset:64 ; 4-byte Folded Reload
	buffer_load_dword v58, off, s[24:27], 0 offset:68 ; 4-byte Folded Reload
	buffer_load_dword v59, off, s[24:27], 0 offset:72 ; 4-byte Folded Reload
	buffer_load_dword v60, off, s[24:27], 0 offset:76 ; 4-byte Folded Reload
	s_waitcnt vmcnt(0)
	ds_write2_b64 v0, v[57:58], v[59:60] offset0:56 offset1:57
	buffer_load_dword v57, off, s[24:27], 0 offset:48 ; 4-byte Folded Reload
	buffer_load_dword v58, off, s[24:27], 0 offset:52 ; 4-byte Folded Reload
	buffer_load_dword v59, off, s[24:27], 0 offset:56 ; 4-byte Folded Reload
	buffer_load_dword v60, off, s[24:27], 0 offset:60 ; 4-byte Folded Reload
	s_waitcnt vmcnt(0)
	ds_write2_b64 v0, v[57:58], v[59:60] offset0:58 offset1:59
	buffer_load_dword v57, off, s[24:27], 0 offset:32 ; 4-byte Folded Reload
	buffer_load_dword v58, off, s[24:27], 0 offset:36 ; 4-byte Folded Reload
	buffer_load_dword v59, off, s[24:27], 0 offset:40 ; 4-byte Folded Reload
	buffer_load_dword v60, off, s[24:27], 0 offset:44 ; 4-byte Folded Reload
	s_waitcnt vmcnt(0)
	ds_write2_b64 v0, v[57:58], v[59:60] offset0:60 offset1:61
	buffer_load_dword v57, off, s[24:27], 0 offset:16 ; 4-byte Folded Reload
	buffer_load_dword v58, off, s[24:27], 0 offset:20 ; 4-byte Folded Reload
	buffer_load_dword v59, off, s[24:27], 0 offset:24 ; 4-byte Folded Reload
	buffer_load_dword v60, off, s[24:27], 0 offset:28 ; 4-byte Folded Reload
	s_waitcnt vmcnt(0)
	ds_write2_b64 v0, v[57:58], v[59:60] offset0:62 offset1:63
	ds_write2_b64 v0, v[81:82], v[83:84] offset0:64 offset1:65
	;; [unrolled: 1-line block ×10, first 2 shown]
	buffer_load_dword v57, off, s[24:27], 0 ; 4-byte Folded Reload
	buffer_load_dword v58, off, s[24:27], 0 offset:4 ; 4-byte Folded Reload
	buffer_load_dword v59, off, s[24:27], 0 offset:8 ; 4-byte Folded Reload
	;; [unrolled: 1-line block ×3, first 2 shown]
	s_waitcnt vmcnt(0)
	ds_write2_b64 v0, v[57:58], v[59:60] offset0:82 offset1:83
	ds_write2_b64 v0, v[53:54], v[55:56] offset0:84 offset1:85
	;; [unrolled: 1-line block ×16, first 2 shown]
.LBB112_480:
	s_or_b64 exec, exec, s[0:1]
	v_cmp_lt_i32_e32 vcc, 22, v96
	s_waitcnt vmcnt(0) lgkmcnt(0)
	s_barrier
	s_and_saveexec_b64 s[0:1], vcc
	s_cbranch_execz .LBB112_482
; %bb.481:
	buffer_load_dword v97, off, s[24:27], 0 offset:160 ; 4-byte Folded Reload
	buffer_load_dword v98, off, s[24:27], 0 offset:164 ; 4-byte Folded Reload
	;; [unrolled: 1-line block ×4, first 2 shown]
	s_waitcnt vmcnt(0)
	v_mul_f64 v[89:90], v[119:120], v[99:100]
	v_fma_f64 v[125:126], v[117:118], v[97:98], -v[89:90]
	v_mul_f64 v[89:90], v[117:118], v[99:100]
	v_fma_f64 v[99:100], v[119:120], v[97:98], v[89:90]
	ds_read2_b64 v[89:92], v0 offset0:46 offset1:47
	buffer_load_dword v57, off, s[24:27], 0 offset:144 ; 4-byte Folded Reload
	buffer_load_dword v58, off, s[24:27], 0 offset:148 ; 4-byte Folded Reload
	;; [unrolled: 1-line block ×4, first 2 shown]
	v_mov_b32_e32 v97, v125
	v_mov_b32_e32 v98, v126
	s_waitcnt lgkmcnt(0)
	v_mul_f64 v[93:94], v[91:92], v[99:100]
	v_fma_f64 v[93:94], v[89:90], v[125:126], -v[93:94]
	v_mul_f64 v[89:90], v[89:90], v[99:100]
	v_fma_f64 v[89:90], v[91:92], v[125:126], v[89:90]
	s_waitcnt vmcnt(2)
	v_add_f64 v[57:58], v[57:58], -v[93:94]
	s_waitcnt vmcnt(0)
	v_add_f64 v[59:60], v[59:60], -v[89:90]
	buffer_store_dword v57, off, s[24:27], 0 offset:144 ; 4-byte Folded Spill
	s_nop 0
	buffer_store_dword v58, off, s[24:27], 0 offset:148 ; 4-byte Folded Spill
	buffer_store_dword v59, off, s[24:27], 0 offset:152 ; 4-byte Folded Spill
	buffer_store_dword v60, off, s[24:27], 0 offset:156 ; 4-byte Folded Spill
	ds_read2_b64 v[89:92], v0 offset0:48 offset1:49
	buffer_load_dword v57, off, s[24:27], 0 offset:128 ; 4-byte Folded Reload
	buffer_load_dword v58, off, s[24:27], 0 offset:132 ; 4-byte Folded Reload
	buffer_load_dword v59, off, s[24:27], 0 offset:136 ; 4-byte Folded Reload
	buffer_load_dword v60, off, s[24:27], 0 offset:140 ; 4-byte Folded Reload
	s_waitcnt lgkmcnt(0)
	v_mul_f64 v[93:94], v[91:92], v[99:100]
	v_fma_f64 v[93:94], v[89:90], v[125:126], -v[93:94]
	v_mul_f64 v[89:90], v[89:90], v[99:100]
	v_fma_f64 v[89:90], v[91:92], v[125:126], v[89:90]
	s_waitcnt vmcnt(2)
	v_add_f64 v[57:58], v[57:58], -v[93:94]
	s_waitcnt vmcnt(0)
	v_add_f64 v[59:60], v[59:60], -v[89:90]
	buffer_store_dword v57, off, s[24:27], 0 offset:128 ; 4-byte Folded Spill
	s_nop 0
	buffer_store_dword v58, off, s[24:27], 0 offset:132 ; 4-byte Folded Spill
	buffer_store_dword v59, off, s[24:27], 0 offset:136 ; 4-byte Folded Spill
	buffer_store_dword v60, off, s[24:27], 0 offset:140 ; 4-byte Folded Spill
	ds_read2_b64 v[89:92], v0 offset0:50 offset1:51
	buffer_load_dword v57, off, s[24:27], 0 offset:112 ; 4-byte Folded Reload
	buffer_load_dword v58, off, s[24:27], 0 offset:116 ; 4-byte Folded Reload
	buffer_load_dword v59, off, s[24:27], 0 offset:120 ; 4-byte Folded Reload
	buffer_load_dword v60, off, s[24:27], 0 offset:124 ; 4-byte Folded Reload
	;; [unrolled: 19-line block ×8, first 2 shown]
	s_waitcnt lgkmcnt(0)
	v_mul_f64 v[93:94], v[91:92], v[99:100]
	v_fma_f64 v[93:94], v[89:90], v[125:126], -v[93:94]
	v_mul_f64 v[89:90], v[89:90], v[99:100]
	v_fma_f64 v[89:90], v[91:92], v[125:126], v[89:90]
	s_waitcnt vmcnt(2)
	v_add_f64 v[57:58], v[57:58], -v[93:94]
	s_waitcnt vmcnt(0)
	v_add_f64 v[59:60], v[59:60], -v[89:90]
	buffer_store_dword v57, off, s[24:27], 0 offset:16 ; 4-byte Folded Spill
	s_nop 0
	buffer_store_dword v58, off, s[24:27], 0 offset:20 ; 4-byte Folded Spill
	buffer_store_dword v59, off, s[24:27], 0 offset:24 ; 4-byte Folded Spill
	;; [unrolled: 1-line block ×3, first 2 shown]
	ds_read2_b64 v[89:92], v0 offset0:64 offset1:65
	s_waitcnt lgkmcnt(0)
	v_mul_f64 v[93:94], v[91:92], v[99:100]
	v_fma_f64 v[93:94], v[89:90], v[125:126], -v[93:94]
	v_mul_f64 v[89:90], v[89:90], v[99:100]
	v_add_f64 v[81:82], v[81:82], -v[93:94]
	v_fma_f64 v[89:90], v[91:92], v[125:126], v[89:90]
	v_add_f64 v[83:84], v[83:84], -v[89:90]
	ds_read2_b64 v[89:92], v0 offset0:66 offset1:67
	s_waitcnt lgkmcnt(0)
	v_mul_f64 v[93:94], v[91:92], v[99:100]
	v_fma_f64 v[93:94], v[89:90], v[125:126], -v[93:94]
	v_mul_f64 v[89:90], v[89:90], v[99:100]
	v_add_f64 v[85:86], v[85:86], -v[93:94]
	v_fma_f64 v[89:90], v[91:92], v[125:126], v[89:90]
	v_add_f64 v[87:88], v[87:88], -v[89:90]
	;; [unrolled: 8-line block ×9, first 2 shown]
	ds_read2_b64 v[89:92], v0 offset0:82 offset1:83
	buffer_load_dword v57, off, s[24:27], 0 ; 4-byte Folded Reload
	buffer_load_dword v58, off, s[24:27], 0 offset:4 ; 4-byte Folded Reload
	buffer_load_dword v59, off, s[24:27], 0 offset:8 ; 4-byte Folded Reload
	;; [unrolled: 1-line block ×3, first 2 shown]
	s_waitcnt lgkmcnt(0)
	v_mul_f64 v[93:94], v[91:92], v[99:100]
	v_fma_f64 v[93:94], v[89:90], v[125:126], -v[93:94]
	v_mul_f64 v[89:90], v[89:90], v[99:100]
	v_fma_f64 v[89:90], v[91:92], v[125:126], v[89:90]
	s_waitcnt vmcnt(2)
	v_add_f64 v[57:58], v[57:58], -v[93:94]
	s_waitcnt vmcnt(0)
	v_add_f64 v[59:60], v[59:60], -v[89:90]
	buffer_store_dword v57, off, s[24:27], 0 ; 4-byte Folded Spill
	s_nop 0
	buffer_store_dword v58, off, s[24:27], 0 offset:4 ; 4-byte Folded Spill
	buffer_store_dword v59, off, s[24:27], 0 offset:8 ; 4-byte Folded Spill
	;; [unrolled: 1-line block ×3, first 2 shown]
	ds_read2_b64 v[89:92], v0 offset0:84 offset1:85
	s_waitcnt lgkmcnt(0)
	v_mul_f64 v[93:94], v[91:92], v[99:100]
	v_fma_f64 v[93:94], v[89:90], v[125:126], -v[93:94]
	v_mul_f64 v[89:90], v[89:90], v[99:100]
	v_add_f64 v[53:54], v[53:54], -v[93:94]
	v_fma_f64 v[89:90], v[91:92], v[125:126], v[89:90]
	v_add_f64 v[55:56], v[55:56], -v[89:90]
	ds_read2_b64 v[89:92], v0 offset0:86 offset1:87
	s_waitcnt lgkmcnt(0)
	v_mul_f64 v[93:94], v[91:92], v[99:100]
	v_fma_f64 v[93:94], v[89:90], v[125:126], -v[93:94]
	v_mul_f64 v[89:90], v[89:90], v[99:100]
	v_add_f64 v[49:50], v[49:50], -v[93:94]
	v_fma_f64 v[89:90], v[91:92], v[125:126], v[89:90]
	v_add_f64 v[51:52], v[51:52], -v[89:90]
	;; [unrolled: 8-line block ×14, first 2 shown]
	ds_read2_b64 v[89:92], v0 offset0:112 offset1:113
	s_waitcnt lgkmcnt(0)
	v_mul_f64 v[93:94], v[91:92], v[99:100]
	v_fma_f64 v[93:94], v[89:90], v[125:126], -v[93:94]
	v_mul_f64 v[89:90], v[89:90], v[99:100]
	buffer_store_dword v97, off, s[24:27], 0 offset:160 ; 4-byte Folded Spill
	s_nop 0
	buffer_store_dword v98, off, s[24:27], 0 offset:164 ; 4-byte Folded Spill
	buffer_store_dword v99, off, s[24:27], 0 offset:168 ; 4-byte Folded Spill
	;; [unrolled: 1-line block ×3, first 2 shown]
	v_add_f64 v[121:122], v[121:122], -v[93:94]
	v_fma_f64 v[89:90], v[91:92], v[125:126], v[89:90]
	v_add_f64 v[123:124], v[123:124], -v[89:90]
.LBB112_482:
	s_or_b64 exec, exec, s[0:1]
	s_waitcnt vmcnt(0)
	s_barrier
	buffer_load_dword v57, off, s[24:27], 0 offset:144 ; 4-byte Folded Reload
	buffer_load_dword v58, off, s[24:27], 0 offset:148 ; 4-byte Folded Reload
	;; [unrolled: 1-line block ×4, first 2 shown]
	v_lshl_add_u32 v89, v96, 4, v0
	s_cmp_lt_i32 s3, 25
	s_waitcnt vmcnt(0)
	ds_write2_b64 v89, v[57:58], v[59:60] offset1:1
	s_waitcnt lgkmcnt(0)
	s_barrier
	ds_read2_b64 v[117:120], v0 offset0:46 offset1:47
	v_mov_b32_e32 v89, 23
	s_cbranch_scc1 .LBB112_485
; %bb.483:
	v_add_u32_e32 v90, 0x180, v0
	s_mov_b32 s0, 24
	v_mov_b32_e32 v89, 23
.LBB112_484:                            ; =>This Inner Loop Header: Depth=1
	s_waitcnt lgkmcnt(0)
	v_cmp_gt_f64_e32 vcc, 0, v[117:118]
	v_xor_b32_e32 v97, 0x80000000, v118
	ds_read2_b64 v[91:94], v90 offset1:1
	v_xor_b32_e32 v99, 0x80000000, v120
	v_add_u32_e32 v90, 16, v90
	s_waitcnt lgkmcnt(0)
	v_xor_b32_e32 v101, 0x80000000, v94
	v_cndmask_b32_e32 v98, v118, v97, vcc
	v_cmp_gt_f64_e32 vcc, 0, v[119:120]
	v_mov_b32_e32 v97, v117
	v_cndmask_b32_e32 v100, v120, v99, vcc
	v_cmp_gt_f64_e32 vcc, 0, v[91:92]
	v_mov_b32_e32 v99, v119
	v_add_f64 v[97:98], v[97:98], v[99:100]
	v_xor_b32_e32 v99, 0x80000000, v92
	v_cndmask_b32_e32 v100, v92, v99, vcc
	v_cmp_gt_f64_e32 vcc, 0, v[93:94]
	v_mov_b32_e32 v99, v91
	v_cndmask_b32_e32 v102, v94, v101, vcc
	v_mov_b32_e32 v101, v93
	v_add_f64 v[99:100], v[99:100], v[101:102]
	v_cmp_lt_f64_e32 vcc, v[97:98], v[99:100]
	v_cndmask_b32_e32 v117, v117, v91, vcc
	v_mov_b32_e32 v91, s0
	s_add_i32 s0, s0, 1
	v_cndmask_b32_e32 v118, v118, v92, vcc
	v_cndmask_b32_e32 v120, v120, v94, vcc
	;; [unrolled: 1-line block ×4, first 2 shown]
	s_cmp_lg_u32 s3, s0
	s_cbranch_scc1 .LBB112_484
.LBB112_485:
	s_waitcnt lgkmcnt(0)
	v_cmp_eq_f64_e32 vcc, 0, v[117:118]
	v_cmp_eq_f64_e64 s[0:1], 0, v[119:120]
	s_and_b64 s[0:1], vcc, s[0:1]
	s_and_saveexec_b64 s[18:19], s[0:1]
	s_xor_b64 s[0:1], exec, s[18:19]
; %bb.486:
	v_cmp_ne_u32_e32 vcc, 0, v95
	v_cndmask_b32_e32 v95, 24, v95, vcc
; %bb.487:
	s_andn2_saveexec_b64 s[0:1], s[0:1]
	s_cbranch_execz .LBB112_493
; %bb.488:
	v_cmp_ngt_f64_e64 s[18:19], |v[117:118]|, |v[119:120]|
	s_and_saveexec_b64 s[20:21], s[18:19]
	s_xor_b64 s[18:19], exec, s[20:21]
	s_cbranch_execz .LBB112_490
; %bb.489:
	v_div_scale_f64 v[90:91], s[20:21], v[119:120], v[119:120], v[117:118]
	v_rcp_f64_e32 v[92:93], v[90:91]
	v_fma_f64 v[97:98], -v[90:91], v[92:93], 1.0
	v_fma_f64 v[92:93], v[92:93], v[97:98], v[92:93]
	v_div_scale_f64 v[97:98], vcc, v[117:118], v[119:120], v[117:118]
	v_fma_f64 v[99:100], -v[90:91], v[92:93], 1.0
	v_fma_f64 v[92:93], v[92:93], v[99:100], v[92:93]
	v_mul_f64 v[99:100], v[97:98], v[92:93]
	v_fma_f64 v[90:91], -v[90:91], v[99:100], v[97:98]
	v_div_fmas_f64 v[90:91], v[90:91], v[92:93], v[99:100]
	v_div_fixup_f64 v[90:91], v[90:91], v[119:120], v[117:118]
	v_fma_f64 v[92:93], v[117:118], v[90:91], v[119:120]
	v_div_scale_f64 v[97:98], s[20:21], v[92:93], v[92:93], 1.0
	v_div_scale_f64 v[103:104], vcc, 1.0, v[92:93], 1.0
	v_rcp_f64_e32 v[99:100], v[97:98]
	v_fma_f64 v[101:102], -v[97:98], v[99:100], 1.0
	v_fma_f64 v[99:100], v[99:100], v[101:102], v[99:100]
	v_fma_f64 v[101:102], -v[97:98], v[99:100], 1.0
	v_fma_f64 v[99:100], v[99:100], v[101:102], v[99:100]
	v_mul_f64 v[101:102], v[103:104], v[99:100]
	v_fma_f64 v[97:98], -v[97:98], v[101:102], v[103:104]
	v_div_fmas_f64 v[97:98], v[97:98], v[99:100], v[101:102]
	v_div_fixup_f64 v[119:120], v[97:98], v[92:93], 1.0
	v_mul_f64 v[117:118], v[90:91], v[119:120]
	v_xor_b32_e32 v120, 0x80000000, v120
.LBB112_490:
	s_andn2_saveexec_b64 s[18:19], s[18:19]
	s_cbranch_execz .LBB112_492
; %bb.491:
	v_div_scale_f64 v[90:91], s[20:21], v[117:118], v[117:118], v[119:120]
	v_rcp_f64_e32 v[92:93], v[90:91]
	v_fma_f64 v[97:98], -v[90:91], v[92:93], 1.0
	v_fma_f64 v[92:93], v[92:93], v[97:98], v[92:93]
	v_div_scale_f64 v[97:98], vcc, v[119:120], v[117:118], v[119:120]
	v_fma_f64 v[99:100], -v[90:91], v[92:93], 1.0
	v_fma_f64 v[92:93], v[92:93], v[99:100], v[92:93]
	v_mul_f64 v[99:100], v[97:98], v[92:93]
	v_fma_f64 v[90:91], -v[90:91], v[99:100], v[97:98]
	v_div_fmas_f64 v[90:91], v[90:91], v[92:93], v[99:100]
	v_div_fixup_f64 v[90:91], v[90:91], v[117:118], v[119:120]
	v_fma_f64 v[92:93], v[119:120], v[90:91], v[117:118]
	v_div_scale_f64 v[97:98], s[20:21], v[92:93], v[92:93], 1.0
	v_div_scale_f64 v[103:104], vcc, 1.0, v[92:93], 1.0
	v_rcp_f64_e32 v[99:100], v[97:98]
	v_fma_f64 v[101:102], -v[97:98], v[99:100], 1.0
	v_fma_f64 v[99:100], v[99:100], v[101:102], v[99:100]
	v_fma_f64 v[101:102], -v[97:98], v[99:100], 1.0
	v_fma_f64 v[99:100], v[99:100], v[101:102], v[99:100]
	v_mul_f64 v[101:102], v[103:104], v[99:100]
	v_fma_f64 v[97:98], -v[97:98], v[101:102], v[103:104]
	v_div_fmas_f64 v[97:98], v[97:98], v[99:100], v[101:102]
	v_div_fixup_f64 v[117:118], v[97:98], v[92:93], 1.0
	v_mul_f64 v[119:120], v[90:91], -v[117:118]
.LBB112_492:
	s_or_b64 exec, exec, s[18:19]
.LBB112_493:
	s_or_b64 exec, exec, s[0:1]
	v_cmp_ne_u32_e32 vcc, v96, v89
	s_and_saveexec_b64 s[0:1], vcc
	s_xor_b64 s[0:1], exec, s[0:1]
	s_cbranch_execz .LBB112_499
; %bb.494:
	v_cmp_eq_u32_e32 vcc, 23, v96
	s_and_saveexec_b64 s[18:19], vcc
	s_cbranch_execz .LBB112_498
; %bb.495:
	v_cmp_ne_u32_e32 vcc, 23, v89
	s_xor_b64 s[20:21], s[6:7], -1
	s_and_b64 s[22:23], s[20:21], vcc
	s_and_saveexec_b64 s[20:21], s[22:23]
	s_cbranch_execz .LBB112_497
; %bb.496:
	v_mov_b32_e32 v57, v81
	v_mov_b32_e32 v58, v82
	v_mov_b32_e32 v59, v83
	v_mov_b32_e32 v60, v84
	buffer_load_dword v81, off, s[24:27], 0 offset:464 ; 4-byte Folded Reload
	buffer_load_dword v82, off, s[24:27], 0 offset:468 ; 4-byte Folded Reload
	v_ashrrev_i32_e32 v90, 31, v89
	v_lshlrev_b64 v[90:91], 2, v[89:90]
	s_waitcnt vmcnt(1)
	v_add_co_u32_e32 v90, vcc, v81, v90
	s_waitcnt vmcnt(0)
	v_addc_co_u32_e32 v91, vcc, v82, v91, vcc
	global_load_dword v92, v[90:91], off
	global_load_dword v93, v[81:82], off offset:92
	s_waitcnt vmcnt(1)
	global_store_dword v[81:82], v92, off offset:92
	v_mov_b32_e32 v84, v60
	v_mov_b32_e32 v83, v59
	;; [unrolled: 1-line block ×4, first 2 shown]
	s_waitcnt vmcnt(1)
	global_store_dword v[90:91], v93, off
.LBB112_497:
	s_or_b64 exec, exec, s[20:21]
	v_mov_b32_e32 v96, v89
	v_mov_b32_e32 v127, v89
.LBB112_498:
	s_or_b64 exec, exec, s[18:19]
.LBB112_499:
	s_andn2_saveexec_b64 s[0:1], s[0:1]
	s_cbranch_execz .LBB112_501
; %bb.500:
	buffer_load_dword v57, off, s[24:27], 0 offset:128 ; 4-byte Folded Reload
	buffer_load_dword v58, off, s[24:27], 0 offset:132 ; 4-byte Folded Reload
	;; [unrolled: 1-line block ×4, first 2 shown]
	v_mov_b32_e32 v96, 23
	s_waitcnt vmcnt(0)
	ds_write2_b64 v0, v[57:58], v[59:60] offset0:48 offset1:49
	buffer_load_dword v57, off, s[24:27], 0 offset:112 ; 4-byte Folded Reload
	buffer_load_dword v58, off, s[24:27], 0 offset:116 ; 4-byte Folded Reload
	buffer_load_dword v59, off, s[24:27], 0 offset:120 ; 4-byte Folded Reload
	buffer_load_dword v60, off, s[24:27], 0 offset:124 ; 4-byte Folded Reload
	s_waitcnt vmcnt(0)
	ds_write2_b64 v0, v[57:58], v[59:60] offset0:50 offset1:51
	buffer_load_dword v57, off, s[24:27], 0 offset:96 ; 4-byte Folded Reload
	buffer_load_dword v58, off, s[24:27], 0 offset:100 ; 4-byte Folded Reload
	buffer_load_dword v59, off, s[24:27], 0 offset:104 ; 4-byte Folded Reload
	buffer_load_dword v60, off, s[24:27], 0 offset:108 ; 4-byte Folded Reload
	;; [unrolled: 6-line block ×7, first 2 shown]
	s_waitcnt vmcnt(0)
	ds_write2_b64 v0, v[57:58], v[59:60] offset0:62 offset1:63
	ds_write2_b64 v0, v[81:82], v[83:84] offset0:64 offset1:65
	ds_write2_b64 v0, v[85:86], v[87:88] offset0:66 offset1:67
	ds_write2_b64 v0, v[109:110], v[111:112] offset0:68 offset1:69
	ds_write2_b64 v0, v[113:114], v[115:116] offset0:70 offset1:71
	ds_write2_b64 v0, v[77:78], v[79:80] offset0:72 offset1:73
	ds_write2_b64 v0, v[73:74], v[75:76] offset0:74 offset1:75
	ds_write2_b64 v0, v[69:70], v[71:72] offset0:76 offset1:77
	ds_write2_b64 v0, v[65:66], v[67:68] offset0:78 offset1:79
	ds_write2_b64 v0, v[61:62], v[63:64] offset0:80 offset1:81
	buffer_load_dword v57, off, s[24:27], 0 ; 4-byte Folded Reload
	buffer_load_dword v58, off, s[24:27], 0 offset:4 ; 4-byte Folded Reload
	buffer_load_dword v59, off, s[24:27], 0 offset:8 ; 4-byte Folded Reload
	;; [unrolled: 1-line block ×3, first 2 shown]
	s_waitcnt vmcnt(0)
	ds_write2_b64 v0, v[57:58], v[59:60] offset0:82 offset1:83
	ds_write2_b64 v0, v[53:54], v[55:56] offset0:84 offset1:85
	;; [unrolled: 1-line block ×16, first 2 shown]
.LBB112_501:
	s_or_b64 exec, exec, s[0:1]
	v_cmp_lt_i32_e32 vcc, 23, v96
	s_waitcnt vmcnt(0) lgkmcnt(0)
	s_barrier
	s_and_saveexec_b64 s[0:1], vcc
	s_cbranch_execz .LBB112_503
; %bb.502:
	buffer_load_dword v97, off, s[24:27], 0 offset:144 ; 4-byte Folded Reload
	buffer_load_dword v98, off, s[24:27], 0 offset:148 ; 4-byte Folded Reload
	buffer_load_dword v99, off, s[24:27], 0 offset:152 ; 4-byte Folded Reload
	buffer_load_dword v100, off, s[24:27], 0 offset:156 ; 4-byte Folded Reload
	s_waitcnt vmcnt(0)
	v_mul_f64 v[89:90], v[119:120], v[99:100]
	v_fma_f64 v[125:126], v[117:118], v[97:98], -v[89:90]
	v_mul_f64 v[89:90], v[117:118], v[99:100]
	v_fma_f64 v[99:100], v[119:120], v[97:98], v[89:90]
	ds_read2_b64 v[89:92], v0 offset0:48 offset1:49
	buffer_load_dword v57, off, s[24:27], 0 offset:128 ; 4-byte Folded Reload
	buffer_load_dword v58, off, s[24:27], 0 offset:132 ; 4-byte Folded Reload
	;; [unrolled: 1-line block ×4, first 2 shown]
	v_mov_b32_e32 v97, v125
	v_mov_b32_e32 v98, v126
	s_waitcnt lgkmcnt(0)
	v_mul_f64 v[93:94], v[91:92], v[99:100]
	v_fma_f64 v[93:94], v[89:90], v[125:126], -v[93:94]
	v_mul_f64 v[89:90], v[89:90], v[99:100]
	v_fma_f64 v[89:90], v[91:92], v[125:126], v[89:90]
	s_waitcnt vmcnt(2)
	v_add_f64 v[57:58], v[57:58], -v[93:94]
	s_waitcnt vmcnt(0)
	v_add_f64 v[59:60], v[59:60], -v[89:90]
	buffer_store_dword v57, off, s[24:27], 0 offset:128 ; 4-byte Folded Spill
	s_nop 0
	buffer_store_dword v58, off, s[24:27], 0 offset:132 ; 4-byte Folded Spill
	buffer_store_dword v59, off, s[24:27], 0 offset:136 ; 4-byte Folded Spill
	buffer_store_dword v60, off, s[24:27], 0 offset:140 ; 4-byte Folded Spill
	ds_read2_b64 v[89:92], v0 offset0:50 offset1:51
	buffer_load_dword v57, off, s[24:27], 0 offset:112 ; 4-byte Folded Reload
	buffer_load_dword v58, off, s[24:27], 0 offset:116 ; 4-byte Folded Reload
	buffer_load_dword v59, off, s[24:27], 0 offset:120 ; 4-byte Folded Reload
	buffer_load_dword v60, off, s[24:27], 0 offset:124 ; 4-byte Folded Reload
	s_waitcnt lgkmcnt(0)
	v_mul_f64 v[93:94], v[91:92], v[99:100]
	v_fma_f64 v[93:94], v[89:90], v[125:126], -v[93:94]
	v_mul_f64 v[89:90], v[89:90], v[99:100]
	v_fma_f64 v[89:90], v[91:92], v[125:126], v[89:90]
	s_waitcnt vmcnt(2)
	v_add_f64 v[57:58], v[57:58], -v[93:94]
	s_waitcnt vmcnt(0)
	v_add_f64 v[59:60], v[59:60], -v[89:90]
	buffer_store_dword v57, off, s[24:27], 0 offset:112 ; 4-byte Folded Spill
	s_nop 0
	buffer_store_dword v58, off, s[24:27], 0 offset:116 ; 4-byte Folded Spill
	buffer_store_dword v59, off, s[24:27], 0 offset:120 ; 4-byte Folded Spill
	buffer_store_dword v60, off, s[24:27], 0 offset:124 ; 4-byte Folded Spill
	ds_read2_b64 v[89:92], v0 offset0:52 offset1:53
	buffer_load_dword v57, off, s[24:27], 0 offset:96 ; 4-byte Folded Reload
	buffer_load_dword v58, off, s[24:27], 0 offset:100 ; 4-byte Folded Reload
	buffer_load_dword v59, off, s[24:27], 0 offset:104 ; 4-byte Folded Reload
	buffer_load_dword v60, off, s[24:27], 0 offset:108 ; 4-byte Folded Reload
	;; [unrolled: 19-line block ×7, first 2 shown]
	s_waitcnt lgkmcnt(0)
	v_mul_f64 v[93:94], v[91:92], v[99:100]
	v_fma_f64 v[93:94], v[89:90], v[125:126], -v[93:94]
	v_mul_f64 v[89:90], v[89:90], v[99:100]
	v_fma_f64 v[89:90], v[91:92], v[125:126], v[89:90]
	s_waitcnt vmcnt(2)
	v_add_f64 v[57:58], v[57:58], -v[93:94]
	s_waitcnt vmcnt(0)
	v_add_f64 v[59:60], v[59:60], -v[89:90]
	buffer_store_dword v57, off, s[24:27], 0 offset:16 ; 4-byte Folded Spill
	s_nop 0
	buffer_store_dword v58, off, s[24:27], 0 offset:20 ; 4-byte Folded Spill
	buffer_store_dword v59, off, s[24:27], 0 offset:24 ; 4-byte Folded Spill
	;; [unrolled: 1-line block ×3, first 2 shown]
	ds_read2_b64 v[89:92], v0 offset0:64 offset1:65
	s_waitcnt lgkmcnt(0)
	v_mul_f64 v[93:94], v[91:92], v[99:100]
	v_fma_f64 v[93:94], v[89:90], v[125:126], -v[93:94]
	v_mul_f64 v[89:90], v[89:90], v[99:100]
	v_add_f64 v[81:82], v[81:82], -v[93:94]
	v_fma_f64 v[89:90], v[91:92], v[125:126], v[89:90]
	v_add_f64 v[83:84], v[83:84], -v[89:90]
	ds_read2_b64 v[89:92], v0 offset0:66 offset1:67
	s_waitcnt lgkmcnt(0)
	v_mul_f64 v[93:94], v[91:92], v[99:100]
	v_fma_f64 v[93:94], v[89:90], v[125:126], -v[93:94]
	v_mul_f64 v[89:90], v[89:90], v[99:100]
	v_add_f64 v[85:86], v[85:86], -v[93:94]
	v_fma_f64 v[89:90], v[91:92], v[125:126], v[89:90]
	v_add_f64 v[87:88], v[87:88], -v[89:90]
	;; [unrolled: 8-line block ×9, first 2 shown]
	ds_read2_b64 v[89:92], v0 offset0:82 offset1:83
	buffer_load_dword v57, off, s[24:27], 0 ; 4-byte Folded Reload
	buffer_load_dword v58, off, s[24:27], 0 offset:4 ; 4-byte Folded Reload
	buffer_load_dword v59, off, s[24:27], 0 offset:8 ; 4-byte Folded Reload
	buffer_load_dword v60, off, s[24:27], 0 offset:12 ; 4-byte Folded Reload
	s_waitcnt lgkmcnt(0)
	v_mul_f64 v[93:94], v[91:92], v[99:100]
	v_fma_f64 v[93:94], v[89:90], v[125:126], -v[93:94]
	v_mul_f64 v[89:90], v[89:90], v[99:100]
	v_fma_f64 v[89:90], v[91:92], v[125:126], v[89:90]
	s_waitcnt vmcnt(2)
	v_add_f64 v[57:58], v[57:58], -v[93:94]
	s_waitcnt vmcnt(0)
	v_add_f64 v[59:60], v[59:60], -v[89:90]
	buffer_store_dword v57, off, s[24:27], 0 ; 4-byte Folded Spill
	s_nop 0
	buffer_store_dword v58, off, s[24:27], 0 offset:4 ; 4-byte Folded Spill
	buffer_store_dword v59, off, s[24:27], 0 offset:8 ; 4-byte Folded Spill
	;; [unrolled: 1-line block ×3, first 2 shown]
	ds_read2_b64 v[89:92], v0 offset0:84 offset1:85
	s_waitcnt lgkmcnt(0)
	v_mul_f64 v[93:94], v[91:92], v[99:100]
	v_fma_f64 v[93:94], v[89:90], v[125:126], -v[93:94]
	v_mul_f64 v[89:90], v[89:90], v[99:100]
	v_add_f64 v[53:54], v[53:54], -v[93:94]
	v_fma_f64 v[89:90], v[91:92], v[125:126], v[89:90]
	v_add_f64 v[55:56], v[55:56], -v[89:90]
	ds_read2_b64 v[89:92], v0 offset0:86 offset1:87
	s_waitcnt lgkmcnt(0)
	v_mul_f64 v[93:94], v[91:92], v[99:100]
	v_fma_f64 v[93:94], v[89:90], v[125:126], -v[93:94]
	v_mul_f64 v[89:90], v[89:90], v[99:100]
	v_add_f64 v[49:50], v[49:50], -v[93:94]
	v_fma_f64 v[89:90], v[91:92], v[125:126], v[89:90]
	v_add_f64 v[51:52], v[51:52], -v[89:90]
	;; [unrolled: 8-line block ×14, first 2 shown]
	ds_read2_b64 v[89:92], v0 offset0:112 offset1:113
	s_waitcnt lgkmcnt(0)
	v_mul_f64 v[93:94], v[91:92], v[99:100]
	v_fma_f64 v[93:94], v[89:90], v[125:126], -v[93:94]
	v_mul_f64 v[89:90], v[89:90], v[99:100]
	buffer_store_dword v97, off, s[24:27], 0 offset:144 ; 4-byte Folded Spill
	s_nop 0
	buffer_store_dword v98, off, s[24:27], 0 offset:148 ; 4-byte Folded Spill
	buffer_store_dword v99, off, s[24:27], 0 offset:152 ; 4-byte Folded Spill
	;; [unrolled: 1-line block ×3, first 2 shown]
	v_add_f64 v[121:122], v[121:122], -v[93:94]
	v_fma_f64 v[89:90], v[91:92], v[125:126], v[89:90]
	v_add_f64 v[123:124], v[123:124], -v[89:90]
.LBB112_503:
	s_or_b64 exec, exec, s[0:1]
	s_waitcnt vmcnt(0)
	s_barrier
	buffer_load_dword v57, off, s[24:27], 0 offset:128 ; 4-byte Folded Reload
	buffer_load_dword v58, off, s[24:27], 0 offset:132 ; 4-byte Folded Reload
	buffer_load_dword v59, off, s[24:27], 0 offset:136 ; 4-byte Folded Reload
	buffer_load_dword v60, off, s[24:27], 0 offset:140 ; 4-byte Folded Reload
	v_lshl_add_u32 v89, v96, 4, v0
	s_cmp_lt_i32 s3, 26
	s_waitcnt vmcnt(0)
	ds_write2_b64 v89, v[57:58], v[59:60] offset1:1
	s_waitcnt lgkmcnt(0)
	s_barrier
	ds_read2_b64 v[117:120], v0 offset0:48 offset1:49
	v_mov_b32_e32 v89, 24
	s_cbranch_scc1 .LBB112_506
; %bb.504:
	v_add_u32_e32 v90, 0x190, v0
	s_mov_b32 s0, 25
	v_mov_b32_e32 v89, 24
.LBB112_505:                            ; =>This Inner Loop Header: Depth=1
	s_waitcnt lgkmcnt(0)
	v_cmp_gt_f64_e32 vcc, 0, v[117:118]
	v_xor_b32_e32 v97, 0x80000000, v118
	ds_read2_b64 v[91:94], v90 offset1:1
	v_xor_b32_e32 v99, 0x80000000, v120
	v_add_u32_e32 v90, 16, v90
	s_waitcnt lgkmcnt(0)
	v_xor_b32_e32 v101, 0x80000000, v94
	v_cndmask_b32_e32 v98, v118, v97, vcc
	v_cmp_gt_f64_e32 vcc, 0, v[119:120]
	v_mov_b32_e32 v97, v117
	v_cndmask_b32_e32 v100, v120, v99, vcc
	v_cmp_gt_f64_e32 vcc, 0, v[91:92]
	v_mov_b32_e32 v99, v119
	v_add_f64 v[97:98], v[97:98], v[99:100]
	v_xor_b32_e32 v99, 0x80000000, v92
	v_cndmask_b32_e32 v100, v92, v99, vcc
	v_cmp_gt_f64_e32 vcc, 0, v[93:94]
	v_mov_b32_e32 v99, v91
	v_cndmask_b32_e32 v102, v94, v101, vcc
	v_mov_b32_e32 v101, v93
	v_add_f64 v[99:100], v[99:100], v[101:102]
	v_cmp_lt_f64_e32 vcc, v[97:98], v[99:100]
	v_cndmask_b32_e32 v117, v117, v91, vcc
	v_mov_b32_e32 v91, s0
	s_add_i32 s0, s0, 1
	v_cndmask_b32_e32 v118, v118, v92, vcc
	v_cndmask_b32_e32 v120, v120, v94, vcc
	;; [unrolled: 1-line block ×4, first 2 shown]
	s_cmp_lg_u32 s3, s0
	s_cbranch_scc1 .LBB112_505
.LBB112_506:
	s_waitcnt lgkmcnt(0)
	v_cmp_eq_f64_e32 vcc, 0, v[117:118]
	v_cmp_eq_f64_e64 s[0:1], 0, v[119:120]
	s_and_b64 s[0:1], vcc, s[0:1]
	s_and_saveexec_b64 s[18:19], s[0:1]
	s_xor_b64 s[0:1], exec, s[18:19]
; %bb.507:
	v_cmp_ne_u32_e32 vcc, 0, v95
	v_cndmask_b32_e32 v95, 25, v95, vcc
; %bb.508:
	s_andn2_saveexec_b64 s[0:1], s[0:1]
	s_cbranch_execz .LBB112_514
; %bb.509:
	v_cmp_ngt_f64_e64 s[18:19], |v[117:118]|, |v[119:120]|
	s_and_saveexec_b64 s[20:21], s[18:19]
	s_xor_b64 s[18:19], exec, s[20:21]
	s_cbranch_execz .LBB112_511
; %bb.510:
	v_div_scale_f64 v[90:91], s[20:21], v[119:120], v[119:120], v[117:118]
	v_rcp_f64_e32 v[92:93], v[90:91]
	v_fma_f64 v[97:98], -v[90:91], v[92:93], 1.0
	v_fma_f64 v[92:93], v[92:93], v[97:98], v[92:93]
	v_div_scale_f64 v[97:98], vcc, v[117:118], v[119:120], v[117:118]
	v_fma_f64 v[99:100], -v[90:91], v[92:93], 1.0
	v_fma_f64 v[92:93], v[92:93], v[99:100], v[92:93]
	v_mul_f64 v[99:100], v[97:98], v[92:93]
	v_fma_f64 v[90:91], -v[90:91], v[99:100], v[97:98]
	v_div_fmas_f64 v[90:91], v[90:91], v[92:93], v[99:100]
	v_div_fixup_f64 v[90:91], v[90:91], v[119:120], v[117:118]
	v_fma_f64 v[92:93], v[117:118], v[90:91], v[119:120]
	v_div_scale_f64 v[97:98], s[20:21], v[92:93], v[92:93], 1.0
	v_div_scale_f64 v[103:104], vcc, 1.0, v[92:93], 1.0
	v_rcp_f64_e32 v[99:100], v[97:98]
	v_fma_f64 v[101:102], -v[97:98], v[99:100], 1.0
	v_fma_f64 v[99:100], v[99:100], v[101:102], v[99:100]
	v_fma_f64 v[101:102], -v[97:98], v[99:100], 1.0
	v_fma_f64 v[99:100], v[99:100], v[101:102], v[99:100]
	v_mul_f64 v[101:102], v[103:104], v[99:100]
	v_fma_f64 v[97:98], -v[97:98], v[101:102], v[103:104]
	v_div_fmas_f64 v[97:98], v[97:98], v[99:100], v[101:102]
	v_div_fixup_f64 v[119:120], v[97:98], v[92:93], 1.0
	v_mul_f64 v[117:118], v[90:91], v[119:120]
	v_xor_b32_e32 v120, 0x80000000, v120
.LBB112_511:
	s_andn2_saveexec_b64 s[18:19], s[18:19]
	s_cbranch_execz .LBB112_513
; %bb.512:
	v_div_scale_f64 v[90:91], s[20:21], v[117:118], v[117:118], v[119:120]
	v_rcp_f64_e32 v[92:93], v[90:91]
	v_fma_f64 v[97:98], -v[90:91], v[92:93], 1.0
	v_fma_f64 v[92:93], v[92:93], v[97:98], v[92:93]
	v_div_scale_f64 v[97:98], vcc, v[119:120], v[117:118], v[119:120]
	v_fma_f64 v[99:100], -v[90:91], v[92:93], 1.0
	v_fma_f64 v[92:93], v[92:93], v[99:100], v[92:93]
	v_mul_f64 v[99:100], v[97:98], v[92:93]
	v_fma_f64 v[90:91], -v[90:91], v[99:100], v[97:98]
	v_div_fmas_f64 v[90:91], v[90:91], v[92:93], v[99:100]
	v_div_fixup_f64 v[90:91], v[90:91], v[117:118], v[119:120]
	v_fma_f64 v[92:93], v[119:120], v[90:91], v[117:118]
	v_div_scale_f64 v[97:98], s[20:21], v[92:93], v[92:93], 1.0
	v_div_scale_f64 v[103:104], vcc, 1.0, v[92:93], 1.0
	v_rcp_f64_e32 v[99:100], v[97:98]
	v_fma_f64 v[101:102], -v[97:98], v[99:100], 1.0
	v_fma_f64 v[99:100], v[99:100], v[101:102], v[99:100]
	v_fma_f64 v[101:102], -v[97:98], v[99:100], 1.0
	v_fma_f64 v[99:100], v[99:100], v[101:102], v[99:100]
	v_mul_f64 v[101:102], v[103:104], v[99:100]
	v_fma_f64 v[97:98], -v[97:98], v[101:102], v[103:104]
	v_div_fmas_f64 v[97:98], v[97:98], v[99:100], v[101:102]
	v_div_fixup_f64 v[117:118], v[97:98], v[92:93], 1.0
	v_mul_f64 v[119:120], v[90:91], -v[117:118]
.LBB112_513:
	s_or_b64 exec, exec, s[18:19]
.LBB112_514:
	s_or_b64 exec, exec, s[0:1]
	v_cmp_ne_u32_e32 vcc, v96, v89
	s_and_saveexec_b64 s[0:1], vcc
	s_xor_b64 s[0:1], exec, s[0:1]
	s_cbranch_execz .LBB112_520
; %bb.515:
	v_cmp_eq_u32_e32 vcc, 24, v96
	s_and_saveexec_b64 s[18:19], vcc
	s_cbranch_execz .LBB112_519
; %bb.516:
	v_cmp_ne_u32_e32 vcc, 24, v89
	s_xor_b64 s[20:21], s[6:7], -1
	s_and_b64 s[22:23], s[20:21], vcc
	s_and_saveexec_b64 s[20:21], s[22:23]
	s_cbranch_execz .LBB112_518
; %bb.517:
	v_mov_b32_e32 v57, v81
	v_mov_b32_e32 v58, v82
	;; [unrolled: 1-line block ×4, first 2 shown]
	buffer_load_dword v81, off, s[24:27], 0 offset:464 ; 4-byte Folded Reload
	buffer_load_dword v82, off, s[24:27], 0 offset:468 ; 4-byte Folded Reload
	v_ashrrev_i32_e32 v90, 31, v89
	v_lshlrev_b64 v[90:91], 2, v[89:90]
	s_waitcnt vmcnt(1)
	v_add_co_u32_e32 v90, vcc, v81, v90
	s_waitcnt vmcnt(0)
	v_addc_co_u32_e32 v91, vcc, v82, v91, vcc
	global_load_dword v92, v[90:91], off
	global_load_dword v93, v[81:82], off offset:96
	s_waitcnt vmcnt(1)
	global_store_dword v[81:82], v92, off offset:96
	v_mov_b32_e32 v84, v60
	v_mov_b32_e32 v83, v59
	;; [unrolled: 1-line block ×4, first 2 shown]
	s_waitcnt vmcnt(1)
	global_store_dword v[90:91], v93, off
.LBB112_518:
	s_or_b64 exec, exec, s[20:21]
	v_mov_b32_e32 v96, v89
	v_mov_b32_e32 v127, v89
.LBB112_519:
	s_or_b64 exec, exec, s[18:19]
.LBB112_520:
	s_andn2_saveexec_b64 s[0:1], s[0:1]
	s_cbranch_execz .LBB112_522
; %bb.521:
	buffer_load_dword v57, off, s[24:27], 0 offset:112 ; 4-byte Folded Reload
	buffer_load_dword v58, off, s[24:27], 0 offset:116 ; 4-byte Folded Reload
	;; [unrolled: 1-line block ×4, first 2 shown]
	v_mov_b32_e32 v96, 24
	s_waitcnt vmcnt(0)
	ds_write2_b64 v0, v[57:58], v[59:60] offset0:50 offset1:51
	buffer_load_dword v57, off, s[24:27], 0 offset:96 ; 4-byte Folded Reload
	buffer_load_dword v58, off, s[24:27], 0 offset:100 ; 4-byte Folded Reload
	buffer_load_dword v59, off, s[24:27], 0 offset:104 ; 4-byte Folded Reload
	buffer_load_dword v60, off, s[24:27], 0 offset:108 ; 4-byte Folded Reload
	s_waitcnt vmcnt(0)
	ds_write2_b64 v0, v[57:58], v[59:60] offset0:52 offset1:53
	buffer_load_dword v57, off, s[24:27], 0 offset:80 ; 4-byte Folded Reload
	buffer_load_dword v58, off, s[24:27], 0 offset:84 ; 4-byte Folded Reload
	buffer_load_dword v59, off, s[24:27], 0 offset:88 ; 4-byte Folded Reload
	buffer_load_dword v60, off, s[24:27], 0 offset:92 ; 4-byte Folded Reload
	;; [unrolled: 6-line block ×6, first 2 shown]
	s_waitcnt vmcnt(0)
	ds_write2_b64 v0, v[57:58], v[59:60] offset0:62 offset1:63
	ds_write2_b64 v0, v[81:82], v[83:84] offset0:64 offset1:65
	;; [unrolled: 1-line block ×10, first 2 shown]
	buffer_load_dword v57, off, s[24:27], 0 ; 4-byte Folded Reload
	buffer_load_dword v58, off, s[24:27], 0 offset:4 ; 4-byte Folded Reload
	buffer_load_dword v59, off, s[24:27], 0 offset:8 ; 4-byte Folded Reload
	;; [unrolled: 1-line block ×3, first 2 shown]
	s_waitcnt vmcnt(0)
	ds_write2_b64 v0, v[57:58], v[59:60] offset0:82 offset1:83
	ds_write2_b64 v0, v[53:54], v[55:56] offset0:84 offset1:85
	;; [unrolled: 1-line block ×16, first 2 shown]
.LBB112_522:
	s_or_b64 exec, exec, s[0:1]
	v_cmp_lt_i32_e32 vcc, 24, v96
	s_waitcnt vmcnt(0) lgkmcnt(0)
	s_barrier
	s_and_saveexec_b64 s[0:1], vcc
	s_cbranch_execz .LBB112_524
; %bb.523:
	buffer_load_dword v97, off, s[24:27], 0 offset:128 ; 4-byte Folded Reload
	buffer_load_dword v98, off, s[24:27], 0 offset:132 ; 4-byte Folded Reload
	;; [unrolled: 1-line block ×4, first 2 shown]
	s_waitcnt vmcnt(0)
	v_mul_f64 v[89:90], v[119:120], v[99:100]
	v_fma_f64 v[125:126], v[117:118], v[97:98], -v[89:90]
	v_mul_f64 v[89:90], v[117:118], v[99:100]
	v_fma_f64 v[99:100], v[119:120], v[97:98], v[89:90]
	ds_read2_b64 v[89:92], v0 offset0:50 offset1:51
	buffer_load_dword v57, off, s[24:27], 0 offset:112 ; 4-byte Folded Reload
	buffer_load_dword v58, off, s[24:27], 0 offset:116 ; 4-byte Folded Reload
	;; [unrolled: 1-line block ×4, first 2 shown]
	v_mov_b32_e32 v97, v125
	v_mov_b32_e32 v98, v126
	s_waitcnt lgkmcnt(0)
	v_mul_f64 v[93:94], v[91:92], v[99:100]
	v_fma_f64 v[93:94], v[89:90], v[125:126], -v[93:94]
	v_mul_f64 v[89:90], v[89:90], v[99:100]
	v_fma_f64 v[89:90], v[91:92], v[125:126], v[89:90]
	s_waitcnt vmcnt(2)
	v_add_f64 v[57:58], v[57:58], -v[93:94]
	s_waitcnt vmcnt(0)
	v_add_f64 v[59:60], v[59:60], -v[89:90]
	buffer_store_dword v57, off, s[24:27], 0 offset:112 ; 4-byte Folded Spill
	s_nop 0
	buffer_store_dword v58, off, s[24:27], 0 offset:116 ; 4-byte Folded Spill
	buffer_store_dword v59, off, s[24:27], 0 offset:120 ; 4-byte Folded Spill
	buffer_store_dword v60, off, s[24:27], 0 offset:124 ; 4-byte Folded Spill
	ds_read2_b64 v[89:92], v0 offset0:52 offset1:53
	buffer_load_dword v57, off, s[24:27], 0 offset:96 ; 4-byte Folded Reload
	buffer_load_dword v58, off, s[24:27], 0 offset:100 ; 4-byte Folded Reload
	buffer_load_dword v59, off, s[24:27], 0 offset:104 ; 4-byte Folded Reload
	buffer_load_dword v60, off, s[24:27], 0 offset:108 ; 4-byte Folded Reload
	s_waitcnt lgkmcnt(0)
	v_mul_f64 v[93:94], v[91:92], v[99:100]
	v_fma_f64 v[93:94], v[89:90], v[125:126], -v[93:94]
	v_mul_f64 v[89:90], v[89:90], v[99:100]
	v_fma_f64 v[89:90], v[91:92], v[125:126], v[89:90]
	s_waitcnt vmcnt(2)
	v_add_f64 v[57:58], v[57:58], -v[93:94]
	s_waitcnt vmcnt(0)
	v_add_f64 v[59:60], v[59:60], -v[89:90]
	buffer_store_dword v57, off, s[24:27], 0 offset:96 ; 4-byte Folded Spill
	s_nop 0
	buffer_store_dword v58, off, s[24:27], 0 offset:100 ; 4-byte Folded Spill
	buffer_store_dword v59, off, s[24:27], 0 offset:104 ; 4-byte Folded Spill
	buffer_store_dword v60, off, s[24:27], 0 offset:108 ; 4-byte Folded Spill
	ds_read2_b64 v[89:92], v0 offset0:54 offset1:55
	buffer_load_dword v57, off, s[24:27], 0 offset:80 ; 4-byte Folded Reload
	buffer_load_dword v58, off, s[24:27], 0 offset:84 ; 4-byte Folded Reload
	buffer_load_dword v59, off, s[24:27], 0 offset:88 ; 4-byte Folded Reload
	buffer_load_dword v60, off, s[24:27], 0 offset:92 ; 4-byte Folded Reload
	;; [unrolled: 19-line block ×6, first 2 shown]
	s_waitcnt lgkmcnt(0)
	v_mul_f64 v[93:94], v[91:92], v[99:100]
	v_fma_f64 v[93:94], v[89:90], v[125:126], -v[93:94]
	v_mul_f64 v[89:90], v[89:90], v[99:100]
	v_fma_f64 v[89:90], v[91:92], v[125:126], v[89:90]
	s_waitcnt vmcnt(2)
	v_add_f64 v[57:58], v[57:58], -v[93:94]
	s_waitcnt vmcnt(0)
	v_add_f64 v[59:60], v[59:60], -v[89:90]
	buffer_store_dword v57, off, s[24:27], 0 offset:16 ; 4-byte Folded Spill
	s_nop 0
	buffer_store_dword v58, off, s[24:27], 0 offset:20 ; 4-byte Folded Spill
	buffer_store_dword v59, off, s[24:27], 0 offset:24 ; 4-byte Folded Spill
	;; [unrolled: 1-line block ×3, first 2 shown]
	ds_read2_b64 v[89:92], v0 offset0:64 offset1:65
	s_waitcnt lgkmcnt(0)
	v_mul_f64 v[93:94], v[91:92], v[99:100]
	v_fma_f64 v[93:94], v[89:90], v[125:126], -v[93:94]
	v_mul_f64 v[89:90], v[89:90], v[99:100]
	v_add_f64 v[81:82], v[81:82], -v[93:94]
	v_fma_f64 v[89:90], v[91:92], v[125:126], v[89:90]
	v_add_f64 v[83:84], v[83:84], -v[89:90]
	ds_read2_b64 v[89:92], v0 offset0:66 offset1:67
	s_waitcnt lgkmcnt(0)
	v_mul_f64 v[93:94], v[91:92], v[99:100]
	v_fma_f64 v[93:94], v[89:90], v[125:126], -v[93:94]
	v_mul_f64 v[89:90], v[89:90], v[99:100]
	v_add_f64 v[85:86], v[85:86], -v[93:94]
	v_fma_f64 v[89:90], v[91:92], v[125:126], v[89:90]
	v_add_f64 v[87:88], v[87:88], -v[89:90]
	;; [unrolled: 8-line block ×9, first 2 shown]
	ds_read2_b64 v[89:92], v0 offset0:82 offset1:83
	buffer_load_dword v57, off, s[24:27], 0 ; 4-byte Folded Reload
	buffer_load_dword v58, off, s[24:27], 0 offset:4 ; 4-byte Folded Reload
	buffer_load_dword v59, off, s[24:27], 0 offset:8 ; 4-byte Folded Reload
	;; [unrolled: 1-line block ×3, first 2 shown]
	s_waitcnt lgkmcnt(0)
	v_mul_f64 v[93:94], v[91:92], v[99:100]
	v_fma_f64 v[93:94], v[89:90], v[125:126], -v[93:94]
	v_mul_f64 v[89:90], v[89:90], v[99:100]
	v_fma_f64 v[89:90], v[91:92], v[125:126], v[89:90]
	s_waitcnt vmcnt(2)
	v_add_f64 v[57:58], v[57:58], -v[93:94]
	s_waitcnt vmcnt(0)
	v_add_f64 v[59:60], v[59:60], -v[89:90]
	buffer_store_dword v57, off, s[24:27], 0 ; 4-byte Folded Spill
	s_nop 0
	buffer_store_dword v58, off, s[24:27], 0 offset:4 ; 4-byte Folded Spill
	buffer_store_dword v59, off, s[24:27], 0 offset:8 ; 4-byte Folded Spill
	;; [unrolled: 1-line block ×3, first 2 shown]
	ds_read2_b64 v[89:92], v0 offset0:84 offset1:85
	s_waitcnt lgkmcnt(0)
	v_mul_f64 v[93:94], v[91:92], v[99:100]
	v_fma_f64 v[93:94], v[89:90], v[125:126], -v[93:94]
	v_mul_f64 v[89:90], v[89:90], v[99:100]
	v_add_f64 v[53:54], v[53:54], -v[93:94]
	v_fma_f64 v[89:90], v[91:92], v[125:126], v[89:90]
	v_add_f64 v[55:56], v[55:56], -v[89:90]
	ds_read2_b64 v[89:92], v0 offset0:86 offset1:87
	s_waitcnt lgkmcnt(0)
	v_mul_f64 v[93:94], v[91:92], v[99:100]
	v_fma_f64 v[93:94], v[89:90], v[125:126], -v[93:94]
	v_mul_f64 v[89:90], v[89:90], v[99:100]
	v_add_f64 v[49:50], v[49:50], -v[93:94]
	v_fma_f64 v[89:90], v[91:92], v[125:126], v[89:90]
	v_add_f64 v[51:52], v[51:52], -v[89:90]
	;; [unrolled: 8-line block ×14, first 2 shown]
	ds_read2_b64 v[89:92], v0 offset0:112 offset1:113
	s_waitcnt lgkmcnt(0)
	v_mul_f64 v[93:94], v[91:92], v[99:100]
	v_fma_f64 v[93:94], v[89:90], v[125:126], -v[93:94]
	v_mul_f64 v[89:90], v[89:90], v[99:100]
	buffer_store_dword v97, off, s[24:27], 0 offset:128 ; 4-byte Folded Spill
	s_nop 0
	buffer_store_dword v98, off, s[24:27], 0 offset:132 ; 4-byte Folded Spill
	buffer_store_dword v99, off, s[24:27], 0 offset:136 ; 4-byte Folded Spill
	;; [unrolled: 1-line block ×3, first 2 shown]
	v_add_f64 v[121:122], v[121:122], -v[93:94]
	v_fma_f64 v[89:90], v[91:92], v[125:126], v[89:90]
	v_add_f64 v[123:124], v[123:124], -v[89:90]
.LBB112_524:
	s_or_b64 exec, exec, s[0:1]
	s_waitcnt vmcnt(0)
	s_barrier
	buffer_load_dword v57, off, s[24:27], 0 offset:112 ; 4-byte Folded Reload
	buffer_load_dword v58, off, s[24:27], 0 offset:116 ; 4-byte Folded Reload
	;; [unrolled: 1-line block ×4, first 2 shown]
	v_lshl_add_u32 v89, v96, 4, v0
	s_cmp_lt_i32 s3, 27
	s_waitcnt vmcnt(0)
	ds_write2_b64 v89, v[57:58], v[59:60] offset1:1
	s_waitcnt lgkmcnt(0)
	s_barrier
	ds_read2_b64 v[117:120], v0 offset0:50 offset1:51
	v_mov_b32_e32 v89, 25
	s_cbranch_scc1 .LBB112_527
; %bb.525:
	v_add_u32_e32 v90, 0x1a0, v0
	s_mov_b32 s0, 26
	v_mov_b32_e32 v89, 25
.LBB112_526:                            ; =>This Inner Loop Header: Depth=1
	s_waitcnt lgkmcnt(0)
	v_cmp_gt_f64_e32 vcc, 0, v[117:118]
	v_xor_b32_e32 v97, 0x80000000, v118
	ds_read2_b64 v[91:94], v90 offset1:1
	v_xor_b32_e32 v99, 0x80000000, v120
	v_add_u32_e32 v90, 16, v90
	s_waitcnt lgkmcnt(0)
	v_xor_b32_e32 v101, 0x80000000, v94
	v_cndmask_b32_e32 v98, v118, v97, vcc
	v_cmp_gt_f64_e32 vcc, 0, v[119:120]
	v_mov_b32_e32 v97, v117
	v_cndmask_b32_e32 v100, v120, v99, vcc
	v_cmp_gt_f64_e32 vcc, 0, v[91:92]
	v_mov_b32_e32 v99, v119
	v_add_f64 v[97:98], v[97:98], v[99:100]
	v_xor_b32_e32 v99, 0x80000000, v92
	v_cndmask_b32_e32 v100, v92, v99, vcc
	v_cmp_gt_f64_e32 vcc, 0, v[93:94]
	v_mov_b32_e32 v99, v91
	v_cndmask_b32_e32 v102, v94, v101, vcc
	v_mov_b32_e32 v101, v93
	v_add_f64 v[99:100], v[99:100], v[101:102]
	v_cmp_lt_f64_e32 vcc, v[97:98], v[99:100]
	v_cndmask_b32_e32 v117, v117, v91, vcc
	v_mov_b32_e32 v91, s0
	s_add_i32 s0, s0, 1
	v_cndmask_b32_e32 v118, v118, v92, vcc
	v_cndmask_b32_e32 v120, v120, v94, vcc
	;; [unrolled: 1-line block ×4, first 2 shown]
	s_cmp_lg_u32 s3, s0
	s_cbranch_scc1 .LBB112_526
.LBB112_527:
	s_waitcnt lgkmcnt(0)
	v_cmp_eq_f64_e32 vcc, 0, v[117:118]
	v_cmp_eq_f64_e64 s[0:1], 0, v[119:120]
	s_and_b64 s[0:1], vcc, s[0:1]
	s_and_saveexec_b64 s[18:19], s[0:1]
	s_xor_b64 s[0:1], exec, s[18:19]
; %bb.528:
	v_cmp_ne_u32_e32 vcc, 0, v95
	v_cndmask_b32_e32 v95, 26, v95, vcc
; %bb.529:
	s_andn2_saveexec_b64 s[0:1], s[0:1]
	s_cbranch_execz .LBB112_535
; %bb.530:
	v_cmp_ngt_f64_e64 s[18:19], |v[117:118]|, |v[119:120]|
	s_and_saveexec_b64 s[20:21], s[18:19]
	s_xor_b64 s[18:19], exec, s[20:21]
	s_cbranch_execz .LBB112_532
; %bb.531:
	v_div_scale_f64 v[90:91], s[20:21], v[119:120], v[119:120], v[117:118]
	v_rcp_f64_e32 v[92:93], v[90:91]
	v_fma_f64 v[97:98], -v[90:91], v[92:93], 1.0
	v_fma_f64 v[92:93], v[92:93], v[97:98], v[92:93]
	v_div_scale_f64 v[97:98], vcc, v[117:118], v[119:120], v[117:118]
	v_fma_f64 v[99:100], -v[90:91], v[92:93], 1.0
	v_fma_f64 v[92:93], v[92:93], v[99:100], v[92:93]
	v_mul_f64 v[99:100], v[97:98], v[92:93]
	v_fma_f64 v[90:91], -v[90:91], v[99:100], v[97:98]
	v_div_fmas_f64 v[90:91], v[90:91], v[92:93], v[99:100]
	v_div_fixup_f64 v[90:91], v[90:91], v[119:120], v[117:118]
	v_fma_f64 v[92:93], v[117:118], v[90:91], v[119:120]
	v_div_scale_f64 v[97:98], s[20:21], v[92:93], v[92:93], 1.0
	v_div_scale_f64 v[103:104], vcc, 1.0, v[92:93], 1.0
	v_rcp_f64_e32 v[99:100], v[97:98]
	v_fma_f64 v[101:102], -v[97:98], v[99:100], 1.0
	v_fma_f64 v[99:100], v[99:100], v[101:102], v[99:100]
	v_fma_f64 v[101:102], -v[97:98], v[99:100], 1.0
	v_fma_f64 v[99:100], v[99:100], v[101:102], v[99:100]
	v_mul_f64 v[101:102], v[103:104], v[99:100]
	v_fma_f64 v[97:98], -v[97:98], v[101:102], v[103:104]
	v_div_fmas_f64 v[97:98], v[97:98], v[99:100], v[101:102]
	v_div_fixup_f64 v[119:120], v[97:98], v[92:93], 1.0
	v_mul_f64 v[117:118], v[90:91], v[119:120]
	v_xor_b32_e32 v120, 0x80000000, v120
.LBB112_532:
	s_andn2_saveexec_b64 s[18:19], s[18:19]
	s_cbranch_execz .LBB112_534
; %bb.533:
	v_div_scale_f64 v[90:91], s[20:21], v[117:118], v[117:118], v[119:120]
	v_rcp_f64_e32 v[92:93], v[90:91]
	v_fma_f64 v[97:98], -v[90:91], v[92:93], 1.0
	v_fma_f64 v[92:93], v[92:93], v[97:98], v[92:93]
	v_div_scale_f64 v[97:98], vcc, v[119:120], v[117:118], v[119:120]
	v_fma_f64 v[99:100], -v[90:91], v[92:93], 1.0
	v_fma_f64 v[92:93], v[92:93], v[99:100], v[92:93]
	v_mul_f64 v[99:100], v[97:98], v[92:93]
	v_fma_f64 v[90:91], -v[90:91], v[99:100], v[97:98]
	v_div_fmas_f64 v[90:91], v[90:91], v[92:93], v[99:100]
	v_div_fixup_f64 v[90:91], v[90:91], v[117:118], v[119:120]
	v_fma_f64 v[92:93], v[119:120], v[90:91], v[117:118]
	v_div_scale_f64 v[97:98], s[20:21], v[92:93], v[92:93], 1.0
	v_div_scale_f64 v[103:104], vcc, 1.0, v[92:93], 1.0
	v_rcp_f64_e32 v[99:100], v[97:98]
	v_fma_f64 v[101:102], -v[97:98], v[99:100], 1.0
	v_fma_f64 v[99:100], v[99:100], v[101:102], v[99:100]
	v_fma_f64 v[101:102], -v[97:98], v[99:100], 1.0
	v_fma_f64 v[99:100], v[99:100], v[101:102], v[99:100]
	v_mul_f64 v[101:102], v[103:104], v[99:100]
	v_fma_f64 v[97:98], -v[97:98], v[101:102], v[103:104]
	v_div_fmas_f64 v[97:98], v[97:98], v[99:100], v[101:102]
	v_div_fixup_f64 v[117:118], v[97:98], v[92:93], 1.0
	v_mul_f64 v[119:120], v[90:91], -v[117:118]
.LBB112_534:
	s_or_b64 exec, exec, s[18:19]
.LBB112_535:
	s_or_b64 exec, exec, s[0:1]
	v_cmp_ne_u32_e32 vcc, v96, v89
	s_and_saveexec_b64 s[0:1], vcc
	s_xor_b64 s[0:1], exec, s[0:1]
	s_cbranch_execz .LBB112_541
; %bb.536:
	v_cmp_eq_u32_e32 vcc, 25, v96
	s_and_saveexec_b64 s[18:19], vcc
	s_cbranch_execz .LBB112_540
; %bb.537:
	v_cmp_ne_u32_e32 vcc, 25, v89
	s_xor_b64 s[20:21], s[6:7], -1
	s_and_b64 s[22:23], s[20:21], vcc
	s_and_saveexec_b64 s[20:21], s[22:23]
	s_cbranch_execz .LBB112_539
; %bb.538:
	v_mov_b32_e32 v57, v81
	v_mov_b32_e32 v58, v82
	v_mov_b32_e32 v59, v83
	v_mov_b32_e32 v60, v84
	buffer_load_dword v81, off, s[24:27], 0 offset:464 ; 4-byte Folded Reload
	buffer_load_dword v82, off, s[24:27], 0 offset:468 ; 4-byte Folded Reload
	v_ashrrev_i32_e32 v90, 31, v89
	v_lshlrev_b64 v[90:91], 2, v[89:90]
	s_waitcnt vmcnt(1)
	v_add_co_u32_e32 v90, vcc, v81, v90
	s_waitcnt vmcnt(0)
	v_addc_co_u32_e32 v91, vcc, v82, v91, vcc
	global_load_dword v92, v[90:91], off
	global_load_dword v93, v[81:82], off offset:100
	s_waitcnt vmcnt(1)
	global_store_dword v[81:82], v92, off offset:100
	v_mov_b32_e32 v84, v60
	v_mov_b32_e32 v83, v59
	;; [unrolled: 1-line block ×4, first 2 shown]
	s_waitcnt vmcnt(1)
	global_store_dword v[90:91], v93, off
.LBB112_539:
	s_or_b64 exec, exec, s[20:21]
	v_mov_b32_e32 v96, v89
	v_mov_b32_e32 v127, v89
.LBB112_540:
	s_or_b64 exec, exec, s[18:19]
.LBB112_541:
	s_andn2_saveexec_b64 s[0:1], s[0:1]
	s_cbranch_execz .LBB112_543
; %bb.542:
	buffer_load_dword v57, off, s[24:27], 0 offset:96 ; 4-byte Folded Reload
	buffer_load_dword v58, off, s[24:27], 0 offset:100 ; 4-byte Folded Reload
	;; [unrolled: 1-line block ×4, first 2 shown]
	v_mov_b32_e32 v96, 25
	s_waitcnt vmcnt(0)
	ds_write2_b64 v0, v[57:58], v[59:60] offset0:52 offset1:53
	buffer_load_dword v57, off, s[24:27], 0 offset:80 ; 4-byte Folded Reload
	buffer_load_dword v58, off, s[24:27], 0 offset:84 ; 4-byte Folded Reload
	buffer_load_dword v59, off, s[24:27], 0 offset:88 ; 4-byte Folded Reload
	buffer_load_dword v60, off, s[24:27], 0 offset:92 ; 4-byte Folded Reload
	s_waitcnt vmcnt(0)
	ds_write2_b64 v0, v[57:58], v[59:60] offset0:54 offset1:55
	buffer_load_dword v57, off, s[24:27], 0 offset:64 ; 4-byte Folded Reload
	buffer_load_dword v58, off, s[24:27], 0 offset:68 ; 4-byte Folded Reload
	buffer_load_dword v59, off, s[24:27], 0 offset:72 ; 4-byte Folded Reload
	buffer_load_dword v60, off, s[24:27], 0 offset:76 ; 4-byte Folded Reload
	;; [unrolled: 6-line block ×5, first 2 shown]
	s_waitcnt vmcnt(0)
	ds_write2_b64 v0, v[57:58], v[59:60] offset0:62 offset1:63
	ds_write2_b64 v0, v[81:82], v[83:84] offset0:64 offset1:65
	;; [unrolled: 1-line block ×10, first 2 shown]
	buffer_load_dword v57, off, s[24:27], 0 ; 4-byte Folded Reload
	buffer_load_dword v58, off, s[24:27], 0 offset:4 ; 4-byte Folded Reload
	buffer_load_dword v59, off, s[24:27], 0 offset:8 ; 4-byte Folded Reload
	;; [unrolled: 1-line block ×3, first 2 shown]
	s_waitcnt vmcnt(0)
	ds_write2_b64 v0, v[57:58], v[59:60] offset0:82 offset1:83
	ds_write2_b64 v0, v[53:54], v[55:56] offset0:84 offset1:85
	;; [unrolled: 1-line block ×16, first 2 shown]
.LBB112_543:
	s_or_b64 exec, exec, s[0:1]
	v_cmp_lt_i32_e32 vcc, 25, v96
	s_waitcnt vmcnt(0) lgkmcnt(0)
	s_barrier
	s_and_saveexec_b64 s[0:1], vcc
	s_cbranch_execz .LBB112_545
; %bb.544:
	buffer_load_dword v97, off, s[24:27], 0 offset:112 ; 4-byte Folded Reload
	buffer_load_dword v98, off, s[24:27], 0 offset:116 ; 4-byte Folded Reload
	;; [unrolled: 1-line block ×4, first 2 shown]
	s_waitcnt vmcnt(0)
	v_mul_f64 v[89:90], v[119:120], v[99:100]
	v_fma_f64 v[105:106], v[117:118], v[97:98], -v[89:90]
	v_mul_f64 v[89:90], v[117:118], v[99:100]
	v_fma_f64 v[99:100], v[119:120], v[97:98], v[89:90]
	ds_read2_b64 v[89:92], v0 offset0:52 offset1:53
	buffer_load_dword v57, off, s[24:27], 0 offset:96 ; 4-byte Folded Reload
	buffer_load_dword v58, off, s[24:27], 0 offset:100 ; 4-byte Folded Reload
	;; [unrolled: 1-line block ×4, first 2 shown]
	v_mov_b32_e32 v97, v105
	v_mov_b32_e32 v98, v106
	s_waitcnt lgkmcnt(0)
	v_mul_f64 v[93:94], v[91:92], v[99:100]
	v_fma_f64 v[93:94], v[89:90], v[105:106], -v[93:94]
	v_mul_f64 v[89:90], v[89:90], v[99:100]
	v_fma_f64 v[89:90], v[91:92], v[105:106], v[89:90]
	s_waitcnt vmcnt(2)
	v_add_f64 v[57:58], v[57:58], -v[93:94]
	s_waitcnt vmcnt(0)
	v_add_f64 v[59:60], v[59:60], -v[89:90]
	buffer_store_dword v57, off, s[24:27], 0 offset:96 ; 4-byte Folded Spill
	s_nop 0
	buffer_store_dword v58, off, s[24:27], 0 offset:100 ; 4-byte Folded Spill
	buffer_store_dword v59, off, s[24:27], 0 offset:104 ; 4-byte Folded Spill
	buffer_store_dword v60, off, s[24:27], 0 offset:108 ; 4-byte Folded Spill
	ds_read2_b64 v[89:92], v0 offset0:54 offset1:55
	buffer_load_dword v57, off, s[24:27], 0 offset:80 ; 4-byte Folded Reload
	buffer_load_dword v58, off, s[24:27], 0 offset:84 ; 4-byte Folded Reload
	buffer_load_dword v59, off, s[24:27], 0 offset:88 ; 4-byte Folded Reload
	buffer_load_dword v60, off, s[24:27], 0 offset:92 ; 4-byte Folded Reload
	s_waitcnt lgkmcnt(0)
	v_mul_f64 v[93:94], v[91:92], v[99:100]
	v_fma_f64 v[93:94], v[89:90], v[105:106], -v[93:94]
	v_mul_f64 v[89:90], v[89:90], v[99:100]
	v_fma_f64 v[89:90], v[91:92], v[105:106], v[89:90]
	s_waitcnt vmcnt(2)
	v_add_f64 v[57:58], v[57:58], -v[93:94]
	s_waitcnt vmcnt(0)
	v_add_f64 v[59:60], v[59:60], -v[89:90]
	buffer_store_dword v57, off, s[24:27], 0 offset:80 ; 4-byte Folded Spill
	s_nop 0
	buffer_store_dword v58, off, s[24:27], 0 offset:84 ; 4-byte Folded Spill
	buffer_store_dword v59, off, s[24:27], 0 offset:88 ; 4-byte Folded Spill
	buffer_store_dword v60, off, s[24:27], 0 offset:92 ; 4-byte Folded Spill
	ds_read2_b64 v[89:92], v0 offset0:56 offset1:57
	buffer_load_dword v57, off, s[24:27], 0 offset:64 ; 4-byte Folded Reload
	buffer_load_dword v58, off, s[24:27], 0 offset:68 ; 4-byte Folded Reload
	buffer_load_dword v59, off, s[24:27], 0 offset:72 ; 4-byte Folded Reload
	buffer_load_dword v60, off, s[24:27], 0 offset:76 ; 4-byte Folded Reload
	;; [unrolled: 19-line block ×5, first 2 shown]
	s_waitcnt lgkmcnt(0)
	v_mul_f64 v[93:94], v[91:92], v[99:100]
	v_fma_f64 v[93:94], v[89:90], v[105:106], -v[93:94]
	v_mul_f64 v[89:90], v[89:90], v[99:100]
	v_fma_f64 v[89:90], v[91:92], v[105:106], v[89:90]
	s_waitcnt vmcnt(2)
	v_add_f64 v[57:58], v[57:58], -v[93:94]
	s_waitcnt vmcnt(0)
	v_add_f64 v[59:60], v[59:60], -v[89:90]
	buffer_store_dword v57, off, s[24:27], 0 offset:16 ; 4-byte Folded Spill
	s_nop 0
	buffer_store_dword v58, off, s[24:27], 0 offset:20 ; 4-byte Folded Spill
	buffer_store_dword v59, off, s[24:27], 0 offset:24 ; 4-byte Folded Spill
	;; [unrolled: 1-line block ×3, first 2 shown]
	ds_read2_b64 v[89:92], v0 offset0:64 offset1:65
	s_waitcnt lgkmcnt(0)
	v_mul_f64 v[93:94], v[91:92], v[99:100]
	v_fma_f64 v[93:94], v[89:90], v[105:106], -v[93:94]
	v_mul_f64 v[89:90], v[89:90], v[99:100]
	v_add_f64 v[81:82], v[81:82], -v[93:94]
	v_fma_f64 v[89:90], v[91:92], v[105:106], v[89:90]
	v_add_f64 v[83:84], v[83:84], -v[89:90]
	ds_read2_b64 v[89:92], v0 offset0:66 offset1:67
	s_waitcnt lgkmcnt(0)
	v_mul_f64 v[93:94], v[91:92], v[99:100]
	v_fma_f64 v[93:94], v[89:90], v[105:106], -v[93:94]
	v_mul_f64 v[89:90], v[89:90], v[99:100]
	v_add_f64 v[85:86], v[85:86], -v[93:94]
	v_fma_f64 v[89:90], v[91:92], v[105:106], v[89:90]
	v_add_f64 v[87:88], v[87:88], -v[89:90]
	;; [unrolled: 8-line block ×9, first 2 shown]
	ds_read2_b64 v[89:92], v0 offset0:82 offset1:83
	buffer_load_dword v57, off, s[24:27], 0 ; 4-byte Folded Reload
	buffer_load_dword v58, off, s[24:27], 0 offset:4 ; 4-byte Folded Reload
	buffer_load_dword v59, off, s[24:27], 0 offset:8 ; 4-byte Folded Reload
	;; [unrolled: 1-line block ×3, first 2 shown]
	s_waitcnt lgkmcnt(0)
	v_mul_f64 v[93:94], v[91:92], v[99:100]
	v_fma_f64 v[93:94], v[89:90], v[105:106], -v[93:94]
	v_mul_f64 v[89:90], v[89:90], v[99:100]
	v_fma_f64 v[89:90], v[91:92], v[105:106], v[89:90]
	s_waitcnt vmcnt(2)
	v_add_f64 v[57:58], v[57:58], -v[93:94]
	s_waitcnt vmcnt(0)
	v_add_f64 v[59:60], v[59:60], -v[89:90]
	buffer_store_dword v57, off, s[24:27], 0 ; 4-byte Folded Spill
	s_nop 0
	buffer_store_dword v58, off, s[24:27], 0 offset:4 ; 4-byte Folded Spill
	buffer_store_dword v59, off, s[24:27], 0 offset:8 ; 4-byte Folded Spill
	;; [unrolled: 1-line block ×3, first 2 shown]
	ds_read2_b64 v[89:92], v0 offset0:84 offset1:85
	s_waitcnt lgkmcnt(0)
	v_mul_f64 v[93:94], v[91:92], v[99:100]
	v_fma_f64 v[93:94], v[89:90], v[105:106], -v[93:94]
	v_mul_f64 v[89:90], v[89:90], v[99:100]
	v_add_f64 v[53:54], v[53:54], -v[93:94]
	v_fma_f64 v[89:90], v[91:92], v[105:106], v[89:90]
	v_add_f64 v[55:56], v[55:56], -v[89:90]
	ds_read2_b64 v[89:92], v0 offset0:86 offset1:87
	s_waitcnt lgkmcnt(0)
	v_mul_f64 v[93:94], v[91:92], v[99:100]
	v_fma_f64 v[93:94], v[89:90], v[105:106], -v[93:94]
	v_mul_f64 v[89:90], v[89:90], v[99:100]
	v_add_f64 v[49:50], v[49:50], -v[93:94]
	v_fma_f64 v[89:90], v[91:92], v[105:106], v[89:90]
	v_add_f64 v[51:52], v[51:52], -v[89:90]
	;; [unrolled: 8-line block ×14, first 2 shown]
	ds_read2_b64 v[89:92], v0 offset0:112 offset1:113
	s_waitcnt lgkmcnt(0)
	v_mul_f64 v[93:94], v[91:92], v[99:100]
	v_fma_f64 v[93:94], v[89:90], v[105:106], -v[93:94]
	v_mul_f64 v[89:90], v[89:90], v[99:100]
	buffer_store_dword v97, off, s[24:27], 0 offset:112 ; 4-byte Folded Spill
	s_nop 0
	buffer_store_dword v98, off, s[24:27], 0 offset:116 ; 4-byte Folded Spill
	buffer_store_dword v99, off, s[24:27], 0 offset:120 ; 4-byte Folded Spill
	;; [unrolled: 1-line block ×3, first 2 shown]
	v_add_f64 v[121:122], v[121:122], -v[93:94]
	v_fma_f64 v[89:90], v[91:92], v[105:106], v[89:90]
	v_add_f64 v[123:124], v[123:124], -v[89:90]
.LBB112_545:
	s_or_b64 exec, exec, s[0:1]
	s_waitcnt vmcnt(0)
	s_barrier
	buffer_load_dword v57, off, s[24:27], 0 offset:96 ; 4-byte Folded Reload
	buffer_load_dword v58, off, s[24:27], 0 offset:100 ; 4-byte Folded Reload
	;; [unrolled: 1-line block ×4, first 2 shown]
	v_lshl_add_u32 v89, v96, 4, v0
	s_cmp_lt_i32 s3, 28
	s_waitcnt vmcnt(0)
	ds_write2_b64 v89, v[57:58], v[59:60] offset1:1
	s_waitcnt lgkmcnt(0)
	s_barrier
	ds_read2_b64 v[117:120], v0 offset0:52 offset1:53
	v_mov_b32_e32 v89, 26
	s_cbranch_scc1 .LBB112_548
; %bb.546:
	v_add_u32_e32 v90, 0x1b0, v0
	s_mov_b32 s0, 27
	v_mov_b32_e32 v89, 26
.LBB112_547:                            ; =>This Inner Loop Header: Depth=1
	s_waitcnt lgkmcnt(0)
	v_cmp_gt_f64_e32 vcc, 0, v[117:118]
	v_xor_b32_e32 v97, 0x80000000, v118
	ds_read2_b64 v[91:94], v90 offset1:1
	v_xor_b32_e32 v99, 0x80000000, v120
	v_add_u32_e32 v90, 16, v90
	s_waitcnt lgkmcnt(0)
	v_xor_b32_e32 v101, 0x80000000, v94
	v_cndmask_b32_e32 v98, v118, v97, vcc
	v_cmp_gt_f64_e32 vcc, 0, v[119:120]
	v_mov_b32_e32 v97, v117
	v_cndmask_b32_e32 v100, v120, v99, vcc
	v_cmp_gt_f64_e32 vcc, 0, v[91:92]
	v_mov_b32_e32 v99, v119
	v_add_f64 v[97:98], v[97:98], v[99:100]
	v_xor_b32_e32 v99, 0x80000000, v92
	v_cndmask_b32_e32 v100, v92, v99, vcc
	v_cmp_gt_f64_e32 vcc, 0, v[93:94]
	v_mov_b32_e32 v99, v91
	v_cndmask_b32_e32 v102, v94, v101, vcc
	v_mov_b32_e32 v101, v93
	v_add_f64 v[99:100], v[99:100], v[101:102]
	v_cmp_lt_f64_e32 vcc, v[97:98], v[99:100]
	v_cndmask_b32_e32 v117, v117, v91, vcc
	v_mov_b32_e32 v91, s0
	s_add_i32 s0, s0, 1
	v_cndmask_b32_e32 v118, v118, v92, vcc
	v_cndmask_b32_e32 v120, v120, v94, vcc
	;; [unrolled: 1-line block ×4, first 2 shown]
	s_cmp_lg_u32 s3, s0
	s_cbranch_scc1 .LBB112_547
.LBB112_548:
	s_waitcnt lgkmcnt(0)
	v_cmp_eq_f64_e32 vcc, 0, v[117:118]
	v_cmp_eq_f64_e64 s[0:1], 0, v[119:120]
	s_and_b64 s[0:1], vcc, s[0:1]
	s_and_saveexec_b64 s[18:19], s[0:1]
	s_xor_b64 s[0:1], exec, s[18:19]
; %bb.549:
	v_cmp_ne_u32_e32 vcc, 0, v95
	v_cndmask_b32_e32 v95, 27, v95, vcc
; %bb.550:
	s_andn2_saveexec_b64 s[0:1], s[0:1]
	s_cbranch_execz .LBB112_556
; %bb.551:
	v_cmp_ngt_f64_e64 s[18:19], |v[117:118]|, |v[119:120]|
	s_and_saveexec_b64 s[20:21], s[18:19]
	s_xor_b64 s[18:19], exec, s[20:21]
	s_cbranch_execz .LBB112_553
; %bb.552:
	v_div_scale_f64 v[90:91], s[20:21], v[119:120], v[119:120], v[117:118]
	v_rcp_f64_e32 v[92:93], v[90:91]
	v_fma_f64 v[97:98], -v[90:91], v[92:93], 1.0
	v_fma_f64 v[92:93], v[92:93], v[97:98], v[92:93]
	v_div_scale_f64 v[97:98], vcc, v[117:118], v[119:120], v[117:118]
	v_fma_f64 v[99:100], -v[90:91], v[92:93], 1.0
	v_fma_f64 v[92:93], v[92:93], v[99:100], v[92:93]
	v_mul_f64 v[99:100], v[97:98], v[92:93]
	v_fma_f64 v[90:91], -v[90:91], v[99:100], v[97:98]
	v_div_fmas_f64 v[90:91], v[90:91], v[92:93], v[99:100]
	v_div_fixup_f64 v[90:91], v[90:91], v[119:120], v[117:118]
	v_fma_f64 v[92:93], v[117:118], v[90:91], v[119:120]
	v_div_scale_f64 v[97:98], s[20:21], v[92:93], v[92:93], 1.0
	v_div_scale_f64 v[103:104], vcc, 1.0, v[92:93], 1.0
	v_rcp_f64_e32 v[99:100], v[97:98]
	v_fma_f64 v[101:102], -v[97:98], v[99:100], 1.0
	v_fma_f64 v[99:100], v[99:100], v[101:102], v[99:100]
	v_fma_f64 v[101:102], -v[97:98], v[99:100], 1.0
	v_fma_f64 v[99:100], v[99:100], v[101:102], v[99:100]
	v_mul_f64 v[101:102], v[103:104], v[99:100]
	v_fma_f64 v[97:98], -v[97:98], v[101:102], v[103:104]
	v_div_fmas_f64 v[97:98], v[97:98], v[99:100], v[101:102]
	v_div_fixup_f64 v[119:120], v[97:98], v[92:93], 1.0
	v_mul_f64 v[117:118], v[90:91], v[119:120]
	v_xor_b32_e32 v120, 0x80000000, v120
.LBB112_553:
	s_andn2_saveexec_b64 s[18:19], s[18:19]
	s_cbranch_execz .LBB112_555
; %bb.554:
	v_div_scale_f64 v[90:91], s[20:21], v[117:118], v[117:118], v[119:120]
	v_rcp_f64_e32 v[92:93], v[90:91]
	v_fma_f64 v[97:98], -v[90:91], v[92:93], 1.0
	v_fma_f64 v[92:93], v[92:93], v[97:98], v[92:93]
	v_div_scale_f64 v[97:98], vcc, v[119:120], v[117:118], v[119:120]
	v_fma_f64 v[99:100], -v[90:91], v[92:93], 1.0
	v_fma_f64 v[92:93], v[92:93], v[99:100], v[92:93]
	v_mul_f64 v[99:100], v[97:98], v[92:93]
	v_fma_f64 v[90:91], -v[90:91], v[99:100], v[97:98]
	v_div_fmas_f64 v[90:91], v[90:91], v[92:93], v[99:100]
	v_div_fixup_f64 v[90:91], v[90:91], v[117:118], v[119:120]
	v_fma_f64 v[92:93], v[119:120], v[90:91], v[117:118]
	v_div_scale_f64 v[97:98], s[20:21], v[92:93], v[92:93], 1.0
	v_div_scale_f64 v[103:104], vcc, 1.0, v[92:93], 1.0
	v_rcp_f64_e32 v[99:100], v[97:98]
	v_fma_f64 v[101:102], -v[97:98], v[99:100], 1.0
	v_fma_f64 v[99:100], v[99:100], v[101:102], v[99:100]
	v_fma_f64 v[101:102], -v[97:98], v[99:100], 1.0
	v_fma_f64 v[99:100], v[99:100], v[101:102], v[99:100]
	v_mul_f64 v[101:102], v[103:104], v[99:100]
	v_fma_f64 v[97:98], -v[97:98], v[101:102], v[103:104]
	v_div_fmas_f64 v[97:98], v[97:98], v[99:100], v[101:102]
	v_div_fixup_f64 v[117:118], v[97:98], v[92:93], 1.0
	v_mul_f64 v[119:120], v[90:91], -v[117:118]
.LBB112_555:
	s_or_b64 exec, exec, s[18:19]
.LBB112_556:
	s_or_b64 exec, exec, s[0:1]
	v_cmp_ne_u32_e32 vcc, v96, v89
	s_and_saveexec_b64 s[0:1], vcc
	s_xor_b64 s[0:1], exec, s[0:1]
	s_cbranch_execz .LBB112_562
; %bb.557:
	v_cmp_eq_u32_e32 vcc, 26, v96
	s_and_saveexec_b64 s[18:19], vcc
	s_cbranch_execz .LBB112_561
; %bb.558:
	v_cmp_ne_u32_e32 vcc, 26, v89
	s_xor_b64 s[20:21], s[6:7], -1
	s_and_b64 s[22:23], s[20:21], vcc
	s_and_saveexec_b64 s[20:21], s[22:23]
	s_cbranch_execz .LBB112_560
; %bb.559:
	v_mov_b32_e32 v57, v81
	v_mov_b32_e32 v58, v82
	;; [unrolled: 1-line block ×4, first 2 shown]
	buffer_load_dword v81, off, s[24:27], 0 offset:464 ; 4-byte Folded Reload
	buffer_load_dword v82, off, s[24:27], 0 offset:468 ; 4-byte Folded Reload
	v_ashrrev_i32_e32 v90, 31, v89
	v_lshlrev_b64 v[90:91], 2, v[89:90]
	s_waitcnt vmcnt(1)
	v_add_co_u32_e32 v90, vcc, v81, v90
	s_waitcnt vmcnt(0)
	v_addc_co_u32_e32 v91, vcc, v82, v91, vcc
	global_load_dword v92, v[90:91], off
	global_load_dword v93, v[81:82], off offset:104
	s_waitcnt vmcnt(1)
	global_store_dword v[81:82], v92, off offset:104
	v_mov_b32_e32 v84, v60
	v_mov_b32_e32 v83, v59
	;; [unrolled: 1-line block ×4, first 2 shown]
	s_waitcnt vmcnt(1)
	global_store_dword v[90:91], v93, off
.LBB112_560:
	s_or_b64 exec, exec, s[20:21]
	v_mov_b32_e32 v96, v89
	v_mov_b32_e32 v127, v89
.LBB112_561:
	s_or_b64 exec, exec, s[18:19]
.LBB112_562:
	s_andn2_saveexec_b64 s[0:1], s[0:1]
	s_cbranch_execz .LBB112_564
; %bb.563:
	buffer_load_dword v57, off, s[24:27], 0 offset:80 ; 4-byte Folded Reload
	buffer_load_dword v58, off, s[24:27], 0 offset:84 ; 4-byte Folded Reload
	;; [unrolled: 1-line block ×4, first 2 shown]
	v_mov_b32_e32 v96, 26
	s_waitcnt vmcnt(0)
	ds_write2_b64 v0, v[57:58], v[59:60] offset0:54 offset1:55
	buffer_load_dword v57, off, s[24:27], 0 offset:64 ; 4-byte Folded Reload
	buffer_load_dword v58, off, s[24:27], 0 offset:68 ; 4-byte Folded Reload
	buffer_load_dword v59, off, s[24:27], 0 offset:72 ; 4-byte Folded Reload
	buffer_load_dword v60, off, s[24:27], 0 offset:76 ; 4-byte Folded Reload
	s_waitcnt vmcnt(0)
	ds_write2_b64 v0, v[57:58], v[59:60] offset0:56 offset1:57
	buffer_load_dword v57, off, s[24:27], 0 offset:48 ; 4-byte Folded Reload
	buffer_load_dword v58, off, s[24:27], 0 offset:52 ; 4-byte Folded Reload
	buffer_load_dword v59, off, s[24:27], 0 offset:56 ; 4-byte Folded Reload
	buffer_load_dword v60, off, s[24:27], 0 offset:60 ; 4-byte Folded Reload
	;; [unrolled: 6-line block ×4, first 2 shown]
	s_waitcnt vmcnt(0)
	ds_write2_b64 v0, v[57:58], v[59:60] offset0:62 offset1:63
	ds_write2_b64 v0, v[81:82], v[83:84] offset0:64 offset1:65
	;; [unrolled: 1-line block ×10, first 2 shown]
	buffer_load_dword v57, off, s[24:27], 0 ; 4-byte Folded Reload
	buffer_load_dword v58, off, s[24:27], 0 offset:4 ; 4-byte Folded Reload
	buffer_load_dword v59, off, s[24:27], 0 offset:8 ; 4-byte Folded Reload
	;; [unrolled: 1-line block ×3, first 2 shown]
	s_waitcnt vmcnt(0)
	ds_write2_b64 v0, v[57:58], v[59:60] offset0:82 offset1:83
	ds_write2_b64 v0, v[53:54], v[55:56] offset0:84 offset1:85
	;; [unrolled: 1-line block ×16, first 2 shown]
.LBB112_564:
	s_or_b64 exec, exec, s[0:1]
	v_cmp_lt_i32_e32 vcc, 26, v96
	s_waitcnt vmcnt(0) lgkmcnt(0)
	s_barrier
	s_and_saveexec_b64 s[0:1], vcc
	s_cbranch_execz .LBB112_566
; %bb.565:
	buffer_load_dword v97, off, s[24:27], 0 offset:96 ; 4-byte Folded Reload
	buffer_load_dword v98, off, s[24:27], 0 offset:100 ; 4-byte Folded Reload
	;; [unrolled: 1-line block ×4, first 2 shown]
	s_waitcnt vmcnt(0)
	v_mul_f64 v[89:90], v[119:120], v[99:100]
	v_fma_f64 v[93:94], v[117:118], v[97:98], -v[89:90]
	v_mul_f64 v[89:90], v[117:118], v[99:100]
	v_fma_f64 v[99:100], v[119:120], v[97:98], v[89:90]
	ds_read2_b64 v[89:92], v0 offset0:54 offset1:55
	buffer_load_dword v57, off, s[24:27], 0 offset:80 ; 4-byte Folded Reload
	buffer_load_dword v58, off, s[24:27], 0 offset:84 ; 4-byte Folded Reload
	buffer_load_dword v59, off, s[24:27], 0 offset:88 ; 4-byte Folded Reload
	buffer_load_dword v60, off, s[24:27], 0 offset:92 ; 4-byte Folded Reload
	s_waitcnt lgkmcnt(0)
	v_mul_f64 v[97:98], v[91:92], v[99:100]
	v_fma_f64 v[97:98], v[89:90], v[93:94], -v[97:98]
	v_mul_f64 v[89:90], v[89:90], v[99:100]
	v_fma_f64 v[89:90], v[91:92], v[93:94], v[89:90]
	s_waitcnt vmcnt(2)
	v_add_f64 v[57:58], v[57:58], -v[97:98]
	s_waitcnt vmcnt(0)
	v_add_f64 v[59:60], v[59:60], -v[89:90]
	buffer_store_dword v57, off, s[24:27], 0 offset:80 ; 4-byte Folded Spill
	s_nop 0
	buffer_store_dword v58, off, s[24:27], 0 offset:84 ; 4-byte Folded Spill
	buffer_store_dword v59, off, s[24:27], 0 offset:88 ; 4-byte Folded Spill
	buffer_store_dword v60, off, s[24:27], 0 offset:92 ; 4-byte Folded Spill
	ds_read2_b64 v[89:92], v0 offset0:56 offset1:57
	buffer_load_dword v57, off, s[24:27], 0 offset:64 ; 4-byte Folded Reload
	buffer_load_dword v58, off, s[24:27], 0 offset:68 ; 4-byte Folded Reload
	buffer_load_dword v59, off, s[24:27], 0 offset:72 ; 4-byte Folded Reload
	buffer_load_dword v60, off, s[24:27], 0 offset:76 ; 4-byte Folded Reload
	s_waitcnt lgkmcnt(0)
	v_mul_f64 v[97:98], v[91:92], v[99:100]
	v_fma_f64 v[97:98], v[89:90], v[93:94], -v[97:98]
	v_mul_f64 v[89:90], v[89:90], v[99:100]
	v_fma_f64 v[89:90], v[91:92], v[93:94], v[89:90]
	s_waitcnt vmcnt(2)
	v_add_f64 v[57:58], v[57:58], -v[97:98]
	s_waitcnt vmcnt(0)
	v_add_f64 v[59:60], v[59:60], -v[89:90]
	buffer_store_dword v57, off, s[24:27], 0 offset:64 ; 4-byte Folded Spill
	s_nop 0
	buffer_store_dword v58, off, s[24:27], 0 offset:68 ; 4-byte Folded Spill
	buffer_store_dword v59, off, s[24:27], 0 offset:72 ; 4-byte Folded Spill
	buffer_store_dword v60, off, s[24:27], 0 offset:76 ; 4-byte Folded Spill
	;; [unrolled: 19-line block ×5, first 2 shown]
	ds_read2_b64 v[89:92], v0 offset0:64 offset1:65
	s_waitcnt lgkmcnt(0)
	v_mul_f64 v[97:98], v[91:92], v[99:100]
	v_fma_f64 v[97:98], v[89:90], v[93:94], -v[97:98]
	v_mul_f64 v[89:90], v[89:90], v[99:100]
	v_add_f64 v[81:82], v[81:82], -v[97:98]
	v_fma_f64 v[89:90], v[91:92], v[93:94], v[89:90]
	v_add_f64 v[83:84], v[83:84], -v[89:90]
	ds_read2_b64 v[89:92], v0 offset0:66 offset1:67
	s_waitcnt lgkmcnt(0)
	v_mul_f64 v[97:98], v[91:92], v[99:100]
	v_fma_f64 v[97:98], v[89:90], v[93:94], -v[97:98]
	v_mul_f64 v[89:90], v[89:90], v[99:100]
	v_add_f64 v[85:86], v[85:86], -v[97:98]
	v_fma_f64 v[89:90], v[91:92], v[93:94], v[89:90]
	v_add_f64 v[87:88], v[87:88], -v[89:90]
	;; [unrolled: 8-line block ×9, first 2 shown]
	ds_read2_b64 v[89:92], v0 offset0:82 offset1:83
	buffer_load_dword v57, off, s[24:27], 0 ; 4-byte Folded Reload
	buffer_load_dword v58, off, s[24:27], 0 offset:4 ; 4-byte Folded Reload
	buffer_load_dword v59, off, s[24:27], 0 offset:8 ; 4-byte Folded Reload
	;; [unrolled: 1-line block ×3, first 2 shown]
	s_waitcnt lgkmcnt(0)
	v_mul_f64 v[97:98], v[91:92], v[99:100]
	v_fma_f64 v[97:98], v[89:90], v[93:94], -v[97:98]
	v_mul_f64 v[89:90], v[89:90], v[99:100]
	v_fma_f64 v[89:90], v[91:92], v[93:94], v[89:90]
	s_waitcnt vmcnt(2)
	v_add_f64 v[57:58], v[57:58], -v[97:98]
	s_waitcnt vmcnt(0)
	v_add_f64 v[59:60], v[59:60], -v[89:90]
	buffer_store_dword v57, off, s[24:27], 0 ; 4-byte Folded Spill
	s_nop 0
	buffer_store_dword v58, off, s[24:27], 0 offset:4 ; 4-byte Folded Spill
	buffer_store_dword v59, off, s[24:27], 0 offset:8 ; 4-byte Folded Spill
	;; [unrolled: 1-line block ×3, first 2 shown]
	ds_read2_b64 v[89:92], v0 offset0:84 offset1:85
	s_waitcnt lgkmcnt(0)
	v_mul_f64 v[97:98], v[91:92], v[99:100]
	v_fma_f64 v[97:98], v[89:90], v[93:94], -v[97:98]
	v_mul_f64 v[89:90], v[89:90], v[99:100]
	v_add_f64 v[53:54], v[53:54], -v[97:98]
	v_fma_f64 v[89:90], v[91:92], v[93:94], v[89:90]
	v_add_f64 v[55:56], v[55:56], -v[89:90]
	ds_read2_b64 v[89:92], v0 offset0:86 offset1:87
	s_waitcnt lgkmcnt(0)
	v_mul_f64 v[97:98], v[91:92], v[99:100]
	v_fma_f64 v[97:98], v[89:90], v[93:94], -v[97:98]
	v_mul_f64 v[89:90], v[89:90], v[99:100]
	v_add_f64 v[49:50], v[49:50], -v[97:98]
	v_fma_f64 v[89:90], v[91:92], v[93:94], v[89:90]
	v_add_f64 v[51:52], v[51:52], -v[89:90]
	;; [unrolled: 8-line block ×14, first 2 shown]
	ds_read2_b64 v[89:92], v0 offset0:112 offset1:113
	s_waitcnt lgkmcnt(0)
	v_mul_f64 v[97:98], v[91:92], v[99:100]
	v_fma_f64 v[97:98], v[89:90], v[93:94], -v[97:98]
	v_mul_f64 v[89:90], v[89:90], v[99:100]
	v_add_f64 v[121:122], v[121:122], -v[97:98]
	v_fma_f64 v[89:90], v[91:92], v[93:94], v[89:90]
	v_mov_b32_e32 v98, v94
	v_mov_b32_e32 v97, v93
	buffer_store_dword v97, off, s[24:27], 0 offset:96 ; 4-byte Folded Spill
	s_nop 0
	buffer_store_dword v98, off, s[24:27], 0 offset:100 ; 4-byte Folded Spill
	buffer_store_dword v99, off, s[24:27], 0 offset:104 ; 4-byte Folded Spill
	;; [unrolled: 1-line block ×3, first 2 shown]
	v_add_f64 v[123:124], v[123:124], -v[89:90]
.LBB112_566:
	s_or_b64 exec, exec, s[0:1]
	s_waitcnt vmcnt(0)
	s_barrier
	buffer_load_dword v57, off, s[24:27], 0 offset:80 ; 4-byte Folded Reload
	buffer_load_dword v58, off, s[24:27], 0 offset:84 ; 4-byte Folded Reload
	buffer_load_dword v59, off, s[24:27], 0 offset:88 ; 4-byte Folded Reload
	buffer_load_dword v60, off, s[24:27], 0 offset:92 ; 4-byte Folded Reload
	v_lshl_add_u32 v89, v96, 4, v0
	s_cmp_lt_i32 s3, 29
	s_waitcnt vmcnt(0)
	ds_write2_b64 v89, v[57:58], v[59:60] offset1:1
	s_waitcnt lgkmcnt(0)
	s_barrier
	ds_read2_b64 v[117:120], v0 offset0:54 offset1:55
	v_mov_b32_e32 v89, 27
	s_cbranch_scc1 .LBB112_569
; %bb.567:
	v_add_u32_e32 v90, 0x1c0, v0
	s_mov_b32 s0, 28
	v_mov_b32_e32 v89, 27
.LBB112_568:                            ; =>This Inner Loop Header: Depth=1
	s_waitcnt lgkmcnt(0)
	v_cmp_gt_f64_e32 vcc, 0, v[117:118]
	v_xor_b32_e32 v97, 0x80000000, v118
	ds_read2_b64 v[91:94], v90 offset1:1
	v_xor_b32_e32 v99, 0x80000000, v120
	v_add_u32_e32 v90, 16, v90
	s_waitcnt lgkmcnt(0)
	v_xor_b32_e32 v101, 0x80000000, v94
	v_cndmask_b32_e32 v98, v118, v97, vcc
	v_cmp_gt_f64_e32 vcc, 0, v[119:120]
	v_mov_b32_e32 v97, v117
	v_cndmask_b32_e32 v100, v120, v99, vcc
	v_cmp_gt_f64_e32 vcc, 0, v[91:92]
	v_mov_b32_e32 v99, v119
	v_add_f64 v[97:98], v[97:98], v[99:100]
	v_xor_b32_e32 v99, 0x80000000, v92
	v_cndmask_b32_e32 v100, v92, v99, vcc
	v_cmp_gt_f64_e32 vcc, 0, v[93:94]
	v_mov_b32_e32 v99, v91
	v_cndmask_b32_e32 v102, v94, v101, vcc
	v_mov_b32_e32 v101, v93
	v_add_f64 v[99:100], v[99:100], v[101:102]
	v_cmp_lt_f64_e32 vcc, v[97:98], v[99:100]
	v_cndmask_b32_e32 v117, v117, v91, vcc
	v_mov_b32_e32 v91, s0
	s_add_i32 s0, s0, 1
	v_cndmask_b32_e32 v118, v118, v92, vcc
	v_cndmask_b32_e32 v120, v120, v94, vcc
	;; [unrolled: 1-line block ×4, first 2 shown]
	s_cmp_lg_u32 s3, s0
	s_cbranch_scc1 .LBB112_568
.LBB112_569:
	s_waitcnt lgkmcnt(0)
	v_cmp_eq_f64_e32 vcc, 0, v[117:118]
	v_cmp_eq_f64_e64 s[0:1], 0, v[119:120]
	s_and_b64 s[0:1], vcc, s[0:1]
	s_and_saveexec_b64 s[18:19], s[0:1]
	s_xor_b64 s[0:1], exec, s[18:19]
; %bb.570:
	v_cmp_ne_u32_e32 vcc, 0, v95
	v_cndmask_b32_e32 v95, 28, v95, vcc
; %bb.571:
	s_andn2_saveexec_b64 s[0:1], s[0:1]
	s_cbranch_execz .LBB112_577
; %bb.572:
	v_cmp_ngt_f64_e64 s[18:19], |v[117:118]|, |v[119:120]|
	s_and_saveexec_b64 s[20:21], s[18:19]
	s_xor_b64 s[18:19], exec, s[20:21]
	s_cbranch_execz .LBB112_574
; %bb.573:
	v_div_scale_f64 v[90:91], s[20:21], v[119:120], v[119:120], v[117:118]
	v_rcp_f64_e32 v[92:93], v[90:91]
	v_fma_f64 v[97:98], -v[90:91], v[92:93], 1.0
	v_fma_f64 v[92:93], v[92:93], v[97:98], v[92:93]
	v_div_scale_f64 v[97:98], vcc, v[117:118], v[119:120], v[117:118]
	v_fma_f64 v[99:100], -v[90:91], v[92:93], 1.0
	v_fma_f64 v[92:93], v[92:93], v[99:100], v[92:93]
	v_mul_f64 v[99:100], v[97:98], v[92:93]
	v_fma_f64 v[90:91], -v[90:91], v[99:100], v[97:98]
	v_div_fmas_f64 v[90:91], v[90:91], v[92:93], v[99:100]
	v_div_fixup_f64 v[90:91], v[90:91], v[119:120], v[117:118]
	v_fma_f64 v[92:93], v[117:118], v[90:91], v[119:120]
	v_div_scale_f64 v[97:98], s[20:21], v[92:93], v[92:93], 1.0
	v_div_scale_f64 v[103:104], vcc, 1.0, v[92:93], 1.0
	v_rcp_f64_e32 v[99:100], v[97:98]
	v_fma_f64 v[101:102], -v[97:98], v[99:100], 1.0
	v_fma_f64 v[99:100], v[99:100], v[101:102], v[99:100]
	v_fma_f64 v[101:102], -v[97:98], v[99:100], 1.0
	v_fma_f64 v[99:100], v[99:100], v[101:102], v[99:100]
	v_mul_f64 v[101:102], v[103:104], v[99:100]
	v_fma_f64 v[97:98], -v[97:98], v[101:102], v[103:104]
	v_div_fmas_f64 v[97:98], v[97:98], v[99:100], v[101:102]
	v_div_fixup_f64 v[119:120], v[97:98], v[92:93], 1.0
	v_mul_f64 v[117:118], v[90:91], v[119:120]
	v_xor_b32_e32 v120, 0x80000000, v120
.LBB112_574:
	s_andn2_saveexec_b64 s[18:19], s[18:19]
	s_cbranch_execz .LBB112_576
; %bb.575:
	v_div_scale_f64 v[90:91], s[20:21], v[117:118], v[117:118], v[119:120]
	v_rcp_f64_e32 v[92:93], v[90:91]
	v_fma_f64 v[97:98], -v[90:91], v[92:93], 1.0
	v_fma_f64 v[92:93], v[92:93], v[97:98], v[92:93]
	v_div_scale_f64 v[97:98], vcc, v[119:120], v[117:118], v[119:120]
	v_fma_f64 v[99:100], -v[90:91], v[92:93], 1.0
	v_fma_f64 v[92:93], v[92:93], v[99:100], v[92:93]
	v_mul_f64 v[99:100], v[97:98], v[92:93]
	v_fma_f64 v[90:91], -v[90:91], v[99:100], v[97:98]
	v_div_fmas_f64 v[90:91], v[90:91], v[92:93], v[99:100]
	v_div_fixup_f64 v[90:91], v[90:91], v[117:118], v[119:120]
	v_fma_f64 v[92:93], v[119:120], v[90:91], v[117:118]
	v_div_scale_f64 v[97:98], s[20:21], v[92:93], v[92:93], 1.0
	v_div_scale_f64 v[103:104], vcc, 1.0, v[92:93], 1.0
	v_rcp_f64_e32 v[99:100], v[97:98]
	v_fma_f64 v[101:102], -v[97:98], v[99:100], 1.0
	v_fma_f64 v[99:100], v[99:100], v[101:102], v[99:100]
	v_fma_f64 v[101:102], -v[97:98], v[99:100], 1.0
	v_fma_f64 v[99:100], v[99:100], v[101:102], v[99:100]
	v_mul_f64 v[101:102], v[103:104], v[99:100]
	v_fma_f64 v[97:98], -v[97:98], v[101:102], v[103:104]
	v_div_fmas_f64 v[97:98], v[97:98], v[99:100], v[101:102]
	v_div_fixup_f64 v[117:118], v[97:98], v[92:93], 1.0
	v_mul_f64 v[119:120], v[90:91], -v[117:118]
.LBB112_576:
	s_or_b64 exec, exec, s[18:19]
.LBB112_577:
	s_or_b64 exec, exec, s[0:1]
	v_cmp_ne_u32_e32 vcc, v96, v89
	s_and_saveexec_b64 s[0:1], vcc
	s_xor_b64 s[0:1], exec, s[0:1]
	s_cbranch_execz .LBB112_583
; %bb.578:
	v_cmp_eq_u32_e32 vcc, 27, v96
	s_and_saveexec_b64 s[18:19], vcc
	s_cbranch_execz .LBB112_582
; %bb.579:
	v_cmp_ne_u32_e32 vcc, 27, v89
	s_xor_b64 s[20:21], s[6:7], -1
	s_and_b64 s[22:23], s[20:21], vcc
	s_and_saveexec_b64 s[20:21], s[22:23]
	s_cbranch_execz .LBB112_581
; %bb.580:
	v_mov_b32_e32 v57, v81
	v_mov_b32_e32 v58, v82
	;; [unrolled: 1-line block ×4, first 2 shown]
	buffer_load_dword v81, off, s[24:27], 0 offset:464 ; 4-byte Folded Reload
	buffer_load_dword v82, off, s[24:27], 0 offset:468 ; 4-byte Folded Reload
	v_ashrrev_i32_e32 v90, 31, v89
	v_lshlrev_b64 v[90:91], 2, v[89:90]
	s_waitcnt vmcnt(1)
	v_add_co_u32_e32 v90, vcc, v81, v90
	s_waitcnt vmcnt(0)
	v_addc_co_u32_e32 v91, vcc, v82, v91, vcc
	global_load_dword v92, v[90:91], off
	global_load_dword v93, v[81:82], off offset:108
	s_waitcnt vmcnt(1)
	global_store_dword v[81:82], v92, off offset:108
	v_mov_b32_e32 v84, v60
	v_mov_b32_e32 v83, v59
	;; [unrolled: 1-line block ×4, first 2 shown]
	s_waitcnt vmcnt(1)
	global_store_dword v[90:91], v93, off
.LBB112_581:
	s_or_b64 exec, exec, s[20:21]
	v_mov_b32_e32 v96, v89
	v_mov_b32_e32 v127, v89
.LBB112_582:
	s_or_b64 exec, exec, s[18:19]
.LBB112_583:
	s_andn2_saveexec_b64 s[0:1], s[0:1]
	s_cbranch_execz .LBB112_585
; %bb.584:
	buffer_load_dword v57, off, s[24:27], 0 offset:64 ; 4-byte Folded Reload
	buffer_load_dword v58, off, s[24:27], 0 offset:68 ; 4-byte Folded Reload
	;; [unrolled: 1-line block ×4, first 2 shown]
	v_mov_b32_e32 v96, 27
	s_waitcnt vmcnt(0)
	ds_write2_b64 v0, v[57:58], v[59:60] offset0:56 offset1:57
	buffer_load_dword v57, off, s[24:27], 0 offset:48 ; 4-byte Folded Reload
	buffer_load_dword v58, off, s[24:27], 0 offset:52 ; 4-byte Folded Reload
	buffer_load_dword v59, off, s[24:27], 0 offset:56 ; 4-byte Folded Reload
	buffer_load_dword v60, off, s[24:27], 0 offset:60 ; 4-byte Folded Reload
	s_waitcnt vmcnt(0)
	ds_write2_b64 v0, v[57:58], v[59:60] offset0:58 offset1:59
	buffer_load_dword v57, off, s[24:27], 0 offset:32 ; 4-byte Folded Reload
	buffer_load_dword v58, off, s[24:27], 0 offset:36 ; 4-byte Folded Reload
	buffer_load_dword v59, off, s[24:27], 0 offset:40 ; 4-byte Folded Reload
	buffer_load_dword v60, off, s[24:27], 0 offset:44 ; 4-byte Folded Reload
	;; [unrolled: 6-line block ×3, first 2 shown]
	s_waitcnt vmcnt(0)
	ds_write2_b64 v0, v[57:58], v[59:60] offset0:62 offset1:63
	ds_write2_b64 v0, v[81:82], v[83:84] offset0:64 offset1:65
	;; [unrolled: 1-line block ×10, first 2 shown]
	buffer_load_dword v57, off, s[24:27], 0 ; 4-byte Folded Reload
	buffer_load_dword v58, off, s[24:27], 0 offset:4 ; 4-byte Folded Reload
	buffer_load_dword v59, off, s[24:27], 0 offset:8 ; 4-byte Folded Reload
	;; [unrolled: 1-line block ×3, first 2 shown]
	s_waitcnt vmcnt(0)
	ds_write2_b64 v0, v[57:58], v[59:60] offset0:82 offset1:83
	ds_write2_b64 v0, v[53:54], v[55:56] offset0:84 offset1:85
	;; [unrolled: 1-line block ×16, first 2 shown]
.LBB112_585:
	s_or_b64 exec, exec, s[0:1]
	v_cmp_lt_i32_e32 vcc, 27, v96
	s_waitcnt vmcnt(0) lgkmcnt(0)
	s_barrier
	s_and_saveexec_b64 s[0:1], vcc
	s_cbranch_execz .LBB112_587
; %bb.586:
	buffer_load_dword v97, off, s[24:27], 0 offset:80 ; 4-byte Folded Reload
	buffer_load_dword v98, off, s[24:27], 0 offset:84 ; 4-byte Folded Reload
	;; [unrolled: 1-line block ×4, first 2 shown]
	s_waitcnt vmcnt(0)
	v_mul_f64 v[91:92], v[117:118], v[99:100]
	v_mul_f64 v[89:90], v[119:120], v[99:100]
	v_fma_f64 v[99:100], v[119:120], v[97:98], v[91:92]
	ds_read2_b64 v[91:94], v0 offset0:56 offset1:57
	buffer_load_dword v57, off, s[24:27], 0 offset:64 ; 4-byte Folded Reload
	buffer_load_dword v58, off, s[24:27], 0 offset:68 ; 4-byte Folded Reload
	;; [unrolled: 1-line block ×4, first 2 shown]
	v_fma_f64 v[89:90], v[117:118], v[97:98], -v[89:90]
	s_waitcnt lgkmcnt(0)
	v_mul_f64 v[97:98], v[93:94], v[99:100]
	v_fma_f64 v[97:98], v[91:92], v[89:90], -v[97:98]
	v_mul_f64 v[91:92], v[91:92], v[99:100]
	v_fma_f64 v[91:92], v[93:94], v[89:90], v[91:92]
	s_waitcnt vmcnt(2)
	v_add_f64 v[57:58], v[57:58], -v[97:98]
	s_waitcnt vmcnt(0)
	v_add_f64 v[59:60], v[59:60], -v[91:92]
	buffer_store_dword v57, off, s[24:27], 0 offset:64 ; 4-byte Folded Spill
	s_nop 0
	buffer_store_dword v58, off, s[24:27], 0 offset:68 ; 4-byte Folded Spill
	buffer_store_dword v59, off, s[24:27], 0 offset:72 ; 4-byte Folded Spill
	buffer_store_dword v60, off, s[24:27], 0 offset:76 ; 4-byte Folded Spill
	ds_read2_b64 v[91:94], v0 offset0:58 offset1:59
	buffer_load_dword v57, off, s[24:27], 0 offset:48 ; 4-byte Folded Reload
	buffer_load_dword v58, off, s[24:27], 0 offset:52 ; 4-byte Folded Reload
	buffer_load_dword v59, off, s[24:27], 0 offset:56 ; 4-byte Folded Reload
	buffer_load_dword v60, off, s[24:27], 0 offset:60 ; 4-byte Folded Reload
	s_waitcnt lgkmcnt(0)
	v_mul_f64 v[97:98], v[93:94], v[99:100]
	v_fma_f64 v[97:98], v[91:92], v[89:90], -v[97:98]
	v_mul_f64 v[91:92], v[91:92], v[99:100]
	v_fma_f64 v[91:92], v[93:94], v[89:90], v[91:92]
	s_waitcnt vmcnt(2)
	v_add_f64 v[57:58], v[57:58], -v[97:98]
	s_waitcnt vmcnt(0)
	v_add_f64 v[59:60], v[59:60], -v[91:92]
	buffer_store_dword v57, off, s[24:27], 0 offset:48 ; 4-byte Folded Spill
	s_nop 0
	buffer_store_dword v58, off, s[24:27], 0 offset:52 ; 4-byte Folded Spill
	buffer_store_dword v59, off, s[24:27], 0 offset:56 ; 4-byte Folded Spill
	buffer_store_dword v60, off, s[24:27], 0 offset:60 ; 4-byte Folded Spill
	ds_read2_b64 v[91:94], v0 offset0:60 offset1:61
	buffer_load_dword v57, off, s[24:27], 0 offset:32 ; 4-byte Folded Reload
	buffer_load_dword v58, off, s[24:27], 0 offset:36 ; 4-byte Folded Reload
	buffer_load_dword v59, off, s[24:27], 0 offset:40 ; 4-byte Folded Reload
	buffer_load_dword v60, off, s[24:27], 0 offset:44 ; 4-byte Folded Reload
	;; [unrolled: 19-line block ×3, first 2 shown]
	s_waitcnt lgkmcnt(0)
	v_mul_f64 v[97:98], v[93:94], v[99:100]
	v_fma_f64 v[97:98], v[91:92], v[89:90], -v[97:98]
	v_mul_f64 v[91:92], v[91:92], v[99:100]
	v_fma_f64 v[91:92], v[93:94], v[89:90], v[91:92]
	s_waitcnt vmcnt(2)
	v_add_f64 v[57:58], v[57:58], -v[97:98]
	s_waitcnt vmcnt(0)
	v_add_f64 v[59:60], v[59:60], -v[91:92]
	buffer_store_dword v57, off, s[24:27], 0 offset:16 ; 4-byte Folded Spill
	s_nop 0
	buffer_store_dword v58, off, s[24:27], 0 offset:20 ; 4-byte Folded Spill
	buffer_store_dword v59, off, s[24:27], 0 offset:24 ; 4-byte Folded Spill
	;; [unrolled: 1-line block ×3, first 2 shown]
	ds_read2_b64 v[91:94], v0 offset0:64 offset1:65
	s_waitcnt lgkmcnt(0)
	v_mul_f64 v[97:98], v[93:94], v[99:100]
	v_fma_f64 v[97:98], v[91:92], v[89:90], -v[97:98]
	v_mul_f64 v[91:92], v[91:92], v[99:100]
	v_add_f64 v[81:82], v[81:82], -v[97:98]
	v_fma_f64 v[91:92], v[93:94], v[89:90], v[91:92]
	v_add_f64 v[83:84], v[83:84], -v[91:92]
	ds_read2_b64 v[91:94], v0 offset0:66 offset1:67
	s_waitcnt lgkmcnt(0)
	v_mul_f64 v[97:98], v[93:94], v[99:100]
	v_fma_f64 v[97:98], v[91:92], v[89:90], -v[97:98]
	v_mul_f64 v[91:92], v[91:92], v[99:100]
	v_add_f64 v[85:86], v[85:86], -v[97:98]
	v_fma_f64 v[91:92], v[93:94], v[89:90], v[91:92]
	v_add_f64 v[87:88], v[87:88], -v[91:92]
	;; [unrolled: 8-line block ×9, first 2 shown]
	ds_read2_b64 v[91:94], v0 offset0:82 offset1:83
	buffer_load_dword v57, off, s[24:27], 0 ; 4-byte Folded Reload
	buffer_load_dword v58, off, s[24:27], 0 offset:4 ; 4-byte Folded Reload
	buffer_load_dword v59, off, s[24:27], 0 offset:8 ; 4-byte Folded Reload
	;; [unrolled: 1-line block ×3, first 2 shown]
	s_waitcnt lgkmcnt(0)
	v_mul_f64 v[97:98], v[93:94], v[99:100]
	v_fma_f64 v[97:98], v[91:92], v[89:90], -v[97:98]
	v_mul_f64 v[91:92], v[91:92], v[99:100]
	v_fma_f64 v[91:92], v[93:94], v[89:90], v[91:92]
	s_waitcnt vmcnt(2)
	v_add_f64 v[57:58], v[57:58], -v[97:98]
	s_waitcnt vmcnt(0)
	v_add_f64 v[59:60], v[59:60], -v[91:92]
	buffer_store_dword v57, off, s[24:27], 0 ; 4-byte Folded Spill
	s_nop 0
	buffer_store_dword v58, off, s[24:27], 0 offset:4 ; 4-byte Folded Spill
	buffer_store_dword v59, off, s[24:27], 0 offset:8 ; 4-byte Folded Spill
	;; [unrolled: 1-line block ×3, first 2 shown]
	ds_read2_b64 v[91:94], v0 offset0:84 offset1:85
	s_waitcnt lgkmcnt(0)
	v_mul_f64 v[97:98], v[93:94], v[99:100]
	v_fma_f64 v[97:98], v[91:92], v[89:90], -v[97:98]
	v_mul_f64 v[91:92], v[91:92], v[99:100]
	v_add_f64 v[53:54], v[53:54], -v[97:98]
	v_fma_f64 v[91:92], v[93:94], v[89:90], v[91:92]
	v_add_f64 v[55:56], v[55:56], -v[91:92]
	ds_read2_b64 v[91:94], v0 offset0:86 offset1:87
	s_waitcnt lgkmcnt(0)
	v_mul_f64 v[97:98], v[93:94], v[99:100]
	v_fma_f64 v[97:98], v[91:92], v[89:90], -v[97:98]
	v_mul_f64 v[91:92], v[91:92], v[99:100]
	v_add_f64 v[49:50], v[49:50], -v[97:98]
	v_fma_f64 v[91:92], v[93:94], v[89:90], v[91:92]
	v_add_f64 v[51:52], v[51:52], -v[91:92]
	;; [unrolled: 8-line block ×14, first 2 shown]
	ds_read2_b64 v[91:94], v0 offset0:112 offset1:113
	s_waitcnt lgkmcnt(0)
	v_mul_f64 v[97:98], v[93:94], v[99:100]
	v_fma_f64 v[97:98], v[91:92], v[89:90], -v[97:98]
	v_mul_f64 v[91:92], v[91:92], v[99:100]
	v_add_f64 v[121:122], v[121:122], -v[97:98]
	v_fma_f64 v[91:92], v[93:94], v[89:90], v[91:92]
	v_mov_b32_e32 v98, v90
	v_mov_b32_e32 v97, v89
	buffer_store_dword v97, off, s[24:27], 0 offset:80 ; 4-byte Folded Spill
	s_nop 0
	buffer_store_dword v98, off, s[24:27], 0 offset:84 ; 4-byte Folded Spill
	buffer_store_dword v99, off, s[24:27], 0 offset:88 ; 4-byte Folded Spill
	;; [unrolled: 1-line block ×3, first 2 shown]
	v_add_f64 v[123:124], v[123:124], -v[91:92]
.LBB112_587:
	s_or_b64 exec, exec, s[0:1]
	s_waitcnt vmcnt(0)
	s_barrier
	buffer_load_dword v57, off, s[24:27], 0 offset:64 ; 4-byte Folded Reload
	buffer_load_dword v58, off, s[24:27], 0 offset:68 ; 4-byte Folded Reload
	;; [unrolled: 1-line block ×4, first 2 shown]
	v_lshl_add_u32 v89, v96, 4, v0
	s_cmp_lt_i32 s3, 30
	s_waitcnt vmcnt(0)
	ds_write2_b64 v89, v[57:58], v[59:60] offset1:1
	s_waitcnt lgkmcnt(0)
	s_barrier
	ds_read2_b64 v[117:120], v0 offset0:56 offset1:57
	v_mov_b32_e32 v89, 28
	s_cbranch_scc1 .LBB112_590
; %bb.588:
	v_add_u32_e32 v90, 0x1d0, v0
	s_mov_b32 s0, 29
	v_mov_b32_e32 v89, 28
.LBB112_589:                            ; =>This Inner Loop Header: Depth=1
	s_waitcnt lgkmcnt(0)
	v_cmp_gt_f64_e32 vcc, 0, v[117:118]
	v_xor_b32_e32 v97, 0x80000000, v118
	ds_read2_b64 v[91:94], v90 offset1:1
	v_xor_b32_e32 v99, 0x80000000, v120
	v_add_u32_e32 v90, 16, v90
	s_waitcnt lgkmcnt(0)
	v_xor_b32_e32 v101, 0x80000000, v94
	v_cndmask_b32_e32 v98, v118, v97, vcc
	v_cmp_gt_f64_e32 vcc, 0, v[119:120]
	v_mov_b32_e32 v97, v117
	v_cndmask_b32_e32 v100, v120, v99, vcc
	v_cmp_gt_f64_e32 vcc, 0, v[91:92]
	v_mov_b32_e32 v99, v119
	v_add_f64 v[97:98], v[97:98], v[99:100]
	v_xor_b32_e32 v99, 0x80000000, v92
	v_cndmask_b32_e32 v100, v92, v99, vcc
	v_cmp_gt_f64_e32 vcc, 0, v[93:94]
	v_mov_b32_e32 v99, v91
	v_cndmask_b32_e32 v102, v94, v101, vcc
	v_mov_b32_e32 v101, v93
	v_add_f64 v[99:100], v[99:100], v[101:102]
	v_cmp_lt_f64_e32 vcc, v[97:98], v[99:100]
	v_cndmask_b32_e32 v117, v117, v91, vcc
	v_mov_b32_e32 v91, s0
	s_add_i32 s0, s0, 1
	v_cndmask_b32_e32 v118, v118, v92, vcc
	v_cndmask_b32_e32 v120, v120, v94, vcc
	;; [unrolled: 1-line block ×4, first 2 shown]
	s_cmp_lg_u32 s3, s0
	s_cbranch_scc1 .LBB112_589
.LBB112_590:
	s_waitcnt lgkmcnt(0)
	v_cmp_eq_f64_e32 vcc, 0, v[117:118]
	v_cmp_eq_f64_e64 s[0:1], 0, v[119:120]
	s_and_b64 s[0:1], vcc, s[0:1]
	s_and_saveexec_b64 s[18:19], s[0:1]
	s_xor_b64 s[0:1], exec, s[18:19]
; %bb.591:
	v_cmp_ne_u32_e32 vcc, 0, v95
	v_cndmask_b32_e32 v95, 29, v95, vcc
; %bb.592:
	s_andn2_saveexec_b64 s[0:1], s[0:1]
	s_cbranch_execz .LBB112_598
; %bb.593:
	v_cmp_ngt_f64_e64 s[18:19], |v[117:118]|, |v[119:120]|
	s_and_saveexec_b64 s[20:21], s[18:19]
	s_xor_b64 s[18:19], exec, s[20:21]
	s_cbranch_execz .LBB112_595
; %bb.594:
	v_div_scale_f64 v[90:91], s[20:21], v[119:120], v[119:120], v[117:118]
	v_rcp_f64_e32 v[92:93], v[90:91]
	v_fma_f64 v[97:98], -v[90:91], v[92:93], 1.0
	v_fma_f64 v[92:93], v[92:93], v[97:98], v[92:93]
	v_div_scale_f64 v[97:98], vcc, v[117:118], v[119:120], v[117:118]
	v_fma_f64 v[99:100], -v[90:91], v[92:93], 1.0
	v_fma_f64 v[92:93], v[92:93], v[99:100], v[92:93]
	v_mul_f64 v[99:100], v[97:98], v[92:93]
	v_fma_f64 v[90:91], -v[90:91], v[99:100], v[97:98]
	v_div_fmas_f64 v[90:91], v[90:91], v[92:93], v[99:100]
	v_div_fixup_f64 v[90:91], v[90:91], v[119:120], v[117:118]
	v_fma_f64 v[92:93], v[117:118], v[90:91], v[119:120]
	v_div_scale_f64 v[97:98], s[20:21], v[92:93], v[92:93], 1.0
	v_div_scale_f64 v[103:104], vcc, 1.0, v[92:93], 1.0
	v_rcp_f64_e32 v[99:100], v[97:98]
	v_fma_f64 v[101:102], -v[97:98], v[99:100], 1.0
	v_fma_f64 v[99:100], v[99:100], v[101:102], v[99:100]
	v_fma_f64 v[101:102], -v[97:98], v[99:100], 1.0
	v_fma_f64 v[99:100], v[99:100], v[101:102], v[99:100]
	v_mul_f64 v[101:102], v[103:104], v[99:100]
	v_fma_f64 v[97:98], -v[97:98], v[101:102], v[103:104]
	v_div_fmas_f64 v[97:98], v[97:98], v[99:100], v[101:102]
	v_div_fixup_f64 v[119:120], v[97:98], v[92:93], 1.0
	v_mul_f64 v[117:118], v[90:91], v[119:120]
	v_xor_b32_e32 v120, 0x80000000, v120
.LBB112_595:
	s_andn2_saveexec_b64 s[18:19], s[18:19]
	s_cbranch_execz .LBB112_597
; %bb.596:
	v_div_scale_f64 v[90:91], s[20:21], v[117:118], v[117:118], v[119:120]
	v_rcp_f64_e32 v[92:93], v[90:91]
	v_fma_f64 v[97:98], -v[90:91], v[92:93], 1.0
	v_fma_f64 v[92:93], v[92:93], v[97:98], v[92:93]
	v_div_scale_f64 v[97:98], vcc, v[119:120], v[117:118], v[119:120]
	v_fma_f64 v[99:100], -v[90:91], v[92:93], 1.0
	v_fma_f64 v[92:93], v[92:93], v[99:100], v[92:93]
	v_mul_f64 v[99:100], v[97:98], v[92:93]
	v_fma_f64 v[90:91], -v[90:91], v[99:100], v[97:98]
	v_div_fmas_f64 v[90:91], v[90:91], v[92:93], v[99:100]
	v_div_fixup_f64 v[90:91], v[90:91], v[117:118], v[119:120]
	v_fma_f64 v[92:93], v[119:120], v[90:91], v[117:118]
	v_div_scale_f64 v[97:98], s[20:21], v[92:93], v[92:93], 1.0
	v_div_scale_f64 v[103:104], vcc, 1.0, v[92:93], 1.0
	v_rcp_f64_e32 v[99:100], v[97:98]
	v_fma_f64 v[101:102], -v[97:98], v[99:100], 1.0
	v_fma_f64 v[99:100], v[99:100], v[101:102], v[99:100]
	v_fma_f64 v[101:102], -v[97:98], v[99:100], 1.0
	v_fma_f64 v[99:100], v[99:100], v[101:102], v[99:100]
	v_mul_f64 v[101:102], v[103:104], v[99:100]
	v_fma_f64 v[97:98], -v[97:98], v[101:102], v[103:104]
	v_div_fmas_f64 v[97:98], v[97:98], v[99:100], v[101:102]
	v_div_fixup_f64 v[117:118], v[97:98], v[92:93], 1.0
	v_mul_f64 v[119:120], v[90:91], -v[117:118]
.LBB112_597:
	s_or_b64 exec, exec, s[18:19]
.LBB112_598:
	s_or_b64 exec, exec, s[0:1]
	v_cmp_ne_u32_e32 vcc, v96, v89
	s_and_saveexec_b64 s[0:1], vcc
	s_xor_b64 s[0:1], exec, s[0:1]
	s_cbranch_execz .LBB112_604
; %bb.599:
	v_cmp_eq_u32_e32 vcc, 28, v96
	s_and_saveexec_b64 s[18:19], vcc
	s_cbranch_execz .LBB112_603
; %bb.600:
	v_cmp_ne_u32_e32 vcc, 28, v89
	s_xor_b64 s[20:21], s[6:7], -1
	s_and_b64 s[22:23], s[20:21], vcc
	s_and_saveexec_b64 s[20:21], s[22:23]
	s_cbranch_execz .LBB112_602
; %bb.601:
	v_mov_b32_e32 v57, v81
	v_mov_b32_e32 v58, v82
	;; [unrolled: 1-line block ×4, first 2 shown]
	buffer_load_dword v81, off, s[24:27], 0 offset:464 ; 4-byte Folded Reload
	buffer_load_dword v82, off, s[24:27], 0 offset:468 ; 4-byte Folded Reload
	v_ashrrev_i32_e32 v90, 31, v89
	v_lshlrev_b64 v[90:91], 2, v[89:90]
	s_waitcnt vmcnt(1)
	v_add_co_u32_e32 v90, vcc, v81, v90
	s_waitcnt vmcnt(0)
	v_addc_co_u32_e32 v91, vcc, v82, v91, vcc
	global_load_dword v92, v[90:91], off
	global_load_dword v93, v[81:82], off offset:112
	s_waitcnt vmcnt(1)
	global_store_dword v[81:82], v92, off offset:112
	v_mov_b32_e32 v84, v60
	v_mov_b32_e32 v83, v59
	;; [unrolled: 1-line block ×4, first 2 shown]
	s_waitcnt vmcnt(1)
	global_store_dword v[90:91], v93, off
.LBB112_602:
	s_or_b64 exec, exec, s[20:21]
	v_mov_b32_e32 v96, v89
	v_mov_b32_e32 v127, v89
.LBB112_603:
	s_or_b64 exec, exec, s[18:19]
.LBB112_604:
	s_andn2_saveexec_b64 s[0:1], s[0:1]
	s_cbranch_execz .LBB112_606
; %bb.605:
	buffer_load_dword v57, off, s[24:27], 0 offset:48 ; 4-byte Folded Reload
	buffer_load_dword v58, off, s[24:27], 0 offset:52 ; 4-byte Folded Reload
	;; [unrolled: 1-line block ×4, first 2 shown]
	v_mov_b32_e32 v96, 28
	s_waitcnt vmcnt(0)
	ds_write2_b64 v0, v[57:58], v[59:60] offset0:58 offset1:59
	buffer_load_dword v57, off, s[24:27], 0 offset:32 ; 4-byte Folded Reload
	buffer_load_dword v58, off, s[24:27], 0 offset:36 ; 4-byte Folded Reload
	;; [unrolled: 1-line block ×4, first 2 shown]
	s_waitcnt vmcnt(0)
	ds_write2_b64 v0, v[57:58], v[59:60] offset0:60 offset1:61
	buffer_load_dword v57, off, s[24:27], 0 offset:16 ; 4-byte Folded Reload
	buffer_load_dword v58, off, s[24:27], 0 offset:20 ; 4-byte Folded Reload
	;; [unrolled: 1-line block ×4, first 2 shown]
	s_waitcnt vmcnt(0)
	ds_write2_b64 v0, v[57:58], v[59:60] offset0:62 offset1:63
	ds_write2_b64 v0, v[81:82], v[83:84] offset0:64 offset1:65
	;; [unrolled: 1-line block ×10, first 2 shown]
	buffer_load_dword v57, off, s[24:27], 0 ; 4-byte Folded Reload
	buffer_load_dword v58, off, s[24:27], 0 offset:4 ; 4-byte Folded Reload
	buffer_load_dword v59, off, s[24:27], 0 offset:8 ; 4-byte Folded Reload
	;; [unrolled: 1-line block ×3, first 2 shown]
	s_waitcnt vmcnt(0)
	ds_write2_b64 v0, v[57:58], v[59:60] offset0:82 offset1:83
	ds_write2_b64 v0, v[53:54], v[55:56] offset0:84 offset1:85
	;; [unrolled: 1-line block ×16, first 2 shown]
.LBB112_606:
	s_or_b64 exec, exec, s[0:1]
	v_cmp_lt_i32_e32 vcc, 28, v96
	s_waitcnt vmcnt(0) lgkmcnt(0)
	s_barrier
	s_and_saveexec_b64 s[0:1], vcc
	s_cbranch_execz .LBB112_608
; %bb.607:
	buffer_load_dword v97, off, s[24:27], 0 offset:64 ; 4-byte Folded Reload
	buffer_load_dword v98, off, s[24:27], 0 offset:68 ; 4-byte Folded Reload
	buffer_load_dword v99, off, s[24:27], 0 offset:72 ; 4-byte Folded Reload
	buffer_load_dword v100, off, s[24:27], 0 offset:76 ; 4-byte Folded Reload
	s_waitcnt vmcnt(0)
	v_mul_f64 v[91:92], v[117:118], v[99:100]
	v_mul_f64 v[89:90], v[119:120], v[99:100]
	v_fma_f64 v[99:100], v[119:120], v[97:98], v[91:92]
	ds_read2_b64 v[91:94], v0 offset0:58 offset1:59
	buffer_load_dword v57, off, s[24:27], 0 offset:48 ; 4-byte Folded Reload
	buffer_load_dword v58, off, s[24:27], 0 offset:52 ; 4-byte Folded Reload
	;; [unrolled: 1-line block ×4, first 2 shown]
	v_fma_f64 v[89:90], v[117:118], v[97:98], -v[89:90]
	s_waitcnt lgkmcnt(0)
	v_mul_f64 v[97:98], v[93:94], v[99:100]
	v_fma_f64 v[97:98], v[91:92], v[89:90], -v[97:98]
	v_mul_f64 v[91:92], v[91:92], v[99:100]
	v_fma_f64 v[91:92], v[93:94], v[89:90], v[91:92]
	s_waitcnt vmcnt(2)
	v_add_f64 v[57:58], v[57:58], -v[97:98]
	s_waitcnt vmcnt(0)
	v_add_f64 v[59:60], v[59:60], -v[91:92]
	buffer_store_dword v57, off, s[24:27], 0 offset:48 ; 4-byte Folded Spill
	s_nop 0
	buffer_store_dword v58, off, s[24:27], 0 offset:52 ; 4-byte Folded Spill
	buffer_store_dword v59, off, s[24:27], 0 offset:56 ; 4-byte Folded Spill
	buffer_store_dword v60, off, s[24:27], 0 offset:60 ; 4-byte Folded Spill
	ds_read2_b64 v[91:94], v0 offset0:60 offset1:61
	buffer_load_dword v57, off, s[24:27], 0 offset:32 ; 4-byte Folded Reload
	buffer_load_dword v58, off, s[24:27], 0 offset:36 ; 4-byte Folded Reload
	;; [unrolled: 1-line block ×4, first 2 shown]
	s_waitcnt lgkmcnt(0)
	v_mul_f64 v[97:98], v[93:94], v[99:100]
	v_fma_f64 v[97:98], v[91:92], v[89:90], -v[97:98]
	v_mul_f64 v[91:92], v[91:92], v[99:100]
	v_fma_f64 v[91:92], v[93:94], v[89:90], v[91:92]
	s_waitcnt vmcnt(2)
	v_add_f64 v[57:58], v[57:58], -v[97:98]
	s_waitcnt vmcnt(0)
	v_add_f64 v[59:60], v[59:60], -v[91:92]
	buffer_store_dword v57, off, s[24:27], 0 offset:32 ; 4-byte Folded Spill
	s_nop 0
	buffer_store_dword v58, off, s[24:27], 0 offset:36 ; 4-byte Folded Spill
	buffer_store_dword v59, off, s[24:27], 0 offset:40 ; 4-byte Folded Spill
	;; [unrolled: 1-line block ×3, first 2 shown]
	ds_read2_b64 v[91:94], v0 offset0:62 offset1:63
	buffer_load_dword v57, off, s[24:27], 0 offset:16 ; 4-byte Folded Reload
	buffer_load_dword v58, off, s[24:27], 0 offset:20 ; 4-byte Folded Reload
	;; [unrolled: 1-line block ×4, first 2 shown]
	s_waitcnt lgkmcnt(0)
	v_mul_f64 v[97:98], v[93:94], v[99:100]
	v_fma_f64 v[97:98], v[91:92], v[89:90], -v[97:98]
	v_mul_f64 v[91:92], v[91:92], v[99:100]
	v_fma_f64 v[91:92], v[93:94], v[89:90], v[91:92]
	s_waitcnt vmcnt(2)
	v_add_f64 v[57:58], v[57:58], -v[97:98]
	s_waitcnt vmcnt(0)
	v_add_f64 v[59:60], v[59:60], -v[91:92]
	buffer_store_dword v57, off, s[24:27], 0 offset:16 ; 4-byte Folded Spill
	s_nop 0
	buffer_store_dword v58, off, s[24:27], 0 offset:20 ; 4-byte Folded Spill
	buffer_store_dword v59, off, s[24:27], 0 offset:24 ; 4-byte Folded Spill
	;; [unrolled: 1-line block ×3, first 2 shown]
	ds_read2_b64 v[91:94], v0 offset0:64 offset1:65
	s_waitcnt lgkmcnt(0)
	v_mul_f64 v[97:98], v[93:94], v[99:100]
	v_fma_f64 v[97:98], v[91:92], v[89:90], -v[97:98]
	v_mul_f64 v[91:92], v[91:92], v[99:100]
	v_add_f64 v[81:82], v[81:82], -v[97:98]
	v_fma_f64 v[91:92], v[93:94], v[89:90], v[91:92]
	v_add_f64 v[83:84], v[83:84], -v[91:92]
	ds_read2_b64 v[91:94], v0 offset0:66 offset1:67
	s_waitcnt lgkmcnt(0)
	v_mul_f64 v[97:98], v[93:94], v[99:100]
	v_fma_f64 v[97:98], v[91:92], v[89:90], -v[97:98]
	v_mul_f64 v[91:92], v[91:92], v[99:100]
	v_add_f64 v[85:86], v[85:86], -v[97:98]
	v_fma_f64 v[91:92], v[93:94], v[89:90], v[91:92]
	v_add_f64 v[87:88], v[87:88], -v[91:92]
	;; [unrolled: 8-line block ×9, first 2 shown]
	ds_read2_b64 v[91:94], v0 offset0:82 offset1:83
	buffer_load_dword v57, off, s[24:27], 0 ; 4-byte Folded Reload
	buffer_load_dword v58, off, s[24:27], 0 offset:4 ; 4-byte Folded Reload
	buffer_load_dword v59, off, s[24:27], 0 offset:8 ; 4-byte Folded Reload
	;; [unrolled: 1-line block ×3, first 2 shown]
	s_waitcnt lgkmcnt(0)
	v_mul_f64 v[97:98], v[93:94], v[99:100]
	v_fma_f64 v[97:98], v[91:92], v[89:90], -v[97:98]
	v_mul_f64 v[91:92], v[91:92], v[99:100]
	v_fma_f64 v[91:92], v[93:94], v[89:90], v[91:92]
	s_waitcnt vmcnt(2)
	v_add_f64 v[57:58], v[57:58], -v[97:98]
	s_waitcnt vmcnt(0)
	v_add_f64 v[59:60], v[59:60], -v[91:92]
	buffer_store_dword v57, off, s[24:27], 0 ; 4-byte Folded Spill
	s_nop 0
	buffer_store_dword v58, off, s[24:27], 0 offset:4 ; 4-byte Folded Spill
	buffer_store_dword v59, off, s[24:27], 0 offset:8 ; 4-byte Folded Spill
	;; [unrolled: 1-line block ×3, first 2 shown]
	ds_read2_b64 v[91:94], v0 offset0:84 offset1:85
	s_waitcnt lgkmcnt(0)
	v_mul_f64 v[97:98], v[93:94], v[99:100]
	v_fma_f64 v[97:98], v[91:92], v[89:90], -v[97:98]
	v_mul_f64 v[91:92], v[91:92], v[99:100]
	v_add_f64 v[53:54], v[53:54], -v[97:98]
	v_fma_f64 v[91:92], v[93:94], v[89:90], v[91:92]
	v_add_f64 v[55:56], v[55:56], -v[91:92]
	ds_read2_b64 v[91:94], v0 offset0:86 offset1:87
	s_waitcnt lgkmcnt(0)
	v_mul_f64 v[97:98], v[93:94], v[99:100]
	v_fma_f64 v[97:98], v[91:92], v[89:90], -v[97:98]
	v_mul_f64 v[91:92], v[91:92], v[99:100]
	v_add_f64 v[49:50], v[49:50], -v[97:98]
	v_fma_f64 v[91:92], v[93:94], v[89:90], v[91:92]
	v_add_f64 v[51:52], v[51:52], -v[91:92]
	;; [unrolled: 8-line block ×14, first 2 shown]
	ds_read2_b64 v[91:94], v0 offset0:112 offset1:113
	s_waitcnt lgkmcnt(0)
	v_mul_f64 v[97:98], v[93:94], v[99:100]
	v_fma_f64 v[97:98], v[91:92], v[89:90], -v[97:98]
	v_mul_f64 v[91:92], v[91:92], v[99:100]
	v_add_f64 v[121:122], v[121:122], -v[97:98]
	v_fma_f64 v[91:92], v[93:94], v[89:90], v[91:92]
	v_mov_b32_e32 v98, v90
	v_mov_b32_e32 v97, v89
	buffer_store_dword v97, off, s[24:27], 0 offset:64 ; 4-byte Folded Spill
	s_nop 0
	buffer_store_dword v98, off, s[24:27], 0 offset:68 ; 4-byte Folded Spill
	buffer_store_dword v99, off, s[24:27], 0 offset:72 ; 4-byte Folded Spill
	;; [unrolled: 1-line block ×3, first 2 shown]
	v_add_f64 v[123:124], v[123:124], -v[91:92]
.LBB112_608:
	s_or_b64 exec, exec, s[0:1]
	s_waitcnt vmcnt(0)
	s_barrier
	buffer_load_dword v57, off, s[24:27], 0 offset:48 ; 4-byte Folded Reload
	buffer_load_dword v58, off, s[24:27], 0 offset:52 ; 4-byte Folded Reload
	;; [unrolled: 1-line block ×4, first 2 shown]
	v_lshl_add_u32 v89, v96, 4, v0
	s_cmp_lt_i32 s3, 31
	s_waitcnt vmcnt(0)
	ds_write2_b64 v89, v[57:58], v[59:60] offset1:1
	s_waitcnt lgkmcnt(0)
	s_barrier
	ds_read2_b64 v[117:120], v0 offset0:58 offset1:59
	v_mov_b32_e32 v89, 29
	s_cbranch_scc1 .LBB112_611
; %bb.609:
	v_add_u32_e32 v90, 0x1e0, v0
	s_mov_b32 s0, 30
	v_mov_b32_e32 v89, 29
.LBB112_610:                            ; =>This Inner Loop Header: Depth=1
	s_waitcnt lgkmcnt(0)
	v_cmp_gt_f64_e32 vcc, 0, v[117:118]
	v_xor_b32_e32 v97, 0x80000000, v118
	ds_read2_b64 v[91:94], v90 offset1:1
	v_xor_b32_e32 v99, 0x80000000, v120
	v_add_u32_e32 v90, 16, v90
	s_waitcnt lgkmcnt(0)
	v_xor_b32_e32 v101, 0x80000000, v94
	v_cndmask_b32_e32 v98, v118, v97, vcc
	v_cmp_gt_f64_e32 vcc, 0, v[119:120]
	v_mov_b32_e32 v97, v117
	v_cndmask_b32_e32 v100, v120, v99, vcc
	v_cmp_gt_f64_e32 vcc, 0, v[91:92]
	v_mov_b32_e32 v99, v119
	v_add_f64 v[97:98], v[97:98], v[99:100]
	v_xor_b32_e32 v99, 0x80000000, v92
	v_cndmask_b32_e32 v100, v92, v99, vcc
	v_cmp_gt_f64_e32 vcc, 0, v[93:94]
	v_mov_b32_e32 v99, v91
	v_cndmask_b32_e32 v102, v94, v101, vcc
	v_mov_b32_e32 v101, v93
	v_add_f64 v[99:100], v[99:100], v[101:102]
	v_cmp_lt_f64_e32 vcc, v[97:98], v[99:100]
	v_cndmask_b32_e32 v117, v117, v91, vcc
	v_mov_b32_e32 v91, s0
	s_add_i32 s0, s0, 1
	v_cndmask_b32_e32 v118, v118, v92, vcc
	v_cndmask_b32_e32 v120, v120, v94, vcc
	;; [unrolled: 1-line block ×4, first 2 shown]
	s_cmp_lg_u32 s3, s0
	s_cbranch_scc1 .LBB112_610
.LBB112_611:
	s_waitcnt lgkmcnt(0)
	v_cmp_eq_f64_e32 vcc, 0, v[117:118]
	v_cmp_eq_f64_e64 s[0:1], 0, v[119:120]
	s_and_b64 s[0:1], vcc, s[0:1]
	s_and_saveexec_b64 s[18:19], s[0:1]
	s_xor_b64 s[0:1], exec, s[18:19]
; %bb.612:
	v_cmp_ne_u32_e32 vcc, 0, v95
	v_cndmask_b32_e32 v95, 30, v95, vcc
; %bb.613:
	s_andn2_saveexec_b64 s[0:1], s[0:1]
	s_cbranch_execz .LBB112_619
; %bb.614:
	v_cmp_ngt_f64_e64 s[18:19], |v[117:118]|, |v[119:120]|
	s_and_saveexec_b64 s[20:21], s[18:19]
	s_xor_b64 s[18:19], exec, s[20:21]
	s_cbranch_execz .LBB112_616
; %bb.615:
	v_div_scale_f64 v[90:91], s[20:21], v[119:120], v[119:120], v[117:118]
	v_rcp_f64_e32 v[92:93], v[90:91]
	v_fma_f64 v[97:98], -v[90:91], v[92:93], 1.0
	v_fma_f64 v[92:93], v[92:93], v[97:98], v[92:93]
	v_div_scale_f64 v[97:98], vcc, v[117:118], v[119:120], v[117:118]
	v_fma_f64 v[99:100], -v[90:91], v[92:93], 1.0
	v_fma_f64 v[92:93], v[92:93], v[99:100], v[92:93]
	v_mul_f64 v[99:100], v[97:98], v[92:93]
	v_fma_f64 v[90:91], -v[90:91], v[99:100], v[97:98]
	v_div_fmas_f64 v[90:91], v[90:91], v[92:93], v[99:100]
	v_div_fixup_f64 v[90:91], v[90:91], v[119:120], v[117:118]
	v_fma_f64 v[92:93], v[117:118], v[90:91], v[119:120]
	v_div_scale_f64 v[97:98], s[20:21], v[92:93], v[92:93], 1.0
	v_div_scale_f64 v[103:104], vcc, 1.0, v[92:93], 1.0
	v_rcp_f64_e32 v[99:100], v[97:98]
	v_fma_f64 v[101:102], -v[97:98], v[99:100], 1.0
	v_fma_f64 v[99:100], v[99:100], v[101:102], v[99:100]
	v_fma_f64 v[101:102], -v[97:98], v[99:100], 1.0
	v_fma_f64 v[99:100], v[99:100], v[101:102], v[99:100]
	v_mul_f64 v[101:102], v[103:104], v[99:100]
	v_fma_f64 v[97:98], -v[97:98], v[101:102], v[103:104]
	v_div_fmas_f64 v[97:98], v[97:98], v[99:100], v[101:102]
	v_div_fixup_f64 v[119:120], v[97:98], v[92:93], 1.0
	v_mul_f64 v[117:118], v[90:91], v[119:120]
	v_xor_b32_e32 v120, 0x80000000, v120
.LBB112_616:
	s_andn2_saveexec_b64 s[18:19], s[18:19]
	s_cbranch_execz .LBB112_618
; %bb.617:
	v_div_scale_f64 v[90:91], s[20:21], v[117:118], v[117:118], v[119:120]
	v_rcp_f64_e32 v[92:93], v[90:91]
	v_fma_f64 v[97:98], -v[90:91], v[92:93], 1.0
	v_fma_f64 v[92:93], v[92:93], v[97:98], v[92:93]
	v_div_scale_f64 v[97:98], vcc, v[119:120], v[117:118], v[119:120]
	v_fma_f64 v[99:100], -v[90:91], v[92:93], 1.0
	v_fma_f64 v[92:93], v[92:93], v[99:100], v[92:93]
	v_mul_f64 v[99:100], v[97:98], v[92:93]
	v_fma_f64 v[90:91], -v[90:91], v[99:100], v[97:98]
	v_div_fmas_f64 v[90:91], v[90:91], v[92:93], v[99:100]
	v_div_fixup_f64 v[90:91], v[90:91], v[117:118], v[119:120]
	v_fma_f64 v[92:93], v[119:120], v[90:91], v[117:118]
	v_div_scale_f64 v[97:98], s[20:21], v[92:93], v[92:93], 1.0
	v_div_scale_f64 v[103:104], vcc, 1.0, v[92:93], 1.0
	v_rcp_f64_e32 v[99:100], v[97:98]
	v_fma_f64 v[101:102], -v[97:98], v[99:100], 1.0
	v_fma_f64 v[99:100], v[99:100], v[101:102], v[99:100]
	v_fma_f64 v[101:102], -v[97:98], v[99:100], 1.0
	v_fma_f64 v[99:100], v[99:100], v[101:102], v[99:100]
	v_mul_f64 v[101:102], v[103:104], v[99:100]
	v_fma_f64 v[97:98], -v[97:98], v[101:102], v[103:104]
	v_div_fmas_f64 v[97:98], v[97:98], v[99:100], v[101:102]
	v_div_fixup_f64 v[117:118], v[97:98], v[92:93], 1.0
	v_mul_f64 v[119:120], v[90:91], -v[117:118]
.LBB112_618:
	s_or_b64 exec, exec, s[18:19]
.LBB112_619:
	s_or_b64 exec, exec, s[0:1]
	v_cmp_ne_u32_e32 vcc, v96, v89
	s_and_saveexec_b64 s[0:1], vcc
	s_xor_b64 s[0:1], exec, s[0:1]
	s_cbranch_execz .LBB112_625
; %bb.620:
	v_cmp_eq_u32_e32 vcc, 29, v96
	s_and_saveexec_b64 s[18:19], vcc
	s_cbranch_execz .LBB112_624
; %bb.621:
	v_cmp_ne_u32_e32 vcc, 29, v89
	s_xor_b64 s[20:21], s[6:7], -1
	s_and_b64 s[22:23], s[20:21], vcc
	s_and_saveexec_b64 s[20:21], s[22:23]
	s_cbranch_execz .LBB112_623
; %bb.622:
	v_mov_b32_e32 v57, v81
	v_mov_b32_e32 v58, v82
	;; [unrolled: 1-line block ×4, first 2 shown]
	buffer_load_dword v81, off, s[24:27], 0 offset:464 ; 4-byte Folded Reload
	buffer_load_dword v82, off, s[24:27], 0 offset:468 ; 4-byte Folded Reload
	v_ashrrev_i32_e32 v90, 31, v89
	v_lshlrev_b64 v[90:91], 2, v[89:90]
	s_waitcnt vmcnt(1)
	v_add_co_u32_e32 v90, vcc, v81, v90
	s_waitcnt vmcnt(0)
	v_addc_co_u32_e32 v91, vcc, v82, v91, vcc
	global_load_dword v92, v[90:91], off
	global_load_dword v93, v[81:82], off offset:116
	s_waitcnt vmcnt(1)
	global_store_dword v[81:82], v92, off offset:116
	v_mov_b32_e32 v84, v60
	v_mov_b32_e32 v83, v59
	v_mov_b32_e32 v82, v58
	v_mov_b32_e32 v81, v57
	s_waitcnt vmcnt(1)
	global_store_dword v[90:91], v93, off
.LBB112_623:
	s_or_b64 exec, exec, s[20:21]
	v_mov_b32_e32 v96, v89
	v_mov_b32_e32 v127, v89
.LBB112_624:
	s_or_b64 exec, exec, s[18:19]
.LBB112_625:
	s_andn2_saveexec_b64 s[0:1], s[0:1]
	s_cbranch_execz .LBB112_627
; %bb.626:
	buffer_load_dword v57, off, s[24:27], 0 offset:32 ; 4-byte Folded Reload
	buffer_load_dword v58, off, s[24:27], 0 offset:36 ; 4-byte Folded Reload
	;; [unrolled: 1-line block ×4, first 2 shown]
	v_mov_b32_e32 v96, 29
	s_waitcnt vmcnt(0)
	ds_write2_b64 v0, v[57:58], v[59:60] offset0:60 offset1:61
	buffer_load_dword v57, off, s[24:27], 0 offset:16 ; 4-byte Folded Reload
	buffer_load_dword v58, off, s[24:27], 0 offset:20 ; 4-byte Folded Reload
	;; [unrolled: 1-line block ×4, first 2 shown]
	s_waitcnt vmcnt(0)
	ds_write2_b64 v0, v[57:58], v[59:60] offset0:62 offset1:63
	ds_write2_b64 v0, v[81:82], v[83:84] offset0:64 offset1:65
	;; [unrolled: 1-line block ×10, first 2 shown]
	buffer_load_dword v57, off, s[24:27], 0 ; 4-byte Folded Reload
	buffer_load_dword v58, off, s[24:27], 0 offset:4 ; 4-byte Folded Reload
	buffer_load_dword v59, off, s[24:27], 0 offset:8 ; 4-byte Folded Reload
	buffer_load_dword v60, off, s[24:27], 0 offset:12 ; 4-byte Folded Reload
	s_waitcnt vmcnt(0)
	ds_write2_b64 v0, v[57:58], v[59:60] offset0:82 offset1:83
	ds_write2_b64 v0, v[53:54], v[55:56] offset0:84 offset1:85
	;; [unrolled: 1-line block ×16, first 2 shown]
.LBB112_627:
	s_or_b64 exec, exec, s[0:1]
	v_cmp_lt_i32_e32 vcc, 29, v96
	s_waitcnt vmcnt(0) lgkmcnt(0)
	s_barrier
	s_and_saveexec_b64 s[0:1], vcc
	s_cbranch_execz .LBB112_629
; %bb.628:
	buffer_load_dword v97, off, s[24:27], 0 offset:48 ; 4-byte Folded Reload
	buffer_load_dword v98, off, s[24:27], 0 offset:52 ; 4-byte Folded Reload
	;; [unrolled: 1-line block ×4, first 2 shown]
	s_waitcnt vmcnt(0)
	v_mul_f64 v[91:92], v[117:118], v[99:100]
	v_mul_f64 v[89:90], v[119:120], v[99:100]
	v_fma_f64 v[99:100], v[119:120], v[97:98], v[91:92]
	ds_read2_b64 v[91:94], v0 offset0:60 offset1:61
	buffer_load_dword v57, off, s[24:27], 0 offset:32 ; 4-byte Folded Reload
	buffer_load_dword v58, off, s[24:27], 0 offset:36 ; 4-byte Folded Reload
	;; [unrolled: 1-line block ×4, first 2 shown]
	v_fma_f64 v[89:90], v[117:118], v[97:98], -v[89:90]
	s_waitcnt lgkmcnt(0)
	v_mul_f64 v[97:98], v[93:94], v[99:100]
	v_fma_f64 v[97:98], v[91:92], v[89:90], -v[97:98]
	v_mul_f64 v[91:92], v[91:92], v[99:100]
	v_fma_f64 v[91:92], v[93:94], v[89:90], v[91:92]
	s_waitcnt vmcnt(2)
	v_add_f64 v[57:58], v[57:58], -v[97:98]
	s_waitcnt vmcnt(0)
	v_add_f64 v[59:60], v[59:60], -v[91:92]
	buffer_store_dword v57, off, s[24:27], 0 offset:32 ; 4-byte Folded Spill
	s_nop 0
	buffer_store_dword v58, off, s[24:27], 0 offset:36 ; 4-byte Folded Spill
	buffer_store_dword v59, off, s[24:27], 0 offset:40 ; 4-byte Folded Spill
	;; [unrolled: 1-line block ×3, first 2 shown]
	ds_read2_b64 v[91:94], v0 offset0:62 offset1:63
	buffer_load_dword v57, off, s[24:27], 0 offset:16 ; 4-byte Folded Reload
	buffer_load_dword v58, off, s[24:27], 0 offset:20 ; 4-byte Folded Reload
	;; [unrolled: 1-line block ×4, first 2 shown]
	s_waitcnt lgkmcnt(0)
	v_mul_f64 v[97:98], v[93:94], v[99:100]
	v_fma_f64 v[97:98], v[91:92], v[89:90], -v[97:98]
	v_mul_f64 v[91:92], v[91:92], v[99:100]
	v_fma_f64 v[91:92], v[93:94], v[89:90], v[91:92]
	s_waitcnt vmcnt(2)
	v_add_f64 v[57:58], v[57:58], -v[97:98]
	s_waitcnt vmcnt(0)
	v_add_f64 v[59:60], v[59:60], -v[91:92]
	buffer_store_dword v57, off, s[24:27], 0 offset:16 ; 4-byte Folded Spill
	s_nop 0
	buffer_store_dword v58, off, s[24:27], 0 offset:20 ; 4-byte Folded Spill
	buffer_store_dword v59, off, s[24:27], 0 offset:24 ; 4-byte Folded Spill
	;; [unrolled: 1-line block ×3, first 2 shown]
	ds_read2_b64 v[91:94], v0 offset0:64 offset1:65
	s_waitcnt lgkmcnt(0)
	v_mul_f64 v[97:98], v[93:94], v[99:100]
	v_fma_f64 v[97:98], v[91:92], v[89:90], -v[97:98]
	v_mul_f64 v[91:92], v[91:92], v[99:100]
	v_add_f64 v[81:82], v[81:82], -v[97:98]
	v_fma_f64 v[91:92], v[93:94], v[89:90], v[91:92]
	v_add_f64 v[83:84], v[83:84], -v[91:92]
	ds_read2_b64 v[91:94], v0 offset0:66 offset1:67
	s_waitcnt lgkmcnt(0)
	v_mul_f64 v[97:98], v[93:94], v[99:100]
	v_fma_f64 v[97:98], v[91:92], v[89:90], -v[97:98]
	v_mul_f64 v[91:92], v[91:92], v[99:100]
	v_add_f64 v[85:86], v[85:86], -v[97:98]
	v_fma_f64 v[91:92], v[93:94], v[89:90], v[91:92]
	v_add_f64 v[87:88], v[87:88], -v[91:92]
	;; [unrolled: 8-line block ×9, first 2 shown]
	ds_read2_b64 v[91:94], v0 offset0:82 offset1:83
	buffer_load_dword v57, off, s[24:27], 0 ; 4-byte Folded Reload
	buffer_load_dword v58, off, s[24:27], 0 offset:4 ; 4-byte Folded Reload
	buffer_load_dword v59, off, s[24:27], 0 offset:8 ; 4-byte Folded Reload
	;; [unrolled: 1-line block ×3, first 2 shown]
	s_waitcnt lgkmcnt(0)
	v_mul_f64 v[97:98], v[93:94], v[99:100]
	v_fma_f64 v[97:98], v[91:92], v[89:90], -v[97:98]
	v_mul_f64 v[91:92], v[91:92], v[99:100]
	v_fma_f64 v[91:92], v[93:94], v[89:90], v[91:92]
	s_waitcnt vmcnt(2)
	v_add_f64 v[57:58], v[57:58], -v[97:98]
	s_waitcnt vmcnt(0)
	v_add_f64 v[59:60], v[59:60], -v[91:92]
	buffer_store_dword v57, off, s[24:27], 0 ; 4-byte Folded Spill
	s_nop 0
	buffer_store_dword v58, off, s[24:27], 0 offset:4 ; 4-byte Folded Spill
	buffer_store_dword v59, off, s[24:27], 0 offset:8 ; 4-byte Folded Spill
	;; [unrolled: 1-line block ×3, first 2 shown]
	ds_read2_b64 v[91:94], v0 offset0:84 offset1:85
	s_waitcnt lgkmcnt(0)
	v_mul_f64 v[97:98], v[93:94], v[99:100]
	v_fma_f64 v[97:98], v[91:92], v[89:90], -v[97:98]
	v_mul_f64 v[91:92], v[91:92], v[99:100]
	v_add_f64 v[53:54], v[53:54], -v[97:98]
	v_fma_f64 v[91:92], v[93:94], v[89:90], v[91:92]
	v_add_f64 v[55:56], v[55:56], -v[91:92]
	ds_read2_b64 v[91:94], v0 offset0:86 offset1:87
	s_waitcnt lgkmcnt(0)
	v_mul_f64 v[97:98], v[93:94], v[99:100]
	v_fma_f64 v[97:98], v[91:92], v[89:90], -v[97:98]
	v_mul_f64 v[91:92], v[91:92], v[99:100]
	v_add_f64 v[49:50], v[49:50], -v[97:98]
	v_fma_f64 v[91:92], v[93:94], v[89:90], v[91:92]
	v_add_f64 v[51:52], v[51:52], -v[91:92]
	;; [unrolled: 8-line block ×14, first 2 shown]
	ds_read2_b64 v[91:94], v0 offset0:112 offset1:113
	s_waitcnt lgkmcnt(0)
	v_mul_f64 v[97:98], v[93:94], v[99:100]
	v_fma_f64 v[97:98], v[91:92], v[89:90], -v[97:98]
	v_mul_f64 v[91:92], v[91:92], v[99:100]
	v_add_f64 v[121:122], v[121:122], -v[97:98]
	v_fma_f64 v[91:92], v[93:94], v[89:90], v[91:92]
	v_mov_b32_e32 v98, v90
	v_mov_b32_e32 v97, v89
	buffer_store_dword v97, off, s[24:27], 0 offset:48 ; 4-byte Folded Spill
	s_nop 0
	buffer_store_dword v98, off, s[24:27], 0 offset:52 ; 4-byte Folded Spill
	buffer_store_dword v99, off, s[24:27], 0 offset:56 ; 4-byte Folded Spill
	;; [unrolled: 1-line block ×3, first 2 shown]
	v_add_f64 v[123:124], v[123:124], -v[91:92]
.LBB112_629:
	s_or_b64 exec, exec, s[0:1]
	s_waitcnt vmcnt(0)
	s_barrier
	buffer_load_dword v57, off, s[24:27], 0 offset:32 ; 4-byte Folded Reload
	buffer_load_dword v58, off, s[24:27], 0 offset:36 ; 4-byte Folded Reload
	buffer_load_dword v59, off, s[24:27], 0 offset:40 ; 4-byte Folded Reload
	buffer_load_dword v60, off, s[24:27], 0 offset:44 ; 4-byte Folded Reload
	v_lshl_add_u32 v89, v96, 4, v0
	s_cmp_lt_i32 s3, 32
	s_waitcnt vmcnt(0)
	ds_write2_b64 v89, v[57:58], v[59:60] offset1:1
	s_waitcnt lgkmcnt(0)
	s_barrier
	ds_read2_b64 v[117:120], v0 offset0:60 offset1:61
	v_mov_b32_e32 v89, 30
	s_cbranch_scc1 .LBB112_632
; %bb.630:
	v_add_u32_e32 v90, 0x1f0, v0
	s_mov_b32 s0, 31
	v_mov_b32_e32 v89, 30
.LBB112_631:                            ; =>This Inner Loop Header: Depth=1
	s_waitcnt lgkmcnt(0)
	v_cmp_gt_f64_e32 vcc, 0, v[117:118]
	v_xor_b32_e32 v97, 0x80000000, v118
	ds_read2_b64 v[91:94], v90 offset1:1
	v_xor_b32_e32 v99, 0x80000000, v120
	v_add_u32_e32 v90, 16, v90
	s_waitcnt lgkmcnt(0)
	v_xor_b32_e32 v101, 0x80000000, v94
	v_cndmask_b32_e32 v98, v118, v97, vcc
	v_cmp_gt_f64_e32 vcc, 0, v[119:120]
	v_mov_b32_e32 v97, v117
	v_cndmask_b32_e32 v100, v120, v99, vcc
	v_cmp_gt_f64_e32 vcc, 0, v[91:92]
	v_mov_b32_e32 v99, v119
	v_add_f64 v[97:98], v[97:98], v[99:100]
	v_xor_b32_e32 v99, 0x80000000, v92
	v_cndmask_b32_e32 v100, v92, v99, vcc
	v_cmp_gt_f64_e32 vcc, 0, v[93:94]
	v_mov_b32_e32 v99, v91
	v_cndmask_b32_e32 v102, v94, v101, vcc
	v_mov_b32_e32 v101, v93
	v_add_f64 v[99:100], v[99:100], v[101:102]
	v_cmp_lt_f64_e32 vcc, v[97:98], v[99:100]
	v_cndmask_b32_e32 v117, v117, v91, vcc
	v_mov_b32_e32 v91, s0
	s_add_i32 s0, s0, 1
	v_cndmask_b32_e32 v118, v118, v92, vcc
	v_cndmask_b32_e32 v120, v120, v94, vcc
	;; [unrolled: 1-line block ×4, first 2 shown]
	s_cmp_lg_u32 s3, s0
	s_cbranch_scc1 .LBB112_631
.LBB112_632:
	s_waitcnt lgkmcnt(0)
	v_cmp_eq_f64_e32 vcc, 0, v[117:118]
	v_cmp_eq_f64_e64 s[0:1], 0, v[119:120]
	s_and_b64 s[0:1], vcc, s[0:1]
	s_and_saveexec_b64 s[18:19], s[0:1]
	s_xor_b64 s[0:1], exec, s[18:19]
; %bb.633:
	v_cmp_ne_u32_e32 vcc, 0, v95
	v_cndmask_b32_e32 v95, 31, v95, vcc
; %bb.634:
	s_andn2_saveexec_b64 s[0:1], s[0:1]
	s_cbranch_execz .LBB112_640
; %bb.635:
	v_cmp_ngt_f64_e64 s[18:19], |v[117:118]|, |v[119:120]|
	s_and_saveexec_b64 s[20:21], s[18:19]
	s_xor_b64 s[18:19], exec, s[20:21]
	s_cbranch_execz .LBB112_637
; %bb.636:
	v_div_scale_f64 v[90:91], s[20:21], v[119:120], v[119:120], v[117:118]
	v_rcp_f64_e32 v[92:93], v[90:91]
	v_fma_f64 v[97:98], -v[90:91], v[92:93], 1.0
	v_fma_f64 v[92:93], v[92:93], v[97:98], v[92:93]
	v_div_scale_f64 v[97:98], vcc, v[117:118], v[119:120], v[117:118]
	v_fma_f64 v[99:100], -v[90:91], v[92:93], 1.0
	v_fma_f64 v[92:93], v[92:93], v[99:100], v[92:93]
	v_mul_f64 v[99:100], v[97:98], v[92:93]
	v_fma_f64 v[90:91], -v[90:91], v[99:100], v[97:98]
	v_div_fmas_f64 v[90:91], v[90:91], v[92:93], v[99:100]
	v_div_fixup_f64 v[90:91], v[90:91], v[119:120], v[117:118]
	v_fma_f64 v[92:93], v[117:118], v[90:91], v[119:120]
	v_div_scale_f64 v[97:98], s[20:21], v[92:93], v[92:93], 1.0
	v_div_scale_f64 v[103:104], vcc, 1.0, v[92:93], 1.0
	v_rcp_f64_e32 v[99:100], v[97:98]
	v_fma_f64 v[101:102], -v[97:98], v[99:100], 1.0
	v_fma_f64 v[99:100], v[99:100], v[101:102], v[99:100]
	v_fma_f64 v[101:102], -v[97:98], v[99:100], 1.0
	v_fma_f64 v[99:100], v[99:100], v[101:102], v[99:100]
	v_mul_f64 v[101:102], v[103:104], v[99:100]
	v_fma_f64 v[97:98], -v[97:98], v[101:102], v[103:104]
	v_div_fmas_f64 v[97:98], v[97:98], v[99:100], v[101:102]
	v_div_fixup_f64 v[119:120], v[97:98], v[92:93], 1.0
	v_mul_f64 v[117:118], v[90:91], v[119:120]
	v_xor_b32_e32 v120, 0x80000000, v120
.LBB112_637:
	s_andn2_saveexec_b64 s[18:19], s[18:19]
	s_cbranch_execz .LBB112_639
; %bb.638:
	v_div_scale_f64 v[90:91], s[20:21], v[117:118], v[117:118], v[119:120]
	v_rcp_f64_e32 v[92:93], v[90:91]
	v_fma_f64 v[97:98], -v[90:91], v[92:93], 1.0
	v_fma_f64 v[92:93], v[92:93], v[97:98], v[92:93]
	v_div_scale_f64 v[97:98], vcc, v[119:120], v[117:118], v[119:120]
	v_fma_f64 v[99:100], -v[90:91], v[92:93], 1.0
	v_fma_f64 v[92:93], v[92:93], v[99:100], v[92:93]
	v_mul_f64 v[99:100], v[97:98], v[92:93]
	v_fma_f64 v[90:91], -v[90:91], v[99:100], v[97:98]
	v_div_fmas_f64 v[90:91], v[90:91], v[92:93], v[99:100]
	v_div_fixup_f64 v[90:91], v[90:91], v[117:118], v[119:120]
	v_fma_f64 v[92:93], v[119:120], v[90:91], v[117:118]
	v_div_scale_f64 v[97:98], s[20:21], v[92:93], v[92:93], 1.0
	v_div_scale_f64 v[103:104], vcc, 1.0, v[92:93], 1.0
	v_rcp_f64_e32 v[99:100], v[97:98]
	v_fma_f64 v[101:102], -v[97:98], v[99:100], 1.0
	v_fma_f64 v[99:100], v[99:100], v[101:102], v[99:100]
	v_fma_f64 v[101:102], -v[97:98], v[99:100], 1.0
	v_fma_f64 v[99:100], v[99:100], v[101:102], v[99:100]
	v_mul_f64 v[101:102], v[103:104], v[99:100]
	v_fma_f64 v[97:98], -v[97:98], v[101:102], v[103:104]
	v_div_fmas_f64 v[97:98], v[97:98], v[99:100], v[101:102]
	v_div_fixup_f64 v[117:118], v[97:98], v[92:93], 1.0
	v_mul_f64 v[119:120], v[90:91], -v[117:118]
.LBB112_639:
	s_or_b64 exec, exec, s[18:19]
.LBB112_640:
	s_or_b64 exec, exec, s[0:1]
	v_cmp_ne_u32_e32 vcc, v96, v89
	s_and_saveexec_b64 s[0:1], vcc
	s_xor_b64 s[0:1], exec, s[0:1]
	s_cbranch_execz .LBB112_646
; %bb.641:
	v_cmp_eq_u32_e32 vcc, 30, v96
	s_and_saveexec_b64 s[18:19], vcc
	s_cbranch_execz .LBB112_645
; %bb.642:
	v_cmp_ne_u32_e32 vcc, 30, v89
	s_xor_b64 s[20:21], s[6:7], -1
	s_and_b64 s[22:23], s[20:21], vcc
	s_and_saveexec_b64 s[20:21], s[22:23]
	s_cbranch_execz .LBB112_644
; %bb.643:
	v_mov_b32_e32 v57, v81
	v_mov_b32_e32 v58, v82
	;; [unrolled: 1-line block ×4, first 2 shown]
	buffer_load_dword v81, off, s[24:27], 0 offset:464 ; 4-byte Folded Reload
	buffer_load_dword v82, off, s[24:27], 0 offset:468 ; 4-byte Folded Reload
	v_ashrrev_i32_e32 v90, 31, v89
	v_lshlrev_b64 v[90:91], 2, v[89:90]
	s_waitcnt vmcnt(1)
	v_add_co_u32_e32 v90, vcc, v81, v90
	s_waitcnt vmcnt(0)
	v_addc_co_u32_e32 v91, vcc, v82, v91, vcc
	global_load_dword v92, v[90:91], off
	global_load_dword v93, v[81:82], off offset:120
	s_waitcnt vmcnt(1)
	global_store_dword v[81:82], v92, off offset:120
	v_mov_b32_e32 v84, v60
	v_mov_b32_e32 v83, v59
	;; [unrolled: 1-line block ×4, first 2 shown]
	s_waitcnt vmcnt(1)
	global_store_dword v[90:91], v93, off
.LBB112_644:
	s_or_b64 exec, exec, s[20:21]
	v_mov_b32_e32 v96, v89
	v_mov_b32_e32 v127, v89
.LBB112_645:
	s_or_b64 exec, exec, s[18:19]
.LBB112_646:
	s_andn2_saveexec_b64 s[0:1], s[0:1]
	s_cbranch_execz .LBB112_648
; %bb.647:
	buffer_load_dword v57, off, s[24:27], 0 offset:16 ; 4-byte Folded Reload
	buffer_load_dword v58, off, s[24:27], 0 offset:20 ; 4-byte Folded Reload
	;; [unrolled: 1-line block ×4, first 2 shown]
	v_mov_b32_e32 v96, 30
	s_waitcnt vmcnt(0)
	ds_write2_b64 v0, v[57:58], v[59:60] offset0:62 offset1:63
	ds_write2_b64 v0, v[81:82], v[83:84] offset0:64 offset1:65
	;; [unrolled: 1-line block ×10, first 2 shown]
	buffer_load_dword v57, off, s[24:27], 0 ; 4-byte Folded Reload
	buffer_load_dword v58, off, s[24:27], 0 offset:4 ; 4-byte Folded Reload
	buffer_load_dword v59, off, s[24:27], 0 offset:8 ; 4-byte Folded Reload
	buffer_load_dword v60, off, s[24:27], 0 offset:12 ; 4-byte Folded Reload
	s_waitcnt vmcnt(0)
	ds_write2_b64 v0, v[57:58], v[59:60] offset0:82 offset1:83
	ds_write2_b64 v0, v[53:54], v[55:56] offset0:84 offset1:85
	;; [unrolled: 1-line block ×16, first 2 shown]
.LBB112_648:
	s_or_b64 exec, exec, s[0:1]
	v_cmp_lt_i32_e32 vcc, 30, v96
	s_waitcnt vmcnt(0) lgkmcnt(0)
	s_barrier
	s_and_saveexec_b64 s[0:1], vcc
	s_cbranch_execz .LBB112_650
; %bb.649:
	buffer_load_dword v97, off, s[24:27], 0 offset:32 ; 4-byte Folded Reload
	buffer_load_dword v98, off, s[24:27], 0 offset:36 ; 4-byte Folded Reload
	buffer_load_dword v99, off, s[24:27], 0 offset:40 ; 4-byte Folded Reload
	buffer_load_dword v100, off, s[24:27], 0 offset:44 ; 4-byte Folded Reload
	s_waitcnt vmcnt(0)
	v_mul_f64 v[91:92], v[117:118], v[99:100]
	v_mul_f64 v[89:90], v[119:120], v[99:100]
	v_fma_f64 v[99:100], v[119:120], v[97:98], v[91:92]
	ds_read2_b64 v[91:94], v0 offset0:62 offset1:63
	buffer_load_dword v57, off, s[24:27], 0 offset:16 ; 4-byte Folded Reload
	buffer_load_dword v58, off, s[24:27], 0 offset:20 ; 4-byte Folded Reload
	;; [unrolled: 1-line block ×4, first 2 shown]
	v_fma_f64 v[89:90], v[117:118], v[97:98], -v[89:90]
	s_waitcnt lgkmcnt(0)
	v_mul_f64 v[97:98], v[93:94], v[99:100]
	v_fma_f64 v[97:98], v[91:92], v[89:90], -v[97:98]
	v_mul_f64 v[91:92], v[91:92], v[99:100]
	v_fma_f64 v[91:92], v[93:94], v[89:90], v[91:92]
	s_waitcnt vmcnt(2)
	v_add_f64 v[57:58], v[57:58], -v[97:98]
	s_waitcnt vmcnt(0)
	v_add_f64 v[59:60], v[59:60], -v[91:92]
	buffer_store_dword v57, off, s[24:27], 0 offset:16 ; 4-byte Folded Spill
	s_nop 0
	buffer_store_dword v58, off, s[24:27], 0 offset:20 ; 4-byte Folded Spill
	buffer_store_dword v59, off, s[24:27], 0 offset:24 ; 4-byte Folded Spill
	;; [unrolled: 1-line block ×3, first 2 shown]
	ds_read2_b64 v[91:94], v0 offset0:64 offset1:65
	s_waitcnt lgkmcnt(0)
	v_mul_f64 v[97:98], v[93:94], v[99:100]
	v_fma_f64 v[97:98], v[91:92], v[89:90], -v[97:98]
	v_mul_f64 v[91:92], v[91:92], v[99:100]
	v_add_f64 v[81:82], v[81:82], -v[97:98]
	v_fma_f64 v[91:92], v[93:94], v[89:90], v[91:92]
	v_add_f64 v[83:84], v[83:84], -v[91:92]
	ds_read2_b64 v[91:94], v0 offset0:66 offset1:67
	s_waitcnt lgkmcnt(0)
	v_mul_f64 v[97:98], v[93:94], v[99:100]
	v_fma_f64 v[97:98], v[91:92], v[89:90], -v[97:98]
	v_mul_f64 v[91:92], v[91:92], v[99:100]
	v_add_f64 v[85:86], v[85:86], -v[97:98]
	v_fma_f64 v[91:92], v[93:94], v[89:90], v[91:92]
	v_add_f64 v[87:88], v[87:88], -v[91:92]
	;; [unrolled: 8-line block ×9, first 2 shown]
	ds_read2_b64 v[91:94], v0 offset0:82 offset1:83
	buffer_load_dword v57, off, s[24:27], 0 ; 4-byte Folded Reload
	buffer_load_dword v58, off, s[24:27], 0 offset:4 ; 4-byte Folded Reload
	buffer_load_dword v59, off, s[24:27], 0 offset:8 ; 4-byte Folded Reload
	;; [unrolled: 1-line block ×3, first 2 shown]
	s_waitcnt lgkmcnt(0)
	v_mul_f64 v[97:98], v[93:94], v[99:100]
	v_fma_f64 v[97:98], v[91:92], v[89:90], -v[97:98]
	v_mul_f64 v[91:92], v[91:92], v[99:100]
	v_fma_f64 v[91:92], v[93:94], v[89:90], v[91:92]
	s_waitcnt vmcnt(2)
	v_add_f64 v[57:58], v[57:58], -v[97:98]
	s_waitcnt vmcnt(0)
	v_add_f64 v[59:60], v[59:60], -v[91:92]
	buffer_store_dword v57, off, s[24:27], 0 ; 4-byte Folded Spill
	s_nop 0
	buffer_store_dword v58, off, s[24:27], 0 offset:4 ; 4-byte Folded Spill
	buffer_store_dword v59, off, s[24:27], 0 offset:8 ; 4-byte Folded Spill
	;; [unrolled: 1-line block ×3, first 2 shown]
	ds_read2_b64 v[91:94], v0 offset0:84 offset1:85
	s_waitcnt lgkmcnt(0)
	v_mul_f64 v[97:98], v[93:94], v[99:100]
	v_fma_f64 v[97:98], v[91:92], v[89:90], -v[97:98]
	v_mul_f64 v[91:92], v[91:92], v[99:100]
	v_add_f64 v[53:54], v[53:54], -v[97:98]
	v_fma_f64 v[91:92], v[93:94], v[89:90], v[91:92]
	v_add_f64 v[55:56], v[55:56], -v[91:92]
	ds_read2_b64 v[91:94], v0 offset0:86 offset1:87
	s_waitcnt lgkmcnt(0)
	v_mul_f64 v[97:98], v[93:94], v[99:100]
	v_fma_f64 v[97:98], v[91:92], v[89:90], -v[97:98]
	v_mul_f64 v[91:92], v[91:92], v[99:100]
	v_add_f64 v[49:50], v[49:50], -v[97:98]
	v_fma_f64 v[91:92], v[93:94], v[89:90], v[91:92]
	v_add_f64 v[51:52], v[51:52], -v[91:92]
	;; [unrolled: 8-line block ×14, first 2 shown]
	ds_read2_b64 v[91:94], v0 offset0:112 offset1:113
	s_waitcnt lgkmcnt(0)
	v_mul_f64 v[97:98], v[93:94], v[99:100]
	v_fma_f64 v[97:98], v[91:92], v[89:90], -v[97:98]
	v_mul_f64 v[91:92], v[91:92], v[99:100]
	v_add_f64 v[121:122], v[121:122], -v[97:98]
	v_fma_f64 v[91:92], v[93:94], v[89:90], v[91:92]
	v_mov_b32_e32 v98, v90
	v_mov_b32_e32 v97, v89
	buffer_store_dword v97, off, s[24:27], 0 offset:32 ; 4-byte Folded Spill
	s_nop 0
	buffer_store_dword v98, off, s[24:27], 0 offset:36 ; 4-byte Folded Spill
	buffer_store_dword v99, off, s[24:27], 0 offset:40 ; 4-byte Folded Spill
	;; [unrolled: 1-line block ×3, first 2 shown]
	v_add_f64 v[123:124], v[123:124], -v[91:92]
.LBB112_650:
	s_or_b64 exec, exec, s[0:1]
	s_waitcnt vmcnt(0)
	s_barrier
	buffer_load_dword v57, off, s[24:27], 0 offset:16 ; 4-byte Folded Reload
	buffer_load_dword v58, off, s[24:27], 0 offset:20 ; 4-byte Folded Reload
	;; [unrolled: 1-line block ×4, first 2 shown]
	v_lshl_add_u32 v89, v96, 4, v0
	s_cmp_lt_i32 s3, 33
	s_waitcnt vmcnt(0)
	ds_write2_b64 v89, v[57:58], v[59:60] offset1:1
	s_waitcnt lgkmcnt(0)
	s_barrier
	ds_read2_b64 v[117:120], v0 offset0:62 offset1:63
	v_mov_b32_e32 v89, 31
	s_cbranch_scc1 .LBB112_653
; %bb.651:
	v_add_u32_e32 v90, 0x200, v0
	s_mov_b32 s0, 32
	v_mov_b32_e32 v89, 31
.LBB112_652:                            ; =>This Inner Loop Header: Depth=1
	s_waitcnt lgkmcnt(0)
	v_cmp_gt_f64_e32 vcc, 0, v[117:118]
	v_xor_b32_e32 v97, 0x80000000, v118
	ds_read2_b64 v[91:94], v90 offset1:1
	v_xor_b32_e32 v99, 0x80000000, v120
	v_add_u32_e32 v90, 16, v90
	s_waitcnt lgkmcnt(0)
	v_xor_b32_e32 v101, 0x80000000, v94
	v_cndmask_b32_e32 v98, v118, v97, vcc
	v_cmp_gt_f64_e32 vcc, 0, v[119:120]
	v_mov_b32_e32 v97, v117
	v_cndmask_b32_e32 v100, v120, v99, vcc
	v_cmp_gt_f64_e32 vcc, 0, v[91:92]
	v_mov_b32_e32 v99, v119
	v_add_f64 v[97:98], v[97:98], v[99:100]
	v_xor_b32_e32 v99, 0x80000000, v92
	v_cndmask_b32_e32 v100, v92, v99, vcc
	v_cmp_gt_f64_e32 vcc, 0, v[93:94]
	v_mov_b32_e32 v99, v91
	v_cndmask_b32_e32 v102, v94, v101, vcc
	v_mov_b32_e32 v101, v93
	v_add_f64 v[99:100], v[99:100], v[101:102]
	v_cmp_lt_f64_e32 vcc, v[97:98], v[99:100]
	v_cndmask_b32_e32 v117, v117, v91, vcc
	v_mov_b32_e32 v91, s0
	s_add_i32 s0, s0, 1
	v_cndmask_b32_e32 v118, v118, v92, vcc
	v_cndmask_b32_e32 v120, v120, v94, vcc
	;; [unrolled: 1-line block ×4, first 2 shown]
	s_cmp_lg_u32 s3, s0
	s_cbranch_scc1 .LBB112_652
.LBB112_653:
	s_waitcnt lgkmcnt(0)
	v_cmp_eq_f64_e32 vcc, 0, v[117:118]
	v_cmp_eq_f64_e64 s[0:1], 0, v[119:120]
	s_and_b64 s[0:1], vcc, s[0:1]
	s_and_saveexec_b64 s[18:19], s[0:1]
	s_xor_b64 s[0:1], exec, s[18:19]
; %bb.654:
	v_cmp_ne_u32_e32 vcc, 0, v95
	v_cndmask_b32_e32 v95, 32, v95, vcc
; %bb.655:
	s_andn2_saveexec_b64 s[0:1], s[0:1]
	s_cbranch_execz .LBB112_661
; %bb.656:
	v_cmp_ngt_f64_e64 s[18:19], |v[117:118]|, |v[119:120]|
	s_and_saveexec_b64 s[20:21], s[18:19]
	s_xor_b64 s[18:19], exec, s[20:21]
	s_cbranch_execz .LBB112_658
; %bb.657:
	v_div_scale_f64 v[90:91], s[20:21], v[119:120], v[119:120], v[117:118]
	v_rcp_f64_e32 v[92:93], v[90:91]
	v_fma_f64 v[97:98], -v[90:91], v[92:93], 1.0
	v_fma_f64 v[92:93], v[92:93], v[97:98], v[92:93]
	v_div_scale_f64 v[97:98], vcc, v[117:118], v[119:120], v[117:118]
	v_fma_f64 v[99:100], -v[90:91], v[92:93], 1.0
	v_fma_f64 v[92:93], v[92:93], v[99:100], v[92:93]
	v_mul_f64 v[99:100], v[97:98], v[92:93]
	v_fma_f64 v[90:91], -v[90:91], v[99:100], v[97:98]
	v_div_fmas_f64 v[90:91], v[90:91], v[92:93], v[99:100]
	v_div_fixup_f64 v[90:91], v[90:91], v[119:120], v[117:118]
	v_fma_f64 v[92:93], v[117:118], v[90:91], v[119:120]
	v_div_scale_f64 v[97:98], s[20:21], v[92:93], v[92:93], 1.0
	v_div_scale_f64 v[103:104], vcc, 1.0, v[92:93], 1.0
	v_rcp_f64_e32 v[99:100], v[97:98]
	v_fma_f64 v[101:102], -v[97:98], v[99:100], 1.0
	v_fma_f64 v[99:100], v[99:100], v[101:102], v[99:100]
	v_fma_f64 v[101:102], -v[97:98], v[99:100], 1.0
	v_fma_f64 v[99:100], v[99:100], v[101:102], v[99:100]
	v_mul_f64 v[101:102], v[103:104], v[99:100]
	v_fma_f64 v[97:98], -v[97:98], v[101:102], v[103:104]
	v_div_fmas_f64 v[97:98], v[97:98], v[99:100], v[101:102]
	v_div_fixup_f64 v[119:120], v[97:98], v[92:93], 1.0
	v_mul_f64 v[117:118], v[90:91], v[119:120]
	v_xor_b32_e32 v120, 0x80000000, v120
.LBB112_658:
	s_andn2_saveexec_b64 s[18:19], s[18:19]
	s_cbranch_execz .LBB112_660
; %bb.659:
	v_div_scale_f64 v[90:91], s[20:21], v[117:118], v[117:118], v[119:120]
	v_rcp_f64_e32 v[92:93], v[90:91]
	v_fma_f64 v[97:98], -v[90:91], v[92:93], 1.0
	v_fma_f64 v[92:93], v[92:93], v[97:98], v[92:93]
	v_div_scale_f64 v[97:98], vcc, v[119:120], v[117:118], v[119:120]
	v_fma_f64 v[99:100], -v[90:91], v[92:93], 1.0
	v_fma_f64 v[92:93], v[92:93], v[99:100], v[92:93]
	v_mul_f64 v[99:100], v[97:98], v[92:93]
	v_fma_f64 v[90:91], -v[90:91], v[99:100], v[97:98]
	v_div_fmas_f64 v[90:91], v[90:91], v[92:93], v[99:100]
	v_div_fixup_f64 v[90:91], v[90:91], v[117:118], v[119:120]
	v_fma_f64 v[92:93], v[119:120], v[90:91], v[117:118]
	v_div_scale_f64 v[97:98], s[20:21], v[92:93], v[92:93], 1.0
	v_div_scale_f64 v[103:104], vcc, 1.0, v[92:93], 1.0
	v_rcp_f64_e32 v[99:100], v[97:98]
	v_fma_f64 v[101:102], -v[97:98], v[99:100], 1.0
	v_fma_f64 v[99:100], v[99:100], v[101:102], v[99:100]
	v_fma_f64 v[101:102], -v[97:98], v[99:100], 1.0
	v_fma_f64 v[99:100], v[99:100], v[101:102], v[99:100]
	v_mul_f64 v[101:102], v[103:104], v[99:100]
	v_fma_f64 v[97:98], -v[97:98], v[101:102], v[103:104]
	v_div_fmas_f64 v[97:98], v[97:98], v[99:100], v[101:102]
	v_div_fixup_f64 v[117:118], v[97:98], v[92:93], 1.0
	v_mul_f64 v[119:120], v[90:91], -v[117:118]
.LBB112_660:
	s_or_b64 exec, exec, s[18:19]
.LBB112_661:
	s_or_b64 exec, exec, s[0:1]
	v_cmp_ne_u32_e32 vcc, v96, v89
	s_and_saveexec_b64 s[0:1], vcc
	s_xor_b64 s[0:1], exec, s[0:1]
	s_cbranch_execz .LBB112_667
; %bb.662:
	v_cmp_eq_u32_e32 vcc, 31, v96
	s_and_saveexec_b64 s[18:19], vcc
	s_cbranch_execz .LBB112_666
; %bb.663:
	v_cmp_ne_u32_e32 vcc, 31, v89
	s_xor_b64 s[20:21], s[6:7], -1
	s_and_b64 s[22:23], s[20:21], vcc
	s_and_saveexec_b64 s[20:21], s[22:23]
	s_cbranch_execz .LBB112_665
; %bb.664:
	v_mov_b32_e32 v57, v81
	v_mov_b32_e32 v58, v82
	;; [unrolled: 1-line block ×4, first 2 shown]
	buffer_load_dword v81, off, s[24:27], 0 offset:464 ; 4-byte Folded Reload
	buffer_load_dword v82, off, s[24:27], 0 offset:468 ; 4-byte Folded Reload
	v_ashrrev_i32_e32 v90, 31, v89
	v_lshlrev_b64 v[90:91], 2, v[89:90]
	s_waitcnt vmcnt(1)
	v_add_co_u32_e32 v90, vcc, v81, v90
	s_waitcnt vmcnt(0)
	v_addc_co_u32_e32 v91, vcc, v82, v91, vcc
	global_load_dword v92, v[90:91], off
	global_load_dword v93, v[81:82], off offset:124
	s_waitcnt vmcnt(1)
	global_store_dword v[81:82], v92, off offset:124
	v_mov_b32_e32 v84, v60
	v_mov_b32_e32 v83, v59
	;; [unrolled: 1-line block ×4, first 2 shown]
	s_waitcnt vmcnt(1)
	global_store_dword v[90:91], v93, off
.LBB112_665:
	s_or_b64 exec, exec, s[20:21]
	v_mov_b32_e32 v96, v89
	v_mov_b32_e32 v127, v89
.LBB112_666:
	s_or_b64 exec, exec, s[18:19]
.LBB112_667:
	s_andn2_saveexec_b64 s[0:1], s[0:1]
	s_cbranch_execz .LBB112_669
; %bb.668:
	ds_write2_b64 v0, v[81:82], v[83:84] offset0:64 offset1:65
	ds_write2_b64 v0, v[85:86], v[87:88] offset0:66 offset1:67
	;; [unrolled: 1-line block ×9, first 2 shown]
	buffer_load_dword v57, off, s[24:27], 0 ; 4-byte Folded Reload
	buffer_load_dword v58, off, s[24:27], 0 offset:4 ; 4-byte Folded Reload
	buffer_load_dword v59, off, s[24:27], 0 offset:8 ; 4-byte Folded Reload
	;; [unrolled: 1-line block ×3, first 2 shown]
	v_mov_b32_e32 v96, 31
	s_waitcnt vmcnt(0)
	ds_write2_b64 v0, v[57:58], v[59:60] offset0:82 offset1:83
	ds_write2_b64 v0, v[53:54], v[55:56] offset0:84 offset1:85
	;; [unrolled: 1-line block ×16, first 2 shown]
.LBB112_669:
	s_or_b64 exec, exec, s[0:1]
	v_cmp_lt_i32_e32 vcc, 31, v96
	s_waitcnt vmcnt(0) lgkmcnt(0)
	s_barrier
	s_and_saveexec_b64 s[0:1], vcc
	s_cbranch_execz .LBB112_671
; %bb.670:
	buffer_load_dword v97, off, s[24:27], 0 offset:16 ; 4-byte Folded Reload
	buffer_load_dword v98, off, s[24:27], 0 offset:20 ; 4-byte Folded Reload
	;; [unrolled: 1-line block ×4, first 2 shown]
	s_waitcnt vmcnt(0)
	v_mul_f64 v[91:92], v[117:118], v[99:100]
	v_mul_f64 v[89:90], v[119:120], v[99:100]
	v_fma_f64 v[99:100], v[119:120], v[97:98], v[91:92]
	ds_read2_b64 v[91:94], v0 offset0:64 offset1:65
	v_fma_f64 v[89:90], v[117:118], v[97:98], -v[89:90]
	s_waitcnt lgkmcnt(0)
	v_mul_f64 v[97:98], v[93:94], v[99:100]
	v_fma_f64 v[97:98], v[91:92], v[89:90], -v[97:98]
	v_mul_f64 v[91:92], v[91:92], v[99:100]
	v_add_f64 v[81:82], v[81:82], -v[97:98]
	v_fma_f64 v[91:92], v[93:94], v[89:90], v[91:92]
	v_add_f64 v[83:84], v[83:84], -v[91:92]
	ds_read2_b64 v[91:94], v0 offset0:66 offset1:67
	s_waitcnt lgkmcnt(0)
	v_mul_f64 v[97:98], v[93:94], v[99:100]
	v_fma_f64 v[97:98], v[91:92], v[89:90], -v[97:98]
	v_mul_f64 v[91:92], v[91:92], v[99:100]
	v_add_f64 v[85:86], v[85:86], -v[97:98]
	v_fma_f64 v[91:92], v[93:94], v[89:90], v[91:92]
	v_add_f64 v[87:88], v[87:88], -v[91:92]
	ds_read2_b64 v[91:94], v0 offset0:68 offset1:69
	;; [unrolled: 8-line block ×9, first 2 shown]
	buffer_load_dword v57, off, s[24:27], 0 ; 4-byte Folded Reload
	buffer_load_dword v58, off, s[24:27], 0 offset:4 ; 4-byte Folded Reload
	buffer_load_dword v59, off, s[24:27], 0 offset:8 ; 4-byte Folded Reload
	;; [unrolled: 1-line block ×3, first 2 shown]
	s_waitcnt lgkmcnt(0)
	v_mul_f64 v[97:98], v[93:94], v[99:100]
	v_fma_f64 v[97:98], v[91:92], v[89:90], -v[97:98]
	v_mul_f64 v[91:92], v[91:92], v[99:100]
	v_fma_f64 v[91:92], v[93:94], v[89:90], v[91:92]
	s_waitcnt vmcnt(2)
	v_add_f64 v[57:58], v[57:58], -v[97:98]
	s_waitcnt vmcnt(0)
	v_add_f64 v[59:60], v[59:60], -v[91:92]
	buffer_store_dword v57, off, s[24:27], 0 ; 4-byte Folded Spill
	s_nop 0
	buffer_store_dword v58, off, s[24:27], 0 offset:4 ; 4-byte Folded Spill
	buffer_store_dword v59, off, s[24:27], 0 offset:8 ; 4-byte Folded Spill
	;; [unrolled: 1-line block ×3, first 2 shown]
	ds_read2_b64 v[91:94], v0 offset0:84 offset1:85
	s_waitcnt lgkmcnt(0)
	v_mul_f64 v[97:98], v[93:94], v[99:100]
	v_fma_f64 v[97:98], v[91:92], v[89:90], -v[97:98]
	v_mul_f64 v[91:92], v[91:92], v[99:100]
	v_add_f64 v[53:54], v[53:54], -v[97:98]
	v_fma_f64 v[91:92], v[93:94], v[89:90], v[91:92]
	v_add_f64 v[55:56], v[55:56], -v[91:92]
	ds_read2_b64 v[91:94], v0 offset0:86 offset1:87
	s_waitcnt lgkmcnt(0)
	v_mul_f64 v[97:98], v[93:94], v[99:100]
	v_fma_f64 v[97:98], v[91:92], v[89:90], -v[97:98]
	v_mul_f64 v[91:92], v[91:92], v[99:100]
	v_add_f64 v[49:50], v[49:50], -v[97:98]
	v_fma_f64 v[91:92], v[93:94], v[89:90], v[91:92]
	v_add_f64 v[51:52], v[51:52], -v[91:92]
	;; [unrolled: 8-line block ×14, first 2 shown]
	ds_read2_b64 v[91:94], v0 offset0:112 offset1:113
	s_waitcnt lgkmcnt(0)
	v_mul_f64 v[97:98], v[93:94], v[99:100]
	v_fma_f64 v[97:98], v[91:92], v[89:90], -v[97:98]
	v_mul_f64 v[91:92], v[91:92], v[99:100]
	v_add_f64 v[121:122], v[121:122], -v[97:98]
	v_fma_f64 v[91:92], v[93:94], v[89:90], v[91:92]
	v_mov_b32_e32 v98, v90
	v_mov_b32_e32 v97, v89
	buffer_store_dword v97, off, s[24:27], 0 offset:16 ; 4-byte Folded Spill
	s_nop 0
	buffer_store_dword v98, off, s[24:27], 0 offset:20 ; 4-byte Folded Spill
	buffer_store_dword v99, off, s[24:27], 0 offset:24 ; 4-byte Folded Spill
	;; [unrolled: 1-line block ×3, first 2 shown]
	v_add_f64 v[123:124], v[123:124], -v[91:92]
.LBB112_671:
	s_or_b64 exec, exec, s[0:1]
	v_lshl_add_u32 v89, v96, 4, v0
	s_waitcnt vmcnt(0)
	s_barrier
	ds_write2_b64 v89, v[81:82], v[83:84] offset1:1
	s_waitcnt lgkmcnt(0)
	s_barrier
	ds_read2_b64 v[117:120], v0 offset0:64 offset1:65
	s_cmp_lt_i32 s3, 34
	v_mov_b32_e32 v89, 32
	s_cbranch_scc1 .LBB112_674
; %bb.672:
	v_add_u32_e32 v90, 0x210, v0
	s_mov_b32 s0, 33
	v_mov_b32_e32 v89, 32
.LBB112_673:                            ; =>This Inner Loop Header: Depth=1
	s_waitcnt lgkmcnt(0)
	v_cmp_gt_f64_e32 vcc, 0, v[117:118]
	v_xor_b32_e32 v97, 0x80000000, v118
	ds_read2_b64 v[91:94], v90 offset1:1
	v_xor_b32_e32 v99, 0x80000000, v120
	v_add_u32_e32 v90, 16, v90
	s_waitcnt lgkmcnt(0)
	v_xor_b32_e32 v101, 0x80000000, v94
	v_cndmask_b32_e32 v98, v118, v97, vcc
	v_cmp_gt_f64_e32 vcc, 0, v[119:120]
	v_mov_b32_e32 v97, v117
	v_cndmask_b32_e32 v100, v120, v99, vcc
	v_cmp_gt_f64_e32 vcc, 0, v[91:92]
	v_mov_b32_e32 v99, v119
	v_add_f64 v[97:98], v[97:98], v[99:100]
	v_xor_b32_e32 v99, 0x80000000, v92
	v_cndmask_b32_e32 v100, v92, v99, vcc
	v_cmp_gt_f64_e32 vcc, 0, v[93:94]
	v_mov_b32_e32 v99, v91
	v_cndmask_b32_e32 v102, v94, v101, vcc
	v_mov_b32_e32 v101, v93
	v_add_f64 v[99:100], v[99:100], v[101:102]
	v_cmp_lt_f64_e32 vcc, v[97:98], v[99:100]
	v_cndmask_b32_e32 v117, v117, v91, vcc
	v_mov_b32_e32 v91, s0
	s_add_i32 s0, s0, 1
	v_cndmask_b32_e32 v118, v118, v92, vcc
	v_cndmask_b32_e32 v120, v120, v94, vcc
	;; [unrolled: 1-line block ×4, first 2 shown]
	s_cmp_lg_u32 s3, s0
	s_cbranch_scc1 .LBB112_673
.LBB112_674:
	s_waitcnt lgkmcnt(0)
	v_cmp_eq_f64_e32 vcc, 0, v[117:118]
	v_cmp_eq_f64_e64 s[0:1], 0, v[119:120]
	s_and_b64 s[0:1], vcc, s[0:1]
	s_and_saveexec_b64 s[18:19], s[0:1]
	s_xor_b64 s[0:1], exec, s[18:19]
; %bb.675:
	v_cmp_ne_u32_e32 vcc, 0, v95
	v_cndmask_b32_e32 v95, 33, v95, vcc
; %bb.676:
	s_andn2_saveexec_b64 s[0:1], s[0:1]
	s_cbranch_execz .LBB112_682
; %bb.677:
	v_cmp_ngt_f64_e64 s[18:19], |v[117:118]|, |v[119:120]|
	s_and_saveexec_b64 s[20:21], s[18:19]
	s_xor_b64 s[18:19], exec, s[20:21]
	s_cbranch_execz .LBB112_679
; %bb.678:
	v_div_scale_f64 v[90:91], s[20:21], v[119:120], v[119:120], v[117:118]
	v_rcp_f64_e32 v[92:93], v[90:91]
	v_fma_f64 v[97:98], -v[90:91], v[92:93], 1.0
	v_fma_f64 v[92:93], v[92:93], v[97:98], v[92:93]
	v_div_scale_f64 v[97:98], vcc, v[117:118], v[119:120], v[117:118]
	v_fma_f64 v[99:100], -v[90:91], v[92:93], 1.0
	v_fma_f64 v[92:93], v[92:93], v[99:100], v[92:93]
	v_mul_f64 v[99:100], v[97:98], v[92:93]
	v_fma_f64 v[90:91], -v[90:91], v[99:100], v[97:98]
	v_div_fmas_f64 v[90:91], v[90:91], v[92:93], v[99:100]
	v_div_fixup_f64 v[90:91], v[90:91], v[119:120], v[117:118]
	v_fma_f64 v[92:93], v[117:118], v[90:91], v[119:120]
	v_div_scale_f64 v[97:98], s[20:21], v[92:93], v[92:93], 1.0
	v_div_scale_f64 v[103:104], vcc, 1.0, v[92:93], 1.0
	v_rcp_f64_e32 v[99:100], v[97:98]
	v_fma_f64 v[101:102], -v[97:98], v[99:100], 1.0
	v_fma_f64 v[99:100], v[99:100], v[101:102], v[99:100]
	v_fma_f64 v[101:102], -v[97:98], v[99:100], 1.0
	v_fma_f64 v[99:100], v[99:100], v[101:102], v[99:100]
	v_mul_f64 v[101:102], v[103:104], v[99:100]
	v_fma_f64 v[97:98], -v[97:98], v[101:102], v[103:104]
	v_div_fmas_f64 v[97:98], v[97:98], v[99:100], v[101:102]
	v_div_fixup_f64 v[119:120], v[97:98], v[92:93], 1.0
	v_mul_f64 v[117:118], v[90:91], v[119:120]
	v_xor_b32_e32 v120, 0x80000000, v120
.LBB112_679:
	s_andn2_saveexec_b64 s[18:19], s[18:19]
	s_cbranch_execz .LBB112_681
; %bb.680:
	v_div_scale_f64 v[90:91], s[20:21], v[117:118], v[117:118], v[119:120]
	v_rcp_f64_e32 v[92:93], v[90:91]
	v_fma_f64 v[97:98], -v[90:91], v[92:93], 1.0
	v_fma_f64 v[92:93], v[92:93], v[97:98], v[92:93]
	v_div_scale_f64 v[97:98], vcc, v[119:120], v[117:118], v[119:120]
	v_fma_f64 v[99:100], -v[90:91], v[92:93], 1.0
	v_fma_f64 v[92:93], v[92:93], v[99:100], v[92:93]
	v_mul_f64 v[99:100], v[97:98], v[92:93]
	v_fma_f64 v[90:91], -v[90:91], v[99:100], v[97:98]
	v_div_fmas_f64 v[90:91], v[90:91], v[92:93], v[99:100]
	v_div_fixup_f64 v[90:91], v[90:91], v[117:118], v[119:120]
	v_fma_f64 v[92:93], v[119:120], v[90:91], v[117:118]
	v_div_scale_f64 v[97:98], s[20:21], v[92:93], v[92:93], 1.0
	v_div_scale_f64 v[103:104], vcc, 1.0, v[92:93], 1.0
	v_rcp_f64_e32 v[99:100], v[97:98]
	v_fma_f64 v[101:102], -v[97:98], v[99:100], 1.0
	v_fma_f64 v[99:100], v[99:100], v[101:102], v[99:100]
	v_fma_f64 v[101:102], -v[97:98], v[99:100], 1.0
	v_fma_f64 v[99:100], v[99:100], v[101:102], v[99:100]
	v_mul_f64 v[101:102], v[103:104], v[99:100]
	v_fma_f64 v[97:98], -v[97:98], v[101:102], v[103:104]
	v_div_fmas_f64 v[97:98], v[97:98], v[99:100], v[101:102]
	v_div_fixup_f64 v[117:118], v[97:98], v[92:93], 1.0
	v_mul_f64 v[119:120], v[90:91], -v[117:118]
.LBB112_681:
	s_or_b64 exec, exec, s[18:19]
.LBB112_682:
	s_or_b64 exec, exec, s[0:1]
	v_cmp_ne_u32_e32 vcc, v96, v89
	s_and_saveexec_b64 s[0:1], vcc
	s_xor_b64 s[0:1], exec, s[0:1]
	s_cbranch_execz .LBB112_688
; %bb.683:
	v_cmp_eq_u32_e32 vcc, 32, v96
	s_and_saveexec_b64 s[18:19], vcc
	s_cbranch_execz .LBB112_687
; %bb.684:
	v_cmp_ne_u32_e32 vcc, 32, v89
	s_xor_b64 s[20:21], s[6:7], -1
	s_and_b64 s[22:23], s[20:21], vcc
	s_and_saveexec_b64 s[20:21], s[22:23]
	s_cbranch_execz .LBB112_686
; %bb.685:
	v_mov_b32_e32 v57, v81
	v_mov_b32_e32 v58, v82
	;; [unrolled: 1-line block ×4, first 2 shown]
	buffer_load_dword v81, off, s[24:27], 0 offset:464 ; 4-byte Folded Reload
	buffer_load_dword v82, off, s[24:27], 0 offset:468 ; 4-byte Folded Reload
	v_ashrrev_i32_e32 v90, 31, v89
	v_lshlrev_b64 v[90:91], 2, v[89:90]
	s_waitcnt vmcnt(1)
	v_add_co_u32_e32 v90, vcc, v81, v90
	s_waitcnt vmcnt(0)
	v_addc_co_u32_e32 v91, vcc, v82, v91, vcc
	global_load_dword v92, v[90:91], off
	global_load_dword v93, v[81:82], off offset:128
	s_waitcnt vmcnt(1)
	global_store_dword v[81:82], v92, off offset:128
	v_mov_b32_e32 v84, v60
	v_mov_b32_e32 v83, v59
	;; [unrolled: 1-line block ×4, first 2 shown]
	s_waitcnt vmcnt(1)
	global_store_dword v[90:91], v93, off
.LBB112_686:
	s_or_b64 exec, exec, s[20:21]
	v_mov_b32_e32 v96, v89
	v_mov_b32_e32 v127, v89
.LBB112_687:
	s_or_b64 exec, exec, s[18:19]
.LBB112_688:
	s_andn2_saveexec_b64 s[0:1], s[0:1]
	s_cbranch_execz .LBB112_690
; %bb.689:
	ds_write2_b64 v0, v[85:86], v[87:88] offset0:66 offset1:67
	ds_write2_b64 v0, v[109:110], v[111:112] offset0:68 offset1:69
	;; [unrolled: 1-line block ×8, first 2 shown]
	buffer_load_dword v57, off, s[24:27], 0 ; 4-byte Folded Reload
	buffer_load_dword v58, off, s[24:27], 0 offset:4 ; 4-byte Folded Reload
	buffer_load_dword v59, off, s[24:27], 0 offset:8 ; 4-byte Folded Reload
	;; [unrolled: 1-line block ×3, first 2 shown]
	v_mov_b32_e32 v96, 32
	s_waitcnt vmcnt(0)
	ds_write2_b64 v0, v[57:58], v[59:60] offset0:82 offset1:83
	ds_write2_b64 v0, v[53:54], v[55:56] offset0:84 offset1:85
	ds_write2_b64 v0, v[49:50], v[51:52] offset0:86 offset1:87
	ds_write2_b64 v0, v[45:46], v[47:48] offset0:88 offset1:89
	ds_write2_b64 v0, v[41:42], v[43:44] offset0:90 offset1:91
	ds_write2_b64 v0, v[37:38], v[39:40] offset0:92 offset1:93
	ds_write2_b64 v0, v[33:34], v[35:36] offset0:94 offset1:95
	ds_write2_b64 v0, v[29:30], v[31:32] offset0:96 offset1:97
	ds_write2_b64 v0, v[25:26], v[27:28] offset0:98 offset1:99
	ds_write2_b64 v0, v[21:22], v[23:24] offset0:100 offset1:101
	ds_write2_b64 v0, v[17:18], v[19:20] offset0:102 offset1:103
	ds_write2_b64 v0, v[13:14], v[15:16] offset0:104 offset1:105
	ds_write2_b64 v0, v[9:10], v[11:12] offset0:106 offset1:107
	ds_write2_b64 v0, v[5:6], v[7:8] offset0:108 offset1:109
	ds_write2_b64 v0, v[1:2], v[3:4] offset0:110 offset1:111
	ds_write2_b64 v0, v[121:122], v[123:124] offset0:112 offset1:113
.LBB112_690:
	s_or_b64 exec, exec, s[0:1]
	v_cmp_lt_i32_e32 vcc, 32, v96
	s_waitcnt vmcnt(0) lgkmcnt(0)
	s_barrier
	s_and_saveexec_b64 s[0:1], vcc
	s_cbranch_execz .LBB112_692
; %bb.691:
	v_mul_f64 v[91:92], v[117:118], v[83:84]
	v_mul_f64 v[89:90], v[119:120], v[83:84]
	v_fma_f64 v[83:84], v[119:120], v[81:82], v[91:92]
	ds_read2_b64 v[91:94], v0 offset0:66 offset1:67
	v_fma_f64 v[89:90], v[117:118], v[81:82], -v[89:90]
	s_waitcnt lgkmcnt(0)
	v_mul_f64 v[97:98], v[93:94], v[83:84]
	v_mov_b32_e32 v81, v89
	v_mov_b32_e32 v82, v90
	v_fma_f64 v[97:98], v[91:92], v[89:90], -v[97:98]
	v_mul_f64 v[91:92], v[91:92], v[83:84]
	v_add_f64 v[85:86], v[85:86], -v[97:98]
	v_fma_f64 v[91:92], v[93:94], v[89:90], v[91:92]
	v_add_f64 v[87:88], v[87:88], -v[91:92]
	ds_read2_b64 v[91:94], v0 offset0:68 offset1:69
	s_waitcnt lgkmcnt(0)
	v_mul_f64 v[97:98], v[93:94], v[83:84]
	v_fma_f64 v[97:98], v[91:92], v[89:90], -v[97:98]
	v_mul_f64 v[91:92], v[91:92], v[83:84]
	v_add_f64 v[109:110], v[109:110], -v[97:98]
	v_fma_f64 v[91:92], v[93:94], v[89:90], v[91:92]
	v_add_f64 v[111:112], v[111:112], -v[91:92]
	ds_read2_b64 v[91:94], v0 offset0:70 offset1:71
	s_waitcnt lgkmcnt(0)
	v_mul_f64 v[97:98], v[93:94], v[83:84]
	;; [unrolled: 8-line block ×7, first 2 shown]
	v_fma_f64 v[97:98], v[91:92], v[89:90], -v[97:98]
	v_mul_f64 v[91:92], v[91:92], v[83:84]
	v_add_f64 v[61:62], v[61:62], -v[97:98]
	v_fma_f64 v[91:92], v[93:94], v[89:90], v[91:92]
	v_add_f64 v[63:64], v[63:64], -v[91:92]
	ds_read2_b64 v[91:94], v0 offset0:82 offset1:83
	buffer_load_dword v57, off, s[24:27], 0 ; 4-byte Folded Reload
	buffer_load_dword v58, off, s[24:27], 0 offset:4 ; 4-byte Folded Reload
	buffer_load_dword v59, off, s[24:27], 0 offset:8 ; 4-byte Folded Reload
	;; [unrolled: 1-line block ×3, first 2 shown]
	s_waitcnt lgkmcnt(0)
	v_mul_f64 v[97:98], v[93:94], v[83:84]
	v_fma_f64 v[97:98], v[91:92], v[89:90], -v[97:98]
	v_mul_f64 v[91:92], v[91:92], v[83:84]
	v_fma_f64 v[91:92], v[93:94], v[89:90], v[91:92]
	s_waitcnt vmcnt(2)
	v_add_f64 v[57:58], v[57:58], -v[97:98]
	s_waitcnt vmcnt(0)
	v_add_f64 v[59:60], v[59:60], -v[91:92]
	buffer_store_dword v57, off, s[24:27], 0 ; 4-byte Folded Spill
	s_nop 0
	buffer_store_dword v58, off, s[24:27], 0 offset:4 ; 4-byte Folded Spill
	buffer_store_dword v59, off, s[24:27], 0 offset:8 ; 4-byte Folded Spill
	;; [unrolled: 1-line block ×3, first 2 shown]
	ds_read2_b64 v[91:94], v0 offset0:84 offset1:85
	s_waitcnt lgkmcnt(0)
	v_mul_f64 v[97:98], v[93:94], v[83:84]
	v_fma_f64 v[97:98], v[91:92], v[89:90], -v[97:98]
	v_mul_f64 v[91:92], v[91:92], v[83:84]
	v_add_f64 v[53:54], v[53:54], -v[97:98]
	v_fma_f64 v[91:92], v[93:94], v[89:90], v[91:92]
	v_add_f64 v[55:56], v[55:56], -v[91:92]
	ds_read2_b64 v[91:94], v0 offset0:86 offset1:87
	s_waitcnt lgkmcnt(0)
	v_mul_f64 v[97:98], v[93:94], v[83:84]
	v_fma_f64 v[97:98], v[91:92], v[89:90], -v[97:98]
	v_mul_f64 v[91:92], v[91:92], v[83:84]
	v_add_f64 v[49:50], v[49:50], -v[97:98]
	v_fma_f64 v[91:92], v[93:94], v[89:90], v[91:92]
	v_add_f64 v[51:52], v[51:52], -v[91:92]
	;; [unrolled: 8-line block ×15, first 2 shown]
.LBB112_692:
	s_or_b64 exec, exec, s[0:1]
	v_lshl_add_u32 v89, v96, 4, v0
	s_waitcnt vmcnt(0)
	s_barrier
	ds_write2_b64 v89, v[85:86], v[87:88] offset1:1
	s_waitcnt lgkmcnt(0)
	s_barrier
	ds_read2_b64 v[117:120], v0 offset0:66 offset1:67
	s_cmp_lt_i32 s3, 35
	v_mov_b32_e32 v89, 33
	s_cbranch_scc1 .LBB112_695
; %bb.693:
	v_add_u32_e32 v90, 0x220, v0
	s_mov_b32 s0, 34
	v_mov_b32_e32 v89, 33
.LBB112_694:                            ; =>This Inner Loop Header: Depth=1
	s_waitcnt lgkmcnt(0)
	v_cmp_gt_f64_e32 vcc, 0, v[117:118]
	v_xor_b32_e32 v97, 0x80000000, v118
	ds_read2_b64 v[91:94], v90 offset1:1
	v_xor_b32_e32 v99, 0x80000000, v120
	v_add_u32_e32 v90, 16, v90
	s_waitcnt lgkmcnt(0)
	v_xor_b32_e32 v101, 0x80000000, v94
	v_cndmask_b32_e32 v98, v118, v97, vcc
	v_cmp_gt_f64_e32 vcc, 0, v[119:120]
	v_mov_b32_e32 v97, v117
	v_cndmask_b32_e32 v100, v120, v99, vcc
	v_cmp_gt_f64_e32 vcc, 0, v[91:92]
	v_mov_b32_e32 v99, v119
	v_add_f64 v[97:98], v[97:98], v[99:100]
	v_xor_b32_e32 v99, 0x80000000, v92
	v_cndmask_b32_e32 v100, v92, v99, vcc
	v_cmp_gt_f64_e32 vcc, 0, v[93:94]
	v_mov_b32_e32 v99, v91
	v_cndmask_b32_e32 v102, v94, v101, vcc
	v_mov_b32_e32 v101, v93
	v_add_f64 v[99:100], v[99:100], v[101:102]
	v_cmp_lt_f64_e32 vcc, v[97:98], v[99:100]
	v_cndmask_b32_e32 v117, v117, v91, vcc
	v_mov_b32_e32 v91, s0
	s_add_i32 s0, s0, 1
	v_cndmask_b32_e32 v118, v118, v92, vcc
	v_cndmask_b32_e32 v120, v120, v94, vcc
	;; [unrolled: 1-line block ×4, first 2 shown]
	s_cmp_lg_u32 s3, s0
	s_cbranch_scc1 .LBB112_694
.LBB112_695:
	s_waitcnt lgkmcnt(0)
	v_cmp_eq_f64_e32 vcc, 0, v[117:118]
	v_cmp_eq_f64_e64 s[0:1], 0, v[119:120]
	s_and_b64 s[0:1], vcc, s[0:1]
	s_and_saveexec_b64 s[18:19], s[0:1]
	s_xor_b64 s[0:1], exec, s[18:19]
; %bb.696:
	v_cmp_ne_u32_e32 vcc, 0, v95
	v_cndmask_b32_e32 v95, 34, v95, vcc
; %bb.697:
	s_andn2_saveexec_b64 s[0:1], s[0:1]
	s_cbranch_execz .LBB112_703
; %bb.698:
	v_cmp_ngt_f64_e64 s[18:19], |v[117:118]|, |v[119:120]|
	s_and_saveexec_b64 s[20:21], s[18:19]
	s_xor_b64 s[18:19], exec, s[20:21]
	s_cbranch_execz .LBB112_700
; %bb.699:
	v_div_scale_f64 v[90:91], s[20:21], v[119:120], v[119:120], v[117:118]
	v_rcp_f64_e32 v[92:93], v[90:91]
	v_fma_f64 v[97:98], -v[90:91], v[92:93], 1.0
	v_fma_f64 v[92:93], v[92:93], v[97:98], v[92:93]
	v_div_scale_f64 v[97:98], vcc, v[117:118], v[119:120], v[117:118]
	v_fma_f64 v[99:100], -v[90:91], v[92:93], 1.0
	v_fma_f64 v[92:93], v[92:93], v[99:100], v[92:93]
	v_mul_f64 v[99:100], v[97:98], v[92:93]
	v_fma_f64 v[90:91], -v[90:91], v[99:100], v[97:98]
	v_div_fmas_f64 v[90:91], v[90:91], v[92:93], v[99:100]
	v_div_fixup_f64 v[90:91], v[90:91], v[119:120], v[117:118]
	v_fma_f64 v[92:93], v[117:118], v[90:91], v[119:120]
	v_div_scale_f64 v[97:98], s[20:21], v[92:93], v[92:93], 1.0
	v_div_scale_f64 v[103:104], vcc, 1.0, v[92:93], 1.0
	v_rcp_f64_e32 v[99:100], v[97:98]
	v_fma_f64 v[101:102], -v[97:98], v[99:100], 1.0
	v_fma_f64 v[99:100], v[99:100], v[101:102], v[99:100]
	v_fma_f64 v[101:102], -v[97:98], v[99:100], 1.0
	v_fma_f64 v[99:100], v[99:100], v[101:102], v[99:100]
	v_mul_f64 v[101:102], v[103:104], v[99:100]
	v_fma_f64 v[97:98], -v[97:98], v[101:102], v[103:104]
	v_div_fmas_f64 v[97:98], v[97:98], v[99:100], v[101:102]
	v_div_fixup_f64 v[119:120], v[97:98], v[92:93], 1.0
	v_mul_f64 v[117:118], v[90:91], v[119:120]
	v_xor_b32_e32 v120, 0x80000000, v120
.LBB112_700:
	s_andn2_saveexec_b64 s[18:19], s[18:19]
	s_cbranch_execz .LBB112_702
; %bb.701:
	v_div_scale_f64 v[90:91], s[20:21], v[117:118], v[117:118], v[119:120]
	v_rcp_f64_e32 v[92:93], v[90:91]
	v_fma_f64 v[97:98], -v[90:91], v[92:93], 1.0
	v_fma_f64 v[92:93], v[92:93], v[97:98], v[92:93]
	v_div_scale_f64 v[97:98], vcc, v[119:120], v[117:118], v[119:120]
	v_fma_f64 v[99:100], -v[90:91], v[92:93], 1.0
	v_fma_f64 v[92:93], v[92:93], v[99:100], v[92:93]
	v_mul_f64 v[99:100], v[97:98], v[92:93]
	v_fma_f64 v[90:91], -v[90:91], v[99:100], v[97:98]
	v_div_fmas_f64 v[90:91], v[90:91], v[92:93], v[99:100]
	v_div_fixup_f64 v[90:91], v[90:91], v[117:118], v[119:120]
	v_fma_f64 v[92:93], v[119:120], v[90:91], v[117:118]
	v_div_scale_f64 v[97:98], s[20:21], v[92:93], v[92:93], 1.0
	v_div_scale_f64 v[103:104], vcc, 1.0, v[92:93], 1.0
	v_rcp_f64_e32 v[99:100], v[97:98]
	v_fma_f64 v[101:102], -v[97:98], v[99:100], 1.0
	v_fma_f64 v[99:100], v[99:100], v[101:102], v[99:100]
	v_fma_f64 v[101:102], -v[97:98], v[99:100], 1.0
	v_fma_f64 v[99:100], v[99:100], v[101:102], v[99:100]
	v_mul_f64 v[101:102], v[103:104], v[99:100]
	v_fma_f64 v[97:98], -v[97:98], v[101:102], v[103:104]
	v_div_fmas_f64 v[97:98], v[97:98], v[99:100], v[101:102]
	v_div_fixup_f64 v[117:118], v[97:98], v[92:93], 1.0
	v_mul_f64 v[119:120], v[90:91], -v[117:118]
.LBB112_702:
	s_or_b64 exec, exec, s[18:19]
.LBB112_703:
	s_or_b64 exec, exec, s[0:1]
	v_cmp_ne_u32_e32 vcc, v96, v89
	s_mov_b64 s[0:1], exec
	s_and_b64 s[18:19], s[0:1], vcc
	v_mov_b32_e32 v108, v84
	s_xor_b64 s[0:1], s[18:19], s[0:1]
	v_mov_b32_e32 v107, v83
	v_mov_b32_e32 v106, v82
	;; [unrolled: 1-line block ×3, first 2 shown]
	s_mov_b64 exec, s[18:19]
	s_cbranch_execz .LBB112_709
; %bb.704:
	v_cmp_eq_u32_e32 vcc, 33, v96
	s_and_saveexec_b64 s[18:19], vcc
	s_cbranch_execz .LBB112_708
; %bb.705:
	v_cmp_ne_u32_e32 vcc, 33, v89
	s_xor_b64 s[20:21], s[6:7], -1
	s_and_b64 s[22:23], s[20:21], vcc
	s_and_saveexec_b64 s[20:21], s[22:23]
	s_cbranch_execz .LBB112_707
; %bb.706:
	buffer_load_dword v81, off, s[24:27], 0 offset:464 ; 4-byte Folded Reload
	buffer_load_dword v82, off, s[24:27], 0 offset:468 ; 4-byte Folded Reload
	v_ashrrev_i32_e32 v90, 31, v89
	v_lshlrev_b64 v[90:91], 2, v[89:90]
	s_waitcnt vmcnt(1)
	v_add_co_u32_e32 v90, vcc, v81, v90
	s_waitcnt vmcnt(0)
	v_addc_co_u32_e32 v91, vcc, v82, v91, vcc
	global_load_dword v92, v[90:91], off
	global_load_dword v93, v[81:82], off offset:132
	s_waitcnt vmcnt(1)
	global_store_dword v[81:82], v92, off offset:132
	v_mov_b32_e32 v81, v105
	v_mov_b32_e32 v82, v106
	;; [unrolled: 1-line block ×4, first 2 shown]
	s_waitcnt vmcnt(1)
	global_store_dword v[90:91], v93, off
.LBB112_707:
	s_or_b64 exec, exec, s[20:21]
	v_mov_b32_e32 v96, v89
	v_mov_b32_e32 v127, v89
.LBB112_708:
	s_or_b64 exec, exec, s[18:19]
.LBB112_709:
	s_andn2_saveexec_b64 s[0:1], s[0:1]
	s_cbranch_execz .LBB112_711
; %bb.710:
	ds_write2_b64 v0, v[109:110], v[111:112] offset0:68 offset1:69
	ds_write2_b64 v0, v[113:114], v[115:116] offset0:70 offset1:71
	;; [unrolled: 1-line block ×7, first 2 shown]
	buffer_load_dword v57, off, s[24:27], 0 ; 4-byte Folded Reload
	buffer_load_dword v58, off, s[24:27], 0 offset:4 ; 4-byte Folded Reload
	buffer_load_dword v59, off, s[24:27], 0 offset:8 ; 4-byte Folded Reload
	;; [unrolled: 1-line block ×3, first 2 shown]
	v_mov_b32_e32 v96, 33
	s_waitcnt vmcnt(0)
	ds_write2_b64 v0, v[57:58], v[59:60] offset0:82 offset1:83
	ds_write2_b64 v0, v[53:54], v[55:56] offset0:84 offset1:85
	;; [unrolled: 1-line block ×16, first 2 shown]
.LBB112_711:
	s_or_b64 exec, exec, s[0:1]
	v_cmp_lt_i32_e32 vcc, 33, v96
	s_waitcnt vmcnt(0) lgkmcnt(0)
	s_barrier
	s_and_saveexec_b64 s[0:1], vcc
	s_cbranch_execz .LBB112_713
; %bb.712:
	v_mul_f64 v[91:92], v[117:118], v[87:88]
	v_mul_f64 v[89:90], v[119:120], v[87:88]
	v_fma_f64 v[87:88], v[119:120], v[85:86], v[91:92]
	ds_read2_b64 v[91:94], v0 offset0:68 offset1:69
	v_fma_f64 v[89:90], v[117:118], v[85:86], -v[89:90]
	s_waitcnt lgkmcnt(0)
	v_mul_f64 v[97:98], v[93:94], v[87:88]
	v_mov_b32_e32 v85, v89
	v_mov_b32_e32 v86, v90
	v_fma_f64 v[97:98], v[91:92], v[89:90], -v[97:98]
	v_mul_f64 v[91:92], v[91:92], v[87:88]
	v_add_f64 v[109:110], v[109:110], -v[97:98]
	v_fma_f64 v[91:92], v[93:94], v[89:90], v[91:92]
	v_add_f64 v[111:112], v[111:112], -v[91:92]
	ds_read2_b64 v[91:94], v0 offset0:70 offset1:71
	s_waitcnt lgkmcnt(0)
	v_mul_f64 v[97:98], v[93:94], v[87:88]
	v_fma_f64 v[97:98], v[91:92], v[89:90], -v[97:98]
	v_mul_f64 v[91:92], v[91:92], v[87:88]
	v_add_f64 v[113:114], v[113:114], -v[97:98]
	v_fma_f64 v[91:92], v[93:94], v[89:90], v[91:92]
	v_add_f64 v[115:116], v[115:116], -v[91:92]
	ds_read2_b64 v[91:94], v0 offset0:72 offset1:73
	s_waitcnt lgkmcnt(0)
	v_mul_f64 v[97:98], v[93:94], v[87:88]
	v_fma_f64 v[97:98], v[91:92], v[89:90], -v[97:98]
	v_mul_f64 v[91:92], v[91:92], v[87:88]
	v_add_f64 v[77:78], v[77:78], -v[97:98]
	v_fma_f64 v[91:92], v[93:94], v[89:90], v[91:92]
	v_add_f64 v[79:80], v[79:80], -v[91:92]
	ds_read2_b64 v[91:94], v0 offset0:74 offset1:75
	s_waitcnt lgkmcnt(0)
	v_mul_f64 v[97:98], v[93:94], v[87:88]
	v_fma_f64 v[97:98], v[91:92], v[89:90], -v[97:98]
	v_mul_f64 v[91:92], v[91:92], v[87:88]
	v_add_f64 v[73:74], v[73:74], -v[97:98]
	v_fma_f64 v[91:92], v[93:94], v[89:90], v[91:92]
	v_add_f64 v[75:76], v[75:76], -v[91:92]
	ds_read2_b64 v[91:94], v0 offset0:76 offset1:77
	s_waitcnt lgkmcnt(0)
	v_mul_f64 v[97:98], v[93:94], v[87:88]
	v_fma_f64 v[97:98], v[91:92], v[89:90], -v[97:98]
	v_mul_f64 v[91:92], v[91:92], v[87:88]
	v_add_f64 v[69:70], v[69:70], -v[97:98]
	v_fma_f64 v[91:92], v[93:94], v[89:90], v[91:92]
	v_add_f64 v[71:72], v[71:72], -v[91:92]
	ds_read2_b64 v[91:94], v0 offset0:78 offset1:79
	s_waitcnt lgkmcnt(0)
	v_mul_f64 v[97:98], v[93:94], v[87:88]
	v_fma_f64 v[97:98], v[91:92], v[89:90], -v[97:98]
	v_mul_f64 v[91:92], v[91:92], v[87:88]
	v_add_f64 v[65:66], v[65:66], -v[97:98]
	v_fma_f64 v[91:92], v[93:94], v[89:90], v[91:92]
	v_add_f64 v[67:68], v[67:68], -v[91:92]
	ds_read2_b64 v[91:94], v0 offset0:80 offset1:81
	s_waitcnt lgkmcnt(0)
	v_mul_f64 v[97:98], v[93:94], v[87:88]
	v_fma_f64 v[97:98], v[91:92], v[89:90], -v[97:98]
	v_mul_f64 v[91:92], v[91:92], v[87:88]
	v_add_f64 v[61:62], v[61:62], -v[97:98]
	v_fma_f64 v[91:92], v[93:94], v[89:90], v[91:92]
	v_add_f64 v[63:64], v[63:64], -v[91:92]
	ds_read2_b64 v[91:94], v0 offset0:82 offset1:83
	buffer_load_dword v57, off, s[24:27], 0 ; 4-byte Folded Reload
	buffer_load_dword v58, off, s[24:27], 0 offset:4 ; 4-byte Folded Reload
	buffer_load_dword v59, off, s[24:27], 0 offset:8 ; 4-byte Folded Reload
	;; [unrolled: 1-line block ×3, first 2 shown]
	s_waitcnt lgkmcnt(0)
	v_mul_f64 v[97:98], v[93:94], v[87:88]
	v_fma_f64 v[97:98], v[91:92], v[89:90], -v[97:98]
	v_mul_f64 v[91:92], v[91:92], v[87:88]
	v_fma_f64 v[91:92], v[93:94], v[89:90], v[91:92]
	s_waitcnt vmcnt(2)
	v_add_f64 v[57:58], v[57:58], -v[97:98]
	s_waitcnt vmcnt(0)
	v_add_f64 v[59:60], v[59:60], -v[91:92]
	buffer_store_dword v57, off, s[24:27], 0 ; 4-byte Folded Spill
	s_nop 0
	buffer_store_dword v58, off, s[24:27], 0 offset:4 ; 4-byte Folded Spill
	buffer_store_dword v59, off, s[24:27], 0 offset:8 ; 4-byte Folded Spill
	;; [unrolled: 1-line block ×3, first 2 shown]
	ds_read2_b64 v[91:94], v0 offset0:84 offset1:85
	s_waitcnt lgkmcnt(0)
	v_mul_f64 v[97:98], v[93:94], v[87:88]
	v_fma_f64 v[97:98], v[91:92], v[89:90], -v[97:98]
	v_mul_f64 v[91:92], v[91:92], v[87:88]
	v_add_f64 v[53:54], v[53:54], -v[97:98]
	v_fma_f64 v[91:92], v[93:94], v[89:90], v[91:92]
	v_add_f64 v[55:56], v[55:56], -v[91:92]
	ds_read2_b64 v[91:94], v0 offset0:86 offset1:87
	s_waitcnt lgkmcnt(0)
	v_mul_f64 v[97:98], v[93:94], v[87:88]
	v_fma_f64 v[97:98], v[91:92], v[89:90], -v[97:98]
	v_mul_f64 v[91:92], v[91:92], v[87:88]
	v_add_f64 v[49:50], v[49:50], -v[97:98]
	v_fma_f64 v[91:92], v[93:94], v[89:90], v[91:92]
	v_add_f64 v[51:52], v[51:52], -v[91:92]
	;; [unrolled: 8-line block ×15, first 2 shown]
.LBB112_713:
	s_or_b64 exec, exec, s[0:1]
	v_lshl_add_u32 v89, v96, 4, v0
	s_waitcnt vmcnt(0)
	s_barrier
	ds_write2_b64 v89, v[109:110], v[111:112] offset1:1
	s_waitcnt lgkmcnt(0)
	s_barrier
	ds_read2_b64 v[117:120], v0 offset0:68 offset1:69
	s_cmp_lt_i32 s3, 36
	v_mov_b32_e32 v89, 34
	s_cbranch_scc1 .LBB112_716
; %bb.714:
	v_add_u32_e32 v90, 0x230, v0
	s_mov_b32 s0, 35
	v_mov_b32_e32 v89, 34
.LBB112_715:                            ; =>This Inner Loop Header: Depth=1
	s_waitcnt lgkmcnt(0)
	v_cmp_gt_f64_e32 vcc, 0, v[117:118]
	v_xor_b32_e32 v97, 0x80000000, v118
	ds_read2_b64 v[91:94], v90 offset1:1
	v_xor_b32_e32 v99, 0x80000000, v120
	v_add_u32_e32 v90, 16, v90
	s_waitcnt lgkmcnt(0)
	v_xor_b32_e32 v101, 0x80000000, v94
	v_cndmask_b32_e32 v98, v118, v97, vcc
	v_cmp_gt_f64_e32 vcc, 0, v[119:120]
	v_mov_b32_e32 v97, v117
	v_cndmask_b32_e32 v100, v120, v99, vcc
	v_cmp_gt_f64_e32 vcc, 0, v[91:92]
	v_mov_b32_e32 v99, v119
	v_add_f64 v[97:98], v[97:98], v[99:100]
	v_xor_b32_e32 v99, 0x80000000, v92
	v_cndmask_b32_e32 v100, v92, v99, vcc
	v_cmp_gt_f64_e32 vcc, 0, v[93:94]
	v_mov_b32_e32 v99, v91
	v_cndmask_b32_e32 v102, v94, v101, vcc
	v_mov_b32_e32 v101, v93
	v_add_f64 v[99:100], v[99:100], v[101:102]
	v_cmp_lt_f64_e32 vcc, v[97:98], v[99:100]
	v_cndmask_b32_e32 v117, v117, v91, vcc
	v_mov_b32_e32 v91, s0
	s_add_i32 s0, s0, 1
	v_cndmask_b32_e32 v118, v118, v92, vcc
	v_cndmask_b32_e32 v120, v120, v94, vcc
	;; [unrolled: 1-line block ×4, first 2 shown]
	s_cmp_lg_u32 s3, s0
	s_cbranch_scc1 .LBB112_715
.LBB112_716:
	s_waitcnt lgkmcnt(0)
	v_cmp_eq_f64_e32 vcc, 0, v[117:118]
	v_cmp_eq_f64_e64 s[0:1], 0, v[119:120]
	s_and_b64 s[0:1], vcc, s[0:1]
	s_and_saveexec_b64 s[18:19], s[0:1]
	s_xor_b64 s[0:1], exec, s[18:19]
; %bb.717:
	v_cmp_ne_u32_e32 vcc, 0, v95
	v_cndmask_b32_e32 v95, 35, v95, vcc
; %bb.718:
	s_andn2_saveexec_b64 s[0:1], s[0:1]
	s_cbranch_execz .LBB112_724
; %bb.719:
	v_cmp_ngt_f64_e64 s[18:19], |v[117:118]|, |v[119:120]|
	s_and_saveexec_b64 s[20:21], s[18:19]
	s_xor_b64 s[18:19], exec, s[20:21]
	s_cbranch_execz .LBB112_721
; %bb.720:
	v_div_scale_f64 v[90:91], s[20:21], v[119:120], v[119:120], v[117:118]
	v_rcp_f64_e32 v[92:93], v[90:91]
	v_fma_f64 v[97:98], -v[90:91], v[92:93], 1.0
	v_fma_f64 v[92:93], v[92:93], v[97:98], v[92:93]
	v_div_scale_f64 v[97:98], vcc, v[117:118], v[119:120], v[117:118]
	v_fma_f64 v[99:100], -v[90:91], v[92:93], 1.0
	v_fma_f64 v[92:93], v[92:93], v[99:100], v[92:93]
	v_mul_f64 v[99:100], v[97:98], v[92:93]
	v_fma_f64 v[90:91], -v[90:91], v[99:100], v[97:98]
	v_div_fmas_f64 v[90:91], v[90:91], v[92:93], v[99:100]
	v_div_fixup_f64 v[90:91], v[90:91], v[119:120], v[117:118]
	v_fma_f64 v[92:93], v[117:118], v[90:91], v[119:120]
	v_div_scale_f64 v[97:98], s[20:21], v[92:93], v[92:93], 1.0
	v_div_scale_f64 v[103:104], vcc, 1.0, v[92:93], 1.0
	v_rcp_f64_e32 v[99:100], v[97:98]
	v_fma_f64 v[101:102], -v[97:98], v[99:100], 1.0
	v_fma_f64 v[99:100], v[99:100], v[101:102], v[99:100]
	v_fma_f64 v[101:102], -v[97:98], v[99:100], 1.0
	v_fma_f64 v[99:100], v[99:100], v[101:102], v[99:100]
	v_mul_f64 v[101:102], v[103:104], v[99:100]
	v_fma_f64 v[97:98], -v[97:98], v[101:102], v[103:104]
	v_div_fmas_f64 v[97:98], v[97:98], v[99:100], v[101:102]
	v_div_fixup_f64 v[119:120], v[97:98], v[92:93], 1.0
	v_mul_f64 v[117:118], v[90:91], v[119:120]
	v_xor_b32_e32 v120, 0x80000000, v120
.LBB112_721:
	s_andn2_saveexec_b64 s[18:19], s[18:19]
	s_cbranch_execz .LBB112_723
; %bb.722:
	v_div_scale_f64 v[90:91], s[20:21], v[117:118], v[117:118], v[119:120]
	v_rcp_f64_e32 v[92:93], v[90:91]
	v_fma_f64 v[97:98], -v[90:91], v[92:93], 1.0
	v_fma_f64 v[92:93], v[92:93], v[97:98], v[92:93]
	v_div_scale_f64 v[97:98], vcc, v[119:120], v[117:118], v[119:120]
	v_fma_f64 v[99:100], -v[90:91], v[92:93], 1.0
	v_fma_f64 v[92:93], v[92:93], v[99:100], v[92:93]
	v_mul_f64 v[99:100], v[97:98], v[92:93]
	v_fma_f64 v[90:91], -v[90:91], v[99:100], v[97:98]
	v_div_fmas_f64 v[90:91], v[90:91], v[92:93], v[99:100]
	v_div_fixup_f64 v[90:91], v[90:91], v[117:118], v[119:120]
	v_fma_f64 v[92:93], v[119:120], v[90:91], v[117:118]
	v_div_scale_f64 v[97:98], s[20:21], v[92:93], v[92:93], 1.0
	v_div_scale_f64 v[103:104], vcc, 1.0, v[92:93], 1.0
	v_rcp_f64_e32 v[99:100], v[97:98]
	v_fma_f64 v[101:102], -v[97:98], v[99:100], 1.0
	v_fma_f64 v[99:100], v[99:100], v[101:102], v[99:100]
	v_fma_f64 v[101:102], -v[97:98], v[99:100], 1.0
	v_fma_f64 v[99:100], v[99:100], v[101:102], v[99:100]
	v_mul_f64 v[101:102], v[103:104], v[99:100]
	v_fma_f64 v[97:98], -v[97:98], v[101:102], v[103:104]
	v_div_fmas_f64 v[97:98], v[97:98], v[99:100], v[101:102]
	v_div_fixup_f64 v[117:118], v[97:98], v[92:93], 1.0
	v_mul_f64 v[119:120], v[90:91], -v[117:118]
.LBB112_723:
	s_or_b64 exec, exec, s[18:19]
.LBB112_724:
	s_or_b64 exec, exec, s[0:1]
	v_cmp_ne_u32_e32 vcc, v96, v89
	s_and_saveexec_b64 s[0:1], vcc
	s_xor_b64 s[0:1], exec, s[0:1]
	s_cbranch_execz .LBB112_730
; %bb.725:
	v_cmp_eq_u32_e32 vcc, 34, v96
	s_and_saveexec_b64 s[18:19], vcc
	s_cbranch_execz .LBB112_729
; %bb.726:
	v_cmp_ne_u32_e32 vcc, 34, v89
	s_xor_b64 s[20:21], s[6:7], -1
	s_and_b64 s[22:23], s[20:21], vcc
	s_and_saveexec_b64 s[20:21], s[22:23]
	s_cbranch_execz .LBB112_728
; %bb.727:
	buffer_load_dword v81, off, s[24:27], 0 offset:464 ; 4-byte Folded Reload
	buffer_load_dword v82, off, s[24:27], 0 offset:468 ; 4-byte Folded Reload
	v_ashrrev_i32_e32 v90, 31, v89
	v_lshlrev_b64 v[90:91], 2, v[89:90]
	s_waitcnt vmcnt(1)
	v_add_co_u32_e32 v90, vcc, v81, v90
	s_waitcnt vmcnt(0)
	v_addc_co_u32_e32 v91, vcc, v82, v91, vcc
	global_load_dword v92, v[90:91], off
	global_load_dword v93, v[81:82], off offset:136
	s_waitcnt vmcnt(1)
	global_store_dword v[81:82], v92, off offset:136
	v_mov_b32_e32 v81, v105
	v_mov_b32_e32 v82, v106
	v_mov_b32_e32 v83, v107
	v_mov_b32_e32 v84, v108
	s_waitcnt vmcnt(1)
	global_store_dword v[90:91], v93, off
.LBB112_728:
	s_or_b64 exec, exec, s[20:21]
	v_mov_b32_e32 v96, v89
	v_mov_b32_e32 v127, v89
.LBB112_729:
	s_or_b64 exec, exec, s[18:19]
.LBB112_730:
	s_andn2_saveexec_b64 s[0:1], s[0:1]
	s_cbranch_execz .LBB112_732
; %bb.731:
	ds_write2_b64 v0, v[113:114], v[115:116] offset0:70 offset1:71
	ds_write2_b64 v0, v[77:78], v[79:80] offset0:72 offset1:73
	;; [unrolled: 1-line block ×6, first 2 shown]
	buffer_load_dword v57, off, s[24:27], 0 ; 4-byte Folded Reload
	buffer_load_dword v58, off, s[24:27], 0 offset:4 ; 4-byte Folded Reload
	buffer_load_dword v59, off, s[24:27], 0 offset:8 ; 4-byte Folded Reload
	;; [unrolled: 1-line block ×3, first 2 shown]
	v_mov_b32_e32 v96, 34
	s_waitcnt vmcnt(0)
	ds_write2_b64 v0, v[57:58], v[59:60] offset0:82 offset1:83
	ds_write2_b64 v0, v[53:54], v[55:56] offset0:84 offset1:85
	;; [unrolled: 1-line block ×16, first 2 shown]
.LBB112_732:
	s_or_b64 exec, exec, s[0:1]
	v_cmp_lt_i32_e32 vcc, 34, v96
	s_waitcnt vmcnt(0) lgkmcnt(0)
	s_barrier
	s_and_saveexec_b64 s[0:1], vcc
	s_cbranch_execz .LBB112_734
; %bb.733:
	v_mov_b32_e32 v81, v85
	v_mov_b32_e32 v82, v86
	;; [unrolled: 1-line block ×4, first 2 shown]
	v_mul_f64 v[87:88], v[117:118], v[111:112]
	v_mul_f64 v[89:90], v[119:120], v[111:112]
	ds_read2_b64 v[91:94], v0 offset0:70 offset1:71
	v_fma_f64 v[111:112], v[119:120], v[109:110], v[87:88]
	v_fma_f64 v[89:90], v[117:118], v[109:110], -v[89:90]
	s_waitcnt lgkmcnt(0)
	v_mul_f64 v[85:86], v[93:94], v[111:112]
	v_mov_b32_e32 v110, v90
	v_mov_b32_e32 v109, v89
	v_fma_f64 v[85:86], v[91:92], v[89:90], -v[85:86]
	v_mul_f64 v[91:92], v[91:92], v[111:112]
	v_add_f64 v[113:114], v[113:114], -v[85:86]
	v_fma_f64 v[91:92], v[93:94], v[89:90], v[91:92]
	v_add_f64 v[115:116], v[115:116], -v[91:92]
	ds_read2_b64 v[91:94], v0 offset0:72 offset1:73
	s_waitcnt lgkmcnt(0)
	v_mul_f64 v[85:86], v[93:94], v[111:112]
	v_fma_f64 v[85:86], v[91:92], v[89:90], -v[85:86]
	v_mul_f64 v[91:92], v[91:92], v[111:112]
	v_add_f64 v[77:78], v[77:78], -v[85:86]
	v_fma_f64 v[91:92], v[93:94], v[89:90], v[91:92]
	v_add_f64 v[79:80], v[79:80], -v[91:92]
	ds_read2_b64 v[91:94], v0 offset0:74 offset1:75
	s_waitcnt lgkmcnt(0)
	v_mul_f64 v[85:86], v[93:94], v[111:112]
	;; [unrolled: 8-line block ×5, first 2 shown]
	v_fma_f64 v[85:86], v[91:92], v[89:90], -v[85:86]
	v_mul_f64 v[91:92], v[91:92], v[111:112]
	v_add_f64 v[61:62], v[61:62], -v[85:86]
	v_fma_f64 v[91:92], v[93:94], v[89:90], v[91:92]
	v_add_f64 v[63:64], v[63:64], -v[91:92]
	ds_read2_b64 v[91:94], v0 offset0:82 offset1:83
	buffer_load_dword v57, off, s[24:27], 0 ; 4-byte Folded Reload
	buffer_load_dword v58, off, s[24:27], 0 offset:4 ; 4-byte Folded Reload
	buffer_load_dword v59, off, s[24:27], 0 offset:8 ; 4-byte Folded Reload
	;; [unrolled: 1-line block ×3, first 2 shown]
	s_waitcnt lgkmcnt(0)
	v_mul_f64 v[85:86], v[93:94], v[111:112]
	v_fma_f64 v[85:86], v[91:92], v[89:90], -v[85:86]
	v_mul_f64 v[91:92], v[91:92], v[111:112]
	v_fma_f64 v[91:92], v[93:94], v[89:90], v[91:92]
	s_waitcnt vmcnt(2)
	v_add_f64 v[57:58], v[57:58], -v[85:86]
	s_waitcnt vmcnt(0)
	v_add_f64 v[59:60], v[59:60], -v[91:92]
	buffer_store_dword v57, off, s[24:27], 0 ; 4-byte Folded Spill
	s_nop 0
	buffer_store_dword v58, off, s[24:27], 0 offset:4 ; 4-byte Folded Spill
	buffer_store_dword v59, off, s[24:27], 0 offset:8 ; 4-byte Folded Spill
	;; [unrolled: 1-line block ×3, first 2 shown]
	ds_read2_b64 v[91:94], v0 offset0:84 offset1:85
	s_waitcnt lgkmcnt(0)
	v_mul_f64 v[85:86], v[93:94], v[111:112]
	v_fma_f64 v[85:86], v[91:92], v[89:90], -v[85:86]
	v_mul_f64 v[91:92], v[91:92], v[111:112]
	v_add_f64 v[53:54], v[53:54], -v[85:86]
	v_fma_f64 v[91:92], v[93:94], v[89:90], v[91:92]
	v_add_f64 v[55:56], v[55:56], -v[91:92]
	ds_read2_b64 v[91:94], v0 offset0:86 offset1:87
	s_waitcnt lgkmcnt(0)
	v_mul_f64 v[85:86], v[93:94], v[111:112]
	v_fma_f64 v[85:86], v[91:92], v[89:90], -v[85:86]
	v_mul_f64 v[91:92], v[91:92], v[111:112]
	v_add_f64 v[49:50], v[49:50], -v[85:86]
	v_fma_f64 v[91:92], v[93:94], v[89:90], v[91:92]
	v_add_f64 v[51:52], v[51:52], -v[91:92]
	;; [unrolled: 8-line block ×14, first 2 shown]
	ds_read2_b64 v[91:94], v0 offset0:112 offset1:113
	s_waitcnt lgkmcnt(0)
	v_mul_f64 v[85:86], v[93:94], v[111:112]
	v_fma_f64 v[85:86], v[91:92], v[89:90], -v[85:86]
	v_mul_f64 v[91:92], v[91:92], v[111:112]
	v_add_f64 v[121:122], v[121:122], -v[85:86]
	v_fma_f64 v[91:92], v[93:94], v[89:90], v[91:92]
	v_mov_b32_e32 v88, v84
	v_mov_b32_e32 v87, v83
	;; [unrolled: 1-line block ×7, first 2 shown]
	v_add_f64 v[123:124], v[123:124], -v[91:92]
	v_mov_b32_e32 v84, v108
.LBB112_734:
	s_or_b64 exec, exec, s[0:1]
	v_lshl_add_u32 v89, v96, 4, v0
	s_waitcnt vmcnt(0)
	s_barrier
	ds_write2_b64 v89, v[113:114], v[115:116] offset1:1
	s_waitcnt lgkmcnt(0)
	s_barrier
	ds_read2_b64 v[117:120], v0 offset0:70 offset1:71
	s_cmp_lt_i32 s3, 37
	v_mov_b32_e32 v89, 35
	s_cbranch_scc1 .LBB112_737
; %bb.735:
	v_add_u32_e32 v90, 0x240, v0
	s_mov_b32 s0, 36
	v_mov_b32_e32 v89, 35
.LBB112_736:                            ; =>This Inner Loop Header: Depth=1
	s_waitcnt lgkmcnt(0)
	v_cmp_gt_f64_e32 vcc, 0, v[117:118]
	v_xor_b32_e32 v97, 0x80000000, v118
	ds_read2_b64 v[91:94], v90 offset1:1
	v_xor_b32_e32 v99, 0x80000000, v120
	v_add_u32_e32 v90, 16, v90
	s_waitcnt lgkmcnt(0)
	v_xor_b32_e32 v101, 0x80000000, v94
	v_cndmask_b32_e32 v98, v118, v97, vcc
	v_cmp_gt_f64_e32 vcc, 0, v[119:120]
	v_mov_b32_e32 v97, v117
	v_cndmask_b32_e32 v100, v120, v99, vcc
	v_cmp_gt_f64_e32 vcc, 0, v[91:92]
	v_mov_b32_e32 v99, v119
	v_add_f64 v[97:98], v[97:98], v[99:100]
	v_xor_b32_e32 v99, 0x80000000, v92
	v_cndmask_b32_e32 v100, v92, v99, vcc
	v_cmp_gt_f64_e32 vcc, 0, v[93:94]
	v_mov_b32_e32 v99, v91
	v_cndmask_b32_e32 v102, v94, v101, vcc
	v_mov_b32_e32 v101, v93
	v_add_f64 v[99:100], v[99:100], v[101:102]
	v_cmp_lt_f64_e32 vcc, v[97:98], v[99:100]
	v_cndmask_b32_e32 v117, v117, v91, vcc
	v_mov_b32_e32 v91, s0
	s_add_i32 s0, s0, 1
	v_cndmask_b32_e32 v118, v118, v92, vcc
	v_cndmask_b32_e32 v120, v120, v94, vcc
	;; [unrolled: 1-line block ×4, first 2 shown]
	s_cmp_lg_u32 s3, s0
	s_cbranch_scc1 .LBB112_736
.LBB112_737:
	s_waitcnt lgkmcnt(0)
	v_cmp_eq_f64_e32 vcc, 0, v[117:118]
	v_cmp_eq_f64_e64 s[0:1], 0, v[119:120]
	s_and_b64 s[0:1], vcc, s[0:1]
	s_and_saveexec_b64 s[18:19], s[0:1]
	s_xor_b64 s[0:1], exec, s[18:19]
; %bb.738:
	v_cmp_ne_u32_e32 vcc, 0, v95
	v_cndmask_b32_e32 v95, 36, v95, vcc
; %bb.739:
	s_andn2_saveexec_b64 s[0:1], s[0:1]
	s_cbranch_execz .LBB112_745
; %bb.740:
	v_cmp_ngt_f64_e64 s[18:19], |v[117:118]|, |v[119:120]|
	s_and_saveexec_b64 s[20:21], s[18:19]
	s_xor_b64 s[18:19], exec, s[20:21]
	s_cbranch_execz .LBB112_742
; %bb.741:
	v_div_scale_f64 v[90:91], s[20:21], v[119:120], v[119:120], v[117:118]
	v_rcp_f64_e32 v[92:93], v[90:91]
	v_fma_f64 v[97:98], -v[90:91], v[92:93], 1.0
	v_fma_f64 v[92:93], v[92:93], v[97:98], v[92:93]
	v_div_scale_f64 v[97:98], vcc, v[117:118], v[119:120], v[117:118]
	v_fma_f64 v[99:100], -v[90:91], v[92:93], 1.0
	v_fma_f64 v[92:93], v[92:93], v[99:100], v[92:93]
	v_mul_f64 v[99:100], v[97:98], v[92:93]
	v_fma_f64 v[90:91], -v[90:91], v[99:100], v[97:98]
	v_div_fmas_f64 v[90:91], v[90:91], v[92:93], v[99:100]
	v_div_fixup_f64 v[90:91], v[90:91], v[119:120], v[117:118]
	v_fma_f64 v[92:93], v[117:118], v[90:91], v[119:120]
	v_div_scale_f64 v[97:98], s[20:21], v[92:93], v[92:93], 1.0
	v_div_scale_f64 v[103:104], vcc, 1.0, v[92:93], 1.0
	v_rcp_f64_e32 v[99:100], v[97:98]
	v_fma_f64 v[101:102], -v[97:98], v[99:100], 1.0
	v_fma_f64 v[99:100], v[99:100], v[101:102], v[99:100]
	v_fma_f64 v[101:102], -v[97:98], v[99:100], 1.0
	v_fma_f64 v[99:100], v[99:100], v[101:102], v[99:100]
	v_mul_f64 v[101:102], v[103:104], v[99:100]
	v_fma_f64 v[97:98], -v[97:98], v[101:102], v[103:104]
	v_div_fmas_f64 v[97:98], v[97:98], v[99:100], v[101:102]
	v_div_fixup_f64 v[119:120], v[97:98], v[92:93], 1.0
	v_mul_f64 v[117:118], v[90:91], v[119:120]
	v_xor_b32_e32 v120, 0x80000000, v120
.LBB112_742:
	s_andn2_saveexec_b64 s[18:19], s[18:19]
	s_cbranch_execz .LBB112_744
; %bb.743:
	v_div_scale_f64 v[90:91], s[20:21], v[117:118], v[117:118], v[119:120]
	v_rcp_f64_e32 v[92:93], v[90:91]
	v_fma_f64 v[97:98], -v[90:91], v[92:93], 1.0
	v_fma_f64 v[92:93], v[92:93], v[97:98], v[92:93]
	v_div_scale_f64 v[97:98], vcc, v[119:120], v[117:118], v[119:120]
	v_fma_f64 v[99:100], -v[90:91], v[92:93], 1.0
	v_fma_f64 v[92:93], v[92:93], v[99:100], v[92:93]
	v_mul_f64 v[99:100], v[97:98], v[92:93]
	v_fma_f64 v[90:91], -v[90:91], v[99:100], v[97:98]
	v_div_fmas_f64 v[90:91], v[90:91], v[92:93], v[99:100]
	v_div_fixup_f64 v[90:91], v[90:91], v[117:118], v[119:120]
	v_fma_f64 v[92:93], v[119:120], v[90:91], v[117:118]
	v_div_scale_f64 v[97:98], s[20:21], v[92:93], v[92:93], 1.0
	v_div_scale_f64 v[103:104], vcc, 1.0, v[92:93], 1.0
	v_rcp_f64_e32 v[99:100], v[97:98]
	v_fma_f64 v[101:102], -v[97:98], v[99:100], 1.0
	v_fma_f64 v[99:100], v[99:100], v[101:102], v[99:100]
	v_fma_f64 v[101:102], -v[97:98], v[99:100], 1.0
	v_fma_f64 v[99:100], v[99:100], v[101:102], v[99:100]
	v_mul_f64 v[101:102], v[103:104], v[99:100]
	v_fma_f64 v[97:98], -v[97:98], v[101:102], v[103:104]
	v_div_fmas_f64 v[97:98], v[97:98], v[99:100], v[101:102]
	v_div_fixup_f64 v[117:118], v[97:98], v[92:93], 1.0
	v_mul_f64 v[119:120], v[90:91], -v[117:118]
.LBB112_744:
	s_or_b64 exec, exec, s[18:19]
.LBB112_745:
	s_or_b64 exec, exec, s[0:1]
	v_cmp_ne_u32_e32 vcc, v96, v89
	s_and_saveexec_b64 s[0:1], vcc
	s_xor_b64 s[0:1], exec, s[0:1]
	s_cbranch_execz .LBB112_751
; %bb.746:
	v_cmp_eq_u32_e32 vcc, 35, v96
	s_and_saveexec_b64 s[18:19], vcc
	s_cbranch_execz .LBB112_750
; %bb.747:
	v_cmp_ne_u32_e32 vcc, 35, v89
	s_xor_b64 s[20:21], s[6:7], -1
	s_and_b64 s[22:23], s[20:21], vcc
	s_and_saveexec_b64 s[20:21], s[22:23]
	s_cbranch_execz .LBB112_749
; %bb.748:
	buffer_load_dword v81, off, s[24:27], 0 offset:464 ; 4-byte Folded Reload
	buffer_load_dword v82, off, s[24:27], 0 offset:468 ; 4-byte Folded Reload
	v_ashrrev_i32_e32 v90, 31, v89
	v_lshlrev_b64 v[90:91], 2, v[89:90]
	s_waitcnt vmcnt(1)
	v_add_co_u32_e32 v90, vcc, v81, v90
	s_waitcnt vmcnt(0)
	v_addc_co_u32_e32 v91, vcc, v82, v91, vcc
	global_load_dword v92, v[90:91], off
	global_load_dword v93, v[81:82], off offset:140
	s_waitcnt vmcnt(1)
	global_store_dword v[81:82], v92, off offset:140
	v_mov_b32_e32 v81, v105
	v_mov_b32_e32 v82, v106
	v_mov_b32_e32 v83, v107
	v_mov_b32_e32 v84, v108
	s_waitcnt vmcnt(1)
	global_store_dword v[90:91], v93, off
.LBB112_749:
	s_or_b64 exec, exec, s[20:21]
	v_mov_b32_e32 v96, v89
	v_mov_b32_e32 v127, v89
.LBB112_750:
	s_or_b64 exec, exec, s[18:19]
.LBB112_751:
	s_andn2_saveexec_b64 s[0:1], s[0:1]
	s_cbranch_execz .LBB112_753
; %bb.752:
	ds_write2_b64 v0, v[77:78], v[79:80] offset0:72 offset1:73
	ds_write2_b64 v0, v[73:74], v[75:76] offset0:74 offset1:75
	;; [unrolled: 1-line block ×5, first 2 shown]
	buffer_load_dword v57, off, s[24:27], 0 ; 4-byte Folded Reload
	buffer_load_dword v58, off, s[24:27], 0 offset:4 ; 4-byte Folded Reload
	buffer_load_dword v59, off, s[24:27], 0 offset:8 ; 4-byte Folded Reload
	;; [unrolled: 1-line block ×3, first 2 shown]
	v_mov_b32_e32 v96, 35
	s_waitcnt vmcnt(0)
	ds_write2_b64 v0, v[57:58], v[59:60] offset0:82 offset1:83
	ds_write2_b64 v0, v[53:54], v[55:56] offset0:84 offset1:85
	;; [unrolled: 1-line block ×16, first 2 shown]
.LBB112_753:
	s_or_b64 exec, exec, s[0:1]
	v_cmp_lt_i32_e32 vcc, 35, v96
	s_waitcnt vmcnt(0) lgkmcnt(0)
	s_barrier
	s_and_saveexec_b64 s[0:1], vcc
	s_cbranch_execz .LBB112_755
; %bb.754:
	v_mul_f64 v[83:84], v[117:118], v[115:116]
	v_mul_f64 v[89:90], v[119:120], v[115:116]
	ds_read2_b64 v[91:94], v0 offset0:72 offset1:73
	v_fma_f64 v[115:116], v[119:120], v[113:114], v[83:84]
	v_fma_f64 v[89:90], v[117:118], v[113:114], -v[89:90]
	s_waitcnt lgkmcnt(0)
	v_mul_f64 v[81:82], v[93:94], v[115:116]
	v_mov_b32_e32 v114, v90
	v_mov_b32_e32 v113, v89
	v_fma_f64 v[81:82], v[91:92], v[89:90], -v[81:82]
	v_mul_f64 v[91:92], v[91:92], v[115:116]
	v_add_f64 v[77:78], v[77:78], -v[81:82]
	v_fma_f64 v[91:92], v[93:94], v[89:90], v[91:92]
	v_add_f64 v[79:80], v[79:80], -v[91:92]
	ds_read2_b64 v[91:94], v0 offset0:74 offset1:75
	s_waitcnt lgkmcnt(0)
	v_mul_f64 v[81:82], v[93:94], v[115:116]
	v_fma_f64 v[81:82], v[91:92], v[89:90], -v[81:82]
	v_mul_f64 v[91:92], v[91:92], v[115:116]
	v_add_f64 v[73:74], v[73:74], -v[81:82]
	v_fma_f64 v[91:92], v[93:94], v[89:90], v[91:92]
	v_add_f64 v[75:76], v[75:76], -v[91:92]
	ds_read2_b64 v[91:94], v0 offset0:76 offset1:77
	s_waitcnt lgkmcnt(0)
	v_mul_f64 v[81:82], v[93:94], v[115:116]
	;; [unrolled: 8-line block ×4, first 2 shown]
	v_fma_f64 v[81:82], v[91:92], v[89:90], -v[81:82]
	v_mul_f64 v[91:92], v[91:92], v[115:116]
	v_add_f64 v[61:62], v[61:62], -v[81:82]
	v_fma_f64 v[91:92], v[93:94], v[89:90], v[91:92]
	v_add_f64 v[63:64], v[63:64], -v[91:92]
	ds_read2_b64 v[91:94], v0 offset0:82 offset1:83
	buffer_load_dword v57, off, s[24:27], 0 ; 4-byte Folded Reload
	buffer_load_dword v58, off, s[24:27], 0 offset:4 ; 4-byte Folded Reload
	buffer_load_dword v59, off, s[24:27], 0 offset:8 ; 4-byte Folded Reload
	;; [unrolled: 1-line block ×3, first 2 shown]
	s_waitcnt lgkmcnt(0)
	v_mul_f64 v[81:82], v[93:94], v[115:116]
	v_fma_f64 v[81:82], v[91:92], v[89:90], -v[81:82]
	v_mul_f64 v[91:92], v[91:92], v[115:116]
	v_fma_f64 v[91:92], v[93:94], v[89:90], v[91:92]
	s_waitcnt vmcnt(2)
	v_add_f64 v[57:58], v[57:58], -v[81:82]
	s_waitcnt vmcnt(0)
	v_add_f64 v[59:60], v[59:60], -v[91:92]
	buffer_store_dword v57, off, s[24:27], 0 ; 4-byte Folded Spill
	s_nop 0
	buffer_store_dword v58, off, s[24:27], 0 offset:4 ; 4-byte Folded Spill
	buffer_store_dword v59, off, s[24:27], 0 offset:8 ; 4-byte Folded Spill
	buffer_store_dword v60, off, s[24:27], 0 offset:12 ; 4-byte Folded Spill
	ds_read2_b64 v[91:94], v0 offset0:84 offset1:85
	s_waitcnt lgkmcnt(0)
	v_mul_f64 v[81:82], v[93:94], v[115:116]
	v_fma_f64 v[81:82], v[91:92], v[89:90], -v[81:82]
	v_mul_f64 v[91:92], v[91:92], v[115:116]
	v_add_f64 v[53:54], v[53:54], -v[81:82]
	v_fma_f64 v[91:92], v[93:94], v[89:90], v[91:92]
	v_add_f64 v[55:56], v[55:56], -v[91:92]
	ds_read2_b64 v[91:94], v0 offset0:86 offset1:87
	s_waitcnt lgkmcnt(0)
	v_mul_f64 v[81:82], v[93:94], v[115:116]
	v_fma_f64 v[81:82], v[91:92], v[89:90], -v[81:82]
	v_mul_f64 v[91:92], v[91:92], v[115:116]
	v_add_f64 v[49:50], v[49:50], -v[81:82]
	v_fma_f64 v[91:92], v[93:94], v[89:90], v[91:92]
	v_add_f64 v[51:52], v[51:52], -v[91:92]
	;; [unrolled: 8-line block ×14, first 2 shown]
	ds_read2_b64 v[91:94], v0 offset0:112 offset1:113
	s_waitcnt lgkmcnt(0)
	v_mul_f64 v[81:82], v[93:94], v[115:116]
	v_fma_f64 v[81:82], v[91:92], v[89:90], -v[81:82]
	v_mul_f64 v[91:92], v[91:92], v[115:116]
	v_add_f64 v[121:122], v[121:122], -v[81:82]
	v_fma_f64 v[91:92], v[93:94], v[89:90], v[91:92]
	v_mov_b32_e32 v81, v105
	v_mov_b32_e32 v82, v106
	;; [unrolled: 1-line block ×4, first 2 shown]
	v_add_f64 v[123:124], v[123:124], -v[91:92]
.LBB112_755:
	s_or_b64 exec, exec, s[0:1]
	v_lshl_add_u32 v89, v96, 4, v0
	s_waitcnt vmcnt(0)
	s_barrier
	ds_write2_b64 v89, v[77:78], v[79:80] offset1:1
	s_waitcnt lgkmcnt(0)
	s_barrier
	ds_read2_b64 v[117:120], v0 offset0:72 offset1:73
	s_cmp_lt_i32 s3, 38
	v_mov_b32_e32 v89, 36
	s_cbranch_scc1 .LBB112_758
; %bb.756:
	v_add_u32_e32 v90, 0x250, v0
	s_mov_b32 s0, 37
	v_mov_b32_e32 v89, 36
.LBB112_757:                            ; =>This Inner Loop Header: Depth=1
	s_waitcnt lgkmcnt(0)
	v_cmp_gt_f64_e32 vcc, 0, v[117:118]
	v_xor_b32_e32 v97, 0x80000000, v118
	ds_read2_b64 v[91:94], v90 offset1:1
	v_xor_b32_e32 v99, 0x80000000, v120
	v_add_u32_e32 v90, 16, v90
	s_waitcnt lgkmcnt(0)
	v_xor_b32_e32 v101, 0x80000000, v94
	v_cndmask_b32_e32 v98, v118, v97, vcc
	v_cmp_gt_f64_e32 vcc, 0, v[119:120]
	v_mov_b32_e32 v97, v117
	v_cndmask_b32_e32 v100, v120, v99, vcc
	v_cmp_gt_f64_e32 vcc, 0, v[91:92]
	v_mov_b32_e32 v99, v119
	v_add_f64 v[97:98], v[97:98], v[99:100]
	v_xor_b32_e32 v99, 0x80000000, v92
	v_cndmask_b32_e32 v100, v92, v99, vcc
	v_cmp_gt_f64_e32 vcc, 0, v[93:94]
	v_mov_b32_e32 v99, v91
	v_cndmask_b32_e32 v102, v94, v101, vcc
	v_mov_b32_e32 v101, v93
	v_add_f64 v[99:100], v[99:100], v[101:102]
	v_cmp_lt_f64_e32 vcc, v[97:98], v[99:100]
	v_cndmask_b32_e32 v117, v117, v91, vcc
	v_mov_b32_e32 v91, s0
	s_add_i32 s0, s0, 1
	v_cndmask_b32_e32 v118, v118, v92, vcc
	v_cndmask_b32_e32 v120, v120, v94, vcc
	;; [unrolled: 1-line block ×4, first 2 shown]
	s_cmp_lg_u32 s3, s0
	s_cbranch_scc1 .LBB112_757
.LBB112_758:
	s_waitcnt lgkmcnt(0)
	v_cmp_eq_f64_e32 vcc, 0, v[117:118]
	v_cmp_eq_f64_e64 s[0:1], 0, v[119:120]
	s_and_b64 s[0:1], vcc, s[0:1]
	s_and_saveexec_b64 s[18:19], s[0:1]
	s_xor_b64 s[0:1], exec, s[18:19]
; %bb.759:
	v_cmp_ne_u32_e32 vcc, 0, v95
	v_cndmask_b32_e32 v95, 37, v95, vcc
; %bb.760:
	s_andn2_saveexec_b64 s[0:1], s[0:1]
	s_cbranch_execz .LBB112_766
; %bb.761:
	v_cmp_ngt_f64_e64 s[18:19], |v[117:118]|, |v[119:120]|
	s_and_saveexec_b64 s[20:21], s[18:19]
	s_xor_b64 s[18:19], exec, s[20:21]
	s_cbranch_execz .LBB112_763
; %bb.762:
	v_div_scale_f64 v[90:91], s[20:21], v[119:120], v[119:120], v[117:118]
	v_rcp_f64_e32 v[92:93], v[90:91]
	v_fma_f64 v[97:98], -v[90:91], v[92:93], 1.0
	v_fma_f64 v[92:93], v[92:93], v[97:98], v[92:93]
	v_div_scale_f64 v[97:98], vcc, v[117:118], v[119:120], v[117:118]
	v_fma_f64 v[99:100], -v[90:91], v[92:93], 1.0
	v_fma_f64 v[92:93], v[92:93], v[99:100], v[92:93]
	v_mul_f64 v[99:100], v[97:98], v[92:93]
	v_fma_f64 v[90:91], -v[90:91], v[99:100], v[97:98]
	v_div_fmas_f64 v[90:91], v[90:91], v[92:93], v[99:100]
	v_div_fixup_f64 v[90:91], v[90:91], v[119:120], v[117:118]
	v_fma_f64 v[92:93], v[117:118], v[90:91], v[119:120]
	v_div_scale_f64 v[97:98], s[20:21], v[92:93], v[92:93], 1.0
	v_div_scale_f64 v[103:104], vcc, 1.0, v[92:93], 1.0
	v_rcp_f64_e32 v[99:100], v[97:98]
	v_fma_f64 v[101:102], -v[97:98], v[99:100], 1.0
	v_fma_f64 v[99:100], v[99:100], v[101:102], v[99:100]
	v_fma_f64 v[101:102], -v[97:98], v[99:100], 1.0
	v_fma_f64 v[99:100], v[99:100], v[101:102], v[99:100]
	v_mul_f64 v[101:102], v[103:104], v[99:100]
	v_fma_f64 v[97:98], -v[97:98], v[101:102], v[103:104]
	v_div_fmas_f64 v[97:98], v[97:98], v[99:100], v[101:102]
	v_div_fixup_f64 v[119:120], v[97:98], v[92:93], 1.0
	v_mul_f64 v[117:118], v[90:91], v[119:120]
	v_xor_b32_e32 v120, 0x80000000, v120
.LBB112_763:
	s_andn2_saveexec_b64 s[18:19], s[18:19]
	s_cbranch_execz .LBB112_765
; %bb.764:
	v_div_scale_f64 v[90:91], s[20:21], v[117:118], v[117:118], v[119:120]
	v_rcp_f64_e32 v[92:93], v[90:91]
	v_fma_f64 v[97:98], -v[90:91], v[92:93], 1.0
	v_fma_f64 v[92:93], v[92:93], v[97:98], v[92:93]
	v_div_scale_f64 v[97:98], vcc, v[119:120], v[117:118], v[119:120]
	v_fma_f64 v[99:100], -v[90:91], v[92:93], 1.0
	v_fma_f64 v[92:93], v[92:93], v[99:100], v[92:93]
	v_mul_f64 v[99:100], v[97:98], v[92:93]
	v_fma_f64 v[90:91], -v[90:91], v[99:100], v[97:98]
	v_div_fmas_f64 v[90:91], v[90:91], v[92:93], v[99:100]
	v_div_fixup_f64 v[90:91], v[90:91], v[117:118], v[119:120]
	v_fma_f64 v[92:93], v[119:120], v[90:91], v[117:118]
	v_div_scale_f64 v[97:98], s[20:21], v[92:93], v[92:93], 1.0
	v_div_scale_f64 v[103:104], vcc, 1.0, v[92:93], 1.0
	v_rcp_f64_e32 v[99:100], v[97:98]
	v_fma_f64 v[101:102], -v[97:98], v[99:100], 1.0
	v_fma_f64 v[99:100], v[99:100], v[101:102], v[99:100]
	v_fma_f64 v[101:102], -v[97:98], v[99:100], 1.0
	v_fma_f64 v[99:100], v[99:100], v[101:102], v[99:100]
	v_mul_f64 v[101:102], v[103:104], v[99:100]
	v_fma_f64 v[97:98], -v[97:98], v[101:102], v[103:104]
	v_div_fmas_f64 v[97:98], v[97:98], v[99:100], v[101:102]
	v_div_fixup_f64 v[117:118], v[97:98], v[92:93], 1.0
	v_mul_f64 v[119:120], v[90:91], -v[117:118]
.LBB112_765:
	s_or_b64 exec, exec, s[18:19]
.LBB112_766:
	s_or_b64 exec, exec, s[0:1]
	v_cmp_ne_u32_e32 vcc, v96, v89
	s_and_saveexec_b64 s[0:1], vcc
	s_xor_b64 s[0:1], exec, s[0:1]
	s_cbranch_execz .LBB112_772
; %bb.767:
	v_cmp_eq_u32_e32 vcc, 36, v96
	s_and_saveexec_b64 s[18:19], vcc
	s_cbranch_execz .LBB112_771
; %bb.768:
	v_cmp_ne_u32_e32 vcc, 36, v89
	s_xor_b64 s[20:21], s[6:7], -1
	s_and_b64 s[22:23], s[20:21], vcc
	s_and_saveexec_b64 s[20:21], s[22:23]
	s_cbranch_execz .LBB112_770
; %bb.769:
	buffer_load_dword v81, off, s[24:27], 0 offset:464 ; 4-byte Folded Reload
	buffer_load_dword v82, off, s[24:27], 0 offset:468 ; 4-byte Folded Reload
	v_ashrrev_i32_e32 v90, 31, v89
	v_lshlrev_b64 v[90:91], 2, v[89:90]
	s_waitcnt vmcnt(1)
	v_add_co_u32_e32 v90, vcc, v81, v90
	s_waitcnt vmcnt(0)
	v_addc_co_u32_e32 v91, vcc, v82, v91, vcc
	global_load_dword v92, v[90:91], off
	global_load_dword v93, v[81:82], off offset:144
	s_waitcnt vmcnt(1)
	global_store_dword v[81:82], v92, off offset:144
	v_mov_b32_e32 v81, v105
	v_mov_b32_e32 v82, v106
	;; [unrolled: 1-line block ×4, first 2 shown]
	s_waitcnt vmcnt(1)
	global_store_dword v[90:91], v93, off
.LBB112_770:
	s_or_b64 exec, exec, s[20:21]
	v_mov_b32_e32 v96, v89
	v_mov_b32_e32 v127, v89
.LBB112_771:
	s_or_b64 exec, exec, s[18:19]
.LBB112_772:
	s_andn2_saveexec_b64 s[0:1], s[0:1]
	s_cbranch_execz .LBB112_774
; %bb.773:
	ds_write2_b64 v0, v[73:74], v[75:76] offset0:74 offset1:75
	ds_write2_b64 v0, v[69:70], v[71:72] offset0:76 offset1:77
	;; [unrolled: 1-line block ×4, first 2 shown]
	buffer_load_dword v57, off, s[24:27], 0 ; 4-byte Folded Reload
	buffer_load_dword v58, off, s[24:27], 0 offset:4 ; 4-byte Folded Reload
	buffer_load_dword v59, off, s[24:27], 0 offset:8 ; 4-byte Folded Reload
	;; [unrolled: 1-line block ×3, first 2 shown]
	v_mov_b32_e32 v96, 36
	s_waitcnt vmcnt(0)
	ds_write2_b64 v0, v[57:58], v[59:60] offset0:82 offset1:83
	ds_write2_b64 v0, v[53:54], v[55:56] offset0:84 offset1:85
	;; [unrolled: 1-line block ×16, first 2 shown]
.LBB112_774:
	s_or_b64 exec, exec, s[0:1]
	v_cmp_lt_i32_e32 vcc, 36, v96
	s_waitcnt vmcnt(0) lgkmcnt(0)
	s_barrier
	s_and_saveexec_b64 s[0:1], vcc
	s_cbranch_execz .LBB112_776
; %bb.775:
	v_mul_f64 v[89:90], v[119:120], v[79:80]
	v_mul_f64 v[79:80], v[117:118], v[79:80]
	ds_read2_b64 v[91:94], v0 offset0:74 offset1:75
	v_fma_f64 v[89:90], v[117:118], v[77:78], -v[89:90]
	v_fma_f64 v[79:80], v[119:120], v[77:78], v[79:80]
	s_waitcnt lgkmcnt(0)
	v_mul_f64 v[77:78], v[93:94], v[79:80]
	v_fma_f64 v[77:78], v[91:92], v[89:90], -v[77:78]
	v_mul_f64 v[91:92], v[91:92], v[79:80]
	v_add_f64 v[73:74], v[73:74], -v[77:78]
	v_fma_f64 v[91:92], v[93:94], v[89:90], v[91:92]
	v_add_f64 v[75:76], v[75:76], -v[91:92]
	ds_read2_b64 v[91:94], v0 offset0:76 offset1:77
	s_waitcnt lgkmcnt(0)
	v_mul_f64 v[77:78], v[93:94], v[79:80]
	v_fma_f64 v[77:78], v[91:92], v[89:90], -v[77:78]
	v_mul_f64 v[91:92], v[91:92], v[79:80]
	v_add_f64 v[69:70], v[69:70], -v[77:78]
	v_fma_f64 v[91:92], v[93:94], v[89:90], v[91:92]
	v_add_f64 v[71:72], v[71:72], -v[91:92]
	ds_read2_b64 v[91:94], v0 offset0:78 offset1:79
	;; [unrolled: 8-line block ×4, first 2 shown]
	buffer_load_dword v57, off, s[24:27], 0 ; 4-byte Folded Reload
	buffer_load_dword v58, off, s[24:27], 0 offset:4 ; 4-byte Folded Reload
	buffer_load_dword v59, off, s[24:27], 0 offset:8 ; 4-byte Folded Reload
	;; [unrolled: 1-line block ×3, first 2 shown]
	s_waitcnt lgkmcnt(0)
	v_mul_f64 v[77:78], v[93:94], v[79:80]
	v_fma_f64 v[77:78], v[91:92], v[89:90], -v[77:78]
	v_mul_f64 v[91:92], v[91:92], v[79:80]
	v_fma_f64 v[91:92], v[93:94], v[89:90], v[91:92]
	s_waitcnt vmcnt(2)
	v_add_f64 v[57:58], v[57:58], -v[77:78]
	s_waitcnt vmcnt(0)
	v_add_f64 v[59:60], v[59:60], -v[91:92]
	buffer_store_dword v57, off, s[24:27], 0 ; 4-byte Folded Spill
	s_nop 0
	buffer_store_dword v58, off, s[24:27], 0 offset:4 ; 4-byte Folded Spill
	buffer_store_dword v59, off, s[24:27], 0 offset:8 ; 4-byte Folded Spill
	buffer_store_dword v60, off, s[24:27], 0 offset:12 ; 4-byte Folded Spill
	ds_read2_b64 v[91:94], v0 offset0:84 offset1:85
	s_waitcnt lgkmcnt(0)
	v_mul_f64 v[77:78], v[93:94], v[79:80]
	v_fma_f64 v[77:78], v[91:92], v[89:90], -v[77:78]
	v_mul_f64 v[91:92], v[91:92], v[79:80]
	v_add_f64 v[53:54], v[53:54], -v[77:78]
	v_fma_f64 v[91:92], v[93:94], v[89:90], v[91:92]
	v_add_f64 v[55:56], v[55:56], -v[91:92]
	ds_read2_b64 v[91:94], v0 offset0:86 offset1:87
	s_waitcnt lgkmcnt(0)
	v_mul_f64 v[77:78], v[93:94], v[79:80]
	v_fma_f64 v[77:78], v[91:92], v[89:90], -v[77:78]
	v_mul_f64 v[91:92], v[91:92], v[79:80]
	v_add_f64 v[49:50], v[49:50], -v[77:78]
	v_fma_f64 v[91:92], v[93:94], v[89:90], v[91:92]
	v_add_f64 v[51:52], v[51:52], -v[91:92]
	;; [unrolled: 8-line block ×14, first 2 shown]
	ds_read2_b64 v[91:94], v0 offset0:112 offset1:113
	s_waitcnt lgkmcnt(0)
	v_mul_f64 v[77:78], v[93:94], v[79:80]
	v_fma_f64 v[77:78], v[91:92], v[89:90], -v[77:78]
	v_mul_f64 v[91:92], v[91:92], v[79:80]
	v_add_f64 v[121:122], v[121:122], -v[77:78]
	v_fma_f64 v[91:92], v[93:94], v[89:90], v[91:92]
	v_mov_b32_e32 v77, v89
	v_mov_b32_e32 v78, v90
	v_add_f64 v[123:124], v[123:124], -v[91:92]
.LBB112_776:
	s_or_b64 exec, exec, s[0:1]
	v_lshl_add_u32 v89, v96, 4, v0
	s_waitcnt vmcnt(0)
	s_barrier
	ds_write2_b64 v89, v[73:74], v[75:76] offset1:1
	s_waitcnt lgkmcnt(0)
	s_barrier
	ds_read2_b64 v[117:120], v0 offset0:74 offset1:75
	s_cmp_lt_i32 s3, 39
	v_mov_b32_e32 v89, 37
	s_cbranch_scc1 .LBB112_779
; %bb.777:
	v_add_u32_e32 v90, 0x260, v0
	s_mov_b32 s0, 38
	v_mov_b32_e32 v89, 37
.LBB112_778:                            ; =>This Inner Loop Header: Depth=1
	s_waitcnt lgkmcnt(0)
	v_cmp_gt_f64_e32 vcc, 0, v[117:118]
	v_xor_b32_e32 v97, 0x80000000, v118
	ds_read2_b64 v[91:94], v90 offset1:1
	v_xor_b32_e32 v99, 0x80000000, v120
	v_add_u32_e32 v90, 16, v90
	s_waitcnt lgkmcnt(0)
	v_xor_b32_e32 v101, 0x80000000, v94
	v_cndmask_b32_e32 v98, v118, v97, vcc
	v_cmp_gt_f64_e32 vcc, 0, v[119:120]
	v_mov_b32_e32 v97, v117
	v_cndmask_b32_e32 v100, v120, v99, vcc
	v_cmp_gt_f64_e32 vcc, 0, v[91:92]
	v_mov_b32_e32 v99, v119
	v_add_f64 v[97:98], v[97:98], v[99:100]
	v_xor_b32_e32 v99, 0x80000000, v92
	v_cndmask_b32_e32 v100, v92, v99, vcc
	v_cmp_gt_f64_e32 vcc, 0, v[93:94]
	v_mov_b32_e32 v99, v91
	v_cndmask_b32_e32 v102, v94, v101, vcc
	v_mov_b32_e32 v101, v93
	v_add_f64 v[99:100], v[99:100], v[101:102]
	v_cmp_lt_f64_e32 vcc, v[97:98], v[99:100]
	v_cndmask_b32_e32 v117, v117, v91, vcc
	v_mov_b32_e32 v91, s0
	s_add_i32 s0, s0, 1
	v_cndmask_b32_e32 v118, v118, v92, vcc
	v_cndmask_b32_e32 v120, v120, v94, vcc
	;; [unrolled: 1-line block ×4, first 2 shown]
	s_cmp_lg_u32 s3, s0
	s_cbranch_scc1 .LBB112_778
.LBB112_779:
	s_waitcnt lgkmcnt(0)
	v_cmp_eq_f64_e32 vcc, 0, v[117:118]
	v_cmp_eq_f64_e64 s[0:1], 0, v[119:120]
	s_and_b64 s[0:1], vcc, s[0:1]
	s_and_saveexec_b64 s[18:19], s[0:1]
	s_xor_b64 s[0:1], exec, s[18:19]
; %bb.780:
	v_cmp_ne_u32_e32 vcc, 0, v95
	v_cndmask_b32_e32 v95, 38, v95, vcc
; %bb.781:
	s_andn2_saveexec_b64 s[0:1], s[0:1]
	s_cbranch_execz .LBB112_787
; %bb.782:
	v_cmp_ngt_f64_e64 s[18:19], |v[117:118]|, |v[119:120]|
	s_and_saveexec_b64 s[20:21], s[18:19]
	s_xor_b64 s[18:19], exec, s[20:21]
	s_cbranch_execz .LBB112_784
; %bb.783:
	v_div_scale_f64 v[90:91], s[20:21], v[119:120], v[119:120], v[117:118]
	v_rcp_f64_e32 v[92:93], v[90:91]
	v_fma_f64 v[97:98], -v[90:91], v[92:93], 1.0
	v_fma_f64 v[92:93], v[92:93], v[97:98], v[92:93]
	v_div_scale_f64 v[97:98], vcc, v[117:118], v[119:120], v[117:118]
	v_fma_f64 v[99:100], -v[90:91], v[92:93], 1.0
	v_fma_f64 v[92:93], v[92:93], v[99:100], v[92:93]
	v_mul_f64 v[99:100], v[97:98], v[92:93]
	v_fma_f64 v[90:91], -v[90:91], v[99:100], v[97:98]
	v_div_fmas_f64 v[90:91], v[90:91], v[92:93], v[99:100]
	v_div_fixup_f64 v[90:91], v[90:91], v[119:120], v[117:118]
	v_fma_f64 v[92:93], v[117:118], v[90:91], v[119:120]
	v_div_scale_f64 v[97:98], s[20:21], v[92:93], v[92:93], 1.0
	v_div_scale_f64 v[103:104], vcc, 1.0, v[92:93], 1.0
	v_rcp_f64_e32 v[99:100], v[97:98]
	v_fma_f64 v[101:102], -v[97:98], v[99:100], 1.0
	v_fma_f64 v[99:100], v[99:100], v[101:102], v[99:100]
	v_fma_f64 v[101:102], -v[97:98], v[99:100], 1.0
	v_fma_f64 v[99:100], v[99:100], v[101:102], v[99:100]
	v_mul_f64 v[101:102], v[103:104], v[99:100]
	v_fma_f64 v[97:98], -v[97:98], v[101:102], v[103:104]
	v_div_fmas_f64 v[97:98], v[97:98], v[99:100], v[101:102]
	v_div_fixup_f64 v[119:120], v[97:98], v[92:93], 1.0
	v_mul_f64 v[117:118], v[90:91], v[119:120]
	v_xor_b32_e32 v120, 0x80000000, v120
.LBB112_784:
	s_andn2_saveexec_b64 s[18:19], s[18:19]
	s_cbranch_execz .LBB112_786
; %bb.785:
	v_div_scale_f64 v[90:91], s[20:21], v[117:118], v[117:118], v[119:120]
	v_rcp_f64_e32 v[92:93], v[90:91]
	v_fma_f64 v[97:98], -v[90:91], v[92:93], 1.0
	v_fma_f64 v[92:93], v[92:93], v[97:98], v[92:93]
	v_div_scale_f64 v[97:98], vcc, v[119:120], v[117:118], v[119:120]
	v_fma_f64 v[99:100], -v[90:91], v[92:93], 1.0
	v_fma_f64 v[92:93], v[92:93], v[99:100], v[92:93]
	v_mul_f64 v[99:100], v[97:98], v[92:93]
	v_fma_f64 v[90:91], -v[90:91], v[99:100], v[97:98]
	v_div_fmas_f64 v[90:91], v[90:91], v[92:93], v[99:100]
	v_div_fixup_f64 v[90:91], v[90:91], v[117:118], v[119:120]
	v_fma_f64 v[92:93], v[119:120], v[90:91], v[117:118]
	v_div_scale_f64 v[97:98], s[20:21], v[92:93], v[92:93], 1.0
	v_div_scale_f64 v[103:104], vcc, 1.0, v[92:93], 1.0
	v_rcp_f64_e32 v[99:100], v[97:98]
	v_fma_f64 v[101:102], -v[97:98], v[99:100], 1.0
	v_fma_f64 v[99:100], v[99:100], v[101:102], v[99:100]
	v_fma_f64 v[101:102], -v[97:98], v[99:100], 1.0
	v_fma_f64 v[99:100], v[99:100], v[101:102], v[99:100]
	v_mul_f64 v[101:102], v[103:104], v[99:100]
	v_fma_f64 v[97:98], -v[97:98], v[101:102], v[103:104]
	v_div_fmas_f64 v[97:98], v[97:98], v[99:100], v[101:102]
	v_div_fixup_f64 v[117:118], v[97:98], v[92:93], 1.0
	v_mul_f64 v[119:120], v[90:91], -v[117:118]
.LBB112_786:
	s_or_b64 exec, exec, s[18:19]
.LBB112_787:
	s_or_b64 exec, exec, s[0:1]
	v_cmp_ne_u32_e32 vcc, v96, v89
	s_and_saveexec_b64 s[0:1], vcc
	s_xor_b64 s[0:1], exec, s[0:1]
	s_cbranch_execz .LBB112_793
; %bb.788:
	v_cmp_eq_u32_e32 vcc, 37, v96
	s_and_saveexec_b64 s[18:19], vcc
	s_cbranch_execz .LBB112_792
; %bb.789:
	v_cmp_ne_u32_e32 vcc, 37, v89
	s_xor_b64 s[20:21], s[6:7], -1
	s_and_b64 s[22:23], s[20:21], vcc
	s_and_saveexec_b64 s[20:21], s[22:23]
	s_cbranch_execz .LBB112_791
; %bb.790:
	buffer_load_dword v81, off, s[24:27], 0 offset:464 ; 4-byte Folded Reload
	buffer_load_dword v82, off, s[24:27], 0 offset:468 ; 4-byte Folded Reload
	v_ashrrev_i32_e32 v90, 31, v89
	v_lshlrev_b64 v[90:91], 2, v[89:90]
	s_waitcnt vmcnt(1)
	v_add_co_u32_e32 v90, vcc, v81, v90
	s_waitcnt vmcnt(0)
	v_addc_co_u32_e32 v91, vcc, v82, v91, vcc
	global_load_dword v92, v[90:91], off
	global_load_dword v93, v[81:82], off offset:148
	s_waitcnt vmcnt(1)
	global_store_dword v[81:82], v92, off offset:148
	v_mov_b32_e32 v81, v105
	v_mov_b32_e32 v82, v106
	;; [unrolled: 1-line block ×4, first 2 shown]
	s_waitcnt vmcnt(1)
	global_store_dword v[90:91], v93, off
.LBB112_791:
	s_or_b64 exec, exec, s[20:21]
	v_mov_b32_e32 v96, v89
	v_mov_b32_e32 v127, v89
.LBB112_792:
	s_or_b64 exec, exec, s[18:19]
.LBB112_793:
	s_andn2_saveexec_b64 s[0:1], s[0:1]
	s_cbranch_execz .LBB112_795
; %bb.794:
	ds_write2_b64 v0, v[69:70], v[71:72] offset0:76 offset1:77
	ds_write2_b64 v0, v[65:66], v[67:68] offset0:78 offset1:79
	;; [unrolled: 1-line block ×3, first 2 shown]
	buffer_load_dword v57, off, s[24:27], 0 ; 4-byte Folded Reload
	buffer_load_dword v58, off, s[24:27], 0 offset:4 ; 4-byte Folded Reload
	buffer_load_dword v59, off, s[24:27], 0 offset:8 ; 4-byte Folded Reload
	;; [unrolled: 1-line block ×3, first 2 shown]
	v_mov_b32_e32 v96, 37
	s_waitcnt vmcnt(0)
	ds_write2_b64 v0, v[57:58], v[59:60] offset0:82 offset1:83
	ds_write2_b64 v0, v[53:54], v[55:56] offset0:84 offset1:85
	ds_write2_b64 v0, v[49:50], v[51:52] offset0:86 offset1:87
	ds_write2_b64 v0, v[45:46], v[47:48] offset0:88 offset1:89
	ds_write2_b64 v0, v[41:42], v[43:44] offset0:90 offset1:91
	ds_write2_b64 v0, v[37:38], v[39:40] offset0:92 offset1:93
	ds_write2_b64 v0, v[33:34], v[35:36] offset0:94 offset1:95
	ds_write2_b64 v0, v[29:30], v[31:32] offset0:96 offset1:97
	ds_write2_b64 v0, v[25:26], v[27:28] offset0:98 offset1:99
	ds_write2_b64 v0, v[21:22], v[23:24] offset0:100 offset1:101
	ds_write2_b64 v0, v[17:18], v[19:20] offset0:102 offset1:103
	ds_write2_b64 v0, v[13:14], v[15:16] offset0:104 offset1:105
	ds_write2_b64 v0, v[9:10], v[11:12] offset0:106 offset1:107
	ds_write2_b64 v0, v[5:6], v[7:8] offset0:108 offset1:109
	ds_write2_b64 v0, v[1:2], v[3:4] offset0:110 offset1:111
	ds_write2_b64 v0, v[121:122], v[123:124] offset0:112 offset1:113
.LBB112_795:
	s_or_b64 exec, exec, s[0:1]
	v_cmp_lt_i32_e32 vcc, 37, v96
	s_waitcnt vmcnt(0) lgkmcnt(0)
	s_barrier
	s_and_saveexec_b64 s[0:1], vcc
	s_cbranch_execz .LBB112_797
; %bb.796:
	v_mul_f64 v[89:90], v[119:120], v[75:76]
	v_mul_f64 v[75:76], v[117:118], v[75:76]
	ds_read2_b64 v[91:94], v0 offset0:76 offset1:77
	v_fma_f64 v[89:90], v[117:118], v[73:74], -v[89:90]
	v_fma_f64 v[75:76], v[119:120], v[73:74], v[75:76]
	s_waitcnt lgkmcnt(0)
	v_mul_f64 v[73:74], v[93:94], v[75:76]
	v_fma_f64 v[73:74], v[91:92], v[89:90], -v[73:74]
	v_mul_f64 v[91:92], v[91:92], v[75:76]
	v_add_f64 v[69:70], v[69:70], -v[73:74]
	v_fma_f64 v[91:92], v[93:94], v[89:90], v[91:92]
	v_add_f64 v[71:72], v[71:72], -v[91:92]
	ds_read2_b64 v[91:94], v0 offset0:78 offset1:79
	s_waitcnt lgkmcnt(0)
	v_mul_f64 v[73:74], v[93:94], v[75:76]
	v_fma_f64 v[73:74], v[91:92], v[89:90], -v[73:74]
	v_mul_f64 v[91:92], v[91:92], v[75:76]
	v_add_f64 v[65:66], v[65:66], -v[73:74]
	v_fma_f64 v[91:92], v[93:94], v[89:90], v[91:92]
	v_add_f64 v[67:68], v[67:68], -v[91:92]
	ds_read2_b64 v[91:94], v0 offset0:80 offset1:81
	;; [unrolled: 8-line block ×3, first 2 shown]
	buffer_load_dword v57, off, s[24:27], 0 ; 4-byte Folded Reload
	buffer_load_dword v58, off, s[24:27], 0 offset:4 ; 4-byte Folded Reload
	buffer_load_dword v59, off, s[24:27], 0 offset:8 ; 4-byte Folded Reload
	;; [unrolled: 1-line block ×3, first 2 shown]
	s_waitcnt lgkmcnt(0)
	v_mul_f64 v[73:74], v[93:94], v[75:76]
	v_fma_f64 v[73:74], v[91:92], v[89:90], -v[73:74]
	v_mul_f64 v[91:92], v[91:92], v[75:76]
	v_fma_f64 v[91:92], v[93:94], v[89:90], v[91:92]
	s_waitcnt vmcnt(2)
	v_add_f64 v[57:58], v[57:58], -v[73:74]
	s_waitcnt vmcnt(0)
	v_add_f64 v[59:60], v[59:60], -v[91:92]
	buffer_store_dword v57, off, s[24:27], 0 ; 4-byte Folded Spill
	s_nop 0
	buffer_store_dword v58, off, s[24:27], 0 offset:4 ; 4-byte Folded Spill
	buffer_store_dword v59, off, s[24:27], 0 offset:8 ; 4-byte Folded Spill
	;; [unrolled: 1-line block ×3, first 2 shown]
	ds_read2_b64 v[91:94], v0 offset0:84 offset1:85
	s_waitcnt lgkmcnt(0)
	v_mul_f64 v[73:74], v[93:94], v[75:76]
	v_fma_f64 v[73:74], v[91:92], v[89:90], -v[73:74]
	v_mul_f64 v[91:92], v[91:92], v[75:76]
	v_add_f64 v[53:54], v[53:54], -v[73:74]
	v_fma_f64 v[91:92], v[93:94], v[89:90], v[91:92]
	v_add_f64 v[55:56], v[55:56], -v[91:92]
	ds_read2_b64 v[91:94], v0 offset0:86 offset1:87
	s_waitcnt lgkmcnt(0)
	v_mul_f64 v[73:74], v[93:94], v[75:76]
	v_fma_f64 v[73:74], v[91:92], v[89:90], -v[73:74]
	v_mul_f64 v[91:92], v[91:92], v[75:76]
	v_add_f64 v[49:50], v[49:50], -v[73:74]
	v_fma_f64 v[91:92], v[93:94], v[89:90], v[91:92]
	v_add_f64 v[51:52], v[51:52], -v[91:92]
	;; [unrolled: 8-line block ×14, first 2 shown]
	ds_read2_b64 v[91:94], v0 offset0:112 offset1:113
	s_waitcnt lgkmcnt(0)
	v_mul_f64 v[73:74], v[93:94], v[75:76]
	v_fma_f64 v[73:74], v[91:92], v[89:90], -v[73:74]
	v_mul_f64 v[91:92], v[91:92], v[75:76]
	v_add_f64 v[121:122], v[121:122], -v[73:74]
	v_fma_f64 v[91:92], v[93:94], v[89:90], v[91:92]
	v_mov_b32_e32 v73, v89
	v_mov_b32_e32 v74, v90
	v_add_f64 v[123:124], v[123:124], -v[91:92]
.LBB112_797:
	s_or_b64 exec, exec, s[0:1]
	v_lshl_add_u32 v89, v96, 4, v0
	s_waitcnt vmcnt(0)
	s_barrier
	ds_write2_b64 v89, v[69:70], v[71:72] offset1:1
	s_waitcnt lgkmcnt(0)
	s_barrier
	ds_read2_b64 v[117:120], v0 offset0:76 offset1:77
	s_cmp_lt_i32 s3, 40
	v_mov_b32_e32 v89, 38
	s_cbranch_scc1 .LBB112_800
; %bb.798:
	v_add_u32_e32 v90, 0x270, v0
	s_mov_b32 s0, 39
	v_mov_b32_e32 v89, 38
.LBB112_799:                            ; =>This Inner Loop Header: Depth=1
	s_waitcnt lgkmcnt(0)
	v_cmp_gt_f64_e32 vcc, 0, v[117:118]
	v_xor_b32_e32 v97, 0x80000000, v118
	ds_read2_b64 v[91:94], v90 offset1:1
	v_xor_b32_e32 v99, 0x80000000, v120
	v_add_u32_e32 v90, 16, v90
	s_waitcnt lgkmcnt(0)
	v_xor_b32_e32 v101, 0x80000000, v94
	v_cndmask_b32_e32 v98, v118, v97, vcc
	v_cmp_gt_f64_e32 vcc, 0, v[119:120]
	v_mov_b32_e32 v97, v117
	v_cndmask_b32_e32 v100, v120, v99, vcc
	v_cmp_gt_f64_e32 vcc, 0, v[91:92]
	v_mov_b32_e32 v99, v119
	v_add_f64 v[97:98], v[97:98], v[99:100]
	v_xor_b32_e32 v99, 0x80000000, v92
	v_cndmask_b32_e32 v100, v92, v99, vcc
	v_cmp_gt_f64_e32 vcc, 0, v[93:94]
	v_mov_b32_e32 v99, v91
	v_cndmask_b32_e32 v102, v94, v101, vcc
	v_mov_b32_e32 v101, v93
	v_add_f64 v[99:100], v[99:100], v[101:102]
	v_cmp_lt_f64_e32 vcc, v[97:98], v[99:100]
	v_cndmask_b32_e32 v117, v117, v91, vcc
	v_mov_b32_e32 v91, s0
	s_add_i32 s0, s0, 1
	v_cndmask_b32_e32 v118, v118, v92, vcc
	v_cndmask_b32_e32 v120, v120, v94, vcc
	;; [unrolled: 1-line block ×4, first 2 shown]
	s_cmp_lg_u32 s3, s0
	s_cbranch_scc1 .LBB112_799
.LBB112_800:
	s_waitcnt lgkmcnt(0)
	v_cmp_eq_f64_e32 vcc, 0, v[117:118]
	v_cmp_eq_f64_e64 s[0:1], 0, v[119:120]
	s_and_b64 s[0:1], vcc, s[0:1]
	s_and_saveexec_b64 s[18:19], s[0:1]
	s_xor_b64 s[0:1], exec, s[18:19]
; %bb.801:
	v_cmp_ne_u32_e32 vcc, 0, v95
	v_cndmask_b32_e32 v95, 39, v95, vcc
; %bb.802:
	s_andn2_saveexec_b64 s[0:1], s[0:1]
	s_cbranch_execz .LBB112_808
; %bb.803:
	v_cmp_ngt_f64_e64 s[18:19], |v[117:118]|, |v[119:120]|
	s_and_saveexec_b64 s[20:21], s[18:19]
	s_xor_b64 s[18:19], exec, s[20:21]
	s_cbranch_execz .LBB112_805
; %bb.804:
	v_div_scale_f64 v[90:91], s[20:21], v[119:120], v[119:120], v[117:118]
	v_rcp_f64_e32 v[92:93], v[90:91]
	v_fma_f64 v[97:98], -v[90:91], v[92:93], 1.0
	v_fma_f64 v[92:93], v[92:93], v[97:98], v[92:93]
	v_div_scale_f64 v[97:98], vcc, v[117:118], v[119:120], v[117:118]
	v_fma_f64 v[99:100], -v[90:91], v[92:93], 1.0
	v_fma_f64 v[92:93], v[92:93], v[99:100], v[92:93]
	v_mul_f64 v[99:100], v[97:98], v[92:93]
	v_fma_f64 v[90:91], -v[90:91], v[99:100], v[97:98]
	v_div_fmas_f64 v[90:91], v[90:91], v[92:93], v[99:100]
	v_div_fixup_f64 v[90:91], v[90:91], v[119:120], v[117:118]
	v_fma_f64 v[92:93], v[117:118], v[90:91], v[119:120]
	v_div_scale_f64 v[97:98], s[20:21], v[92:93], v[92:93], 1.0
	v_div_scale_f64 v[103:104], vcc, 1.0, v[92:93], 1.0
	v_rcp_f64_e32 v[99:100], v[97:98]
	v_fma_f64 v[101:102], -v[97:98], v[99:100], 1.0
	v_fma_f64 v[99:100], v[99:100], v[101:102], v[99:100]
	v_fma_f64 v[101:102], -v[97:98], v[99:100], 1.0
	v_fma_f64 v[99:100], v[99:100], v[101:102], v[99:100]
	v_mul_f64 v[101:102], v[103:104], v[99:100]
	v_fma_f64 v[97:98], -v[97:98], v[101:102], v[103:104]
	v_div_fmas_f64 v[97:98], v[97:98], v[99:100], v[101:102]
	v_div_fixup_f64 v[119:120], v[97:98], v[92:93], 1.0
	v_mul_f64 v[117:118], v[90:91], v[119:120]
	v_xor_b32_e32 v120, 0x80000000, v120
.LBB112_805:
	s_andn2_saveexec_b64 s[18:19], s[18:19]
	s_cbranch_execz .LBB112_807
; %bb.806:
	v_div_scale_f64 v[90:91], s[20:21], v[117:118], v[117:118], v[119:120]
	v_rcp_f64_e32 v[92:93], v[90:91]
	v_fma_f64 v[97:98], -v[90:91], v[92:93], 1.0
	v_fma_f64 v[92:93], v[92:93], v[97:98], v[92:93]
	v_div_scale_f64 v[97:98], vcc, v[119:120], v[117:118], v[119:120]
	v_fma_f64 v[99:100], -v[90:91], v[92:93], 1.0
	v_fma_f64 v[92:93], v[92:93], v[99:100], v[92:93]
	v_mul_f64 v[99:100], v[97:98], v[92:93]
	v_fma_f64 v[90:91], -v[90:91], v[99:100], v[97:98]
	v_div_fmas_f64 v[90:91], v[90:91], v[92:93], v[99:100]
	v_div_fixup_f64 v[90:91], v[90:91], v[117:118], v[119:120]
	v_fma_f64 v[92:93], v[119:120], v[90:91], v[117:118]
	v_div_scale_f64 v[97:98], s[20:21], v[92:93], v[92:93], 1.0
	v_div_scale_f64 v[103:104], vcc, 1.0, v[92:93], 1.0
	v_rcp_f64_e32 v[99:100], v[97:98]
	v_fma_f64 v[101:102], -v[97:98], v[99:100], 1.0
	v_fma_f64 v[99:100], v[99:100], v[101:102], v[99:100]
	v_fma_f64 v[101:102], -v[97:98], v[99:100], 1.0
	v_fma_f64 v[99:100], v[99:100], v[101:102], v[99:100]
	v_mul_f64 v[101:102], v[103:104], v[99:100]
	v_fma_f64 v[97:98], -v[97:98], v[101:102], v[103:104]
	v_div_fmas_f64 v[97:98], v[97:98], v[99:100], v[101:102]
	v_div_fixup_f64 v[117:118], v[97:98], v[92:93], 1.0
	v_mul_f64 v[119:120], v[90:91], -v[117:118]
.LBB112_807:
	s_or_b64 exec, exec, s[18:19]
.LBB112_808:
	s_or_b64 exec, exec, s[0:1]
	v_cmp_ne_u32_e32 vcc, v96, v89
	s_and_saveexec_b64 s[0:1], vcc
	s_xor_b64 s[0:1], exec, s[0:1]
	s_cbranch_execz .LBB112_814
; %bb.809:
	v_cmp_eq_u32_e32 vcc, 38, v96
	s_and_saveexec_b64 s[18:19], vcc
	s_cbranch_execz .LBB112_813
; %bb.810:
	v_cmp_ne_u32_e32 vcc, 38, v89
	s_xor_b64 s[20:21], s[6:7], -1
	s_and_b64 s[22:23], s[20:21], vcc
	s_and_saveexec_b64 s[20:21], s[22:23]
	s_cbranch_execz .LBB112_812
; %bb.811:
	buffer_load_dword v81, off, s[24:27], 0 offset:464 ; 4-byte Folded Reload
	buffer_load_dword v82, off, s[24:27], 0 offset:468 ; 4-byte Folded Reload
	v_ashrrev_i32_e32 v90, 31, v89
	v_lshlrev_b64 v[90:91], 2, v[89:90]
	s_waitcnt vmcnt(1)
	v_add_co_u32_e32 v90, vcc, v81, v90
	s_waitcnt vmcnt(0)
	v_addc_co_u32_e32 v91, vcc, v82, v91, vcc
	global_load_dword v92, v[90:91], off
	global_load_dword v93, v[81:82], off offset:152
	s_waitcnt vmcnt(1)
	global_store_dword v[81:82], v92, off offset:152
	v_mov_b32_e32 v81, v105
	v_mov_b32_e32 v82, v106
	;; [unrolled: 1-line block ×4, first 2 shown]
	s_waitcnt vmcnt(1)
	global_store_dword v[90:91], v93, off
.LBB112_812:
	s_or_b64 exec, exec, s[20:21]
	v_mov_b32_e32 v96, v89
	v_mov_b32_e32 v127, v89
.LBB112_813:
	s_or_b64 exec, exec, s[18:19]
.LBB112_814:
	s_andn2_saveexec_b64 s[0:1], s[0:1]
	s_cbranch_execz .LBB112_816
; %bb.815:
	ds_write2_b64 v0, v[65:66], v[67:68] offset0:78 offset1:79
	ds_write2_b64 v0, v[61:62], v[63:64] offset0:80 offset1:81
	buffer_load_dword v57, off, s[24:27], 0 ; 4-byte Folded Reload
	buffer_load_dword v58, off, s[24:27], 0 offset:4 ; 4-byte Folded Reload
	buffer_load_dword v59, off, s[24:27], 0 offset:8 ; 4-byte Folded Reload
	;; [unrolled: 1-line block ×3, first 2 shown]
	v_mov_b32_e32 v96, 38
	s_waitcnt vmcnt(0)
	ds_write2_b64 v0, v[57:58], v[59:60] offset0:82 offset1:83
	ds_write2_b64 v0, v[53:54], v[55:56] offset0:84 offset1:85
	;; [unrolled: 1-line block ×16, first 2 shown]
.LBB112_816:
	s_or_b64 exec, exec, s[0:1]
	v_cmp_lt_i32_e32 vcc, 38, v96
	s_waitcnt vmcnt(0) lgkmcnt(0)
	s_barrier
	s_and_saveexec_b64 s[0:1], vcc
	s_cbranch_execz .LBB112_818
; %bb.817:
	v_mul_f64 v[89:90], v[119:120], v[71:72]
	v_mul_f64 v[71:72], v[117:118], v[71:72]
	ds_read2_b64 v[91:94], v0 offset0:78 offset1:79
	v_fma_f64 v[89:90], v[117:118], v[69:70], -v[89:90]
	v_fma_f64 v[71:72], v[119:120], v[69:70], v[71:72]
	s_waitcnt lgkmcnt(0)
	v_mul_f64 v[69:70], v[93:94], v[71:72]
	v_fma_f64 v[69:70], v[91:92], v[89:90], -v[69:70]
	v_mul_f64 v[91:92], v[91:92], v[71:72]
	v_add_f64 v[65:66], v[65:66], -v[69:70]
	v_fma_f64 v[91:92], v[93:94], v[89:90], v[91:92]
	v_add_f64 v[67:68], v[67:68], -v[91:92]
	ds_read2_b64 v[91:94], v0 offset0:80 offset1:81
	s_waitcnt lgkmcnt(0)
	v_mul_f64 v[69:70], v[93:94], v[71:72]
	v_fma_f64 v[69:70], v[91:92], v[89:90], -v[69:70]
	v_mul_f64 v[91:92], v[91:92], v[71:72]
	v_add_f64 v[61:62], v[61:62], -v[69:70]
	v_fma_f64 v[91:92], v[93:94], v[89:90], v[91:92]
	v_add_f64 v[63:64], v[63:64], -v[91:92]
	ds_read2_b64 v[91:94], v0 offset0:82 offset1:83
	buffer_load_dword v57, off, s[24:27], 0 ; 4-byte Folded Reload
	buffer_load_dword v58, off, s[24:27], 0 offset:4 ; 4-byte Folded Reload
	buffer_load_dword v59, off, s[24:27], 0 offset:8 ; 4-byte Folded Reload
	;; [unrolled: 1-line block ×3, first 2 shown]
	s_waitcnt lgkmcnt(0)
	v_mul_f64 v[69:70], v[93:94], v[71:72]
	v_fma_f64 v[69:70], v[91:92], v[89:90], -v[69:70]
	v_mul_f64 v[91:92], v[91:92], v[71:72]
	v_fma_f64 v[91:92], v[93:94], v[89:90], v[91:92]
	s_waitcnt vmcnt(2)
	v_add_f64 v[57:58], v[57:58], -v[69:70]
	s_waitcnt vmcnt(0)
	v_add_f64 v[59:60], v[59:60], -v[91:92]
	buffer_store_dword v57, off, s[24:27], 0 ; 4-byte Folded Spill
	s_nop 0
	buffer_store_dword v58, off, s[24:27], 0 offset:4 ; 4-byte Folded Spill
	buffer_store_dword v59, off, s[24:27], 0 offset:8 ; 4-byte Folded Spill
	;; [unrolled: 1-line block ×3, first 2 shown]
	ds_read2_b64 v[91:94], v0 offset0:84 offset1:85
	s_waitcnt lgkmcnt(0)
	v_mul_f64 v[69:70], v[93:94], v[71:72]
	v_fma_f64 v[69:70], v[91:92], v[89:90], -v[69:70]
	v_mul_f64 v[91:92], v[91:92], v[71:72]
	v_add_f64 v[53:54], v[53:54], -v[69:70]
	v_fma_f64 v[91:92], v[93:94], v[89:90], v[91:92]
	v_add_f64 v[55:56], v[55:56], -v[91:92]
	ds_read2_b64 v[91:94], v0 offset0:86 offset1:87
	s_waitcnt lgkmcnt(0)
	v_mul_f64 v[69:70], v[93:94], v[71:72]
	v_fma_f64 v[69:70], v[91:92], v[89:90], -v[69:70]
	v_mul_f64 v[91:92], v[91:92], v[71:72]
	v_add_f64 v[49:50], v[49:50], -v[69:70]
	v_fma_f64 v[91:92], v[93:94], v[89:90], v[91:92]
	v_add_f64 v[51:52], v[51:52], -v[91:92]
	;; [unrolled: 8-line block ×14, first 2 shown]
	ds_read2_b64 v[91:94], v0 offset0:112 offset1:113
	s_waitcnt lgkmcnt(0)
	v_mul_f64 v[69:70], v[93:94], v[71:72]
	v_fma_f64 v[69:70], v[91:92], v[89:90], -v[69:70]
	v_mul_f64 v[91:92], v[91:92], v[71:72]
	v_add_f64 v[121:122], v[121:122], -v[69:70]
	v_fma_f64 v[91:92], v[93:94], v[89:90], v[91:92]
	v_mov_b32_e32 v69, v89
	v_mov_b32_e32 v70, v90
	v_add_f64 v[123:124], v[123:124], -v[91:92]
.LBB112_818:
	s_or_b64 exec, exec, s[0:1]
	v_lshl_add_u32 v89, v96, 4, v0
	s_waitcnt vmcnt(0)
	s_barrier
	ds_write2_b64 v89, v[65:66], v[67:68] offset1:1
	s_waitcnt lgkmcnt(0)
	s_barrier
	ds_read2_b64 v[117:120], v0 offset0:78 offset1:79
	s_cmp_lt_i32 s3, 41
	v_mov_b32_e32 v89, 39
	s_cbranch_scc1 .LBB112_821
; %bb.819:
	v_add_u32_e32 v90, 0x280, v0
	s_mov_b32 s0, 40
	v_mov_b32_e32 v89, 39
.LBB112_820:                            ; =>This Inner Loop Header: Depth=1
	s_waitcnt lgkmcnt(0)
	v_cmp_gt_f64_e32 vcc, 0, v[117:118]
	v_xor_b32_e32 v97, 0x80000000, v118
	ds_read2_b64 v[91:94], v90 offset1:1
	v_xor_b32_e32 v99, 0x80000000, v120
	v_add_u32_e32 v90, 16, v90
	s_waitcnt lgkmcnt(0)
	v_xor_b32_e32 v101, 0x80000000, v94
	v_cndmask_b32_e32 v98, v118, v97, vcc
	v_cmp_gt_f64_e32 vcc, 0, v[119:120]
	v_mov_b32_e32 v97, v117
	v_cndmask_b32_e32 v100, v120, v99, vcc
	v_cmp_gt_f64_e32 vcc, 0, v[91:92]
	v_mov_b32_e32 v99, v119
	v_add_f64 v[97:98], v[97:98], v[99:100]
	v_xor_b32_e32 v99, 0x80000000, v92
	v_cndmask_b32_e32 v100, v92, v99, vcc
	v_cmp_gt_f64_e32 vcc, 0, v[93:94]
	v_mov_b32_e32 v99, v91
	v_cndmask_b32_e32 v102, v94, v101, vcc
	v_mov_b32_e32 v101, v93
	v_add_f64 v[99:100], v[99:100], v[101:102]
	v_cmp_lt_f64_e32 vcc, v[97:98], v[99:100]
	v_cndmask_b32_e32 v117, v117, v91, vcc
	v_mov_b32_e32 v91, s0
	s_add_i32 s0, s0, 1
	v_cndmask_b32_e32 v118, v118, v92, vcc
	v_cndmask_b32_e32 v120, v120, v94, vcc
	;; [unrolled: 1-line block ×4, first 2 shown]
	s_cmp_lg_u32 s3, s0
	s_cbranch_scc1 .LBB112_820
.LBB112_821:
	s_waitcnt lgkmcnt(0)
	v_cmp_eq_f64_e32 vcc, 0, v[117:118]
	v_cmp_eq_f64_e64 s[0:1], 0, v[119:120]
	s_and_b64 s[0:1], vcc, s[0:1]
	s_and_saveexec_b64 s[18:19], s[0:1]
	s_xor_b64 s[0:1], exec, s[18:19]
; %bb.822:
	v_cmp_ne_u32_e32 vcc, 0, v95
	v_cndmask_b32_e32 v95, 40, v95, vcc
; %bb.823:
	s_andn2_saveexec_b64 s[0:1], s[0:1]
	s_cbranch_execz .LBB112_829
; %bb.824:
	v_cmp_ngt_f64_e64 s[18:19], |v[117:118]|, |v[119:120]|
	s_and_saveexec_b64 s[20:21], s[18:19]
	s_xor_b64 s[18:19], exec, s[20:21]
	s_cbranch_execz .LBB112_826
; %bb.825:
	v_div_scale_f64 v[90:91], s[20:21], v[119:120], v[119:120], v[117:118]
	v_rcp_f64_e32 v[92:93], v[90:91]
	v_fma_f64 v[97:98], -v[90:91], v[92:93], 1.0
	v_fma_f64 v[92:93], v[92:93], v[97:98], v[92:93]
	v_div_scale_f64 v[97:98], vcc, v[117:118], v[119:120], v[117:118]
	v_fma_f64 v[99:100], -v[90:91], v[92:93], 1.0
	v_fma_f64 v[92:93], v[92:93], v[99:100], v[92:93]
	v_mul_f64 v[99:100], v[97:98], v[92:93]
	v_fma_f64 v[90:91], -v[90:91], v[99:100], v[97:98]
	v_div_fmas_f64 v[90:91], v[90:91], v[92:93], v[99:100]
	v_div_fixup_f64 v[90:91], v[90:91], v[119:120], v[117:118]
	v_fma_f64 v[92:93], v[117:118], v[90:91], v[119:120]
	v_div_scale_f64 v[97:98], s[20:21], v[92:93], v[92:93], 1.0
	v_div_scale_f64 v[103:104], vcc, 1.0, v[92:93], 1.0
	v_rcp_f64_e32 v[99:100], v[97:98]
	v_fma_f64 v[101:102], -v[97:98], v[99:100], 1.0
	v_fma_f64 v[99:100], v[99:100], v[101:102], v[99:100]
	v_fma_f64 v[101:102], -v[97:98], v[99:100], 1.0
	v_fma_f64 v[99:100], v[99:100], v[101:102], v[99:100]
	v_mul_f64 v[101:102], v[103:104], v[99:100]
	v_fma_f64 v[97:98], -v[97:98], v[101:102], v[103:104]
	v_div_fmas_f64 v[97:98], v[97:98], v[99:100], v[101:102]
	v_div_fixup_f64 v[119:120], v[97:98], v[92:93], 1.0
	v_mul_f64 v[117:118], v[90:91], v[119:120]
	v_xor_b32_e32 v120, 0x80000000, v120
.LBB112_826:
	s_andn2_saveexec_b64 s[18:19], s[18:19]
	s_cbranch_execz .LBB112_828
; %bb.827:
	v_div_scale_f64 v[90:91], s[20:21], v[117:118], v[117:118], v[119:120]
	v_rcp_f64_e32 v[92:93], v[90:91]
	v_fma_f64 v[97:98], -v[90:91], v[92:93], 1.0
	v_fma_f64 v[92:93], v[92:93], v[97:98], v[92:93]
	v_div_scale_f64 v[97:98], vcc, v[119:120], v[117:118], v[119:120]
	v_fma_f64 v[99:100], -v[90:91], v[92:93], 1.0
	v_fma_f64 v[92:93], v[92:93], v[99:100], v[92:93]
	v_mul_f64 v[99:100], v[97:98], v[92:93]
	v_fma_f64 v[90:91], -v[90:91], v[99:100], v[97:98]
	v_div_fmas_f64 v[90:91], v[90:91], v[92:93], v[99:100]
	v_div_fixup_f64 v[90:91], v[90:91], v[117:118], v[119:120]
	v_fma_f64 v[92:93], v[119:120], v[90:91], v[117:118]
	v_div_scale_f64 v[97:98], s[20:21], v[92:93], v[92:93], 1.0
	v_div_scale_f64 v[103:104], vcc, 1.0, v[92:93], 1.0
	v_rcp_f64_e32 v[99:100], v[97:98]
	v_fma_f64 v[101:102], -v[97:98], v[99:100], 1.0
	v_fma_f64 v[99:100], v[99:100], v[101:102], v[99:100]
	v_fma_f64 v[101:102], -v[97:98], v[99:100], 1.0
	v_fma_f64 v[99:100], v[99:100], v[101:102], v[99:100]
	v_mul_f64 v[101:102], v[103:104], v[99:100]
	v_fma_f64 v[97:98], -v[97:98], v[101:102], v[103:104]
	v_div_fmas_f64 v[97:98], v[97:98], v[99:100], v[101:102]
	v_div_fixup_f64 v[117:118], v[97:98], v[92:93], 1.0
	v_mul_f64 v[119:120], v[90:91], -v[117:118]
.LBB112_828:
	s_or_b64 exec, exec, s[18:19]
.LBB112_829:
	s_or_b64 exec, exec, s[0:1]
	v_cmp_ne_u32_e32 vcc, v96, v89
	s_and_saveexec_b64 s[0:1], vcc
	s_xor_b64 s[0:1], exec, s[0:1]
	s_cbranch_execz .LBB112_835
; %bb.830:
	v_cmp_eq_u32_e32 vcc, 39, v96
	s_and_saveexec_b64 s[18:19], vcc
	s_cbranch_execz .LBB112_834
; %bb.831:
	v_cmp_ne_u32_e32 vcc, 39, v89
	s_xor_b64 s[20:21], s[6:7], -1
	s_and_b64 s[22:23], s[20:21], vcc
	s_and_saveexec_b64 s[20:21], s[22:23]
	s_cbranch_execz .LBB112_833
; %bb.832:
	buffer_load_dword v81, off, s[24:27], 0 offset:464 ; 4-byte Folded Reload
	buffer_load_dword v82, off, s[24:27], 0 offset:468 ; 4-byte Folded Reload
	v_ashrrev_i32_e32 v90, 31, v89
	v_lshlrev_b64 v[90:91], 2, v[89:90]
	s_waitcnt vmcnt(1)
	v_add_co_u32_e32 v90, vcc, v81, v90
	s_waitcnt vmcnt(0)
	v_addc_co_u32_e32 v91, vcc, v82, v91, vcc
	global_load_dword v92, v[90:91], off
	global_load_dword v93, v[81:82], off offset:156
	s_waitcnt vmcnt(1)
	global_store_dword v[81:82], v92, off offset:156
	v_mov_b32_e32 v81, v105
	v_mov_b32_e32 v82, v106
	;; [unrolled: 1-line block ×4, first 2 shown]
	s_waitcnt vmcnt(1)
	global_store_dword v[90:91], v93, off
.LBB112_833:
	s_or_b64 exec, exec, s[20:21]
	v_mov_b32_e32 v96, v89
	v_mov_b32_e32 v127, v89
.LBB112_834:
	s_or_b64 exec, exec, s[18:19]
.LBB112_835:
	s_andn2_saveexec_b64 s[0:1], s[0:1]
	s_cbranch_execz .LBB112_837
; %bb.836:
	ds_write2_b64 v0, v[61:62], v[63:64] offset0:80 offset1:81
	buffer_load_dword v57, off, s[24:27], 0 ; 4-byte Folded Reload
	buffer_load_dword v58, off, s[24:27], 0 offset:4 ; 4-byte Folded Reload
	buffer_load_dword v59, off, s[24:27], 0 offset:8 ; 4-byte Folded Reload
	;; [unrolled: 1-line block ×3, first 2 shown]
	v_mov_b32_e32 v96, 39
	s_waitcnt vmcnt(0)
	ds_write2_b64 v0, v[57:58], v[59:60] offset0:82 offset1:83
	ds_write2_b64 v0, v[53:54], v[55:56] offset0:84 offset1:85
	;; [unrolled: 1-line block ×16, first 2 shown]
.LBB112_837:
	s_or_b64 exec, exec, s[0:1]
	v_cmp_lt_i32_e32 vcc, 39, v96
	s_waitcnt vmcnt(0) lgkmcnt(0)
	s_barrier
	s_and_saveexec_b64 s[0:1], vcc
	s_cbranch_execz .LBB112_839
; %bb.838:
	v_mul_f64 v[89:90], v[119:120], v[67:68]
	v_mul_f64 v[67:68], v[117:118], v[67:68]
	ds_read2_b64 v[91:94], v0 offset0:80 offset1:81
	v_fma_f64 v[89:90], v[117:118], v[65:66], -v[89:90]
	v_fma_f64 v[67:68], v[119:120], v[65:66], v[67:68]
	s_waitcnt lgkmcnt(0)
	v_mul_f64 v[65:66], v[93:94], v[67:68]
	v_fma_f64 v[65:66], v[91:92], v[89:90], -v[65:66]
	v_mul_f64 v[91:92], v[91:92], v[67:68]
	v_add_f64 v[61:62], v[61:62], -v[65:66]
	v_fma_f64 v[91:92], v[93:94], v[89:90], v[91:92]
	v_add_f64 v[63:64], v[63:64], -v[91:92]
	ds_read2_b64 v[91:94], v0 offset0:82 offset1:83
	buffer_load_dword v57, off, s[24:27], 0 ; 4-byte Folded Reload
	buffer_load_dword v58, off, s[24:27], 0 offset:4 ; 4-byte Folded Reload
	buffer_load_dword v59, off, s[24:27], 0 offset:8 ; 4-byte Folded Reload
	;; [unrolled: 1-line block ×3, first 2 shown]
	s_waitcnt lgkmcnt(0)
	v_mul_f64 v[65:66], v[93:94], v[67:68]
	v_fma_f64 v[65:66], v[91:92], v[89:90], -v[65:66]
	v_mul_f64 v[91:92], v[91:92], v[67:68]
	v_fma_f64 v[91:92], v[93:94], v[89:90], v[91:92]
	s_waitcnt vmcnt(2)
	v_add_f64 v[57:58], v[57:58], -v[65:66]
	s_waitcnt vmcnt(0)
	v_add_f64 v[59:60], v[59:60], -v[91:92]
	buffer_store_dword v57, off, s[24:27], 0 ; 4-byte Folded Spill
	s_nop 0
	buffer_store_dword v58, off, s[24:27], 0 offset:4 ; 4-byte Folded Spill
	buffer_store_dword v59, off, s[24:27], 0 offset:8 ; 4-byte Folded Spill
	;; [unrolled: 1-line block ×3, first 2 shown]
	ds_read2_b64 v[91:94], v0 offset0:84 offset1:85
	s_waitcnt lgkmcnt(0)
	v_mul_f64 v[65:66], v[93:94], v[67:68]
	v_fma_f64 v[65:66], v[91:92], v[89:90], -v[65:66]
	v_mul_f64 v[91:92], v[91:92], v[67:68]
	v_add_f64 v[53:54], v[53:54], -v[65:66]
	v_fma_f64 v[91:92], v[93:94], v[89:90], v[91:92]
	v_add_f64 v[55:56], v[55:56], -v[91:92]
	ds_read2_b64 v[91:94], v0 offset0:86 offset1:87
	s_waitcnt lgkmcnt(0)
	v_mul_f64 v[65:66], v[93:94], v[67:68]
	v_fma_f64 v[65:66], v[91:92], v[89:90], -v[65:66]
	v_mul_f64 v[91:92], v[91:92], v[67:68]
	v_add_f64 v[49:50], v[49:50], -v[65:66]
	v_fma_f64 v[91:92], v[93:94], v[89:90], v[91:92]
	v_add_f64 v[51:52], v[51:52], -v[91:92]
	;; [unrolled: 8-line block ×14, first 2 shown]
	ds_read2_b64 v[91:94], v0 offset0:112 offset1:113
	s_waitcnt lgkmcnt(0)
	v_mul_f64 v[65:66], v[93:94], v[67:68]
	v_fma_f64 v[65:66], v[91:92], v[89:90], -v[65:66]
	v_mul_f64 v[91:92], v[91:92], v[67:68]
	v_add_f64 v[121:122], v[121:122], -v[65:66]
	v_fma_f64 v[91:92], v[93:94], v[89:90], v[91:92]
	v_mov_b32_e32 v65, v89
	v_mov_b32_e32 v66, v90
	v_add_f64 v[123:124], v[123:124], -v[91:92]
.LBB112_839:
	s_or_b64 exec, exec, s[0:1]
	v_lshl_add_u32 v89, v96, 4, v0
	s_waitcnt vmcnt(0)
	s_barrier
	ds_write2_b64 v89, v[61:62], v[63:64] offset1:1
	s_waitcnt lgkmcnt(0)
	s_barrier
	ds_read2_b64 v[117:120], v0 offset0:80 offset1:81
	s_cmp_lt_i32 s3, 42
	v_mov_b32_e32 v89, 40
	s_cbranch_scc1 .LBB112_842
; %bb.840:
	v_add_u32_e32 v90, 0x290, v0
	s_mov_b32 s0, 41
	v_mov_b32_e32 v89, 40
.LBB112_841:                            ; =>This Inner Loop Header: Depth=1
	s_waitcnt lgkmcnt(0)
	v_cmp_gt_f64_e32 vcc, 0, v[117:118]
	v_xor_b32_e32 v97, 0x80000000, v118
	ds_read2_b64 v[91:94], v90 offset1:1
	v_xor_b32_e32 v99, 0x80000000, v120
	v_add_u32_e32 v90, 16, v90
	s_waitcnt lgkmcnt(0)
	v_xor_b32_e32 v101, 0x80000000, v94
	v_cndmask_b32_e32 v98, v118, v97, vcc
	v_cmp_gt_f64_e32 vcc, 0, v[119:120]
	v_mov_b32_e32 v97, v117
	v_cndmask_b32_e32 v100, v120, v99, vcc
	v_cmp_gt_f64_e32 vcc, 0, v[91:92]
	v_mov_b32_e32 v99, v119
	v_add_f64 v[97:98], v[97:98], v[99:100]
	v_xor_b32_e32 v99, 0x80000000, v92
	v_cndmask_b32_e32 v100, v92, v99, vcc
	v_cmp_gt_f64_e32 vcc, 0, v[93:94]
	v_mov_b32_e32 v99, v91
	v_cndmask_b32_e32 v102, v94, v101, vcc
	v_mov_b32_e32 v101, v93
	v_add_f64 v[99:100], v[99:100], v[101:102]
	v_cmp_lt_f64_e32 vcc, v[97:98], v[99:100]
	v_cndmask_b32_e32 v117, v117, v91, vcc
	v_mov_b32_e32 v91, s0
	s_add_i32 s0, s0, 1
	v_cndmask_b32_e32 v118, v118, v92, vcc
	v_cndmask_b32_e32 v120, v120, v94, vcc
	;; [unrolled: 1-line block ×4, first 2 shown]
	s_cmp_lg_u32 s3, s0
	s_cbranch_scc1 .LBB112_841
.LBB112_842:
	s_waitcnt lgkmcnt(0)
	v_cmp_eq_f64_e32 vcc, 0, v[117:118]
	v_cmp_eq_f64_e64 s[0:1], 0, v[119:120]
	s_and_b64 s[0:1], vcc, s[0:1]
	s_and_saveexec_b64 s[18:19], s[0:1]
	s_xor_b64 s[0:1], exec, s[18:19]
; %bb.843:
	v_cmp_ne_u32_e32 vcc, 0, v95
	v_cndmask_b32_e32 v95, 41, v95, vcc
; %bb.844:
	s_andn2_saveexec_b64 s[0:1], s[0:1]
	s_cbranch_execz .LBB112_850
; %bb.845:
	v_cmp_ngt_f64_e64 s[18:19], |v[117:118]|, |v[119:120]|
	s_and_saveexec_b64 s[20:21], s[18:19]
	s_xor_b64 s[18:19], exec, s[20:21]
	s_cbranch_execz .LBB112_847
; %bb.846:
	v_div_scale_f64 v[90:91], s[20:21], v[119:120], v[119:120], v[117:118]
	v_rcp_f64_e32 v[92:93], v[90:91]
	v_fma_f64 v[97:98], -v[90:91], v[92:93], 1.0
	v_fma_f64 v[92:93], v[92:93], v[97:98], v[92:93]
	v_div_scale_f64 v[97:98], vcc, v[117:118], v[119:120], v[117:118]
	v_fma_f64 v[99:100], -v[90:91], v[92:93], 1.0
	v_fma_f64 v[92:93], v[92:93], v[99:100], v[92:93]
	v_mul_f64 v[99:100], v[97:98], v[92:93]
	v_fma_f64 v[90:91], -v[90:91], v[99:100], v[97:98]
	v_div_fmas_f64 v[90:91], v[90:91], v[92:93], v[99:100]
	v_div_fixup_f64 v[90:91], v[90:91], v[119:120], v[117:118]
	v_fma_f64 v[92:93], v[117:118], v[90:91], v[119:120]
	v_div_scale_f64 v[97:98], s[20:21], v[92:93], v[92:93], 1.0
	v_div_scale_f64 v[103:104], vcc, 1.0, v[92:93], 1.0
	v_rcp_f64_e32 v[99:100], v[97:98]
	v_fma_f64 v[101:102], -v[97:98], v[99:100], 1.0
	v_fma_f64 v[99:100], v[99:100], v[101:102], v[99:100]
	v_fma_f64 v[101:102], -v[97:98], v[99:100], 1.0
	v_fma_f64 v[99:100], v[99:100], v[101:102], v[99:100]
	v_mul_f64 v[101:102], v[103:104], v[99:100]
	v_fma_f64 v[97:98], -v[97:98], v[101:102], v[103:104]
	v_div_fmas_f64 v[97:98], v[97:98], v[99:100], v[101:102]
	v_div_fixup_f64 v[119:120], v[97:98], v[92:93], 1.0
	v_mul_f64 v[117:118], v[90:91], v[119:120]
	v_xor_b32_e32 v120, 0x80000000, v120
.LBB112_847:
	s_andn2_saveexec_b64 s[18:19], s[18:19]
	s_cbranch_execz .LBB112_849
; %bb.848:
	v_div_scale_f64 v[90:91], s[20:21], v[117:118], v[117:118], v[119:120]
	v_rcp_f64_e32 v[92:93], v[90:91]
	v_fma_f64 v[97:98], -v[90:91], v[92:93], 1.0
	v_fma_f64 v[92:93], v[92:93], v[97:98], v[92:93]
	v_div_scale_f64 v[97:98], vcc, v[119:120], v[117:118], v[119:120]
	v_fma_f64 v[99:100], -v[90:91], v[92:93], 1.0
	v_fma_f64 v[92:93], v[92:93], v[99:100], v[92:93]
	v_mul_f64 v[99:100], v[97:98], v[92:93]
	v_fma_f64 v[90:91], -v[90:91], v[99:100], v[97:98]
	v_div_fmas_f64 v[90:91], v[90:91], v[92:93], v[99:100]
	v_div_fixup_f64 v[90:91], v[90:91], v[117:118], v[119:120]
	v_fma_f64 v[92:93], v[119:120], v[90:91], v[117:118]
	v_div_scale_f64 v[97:98], s[20:21], v[92:93], v[92:93], 1.0
	v_div_scale_f64 v[103:104], vcc, 1.0, v[92:93], 1.0
	v_rcp_f64_e32 v[99:100], v[97:98]
	v_fma_f64 v[101:102], -v[97:98], v[99:100], 1.0
	v_fma_f64 v[99:100], v[99:100], v[101:102], v[99:100]
	v_fma_f64 v[101:102], -v[97:98], v[99:100], 1.0
	v_fma_f64 v[99:100], v[99:100], v[101:102], v[99:100]
	v_mul_f64 v[101:102], v[103:104], v[99:100]
	v_fma_f64 v[97:98], -v[97:98], v[101:102], v[103:104]
	v_div_fmas_f64 v[97:98], v[97:98], v[99:100], v[101:102]
	v_div_fixup_f64 v[117:118], v[97:98], v[92:93], 1.0
	v_mul_f64 v[119:120], v[90:91], -v[117:118]
.LBB112_849:
	s_or_b64 exec, exec, s[18:19]
.LBB112_850:
	s_or_b64 exec, exec, s[0:1]
	v_cmp_ne_u32_e32 vcc, v96, v89
	s_and_saveexec_b64 s[0:1], vcc
	s_xor_b64 s[0:1], exec, s[0:1]
	s_cbranch_execz .LBB112_856
; %bb.851:
	v_cmp_eq_u32_e32 vcc, 40, v96
	s_and_saveexec_b64 s[18:19], vcc
	s_cbranch_execz .LBB112_855
; %bb.852:
	v_cmp_ne_u32_e32 vcc, 40, v89
	s_xor_b64 s[20:21], s[6:7], -1
	s_and_b64 s[22:23], s[20:21], vcc
	s_and_saveexec_b64 s[20:21], s[22:23]
	s_cbranch_execz .LBB112_854
; %bb.853:
	buffer_load_dword v81, off, s[24:27], 0 offset:464 ; 4-byte Folded Reload
	buffer_load_dword v82, off, s[24:27], 0 offset:468 ; 4-byte Folded Reload
	v_ashrrev_i32_e32 v90, 31, v89
	v_lshlrev_b64 v[90:91], 2, v[89:90]
	s_waitcnt vmcnt(1)
	v_add_co_u32_e32 v90, vcc, v81, v90
	s_waitcnt vmcnt(0)
	v_addc_co_u32_e32 v91, vcc, v82, v91, vcc
	global_load_dword v92, v[90:91], off
	global_load_dword v93, v[81:82], off offset:160
	s_waitcnt vmcnt(1)
	global_store_dword v[81:82], v92, off offset:160
	v_mov_b32_e32 v81, v105
	v_mov_b32_e32 v82, v106
	;; [unrolled: 1-line block ×4, first 2 shown]
	s_waitcnt vmcnt(1)
	global_store_dword v[90:91], v93, off
.LBB112_854:
	s_or_b64 exec, exec, s[20:21]
	v_mov_b32_e32 v96, v89
	v_mov_b32_e32 v127, v89
.LBB112_855:
	s_or_b64 exec, exec, s[18:19]
.LBB112_856:
	s_andn2_saveexec_b64 s[0:1], s[0:1]
	s_cbranch_execz .LBB112_858
; %bb.857:
	buffer_load_dword v57, off, s[24:27], 0 ; 4-byte Folded Reload
	buffer_load_dword v58, off, s[24:27], 0 offset:4 ; 4-byte Folded Reload
	buffer_load_dword v59, off, s[24:27], 0 offset:8 ; 4-byte Folded Reload
	;; [unrolled: 1-line block ×3, first 2 shown]
	v_mov_b32_e32 v96, 40
	s_waitcnt vmcnt(0)
	ds_write2_b64 v0, v[57:58], v[59:60] offset0:82 offset1:83
	ds_write2_b64 v0, v[53:54], v[55:56] offset0:84 offset1:85
	ds_write2_b64 v0, v[49:50], v[51:52] offset0:86 offset1:87
	ds_write2_b64 v0, v[45:46], v[47:48] offset0:88 offset1:89
	ds_write2_b64 v0, v[41:42], v[43:44] offset0:90 offset1:91
	ds_write2_b64 v0, v[37:38], v[39:40] offset0:92 offset1:93
	ds_write2_b64 v0, v[33:34], v[35:36] offset0:94 offset1:95
	ds_write2_b64 v0, v[29:30], v[31:32] offset0:96 offset1:97
	ds_write2_b64 v0, v[25:26], v[27:28] offset0:98 offset1:99
	ds_write2_b64 v0, v[21:22], v[23:24] offset0:100 offset1:101
	ds_write2_b64 v0, v[17:18], v[19:20] offset0:102 offset1:103
	ds_write2_b64 v0, v[13:14], v[15:16] offset0:104 offset1:105
	ds_write2_b64 v0, v[9:10], v[11:12] offset0:106 offset1:107
	ds_write2_b64 v0, v[5:6], v[7:8] offset0:108 offset1:109
	ds_write2_b64 v0, v[1:2], v[3:4] offset0:110 offset1:111
	ds_write2_b64 v0, v[121:122], v[123:124] offset0:112 offset1:113
.LBB112_858:
	s_or_b64 exec, exec, s[0:1]
	v_cmp_lt_i32_e32 vcc, 40, v96
	s_waitcnt vmcnt(0) lgkmcnt(0)
	s_barrier
	s_and_saveexec_b64 s[0:1], vcc
	s_cbranch_execz .LBB112_860
; %bb.859:
	ds_read2_b64 v[91:94], v0 offset0:82 offset1:83
	buffer_load_dword v57, off, s[24:27], 0 ; 4-byte Folded Reload
	buffer_load_dword v58, off, s[24:27], 0 offset:4 ; 4-byte Folded Reload
	buffer_load_dword v59, off, s[24:27], 0 offset:8 ; 4-byte Folded Reload
	;; [unrolled: 1-line block ×3, first 2 shown]
	v_mul_f64 v[89:90], v[117:118], v[63:64]
	v_mul_f64 v[63:64], v[119:120], v[63:64]
	v_fma_f64 v[89:90], v[119:120], v[61:62], v[89:90]
	v_fma_f64 v[61:62], v[117:118], v[61:62], -v[63:64]
	s_waitcnt lgkmcnt(0)
	v_mul_f64 v[63:64], v[93:94], v[89:90]
	v_fma_f64 v[63:64], v[91:92], v[61:62], -v[63:64]
	v_mul_f64 v[91:92], v[91:92], v[89:90]
	v_fma_f64 v[91:92], v[93:94], v[61:62], v[91:92]
	s_waitcnt vmcnt(2)
	v_add_f64 v[57:58], v[57:58], -v[63:64]
	s_waitcnt vmcnt(0)
	v_add_f64 v[59:60], v[59:60], -v[91:92]
	buffer_store_dword v57, off, s[24:27], 0 ; 4-byte Folded Spill
	s_nop 0
	buffer_store_dword v58, off, s[24:27], 0 offset:4 ; 4-byte Folded Spill
	buffer_store_dword v59, off, s[24:27], 0 offset:8 ; 4-byte Folded Spill
	;; [unrolled: 1-line block ×3, first 2 shown]
	ds_read2_b64 v[91:94], v0 offset0:84 offset1:85
	s_waitcnt lgkmcnt(0)
	v_mul_f64 v[63:64], v[93:94], v[89:90]
	v_fma_f64 v[63:64], v[91:92], v[61:62], -v[63:64]
	v_mul_f64 v[91:92], v[91:92], v[89:90]
	v_add_f64 v[53:54], v[53:54], -v[63:64]
	v_fma_f64 v[91:92], v[93:94], v[61:62], v[91:92]
	v_add_f64 v[55:56], v[55:56], -v[91:92]
	ds_read2_b64 v[91:94], v0 offset0:86 offset1:87
	s_waitcnt lgkmcnt(0)
	v_mul_f64 v[63:64], v[93:94], v[89:90]
	v_fma_f64 v[63:64], v[91:92], v[61:62], -v[63:64]
	v_mul_f64 v[91:92], v[91:92], v[89:90]
	v_add_f64 v[49:50], v[49:50], -v[63:64]
	v_fma_f64 v[91:92], v[93:94], v[61:62], v[91:92]
	v_add_f64 v[51:52], v[51:52], -v[91:92]
	;; [unrolled: 8-line block ×14, first 2 shown]
	ds_read2_b64 v[91:94], v0 offset0:112 offset1:113
	s_waitcnt lgkmcnt(0)
	v_mul_f64 v[63:64], v[93:94], v[89:90]
	v_fma_f64 v[63:64], v[91:92], v[61:62], -v[63:64]
	v_mul_f64 v[91:92], v[91:92], v[89:90]
	v_add_f64 v[121:122], v[121:122], -v[63:64]
	v_fma_f64 v[91:92], v[93:94], v[61:62], v[91:92]
	v_mov_b32_e32 v63, v89
	v_mov_b32_e32 v64, v90
	v_add_f64 v[123:124], v[123:124], -v[91:92]
.LBB112_860:
	s_or_b64 exec, exec, s[0:1]
	s_waitcnt vmcnt(0)
	s_barrier
	buffer_load_dword v57, off, s[24:27], 0 ; 4-byte Folded Reload
	buffer_load_dword v58, off, s[24:27], 0 offset:4 ; 4-byte Folded Reload
	buffer_load_dword v59, off, s[24:27], 0 offset:8 ; 4-byte Folded Reload
	;; [unrolled: 1-line block ×3, first 2 shown]
	v_lshl_add_u32 v89, v96, 4, v0
	s_cmp_lt_i32 s3, 43
	s_waitcnt vmcnt(0)
	ds_write2_b64 v89, v[57:58], v[59:60] offset1:1
	s_waitcnt lgkmcnt(0)
	s_barrier
	ds_read2_b64 v[117:120], v0 offset0:82 offset1:83
	v_mov_b32_e32 v89, 41
	s_cbranch_scc1 .LBB112_863
; %bb.861:
	v_add_u32_e32 v90, 0x2a0, v0
	s_mov_b32 s0, 42
	v_mov_b32_e32 v89, 41
.LBB112_862:                            ; =>This Inner Loop Header: Depth=1
	s_waitcnt lgkmcnt(0)
	v_cmp_gt_f64_e32 vcc, 0, v[117:118]
	v_xor_b32_e32 v97, 0x80000000, v118
	ds_read2_b64 v[91:94], v90 offset1:1
	v_xor_b32_e32 v99, 0x80000000, v120
	v_add_u32_e32 v90, 16, v90
	s_waitcnt lgkmcnt(0)
	v_xor_b32_e32 v101, 0x80000000, v94
	v_cndmask_b32_e32 v98, v118, v97, vcc
	v_cmp_gt_f64_e32 vcc, 0, v[119:120]
	v_mov_b32_e32 v97, v117
	v_cndmask_b32_e32 v100, v120, v99, vcc
	v_cmp_gt_f64_e32 vcc, 0, v[91:92]
	v_mov_b32_e32 v99, v119
	v_add_f64 v[97:98], v[97:98], v[99:100]
	v_xor_b32_e32 v99, 0x80000000, v92
	v_cndmask_b32_e32 v100, v92, v99, vcc
	v_cmp_gt_f64_e32 vcc, 0, v[93:94]
	v_mov_b32_e32 v99, v91
	v_cndmask_b32_e32 v102, v94, v101, vcc
	v_mov_b32_e32 v101, v93
	v_add_f64 v[99:100], v[99:100], v[101:102]
	v_cmp_lt_f64_e32 vcc, v[97:98], v[99:100]
	v_cndmask_b32_e32 v117, v117, v91, vcc
	v_mov_b32_e32 v91, s0
	s_add_i32 s0, s0, 1
	v_cndmask_b32_e32 v118, v118, v92, vcc
	v_cndmask_b32_e32 v120, v120, v94, vcc
	;; [unrolled: 1-line block ×4, first 2 shown]
	s_cmp_lg_u32 s3, s0
	s_cbranch_scc1 .LBB112_862
.LBB112_863:
	s_waitcnt lgkmcnt(0)
	v_cmp_eq_f64_e32 vcc, 0, v[117:118]
	v_cmp_eq_f64_e64 s[0:1], 0, v[119:120]
	s_and_b64 s[0:1], vcc, s[0:1]
	s_and_saveexec_b64 s[18:19], s[0:1]
	s_xor_b64 s[0:1], exec, s[18:19]
; %bb.864:
	v_cmp_ne_u32_e32 vcc, 0, v95
	v_cndmask_b32_e32 v95, 42, v95, vcc
; %bb.865:
	s_andn2_saveexec_b64 s[0:1], s[0:1]
	s_cbranch_execz .LBB112_871
; %bb.866:
	v_cmp_ngt_f64_e64 s[18:19], |v[117:118]|, |v[119:120]|
	s_and_saveexec_b64 s[20:21], s[18:19]
	s_xor_b64 s[18:19], exec, s[20:21]
	s_cbranch_execz .LBB112_868
; %bb.867:
	v_div_scale_f64 v[90:91], s[20:21], v[119:120], v[119:120], v[117:118]
	v_rcp_f64_e32 v[92:93], v[90:91]
	v_fma_f64 v[97:98], -v[90:91], v[92:93], 1.0
	v_fma_f64 v[92:93], v[92:93], v[97:98], v[92:93]
	v_div_scale_f64 v[97:98], vcc, v[117:118], v[119:120], v[117:118]
	v_fma_f64 v[99:100], -v[90:91], v[92:93], 1.0
	v_fma_f64 v[92:93], v[92:93], v[99:100], v[92:93]
	v_mul_f64 v[99:100], v[97:98], v[92:93]
	v_fma_f64 v[90:91], -v[90:91], v[99:100], v[97:98]
	v_div_fmas_f64 v[90:91], v[90:91], v[92:93], v[99:100]
	v_div_fixup_f64 v[90:91], v[90:91], v[119:120], v[117:118]
	v_fma_f64 v[92:93], v[117:118], v[90:91], v[119:120]
	v_div_scale_f64 v[97:98], s[20:21], v[92:93], v[92:93], 1.0
	v_div_scale_f64 v[103:104], vcc, 1.0, v[92:93], 1.0
	v_rcp_f64_e32 v[99:100], v[97:98]
	v_fma_f64 v[101:102], -v[97:98], v[99:100], 1.0
	v_fma_f64 v[99:100], v[99:100], v[101:102], v[99:100]
	v_fma_f64 v[101:102], -v[97:98], v[99:100], 1.0
	v_fma_f64 v[99:100], v[99:100], v[101:102], v[99:100]
	v_mul_f64 v[101:102], v[103:104], v[99:100]
	v_fma_f64 v[97:98], -v[97:98], v[101:102], v[103:104]
	v_div_fmas_f64 v[97:98], v[97:98], v[99:100], v[101:102]
	v_div_fixup_f64 v[119:120], v[97:98], v[92:93], 1.0
	v_mul_f64 v[117:118], v[90:91], v[119:120]
	v_xor_b32_e32 v120, 0x80000000, v120
.LBB112_868:
	s_andn2_saveexec_b64 s[18:19], s[18:19]
	s_cbranch_execz .LBB112_870
; %bb.869:
	v_div_scale_f64 v[90:91], s[20:21], v[117:118], v[117:118], v[119:120]
	v_rcp_f64_e32 v[92:93], v[90:91]
	v_fma_f64 v[97:98], -v[90:91], v[92:93], 1.0
	v_fma_f64 v[92:93], v[92:93], v[97:98], v[92:93]
	v_div_scale_f64 v[97:98], vcc, v[119:120], v[117:118], v[119:120]
	v_fma_f64 v[99:100], -v[90:91], v[92:93], 1.0
	v_fma_f64 v[92:93], v[92:93], v[99:100], v[92:93]
	v_mul_f64 v[99:100], v[97:98], v[92:93]
	v_fma_f64 v[90:91], -v[90:91], v[99:100], v[97:98]
	v_div_fmas_f64 v[90:91], v[90:91], v[92:93], v[99:100]
	v_div_fixup_f64 v[90:91], v[90:91], v[117:118], v[119:120]
	v_fma_f64 v[92:93], v[119:120], v[90:91], v[117:118]
	v_div_scale_f64 v[97:98], s[20:21], v[92:93], v[92:93], 1.0
	v_div_scale_f64 v[103:104], vcc, 1.0, v[92:93], 1.0
	v_rcp_f64_e32 v[99:100], v[97:98]
	v_fma_f64 v[101:102], -v[97:98], v[99:100], 1.0
	v_fma_f64 v[99:100], v[99:100], v[101:102], v[99:100]
	v_fma_f64 v[101:102], -v[97:98], v[99:100], 1.0
	v_fma_f64 v[99:100], v[99:100], v[101:102], v[99:100]
	v_mul_f64 v[101:102], v[103:104], v[99:100]
	v_fma_f64 v[97:98], -v[97:98], v[101:102], v[103:104]
	v_div_fmas_f64 v[97:98], v[97:98], v[99:100], v[101:102]
	v_div_fixup_f64 v[117:118], v[97:98], v[92:93], 1.0
	v_mul_f64 v[119:120], v[90:91], -v[117:118]
.LBB112_870:
	s_or_b64 exec, exec, s[18:19]
.LBB112_871:
	s_or_b64 exec, exec, s[0:1]
	v_cmp_ne_u32_e32 vcc, v96, v89
	s_and_saveexec_b64 s[0:1], vcc
	s_xor_b64 s[0:1], exec, s[0:1]
	s_cbranch_execz .LBB112_877
; %bb.872:
	v_cmp_eq_u32_e32 vcc, 41, v96
	s_and_saveexec_b64 s[18:19], vcc
	s_cbranch_execz .LBB112_876
; %bb.873:
	v_cmp_ne_u32_e32 vcc, 41, v89
	s_xor_b64 s[20:21], s[6:7], -1
	s_and_b64 s[22:23], s[20:21], vcc
	s_and_saveexec_b64 s[20:21], s[22:23]
	s_cbranch_execz .LBB112_875
; %bb.874:
	buffer_load_dword v81, off, s[24:27], 0 offset:464 ; 4-byte Folded Reload
	buffer_load_dword v82, off, s[24:27], 0 offset:468 ; 4-byte Folded Reload
	v_ashrrev_i32_e32 v90, 31, v89
	v_lshlrev_b64 v[90:91], 2, v[89:90]
	s_waitcnt vmcnt(1)
	v_add_co_u32_e32 v90, vcc, v81, v90
	s_waitcnt vmcnt(0)
	v_addc_co_u32_e32 v91, vcc, v82, v91, vcc
	global_load_dword v92, v[90:91], off
	global_load_dword v93, v[81:82], off offset:164
	s_waitcnt vmcnt(1)
	global_store_dword v[81:82], v92, off offset:164
	v_mov_b32_e32 v81, v105
	v_mov_b32_e32 v82, v106
	;; [unrolled: 1-line block ×4, first 2 shown]
	s_waitcnt vmcnt(1)
	global_store_dword v[90:91], v93, off
.LBB112_875:
	s_or_b64 exec, exec, s[20:21]
	v_mov_b32_e32 v96, v89
	v_mov_b32_e32 v127, v89
.LBB112_876:
	s_or_b64 exec, exec, s[18:19]
.LBB112_877:
	s_andn2_saveexec_b64 s[0:1], s[0:1]
	s_cbranch_execz .LBB112_879
; %bb.878:
	v_mov_b32_e32 v96, 41
	ds_write2_b64 v0, v[53:54], v[55:56] offset0:84 offset1:85
	ds_write2_b64 v0, v[49:50], v[51:52] offset0:86 offset1:87
	;; [unrolled: 1-line block ×15, first 2 shown]
.LBB112_879:
	s_or_b64 exec, exec, s[0:1]
	v_cmp_lt_i32_e32 vcc, 41, v96
	s_waitcnt vmcnt(0) lgkmcnt(0)
	s_barrier
	s_and_saveexec_b64 s[0:1], vcc
	s_cbranch_execz .LBB112_881
; %bb.880:
	buffer_load_dword v57, off, s[24:27], 0 ; 4-byte Folded Reload
	buffer_load_dword v58, off, s[24:27], 0 offset:4 ; 4-byte Folded Reload
	buffer_load_dword v59, off, s[24:27], 0 offset:8 ; 4-byte Folded Reload
	;; [unrolled: 1-line block ×3, first 2 shown]
	ds_read2_b64 v[91:94], v0 offset0:84 offset1:85
	s_waitcnt vmcnt(0)
	v_mul_f64 v[89:90], v[117:118], v[59:60]
	v_mul_f64 v[59:60], v[119:120], v[59:60]
	v_fma_f64 v[89:90], v[119:120], v[57:58], v[89:90]
	v_fma_f64 v[57:58], v[117:118], v[57:58], -v[59:60]
	s_waitcnt lgkmcnt(0)
	v_mul_f64 v[59:60], v[93:94], v[89:90]
	v_fma_f64 v[59:60], v[91:92], v[57:58], -v[59:60]
	v_mul_f64 v[91:92], v[91:92], v[89:90]
	v_add_f64 v[53:54], v[53:54], -v[59:60]
	v_fma_f64 v[91:92], v[93:94], v[57:58], v[91:92]
	v_add_f64 v[55:56], v[55:56], -v[91:92]
	ds_read2_b64 v[91:94], v0 offset0:86 offset1:87
	s_waitcnt lgkmcnt(0)
	v_mul_f64 v[59:60], v[93:94], v[89:90]
	v_fma_f64 v[59:60], v[91:92], v[57:58], -v[59:60]
	v_mul_f64 v[91:92], v[91:92], v[89:90]
	v_add_f64 v[49:50], v[49:50], -v[59:60]
	v_fma_f64 v[91:92], v[93:94], v[57:58], v[91:92]
	v_add_f64 v[51:52], v[51:52], -v[91:92]
	ds_read2_b64 v[91:94], v0 offset0:88 offset1:89
	;; [unrolled: 8-line block ×14, first 2 shown]
	s_waitcnt lgkmcnt(0)
	v_mul_f64 v[59:60], v[93:94], v[89:90]
	v_fma_f64 v[59:60], v[91:92], v[57:58], -v[59:60]
	v_mul_f64 v[91:92], v[91:92], v[89:90]
	v_add_f64 v[121:122], v[121:122], -v[59:60]
	v_fma_f64 v[91:92], v[93:94], v[57:58], v[91:92]
	v_mov_b32_e32 v59, v89
	v_mov_b32_e32 v60, v90
	buffer_store_dword v57, off, s[24:27], 0 ; 4-byte Folded Spill
	s_nop 0
	buffer_store_dword v58, off, s[24:27], 0 offset:4 ; 4-byte Folded Spill
	buffer_store_dword v59, off, s[24:27], 0 offset:8 ; 4-byte Folded Spill
	;; [unrolled: 1-line block ×3, first 2 shown]
	v_add_f64 v[123:124], v[123:124], -v[91:92]
.LBB112_881:
	s_or_b64 exec, exec, s[0:1]
	v_lshl_add_u32 v89, v96, 4, v0
	s_waitcnt vmcnt(0)
	s_barrier
	ds_write2_b64 v89, v[53:54], v[55:56] offset1:1
	s_waitcnt lgkmcnt(0)
	s_barrier
	ds_read2_b64 v[117:120], v0 offset0:84 offset1:85
	s_cmp_lt_i32 s3, 44
	v_mov_b32_e32 v89, 42
	s_cbranch_scc1 .LBB112_884
; %bb.882:
	v_add_u32_e32 v90, 0x2b0, v0
	s_mov_b32 s0, 43
	v_mov_b32_e32 v89, 42
.LBB112_883:                            ; =>This Inner Loop Header: Depth=1
	s_waitcnt lgkmcnt(0)
	v_cmp_gt_f64_e32 vcc, 0, v[117:118]
	v_xor_b32_e32 v97, 0x80000000, v118
	ds_read2_b64 v[91:94], v90 offset1:1
	v_xor_b32_e32 v99, 0x80000000, v120
	v_add_u32_e32 v90, 16, v90
	s_waitcnt lgkmcnt(0)
	v_xor_b32_e32 v101, 0x80000000, v94
	v_cndmask_b32_e32 v98, v118, v97, vcc
	v_cmp_gt_f64_e32 vcc, 0, v[119:120]
	v_mov_b32_e32 v97, v117
	v_cndmask_b32_e32 v100, v120, v99, vcc
	v_cmp_gt_f64_e32 vcc, 0, v[91:92]
	v_mov_b32_e32 v99, v119
	v_add_f64 v[97:98], v[97:98], v[99:100]
	v_xor_b32_e32 v99, 0x80000000, v92
	v_cndmask_b32_e32 v100, v92, v99, vcc
	v_cmp_gt_f64_e32 vcc, 0, v[93:94]
	v_mov_b32_e32 v99, v91
	v_cndmask_b32_e32 v102, v94, v101, vcc
	v_mov_b32_e32 v101, v93
	v_add_f64 v[99:100], v[99:100], v[101:102]
	v_cmp_lt_f64_e32 vcc, v[97:98], v[99:100]
	v_cndmask_b32_e32 v117, v117, v91, vcc
	v_mov_b32_e32 v91, s0
	s_add_i32 s0, s0, 1
	v_cndmask_b32_e32 v118, v118, v92, vcc
	v_cndmask_b32_e32 v120, v120, v94, vcc
	;; [unrolled: 1-line block ×4, first 2 shown]
	s_cmp_lg_u32 s3, s0
	s_cbranch_scc1 .LBB112_883
.LBB112_884:
	s_waitcnt lgkmcnt(0)
	v_cmp_eq_f64_e32 vcc, 0, v[117:118]
	v_cmp_eq_f64_e64 s[0:1], 0, v[119:120]
	s_and_b64 s[0:1], vcc, s[0:1]
	s_and_saveexec_b64 s[18:19], s[0:1]
	s_xor_b64 s[0:1], exec, s[18:19]
; %bb.885:
	v_cmp_ne_u32_e32 vcc, 0, v95
	v_cndmask_b32_e32 v95, 43, v95, vcc
; %bb.886:
	s_andn2_saveexec_b64 s[0:1], s[0:1]
	s_cbranch_execz .LBB112_892
; %bb.887:
	v_cmp_ngt_f64_e64 s[18:19], |v[117:118]|, |v[119:120]|
	s_and_saveexec_b64 s[20:21], s[18:19]
	s_xor_b64 s[18:19], exec, s[20:21]
	s_cbranch_execz .LBB112_889
; %bb.888:
	v_div_scale_f64 v[90:91], s[20:21], v[119:120], v[119:120], v[117:118]
	v_rcp_f64_e32 v[92:93], v[90:91]
	v_fma_f64 v[97:98], -v[90:91], v[92:93], 1.0
	v_fma_f64 v[92:93], v[92:93], v[97:98], v[92:93]
	v_div_scale_f64 v[97:98], vcc, v[117:118], v[119:120], v[117:118]
	v_fma_f64 v[99:100], -v[90:91], v[92:93], 1.0
	v_fma_f64 v[92:93], v[92:93], v[99:100], v[92:93]
	v_mul_f64 v[99:100], v[97:98], v[92:93]
	v_fma_f64 v[90:91], -v[90:91], v[99:100], v[97:98]
	v_div_fmas_f64 v[90:91], v[90:91], v[92:93], v[99:100]
	v_div_fixup_f64 v[90:91], v[90:91], v[119:120], v[117:118]
	v_fma_f64 v[92:93], v[117:118], v[90:91], v[119:120]
	v_div_scale_f64 v[97:98], s[20:21], v[92:93], v[92:93], 1.0
	v_div_scale_f64 v[103:104], vcc, 1.0, v[92:93], 1.0
	v_rcp_f64_e32 v[99:100], v[97:98]
	v_fma_f64 v[101:102], -v[97:98], v[99:100], 1.0
	v_fma_f64 v[99:100], v[99:100], v[101:102], v[99:100]
	v_fma_f64 v[101:102], -v[97:98], v[99:100], 1.0
	v_fma_f64 v[99:100], v[99:100], v[101:102], v[99:100]
	v_mul_f64 v[101:102], v[103:104], v[99:100]
	v_fma_f64 v[97:98], -v[97:98], v[101:102], v[103:104]
	v_div_fmas_f64 v[97:98], v[97:98], v[99:100], v[101:102]
	v_div_fixup_f64 v[119:120], v[97:98], v[92:93], 1.0
	v_mul_f64 v[117:118], v[90:91], v[119:120]
	v_xor_b32_e32 v120, 0x80000000, v120
.LBB112_889:
	s_andn2_saveexec_b64 s[18:19], s[18:19]
	s_cbranch_execz .LBB112_891
; %bb.890:
	v_div_scale_f64 v[90:91], s[20:21], v[117:118], v[117:118], v[119:120]
	v_rcp_f64_e32 v[92:93], v[90:91]
	v_fma_f64 v[97:98], -v[90:91], v[92:93], 1.0
	v_fma_f64 v[92:93], v[92:93], v[97:98], v[92:93]
	v_div_scale_f64 v[97:98], vcc, v[119:120], v[117:118], v[119:120]
	v_fma_f64 v[99:100], -v[90:91], v[92:93], 1.0
	v_fma_f64 v[92:93], v[92:93], v[99:100], v[92:93]
	v_mul_f64 v[99:100], v[97:98], v[92:93]
	v_fma_f64 v[90:91], -v[90:91], v[99:100], v[97:98]
	v_div_fmas_f64 v[90:91], v[90:91], v[92:93], v[99:100]
	v_div_fixup_f64 v[90:91], v[90:91], v[117:118], v[119:120]
	v_fma_f64 v[92:93], v[119:120], v[90:91], v[117:118]
	v_div_scale_f64 v[97:98], s[20:21], v[92:93], v[92:93], 1.0
	v_div_scale_f64 v[103:104], vcc, 1.0, v[92:93], 1.0
	v_rcp_f64_e32 v[99:100], v[97:98]
	v_fma_f64 v[101:102], -v[97:98], v[99:100], 1.0
	v_fma_f64 v[99:100], v[99:100], v[101:102], v[99:100]
	v_fma_f64 v[101:102], -v[97:98], v[99:100], 1.0
	v_fma_f64 v[99:100], v[99:100], v[101:102], v[99:100]
	v_mul_f64 v[101:102], v[103:104], v[99:100]
	v_fma_f64 v[97:98], -v[97:98], v[101:102], v[103:104]
	v_div_fmas_f64 v[97:98], v[97:98], v[99:100], v[101:102]
	v_div_fixup_f64 v[117:118], v[97:98], v[92:93], 1.0
	v_mul_f64 v[119:120], v[90:91], -v[117:118]
.LBB112_891:
	s_or_b64 exec, exec, s[18:19]
.LBB112_892:
	s_or_b64 exec, exec, s[0:1]
	v_cmp_ne_u32_e32 vcc, v96, v89
	s_and_saveexec_b64 s[0:1], vcc
	s_xor_b64 s[0:1], exec, s[0:1]
	s_cbranch_execz .LBB112_898
; %bb.893:
	v_cmp_eq_u32_e32 vcc, 42, v96
	s_and_saveexec_b64 s[18:19], vcc
	s_cbranch_execz .LBB112_897
; %bb.894:
	v_cmp_ne_u32_e32 vcc, 42, v89
	s_xor_b64 s[20:21], s[6:7], -1
	s_and_b64 s[22:23], s[20:21], vcc
	s_and_saveexec_b64 s[20:21], s[22:23]
	s_cbranch_execz .LBB112_896
; %bb.895:
	buffer_load_dword v81, off, s[24:27], 0 offset:464 ; 4-byte Folded Reload
	buffer_load_dword v82, off, s[24:27], 0 offset:468 ; 4-byte Folded Reload
	v_ashrrev_i32_e32 v90, 31, v89
	v_lshlrev_b64 v[90:91], 2, v[89:90]
	s_waitcnt vmcnt(1)
	v_add_co_u32_e32 v90, vcc, v81, v90
	s_waitcnt vmcnt(0)
	v_addc_co_u32_e32 v91, vcc, v82, v91, vcc
	global_load_dword v92, v[90:91], off
	global_load_dword v93, v[81:82], off offset:168
	s_waitcnt vmcnt(1)
	global_store_dword v[81:82], v92, off offset:168
	v_mov_b32_e32 v81, v105
	v_mov_b32_e32 v82, v106
	;; [unrolled: 1-line block ×4, first 2 shown]
	s_waitcnt vmcnt(1)
	global_store_dword v[90:91], v93, off
.LBB112_896:
	s_or_b64 exec, exec, s[20:21]
	v_mov_b32_e32 v96, v89
	v_mov_b32_e32 v127, v89
.LBB112_897:
	s_or_b64 exec, exec, s[18:19]
.LBB112_898:
	s_andn2_saveexec_b64 s[0:1], s[0:1]
	s_cbranch_execz .LBB112_900
; %bb.899:
	v_mov_b32_e32 v96, 42
	ds_write2_b64 v0, v[49:50], v[51:52] offset0:86 offset1:87
	ds_write2_b64 v0, v[45:46], v[47:48] offset0:88 offset1:89
	;; [unrolled: 1-line block ×14, first 2 shown]
.LBB112_900:
	s_or_b64 exec, exec, s[0:1]
	v_cmp_lt_i32_e32 vcc, 42, v96
	s_waitcnt vmcnt(0) lgkmcnt(0)
	s_barrier
	s_and_saveexec_b64 s[0:1], vcc
	s_cbranch_execz .LBB112_902
; %bb.901:
	v_mul_f64 v[89:90], v[117:118], v[55:56]
	v_mul_f64 v[55:56], v[119:120], v[55:56]
	ds_read2_b64 v[91:94], v0 offset0:86 offset1:87
	v_fma_f64 v[89:90], v[119:120], v[53:54], v[89:90]
	v_fma_f64 v[53:54], v[117:118], v[53:54], -v[55:56]
	s_waitcnt lgkmcnt(0)
	v_mul_f64 v[55:56], v[93:94], v[89:90]
	v_fma_f64 v[55:56], v[91:92], v[53:54], -v[55:56]
	v_mul_f64 v[91:92], v[91:92], v[89:90]
	v_add_f64 v[49:50], v[49:50], -v[55:56]
	v_fma_f64 v[91:92], v[93:94], v[53:54], v[91:92]
	v_add_f64 v[51:52], v[51:52], -v[91:92]
	ds_read2_b64 v[91:94], v0 offset0:88 offset1:89
	s_waitcnt lgkmcnt(0)
	v_mul_f64 v[55:56], v[93:94], v[89:90]
	v_fma_f64 v[55:56], v[91:92], v[53:54], -v[55:56]
	v_mul_f64 v[91:92], v[91:92], v[89:90]
	v_add_f64 v[45:46], v[45:46], -v[55:56]
	v_fma_f64 v[91:92], v[93:94], v[53:54], v[91:92]
	v_add_f64 v[47:48], v[47:48], -v[91:92]
	ds_read2_b64 v[91:94], v0 offset0:90 offset1:91
	;; [unrolled: 8-line block ×13, first 2 shown]
	s_waitcnt lgkmcnt(0)
	v_mul_f64 v[55:56], v[93:94], v[89:90]
	v_fma_f64 v[55:56], v[91:92], v[53:54], -v[55:56]
	v_mul_f64 v[91:92], v[91:92], v[89:90]
	v_add_f64 v[121:122], v[121:122], -v[55:56]
	v_fma_f64 v[91:92], v[93:94], v[53:54], v[91:92]
	v_mov_b32_e32 v55, v89
	v_mov_b32_e32 v56, v90
	v_add_f64 v[123:124], v[123:124], -v[91:92]
.LBB112_902:
	s_or_b64 exec, exec, s[0:1]
	v_lshl_add_u32 v89, v96, 4, v0
	s_barrier
	ds_write2_b64 v89, v[49:50], v[51:52] offset1:1
	s_waitcnt lgkmcnt(0)
	s_barrier
	ds_read2_b64 v[117:120], v0 offset0:86 offset1:87
	s_cmp_lt_i32 s3, 45
	v_mov_b32_e32 v89, 43
	s_cbranch_scc1 .LBB112_905
; %bb.903:
	v_add_u32_e32 v90, 0x2c0, v0
	s_mov_b32 s0, 44
	v_mov_b32_e32 v89, 43
.LBB112_904:                            ; =>This Inner Loop Header: Depth=1
	s_waitcnt lgkmcnt(0)
	v_cmp_gt_f64_e32 vcc, 0, v[117:118]
	v_xor_b32_e32 v97, 0x80000000, v118
	ds_read2_b64 v[91:94], v90 offset1:1
	v_xor_b32_e32 v99, 0x80000000, v120
	v_add_u32_e32 v90, 16, v90
	s_waitcnt lgkmcnt(0)
	v_xor_b32_e32 v101, 0x80000000, v94
	v_cndmask_b32_e32 v98, v118, v97, vcc
	v_cmp_gt_f64_e32 vcc, 0, v[119:120]
	v_mov_b32_e32 v97, v117
	v_cndmask_b32_e32 v100, v120, v99, vcc
	v_cmp_gt_f64_e32 vcc, 0, v[91:92]
	v_mov_b32_e32 v99, v119
	v_add_f64 v[97:98], v[97:98], v[99:100]
	v_xor_b32_e32 v99, 0x80000000, v92
	v_cndmask_b32_e32 v100, v92, v99, vcc
	v_cmp_gt_f64_e32 vcc, 0, v[93:94]
	v_mov_b32_e32 v99, v91
	v_cndmask_b32_e32 v102, v94, v101, vcc
	v_mov_b32_e32 v101, v93
	v_add_f64 v[99:100], v[99:100], v[101:102]
	v_cmp_lt_f64_e32 vcc, v[97:98], v[99:100]
	v_cndmask_b32_e32 v117, v117, v91, vcc
	v_mov_b32_e32 v91, s0
	s_add_i32 s0, s0, 1
	v_cndmask_b32_e32 v118, v118, v92, vcc
	v_cndmask_b32_e32 v120, v120, v94, vcc
	;; [unrolled: 1-line block ×4, first 2 shown]
	s_cmp_lg_u32 s3, s0
	s_cbranch_scc1 .LBB112_904
.LBB112_905:
	s_waitcnt lgkmcnt(0)
	v_cmp_eq_f64_e32 vcc, 0, v[117:118]
	v_cmp_eq_f64_e64 s[0:1], 0, v[119:120]
	s_and_b64 s[0:1], vcc, s[0:1]
	s_and_saveexec_b64 s[18:19], s[0:1]
	s_xor_b64 s[0:1], exec, s[18:19]
; %bb.906:
	v_cmp_ne_u32_e32 vcc, 0, v95
	v_cndmask_b32_e32 v95, 44, v95, vcc
; %bb.907:
	s_andn2_saveexec_b64 s[0:1], s[0:1]
	s_cbranch_execz .LBB112_913
; %bb.908:
	v_cmp_ngt_f64_e64 s[18:19], |v[117:118]|, |v[119:120]|
	s_and_saveexec_b64 s[20:21], s[18:19]
	s_xor_b64 s[18:19], exec, s[20:21]
	s_cbranch_execz .LBB112_910
; %bb.909:
	v_div_scale_f64 v[90:91], s[20:21], v[119:120], v[119:120], v[117:118]
	v_rcp_f64_e32 v[92:93], v[90:91]
	v_fma_f64 v[97:98], -v[90:91], v[92:93], 1.0
	v_fma_f64 v[92:93], v[92:93], v[97:98], v[92:93]
	v_div_scale_f64 v[97:98], vcc, v[117:118], v[119:120], v[117:118]
	v_fma_f64 v[99:100], -v[90:91], v[92:93], 1.0
	v_fma_f64 v[92:93], v[92:93], v[99:100], v[92:93]
	v_mul_f64 v[99:100], v[97:98], v[92:93]
	v_fma_f64 v[90:91], -v[90:91], v[99:100], v[97:98]
	v_div_fmas_f64 v[90:91], v[90:91], v[92:93], v[99:100]
	v_div_fixup_f64 v[90:91], v[90:91], v[119:120], v[117:118]
	v_fma_f64 v[92:93], v[117:118], v[90:91], v[119:120]
	v_div_scale_f64 v[97:98], s[20:21], v[92:93], v[92:93], 1.0
	v_div_scale_f64 v[103:104], vcc, 1.0, v[92:93], 1.0
	v_rcp_f64_e32 v[99:100], v[97:98]
	v_fma_f64 v[101:102], -v[97:98], v[99:100], 1.0
	v_fma_f64 v[99:100], v[99:100], v[101:102], v[99:100]
	v_fma_f64 v[101:102], -v[97:98], v[99:100], 1.0
	v_fma_f64 v[99:100], v[99:100], v[101:102], v[99:100]
	v_mul_f64 v[101:102], v[103:104], v[99:100]
	v_fma_f64 v[97:98], -v[97:98], v[101:102], v[103:104]
	v_div_fmas_f64 v[97:98], v[97:98], v[99:100], v[101:102]
	v_div_fixup_f64 v[119:120], v[97:98], v[92:93], 1.0
	v_mul_f64 v[117:118], v[90:91], v[119:120]
	v_xor_b32_e32 v120, 0x80000000, v120
.LBB112_910:
	s_andn2_saveexec_b64 s[18:19], s[18:19]
	s_cbranch_execz .LBB112_912
; %bb.911:
	v_div_scale_f64 v[90:91], s[20:21], v[117:118], v[117:118], v[119:120]
	v_rcp_f64_e32 v[92:93], v[90:91]
	v_fma_f64 v[97:98], -v[90:91], v[92:93], 1.0
	v_fma_f64 v[92:93], v[92:93], v[97:98], v[92:93]
	v_div_scale_f64 v[97:98], vcc, v[119:120], v[117:118], v[119:120]
	v_fma_f64 v[99:100], -v[90:91], v[92:93], 1.0
	v_fma_f64 v[92:93], v[92:93], v[99:100], v[92:93]
	v_mul_f64 v[99:100], v[97:98], v[92:93]
	v_fma_f64 v[90:91], -v[90:91], v[99:100], v[97:98]
	v_div_fmas_f64 v[90:91], v[90:91], v[92:93], v[99:100]
	v_div_fixup_f64 v[90:91], v[90:91], v[117:118], v[119:120]
	v_fma_f64 v[92:93], v[119:120], v[90:91], v[117:118]
	v_div_scale_f64 v[97:98], s[20:21], v[92:93], v[92:93], 1.0
	v_div_scale_f64 v[103:104], vcc, 1.0, v[92:93], 1.0
	v_rcp_f64_e32 v[99:100], v[97:98]
	v_fma_f64 v[101:102], -v[97:98], v[99:100], 1.0
	v_fma_f64 v[99:100], v[99:100], v[101:102], v[99:100]
	v_fma_f64 v[101:102], -v[97:98], v[99:100], 1.0
	v_fma_f64 v[99:100], v[99:100], v[101:102], v[99:100]
	v_mul_f64 v[101:102], v[103:104], v[99:100]
	v_fma_f64 v[97:98], -v[97:98], v[101:102], v[103:104]
	v_div_fmas_f64 v[97:98], v[97:98], v[99:100], v[101:102]
	v_div_fixup_f64 v[117:118], v[97:98], v[92:93], 1.0
	v_mul_f64 v[119:120], v[90:91], -v[117:118]
.LBB112_912:
	s_or_b64 exec, exec, s[18:19]
.LBB112_913:
	s_or_b64 exec, exec, s[0:1]
	v_cmp_ne_u32_e32 vcc, v96, v89
	s_and_saveexec_b64 s[0:1], vcc
	s_xor_b64 s[0:1], exec, s[0:1]
	s_cbranch_execz .LBB112_919
; %bb.914:
	v_cmp_eq_u32_e32 vcc, 43, v96
	s_and_saveexec_b64 s[18:19], vcc
	s_cbranch_execz .LBB112_918
; %bb.915:
	v_cmp_ne_u32_e32 vcc, 43, v89
	s_xor_b64 s[20:21], s[6:7], -1
	s_and_b64 s[22:23], s[20:21], vcc
	s_and_saveexec_b64 s[20:21], s[22:23]
	s_cbranch_execz .LBB112_917
; %bb.916:
	buffer_load_dword v81, off, s[24:27], 0 offset:464 ; 4-byte Folded Reload
	buffer_load_dword v82, off, s[24:27], 0 offset:468 ; 4-byte Folded Reload
	v_ashrrev_i32_e32 v90, 31, v89
	v_lshlrev_b64 v[90:91], 2, v[89:90]
	s_waitcnt vmcnt(1)
	v_add_co_u32_e32 v90, vcc, v81, v90
	s_waitcnt vmcnt(0)
	v_addc_co_u32_e32 v91, vcc, v82, v91, vcc
	global_load_dword v92, v[90:91], off
	global_load_dword v93, v[81:82], off offset:172
	s_waitcnt vmcnt(1)
	global_store_dword v[81:82], v92, off offset:172
	v_mov_b32_e32 v81, v105
	v_mov_b32_e32 v82, v106
	;; [unrolled: 1-line block ×4, first 2 shown]
	s_waitcnt vmcnt(1)
	global_store_dword v[90:91], v93, off
.LBB112_917:
	s_or_b64 exec, exec, s[20:21]
	v_mov_b32_e32 v96, v89
	v_mov_b32_e32 v127, v89
.LBB112_918:
	s_or_b64 exec, exec, s[18:19]
.LBB112_919:
	s_andn2_saveexec_b64 s[0:1], s[0:1]
	s_cbranch_execz .LBB112_921
; %bb.920:
	v_mov_b32_e32 v96, 43
	ds_write2_b64 v0, v[45:46], v[47:48] offset0:88 offset1:89
	ds_write2_b64 v0, v[41:42], v[43:44] offset0:90 offset1:91
	;; [unrolled: 1-line block ×13, first 2 shown]
.LBB112_921:
	s_or_b64 exec, exec, s[0:1]
	v_cmp_lt_i32_e32 vcc, 43, v96
	s_waitcnt vmcnt(0) lgkmcnt(0)
	s_barrier
	s_and_saveexec_b64 s[0:1], vcc
	s_cbranch_execz .LBB112_923
; %bb.922:
	v_mul_f64 v[89:90], v[117:118], v[51:52]
	v_mul_f64 v[51:52], v[119:120], v[51:52]
	ds_read2_b64 v[91:94], v0 offset0:88 offset1:89
	v_fma_f64 v[89:90], v[119:120], v[49:50], v[89:90]
	v_fma_f64 v[49:50], v[117:118], v[49:50], -v[51:52]
	s_waitcnt lgkmcnt(0)
	v_mul_f64 v[51:52], v[93:94], v[89:90]
	v_fma_f64 v[51:52], v[91:92], v[49:50], -v[51:52]
	v_mul_f64 v[91:92], v[91:92], v[89:90]
	v_add_f64 v[45:46], v[45:46], -v[51:52]
	v_fma_f64 v[91:92], v[93:94], v[49:50], v[91:92]
	v_add_f64 v[47:48], v[47:48], -v[91:92]
	ds_read2_b64 v[91:94], v0 offset0:90 offset1:91
	s_waitcnt lgkmcnt(0)
	v_mul_f64 v[51:52], v[93:94], v[89:90]
	v_fma_f64 v[51:52], v[91:92], v[49:50], -v[51:52]
	v_mul_f64 v[91:92], v[91:92], v[89:90]
	v_add_f64 v[41:42], v[41:42], -v[51:52]
	v_fma_f64 v[91:92], v[93:94], v[49:50], v[91:92]
	v_add_f64 v[43:44], v[43:44], -v[91:92]
	ds_read2_b64 v[91:94], v0 offset0:92 offset1:93
	;; [unrolled: 8-line block ×12, first 2 shown]
	s_waitcnt lgkmcnt(0)
	v_mul_f64 v[51:52], v[93:94], v[89:90]
	v_fma_f64 v[51:52], v[91:92], v[49:50], -v[51:52]
	v_mul_f64 v[91:92], v[91:92], v[89:90]
	v_add_f64 v[121:122], v[121:122], -v[51:52]
	v_fma_f64 v[91:92], v[93:94], v[49:50], v[91:92]
	v_mov_b32_e32 v51, v89
	v_mov_b32_e32 v52, v90
	v_add_f64 v[123:124], v[123:124], -v[91:92]
.LBB112_923:
	s_or_b64 exec, exec, s[0:1]
	v_lshl_add_u32 v89, v96, 4, v0
	s_barrier
	ds_write2_b64 v89, v[45:46], v[47:48] offset1:1
	s_waitcnt lgkmcnt(0)
	s_barrier
	ds_read2_b64 v[117:120], v0 offset0:88 offset1:89
	s_cmp_lt_i32 s3, 46
	v_mov_b32_e32 v89, 44
	s_cbranch_scc1 .LBB112_926
; %bb.924:
	v_add_u32_e32 v90, 0x2d0, v0
	s_mov_b32 s0, 45
	v_mov_b32_e32 v89, 44
.LBB112_925:                            ; =>This Inner Loop Header: Depth=1
	s_waitcnt lgkmcnt(0)
	v_cmp_gt_f64_e32 vcc, 0, v[117:118]
	v_xor_b32_e32 v97, 0x80000000, v118
	ds_read2_b64 v[91:94], v90 offset1:1
	v_xor_b32_e32 v99, 0x80000000, v120
	v_add_u32_e32 v90, 16, v90
	s_waitcnt lgkmcnt(0)
	v_xor_b32_e32 v101, 0x80000000, v94
	v_cndmask_b32_e32 v98, v118, v97, vcc
	v_cmp_gt_f64_e32 vcc, 0, v[119:120]
	v_mov_b32_e32 v97, v117
	v_cndmask_b32_e32 v100, v120, v99, vcc
	v_cmp_gt_f64_e32 vcc, 0, v[91:92]
	v_mov_b32_e32 v99, v119
	v_add_f64 v[97:98], v[97:98], v[99:100]
	v_xor_b32_e32 v99, 0x80000000, v92
	v_cndmask_b32_e32 v100, v92, v99, vcc
	v_cmp_gt_f64_e32 vcc, 0, v[93:94]
	v_mov_b32_e32 v99, v91
	v_cndmask_b32_e32 v102, v94, v101, vcc
	v_mov_b32_e32 v101, v93
	v_add_f64 v[99:100], v[99:100], v[101:102]
	v_cmp_lt_f64_e32 vcc, v[97:98], v[99:100]
	v_cndmask_b32_e32 v117, v117, v91, vcc
	v_mov_b32_e32 v91, s0
	s_add_i32 s0, s0, 1
	v_cndmask_b32_e32 v118, v118, v92, vcc
	v_cndmask_b32_e32 v120, v120, v94, vcc
	v_cndmask_b32_e32 v119, v119, v93, vcc
	v_cndmask_b32_e32 v89, v89, v91, vcc
	s_cmp_lg_u32 s3, s0
	s_cbranch_scc1 .LBB112_925
.LBB112_926:
	s_waitcnt lgkmcnt(0)
	v_cmp_eq_f64_e32 vcc, 0, v[117:118]
	v_cmp_eq_f64_e64 s[0:1], 0, v[119:120]
	s_and_b64 s[0:1], vcc, s[0:1]
	s_and_saveexec_b64 s[18:19], s[0:1]
	s_xor_b64 s[0:1], exec, s[18:19]
; %bb.927:
	v_cmp_ne_u32_e32 vcc, 0, v95
	v_cndmask_b32_e32 v95, 45, v95, vcc
; %bb.928:
	s_andn2_saveexec_b64 s[0:1], s[0:1]
	s_cbranch_execz .LBB112_934
; %bb.929:
	v_cmp_ngt_f64_e64 s[18:19], |v[117:118]|, |v[119:120]|
	s_and_saveexec_b64 s[20:21], s[18:19]
	s_xor_b64 s[18:19], exec, s[20:21]
	s_cbranch_execz .LBB112_931
; %bb.930:
	v_div_scale_f64 v[90:91], s[20:21], v[119:120], v[119:120], v[117:118]
	v_rcp_f64_e32 v[92:93], v[90:91]
	v_fma_f64 v[97:98], -v[90:91], v[92:93], 1.0
	v_fma_f64 v[92:93], v[92:93], v[97:98], v[92:93]
	v_div_scale_f64 v[97:98], vcc, v[117:118], v[119:120], v[117:118]
	v_fma_f64 v[99:100], -v[90:91], v[92:93], 1.0
	v_fma_f64 v[92:93], v[92:93], v[99:100], v[92:93]
	v_mul_f64 v[99:100], v[97:98], v[92:93]
	v_fma_f64 v[90:91], -v[90:91], v[99:100], v[97:98]
	v_div_fmas_f64 v[90:91], v[90:91], v[92:93], v[99:100]
	v_div_fixup_f64 v[90:91], v[90:91], v[119:120], v[117:118]
	v_fma_f64 v[92:93], v[117:118], v[90:91], v[119:120]
	v_div_scale_f64 v[97:98], s[20:21], v[92:93], v[92:93], 1.0
	v_div_scale_f64 v[103:104], vcc, 1.0, v[92:93], 1.0
	v_rcp_f64_e32 v[99:100], v[97:98]
	v_fma_f64 v[101:102], -v[97:98], v[99:100], 1.0
	v_fma_f64 v[99:100], v[99:100], v[101:102], v[99:100]
	v_fma_f64 v[101:102], -v[97:98], v[99:100], 1.0
	v_fma_f64 v[99:100], v[99:100], v[101:102], v[99:100]
	v_mul_f64 v[101:102], v[103:104], v[99:100]
	v_fma_f64 v[97:98], -v[97:98], v[101:102], v[103:104]
	v_div_fmas_f64 v[97:98], v[97:98], v[99:100], v[101:102]
	v_div_fixup_f64 v[119:120], v[97:98], v[92:93], 1.0
	v_mul_f64 v[117:118], v[90:91], v[119:120]
	v_xor_b32_e32 v120, 0x80000000, v120
.LBB112_931:
	s_andn2_saveexec_b64 s[18:19], s[18:19]
	s_cbranch_execz .LBB112_933
; %bb.932:
	v_div_scale_f64 v[90:91], s[20:21], v[117:118], v[117:118], v[119:120]
	v_rcp_f64_e32 v[92:93], v[90:91]
	v_fma_f64 v[97:98], -v[90:91], v[92:93], 1.0
	v_fma_f64 v[92:93], v[92:93], v[97:98], v[92:93]
	v_div_scale_f64 v[97:98], vcc, v[119:120], v[117:118], v[119:120]
	v_fma_f64 v[99:100], -v[90:91], v[92:93], 1.0
	v_fma_f64 v[92:93], v[92:93], v[99:100], v[92:93]
	v_mul_f64 v[99:100], v[97:98], v[92:93]
	v_fma_f64 v[90:91], -v[90:91], v[99:100], v[97:98]
	v_div_fmas_f64 v[90:91], v[90:91], v[92:93], v[99:100]
	v_div_fixup_f64 v[90:91], v[90:91], v[117:118], v[119:120]
	v_fma_f64 v[92:93], v[119:120], v[90:91], v[117:118]
	v_div_scale_f64 v[97:98], s[20:21], v[92:93], v[92:93], 1.0
	v_div_scale_f64 v[103:104], vcc, 1.0, v[92:93], 1.0
	v_rcp_f64_e32 v[99:100], v[97:98]
	v_fma_f64 v[101:102], -v[97:98], v[99:100], 1.0
	v_fma_f64 v[99:100], v[99:100], v[101:102], v[99:100]
	v_fma_f64 v[101:102], -v[97:98], v[99:100], 1.0
	v_fma_f64 v[99:100], v[99:100], v[101:102], v[99:100]
	v_mul_f64 v[101:102], v[103:104], v[99:100]
	v_fma_f64 v[97:98], -v[97:98], v[101:102], v[103:104]
	v_div_fmas_f64 v[97:98], v[97:98], v[99:100], v[101:102]
	v_div_fixup_f64 v[117:118], v[97:98], v[92:93], 1.0
	v_mul_f64 v[119:120], v[90:91], -v[117:118]
.LBB112_933:
	s_or_b64 exec, exec, s[18:19]
.LBB112_934:
	s_or_b64 exec, exec, s[0:1]
	v_cmp_ne_u32_e32 vcc, v96, v89
	s_and_saveexec_b64 s[0:1], vcc
	s_xor_b64 s[0:1], exec, s[0:1]
	s_cbranch_execz .LBB112_940
; %bb.935:
	v_cmp_eq_u32_e32 vcc, 44, v96
	s_and_saveexec_b64 s[18:19], vcc
	s_cbranch_execz .LBB112_939
; %bb.936:
	v_cmp_ne_u32_e32 vcc, 44, v89
	s_xor_b64 s[20:21], s[6:7], -1
	s_and_b64 s[22:23], s[20:21], vcc
	s_and_saveexec_b64 s[20:21], s[22:23]
	s_cbranch_execz .LBB112_938
; %bb.937:
	buffer_load_dword v81, off, s[24:27], 0 offset:464 ; 4-byte Folded Reload
	buffer_load_dword v82, off, s[24:27], 0 offset:468 ; 4-byte Folded Reload
	v_ashrrev_i32_e32 v90, 31, v89
	v_lshlrev_b64 v[90:91], 2, v[89:90]
	s_waitcnt vmcnt(1)
	v_add_co_u32_e32 v90, vcc, v81, v90
	s_waitcnt vmcnt(0)
	v_addc_co_u32_e32 v91, vcc, v82, v91, vcc
	global_load_dword v92, v[90:91], off
	global_load_dword v93, v[81:82], off offset:176
	s_waitcnt vmcnt(1)
	global_store_dword v[81:82], v92, off offset:176
	v_mov_b32_e32 v81, v105
	v_mov_b32_e32 v82, v106
	;; [unrolled: 1-line block ×4, first 2 shown]
	s_waitcnt vmcnt(1)
	global_store_dword v[90:91], v93, off
.LBB112_938:
	s_or_b64 exec, exec, s[20:21]
	v_mov_b32_e32 v96, v89
	v_mov_b32_e32 v127, v89
.LBB112_939:
	s_or_b64 exec, exec, s[18:19]
.LBB112_940:
	s_andn2_saveexec_b64 s[0:1], s[0:1]
	s_cbranch_execz .LBB112_942
; %bb.941:
	v_mov_b32_e32 v96, 44
	ds_write2_b64 v0, v[41:42], v[43:44] offset0:90 offset1:91
	ds_write2_b64 v0, v[37:38], v[39:40] offset0:92 offset1:93
	;; [unrolled: 1-line block ×12, first 2 shown]
.LBB112_942:
	s_or_b64 exec, exec, s[0:1]
	v_cmp_lt_i32_e32 vcc, 44, v96
	s_waitcnt vmcnt(0) lgkmcnt(0)
	s_barrier
	s_and_saveexec_b64 s[0:1], vcc
	s_cbranch_execz .LBB112_944
; %bb.943:
	v_mul_f64 v[89:90], v[117:118], v[47:48]
	v_mul_f64 v[47:48], v[119:120], v[47:48]
	ds_read2_b64 v[91:94], v0 offset0:90 offset1:91
	v_fma_f64 v[89:90], v[119:120], v[45:46], v[89:90]
	v_fma_f64 v[45:46], v[117:118], v[45:46], -v[47:48]
	s_waitcnt lgkmcnt(0)
	v_mul_f64 v[47:48], v[93:94], v[89:90]
	v_fma_f64 v[47:48], v[91:92], v[45:46], -v[47:48]
	v_mul_f64 v[91:92], v[91:92], v[89:90]
	v_add_f64 v[41:42], v[41:42], -v[47:48]
	v_fma_f64 v[91:92], v[93:94], v[45:46], v[91:92]
	v_add_f64 v[43:44], v[43:44], -v[91:92]
	ds_read2_b64 v[91:94], v0 offset0:92 offset1:93
	s_waitcnt lgkmcnt(0)
	v_mul_f64 v[47:48], v[93:94], v[89:90]
	v_fma_f64 v[47:48], v[91:92], v[45:46], -v[47:48]
	v_mul_f64 v[91:92], v[91:92], v[89:90]
	v_add_f64 v[37:38], v[37:38], -v[47:48]
	v_fma_f64 v[91:92], v[93:94], v[45:46], v[91:92]
	v_add_f64 v[39:40], v[39:40], -v[91:92]
	ds_read2_b64 v[91:94], v0 offset0:94 offset1:95
	;; [unrolled: 8-line block ×11, first 2 shown]
	s_waitcnt lgkmcnt(0)
	v_mul_f64 v[47:48], v[93:94], v[89:90]
	v_fma_f64 v[47:48], v[91:92], v[45:46], -v[47:48]
	v_mul_f64 v[91:92], v[91:92], v[89:90]
	v_add_f64 v[121:122], v[121:122], -v[47:48]
	v_fma_f64 v[91:92], v[93:94], v[45:46], v[91:92]
	v_mov_b32_e32 v47, v89
	v_mov_b32_e32 v48, v90
	v_add_f64 v[123:124], v[123:124], -v[91:92]
.LBB112_944:
	s_or_b64 exec, exec, s[0:1]
	v_lshl_add_u32 v89, v96, 4, v0
	s_barrier
	ds_write2_b64 v89, v[41:42], v[43:44] offset1:1
	s_waitcnt lgkmcnt(0)
	s_barrier
	ds_read2_b64 v[117:120], v0 offset0:90 offset1:91
	s_cmp_lt_i32 s3, 47
	v_mov_b32_e32 v89, 45
	s_cbranch_scc1 .LBB112_947
; %bb.945:
	v_add_u32_e32 v90, 0x2e0, v0
	s_mov_b32 s0, 46
	v_mov_b32_e32 v89, 45
.LBB112_946:                            ; =>This Inner Loop Header: Depth=1
	s_waitcnt lgkmcnt(0)
	v_cmp_gt_f64_e32 vcc, 0, v[117:118]
	v_xor_b32_e32 v97, 0x80000000, v118
	ds_read2_b64 v[91:94], v90 offset1:1
	v_xor_b32_e32 v99, 0x80000000, v120
	v_add_u32_e32 v90, 16, v90
	s_waitcnt lgkmcnt(0)
	v_xor_b32_e32 v101, 0x80000000, v94
	v_cndmask_b32_e32 v98, v118, v97, vcc
	v_cmp_gt_f64_e32 vcc, 0, v[119:120]
	v_mov_b32_e32 v97, v117
	v_cndmask_b32_e32 v100, v120, v99, vcc
	v_cmp_gt_f64_e32 vcc, 0, v[91:92]
	v_mov_b32_e32 v99, v119
	v_add_f64 v[97:98], v[97:98], v[99:100]
	v_xor_b32_e32 v99, 0x80000000, v92
	v_cndmask_b32_e32 v100, v92, v99, vcc
	v_cmp_gt_f64_e32 vcc, 0, v[93:94]
	v_mov_b32_e32 v99, v91
	v_cndmask_b32_e32 v102, v94, v101, vcc
	v_mov_b32_e32 v101, v93
	v_add_f64 v[99:100], v[99:100], v[101:102]
	v_cmp_lt_f64_e32 vcc, v[97:98], v[99:100]
	v_cndmask_b32_e32 v117, v117, v91, vcc
	v_mov_b32_e32 v91, s0
	s_add_i32 s0, s0, 1
	v_cndmask_b32_e32 v118, v118, v92, vcc
	v_cndmask_b32_e32 v120, v120, v94, vcc
	v_cndmask_b32_e32 v119, v119, v93, vcc
	v_cndmask_b32_e32 v89, v89, v91, vcc
	s_cmp_lg_u32 s3, s0
	s_cbranch_scc1 .LBB112_946
.LBB112_947:
	s_waitcnt lgkmcnt(0)
	v_cmp_eq_f64_e32 vcc, 0, v[117:118]
	v_cmp_eq_f64_e64 s[0:1], 0, v[119:120]
	s_and_b64 s[0:1], vcc, s[0:1]
	s_and_saveexec_b64 s[18:19], s[0:1]
	s_xor_b64 s[0:1], exec, s[18:19]
; %bb.948:
	v_cmp_ne_u32_e32 vcc, 0, v95
	v_cndmask_b32_e32 v95, 46, v95, vcc
; %bb.949:
	s_andn2_saveexec_b64 s[0:1], s[0:1]
	s_cbranch_execz .LBB112_955
; %bb.950:
	v_cmp_ngt_f64_e64 s[18:19], |v[117:118]|, |v[119:120]|
	s_and_saveexec_b64 s[20:21], s[18:19]
	s_xor_b64 s[18:19], exec, s[20:21]
	s_cbranch_execz .LBB112_952
; %bb.951:
	v_div_scale_f64 v[90:91], s[20:21], v[119:120], v[119:120], v[117:118]
	v_rcp_f64_e32 v[92:93], v[90:91]
	v_fma_f64 v[97:98], -v[90:91], v[92:93], 1.0
	v_fma_f64 v[92:93], v[92:93], v[97:98], v[92:93]
	v_div_scale_f64 v[97:98], vcc, v[117:118], v[119:120], v[117:118]
	v_fma_f64 v[99:100], -v[90:91], v[92:93], 1.0
	v_fma_f64 v[92:93], v[92:93], v[99:100], v[92:93]
	v_mul_f64 v[99:100], v[97:98], v[92:93]
	v_fma_f64 v[90:91], -v[90:91], v[99:100], v[97:98]
	v_div_fmas_f64 v[90:91], v[90:91], v[92:93], v[99:100]
	v_div_fixup_f64 v[90:91], v[90:91], v[119:120], v[117:118]
	v_fma_f64 v[92:93], v[117:118], v[90:91], v[119:120]
	v_div_scale_f64 v[97:98], s[20:21], v[92:93], v[92:93], 1.0
	v_div_scale_f64 v[103:104], vcc, 1.0, v[92:93], 1.0
	v_rcp_f64_e32 v[99:100], v[97:98]
	v_fma_f64 v[101:102], -v[97:98], v[99:100], 1.0
	v_fma_f64 v[99:100], v[99:100], v[101:102], v[99:100]
	v_fma_f64 v[101:102], -v[97:98], v[99:100], 1.0
	v_fma_f64 v[99:100], v[99:100], v[101:102], v[99:100]
	v_mul_f64 v[101:102], v[103:104], v[99:100]
	v_fma_f64 v[97:98], -v[97:98], v[101:102], v[103:104]
	v_div_fmas_f64 v[97:98], v[97:98], v[99:100], v[101:102]
	v_div_fixup_f64 v[119:120], v[97:98], v[92:93], 1.0
	v_mul_f64 v[117:118], v[90:91], v[119:120]
	v_xor_b32_e32 v120, 0x80000000, v120
.LBB112_952:
	s_andn2_saveexec_b64 s[18:19], s[18:19]
	s_cbranch_execz .LBB112_954
; %bb.953:
	v_div_scale_f64 v[90:91], s[20:21], v[117:118], v[117:118], v[119:120]
	v_rcp_f64_e32 v[92:93], v[90:91]
	v_fma_f64 v[97:98], -v[90:91], v[92:93], 1.0
	v_fma_f64 v[92:93], v[92:93], v[97:98], v[92:93]
	v_div_scale_f64 v[97:98], vcc, v[119:120], v[117:118], v[119:120]
	v_fma_f64 v[99:100], -v[90:91], v[92:93], 1.0
	v_fma_f64 v[92:93], v[92:93], v[99:100], v[92:93]
	v_mul_f64 v[99:100], v[97:98], v[92:93]
	v_fma_f64 v[90:91], -v[90:91], v[99:100], v[97:98]
	v_div_fmas_f64 v[90:91], v[90:91], v[92:93], v[99:100]
	v_div_fixup_f64 v[90:91], v[90:91], v[117:118], v[119:120]
	v_fma_f64 v[92:93], v[119:120], v[90:91], v[117:118]
	v_div_scale_f64 v[97:98], s[20:21], v[92:93], v[92:93], 1.0
	v_div_scale_f64 v[103:104], vcc, 1.0, v[92:93], 1.0
	v_rcp_f64_e32 v[99:100], v[97:98]
	v_fma_f64 v[101:102], -v[97:98], v[99:100], 1.0
	v_fma_f64 v[99:100], v[99:100], v[101:102], v[99:100]
	v_fma_f64 v[101:102], -v[97:98], v[99:100], 1.0
	v_fma_f64 v[99:100], v[99:100], v[101:102], v[99:100]
	v_mul_f64 v[101:102], v[103:104], v[99:100]
	v_fma_f64 v[97:98], -v[97:98], v[101:102], v[103:104]
	v_div_fmas_f64 v[97:98], v[97:98], v[99:100], v[101:102]
	v_div_fixup_f64 v[117:118], v[97:98], v[92:93], 1.0
	v_mul_f64 v[119:120], v[90:91], -v[117:118]
.LBB112_954:
	s_or_b64 exec, exec, s[18:19]
.LBB112_955:
	s_or_b64 exec, exec, s[0:1]
	v_cmp_ne_u32_e32 vcc, v96, v89
	s_and_saveexec_b64 s[0:1], vcc
	s_xor_b64 s[0:1], exec, s[0:1]
	s_cbranch_execz .LBB112_961
; %bb.956:
	v_cmp_eq_u32_e32 vcc, 45, v96
	s_and_saveexec_b64 s[18:19], vcc
	s_cbranch_execz .LBB112_960
; %bb.957:
	v_cmp_ne_u32_e32 vcc, 45, v89
	s_xor_b64 s[20:21], s[6:7], -1
	s_and_b64 s[22:23], s[20:21], vcc
	s_and_saveexec_b64 s[20:21], s[22:23]
	s_cbranch_execz .LBB112_959
; %bb.958:
	buffer_load_dword v81, off, s[24:27], 0 offset:464 ; 4-byte Folded Reload
	buffer_load_dword v82, off, s[24:27], 0 offset:468 ; 4-byte Folded Reload
	v_ashrrev_i32_e32 v90, 31, v89
	v_lshlrev_b64 v[90:91], 2, v[89:90]
	s_waitcnt vmcnt(1)
	v_add_co_u32_e32 v90, vcc, v81, v90
	s_waitcnt vmcnt(0)
	v_addc_co_u32_e32 v91, vcc, v82, v91, vcc
	global_load_dword v92, v[90:91], off
	global_load_dword v93, v[81:82], off offset:180
	s_waitcnt vmcnt(1)
	global_store_dword v[81:82], v92, off offset:180
	v_mov_b32_e32 v81, v105
	v_mov_b32_e32 v82, v106
	;; [unrolled: 1-line block ×4, first 2 shown]
	s_waitcnt vmcnt(1)
	global_store_dword v[90:91], v93, off
.LBB112_959:
	s_or_b64 exec, exec, s[20:21]
	v_mov_b32_e32 v96, v89
	v_mov_b32_e32 v127, v89
.LBB112_960:
	s_or_b64 exec, exec, s[18:19]
.LBB112_961:
	s_andn2_saveexec_b64 s[0:1], s[0:1]
	s_cbranch_execz .LBB112_963
; %bb.962:
	v_mov_b32_e32 v96, 45
	ds_write2_b64 v0, v[37:38], v[39:40] offset0:92 offset1:93
	ds_write2_b64 v0, v[33:34], v[35:36] offset0:94 offset1:95
	;; [unrolled: 1-line block ×11, first 2 shown]
.LBB112_963:
	s_or_b64 exec, exec, s[0:1]
	v_cmp_lt_i32_e32 vcc, 45, v96
	s_waitcnt vmcnt(0) lgkmcnt(0)
	s_barrier
	s_and_saveexec_b64 s[0:1], vcc
	s_cbranch_execz .LBB112_965
; %bb.964:
	v_mul_f64 v[89:90], v[117:118], v[43:44]
	v_mul_f64 v[43:44], v[119:120], v[43:44]
	ds_read2_b64 v[91:94], v0 offset0:92 offset1:93
	v_fma_f64 v[89:90], v[119:120], v[41:42], v[89:90]
	v_fma_f64 v[41:42], v[117:118], v[41:42], -v[43:44]
	s_waitcnt lgkmcnt(0)
	v_mul_f64 v[43:44], v[93:94], v[89:90]
	v_fma_f64 v[43:44], v[91:92], v[41:42], -v[43:44]
	v_mul_f64 v[91:92], v[91:92], v[89:90]
	v_add_f64 v[37:38], v[37:38], -v[43:44]
	v_fma_f64 v[91:92], v[93:94], v[41:42], v[91:92]
	v_add_f64 v[39:40], v[39:40], -v[91:92]
	ds_read2_b64 v[91:94], v0 offset0:94 offset1:95
	s_waitcnt lgkmcnt(0)
	v_mul_f64 v[43:44], v[93:94], v[89:90]
	v_fma_f64 v[43:44], v[91:92], v[41:42], -v[43:44]
	v_mul_f64 v[91:92], v[91:92], v[89:90]
	v_add_f64 v[33:34], v[33:34], -v[43:44]
	v_fma_f64 v[91:92], v[93:94], v[41:42], v[91:92]
	v_add_f64 v[35:36], v[35:36], -v[91:92]
	ds_read2_b64 v[91:94], v0 offset0:96 offset1:97
	;; [unrolled: 8-line block ×10, first 2 shown]
	s_waitcnt lgkmcnt(0)
	v_mul_f64 v[43:44], v[93:94], v[89:90]
	v_fma_f64 v[43:44], v[91:92], v[41:42], -v[43:44]
	v_mul_f64 v[91:92], v[91:92], v[89:90]
	v_add_f64 v[121:122], v[121:122], -v[43:44]
	v_fma_f64 v[91:92], v[93:94], v[41:42], v[91:92]
	v_mov_b32_e32 v43, v89
	v_mov_b32_e32 v44, v90
	v_add_f64 v[123:124], v[123:124], -v[91:92]
.LBB112_965:
	s_or_b64 exec, exec, s[0:1]
	v_lshl_add_u32 v89, v96, 4, v0
	s_barrier
	ds_write2_b64 v89, v[37:38], v[39:40] offset1:1
	s_waitcnt lgkmcnt(0)
	s_barrier
	ds_read2_b64 v[117:120], v0 offset0:92 offset1:93
	s_cmp_lt_i32 s3, 48
	v_mov_b32_e32 v89, 46
	s_cbranch_scc1 .LBB112_968
; %bb.966:
	v_add_u32_e32 v90, 0x2f0, v0
	s_mov_b32 s0, 47
	v_mov_b32_e32 v89, 46
.LBB112_967:                            ; =>This Inner Loop Header: Depth=1
	s_waitcnt lgkmcnt(0)
	v_cmp_gt_f64_e32 vcc, 0, v[117:118]
	v_xor_b32_e32 v97, 0x80000000, v118
	ds_read2_b64 v[91:94], v90 offset1:1
	v_xor_b32_e32 v99, 0x80000000, v120
	v_add_u32_e32 v90, 16, v90
	s_waitcnt lgkmcnt(0)
	v_xor_b32_e32 v101, 0x80000000, v94
	v_cndmask_b32_e32 v98, v118, v97, vcc
	v_cmp_gt_f64_e32 vcc, 0, v[119:120]
	v_mov_b32_e32 v97, v117
	v_cndmask_b32_e32 v100, v120, v99, vcc
	v_cmp_gt_f64_e32 vcc, 0, v[91:92]
	v_mov_b32_e32 v99, v119
	v_add_f64 v[97:98], v[97:98], v[99:100]
	v_xor_b32_e32 v99, 0x80000000, v92
	v_cndmask_b32_e32 v100, v92, v99, vcc
	v_cmp_gt_f64_e32 vcc, 0, v[93:94]
	v_mov_b32_e32 v99, v91
	v_cndmask_b32_e32 v102, v94, v101, vcc
	v_mov_b32_e32 v101, v93
	v_add_f64 v[99:100], v[99:100], v[101:102]
	v_cmp_lt_f64_e32 vcc, v[97:98], v[99:100]
	v_cndmask_b32_e32 v117, v117, v91, vcc
	v_mov_b32_e32 v91, s0
	s_add_i32 s0, s0, 1
	v_cndmask_b32_e32 v118, v118, v92, vcc
	v_cndmask_b32_e32 v120, v120, v94, vcc
	;; [unrolled: 1-line block ×4, first 2 shown]
	s_cmp_lg_u32 s3, s0
	s_cbranch_scc1 .LBB112_967
.LBB112_968:
	s_waitcnt lgkmcnt(0)
	v_cmp_eq_f64_e32 vcc, 0, v[117:118]
	v_cmp_eq_f64_e64 s[0:1], 0, v[119:120]
	s_and_b64 s[0:1], vcc, s[0:1]
	s_and_saveexec_b64 s[18:19], s[0:1]
	s_xor_b64 s[0:1], exec, s[18:19]
; %bb.969:
	v_cmp_ne_u32_e32 vcc, 0, v95
	v_cndmask_b32_e32 v95, 47, v95, vcc
; %bb.970:
	s_andn2_saveexec_b64 s[0:1], s[0:1]
	s_cbranch_execz .LBB112_976
; %bb.971:
	v_cmp_ngt_f64_e64 s[18:19], |v[117:118]|, |v[119:120]|
	s_and_saveexec_b64 s[20:21], s[18:19]
	s_xor_b64 s[18:19], exec, s[20:21]
	s_cbranch_execz .LBB112_973
; %bb.972:
	v_div_scale_f64 v[90:91], s[20:21], v[119:120], v[119:120], v[117:118]
	v_rcp_f64_e32 v[92:93], v[90:91]
	v_fma_f64 v[97:98], -v[90:91], v[92:93], 1.0
	v_fma_f64 v[92:93], v[92:93], v[97:98], v[92:93]
	v_div_scale_f64 v[97:98], vcc, v[117:118], v[119:120], v[117:118]
	v_fma_f64 v[99:100], -v[90:91], v[92:93], 1.0
	v_fma_f64 v[92:93], v[92:93], v[99:100], v[92:93]
	v_mul_f64 v[99:100], v[97:98], v[92:93]
	v_fma_f64 v[90:91], -v[90:91], v[99:100], v[97:98]
	v_div_fmas_f64 v[90:91], v[90:91], v[92:93], v[99:100]
	v_div_fixup_f64 v[90:91], v[90:91], v[119:120], v[117:118]
	v_fma_f64 v[92:93], v[117:118], v[90:91], v[119:120]
	v_div_scale_f64 v[97:98], s[20:21], v[92:93], v[92:93], 1.0
	v_div_scale_f64 v[103:104], vcc, 1.0, v[92:93], 1.0
	v_rcp_f64_e32 v[99:100], v[97:98]
	v_fma_f64 v[101:102], -v[97:98], v[99:100], 1.0
	v_fma_f64 v[99:100], v[99:100], v[101:102], v[99:100]
	v_fma_f64 v[101:102], -v[97:98], v[99:100], 1.0
	v_fma_f64 v[99:100], v[99:100], v[101:102], v[99:100]
	v_mul_f64 v[101:102], v[103:104], v[99:100]
	v_fma_f64 v[97:98], -v[97:98], v[101:102], v[103:104]
	v_div_fmas_f64 v[97:98], v[97:98], v[99:100], v[101:102]
	v_div_fixup_f64 v[119:120], v[97:98], v[92:93], 1.0
	v_mul_f64 v[117:118], v[90:91], v[119:120]
	v_xor_b32_e32 v120, 0x80000000, v120
.LBB112_973:
	s_andn2_saveexec_b64 s[18:19], s[18:19]
	s_cbranch_execz .LBB112_975
; %bb.974:
	v_div_scale_f64 v[90:91], s[20:21], v[117:118], v[117:118], v[119:120]
	v_rcp_f64_e32 v[92:93], v[90:91]
	v_fma_f64 v[97:98], -v[90:91], v[92:93], 1.0
	v_fma_f64 v[92:93], v[92:93], v[97:98], v[92:93]
	v_div_scale_f64 v[97:98], vcc, v[119:120], v[117:118], v[119:120]
	v_fma_f64 v[99:100], -v[90:91], v[92:93], 1.0
	v_fma_f64 v[92:93], v[92:93], v[99:100], v[92:93]
	v_mul_f64 v[99:100], v[97:98], v[92:93]
	v_fma_f64 v[90:91], -v[90:91], v[99:100], v[97:98]
	v_div_fmas_f64 v[90:91], v[90:91], v[92:93], v[99:100]
	v_div_fixup_f64 v[90:91], v[90:91], v[117:118], v[119:120]
	v_fma_f64 v[92:93], v[119:120], v[90:91], v[117:118]
	v_div_scale_f64 v[97:98], s[20:21], v[92:93], v[92:93], 1.0
	v_div_scale_f64 v[103:104], vcc, 1.0, v[92:93], 1.0
	v_rcp_f64_e32 v[99:100], v[97:98]
	v_fma_f64 v[101:102], -v[97:98], v[99:100], 1.0
	v_fma_f64 v[99:100], v[99:100], v[101:102], v[99:100]
	v_fma_f64 v[101:102], -v[97:98], v[99:100], 1.0
	v_fma_f64 v[99:100], v[99:100], v[101:102], v[99:100]
	v_mul_f64 v[101:102], v[103:104], v[99:100]
	v_fma_f64 v[97:98], -v[97:98], v[101:102], v[103:104]
	v_div_fmas_f64 v[97:98], v[97:98], v[99:100], v[101:102]
	v_div_fixup_f64 v[117:118], v[97:98], v[92:93], 1.0
	v_mul_f64 v[119:120], v[90:91], -v[117:118]
.LBB112_975:
	s_or_b64 exec, exec, s[18:19]
.LBB112_976:
	s_or_b64 exec, exec, s[0:1]
	v_cmp_ne_u32_e32 vcc, v96, v89
	s_and_saveexec_b64 s[0:1], vcc
	s_xor_b64 s[0:1], exec, s[0:1]
	s_cbranch_execz .LBB112_982
; %bb.977:
	v_cmp_eq_u32_e32 vcc, 46, v96
	s_and_saveexec_b64 s[18:19], vcc
	s_cbranch_execz .LBB112_981
; %bb.978:
	v_cmp_ne_u32_e32 vcc, 46, v89
	s_xor_b64 s[20:21], s[6:7], -1
	s_and_b64 s[22:23], s[20:21], vcc
	s_and_saveexec_b64 s[20:21], s[22:23]
	s_cbranch_execz .LBB112_980
; %bb.979:
	buffer_load_dword v81, off, s[24:27], 0 offset:464 ; 4-byte Folded Reload
	buffer_load_dword v82, off, s[24:27], 0 offset:468 ; 4-byte Folded Reload
	v_ashrrev_i32_e32 v90, 31, v89
	v_lshlrev_b64 v[90:91], 2, v[89:90]
	s_waitcnt vmcnt(1)
	v_add_co_u32_e32 v90, vcc, v81, v90
	s_waitcnt vmcnt(0)
	v_addc_co_u32_e32 v91, vcc, v82, v91, vcc
	global_load_dword v92, v[90:91], off
	global_load_dword v93, v[81:82], off offset:184
	s_waitcnt vmcnt(1)
	global_store_dword v[81:82], v92, off offset:184
	v_mov_b32_e32 v81, v105
	v_mov_b32_e32 v82, v106
	;; [unrolled: 1-line block ×4, first 2 shown]
	s_waitcnt vmcnt(1)
	global_store_dword v[90:91], v93, off
.LBB112_980:
	s_or_b64 exec, exec, s[20:21]
	v_mov_b32_e32 v96, v89
	v_mov_b32_e32 v127, v89
.LBB112_981:
	s_or_b64 exec, exec, s[18:19]
.LBB112_982:
	s_andn2_saveexec_b64 s[0:1], s[0:1]
	s_cbranch_execz .LBB112_984
; %bb.983:
	v_mov_b32_e32 v96, 46
	ds_write2_b64 v0, v[33:34], v[35:36] offset0:94 offset1:95
	ds_write2_b64 v0, v[29:30], v[31:32] offset0:96 offset1:97
	;; [unrolled: 1-line block ×10, first 2 shown]
.LBB112_984:
	s_or_b64 exec, exec, s[0:1]
	v_cmp_lt_i32_e32 vcc, 46, v96
	s_waitcnt vmcnt(0) lgkmcnt(0)
	s_barrier
	s_and_saveexec_b64 s[0:1], vcc
	s_cbranch_execz .LBB112_986
; %bb.985:
	v_mul_f64 v[89:90], v[117:118], v[39:40]
	v_mul_f64 v[39:40], v[119:120], v[39:40]
	ds_read2_b64 v[91:94], v0 offset0:94 offset1:95
	v_fma_f64 v[89:90], v[119:120], v[37:38], v[89:90]
	v_fma_f64 v[37:38], v[117:118], v[37:38], -v[39:40]
	s_waitcnt lgkmcnt(0)
	v_mul_f64 v[39:40], v[93:94], v[89:90]
	v_fma_f64 v[39:40], v[91:92], v[37:38], -v[39:40]
	v_mul_f64 v[91:92], v[91:92], v[89:90]
	v_add_f64 v[33:34], v[33:34], -v[39:40]
	v_fma_f64 v[91:92], v[93:94], v[37:38], v[91:92]
	v_add_f64 v[35:36], v[35:36], -v[91:92]
	ds_read2_b64 v[91:94], v0 offset0:96 offset1:97
	s_waitcnt lgkmcnt(0)
	v_mul_f64 v[39:40], v[93:94], v[89:90]
	v_fma_f64 v[39:40], v[91:92], v[37:38], -v[39:40]
	v_mul_f64 v[91:92], v[91:92], v[89:90]
	v_add_f64 v[29:30], v[29:30], -v[39:40]
	v_fma_f64 v[91:92], v[93:94], v[37:38], v[91:92]
	v_add_f64 v[31:32], v[31:32], -v[91:92]
	ds_read2_b64 v[91:94], v0 offset0:98 offset1:99
	;; [unrolled: 8-line block ×9, first 2 shown]
	s_waitcnt lgkmcnt(0)
	v_mul_f64 v[39:40], v[93:94], v[89:90]
	v_fma_f64 v[39:40], v[91:92], v[37:38], -v[39:40]
	v_mul_f64 v[91:92], v[91:92], v[89:90]
	v_add_f64 v[121:122], v[121:122], -v[39:40]
	v_fma_f64 v[91:92], v[93:94], v[37:38], v[91:92]
	v_mov_b32_e32 v39, v89
	v_mov_b32_e32 v40, v90
	v_add_f64 v[123:124], v[123:124], -v[91:92]
.LBB112_986:
	s_or_b64 exec, exec, s[0:1]
	v_lshl_add_u32 v89, v96, 4, v0
	s_barrier
	ds_write2_b64 v89, v[33:34], v[35:36] offset1:1
	s_waitcnt lgkmcnt(0)
	s_barrier
	ds_read2_b64 v[117:120], v0 offset0:94 offset1:95
	s_cmp_lt_i32 s3, 49
	v_mov_b32_e32 v89, 47
	s_cbranch_scc1 .LBB112_989
; %bb.987:
	v_add_u32_e32 v90, 0x300, v0
	s_mov_b32 s0, 48
	v_mov_b32_e32 v89, 47
.LBB112_988:                            ; =>This Inner Loop Header: Depth=1
	s_waitcnt lgkmcnt(0)
	v_cmp_gt_f64_e32 vcc, 0, v[117:118]
	v_xor_b32_e32 v97, 0x80000000, v118
	ds_read2_b64 v[91:94], v90 offset1:1
	v_xor_b32_e32 v99, 0x80000000, v120
	v_add_u32_e32 v90, 16, v90
	s_waitcnt lgkmcnt(0)
	v_xor_b32_e32 v101, 0x80000000, v94
	v_cndmask_b32_e32 v98, v118, v97, vcc
	v_cmp_gt_f64_e32 vcc, 0, v[119:120]
	v_mov_b32_e32 v97, v117
	v_cndmask_b32_e32 v100, v120, v99, vcc
	v_cmp_gt_f64_e32 vcc, 0, v[91:92]
	v_mov_b32_e32 v99, v119
	v_add_f64 v[97:98], v[97:98], v[99:100]
	v_xor_b32_e32 v99, 0x80000000, v92
	v_cndmask_b32_e32 v100, v92, v99, vcc
	v_cmp_gt_f64_e32 vcc, 0, v[93:94]
	v_mov_b32_e32 v99, v91
	v_cndmask_b32_e32 v102, v94, v101, vcc
	v_mov_b32_e32 v101, v93
	v_add_f64 v[99:100], v[99:100], v[101:102]
	v_cmp_lt_f64_e32 vcc, v[97:98], v[99:100]
	v_cndmask_b32_e32 v117, v117, v91, vcc
	v_mov_b32_e32 v91, s0
	s_add_i32 s0, s0, 1
	v_cndmask_b32_e32 v118, v118, v92, vcc
	v_cndmask_b32_e32 v120, v120, v94, vcc
	;; [unrolled: 1-line block ×4, first 2 shown]
	s_cmp_lg_u32 s3, s0
	s_cbranch_scc1 .LBB112_988
.LBB112_989:
	s_waitcnt lgkmcnt(0)
	v_cmp_eq_f64_e32 vcc, 0, v[117:118]
	v_cmp_eq_f64_e64 s[0:1], 0, v[119:120]
	s_and_b64 s[0:1], vcc, s[0:1]
	s_and_saveexec_b64 s[18:19], s[0:1]
	s_xor_b64 s[0:1], exec, s[18:19]
; %bb.990:
	v_cmp_ne_u32_e32 vcc, 0, v95
	v_cndmask_b32_e32 v95, 48, v95, vcc
; %bb.991:
	s_andn2_saveexec_b64 s[0:1], s[0:1]
	s_cbranch_execz .LBB112_997
; %bb.992:
	v_cmp_ngt_f64_e64 s[18:19], |v[117:118]|, |v[119:120]|
	s_and_saveexec_b64 s[20:21], s[18:19]
	s_xor_b64 s[18:19], exec, s[20:21]
	s_cbranch_execz .LBB112_994
; %bb.993:
	v_div_scale_f64 v[90:91], s[20:21], v[119:120], v[119:120], v[117:118]
	v_rcp_f64_e32 v[92:93], v[90:91]
	v_fma_f64 v[97:98], -v[90:91], v[92:93], 1.0
	v_fma_f64 v[92:93], v[92:93], v[97:98], v[92:93]
	v_div_scale_f64 v[97:98], vcc, v[117:118], v[119:120], v[117:118]
	v_fma_f64 v[99:100], -v[90:91], v[92:93], 1.0
	v_fma_f64 v[92:93], v[92:93], v[99:100], v[92:93]
	v_mul_f64 v[99:100], v[97:98], v[92:93]
	v_fma_f64 v[90:91], -v[90:91], v[99:100], v[97:98]
	v_div_fmas_f64 v[90:91], v[90:91], v[92:93], v[99:100]
	v_div_fixup_f64 v[90:91], v[90:91], v[119:120], v[117:118]
	v_fma_f64 v[92:93], v[117:118], v[90:91], v[119:120]
	v_div_scale_f64 v[97:98], s[20:21], v[92:93], v[92:93], 1.0
	v_div_scale_f64 v[103:104], vcc, 1.0, v[92:93], 1.0
	v_rcp_f64_e32 v[99:100], v[97:98]
	v_fma_f64 v[101:102], -v[97:98], v[99:100], 1.0
	v_fma_f64 v[99:100], v[99:100], v[101:102], v[99:100]
	v_fma_f64 v[101:102], -v[97:98], v[99:100], 1.0
	v_fma_f64 v[99:100], v[99:100], v[101:102], v[99:100]
	v_mul_f64 v[101:102], v[103:104], v[99:100]
	v_fma_f64 v[97:98], -v[97:98], v[101:102], v[103:104]
	v_div_fmas_f64 v[97:98], v[97:98], v[99:100], v[101:102]
	v_div_fixup_f64 v[119:120], v[97:98], v[92:93], 1.0
	v_mul_f64 v[117:118], v[90:91], v[119:120]
	v_xor_b32_e32 v120, 0x80000000, v120
.LBB112_994:
	s_andn2_saveexec_b64 s[18:19], s[18:19]
	s_cbranch_execz .LBB112_996
; %bb.995:
	v_div_scale_f64 v[90:91], s[20:21], v[117:118], v[117:118], v[119:120]
	v_rcp_f64_e32 v[92:93], v[90:91]
	v_fma_f64 v[97:98], -v[90:91], v[92:93], 1.0
	v_fma_f64 v[92:93], v[92:93], v[97:98], v[92:93]
	v_div_scale_f64 v[97:98], vcc, v[119:120], v[117:118], v[119:120]
	v_fma_f64 v[99:100], -v[90:91], v[92:93], 1.0
	v_fma_f64 v[92:93], v[92:93], v[99:100], v[92:93]
	v_mul_f64 v[99:100], v[97:98], v[92:93]
	v_fma_f64 v[90:91], -v[90:91], v[99:100], v[97:98]
	v_div_fmas_f64 v[90:91], v[90:91], v[92:93], v[99:100]
	v_div_fixup_f64 v[90:91], v[90:91], v[117:118], v[119:120]
	v_fma_f64 v[92:93], v[119:120], v[90:91], v[117:118]
	v_div_scale_f64 v[97:98], s[20:21], v[92:93], v[92:93], 1.0
	v_div_scale_f64 v[103:104], vcc, 1.0, v[92:93], 1.0
	v_rcp_f64_e32 v[99:100], v[97:98]
	v_fma_f64 v[101:102], -v[97:98], v[99:100], 1.0
	v_fma_f64 v[99:100], v[99:100], v[101:102], v[99:100]
	v_fma_f64 v[101:102], -v[97:98], v[99:100], 1.0
	v_fma_f64 v[99:100], v[99:100], v[101:102], v[99:100]
	v_mul_f64 v[101:102], v[103:104], v[99:100]
	v_fma_f64 v[97:98], -v[97:98], v[101:102], v[103:104]
	v_div_fmas_f64 v[97:98], v[97:98], v[99:100], v[101:102]
	v_div_fixup_f64 v[117:118], v[97:98], v[92:93], 1.0
	v_mul_f64 v[119:120], v[90:91], -v[117:118]
.LBB112_996:
	s_or_b64 exec, exec, s[18:19]
.LBB112_997:
	s_or_b64 exec, exec, s[0:1]
	v_cmp_ne_u32_e32 vcc, v96, v89
	s_and_saveexec_b64 s[0:1], vcc
	s_xor_b64 s[0:1], exec, s[0:1]
	s_cbranch_execz .LBB112_1003
; %bb.998:
	v_cmp_eq_u32_e32 vcc, 47, v96
	s_and_saveexec_b64 s[18:19], vcc
	s_cbranch_execz .LBB112_1002
; %bb.999:
	v_cmp_ne_u32_e32 vcc, 47, v89
	s_xor_b64 s[20:21], s[6:7], -1
	s_and_b64 s[22:23], s[20:21], vcc
	s_and_saveexec_b64 s[20:21], s[22:23]
	s_cbranch_execz .LBB112_1001
; %bb.1000:
	buffer_load_dword v81, off, s[24:27], 0 offset:464 ; 4-byte Folded Reload
	buffer_load_dword v82, off, s[24:27], 0 offset:468 ; 4-byte Folded Reload
	v_ashrrev_i32_e32 v90, 31, v89
	v_lshlrev_b64 v[90:91], 2, v[89:90]
	s_waitcnt vmcnt(1)
	v_add_co_u32_e32 v90, vcc, v81, v90
	s_waitcnt vmcnt(0)
	v_addc_co_u32_e32 v91, vcc, v82, v91, vcc
	global_load_dword v92, v[90:91], off
	global_load_dword v93, v[81:82], off offset:188
	s_waitcnt vmcnt(1)
	global_store_dword v[81:82], v92, off offset:188
	v_mov_b32_e32 v81, v105
	v_mov_b32_e32 v82, v106
	;; [unrolled: 1-line block ×4, first 2 shown]
	s_waitcnt vmcnt(1)
	global_store_dword v[90:91], v93, off
.LBB112_1001:
	s_or_b64 exec, exec, s[20:21]
	v_mov_b32_e32 v96, v89
	v_mov_b32_e32 v127, v89
.LBB112_1002:
	s_or_b64 exec, exec, s[18:19]
.LBB112_1003:
	s_andn2_saveexec_b64 s[0:1], s[0:1]
	s_cbranch_execz .LBB112_1005
; %bb.1004:
	v_mov_b32_e32 v96, 47
	ds_write2_b64 v0, v[29:30], v[31:32] offset0:96 offset1:97
	ds_write2_b64 v0, v[25:26], v[27:28] offset0:98 offset1:99
	;; [unrolled: 1-line block ×9, first 2 shown]
.LBB112_1005:
	s_or_b64 exec, exec, s[0:1]
	v_cmp_lt_i32_e32 vcc, 47, v96
	s_waitcnt vmcnt(0) lgkmcnt(0)
	s_barrier
	s_and_saveexec_b64 s[0:1], vcc
	s_cbranch_execz .LBB112_1007
; %bb.1006:
	v_mul_f64 v[89:90], v[117:118], v[35:36]
	v_mul_f64 v[35:36], v[119:120], v[35:36]
	ds_read2_b64 v[91:94], v0 offset0:96 offset1:97
	v_fma_f64 v[89:90], v[119:120], v[33:34], v[89:90]
	v_fma_f64 v[33:34], v[117:118], v[33:34], -v[35:36]
	s_waitcnt lgkmcnt(0)
	v_mul_f64 v[35:36], v[93:94], v[89:90]
	v_fma_f64 v[35:36], v[91:92], v[33:34], -v[35:36]
	v_mul_f64 v[91:92], v[91:92], v[89:90]
	v_add_f64 v[29:30], v[29:30], -v[35:36]
	v_fma_f64 v[91:92], v[93:94], v[33:34], v[91:92]
	v_add_f64 v[31:32], v[31:32], -v[91:92]
	ds_read2_b64 v[91:94], v0 offset0:98 offset1:99
	s_waitcnt lgkmcnt(0)
	v_mul_f64 v[35:36], v[93:94], v[89:90]
	v_fma_f64 v[35:36], v[91:92], v[33:34], -v[35:36]
	v_mul_f64 v[91:92], v[91:92], v[89:90]
	v_add_f64 v[25:26], v[25:26], -v[35:36]
	v_fma_f64 v[91:92], v[93:94], v[33:34], v[91:92]
	v_add_f64 v[27:28], v[27:28], -v[91:92]
	ds_read2_b64 v[91:94], v0 offset0:100 offset1:101
	;; [unrolled: 8-line block ×8, first 2 shown]
	s_waitcnt lgkmcnt(0)
	v_mul_f64 v[35:36], v[93:94], v[89:90]
	v_fma_f64 v[35:36], v[91:92], v[33:34], -v[35:36]
	v_mul_f64 v[91:92], v[91:92], v[89:90]
	v_add_f64 v[121:122], v[121:122], -v[35:36]
	v_fma_f64 v[91:92], v[93:94], v[33:34], v[91:92]
	v_mov_b32_e32 v35, v89
	v_mov_b32_e32 v36, v90
	v_add_f64 v[123:124], v[123:124], -v[91:92]
.LBB112_1007:
	s_or_b64 exec, exec, s[0:1]
	v_lshl_add_u32 v89, v96, 4, v0
	s_barrier
	ds_write2_b64 v89, v[29:30], v[31:32] offset1:1
	s_waitcnt lgkmcnt(0)
	s_barrier
	ds_read2_b64 v[117:120], v0 offset0:96 offset1:97
	s_cmp_lt_i32 s3, 50
	v_mov_b32_e32 v89, 48
	s_cbranch_scc1 .LBB112_1010
; %bb.1008:
	v_add_u32_e32 v90, 0x310, v0
	s_mov_b32 s0, 49
	v_mov_b32_e32 v89, 48
.LBB112_1009:                           ; =>This Inner Loop Header: Depth=1
	s_waitcnt lgkmcnt(0)
	v_cmp_gt_f64_e32 vcc, 0, v[117:118]
	v_xor_b32_e32 v97, 0x80000000, v118
	ds_read2_b64 v[91:94], v90 offset1:1
	v_xor_b32_e32 v99, 0x80000000, v120
	v_add_u32_e32 v90, 16, v90
	s_waitcnt lgkmcnt(0)
	v_xor_b32_e32 v101, 0x80000000, v94
	v_cndmask_b32_e32 v98, v118, v97, vcc
	v_cmp_gt_f64_e32 vcc, 0, v[119:120]
	v_mov_b32_e32 v97, v117
	v_cndmask_b32_e32 v100, v120, v99, vcc
	v_cmp_gt_f64_e32 vcc, 0, v[91:92]
	v_mov_b32_e32 v99, v119
	v_add_f64 v[97:98], v[97:98], v[99:100]
	v_xor_b32_e32 v99, 0x80000000, v92
	v_cndmask_b32_e32 v100, v92, v99, vcc
	v_cmp_gt_f64_e32 vcc, 0, v[93:94]
	v_mov_b32_e32 v99, v91
	v_cndmask_b32_e32 v102, v94, v101, vcc
	v_mov_b32_e32 v101, v93
	v_add_f64 v[99:100], v[99:100], v[101:102]
	v_cmp_lt_f64_e32 vcc, v[97:98], v[99:100]
	v_cndmask_b32_e32 v117, v117, v91, vcc
	v_mov_b32_e32 v91, s0
	s_add_i32 s0, s0, 1
	v_cndmask_b32_e32 v118, v118, v92, vcc
	v_cndmask_b32_e32 v120, v120, v94, vcc
	;; [unrolled: 1-line block ×4, first 2 shown]
	s_cmp_lg_u32 s3, s0
	s_cbranch_scc1 .LBB112_1009
.LBB112_1010:
	s_waitcnt lgkmcnt(0)
	v_cmp_eq_f64_e32 vcc, 0, v[117:118]
	v_cmp_eq_f64_e64 s[0:1], 0, v[119:120]
	s_and_b64 s[0:1], vcc, s[0:1]
	s_and_saveexec_b64 s[18:19], s[0:1]
	s_xor_b64 s[0:1], exec, s[18:19]
; %bb.1011:
	v_cmp_ne_u32_e32 vcc, 0, v95
	v_cndmask_b32_e32 v95, 49, v95, vcc
; %bb.1012:
	s_andn2_saveexec_b64 s[0:1], s[0:1]
	s_cbranch_execz .LBB112_1018
; %bb.1013:
	v_cmp_ngt_f64_e64 s[18:19], |v[117:118]|, |v[119:120]|
	s_and_saveexec_b64 s[20:21], s[18:19]
	s_xor_b64 s[18:19], exec, s[20:21]
	s_cbranch_execz .LBB112_1015
; %bb.1014:
	v_div_scale_f64 v[90:91], s[20:21], v[119:120], v[119:120], v[117:118]
	v_rcp_f64_e32 v[92:93], v[90:91]
	v_fma_f64 v[97:98], -v[90:91], v[92:93], 1.0
	v_fma_f64 v[92:93], v[92:93], v[97:98], v[92:93]
	v_div_scale_f64 v[97:98], vcc, v[117:118], v[119:120], v[117:118]
	v_fma_f64 v[99:100], -v[90:91], v[92:93], 1.0
	v_fma_f64 v[92:93], v[92:93], v[99:100], v[92:93]
	v_mul_f64 v[99:100], v[97:98], v[92:93]
	v_fma_f64 v[90:91], -v[90:91], v[99:100], v[97:98]
	v_div_fmas_f64 v[90:91], v[90:91], v[92:93], v[99:100]
	v_div_fixup_f64 v[90:91], v[90:91], v[119:120], v[117:118]
	v_fma_f64 v[92:93], v[117:118], v[90:91], v[119:120]
	v_div_scale_f64 v[97:98], s[20:21], v[92:93], v[92:93], 1.0
	v_div_scale_f64 v[103:104], vcc, 1.0, v[92:93], 1.0
	v_rcp_f64_e32 v[99:100], v[97:98]
	v_fma_f64 v[101:102], -v[97:98], v[99:100], 1.0
	v_fma_f64 v[99:100], v[99:100], v[101:102], v[99:100]
	v_fma_f64 v[101:102], -v[97:98], v[99:100], 1.0
	v_fma_f64 v[99:100], v[99:100], v[101:102], v[99:100]
	v_mul_f64 v[101:102], v[103:104], v[99:100]
	v_fma_f64 v[97:98], -v[97:98], v[101:102], v[103:104]
	v_div_fmas_f64 v[97:98], v[97:98], v[99:100], v[101:102]
	v_div_fixup_f64 v[119:120], v[97:98], v[92:93], 1.0
	v_mul_f64 v[117:118], v[90:91], v[119:120]
	v_xor_b32_e32 v120, 0x80000000, v120
.LBB112_1015:
	s_andn2_saveexec_b64 s[18:19], s[18:19]
	s_cbranch_execz .LBB112_1017
; %bb.1016:
	v_div_scale_f64 v[90:91], s[20:21], v[117:118], v[117:118], v[119:120]
	v_rcp_f64_e32 v[92:93], v[90:91]
	v_fma_f64 v[97:98], -v[90:91], v[92:93], 1.0
	v_fma_f64 v[92:93], v[92:93], v[97:98], v[92:93]
	v_div_scale_f64 v[97:98], vcc, v[119:120], v[117:118], v[119:120]
	v_fma_f64 v[99:100], -v[90:91], v[92:93], 1.0
	v_fma_f64 v[92:93], v[92:93], v[99:100], v[92:93]
	v_mul_f64 v[99:100], v[97:98], v[92:93]
	v_fma_f64 v[90:91], -v[90:91], v[99:100], v[97:98]
	v_div_fmas_f64 v[90:91], v[90:91], v[92:93], v[99:100]
	v_div_fixup_f64 v[90:91], v[90:91], v[117:118], v[119:120]
	v_fma_f64 v[92:93], v[119:120], v[90:91], v[117:118]
	v_div_scale_f64 v[97:98], s[20:21], v[92:93], v[92:93], 1.0
	v_div_scale_f64 v[103:104], vcc, 1.0, v[92:93], 1.0
	v_rcp_f64_e32 v[99:100], v[97:98]
	v_fma_f64 v[101:102], -v[97:98], v[99:100], 1.0
	v_fma_f64 v[99:100], v[99:100], v[101:102], v[99:100]
	v_fma_f64 v[101:102], -v[97:98], v[99:100], 1.0
	v_fma_f64 v[99:100], v[99:100], v[101:102], v[99:100]
	v_mul_f64 v[101:102], v[103:104], v[99:100]
	v_fma_f64 v[97:98], -v[97:98], v[101:102], v[103:104]
	v_div_fmas_f64 v[97:98], v[97:98], v[99:100], v[101:102]
	v_div_fixup_f64 v[117:118], v[97:98], v[92:93], 1.0
	v_mul_f64 v[119:120], v[90:91], -v[117:118]
.LBB112_1017:
	s_or_b64 exec, exec, s[18:19]
.LBB112_1018:
	s_or_b64 exec, exec, s[0:1]
	v_cmp_ne_u32_e32 vcc, v96, v89
	s_and_saveexec_b64 s[0:1], vcc
	s_xor_b64 s[0:1], exec, s[0:1]
	s_cbranch_execz .LBB112_1024
; %bb.1019:
	v_cmp_eq_u32_e32 vcc, 48, v96
	s_and_saveexec_b64 s[18:19], vcc
	s_cbranch_execz .LBB112_1023
; %bb.1020:
	v_cmp_ne_u32_e32 vcc, 48, v89
	s_xor_b64 s[20:21], s[6:7], -1
	s_and_b64 s[22:23], s[20:21], vcc
	s_and_saveexec_b64 s[20:21], s[22:23]
	s_cbranch_execz .LBB112_1022
; %bb.1021:
	buffer_load_dword v81, off, s[24:27], 0 offset:464 ; 4-byte Folded Reload
	buffer_load_dword v82, off, s[24:27], 0 offset:468 ; 4-byte Folded Reload
	v_ashrrev_i32_e32 v90, 31, v89
	v_lshlrev_b64 v[90:91], 2, v[89:90]
	s_waitcnt vmcnt(1)
	v_add_co_u32_e32 v90, vcc, v81, v90
	s_waitcnt vmcnt(0)
	v_addc_co_u32_e32 v91, vcc, v82, v91, vcc
	global_load_dword v92, v[90:91], off
	global_load_dword v93, v[81:82], off offset:192
	s_waitcnt vmcnt(1)
	global_store_dword v[81:82], v92, off offset:192
	v_mov_b32_e32 v81, v105
	v_mov_b32_e32 v82, v106
	;; [unrolled: 1-line block ×4, first 2 shown]
	s_waitcnt vmcnt(1)
	global_store_dword v[90:91], v93, off
.LBB112_1022:
	s_or_b64 exec, exec, s[20:21]
	v_mov_b32_e32 v96, v89
	v_mov_b32_e32 v127, v89
.LBB112_1023:
	s_or_b64 exec, exec, s[18:19]
.LBB112_1024:
	s_andn2_saveexec_b64 s[0:1], s[0:1]
	s_cbranch_execz .LBB112_1026
; %bb.1025:
	v_mov_b32_e32 v96, 48
	ds_write2_b64 v0, v[25:26], v[27:28] offset0:98 offset1:99
	ds_write2_b64 v0, v[21:22], v[23:24] offset0:100 offset1:101
	;; [unrolled: 1-line block ×8, first 2 shown]
.LBB112_1026:
	s_or_b64 exec, exec, s[0:1]
	v_cmp_lt_i32_e32 vcc, 48, v96
	s_waitcnt vmcnt(0) lgkmcnt(0)
	s_barrier
	s_and_saveexec_b64 s[0:1], vcc
	s_cbranch_execz .LBB112_1028
; %bb.1027:
	v_mul_f64 v[89:90], v[117:118], v[31:32]
	v_mul_f64 v[31:32], v[119:120], v[31:32]
	ds_read2_b64 v[91:94], v0 offset0:98 offset1:99
	v_fma_f64 v[89:90], v[119:120], v[29:30], v[89:90]
	v_fma_f64 v[29:30], v[117:118], v[29:30], -v[31:32]
	s_waitcnt lgkmcnt(0)
	v_mul_f64 v[31:32], v[93:94], v[89:90]
	v_fma_f64 v[31:32], v[91:92], v[29:30], -v[31:32]
	v_mul_f64 v[91:92], v[91:92], v[89:90]
	v_add_f64 v[25:26], v[25:26], -v[31:32]
	v_fma_f64 v[91:92], v[93:94], v[29:30], v[91:92]
	v_add_f64 v[27:28], v[27:28], -v[91:92]
	ds_read2_b64 v[91:94], v0 offset0:100 offset1:101
	s_waitcnt lgkmcnt(0)
	v_mul_f64 v[31:32], v[93:94], v[89:90]
	v_fma_f64 v[31:32], v[91:92], v[29:30], -v[31:32]
	v_mul_f64 v[91:92], v[91:92], v[89:90]
	v_add_f64 v[21:22], v[21:22], -v[31:32]
	v_fma_f64 v[91:92], v[93:94], v[29:30], v[91:92]
	v_add_f64 v[23:24], v[23:24], -v[91:92]
	ds_read2_b64 v[91:94], v0 offset0:102 offset1:103
	;; [unrolled: 8-line block ×7, first 2 shown]
	s_waitcnt lgkmcnt(0)
	v_mul_f64 v[31:32], v[93:94], v[89:90]
	v_fma_f64 v[31:32], v[91:92], v[29:30], -v[31:32]
	v_mul_f64 v[91:92], v[91:92], v[89:90]
	v_add_f64 v[121:122], v[121:122], -v[31:32]
	v_fma_f64 v[91:92], v[93:94], v[29:30], v[91:92]
	v_mov_b32_e32 v31, v89
	v_mov_b32_e32 v32, v90
	v_add_f64 v[123:124], v[123:124], -v[91:92]
.LBB112_1028:
	s_or_b64 exec, exec, s[0:1]
	v_lshl_add_u32 v89, v96, 4, v0
	s_barrier
	ds_write2_b64 v89, v[25:26], v[27:28] offset1:1
	s_waitcnt lgkmcnt(0)
	s_barrier
	ds_read2_b64 v[117:120], v0 offset0:98 offset1:99
	s_cmp_lt_i32 s3, 51
	v_mov_b32_e32 v89, 49
	s_cbranch_scc1 .LBB112_1031
; %bb.1029:
	v_add_u32_e32 v90, 0x320, v0
	s_mov_b32 s0, 50
	v_mov_b32_e32 v89, 49
.LBB112_1030:                           ; =>This Inner Loop Header: Depth=1
	s_waitcnt lgkmcnt(0)
	v_cmp_gt_f64_e32 vcc, 0, v[117:118]
	v_xor_b32_e32 v97, 0x80000000, v118
	ds_read2_b64 v[91:94], v90 offset1:1
	v_xor_b32_e32 v99, 0x80000000, v120
	v_add_u32_e32 v90, 16, v90
	s_waitcnt lgkmcnt(0)
	v_xor_b32_e32 v101, 0x80000000, v94
	v_cndmask_b32_e32 v98, v118, v97, vcc
	v_cmp_gt_f64_e32 vcc, 0, v[119:120]
	v_mov_b32_e32 v97, v117
	v_cndmask_b32_e32 v100, v120, v99, vcc
	v_cmp_gt_f64_e32 vcc, 0, v[91:92]
	v_mov_b32_e32 v99, v119
	v_add_f64 v[97:98], v[97:98], v[99:100]
	v_xor_b32_e32 v99, 0x80000000, v92
	v_cndmask_b32_e32 v100, v92, v99, vcc
	v_cmp_gt_f64_e32 vcc, 0, v[93:94]
	v_mov_b32_e32 v99, v91
	v_cndmask_b32_e32 v102, v94, v101, vcc
	v_mov_b32_e32 v101, v93
	v_add_f64 v[99:100], v[99:100], v[101:102]
	v_cmp_lt_f64_e32 vcc, v[97:98], v[99:100]
	v_cndmask_b32_e32 v117, v117, v91, vcc
	v_mov_b32_e32 v91, s0
	s_add_i32 s0, s0, 1
	v_cndmask_b32_e32 v118, v118, v92, vcc
	v_cndmask_b32_e32 v120, v120, v94, vcc
	;; [unrolled: 1-line block ×4, first 2 shown]
	s_cmp_lg_u32 s3, s0
	s_cbranch_scc1 .LBB112_1030
.LBB112_1031:
	s_waitcnt lgkmcnt(0)
	v_cmp_eq_f64_e32 vcc, 0, v[117:118]
	v_cmp_eq_f64_e64 s[0:1], 0, v[119:120]
	s_and_b64 s[0:1], vcc, s[0:1]
	s_and_saveexec_b64 s[18:19], s[0:1]
	s_xor_b64 s[0:1], exec, s[18:19]
; %bb.1032:
	v_cmp_ne_u32_e32 vcc, 0, v95
	v_cndmask_b32_e32 v95, 50, v95, vcc
; %bb.1033:
	s_andn2_saveexec_b64 s[0:1], s[0:1]
	s_cbranch_execz .LBB112_1039
; %bb.1034:
	v_cmp_ngt_f64_e64 s[18:19], |v[117:118]|, |v[119:120]|
	s_and_saveexec_b64 s[20:21], s[18:19]
	s_xor_b64 s[18:19], exec, s[20:21]
	s_cbranch_execz .LBB112_1036
; %bb.1035:
	v_div_scale_f64 v[90:91], s[20:21], v[119:120], v[119:120], v[117:118]
	v_rcp_f64_e32 v[92:93], v[90:91]
	v_fma_f64 v[97:98], -v[90:91], v[92:93], 1.0
	v_fma_f64 v[92:93], v[92:93], v[97:98], v[92:93]
	v_div_scale_f64 v[97:98], vcc, v[117:118], v[119:120], v[117:118]
	v_fma_f64 v[99:100], -v[90:91], v[92:93], 1.0
	v_fma_f64 v[92:93], v[92:93], v[99:100], v[92:93]
	v_mul_f64 v[99:100], v[97:98], v[92:93]
	v_fma_f64 v[90:91], -v[90:91], v[99:100], v[97:98]
	v_div_fmas_f64 v[90:91], v[90:91], v[92:93], v[99:100]
	v_div_fixup_f64 v[90:91], v[90:91], v[119:120], v[117:118]
	v_fma_f64 v[92:93], v[117:118], v[90:91], v[119:120]
	v_div_scale_f64 v[97:98], s[20:21], v[92:93], v[92:93], 1.0
	v_div_scale_f64 v[103:104], vcc, 1.0, v[92:93], 1.0
	v_rcp_f64_e32 v[99:100], v[97:98]
	v_fma_f64 v[101:102], -v[97:98], v[99:100], 1.0
	v_fma_f64 v[99:100], v[99:100], v[101:102], v[99:100]
	v_fma_f64 v[101:102], -v[97:98], v[99:100], 1.0
	v_fma_f64 v[99:100], v[99:100], v[101:102], v[99:100]
	v_mul_f64 v[101:102], v[103:104], v[99:100]
	v_fma_f64 v[97:98], -v[97:98], v[101:102], v[103:104]
	v_div_fmas_f64 v[97:98], v[97:98], v[99:100], v[101:102]
	v_div_fixup_f64 v[119:120], v[97:98], v[92:93], 1.0
	v_mul_f64 v[117:118], v[90:91], v[119:120]
	v_xor_b32_e32 v120, 0x80000000, v120
.LBB112_1036:
	s_andn2_saveexec_b64 s[18:19], s[18:19]
	s_cbranch_execz .LBB112_1038
; %bb.1037:
	v_div_scale_f64 v[90:91], s[20:21], v[117:118], v[117:118], v[119:120]
	v_rcp_f64_e32 v[92:93], v[90:91]
	v_fma_f64 v[97:98], -v[90:91], v[92:93], 1.0
	v_fma_f64 v[92:93], v[92:93], v[97:98], v[92:93]
	v_div_scale_f64 v[97:98], vcc, v[119:120], v[117:118], v[119:120]
	v_fma_f64 v[99:100], -v[90:91], v[92:93], 1.0
	v_fma_f64 v[92:93], v[92:93], v[99:100], v[92:93]
	v_mul_f64 v[99:100], v[97:98], v[92:93]
	v_fma_f64 v[90:91], -v[90:91], v[99:100], v[97:98]
	v_div_fmas_f64 v[90:91], v[90:91], v[92:93], v[99:100]
	v_div_fixup_f64 v[90:91], v[90:91], v[117:118], v[119:120]
	v_fma_f64 v[92:93], v[119:120], v[90:91], v[117:118]
	v_div_scale_f64 v[97:98], s[20:21], v[92:93], v[92:93], 1.0
	v_div_scale_f64 v[103:104], vcc, 1.0, v[92:93], 1.0
	v_rcp_f64_e32 v[99:100], v[97:98]
	v_fma_f64 v[101:102], -v[97:98], v[99:100], 1.0
	v_fma_f64 v[99:100], v[99:100], v[101:102], v[99:100]
	v_fma_f64 v[101:102], -v[97:98], v[99:100], 1.0
	v_fma_f64 v[99:100], v[99:100], v[101:102], v[99:100]
	v_mul_f64 v[101:102], v[103:104], v[99:100]
	v_fma_f64 v[97:98], -v[97:98], v[101:102], v[103:104]
	v_div_fmas_f64 v[97:98], v[97:98], v[99:100], v[101:102]
	v_div_fixup_f64 v[117:118], v[97:98], v[92:93], 1.0
	v_mul_f64 v[119:120], v[90:91], -v[117:118]
.LBB112_1038:
	s_or_b64 exec, exec, s[18:19]
.LBB112_1039:
	s_or_b64 exec, exec, s[0:1]
	v_cmp_ne_u32_e32 vcc, v96, v89
	s_and_saveexec_b64 s[0:1], vcc
	s_xor_b64 s[0:1], exec, s[0:1]
	s_cbranch_execz .LBB112_1045
; %bb.1040:
	v_cmp_eq_u32_e32 vcc, 49, v96
	s_and_saveexec_b64 s[18:19], vcc
	s_cbranch_execz .LBB112_1044
; %bb.1041:
	v_cmp_ne_u32_e32 vcc, 49, v89
	s_xor_b64 s[20:21], s[6:7], -1
	s_and_b64 s[22:23], s[20:21], vcc
	s_and_saveexec_b64 s[20:21], s[22:23]
	s_cbranch_execz .LBB112_1043
; %bb.1042:
	buffer_load_dword v81, off, s[24:27], 0 offset:464 ; 4-byte Folded Reload
	buffer_load_dword v82, off, s[24:27], 0 offset:468 ; 4-byte Folded Reload
	v_ashrrev_i32_e32 v90, 31, v89
	v_lshlrev_b64 v[90:91], 2, v[89:90]
	s_waitcnt vmcnt(1)
	v_add_co_u32_e32 v90, vcc, v81, v90
	s_waitcnt vmcnt(0)
	v_addc_co_u32_e32 v91, vcc, v82, v91, vcc
	global_load_dword v92, v[90:91], off
	global_load_dword v93, v[81:82], off offset:196
	s_waitcnt vmcnt(1)
	global_store_dword v[81:82], v92, off offset:196
	v_mov_b32_e32 v81, v105
	v_mov_b32_e32 v82, v106
	;; [unrolled: 1-line block ×4, first 2 shown]
	s_waitcnt vmcnt(1)
	global_store_dword v[90:91], v93, off
.LBB112_1043:
	s_or_b64 exec, exec, s[20:21]
	v_mov_b32_e32 v96, v89
	v_mov_b32_e32 v127, v89
.LBB112_1044:
	s_or_b64 exec, exec, s[18:19]
.LBB112_1045:
	s_andn2_saveexec_b64 s[0:1], s[0:1]
	s_cbranch_execz .LBB112_1047
; %bb.1046:
	v_mov_b32_e32 v96, 49
	ds_write2_b64 v0, v[21:22], v[23:24] offset0:100 offset1:101
	ds_write2_b64 v0, v[17:18], v[19:20] offset0:102 offset1:103
	;; [unrolled: 1-line block ×7, first 2 shown]
.LBB112_1047:
	s_or_b64 exec, exec, s[0:1]
	v_cmp_lt_i32_e32 vcc, 49, v96
	s_waitcnt vmcnt(0) lgkmcnt(0)
	s_barrier
	s_and_saveexec_b64 s[0:1], vcc
	s_cbranch_execz .LBB112_1049
; %bb.1048:
	v_mul_f64 v[89:90], v[117:118], v[27:28]
	v_mul_f64 v[27:28], v[119:120], v[27:28]
	ds_read2_b64 v[91:94], v0 offset0:100 offset1:101
	v_fma_f64 v[89:90], v[119:120], v[25:26], v[89:90]
	v_fma_f64 v[25:26], v[117:118], v[25:26], -v[27:28]
	s_waitcnt lgkmcnt(0)
	v_mul_f64 v[27:28], v[93:94], v[89:90]
	v_fma_f64 v[27:28], v[91:92], v[25:26], -v[27:28]
	v_mul_f64 v[91:92], v[91:92], v[89:90]
	v_add_f64 v[21:22], v[21:22], -v[27:28]
	v_fma_f64 v[91:92], v[93:94], v[25:26], v[91:92]
	v_add_f64 v[23:24], v[23:24], -v[91:92]
	ds_read2_b64 v[91:94], v0 offset0:102 offset1:103
	s_waitcnt lgkmcnt(0)
	v_mul_f64 v[27:28], v[93:94], v[89:90]
	v_fma_f64 v[27:28], v[91:92], v[25:26], -v[27:28]
	v_mul_f64 v[91:92], v[91:92], v[89:90]
	v_add_f64 v[17:18], v[17:18], -v[27:28]
	v_fma_f64 v[91:92], v[93:94], v[25:26], v[91:92]
	v_add_f64 v[19:20], v[19:20], -v[91:92]
	ds_read2_b64 v[91:94], v0 offset0:104 offset1:105
	;; [unrolled: 8-line block ×6, first 2 shown]
	s_waitcnt lgkmcnt(0)
	v_mul_f64 v[27:28], v[93:94], v[89:90]
	v_fma_f64 v[27:28], v[91:92], v[25:26], -v[27:28]
	v_mul_f64 v[91:92], v[91:92], v[89:90]
	v_add_f64 v[121:122], v[121:122], -v[27:28]
	v_fma_f64 v[91:92], v[93:94], v[25:26], v[91:92]
	v_mov_b32_e32 v27, v89
	v_mov_b32_e32 v28, v90
	v_add_f64 v[123:124], v[123:124], -v[91:92]
.LBB112_1049:
	s_or_b64 exec, exec, s[0:1]
	v_lshl_add_u32 v89, v96, 4, v0
	s_barrier
	ds_write2_b64 v89, v[21:22], v[23:24] offset1:1
	s_waitcnt lgkmcnt(0)
	s_barrier
	ds_read2_b64 v[117:120], v0 offset0:100 offset1:101
	s_cmp_lt_i32 s3, 52
	v_mov_b32_e32 v89, 50
	s_cbranch_scc1 .LBB112_1052
; %bb.1050:
	v_add_u32_e32 v90, 0x330, v0
	s_mov_b32 s0, 51
	v_mov_b32_e32 v89, 50
.LBB112_1051:                           ; =>This Inner Loop Header: Depth=1
	s_waitcnt lgkmcnt(0)
	v_cmp_gt_f64_e32 vcc, 0, v[117:118]
	v_xor_b32_e32 v97, 0x80000000, v118
	ds_read2_b64 v[91:94], v90 offset1:1
	v_xor_b32_e32 v99, 0x80000000, v120
	v_add_u32_e32 v90, 16, v90
	s_waitcnt lgkmcnt(0)
	v_xor_b32_e32 v101, 0x80000000, v94
	v_cndmask_b32_e32 v98, v118, v97, vcc
	v_cmp_gt_f64_e32 vcc, 0, v[119:120]
	v_mov_b32_e32 v97, v117
	v_cndmask_b32_e32 v100, v120, v99, vcc
	v_cmp_gt_f64_e32 vcc, 0, v[91:92]
	v_mov_b32_e32 v99, v119
	v_add_f64 v[97:98], v[97:98], v[99:100]
	v_xor_b32_e32 v99, 0x80000000, v92
	v_cndmask_b32_e32 v100, v92, v99, vcc
	v_cmp_gt_f64_e32 vcc, 0, v[93:94]
	v_mov_b32_e32 v99, v91
	v_cndmask_b32_e32 v102, v94, v101, vcc
	v_mov_b32_e32 v101, v93
	v_add_f64 v[99:100], v[99:100], v[101:102]
	v_cmp_lt_f64_e32 vcc, v[97:98], v[99:100]
	v_cndmask_b32_e32 v117, v117, v91, vcc
	v_mov_b32_e32 v91, s0
	s_add_i32 s0, s0, 1
	v_cndmask_b32_e32 v118, v118, v92, vcc
	v_cndmask_b32_e32 v120, v120, v94, vcc
	;; [unrolled: 1-line block ×4, first 2 shown]
	s_cmp_lg_u32 s3, s0
	s_cbranch_scc1 .LBB112_1051
.LBB112_1052:
	s_waitcnt lgkmcnt(0)
	v_cmp_eq_f64_e32 vcc, 0, v[117:118]
	v_cmp_eq_f64_e64 s[0:1], 0, v[119:120]
	s_and_b64 s[0:1], vcc, s[0:1]
	s_and_saveexec_b64 s[18:19], s[0:1]
	s_xor_b64 s[0:1], exec, s[18:19]
; %bb.1053:
	v_cmp_ne_u32_e32 vcc, 0, v95
	v_cndmask_b32_e32 v95, 51, v95, vcc
; %bb.1054:
	s_andn2_saveexec_b64 s[0:1], s[0:1]
	s_cbranch_execz .LBB112_1060
; %bb.1055:
	v_cmp_ngt_f64_e64 s[18:19], |v[117:118]|, |v[119:120]|
	s_and_saveexec_b64 s[20:21], s[18:19]
	s_xor_b64 s[18:19], exec, s[20:21]
	s_cbranch_execz .LBB112_1057
; %bb.1056:
	v_div_scale_f64 v[90:91], s[20:21], v[119:120], v[119:120], v[117:118]
	v_rcp_f64_e32 v[92:93], v[90:91]
	v_fma_f64 v[97:98], -v[90:91], v[92:93], 1.0
	v_fma_f64 v[92:93], v[92:93], v[97:98], v[92:93]
	v_div_scale_f64 v[97:98], vcc, v[117:118], v[119:120], v[117:118]
	v_fma_f64 v[99:100], -v[90:91], v[92:93], 1.0
	v_fma_f64 v[92:93], v[92:93], v[99:100], v[92:93]
	v_mul_f64 v[99:100], v[97:98], v[92:93]
	v_fma_f64 v[90:91], -v[90:91], v[99:100], v[97:98]
	v_div_fmas_f64 v[90:91], v[90:91], v[92:93], v[99:100]
	v_div_fixup_f64 v[90:91], v[90:91], v[119:120], v[117:118]
	v_fma_f64 v[92:93], v[117:118], v[90:91], v[119:120]
	v_div_scale_f64 v[97:98], s[20:21], v[92:93], v[92:93], 1.0
	v_div_scale_f64 v[103:104], vcc, 1.0, v[92:93], 1.0
	v_rcp_f64_e32 v[99:100], v[97:98]
	v_fma_f64 v[101:102], -v[97:98], v[99:100], 1.0
	v_fma_f64 v[99:100], v[99:100], v[101:102], v[99:100]
	v_fma_f64 v[101:102], -v[97:98], v[99:100], 1.0
	v_fma_f64 v[99:100], v[99:100], v[101:102], v[99:100]
	v_mul_f64 v[101:102], v[103:104], v[99:100]
	v_fma_f64 v[97:98], -v[97:98], v[101:102], v[103:104]
	v_div_fmas_f64 v[97:98], v[97:98], v[99:100], v[101:102]
	v_div_fixup_f64 v[119:120], v[97:98], v[92:93], 1.0
	v_mul_f64 v[117:118], v[90:91], v[119:120]
	v_xor_b32_e32 v120, 0x80000000, v120
.LBB112_1057:
	s_andn2_saveexec_b64 s[18:19], s[18:19]
	s_cbranch_execz .LBB112_1059
; %bb.1058:
	v_div_scale_f64 v[90:91], s[20:21], v[117:118], v[117:118], v[119:120]
	v_rcp_f64_e32 v[92:93], v[90:91]
	v_fma_f64 v[97:98], -v[90:91], v[92:93], 1.0
	v_fma_f64 v[92:93], v[92:93], v[97:98], v[92:93]
	v_div_scale_f64 v[97:98], vcc, v[119:120], v[117:118], v[119:120]
	v_fma_f64 v[99:100], -v[90:91], v[92:93], 1.0
	v_fma_f64 v[92:93], v[92:93], v[99:100], v[92:93]
	v_mul_f64 v[99:100], v[97:98], v[92:93]
	v_fma_f64 v[90:91], -v[90:91], v[99:100], v[97:98]
	v_div_fmas_f64 v[90:91], v[90:91], v[92:93], v[99:100]
	v_div_fixup_f64 v[90:91], v[90:91], v[117:118], v[119:120]
	v_fma_f64 v[92:93], v[119:120], v[90:91], v[117:118]
	v_div_scale_f64 v[97:98], s[20:21], v[92:93], v[92:93], 1.0
	v_div_scale_f64 v[103:104], vcc, 1.0, v[92:93], 1.0
	v_rcp_f64_e32 v[99:100], v[97:98]
	v_fma_f64 v[101:102], -v[97:98], v[99:100], 1.0
	v_fma_f64 v[99:100], v[99:100], v[101:102], v[99:100]
	v_fma_f64 v[101:102], -v[97:98], v[99:100], 1.0
	v_fma_f64 v[99:100], v[99:100], v[101:102], v[99:100]
	v_mul_f64 v[101:102], v[103:104], v[99:100]
	v_fma_f64 v[97:98], -v[97:98], v[101:102], v[103:104]
	v_div_fmas_f64 v[97:98], v[97:98], v[99:100], v[101:102]
	v_div_fixup_f64 v[117:118], v[97:98], v[92:93], 1.0
	v_mul_f64 v[119:120], v[90:91], -v[117:118]
.LBB112_1059:
	s_or_b64 exec, exec, s[18:19]
.LBB112_1060:
	s_or_b64 exec, exec, s[0:1]
	v_cmp_ne_u32_e32 vcc, v96, v89
	s_and_saveexec_b64 s[0:1], vcc
	s_xor_b64 s[0:1], exec, s[0:1]
	s_cbranch_execz .LBB112_1066
; %bb.1061:
	v_cmp_eq_u32_e32 vcc, 50, v96
	s_and_saveexec_b64 s[18:19], vcc
	s_cbranch_execz .LBB112_1065
; %bb.1062:
	v_cmp_ne_u32_e32 vcc, 50, v89
	s_xor_b64 s[20:21], s[6:7], -1
	s_and_b64 s[22:23], s[20:21], vcc
	s_and_saveexec_b64 s[20:21], s[22:23]
	s_cbranch_execz .LBB112_1064
; %bb.1063:
	buffer_load_dword v81, off, s[24:27], 0 offset:464 ; 4-byte Folded Reload
	buffer_load_dword v82, off, s[24:27], 0 offset:468 ; 4-byte Folded Reload
	v_ashrrev_i32_e32 v90, 31, v89
	v_lshlrev_b64 v[90:91], 2, v[89:90]
	s_waitcnt vmcnt(1)
	v_add_co_u32_e32 v90, vcc, v81, v90
	s_waitcnt vmcnt(0)
	v_addc_co_u32_e32 v91, vcc, v82, v91, vcc
	global_load_dword v92, v[90:91], off
	global_load_dword v93, v[81:82], off offset:200
	s_waitcnt vmcnt(1)
	global_store_dword v[81:82], v92, off offset:200
	v_mov_b32_e32 v81, v105
	v_mov_b32_e32 v82, v106
	;; [unrolled: 1-line block ×4, first 2 shown]
	s_waitcnt vmcnt(1)
	global_store_dword v[90:91], v93, off
.LBB112_1064:
	s_or_b64 exec, exec, s[20:21]
	v_mov_b32_e32 v96, v89
	v_mov_b32_e32 v127, v89
.LBB112_1065:
	s_or_b64 exec, exec, s[18:19]
.LBB112_1066:
	s_andn2_saveexec_b64 s[0:1], s[0:1]
	s_cbranch_execz .LBB112_1068
; %bb.1067:
	v_mov_b32_e32 v96, 50
	ds_write2_b64 v0, v[17:18], v[19:20] offset0:102 offset1:103
	ds_write2_b64 v0, v[13:14], v[15:16] offset0:104 offset1:105
	;; [unrolled: 1-line block ×6, first 2 shown]
.LBB112_1068:
	s_or_b64 exec, exec, s[0:1]
	v_cmp_lt_i32_e32 vcc, 50, v96
	s_waitcnt vmcnt(0) lgkmcnt(0)
	s_barrier
	s_and_saveexec_b64 s[0:1], vcc
	s_cbranch_execz .LBB112_1070
; %bb.1069:
	v_mul_f64 v[89:90], v[117:118], v[23:24]
	v_mul_f64 v[23:24], v[119:120], v[23:24]
	ds_read2_b64 v[91:94], v0 offset0:102 offset1:103
	v_fma_f64 v[89:90], v[119:120], v[21:22], v[89:90]
	v_fma_f64 v[21:22], v[117:118], v[21:22], -v[23:24]
	s_waitcnt lgkmcnt(0)
	v_mul_f64 v[23:24], v[93:94], v[89:90]
	v_fma_f64 v[23:24], v[91:92], v[21:22], -v[23:24]
	v_mul_f64 v[91:92], v[91:92], v[89:90]
	v_add_f64 v[17:18], v[17:18], -v[23:24]
	v_fma_f64 v[91:92], v[93:94], v[21:22], v[91:92]
	v_add_f64 v[19:20], v[19:20], -v[91:92]
	ds_read2_b64 v[91:94], v0 offset0:104 offset1:105
	s_waitcnt lgkmcnt(0)
	v_mul_f64 v[23:24], v[93:94], v[89:90]
	v_fma_f64 v[23:24], v[91:92], v[21:22], -v[23:24]
	v_mul_f64 v[91:92], v[91:92], v[89:90]
	v_add_f64 v[13:14], v[13:14], -v[23:24]
	v_fma_f64 v[91:92], v[93:94], v[21:22], v[91:92]
	v_add_f64 v[15:16], v[15:16], -v[91:92]
	ds_read2_b64 v[91:94], v0 offset0:106 offset1:107
	;; [unrolled: 8-line block ×5, first 2 shown]
	s_waitcnt lgkmcnt(0)
	v_mul_f64 v[23:24], v[93:94], v[89:90]
	v_fma_f64 v[23:24], v[91:92], v[21:22], -v[23:24]
	v_mul_f64 v[91:92], v[91:92], v[89:90]
	v_add_f64 v[121:122], v[121:122], -v[23:24]
	v_fma_f64 v[91:92], v[93:94], v[21:22], v[91:92]
	v_mov_b32_e32 v23, v89
	v_mov_b32_e32 v24, v90
	v_add_f64 v[123:124], v[123:124], -v[91:92]
.LBB112_1070:
	s_or_b64 exec, exec, s[0:1]
	v_lshl_add_u32 v89, v96, 4, v0
	s_barrier
	ds_write2_b64 v89, v[17:18], v[19:20] offset1:1
	s_waitcnt lgkmcnt(0)
	s_barrier
	ds_read2_b64 v[117:120], v0 offset0:102 offset1:103
	s_cmp_lt_i32 s3, 53
	v_mov_b32_e32 v89, 51
	s_cbranch_scc1 .LBB112_1073
; %bb.1071:
	v_add_u32_e32 v90, 0x340, v0
	s_mov_b32 s0, 52
	v_mov_b32_e32 v89, 51
.LBB112_1072:                           ; =>This Inner Loop Header: Depth=1
	s_waitcnt lgkmcnt(0)
	v_cmp_gt_f64_e32 vcc, 0, v[117:118]
	v_xor_b32_e32 v97, 0x80000000, v118
	ds_read2_b64 v[91:94], v90 offset1:1
	v_xor_b32_e32 v99, 0x80000000, v120
	v_add_u32_e32 v90, 16, v90
	s_waitcnt lgkmcnt(0)
	v_xor_b32_e32 v101, 0x80000000, v94
	v_cndmask_b32_e32 v98, v118, v97, vcc
	v_cmp_gt_f64_e32 vcc, 0, v[119:120]
	v_mov_b32_e32 v97, v117
	v_cndmask_b32_e32 v100, v120, v99, vcc
	v_cmp_gt_f64_e32 vcc, 0, v[91:92]
	v_mov_b32_e32 v99, v119
	v_add_f64 v[97:98], v[97:98], v[99:100]
	v_xor_b32_e32 v99, 0x80000000, v92
	v_cndmask_b32_e32 v100, v92, v99, vcc
	v_cmp_gt_f64_e32 vcc, 0, v[93:94]
	v_mov_b32_e32 v99, v91
	v_cndmask_b32_e32 v102, v94, v101, vcc
	v_mov_b32_e32 v101, v93
	v_add_f64 v[99:100], v[99:100], v[101:102]
	v_cmp_lt_f64_e32 vcc, v[97:98], v[99:100]
	v_cndmask_b32_e32 v117, v117, v91, vcc
	v_mov_b32_e32 v91, s0
	s_add_i32 s0, s0, 1
	v_cndmask_b32_e32 v118, v118, v92, vcc
	v_cndmask_b32_e32 v120, v120, v94, vcc
	;; [unrolled: 1-line block ×4, first 2 shown]
	s_cmp_lg_u32 s3, s0
	s_cbranch_scc1 .LBB112_1072
.LBB112_1073:
	s_waitcnt lgkmcnt(0)
	v_cmp_eq_f64_e32 vcc, 0, v[117:118]
	v_cmp_eq_f64_e64 s[0:1], 0, v[119:120]
	s_and_b64 s[0:1], vcc, s[0:1]
	s_and_saveexec_b64 s[18:19], s[0:1]
	s_xor_b64 s[0:1], exec, s[18:19]
; %bb.1074:
	v_cmp_ne_u32_e32 vcc, 0, v95
	v_cndmask_b32_e32 v95, 52, v95, vcc
; %bb.1075:
	s_andn2_saveexec_b64 s[0:1], s[0:1]
	s_cbranch_execz .LBB112_1081
; %bb.1076:
	v_cmp_ngt_f64_e64 s[18:19], |v[117:118]|, |v[119:120]|
	s_and_saveexec_b64 s[20:21], s[18:19]
	s_xor_b64 s[18:19], exec, s[20:21]
	s_cbranch_execz .LBB112_1078
; %bb.1077:
	v_div_scale_f64 v[90:91], s[20:21], v[119:120], v[119:120], v[117:118]
	v_rcp_f64_e32 v[92:93], v[90:91]
	v_fma_f64 v[97:98], -v[90:91], v[92:93], 1.0
	v_fma_f64 v[92:93], v[92:93], v[97:98], v[92:93]
	v_div_scale_f64 v[97:98], vcc, v[117:118], v[119:120], v[117:118]
	v_fma_f64 v[99:100], -v[90:91], v[92:93], 1.0
	v_fma_f64 v[92:93], v[92:93], v[99:100], v[92:93]
	v_mul_f64 v[99:100], v[97:98], v[92:93]
	v_fma_f64 v[90:91], -v[90:91], v[99:100], v[97:98]
	v_div_fmas_f64 v[90:91], v[90:91], v[92:93], v[99:100]
	v_div_fixup_f64 v[90:91], v[90:91], v[119:120], v[117:118]
	v_fma_f64 v[92:93], v[117:118], v[90:91], v[119:120]
	v_div_scale_f64 v[97:98], s[20:21], v[92:93], v[92:93], 1.0
	v_div_scale_f64 v[103:104], vcc, 1.0, v[92:93], 1.0
	v_rcp_f64_e32 v[99:100], v[97:98]
	v_fma_f64 v[101:102], -v[97:98], v[99:100], 1.0
	v_fma_f64 v[99:100], v[99:100], v[101:102], v[99:100]
	v_fma_f64 v[101:102], -v[97:98], v[99:100], 1.0
	v_fma_f64 v[99:100], v[99:100], v[101:102], v[99:100]
	v_mul_f64 v[101:102], v[103:104], v[99:100]
	v_fma_f64 v[97:98], -v[97:98], v[101:102], v[103:104]
	v_div_fmas_f64 v[97:98], v[97:98], v[99:100], v[101:102]
	v_div_fixup_f64 v[119:120], v[97:98], v[92:93], 1.0
	v_mul_f64 v[117:118], v[90:91], v[119:120]
	v_xor_b32_e32 v120, 0x80000000, v120
.LBB112_1078:
	s_andn2_saveexec_b64 s[18:19], s[18:19]
	s_cbranch_execz .LBB112_1080
; %bb.1079:
	v_div_scale_f64 v[90:91], s[20:21], v[117:118], v[117:118], v[119:120]
	v_rcp_f64_e32 v[92:93], v[90:91]
	v_fma_f64 v[97:98], -v[90:91], v[92:93], 1.0
	v_fma_f64 v[92:93], v[92:93], v[97:98], v[92:93]
	v_div_scale_f64 v[97:98], vcc, v[119:120], v[117:118], v[119:120]
	v_fma_f64 v[99:100], -v[90:91], v[92:93], 1.0
	v_fma_f64 v[92:93], v[92:93], v[99:100], v[92:93]
	v_mul_f64 v[99:100], v[97:98], v[92:93]
	v_fma_f64 v[90:91], -v[90:91], v[99:100], v[97:98]
	v_div_fmas_f64 v[90:91], v[90:91], v[92:93], v[99:100]
	v_div_fixup_f64 v[90:91], v[90:91], v[117:118], v[119:120]
	v_fma_f64 v[92:93], v[119:120], v[90:91], v[117:118]
	v_div_scale_f64 v[97:98], s[20:21], v[92:93], v[92:93], 1.0
	v_div_scale_f64 v[103:104], vcc, 1.0, v[92:93], 1.0
	v_rcp_f64_e32 v[99:100], v[97:98]
	v_fma_f64 v[101:102], -v[97:98], v[99:100], 1.0
	v_fma_f64 v[99:100], v[99:100], v[101:102], v[99:100]
	v_fma_f64 v[101:102], -v[97:98], v[99:100], 1.0
	v_fma_f64 v[99:100], v[99:100], v[101:102], v[99:100]
	v_mul_f64 v[101:102], v[103:104], v[99:100]
	v_fma_f64 v[97:98], -v[97:98], v[101:102], v[103:104]
	v_div_fmas_f64 v[97:98], v[97:98], v[99:100], v[101:102]
	v_div_fixup_f64 v[117:118], v[97:98], v[92:93], 1.0
	v_mul_f64 v[119:120], v[90:91], -v[117:118]
.LBB112_1080:
	s_or_b64 exec, exec, s[18:19]
.LBB112_1081:
	s_or_b64 exec, exec, s[0:1]
	v_cmp_ne_u32_e32 vcc, v96, v89
	s_and_saveexec_b64 s[0:1], vcc
	s_xor_b64 s[0:1], exec, s[0:1]
	s_cbranch_execz .LBB112_1087
; %bb.1082:
	v_cmp_eq_u32_e32 vcc, 51, v96
	s_and_saveexec_b64 s[18:19], vcc
	s_cbranch_execz .LBB112_1086
; %bb.1083:
	v_cmp_ne_u32_e32 vcc, 51, v89
	s_xor_b64 s[20:21], s[6:7], -1
	s_and_b64 s[22:23], s[20:21], vcc
	s_and_saveexec_b64 s[20:21], s[22:23]
	s_cbranch_execz .LBB112_1085
; %bb.1084:
	buffer_load_dword v81, off, s[24:27], 0 offset:464 ; 4-byte Folded Reload
	buffer_load_dword v82, off, s[24:27], 0 offset:468 ; 4-byte Folded Reload
	v_ashrrev_i32_e32 v90, 31, v89
	v_lshlrev_b64 v[90:91], 2, v[89:90]
	s_waitcnt vmcnt(1)
	v_add_co_u32_e32 v90, vcc, v81, v90
	s_waitcnt vmcnt(0)
	v_addc_co_u32_e32 v91, vcc, v82, v91, vcc
	global_load_dword v92, v[90:91], off
	global_load_dword v93, v[81:82], off offset:204
	s_waitcnt vmcnt(1)
	global_store_dword v[81:82], v92, off offset:204
	v_mov_b32_e32 v81, v105
	v_mov_b32_e32 v82, v106
	;; [unrolled: 1-line block ×4, first 2 shown]
	s_waitcnt vmcnt(1)
	global_store_dword v[90:91], v93, off
.LBB112_1085:
	s_or_b64 exec, exec, s[20:21]
	v_mov_b32_e32 v96, v89
	v_mov_b32_e32 v127, v89
.LBB112_1086:
	s_or_b64 exec, exec, s[18:19]
.LBB112_1087:
	s_andn2_saveexec_b64 s[0:1], s[0:1]
	s_cbranch_execz .LBB112_1089
; %bb.1088:
	v_mov_b32_e32 v96, 51
	ds_write2_b64 v0, v[13:14], v[15:16] offset0:104 offset1:105
	ds_write2_b64 v0, v[9:10], v[11:12] offset0:106 offset1:107
	;; [unrolled: 1-line block ×5, first 2 shown]
.LBB112_1089:
	s_or_b64 exec, exec, s[0:1]
	v_cmp_lt_i32_e32 vcc, 51, v96
	s_waitcnt vmcnt(0) lgkmcnt(0)
	s_barrier
	s_and_saveexec_b64 s[0:1], vcc
	s_cbranch_execz .LBB112_1091
; %bb.1090:
	v_mul_f64 v[89:90], v[117:118], v[19:20]
	v_mul_f64 v[19:20], v[119:120], v[19:20]
	v_fma_f64 v[93:94], v[119:120], v[17:18], v[89:90]
	ds_read2_b64 v[89:92], v0 offset0:104 offset1:105
	v_fma_f64 v[17:18], v[117:118], v[17:18], -v[19:20]
	s_waitcnt lgkmcnt(0)
	v_mul_f64 v[19:20], v[91:92], v[93:94]
	v_fma_f64 v[19:20], v[89:90], v[17:18], -v[19:20]
	v_mul_f64 v[89:90], v[89:90], v[93:94]
	v_add_f64 v[13:14], v[13:14], -v[19:20]
	v_fma_f64 v[89:90], v[91:92], v[17:18], v[89:90]
	v_add_f64 v[15:16], v[15:16], -v[89:90]
	ds_read2_b64 v[89:92], v0 offset0:106 offset1:107
	s_waitcnt lgkmcnt(0)
	v_mul_f64 v[19:20], v[91:92], v[93:94]
	v_fma_f64 v[19:20], v[89:90], v[17:18], -v[19:20]
	v_mul_f64 v[89:90], v[89:90], v[93:94]
	v_add_f64 v[9:10], v[9:10], -v[19:20]
	v_fma_f64 v[89:90], v[91:92], v[17:18], v[89:90]
	v_add_f64 v[11:12], v[11:12], -v[89:90]
	ds_read2_b64 v[89:92], v0 offset0:108 offset1:109
	;; [unrolled: 8-line block ×4, first 2 shown]
	s_waitcnt lgkmcnt(0)
	v_mul_f64 v[19:20], v[91:92], v[93:94]
	v_fma_f64 v[19:20], v[89:90], v[17:18], -v[19:20]
	v_mul_f64 v[89:90], v[89:90], v[93:94]
	v_add_f64 v[121:122], v[121:122], -v[19:20]
	v_fma_f64 v[89:90], v[91:92], v[17:18], v[89:90]
	v_mov_b32_e32 v19, v93
	v_mov_b32_e32 v20, v94
	v_add_f64 v[123:124], v[123:124], -v[89:90]
.LBB112_1091:
	s_or_b64 exec, exec, s[0:1]
	v_lshl_add_u32 v89, v96, 4, v0
	s_barrier
	ds_write2_b64 v89, v[13:14], v[15:16] offset1:1
	s_waitcnt lgkmcnt(0)
	s_barrier
	ds_read2_b64 v[117:120], v0 offset0:104 offset1:105
	s_cmp_lt_i32 s3, 54
	v_mov_b32_e32 v89, 52
	s_cbranch_scc1 .LBB112_1094
; %bb.1092:
	v_add_u32_e32 v90, 0x350, v0
	s_mov_b32 s0, 53
	v_mov_b32_e32 v89, 52
.LBB112_1093:                           ; =>This Inner Loop Header: Depth=1
	s_waitcnt lgkmcnt(0)
	v_cmp_gt_f64_e32 vcc, 0, v[117:118]
	v_xor_b32_e32 v97, 0x80000000, v118
	ds_read2_b64 v[91:94], v90 offset1:1
	v_xor_b32_e32 v99, 0x80000000, v120
	v_add_u32_e32 v90, 16, v90
	s_waitcnt lgkmcnt(0)
	v_xor_b32_e32 v101, 0x80000000, v94
	v_cndmask_b32_e32 v98, v118, v97, vcc
	v_cmp_gt_f64_e32 vcc, 0, v[119:120]
	v_mov_b32_e32 v97, v117
	v_cndmask_b32_e32 v100, v120, v99, vcc
	v_cmp_gt_f64_e32 vcc, 0, v[91:92]
	v_mov_b32_e32 v99, v119
	v_add_f64 v[97:98], v[97:98], v[99:100]
	v_xor_b32_e32 v99, 0x80000000, v92
	v_cndmask_b32_e32 v100, v92, v99, vcc
	v_cmp_gt_f64_e32 vcc, 0, v[93:94]
	v_mov_b32_e32 v99, v91
	v_cndmask_b32_e32 v102, v94, v101, vcc
	v_mov_b32_e32 v101, v93
	v_add_f64 v[99:100], v[99:100], v[101:102]
	v_cmp_lt_f64_e32 vcc, v[97:98], v[99:100]
	v_cndmask_b32_e32 v117, v117, v91, vcc
	v_mov_b32_e32 v91, s0
	s_add_i32 s0, s0, 1
	v_cndmask_b32_e32 v118, v118, v92, vcc
	v_cndmask_b32_e32 v120, v120, v94, vcc
	;; [unrolled: 1-line block ×4, first 2 shown]
	s_cmp_lg_u32 s3, s0
	s_cbranch_scc1 .LBB112_1093
.LBB112_1094:
	s_waitcnt lgkmcnt(0)
	v_cmp_eq_f64_e32 vcc, 0, v[117:118]
	v_cmp_eq_f64_e64 s[0:1], 0, v[119:120]
	s_and_b64 s[0:1], vcc, s[0:1]
	s_and_saveexec_b64 s[18:19], s[0:1]
	s_xor_b64 s[0:1], exec, s[18:19]
; %bb.1095:
	v_cmp_ne_u32_e32 vcc, 0, v95
	v_cndmask_b32_e32 v95, 53, v95, vcc
; %bb.1096:
	s_andn2_saveexec_b64 s[0:1], s[0:1]
	s_cbranch_execz .LBB112_1102
; %bb.1097:
	v_cmp_ngt_f64_e64 s[18:19], |v[117:118]|, |v[119:120]|
	s_and_saveexec_b64 s[20:21], s[18:19]
	s_xor_b64 s[18:19], exec, s[20:21]
	s_cbranch_execz .LBB112_1099
; %bb.1098:
	v_div_scale_f64 v[90:91], s[20:21], v[119:120], v[119:120], v[117:118]
	v_rcp_f64_e32 v[92:93], v[90:91]
	v_fma_f64 v[97:98], -v[90:91], v[92:93], 1.0
	v_fma_f64 v[92:93], v[92:93], v[97:98], v[92:93]
	v_div_scale_f64 v[97:98], vcc, v[117:118], v[119:120], v[117:118]
	v_fma_f64 v[99:100], -v[90:91], v[92:93], 1.0
	v_fma_f64 v[92:93], v[92:93], v[99:100], v[92:93]
	v_mul_f64 v[99:100], v[97:98], v[92:93]
	v_fma_f64 v[90:91], -v[90:91], v[99:100], v[97:98]
	v_div_fmas_f64 v[90:91], v[90:91], v[92:93], v[99:100]
	v_div_fixup_f64 v[90:91], v[90:91], v[119:120], v[117:118]
	v_fma_f64 v[92:93], v[117:118], v[90:91], v[119:120]
	v_div_scale_f64 v[97:98], s[20:21], v[92:93], v[92:93], 1.0
	v_div_scale_f64 v[103:104], vcc, 1.0, v[92:93], 1.0
	v_rcp_f64_e32 v[99:100], v[97:98]
	v_fma_f64 v[101:102], -v[97:98], v[99:100], 1.0
	v_fma_f64 v[99:100], v[99:100], v[101:102], v[99:100]
	v_fma_f64 v[101:102], -v[97:98], v[99:100], 1.0
	v_fma_f64 v[99:100], v[99:100], v[101:102], v[99:100]
	v_mul_f64 v[101:102], v[103:104], v[99:100]
	v_fma_f64 v[97:98], -v[97:98], v[101:102], v[103:104]
	v_div_fmas_f64 v[97:98], v[97:98], v[99:100], v[101:102]
	v_div_fixup_f64 v[119:120], v[97:98], v[92:93], 1.0
	v_mul_f64 v[117:118], v[90:91], v[119:120]
	v_xor_b32_e32 v120, 0x80000000, v120
.LBB112_1099:
	s_andn2_saveexec_b64 s[18:19], s[18:19]
	s_cbranch_execz .LBB112_1101
; %bb.1100:
	v_div_scale_f64 v[90:91], s[20:21], v[117:118], v[117:118], v[119:120]
	v_rcp_f64_e32 v[92:93], v[90:91]
	v_fma_f64 v[97:98], -v[90:91], v[92:93], 1.0
	v_fma_f64 v[92:93], v[92:93], v[97:98], v[92:93]
	v_div_scale_f64 v[97:98], vcc, v[119:120], v[117:118], v[119:120]
	v_fma_f64 v[99:100], -v[90:91], v[92:93], 1.0
	v_fma_f64 v[92:93], v[92:93], v[99:100], v[92:93]
	v_mul_f64 v[99:100], v[97:98], v[92:93]
	v_fma_f64 v[90:91], -v[90:91], v[99:100], v[97:98]
	v_div_fmas_f64 v[90:91], v[90:91], v[92:93], v[99:100]
	v_div_fixup_f64 v[90:91], v[90:91], v[117:118], v[119:120]
	v_fma_f64 v[92:93], v[119:120], v[90:91], v[117:118]
	v_div_scale_f64 v[97:98], s[20:21], v[92:93], v[92:93], 1.0
	v_div_scale_f64 v[103:104], vcc, 1.0, v[92:93], 1.0
	v_rcp_f64_e32 v[99:100], v[97:98]
	v_fma_f64 v[101:102], -v[97:98], v[99:100], 1.0
	v_fma_f64 v[99:100], v[99:100], v[101:102], v[99:100]
	v_fma_f64 v[101:102], -v[97:98], v[99:100], 1.0
	v_fma_f64 v[99:100], v[99:100], v[101:102], v[99:100]
	v_mul_f64 v[101:102], v[103:104], v[99:100]
	v_fma_f64 v[97:98], -v[97:98], v[101:102], v[103:104]
	v_div_fmas_f64 v[97:98], v[97:98], v[99:100], v[101:102]
	v_div_fixup_f64 v[117:118], v[97:98], v[92:93], 1.0
	v_mul_f64 v[119:120], v[90:91], -v[117:118]
.LBB112_1101:
	s_or_b64 exec, exec, s[18:19]
.LBB112_1102:
	s_or_b64 exec, exec, s[0:1]
	v_cmp_ne_u32_e32 vcc, v96, v89
	s_and_saveexec_b64 s[0:1], vcc
	s_xor_b64 s[0:1], exec, s[0:1]
	s_cbranch_execz .LBB112_1108
; %bb.1103:
	v_cmp_eq_u32_e32 vcc, 52, v96
	s_and_saveexec_b64 s[18:19], vcc
	s_cbranch_execz .LBB112_1107
; %bb.1104:
	v_cmp_ne_u32_e32 vcc, 52, v89
	s_xor_b64 s[20:21], s[6:7], -1
	s_and_b64 s[22:23], s[20:21], vcc
	s_and_saveexec_b64 s[20:21], s[22:23]
	s_cbranch_execz .LBB112_1106
; %bb.1105:
	buffer_load_dword v81, off, s[24:27], 0 offset:464 ; 4-byte Folded Reload
	buffer_load_dword v82, off, s[24:27], 0 offset:468 ; 4-byte Folded Reload
	v_ashrrev_i32_e32 v90, 31, v89
	v_lshlrev_b64 v[90:91], 2, v[89:90]
	s_waitcnt vmcnt(1)
	v_add_co_u32_e32 v90, vcc, v81, v90
	s_waitcnt vmcnt(0)
	v_addc_co_u32_e32 v91, vcc, v82, v91, vcc
	global_load_dword v92, v[90:91], off
	global_load_dword v93, v[81:82], off offset:208
	s_waitcnt vmcnt(1)
	global_store_dword v[81:82], v92, off offset:208
	v_mov_b32_e32 v81, v105
	v_mov_b32_e32 v82, v106
	;; [unrolled: 1-line block ×4, first 2 shown]
	s_waitcnt vmcnt(1)
	global_store_dword v[90:91], v93, off
.LBB112_1106:
	s_or_b64 exec, exec, s[20:21]
	v_mov_b32_e32 v96, v89
	v_mov_b32_e32 v127, v89
.LBB112_1107:
	s_or_b64 exec, exec, s[18:19]
.LBB112_1108:
	s_andn2_saveexec_b64 s[0:1], s[0:1]
	s_cbranch_execz .LBB112_1110
; %bb.1109:
	v_mov_b32_e32 v96, 52
	ds_write2_b64 v0, v[9:10], v[11:12] offset0:106 offset1:107
	ds_write2_b64 v0, v[5:6], v[7:8] offset0:108 offset1:109
	;; [unrolled: 1-line block ×4, first 2 shown]
.LBB112_1110:
	s_or_b64 exec, exec, s[0:1]
	v_cmp_lt_i32_e32 vcc, 52, v96
	s_waitcnt vmcnt(0) lgkmcnt(0)
	s_barrier
	s_and_saveexec_b64 s[0:1], vcc
	s_cbranch_execz .LBB112_1112
; %bb.1111:
	v_mul_f64 v[89:90], v[117:118], v[15:16]
	v_mul_f64 v[15:16], v[119:120], v[15:16]
	v_fma_f64 v[93:94], v[119:120], v[13:14], v[89:90]
	ds_read2_b64 v[89:92], v0 offset0:106 offset1:107
	v_fma_f64 v[13:14], v[117:118], v[13:14], -v[15:16]
	s_waitcnt lgkmcnt(0)
	v_mul_f64 v[15:16], v[91:92], v[93:94]
	v_fma_f64 v[15:16], v[89:90], v[13:14], -v[15:16]
	v_mul_f64 v[89:90], v[89:90], v[93:94]
	v_add_f64 v[9:10], v[9:10], -v[15:16]
	v_fma_f64 v[89:90], v[91:92], v[13:14], v[89:90]
	v_add_f64 v[11:12], v[11:12], -v[89:90]
	ds_read2_b64 v[89:92], v0 offset0:108 offset1:109
	s_waitcnt lgkmcnt(0)
	v_mul_f64 v[15:16], v[91:92], v[93:94]
	v_fma_f64 v[15:16], v[89:90], v[13:14], -v[15:16]
	v_mul_f64 v[89:90], v[89:90], v[93:94]
	v_add_f64 v[5:6], v[5:6], -v[15:16]
	v_fma_f64 v[89:90], v[91:92], v[13:14], v[89:90]
	v_add_f64 v[7:8], v[7:8], -v[89:90]
	ds_read2_b64 v[89:92], v0 offset0:110 offset1:111
	;; [unrolled: 8-line block ×3, first 2 shown]
	s_waitcnt lgkmcnt(0)
	v_mul_f64 v[15:16], v[91:92], v[93:94]
	v_fma_f64 v[15:16], v[89:90], v[13:14], -v[15:16]
	v_mul_f64 v[89:90], v[89:90], v[93:94]
	v_add_f64 v[121:122], v[121:122], -v[15:16]
	v_fma_f64 v[89:90], v[91:92], v[13:14], v[89:90]
	v_mov_b32_e32 v15, v93
	v_mov_b32_e32 v16, v94
	v_add_f64 v[123:124], v[123:124], -v[89:90]
.LBB112_1112:
	s_or_b64 exec, exec, s[0:1]
	v_lshl_add_u32 v89, v96, 4, v0
	s_barrier
	ds_write2_b64 v89, v[9:10], v[11:12] offset1:1
	s_waitcnt lgkmcnt(0)
	s_barrier
	ds_read2_b64 v[117:120], v0 offset0:106 offset1:107
	s_cmp_lt_i32 s3, 55
	v_mov_b32_e32 v89, 53
	s_cbranch_scc1 .LBB112_1115
; %bb.1113:
	v_add_u32_e32 v90, 0x360, v0
	s_mov_b32 s0, 54
	v_mov_b32_e32 v89, 53
.LBB112_1114:                           ; =>This Inner Loop Header: Depth=1
	s_waitcnt lgkmcnt(0)
	v_cmp_gt_f64_e32 vcc, 0, v[117:118]
	v_xor_b32_e32 v97, 0x80000000, v118
	ds_read2_b64 v[91:94], v90 offset1:1
	v_xor_b32_e32 v99, 0x80000000, v120
	v_add_u32_e32 v90, 16, v90
	s_waitcnt lgkmcnt(0)
	v_xor_b32_e32 v101, 0x80000000, v94
	v_cndmask_b32_e32 v98, v118, v97, vcc
	v_cmp_gt_f64_e32 vcc, 0, v[119:120]
	v_mov_b32_e32 v97, v117
	v_cndmask_b32_e32 v100, v120, v99, vcc
	v_cmp_gt_f64_e32 vcc, 0, v[91:92]
	v_mov_b32_e32 v99, v119
	v_add_f64 v[97:98], v[97:98], v[99:100]
	v_xor_b32_e32 v99, 0x80000000, v92
	v_cndmask_b32_e32 v100, v92, v99, vcc
	v_cmp_gt_f64_e32 vcc, 0, v[93:94]
	v_mov_b32_e32 v99, v91
	v_cndmask_b32_e32 v102, v94, v101, vcc
	v_mov_b32_e32 v101, v93
	v_add_f64 v[99:100], v[99:100], v[101:102]
	v_cmp_lt_f64_e32 vcc, v[97:98], v[99:100]
	v_cndmask_b32_e32 v117, v117, v91, vcc
	v_mov_b32_e32 v91, s0
	s_add_i32 s0, s0, 1
	v_cndmask_b32_e32 v118, v118, v92, vcc
	v_cndmask_b32_e32 v120, v120, v94, vcc
	;; [unrolled: 1-line block ×4, first 2 shown]
	s_cmp_lg_u32 s3, s0
	s_cbranch_scc1 .LBB112_1114
.LBB112_1115:
	s_waitcnt lgkmcnt(0)
	v_cmp_eq_f64_e32 vcc, 0, v[117:118]
	v_cmp_eq_f64_e64 s[0:1], 0, v[119:120]
	s_and_b64 s[0:1], vcc, s[0:1]
	s_and_saveexec_b64 s[18:19], s[0:1]
	s_xor_b64 s[0:1], exec, s[18:19]
; %bb.1116:
	v_cmp_ne_u32_e32 vcc, 0, v95
	v_cndmask_b32_e32 v95, 54, v95, vcc
; %bb.1117:
	s_andn2_saveexec_b64 s[0:1], s[0:1]
	s_cbranch_execz .LBB112_1123
; %bb.1118:
	v_cmp_ngt_f64_e64 s[18:19], |v[117:118]|, |v[119:120]|
	s_and_saveexec_b64 s[20:21], s[18:19]
	s_xor_b64 s[18:19], exec, s[20:21]
	s_cbranch_execz .LBB112_1120
; %bb.1119:
	v_div_scale_f64 v[90:91], s[20:21], v[119:120], v[119:120], v[117:118]
	v_rcp_f64_e32 v[92:93], v[90:91]
	v_fma_f64 v[97:98], -v[90:91], v[92:93], 1.0
	v_fma_f64 v[92:93], v[92:93], v[97:98], v[92:93]
	v_div_scale_f64 v[97:98], vcc, v[117:118], v[119:120], v[117:118]
	v_fma_f64 v[99:100], -v[90:91], v[92:93], 1.0
	v_fma_f64 v[92:93], v[92:93], v[99:100], v[92:93]
	v_mul_f64 v[99:100], v[97:98], v[92:93]
	v_fma_f64 v[90:91], -v[90:91], v[99:100], v[97:98]
	v_div_fmas_f64 v[90:91], v[90:91], v[92:93], v[99:100]
	v_div_fixup_f64 v[90:91], v[90:91], v[119:120], v[117:118]
	v_fma_f64 v[92:93], v[117:118], v[90:91], v[119:120]
	v_div_scale_f64 v[97:98], s[20:21], v[92:93], v[92:93], 1.0
	v_div_scale_f64 v[103:104], vcc, 1.0, v[92:93], 1.0
	v_rcp_f64_e32 v[99:100], v[97:98]
	v_fma_f64 v[101:102], -v[97:98], v[99:100], 1.0
	v_fma_f64 v[99:100], v[99:100], v[101:102], v[99:100]
	v_fma_f64 v[101:102], -v[97:98], v[99:100], 1.0
	v_fma_f64 v[99:100], v[99:100], v[101:102], v[99:100]
	v_mul_f64 v[101:102], v[103:104], v[99:100]
	v_fma_f64 v[97:98], -v[97:98], v[101:102], v[103:104]
	v_div_fmas_f64 v[97:98], v[97:98], v[99:100], v[101:102]
	v_div_fixup_f64 v[119:120], v[97:98], v[92:93], 1.0
	v_mul_f64 v[117:118], v[90:91], v[119:120]
	v_xor_b32_e32 v120, 0x80000000, v120
.LBB112_1120:
	s_andn2_saveexec_b64 s[18:19], s[18:19]
	s_cbranch_execz .LBB112_1122
; %bb.1121:
	v_div_scale_f64 v[90:91], s[20:21], v[117:118], v[117:118], v[119:120]
	v_rcp_f64_e32 v[92:93], v[90:91]
	v_fma_f64 v[97:98], -v[90:91], v[92:93], 1.0
	v_fma_f64 v[92:93], v[92:93], v[97:98], v[92:93]
	v_div_scale_f64 v[97:98], vcc, v[119:120], v[117:118], v[119:120]
	v_fma_f64 v[99:100], -v[90:91], v[92:93], 1.0
	v_fma_f64 v[92:93], v[92:93], v[99:100], v[92:93]
	v_mul_f64 v[99:100], v[97:98], v[92:93]
	v_fma_f64 v[90:91], -v[90:91], v[99:100], v[97:98]
	v_div_fmas_f64 v[90:91], v[90:91], v[92:93], v[99:100]
	v_div_fixup_f64 v[90:91], v[90:91], v[117:118], v[119:120]
	v_fma_f64 v[92:93], v[119:120], v[90:91], v[117:118]
	v_div_scale_f64 v[97:98], s[20:21], v[92:93], v[92:93], 1.0
	v_div_scale_f64 v[103:104], vcc, 1.0, v[92:93], 1.0
	v_rcp_f64_e32 v[99:100], v[97:98]
	v_fma_f64 v[101:102], -v[97:98], v[99:100], 1.0
	v_fma_f64 v[99:100], v[99:100], v[101:102], v[99:100]
	v_fma_f64 v[101:102], -v[97:98], v[99:100], 1.0
	v_fma_f64 v[99:100], v[99:100], v[101:102], v[99:100]
	v_mul_f64 v[101:102], v[103:104], v[99:100]
	v_fma_f64 v[97:98], -v[97:98], v[101:102], v[103:104]
	v_div_fmas_f64 v[97:98], v[97:98], v[99:100], v[101:102]
	v_div_fixup_f64 v[117:118], v[97:98], v[92:93], 1.0
	v_mul_f64 v[119:120], v[90:91], -v[117:118]
.LBB112_1122:
	s_or_b64 exec, exec, s[18:19]
.LBB112_1123:
	s_or_b64 exec, exec, s[0:1]
	v_cmp_ne_u32_e32 vcc, v96, v89
	s_and_saveexec_b64 s[0:1], vcc
	s_xor_b64 s[0:1], exec, s[0:1]
	s_cbranch_execz .LBB112_1129
; %bb.1124:
	v_cmp_eq_u32_e32 vcc, 53, v96
	s_and_saveexec_b64 s[18:19], vcc
	s_cbranch_execz .LBB112_1128
; %bb.1125:
	v_cmp_ne_u32_e32 vcc, 53, v89
	s_xor_b64 s[20:21], s[6:7], -1
	s_and_b64 s[22:23], s[20:21], vcc
	s_and_saveexec_b64 s[20:21], s[22:23]
	s_cbranch_execz .LBB112_1127
; %bb.1126:
	buffer_load_dword v81, off, s[24:27], 0 offset:464 ; 4-byte Folded Reload
	buffer_load_dword v82, off, s[24:27], 0 offset:468 ; 4-byte Folded Reload
	v_ashrrev_i32_e32 v90, 31, v89
	v_lshlrev_b64 v[90:91], 2, v[89:90]
	s_waitcnt vmcnt(1)
	v_add_co_u32_e32 v90, vcc, v81, v90
	s_waitcnt vmcnt(0)
	v_addc_co_u32_e32 v91, vcc, v82, v91, vcc
	global_load_dword v92, v[90:91], off
	global_load_dword v93, v[81:82], off offset:212
	s_waitcnt vmcnt(1)
	global_store_dword v[81:82], v92, off offset:212
	v_mov_b32_e32 v81, v105
	v_mov_b32_e32 v82, v106
	;; [unrolled: 1-line block ×4, first 2 shown]
	s_waitcnt vmcnt(1)
	global_store_dword v[90:91], v93, off
.LBB112_1127:
	s_or_b64 exec, exec, s[20:21]
	v_mov_b32_e32 v96, v89
	v_mov_b32_e32 v127, v89
.LBB112_1128:
	s_or_b64 exec, exec, s[18:19]
.LBB112_1129:
	s_andn2_saveexec_b64 s[0:1], s[0:1]
	s_cbranch_execz .LBB112_1131
; %bb.1130:
	v_mov_b32_e32 v96, 53
	ds_write2_b64 v0, v[5:6], v[7:8] offset0:108 offset1:109
	ds_write2_b64 v0, v[1:2], v[3:4] offset0:110 offset1:111
	ds_write2_b64 v0, v[121:122], v[123:124] offset0:112 offset1:113
.LBB112_1131:
	s_or_b64 exec, exec, s[0:1]
	v_cmp_lt_i32_e32 vcc, 53, v96
	s_waitcnt vmcnt(0) lgkmcnt(0)
	s_barrier
	s_and_saveexec_b64 s[0:1], vcc
	s_cbranch_execz .LBB112_1133
; %bb.1132:
	v_mul_f64 v[89:90], v[117:118], v[11:12]
	v_mul_f64 v[11:12], v[119:120], v[11:12]
	v_fma_f64 v[93:94], v[119:120], v[9:10], v[89:90]
	ds_read2_b64 v[89:92], v0 offset0:108 offset1:109
	v_fma_f64 v[9:10], v[117:118], v[9:10], -v[11:12]
	s_waitcnt lgkmcnt(0)
	v_mul_f64 v[11:12], v[91:92], v[93:94]
	v_fma_f64 v[11:12], v[89:90], v[9:10], -v[11:12]
	v_mul_f64 v[89:90], v[89:90], v[93:94]
	v_add_f64 v[5:6], v[5:6], -v[11:12]
	v_fma_f64 v[89:90], v[91:92], v[9:10], v[89:90]
	v_add_f64 v[7:8], v[7:8], -v[89:90]
	ds_read2_b64 v[89:92], v0 offset0:110 offset1:111
	s_waitcnt lgkmcnt(0)
	v_mul_f64 v[11:12], v[91:92], v[93:94]
	v_fma_f64 v[11:12], v[89:90], v[9:10], -v[11:12]
	v_mul_f64 v[89:90], v[89:90], v[93:94]
	v_add_f64 v[1:2], v[1:2], -v[11:12]
	v_fma_f64 v[89:90], v[91:92], v[9:10], v[89:90]
	v_add_f64 v[3:4], v[3:4], -v[89:90]
	ds_read2_b64 v[89:92], v0 offset0:112 offset1:113
	s_waitcnt lgkmcnt(0)
	v_mul_f64 v[11:12], v[91:92], v[93:94]
	v_fma_f64 v[11:12], v[89:90], v[9:10], -v[11:12]
	v_mul_f64 v[89:90], v[89:90], v[93:94]
	v_add_f64 v[121:122], v[121:122], -v[11:12]
	v_fma_f64 v[89:90], v[91:92], v[9:10], v[89:90]
	v_mov_b32_e32 v11, v93
	v_mov_b32_e32 v12, v94
	v_add_f64 v[123:124], v[123:124], -v[89:90]
.LBB112_1133:
	s_or_b64 exec, exec, s[0:1]
	v_lshl_add_u32 v89, v96, 4, v0
	s_barrier
	ds_write2_b64 v89, v[5:6], v[7:8] offset1:1
	s_waitcnt lgkmcnt(0)
	s_barrier
	ds_read2_b64 v[117:120], v0 offset0:108 offset1:109
	s_cmp_lt_i32 s3, 56
	v_mov_b32_e32 v89, 54
	s_cbranch_scc1 .LBB112_1136
; %bb.1134:
	v_add_u32_e32 v90, 0x370, v0
	s_mov_b32 s0, 55
	v_mov_b32_e32 v89, 54
.LBB112_1135:                           ; =>This Inner Loop Header: Depth=1
	s_waitcnt lgkmcnt(0)
	v_cmp_gt_f64_e32 vcc, 0, v[117:118]
	v_xor_b32_e32 v97, 0x80000000, v118
	ds_read2_b64 v[91:94], v90 offset1:1
	v_xor_b32_e32 v99, 0x80000000, v120
	v_add_u32_e32 v90, 16, v90
	s_waitcnt lgkmcnt(0)
	v_xor_b32_e32 v101, 0x80000000, v94
	v_cndmask_b32_e32 v98, v118, v97, vcc
	v_cmp_gt_f64_e32 vcc, 0, v[119:120]
	v_mov_b32_e32 v97, v117
	v_cndmask_b32_e32 v100, v120, v99, vcc
	v_cmp_gt_f64_e32 vcc, 0, v[91:92]
	v_mov_b32_e32 v99, v119
	v_add_f64 v[97:98], v[97:98], v[99:100]
	v_xor_b32_e32 v99, 0x80000000, v92
	v_cndmask_b32_e32 v100, v92, v99, vcc
	v_cmp_gt_f64_e32 vcc, 0, v[93:94]
	v_mov_b32_e32 v99, v91
	v_cndmask_b32_e32 v102, v94, v101, vcc
	v_mov_b32_e32 v101, v93
	v_add_f64 v[99:100], v[99:100], v[101:102]
	v_cmp_lt_f64_e32 vcc, v[97:98], v[99:100]
	v_cndmask_b32_e32 v117, v117, v91, vcc
	v_mov_b32_e32 v91, s0
	s_add_i32 s0, s0, 1
	v_cndmask_b32_e32 v118, v118, v92, vcc
	v_cndmask_b32_e32 v120, v120, v94, vcc
	;; [unrolled: 1-line block ×4, first 2 shown]
	s_cmp_lg_u32 s3, s0
	s_cbranch_scc1 .LBB112_1135
.LBB112_1136:
	s_waitcnt lgkmcnt(0)
	v_cmp_eq_f64_e32 vcc, 0, v[117:118]
	v_cmp_eq_f64_e64 s[0:1], 0, v[119:120]
	s_and_b64 s[0:1], vcc, s[0:1]
	s_and_saveexec_b64 s[18:19], s[0:1]
	s_xor_b64 s[0:1], exec, s[18:19]
; %bb.1137:
	v_cmp_ne_u32_e32 vcc, 0, v95
	v_cndmask_b32_e32 v95, 55, v95, vcc
; %bb.1138:
	s_andn2_saveexec_b64 s[0:1], s[0:1]
	s_cbranch_execz .LBB112_1144
; %bb.1139:
	v_cmp_ngt_f64_e64 s[18:19], |v[117:118]|, |v[119:120]|
	s_and_saveexec_b64 s[20:21], s[18:19]
	s_xor_b64 s[18:19], exec, s[20:21]
	s_cbranch_execz .LBB112_1141
; %bb.1140:
	v_div_scale_f64 v[90:91], s[20:21], v[119:120], v[119:120], v[117:118]
	v_rcp_f64_e32 v[92:93], v[90:91]
	v_fma_f64 v[97:98], -v[90:91], v[92:93], 1.0
	v_fma_f64 v[92:93], v[92:93], v[97:98], v[92:93]
	v_div_scale_f64 v[97:98], vcc, v[117:118], v[119:120], v[117:118]
	v_fma_f64 v[99:100], -v[90:91], v[92:93], 1.0
	v_fma_f64 v[92:93], v[92:93], v[99:100], v[92:93]
	v_mul_f64 v[99:100], v[97:98], v[92:93]
	v_fma_f64 v[90:91], -v[90:91], v[99:100], v[97:98]
	v_div_fmas_f64 v[90:91], v[90:91], v[92:93], v[99:100]
	v_div_fixup_f64 v[90:91], v[90:91], v[119:120], v[117:118]
	v_fma_f64 v[92:93], v[117:118], v[90:91], v[119:120]
	v_div_scale_f64 v[97:98], s[20:21], v[92:93], v[92:93], 1.0
	v_div_scale_f64 v[103:104], vcc, 1.0, v[92:93], 1.0
	v_rcp_f64_e32 v[99:100], v[97:98]
	v_fma_f64 v[101:102], -v[97:98], v[99:100], 1.0
	v_fma_f64 v[99:100], v[99:100], v[101:102], v[99:100]
	v_fma_f64 v[101:102], -v[97:98], v[99:100], 1.0
	v_fma_f64 v[99:100], v[99:100], v[101:102], v[99:100]
	v_mul_f64 v[101:102], v[103:104], v[99:100]
	v_fma_f64 v[97:98], -v[97:98], v[101:102], v[103:104]
	v_div_fmas_f64 v[97:98], v[97:98], v[99:100], v[101:102]
	v_div_fixup_f64 v[119:120], v[97:98], v[92:93], 1.0
	v_mul_f64 v[117:118], v[90:91], v[119:120]
	v_xor_b32_e32 v120, 0x80000000, v120
.LBB112_1141:
	s_andn2_saveexec_b64 s[18:19], s[18:19]
	s_cbranch_execz .LBB112_1143
; %bb.1142:
	v_div_scale_f64 v[90:91], s[20:21], v[117:118], v[117:118], v[119:120]
	v_rcp_f64_e32 v[92:93], v[90:91]
	v_fma_f64 v[97:98], -v[90:91], v[92:93], 1.0
	v_fma_f64 v[92:93], v[92:93], v[97:98], v[92:93]
	v_div_scale_f64 v[97:98], vcc, v[119:120], v[117:118], v[119:120]
	v_fma_f64 v[99:100], -v[90:91], v[92:93], 1.0
	v_fma_f64 v[92:93], v[92:93], v[99:100], v[92:93]
	v_mul_f64 v[99:100], v[97:98], v[92:93]
	v_fma_f64 v[90:91], -v[90:91], v[99:100], v[97:98]
	v_div_fmas_f64 v[90:91], v[90:91], v[92:93], v[99:100]
	v_div_fixup_f64 v[90:91], v[90:91], v[117:118], v[119:120]
	v_fma_f64 v[92:93], v[119:120], v[90:91], v[117:118]
	v_div_scale_f64 v[97:98], s[20:21], v[92:93], v[92:93], 1.0
	v_div_scale_f64 v[103:104], vcc, 1.0, v[92:93], 1.0
	v_rcp_f64_e32 v[99:100], v[97:98]
	v_fma_f64 v[101:102], -v[97:98], v[99:100], 1.0
	v_fma_f64 v[99:100], v[99:100], v[101:102], v[99:100]
	v_fma_f64 v[101:102], -v[97:98], v[99:100], 1.0
	v_fma_f64 v[99:100], v[99:100], v[101:102], v[99:100]
	v_mul_f64 v[101:102], v[103:104], v[99:100]
	v_fma_f64 v[97:98], -v[97:98], v[101:102], v[103:104]
	v_div_fmas_f64 v[97:98], v[97:98], v[99:100], v[101:102]
	v_div_fixup_f64 v[117:118], v[97:98], v[92:93], 1.0
	v_mul_f64 v[119:120], v[90:91], -v[117:118]
.LBB112_1143:
	s_or_b64 exec, exec, s[18:19]
.LBB112_1144:
	s_or_b64 exec, exec, s[0:1]
	v_cmp_ne_u32_e32 vcc, v96, v89
	s_and_saveexec_b64 s[0:1], vcc
	s_xor_b64 s[0:1], exec, s[0:1]
	s_cbranch_execz .LBB112_1150
; %bb.1145:
	v_cmp_eq_u32_e32 vcc, 54, v96
	s_and_saveexec_b64 s[18:19], vcc
	s_cbranch_execz .LBB112_1149
; %bb.1146:
	v_cmp_ne_u32_e32 vcc, 54, v89
	s_xor_b64 s[20:21], s[6:7], -1
	s_and_b64 s[22:23], s[20:21], vcc
	s_and_saveexec_b64 s[20:21], s[22:23]
	s_cbranch_execz .LBB112_1148
; %bb.1147:
	buffer_load_dword v81, off, s[24:27], 0 offset:464 ; 4-byte Folded Reload
	buffer_load_dword v82, off, s[24:27], 0 offset:468 ; 4-byte Folded Reload
	v_ashrrev_i32_e32 v90, 31, v89
	v_lshlrev_b64 v[90:91], 2, v[89:90]
	s_waitcnt vmcnt(1)
	v_add_co_u32_e32 v90, vcc, v81, v90
	s_waitcnt vmcnt(0)
	v_addc_co_u32_e32 v91, vcc, v82, v91, vcc
	global_load_dword v92, v[90:91], off
	global_load_dword v93, v[81:82], off offset:216
	s_waitcnt vmcnt(1)
	global_store_dword v[81:82], v92, off offset:216
	v_mov_b32_e32 v81, v105
	v_mov_b32_e32 v82, v106
	;; [unrolled: 1-line block ×4, first 2 shown]
	s_waitcnt vmcnt(1)
	global_store_dword v[90:91], v93, off
.LBB112_1148:
	s_or_b64 exec, exec, s[20:21]
	v_mov_b32_e32 v96, v89
	v_mov_b32_e32 v127, v89
.LBB112_1149:
	s_or_b64 exec, exec, s[18:19]
.LBB112_1150:
	s_andn2_saveexec_b64 s[0:1], s[0:1]
	s_cbranch_execz .LBB112_1152
; %bb.1151:
	v_mov_b32_e32 v96, 54
	ds_write2_b64 v0, v[1:2], v[3:4] offset0:110 offset1:111
	ds_write2_b64 v0, v[121:122], v[123:124] offset0:112 offset1:113
.LBB112_1152:
	s_or_b64 exec, exec, s[0:1]
	v_cmp_lt_i32_e32 vcc, 54, v96
	s_waitcnt vmcnt(0) lgkmcnt(0)
	s_barrier
	s_and_saveexec_b64 s[0:1], vcc
	s_cbranch_execz .LBB112_1154
; %bb.1153:
	v_mul_f64 v[89:90], v[117:118], v[7:8]
	v_mul_f64 v[7:8], v[119:120], v[7:8]
	v_fma_f64 v[93:94], v[119:120], v[5:6], v[89:90]
	ds_read2_b64 v[89:92], v0 offset0:110 offset1:111
	v_fma_f64 v[5:6], v[117:118], v[5:6], -v[7:8]
	s_waitcnt lgkmcnt(0)
	v_mul_f64 v[7:8], v[91:92], v[93:94]
	v_fma_f64 v[7:8], v[89:90], v[5:6], -v[7:8]
	v_mul_f64 v[89:90], v[89:90], v[93:94]
	v_add_f64 v[1:2], v[1:2], -v[7:8]
	v_fma_f64 v[89:90], v[91:92], v[5:6], v[89:90]
	v_add_f64 v[3:4], v[3:4], -v[89:90]
	ds_read2_b64 v[89:92], v0 offset0:112 offset1:113
	s_waitcnt lgkmcnt(0)
	v_mul_f64 v[7:8], v[91:92], v[93:94]
	v_fma_f64 v[7:8], v[89:90], v[5:6], -v[7:8]
	v_mul_f64 v[89:90], v[89:90], v[93:94]
	v_add_f64 v[121:122], v[121:122], -v[7:8]
	v_fma_f64 v[89:90], v[91:92], v[5:6], v[89:90]
	v_mov_b32_e32 v7, v93
	v_mov_b32_e32 v8, v94
	v_add_f64 v[123:124], v[123:124], -v[89:90]
.LBB112_1154:
	s_or_b64 exec, exec, s[0:1]
	v_lshl_add_u32 v89, v96, 4, v0
	s_barrier
	ds_write2_b64 v89, v[1:2], v[3:4] offset1:1
	s_waitcnt lgkmcnt(0)
	s_barrier
	ds_read2_b64 v[117:120], v0 offset0:110 offset1:111
	s_cmp_lt_i32 s3, 57
	v_mov_b32_e32 v89, 55
	s_cbranch_scc1 .LBB112_1157
; %bb.1155:
	v_add_u32_e32 v90, 0x380, v0
	s_mov_b32 s0, 56
	v_mov_b32_e32 v89, 55
.LBB112_1156:                           ; =>This Inner Loop Header: Depth=1
	s_waitcnt lgkmcnt(0)
	v_cmp_gt_f64_e32 vcc, 0, v[117:118]
	v_xor_b32_e32 v97, 0x80000000, v118
	ds_read2_b64 v[91:94], v90 offset1:1
	v_xor_b32_e32 v99, 0x80000000, v120
	v_add_u32_e32 v90, 16, v90
	s_waitcnt lgkmcnt(0)
	v_xor_b32_e32 v101, 0x80000000, v94
	v_cndmask_b32_e32 v98, v118, v97, vcc
	v_cmp_gt_f64_e32 vcc, 0, v[119:120]
	v_mov_b32_e32 v97, v117
	v_cndmask_b32_e32 v100, v120, v99, vcc
	v_cmp_gt_f64_e32 vcc, 0, v[91:92]
	v_mov_b32_e32 v99, v119
	v_add_f64 v[97:98], v[97:98], v[99:100]
	v_xor_b32_e32 v99, 0x80000000, v92
	v_cndmask_b32_e32 v100, v92, v99, vcc
	v_cmp_gt_f64_e32 vcc, 0, v[93:94]
	v_mov_b32_e32 v99, v91
	v_cndmask_b32_e32 v102, v94, v101, vcc
	v_mov_b32_e32 v101, v93
	v_add_f64 v[99:100], v[99:100], v[101:102]
	v_cmp_lt_f64_e32 vcc, v[97:98], v[99:100]
	v_cndmask_b32_e32 v117, v117, v91, vcc
	v_mov_b32_e32 v91, s0
	s_add_i32 s0, s0, 1
	v_cndmask_b32_e32 v118, v118, v92, vcc
	v_cndmask_b32_e32 v120, v120, v94, vcc
	;; [unrolled: 1-line block ×4, first 2 shown]
	s_cmp_lg_u32 s3, s0
	s_cbranch_scc1 .LBB112_1156
.LBB112_1157:
	s_waitcnt lgkmcnt(0)
	v_cmp_eq_f64_e32 vcc, 0, v[117:118]
	v_cmp_eq_f64_e64 s[0:1], 0, v[119:120]
	s_and_b64 s[0:1], vcc, s[0:1]
	s_and_saveexec_b64 s[18:19], s[0:1]
	s_xor_b64 s[0:1], exec, s[18:19]
; %bb.1158:
	v_cmp_ne_u32_e32 vcc, 0, v95
	v_cndmask_b32_e32 v95, 56, v95, vcc
; %bb.1159:
	s_andn2_saveexec_b64 s[0:1], s[0:1]
	s_cbranch_execz .LBB112_1165
; %bb.1160:
	v_cmp_ngt_f64_e64 s[18:19], |v[117:118]|, |v[119:120]|
	s_and_saveexec_b64 s[20:21], s[18:19]
	s_xor_b64 s[18:19], exec, s[20:21]
	s_cbranch_execz .LBB112_1162
; %bb.1161:
	v_div_scale_f64 v[90:91], s[20:21], v[119:120], v[119:120], v[117:118]
	v_rcp_f64_e32 v[92:93], v[90:91]
	v_fma_f64 v[97:98], -v[90:91], v[92:93], 1.0
	v_fma_f64 v[92:93], v[92:93], v[97:98], v[92:93]
	v_div_scale_f64 v[97:98], vcc, v[117:118], v[119:120], v[117:118]
	v_fma_f64 v[99:100], -v[90:91], v[92:93], 1.0
	v_fma_f64 v[92:93], v[92:93], v[99:100], v[92:93]
	v_mul_f64 v[99:100], v[97:98], v[92:93]
	v_fma_f64 v[90:91], -v[90:91], v[99:100], v[97:98]
	v_div_fmas_f64 v[90:91], v[90:91], v[92:93], v[99:100]
	v_div_fixup_f64 v[90:91], v[90:91], v[119:120], v[117:118]
	v_fma_f64 v[92:93], v[117:118], v[90:91], v[119:120]
	v_div_scale_f64 v[97:98], s[20:21], v[92:93], v[92:93], 1.0
	v_div_scale_f64 v[103:104], vcc, 1.0, v[92:93], 1.0
	v_rcp_f64_e32 v[99:100], v[97:98]
	v_fma_f64 v[101:102], -v[97:98], v[99:100], 1.0
	v_fma_f64 v[99:100], v[99:100], v[101:102], v[99:100]
	v_fma_f64 v[101:102], -v[97:98], v[99:100], 1.0
	v_fma_f64 v[99:100], v[99:100], v[101:102], v[99:100]
	v_mul_f64 v[101:102], v[103:104], v[99:100]
	v_fma_f64 v[97:98], -v[97:98], v[101:102], v[103:104]
	v_div_fmas_f64 v[97:98], v[97:98], v[99:100], v[101:102]
	v_div_fixup_f64 v[119:120], v[97:98], v[92:93], 1.0
	v_mul_f64 v[117:118], v[90:91], v[119:120]
	v_xor_b32_e32 v120, 0x80000000, v120
.LBB112_1162:
	s_andn2_saveexec_b64 s[18:19], s[18:19]
	s_cbranch_execz .LBB112_1164
; %bb.1163:
	v_div_scale_f64 v[90:91], s[20:21], v[117:118], v[117:118], v[119:120]
	v_rcp_f64_e32 v[92:93], v[90:91]
	v_fma_f64 v[97:98], -v[90:91], v[92:93], 1.0
	v_fma_f64 v[92:93], v[92:93], v[97:98], v[92:93]
	v_div_scale_f64 v[97:98], vcc, v[119:120], v[117:118], v[119:120]
	v_fma_f64 v[99:100], -v[90:91], v[92:93], 1.0
	v_fma_f64 v[92:93], v[92:93], v[99:100], v[92:93]
	v_mul_f64 v[99:100], v[97:98], v[92:93]
	v_fma_f64 v[90:91], -v[90:91], v[99:100], v[97:98]
	v_div_fmas_f64 v[90:91], v[90:91], v[92:93], v[99:100]
	v_div_fixup_f64 v[90:91], v[90:91], v[117:118], v[119:120]
	v_fma_f64 v[92:93], v[119:120], v[90:91], v[117:118]
	v_div_scale_f64 v[97:98], s[20:21], v[92:93], v[92:93], 1.0
	v_div_scale_f64 v[103:104], vcc, 1.0, v[92:93], 1.0
	v_rcp_f64_e32 v[99:100], v[97:98]
	v_fma_f64 v[101:102], -v[97:98], v[99:100], 1.0
	v_fma_f64 v[99:100], v[99:100], v[101:102], v[99:100]
	v_fma_f64 v[101:102], -v[97:98], v[99:100], 1.0
	v_fma_f64 v[99:100], v[99:100], v[101:102], v[99:100]
	v_mul_f64 v[101:102], v[103:104], v[99:100]
	v_fma_f64 v[97:98], -v[97:98], v[101:102], v[103:104]
	v_div_fmas_f64 v[97:98], v[97:98], v[99:100], v[101:102]
	v_div_fixup_f64 v[117:118], v[97:98], v[92:93], 1.0
	v_mul_f64 v[119:120], v[90:91], -v[117:118]
.LBB112_1164:
	s_or_b64 exec, exec, s[18:19]
.LBB112_1165:
	s_or_b64 exec, exec, s[0:1]
	v_cmp_ne_u32_e32 vcc, v96, v89
	s_and_saveexec_b64 s[0:1], vcc
	s_xor_b64 s[0:1], exec, s[0:1]
	s_cbranch_execz .LBB112_1171
; %bb.1166:
	v_cmp_eq_u32_e32 vcc, 55, v96
	s_and_saveexec_b64 s[18:19], vcc
	s_cbranch_execz .LBB112_1170
; %bb.1167:
	v_cmp_ne_u32_e32 vcc, 55, v89
	s_xor_b64 s[20:21], s[6:7], -1
	s_and_b64 s[22:23], s[20:21], vcc
	s_and_saveexec_b64 s[20:21], s[22:23]
	s_cbranch_execz .LBB112_1169
; %bb.1168:
	buffer_load_dword v81, off, s[24:27], 0 offset:464 ; 4-byte Folded Reload
	buffer_load_dword v82, off, s[24:27], 0 offset:468 ; 4-byte Folded Reload
	v_ashrrev_i32_e32 v90, 31, v89
	v_lshlrev_b64 v[90:91], 2, v[89:90]
	s_waitcnt vmcnt(1)
	v_add_co_u32_e32 v90, vcc, v81, v90
	s_waitcnt vmcnt(0)
	v_addc_co_u32_e32 v91, vcc, v82, v91, vcc
	global_load_dword v92, v[90:91], off
	global_load_dword v93, v[81:82], off offset:220
	s_waitcnt vmcnt(1)
	global_store_dword v[81:82], v92, off offset:220
	v_mov_b32_e32 v81, v105
	v_mov_b32_e32 v82, v106
	;; [unrolled: 1-line block ×4, first 2 shown]
	s_waitcnt vmcnt(1)
	global_store_dword v[90:91], v93, off
.LBB112_1169:
	s_or_b64 exec, exec, s[20:21]
	v_mov_b32_e32 v96, v89
	v_mov_b32_e32 v127, v89
.LBB112_1170:
	s_or_b64 exec, exec, s[18:19]
.LBB112_1171:
	s_andn2_saveexec_b64 s[0:1], s[0:1]
; %bb.1172:
	v_mov_b32_e32 v96, 55
	ds_write2_b64 v0, v[121:122], v[123:124] offset0:112 offset1:113
; %bb.1173:
	s_or_b64 exec, exec, s[0:1]
	v_cmp_lt_i32_e32 vcc, 55, v96
	s_waitcnt vmcnt(0) lgkmcnt(0)
	s_barrier
	s_and_saveexec_b64 s[0:1], vcc
	s_cbranch_execz .LBB112_1175
; %bb.1174:
	v_mul_f64 v[89:90], v[117:118], v[3:4]
	v_mul_f64 v[3:4], v[119:120], v[3:4]
	v_fma_f64 v[93:94], v[119:120], v[1:2], v[89:90]
	ds_read2_b64 v[89:92], v0 offset0:112 offset1:113
	v_fma_f64 v[1:2], v[117:118], v[1:2], -v[3:4]
	s_waitcnt lgkmcnt(0)
	v_mul_f64 v[3:4], v[91:92], v[93:94]
	v_fma_f64 v[3:4], v[89:90], v[1:2], -v[3:4]
	v_mul_f64 v[89:90], v[89:90], v[93:94]
	v_add_f64 v[121:122], v[121:122], -v[3:4]
	v_fma_f64 v[89:90], v[91:92], v[1:2], v[89:90]
	v_mov_b32_e32 v3, v93
	v_mov_b32_e32 v4, v94
	v_add_f64 v[123:124], v[123:124], -v[89:90]
.LBB112_1175:
	s_or_b64 exec, exec, s[0:1]
	v_lshl_add_u32 v89, v96, 4, v0
	s_barrier
	ds_write2_b64 v89, v[121:122], v[123:124] offset1:1
	s_waitcnt lgkmcnt(0)
	s_barrier
	ds_read2_b64 v[117:120], v0 offset0:112 offset1:113
	s_cmp_lt_i32 s3, 58
	v_mov_b32_e32 v89, 56
	s_cbranch_scc1 .LBB112_1178
; %bb.1176:
	v_add_u32_e32 v0, 0x390, v0
	s_mov_b32 s0, 57
	v_mov_b32_e32 v89, 56
.LBB112_1177:                           ; =>This Inner Loop Header: Depth=1
	s_waitcnt lgkmcnt(0)
	v_cmp_gt_f64_e32 vcc, 0, v[117:118]
	v_xor_b32_e32 v94, 0x80000000, v118
	ds_read2_b64 v[90:93], v0 offset1:1
	v_mov_b32_e32 v97, v117
	v_mov_b32_e32 v99, v119
	v_add_u32_e32 v0, 16, v0
	s_waitcnt lgkmcnt(0)
	v_mov_b32_e32 v101, v92
	v_cndmask_b32_e32 v98, v118, v94, vcc
	v_cmp_gt_f64_e32 vcc, 0, v[119:120]
	v_xor_b32_e32 v94, 0x80000000, v120
	v_cndmask_b32_e32 v100, v120, v94, vcc
	v_cmp_gt_f64_e32 vcc, 0, v[90:91]
	v_xor_b32_e32 v94, 0x80000000, v91
	v_add_f64 v[97:98], v[97:98], v[99:100]
	v_mov_b32_e32 v99, v90
	v_cndmask_b32_e32 v100, v91, v94, vcc
	v_cmp_gt_f64_e32 vcc, 0, v[92:93]
	v_xor_b32_e32 v94, 0x80000000, v93
	v_cndmask_b32_e32 v102, v93, v94, vcc
	v_add_f64 v[99:100], v[99:100], v[101:102]
	v_cmp_lt_f64_e32 vcc, v[97:98], v[99:100]
	v_cndmask_b32_e32 v117, v117, v90, vcc
	v_mov_b32_e32 v90, s0
	s_add_i32 s0, s0, 1
	v_cndmask_b32_e32 v118, v118, v91, vcc
	v_cndmask_b32_e32 v120, v120, v93, vcc
	;; [unrolled: 1-line block ×4, first 2 shown]
	s_cmp_lg_u32 s3, s0
	s_cbranch_scc1 .LBB112_1177
.LBB112_1178:
	s_waitcnt lgkmcnt(0)
	v_cmp_eq_f64_e32 vcc, 0, v[117:118]
	v_cmp_eq_f64_e64 s[0:1], 0, v[119:120]
	s_and_b64 s[0:1], vcc, s[0:1]
	s_and_saveexec_b64 s[18:19], s[0:1]
	s_xor_b64 s[0:1], exec, s[18:19]
; %bb.1179:
	v_cmp_ne_u32_e32 vcc, 0, v95
	v_cndmask_b32_e32 v95, 57, v95, vcc
; %bb.1180:
	s_andn2_saveexec_b64 s[0:1], s[0:1]
	s_cbranch_execz .LBB112_1186
; %bb.1181:
	v_cmp_ngt_f64_e64 s[18:19], |v[117:118]|, |v[119:120]|
	s_and_saveexec_b64 s[20:21], s[18:19]
	s_xor_b64 s[18:19], exec, s[20:21]
	s_cbranch_execz .LBB112_1183
; %bb.1182:
	v_div_scale_f64 v[90:91], s[20:21], v[119:120], v[119:120], v[117:118]
	v_rcp_f64_e32 v[92:93], v[90:91]
	v_fma_f64 v[97:98], -v[90:91], v[92:93], 1.0
	v_fma_f64 v[92:93], v[92:93], v[97:98], v[92:93]
	v_div_scale_f64 v[97:98], vcc, v[117:118], v[119:120], v[117:118]
	v_fma_f64 v[99:100], -v[90:91], v[92:93], 1.0
	v_fma_f64 v[92:93], v[92:93], v[99:100], v[92:93]
	v_mul_f64 v[99:100], v[97:98], v[92:93]
	v_fma_f64 v[90:91], -v[90:91], v[99:100], v[97:98]
	v_div_fmas_f64 v[90:91], v[90:91], v[92:93], v[99:100]
	v_div_fixup_f64 v[90:91], v[90:91], v[119:120], v[117:118]
	v_fma_f64 v[92:93], v[117:118], v[90:91], v[119:120]
	v_div_scale_f64 v[97:98], s[20:21], v[92:93], v[92:93], 1.0
	v_div_scale_f64 v[103:104], vcc, 1.0, v[92:93], 1.0
	v_rcp_f64_e32 v[99:100], v[97:98]
	v_fma_f64 v[101:102], -v[97:98], v[99:100], 1.0
	v_fma_f64 v[99:100], v[99:100], v[101:102], v[99:100]
	v_fma_f64 v[101:102], -v[97:98], v[99:100], 1.0
	v_fma_f64 v[99:100], v[99:100], v[101:102], v[99:100]
	v_mul_f64 v[101:102], v[103:104], v[99:100]
	v_fma_f64 v[97:98], -v[97:98], v[101:102], v[103:104]
	v_div_fmas_f64 v[97:98], v[97:98], v[99:100], v[101:102]
	v_div_fixup_f64 v[119:120], v[97:98], v[92:93], 1.0
	v_mul_f64 v[117:118], v[90:91], v[119:120]
	v_xor_b32_e32 v120, 0x80000000, v120
.LBB112_1183:
	s_andn2_saveexec_b64 s[18:19], s[18:19]
	s_cbranch_execz .LBB112_1185
; %bb.1184:
	v_div_scale_f64 v[90:91], s[20:21], v[117:118], v[117:118], v[119:120]
	v_rcp_f64_e32 v[92:93], v[90:91]
	v_fma_f64 v[97:98], -v[90:91], v[92:93], 1.0
	v_fma_f64 v[92:93], v[92:93], v[97:98], v[92:93]
	v_div_scale_f64 v[97:98], vcc, v[119:120], v[117:118], v[119:120]
	v_fma_f64 v[99:100], -v[90:91], v[92:93], 1.0
	v_fma_f64 v[92:93], v[92:93], v[99:100], v[92:93]
	v_mul_f64 v[99:100], v[97:98], v[92:93]
	v_fma_f64 v[90:91], -v[90:91], v[99:100], v[97:98]
	v_div_fmas_f64 v[90:91], v[90:91], v[92:93], v[99:100]
	v_div_fixup_f64 v[90:91], v[90:91], v[117:118], v[119:120]
	v_fma_f64 v[92:93], v[119:120], v[90:91], v[117:118]
	v_div_scale_f64 v[97:98], s[20:21], v[92:93], v[92:93], 1.0
	v_div_scale_f64 v[103:104], vcc, 1.0, v[92:93], 1.0
	v_rcp_f64_e32 v[99:100], v[97:98]
	v_fma_f64 v[101:102], -v[97:98], v[99:100], 1.0
	v_fma_f64 v[99:100], v[99:100], v[101:102], v[99:100]
	v_fma_f64 v[101:102], -v[97:98], v[99:100], 1.0
	v_fma_f64 v[99:100], v[99:100], v[101:102], v[99:100]
	v_mul_f64 v[101:102], v[103:104], v[99:100]
	v_fma_f64 v[97:98], -v[97:98], v[101:102], v[103:104]
	v_div_fmas_f64 v[97:98], v[97:98], v[99:100], v[101:102]
	v_div_fixup_f64 v[117:118], v[97:98], v[92:93], 1.0
	v_mul_f64 v[119:120], v[90:91], -v[117:118]
.LBB112_1185:
	s_or_b64 exec, exec, s[18:19]
.LBB112_1186:
	s_or_b64 exec, exec, s[0:1]
	v_cmp_ne_u32_e32 vcc, v96, v89
	v_mov_b32_e32 v90, 56
	s_and_saveexec_b64 s[0:1], vcc
	s_cbranch_execz .LBB112_1192
; %bb.1187:
	v_cmp_eq_u32_e32 vcc, 56, v96
	s_and_saveexec_b64 s[18:19], vcc
	s_cbranch_execz .LBB112_1191
; %bb.1188:
	v_cmp_ne_u32_e32 vcc, 56, v89
	s_xor_b64 s[6:7], s[6:7], -1
	s_and_b64 s[20:21], s[6:7], vcc
	s_and_saveexec_b64 s[6:7], s[20:21]
	s_cbranch_execz .LBB112_1190
; %bb.1189:
	buffer_load_dword v81, off, s[24:27], 0 offset:464 ; 4-byte Folded Reload
	buffer_load_dword v82, off, s[24:27], 0 offset:468 ; 4-byte Folded Reload
	v_ashrrev_i32_e32 v90, 31, v89
	v_lshlrev_b64 v[90:91], 2, v[89:90]
	s_waitcnt vmcnt(1)
	v_add_co_u32_e32 v90, vcc, v81, v90
	s_waitcnt vmcnt(0)
	v_addc_co_u32_e32 v91, vcc, v82, v91, vcc
	global_load_dword v0, v[90:91], off
	global_load_dword v92, v[81:82], off offset:224
	s_waitcnt vmcnt(1)
	global_store_dword v[81:82], v0, off offset:224
	v_mov_b32_e32 v81, v105
	v_mov_b32_e32 v82, v106
	;; [unrolled: 1-line block ×4, first 2 shown]
	s_waitcnt vmcnt(1)
	global_store_dword v[90:91], v92, off
.LBB112_1190:
	s_or_b64 exec, exec, s[6:7]
	v_mov_b32_e32 v96, v89
	v_mov_b32_e32 v127, v89
.LBB112_1191:
	s_or_b64 exec, exec, s[18:19]
	v_mov_b32_e32 v90, v96
.LBB112_1192:
	s_or_b64 exec, exec, s[0:1]
	v_cmp_gt_i32_e32 vcc, 57, v90
	v_ashrrev_i32_e32 v91, 31, v90
	s_waitcnt vmcnt(0)
	s_barrier
	s_barrier
	s_and_saveexec_b64 s[0:1], vcc
	s_cbranch_execz .LBB112_1194
; %bb.1193:
	buffer_load_dword v57, off, s[24:27], 0 offset:544 ; 4-byte Folded Reload
	buffer_load_dword v58, off, s[24:27], 0 offset:548 ; 4-byte Folded Reload
	s_waitcnt vmcnt(1)
	v_mul_lo_u32 v0, s15, v57
	s_waitcnt vmcnt(0)
	v_mul_lo_u32 v89, s14, v58
	v_mad_u64_u32 v[92:93], s[6:7], s14, v57, 0
	s_lshl_b64 s[6:7], s[12:13], 2
	v_add3_u32 v93, v93, v89, v0
	v_lshlrev_b64 v[92:93], 2, v[92:93]
	v_mov_b32_e32 v0, s11
	v_add_co_u32_e32 v89, vcc, s10, v92
	v_addc_co_u32_e32 v0, vcc, v0, v93, vcc
	v_mov_b32_e32 v92, s7
	v_add_co_u32_e32 v89, vcc, s6, v89
	v_addc_co_u32_e32 v0, vcc, v0, v92, vcc
	v_lshlrev_b64 v[92:93], 2, v[90:91]
	v_add_co_u32_e32 v92, vcc, v89, v92
	v_addc_co_u32_e32 v93, vcc, v0, v93, vcc
	v_add3_u32 v0, v127, s17, 1
	global_store_dword v[92:93], v0, off
.LBB112_1194:
	s_or_b64 exec, exec, s[0:1]
	v_cmp_eq_u32_e32 vcc, 0, v90
	s_and_saveexec_b64 s[6:7], vcc
	s_cbranch_execz .LBB112_1197
; %bb.1195:
	buffer_load_dword v57, off, s[24:27], 0 offset:544 ; 4-byte Folded Reload
	buffer_load_dword v58, off, s[24:27], 0 offset:548 ; 4-byte Folded Reload
	v_mov_b32_e32 v0, s5
	v_cmp_ne_u32_e64 s[0:1], 0, v95
	s_waitcnt vmcnt(0)
	v_lshlrev_b64 v[92:93], 2, v[57:58]
	v_add_co_u32_e32 v92, vcc, s4, v92
	v_addc_co_u32_e32 v93, vcc, v0, v93, vcc
	global_load_dword v0, v[92:93], off
	s_waitcnt vmcnt(0)
	v_cmp_eq_u32_e32 vcc, 0, v0
	s_and_b64 s[0:1], vcc, s[0:1]
	s_and_b64 exec, exec, s[0:1]
	s_cbranch_execz .LBB112_1197
; %bb.1196:
	v_add_u32_e32 v0, s17, v95
	global_store_dword v[92:93], v0, off
.LBB112_1197:
	s_or_b64 exec, exec, s[6:7]
	v_mul_f64 v[92:93], v[117:118], v[123:124]
	v_mul_f64 v[94:95], v[119:120], v[123:124]
	v_cmp_lt_i32_e32 vcc, 56, v90
	v_mov_b32_e32 v0, s9
	v_add_u32_e32 v89, s16, v90
	v_fma_f64 v[92:93], v[119:120], v[121:122], v[92:93]
	v_fma_f64 v[94:95], v[117:118], v[121:122], -v[94:95]
	v_cndmask_b32_e32 v120, v124, v93, vcc
	buffer_load_dword v93, off, s[24:27], 0 offset:536 ; 4-byte Folded Reload
	v_cndmask_b32_e32 v117, v121, v94, vcc
	buffer_load_dword v94, off, s[24:27], 0 offset:540 ; 4-byte Folded Reload
	buffer_load_dword v57, off, s[24:27], 0 offset:520 ; 4-byte Folded Reload
	;; [unrolled: 1-line block ×5, first 2 shown]
	v_cndmask_b32_e32 v119, v123, v92, vcc
	v_lshlrev_b64 v[91:92], 4, v[90:91]
	v_cndmask_b32_e32 v118, v122, v95, vcc
	v_ashrrev_i32_e32 v90, 31, v89
	s_waitcnt vmcnt(5)
	v_add_co_u32_e32 v91, vcc, v93, v91
	s_waitcnt vmcnt(4)
	v_addc_co_u32_e32 v92, vcc, v94, v92, vcc
	s_waitcnt vmcnt(0)
	global_store_dwordx4 v[91:92], v[57:60], off
	buffer_load_dword v57, off, s[24:27], 0 offset:504 ; 4-byte Folded Reload
	s_nop 0
	buffer_load_dword v58, off, s[24:27], 0 offset:508 ; 4-byte Folded Reload
	buffer_load_dword v59, off, s[24:27], 0 offset:512 ; 4-byte Folded Reload
	;; [unrolled: 1-line block ×3, first 2 shown]
	v_add_co_u32_e32 v91, vcc, s8, v91
	v_addc_co_u32_e32 v92, vcc, v92, v0, vcc
	s_waitcnt vmcnt(0)
	global_store_dwordx4 v[91:92], v[57:60], off
	buffer_load_dword v57, off, s[24:27], 0 offset:488 ; 4-byte Folded Reload
	s_nop 0
	buffer_load_dword v58, off, s[24:27], 0 offset:492 ; 4-byte Folded Reload
	buffer_load_dword v59, off, s[24:27], 0 offset:496 ; 4-byte Folded Reload
	;; [unrolled: 1-line block ×3, first 2 shown]
	v_lshlrev_b64 v[90:91], 4, v[89:90]
	v_add_u32_e32 v89, s2, v89
	v_add_co_u32_e32 v90, vcc, v93, v90
	v_addc_co_u32_e32 v91, vcc, v94, v91, vcc
	s_waitcnt vmcnt(0)
	global_store_dwordx4 v[90:91], v[57:60], off
	buffer_load_dword v57, off, s[24:27], 0 offset:472 ; 4-byte Folded Reload
	s_nop 0
	buffer_load_dword v58, off, s[24:27], 0 offset:476 ; 4-byte Folded Reload
	buffer_load_dword v59, off, s[24:27], 0 offset:480 ; 4-byte Folded Reload
	buffer_load_dword v60, off, s[24:27], 0 offset:484 ; 4-byte Folded Reload
	v_ashrrev_i32_e32 v90, 31, v89
	v_lshlrev_b64 v[90:91], 4, v[89:90]
	v_add_u32_e32 v89, s2, v89
	v_add_co_u32_e32 v90, vcc, v93, v90
	v_addc_co_u32_e32 v91, vcc, v94, v91, vcc
	s_waitcnt vmcnt(0)
	global_store_dwordx4 v[90:91], v[57:60], off
	buffer_load_dword v57, off, s[24:27], 0 offset:448 ; 4-byte Folded Reload
	s_nop 0
	buffer_load_dword v58, off, s[24:27], 0 offset:452 ; 4-byte Folded Reload
	buffer_load_dword v59, off, s[24:27], 0 offset:456 ; 4-byte Folded Reload
	buffer_load_dword v60, off, s[24:27], 0 offset:460 ; 4-byte Folded Reload
	v_ashrrev_i32_e32 v90, 31, v89
	;; [unrolled: 12-line block ×29, first 2 shown]
	v_lshlrev_b64 v[90:91], 4, v[89:90]
	v_add_u32_e32 v89, s2, v89
	v_add_co_u32_e32 v90, vcc, v93, v90
	v_addc_co_u32_e32 v91, vcc, v94, v91, vcc
	s_waitcnt vmcnt(0)
	global_store_dwordx4 v[90:91], v[57:60], off
	v_ashrrev_i32_e32 v90, 31, v89
	v_lshlrev_b64 v[90:91], 4, v[89:90]
	v_add_u32_e32 v89, s2, v89
	v_add_co_u32_e32 v90, vcc, v93, v90
	v_addc_co_u32_e32 v91, vcc, v94, v91, vcc
	global_store_dwordx4 v[90:91], v[81:84], off
	v_ashrrev_i32_e32 v90, 31, v89
	v_lshlrev_b64 v[90:91], 4, v[89:90]
	v_add_u32_e32 v89, s2, v89
	v_add_co_u32_e32 v90, vcc, v93, v90
	v_addc_co_u32_e32 v91, vcc, v94, v91, vcc
	global_store_dwordx4 v[90:91], v[85:88], off
	v_ashrrev_i32_e32 v90, 31, v89
	v_lshlrev_b64 v[90:91], 4, v[89:90]
	v_add_u32_e32 v85, s2, v89
	v_ashrrev_i32_e32 v86, 31, v85
	v_add_co_u32_e32 v90, vcc, v93, v90
	v_lshlrev_b64 v[86:87], 4, v[85:86]
	v_add_u32_e32 v81, s2, v85
	v_addc_co_u32_e32 v91, vcc, v94, v91, vcc
	v_ashrrev_i32_e32 v82, 31, v81
	v_add_co_u32_e32 v86, vcc, v93, v86
	v_lshlrev_b64 v[82:83], 4, v[81:82]
	v_addc_co_u32_e32 v87, vcc, v94, v87, vcc
	v_add_co_u32_e32 v82, vcc, v93, v82
	v_addc_co_u32_e32 v83, vcc, v94, v83, vcc
	global_store_dwordx4 v[90:91], v[109:112], off
	global_store_dwordx4 v[86:87], v[113:116], off
	;; [unrolled: 1-line block ×3, first 2 shown]
	s_nop 0
	v_add_u32_e32 v77, s2, v81
	v_ashrrev_i32_e32 v78, 31, v77
	v_lshlrev_b64 v[78:79], 4, v[77:78]
	v_add_co_u32_e32 v78, vcc, v93, v78
	v_addc_co_u32_e32 v79, vcc, v94, v79, vcc
	global_store_dwordx4 v[78:79], v[73:76], off
	s_nop 0
	v_add_u32_e32 v73, s2, v77
	v_ashrrev_i32_e32 v74, 31, v73
	v_lshlrev_b64 v[74:75], 4, v[73:74]
	v_add_co_u32_e32 v74, vcc, v93, v74
	v_addc_co_u32_e32 v75, vcc, v94, v75, vcc
	global_store_dwordx4 v[74:75], v[69:72], off
	;; [unrolled: 7-line block ×4, first 2 shown]
	buffer_load_dword v57, off, s[24:27], 0 ; 4-byte Folded Reload
	buffer_load_dword v58, off, s[24:27], 0 offset:4 ; 4-byte Folded Reload
	buffer_load_dword v59, off, s[24:27], 0 offset:8 ; 4-byte Folded Reload
	;; [unrolled: 1-line block ×3, first 2 shown]
	v_add_u32_e32 v61, s2, v65
	v_ashrrev_i32_e32 v62, 31, v61
	v_lshlrev_b64 v[62:63], 4, v[61:62]
	v_add_co_u32_e32 v62, vcc, v93, v62
	v_addc_co_u32_e32 v63, vcc, v94, v63, vcc
	s_waitcnt vmcnt(0)
	global_store_dwordx4 v[62:63], v[57:60], off
	s_nop 0
	v_add_u32_e32 v57, s2, v61
	v_ashrrev_i32_e32 v58, 31, v57
	v_lshlrev_b64 v[58:59], 4, v[57:58]
	v_add_co_u32_e32 v58, vcc, v93, v58
	v_addc_co_u32_e32 v59, vcc, v94, v59, vcc
	global_store_dwordx4 v[58:59], v[53:56], off
	s_nop 0
	v_add_u32_e32 v53, s2, v57
	v_ashrrev_i32_e32 v54, 31, v53
	v_lshlrev_b64 v[54:55], 4, v[53:54]
	v_add_co_u32_e32 v54, vcc, v93, v54
	v_addc_co_u32_e32 v55, vcc, v94, v55, vcc
	;; [unrolled: 7-line block ×13, first 2 shown]
	global_store_dwordx4 v[10:11], v[5:8], off
	s_nop 0
	v_add_u32_e32 v5, s2, v9
	v_ashrrev_i32_e32 v6, 31, v5
	v_lshlrev_b64 v[6:7], 4, v[5:6]
	v_add_u32_e32 v0, s2, v5
	v_add_co_u32_e32 v6, vcc, v93, v6
	v_addc_co_u32_e32 v7, vcc, v94, v7, vcc
	global_store_dwordx4 v[6:7], v[1:4], off
	s_nop 0
	v_ashrrev_i32_e32 v1, 31, v0
	v_lshlrev_b64 v[0:1], 4, v[0:1]
	v_add_co_u32_e32 v0, vcc, v93, v0
	v_addc_co_u32_e32 v1, vcc, v94, v1, vcc
	global_store_dwordx4 v[0:1], v[117:120], off
.LBB112_1198:
	s_endpgm
	.section	.rodata,"a",@progbits
	.p2align	6, 0x0
	.amdhsa_kernel _ZN9rocsolver6v33100L18getf2_small_kernelILi57E19rocblas_complex_numIdEiiPS3_EEvT1_T3_lS5_lPS5_llPT2_S5_S5_S7_l
		.amdhsa_group_segment_fixed_size 0
		.amdhsa_private_segment_fixed_size 560
		.amdhsa_kernarg_size 352
		.amdhsa_user_sgpr_count 6
		.amdhsa_user_sgpr_private_segment_buffer 1
		.amdhsa_user_sgpr_dispatch_ptr 0
		.amdhsa_user_sgpr_queue_ptr 0
		.amdhsa_user_sgpr_kernarg_segment_ptr 1
		.amdhsa_user_sgpr_dispatch_id 0
		.amdhsa_user_sgpr_flat_scratch_init 0
		.amdhsa_user_sgpr_private_segment_size 0
		.amdhsa_uses_dynamic_stack 0
		.amdhsa_system_sgpr_private_segment_wavefront_offset 1
		.amdhsa_system_sgpr_workgroup_id_x 1
		.amdhsa_system_sgpr_workgroup_id_y 1
		.amdhsa_system_sgpr_workgroup_id_z 0
		.amdhsa_system_sgpr_workgroup_info 0
		.amdhsa_system_vgpr_workitem_id 1
		.amdhsa_next_free_vgpr 128
		.amdhsa_next_free_sgpr 30
		.amdhsa_reserve_vcc 1
		.amdhsa_reserve_flat_scratch 0
		.amdhsa_float_round_mode_32 0
		.amdhsa_float_round_mode_16_64 0
		.amdhsa_float_denorm_mode_32 3
		.amdhsa_float_denorm_mode_16_64 3
		.amdhsa_dx10_clamp 1
		.amdhsa_ieee_mode 1
		.amdhsa_fp16_overflow 0
		.amdhsa_exception_fp_ieee_invalid_op 0
		.amdhsa_exception_fp_denorm_src 0
		.amdhsa_exception_fp_ieee_div_zero 0
		.amdhsa_exception_fp_ieee_overflow 0
		.amdhsa_exception_fp_ieee_underflow 0
		.amdhsa_exception_fp_ieee_inexact 0
		.amdhsa_exception_int_div_zero 0
	.end_amdhsa_kernel
	.section	.text._ZN9rocsolver6v33100L18getf2_small_kernelILi57E19rocblas_complex_numIdEiiPS3_EEvT1_T3_lS5_lPS5_llPT2_S5_S5_S7_l,"axG",@progbits,_ZN9rocsolver6v33100L18getf2_small_kernelILi57E19rocblas_complex_numIdEiiPS3_EEvT1_T3_lS5_lPS5_llPT2_S5_S5_S7_l,comdat
.Lfunc_end112:
	.size	_ZN9rocsolver6v33100L18getf2_small_kernelILi57E19rocblas_complex_numIdEiiPS3_EEvT1_T3_lS5_lPS5_llPT2_S5_S5_S7_l, .Lfunc_end112-_ZN9rocsolver6v33100L18getf2_small_kernelILi57E19rocblas_complex_numIdEiiPS3_EEvT1_T3_lS5_lPS5_llPT2_S5_S5_S7_l
                                        ; -- End function
	.set _ZN9rocsolver6v33100L18getf2_small_kernelILi57E19rocblas_complex_numIdEiiPS3_EEvT1_T3_lS5_lPS5_llPT2_S5_S5_S7_l.num_vgpr, 128
	.set _ZN9rocsolver6v33100L18getf2_small_kernelILi57E19rocblas_complex_numIdEiiPS3_EEvT1_T3_lS5_lPS5_llPT2_S5_S5_S7_l.num_agpr, 0
	.set _ZN9rocsolver6v33100L18getf2_small_kernelILi57E19rocblas_complex_numIdEiiPS3_EEvT1_T3_lS5_lPS5_llPT2_S5_S5_S7_l.numbered_sgpr, 30
	.set _ZN9rocsolver6v33100L18getf2_small_kernelILi57E19rocblas_complex_numIdEiiPS3_EEvT1_T3_lS5_lPS5_llPT2_S5_S5_S7_l.num_named_barrier, 0
	.set _ZN9rocsolver6v33100L18getf2_small_kernelILi57E19rocblas_complex_numIdEiiPS3_EEvT1_T3_lS5_lPS5_llPT2_S5_S5_S7_l.private_seg_size, 560
	.set _ZN9rocsolver6v33100L18getf2_small_kernelILi57E19rocblas_complex_numIdEiiPS3_EEvT1_T3_lS5_lPS5_llPT2_S5_S5_S7_l.uses_vcc, 1
	.set _ZN9rocsolver6v33100L18getf2_small_kernelILi57E19rocblas_complex_numIdEiiPS3_EEvT1_T3_lS5_lPS5_llPT2_S5_S5_S7_l.uses_flat_scratch, 0
	.set _ZN9rocsolver6v33100L18getf2_small_kernelILi57E19rocblas_complex_numIdEiiPS3_EEvT1_T3_lS5_lPS5_llPT2_S5_S5_S7_l.has_dyn_sized_stack, 0
	.set _ZN9rocsolver6v33100L18getf2_small_kernelILi57E19rocblas_complex_numIdEiiPS3_EEvT1_T3_lS5_lPS5_llPT2_S5_S5_S7_l.has_recursion, 0
	.set _ZN9rocsolver6v33100L18getf2_small_kernelILi57E19rocblas_complex_numIdEiiPS3_EEvT1_T3_lS5_lPS5_llPT2_S5_S5_S7_l.has_indirect_call, 0
	.section	.AMDGPU.csdata,"",@progbits
; Kernel info:
; codeLenInByte = 232416
; TotalNumSgprs: 34
; NumVgprs: 128
; ScratchSize: 560
; MemoryBound: 0
; FloatMode: 240
; IeeeMode: 1
; LDSByteSize: 0 bytes/workgroup (compile time only)
; SGPRBlocks: 4
; VGPRBlocks: 31
; NumSGPRsForWavesPerEU: 34
; NumVGPRsForWavesPerEU: 128
; Occupancy: 2
; WaveLimiterHint : 0
; COMPUTE_PGM_RSRC2:SCRATCH_EN: 1
; COMPUTE_PGM_RSRC2:USER_SGPR: 6
; COMPUTE_PGM_RSRC2:TRAP_HANDLER: 0
; COMPUTE_PGM_RSRC2:TGID_X_EN: 1
; COMPUTE_PGM_RSRC2:TGID_Y_EN: 1
; COMPUTE_PGM_RSRC2:TGID_Z_EN: 0
; COMPUTE_PGM_RSRC2:TIDIG_COMP_CNT: 1
	.section	.text._ZN9rocsolver6v33100L23getf2_npvt_small_kernelILi57E19rocblas_complex_numIdEiiPS3_EEvT1_T3_lS5_lPT2_S5_S5_,"axG",@progbits,_ZN9rocsolver6v33100L23getf2_npvt_small_kernelILi57E19rocblas_complex_numIdEiiPS3_EEvT1_T3_lS5_lPT2_S5_S5_,comdat
	.globl	_ZN9rocsolver6v33100L23getf2_npvt_small_kernelILi57E19rocblas_complex_numIdEiiPS3_EEvT1_T3_lS5_lPT2_S5_S5_ ; -- Begin function _ZN9rocsolver6v33100L23getf2_npvt_small_kernelILi57E19rocblas_complex_numIdEiiPS3_EEvT1_T3_lS5_lPT2_S5_S5_
	.p2align	8
	.type	_ZN9rocsolver6v33100L23getf2_npvt_small_kernelILi57E19rocblas_complex_numIdEiiPS3_EEvT1_T3_lS5_lPT2_S5_S5_,@function
_ZN9rocsolver6v33100L23getf2_npvt_small_kernelILi57E19rocblas_complex_numIdEiiPS3_EEvT1_T3_lS5_lPT2_S5_S5_: ; @_ZN9rocsolver6v33100L23getf2_npvt_small_kernelILi57E19rocblas_complex_numIdEiiPS3_EEvT1_T3_lS5_lPT2_S5_S5_
; %bb.0:
	s_mov_b64 s[22:23], s[2:3]
	s_mov_b64 s[20:21], s[0:1]
	s_load_dword s0, s[4:5], 0x44
	s_load_dwordx2 s[12:13], s[4:5], 0x30
	s_add_u32 s20, s20, s8
	s_addc_u32 s21, s21, 0
	s_waitcnt lgkmcnt(0)
	s_lshr_b32 s2, s0, 16
	s_mul_i32 s7, s7, s2
	v_add_u32_e32 v2, s7, v1
	v_cmp_gt_i32_e32 vcc, s12, v2
	s_and_saveexec_b64 s[0:1], vcc
	s_cbranch_execnz .LBB113_1
; %bb.517:
	s_getpc_b64 s[14:15]
.Lpost_getpc27:
	s_add_u32 s14, s14, (.LBB113_516-.Lpost_getpc27)&4294967295
	s_addc_u32 s15, s15, (.LBB113_516-.Lpost_getpc27)>>32
	s_setpc_b64 s[14:15]
.LBB113_1:
	s_load_dwordx4 s[8:11], s[4:5], 0x20
	s_load_dwordx4 s[16:19], s[4:5], 0x8
	v_ashrrev_i32_e32 v3, 31, v2
	s_mulk_i32 s2, 0x390
	s_waitcnt lgkmcnt(0)
	v_mul_lo_u32 v4, s9, v2
	v_mul_lo_u32 v5, s8, v3
	buffer_store_dword v2, off, s[20:23], 0 offset:1864 ; 4-byte Folded Spill
	s_nop 0
	buffer_store_dword v3, off, s[20:23], 0 offset:1868 ; 4-byte Folded Spill
	v_mov_b32_e32 v6, s17
	v_mad_u64_u32 v[2:3], s[0:1], s8, v2, 0
	s_load_dword s0, s[4:5], 0x18
	s_lshl_b64 s[4:5], s[18:19], 4
	v_add3_u32 v3, v3, v5, v4
	v_lshlrev_b64 v[2:3], 4, v[2:3]
	v_mov_b32_e32 v4, s5
	v_add_co_u32_e32 v2, vcc, s16, v2
	v_addc_co_u32_e32 v3, vcc, v6, v3, vcc
	v_add_co_u32_e32 v2, vcc, s4, v2
	s_waitcnt lgkmcnt(0)
	s_add_i32 s1, s0, s0
	v_addc_co_u32_e32 v3, vcc, v3, v4, vcc
	v_add_u32_e32 v4, s1, v0
	v_ashrrev_i32_e32 v5, 31, v4
	v_lshlrev_b64 v[5:6], 4, v[4:5]
	v_add_u32_e32 v4, s0, v4
	v_add_co_u32_e32 v71, vcc, v2, v5
	v_ashrrev_i32_e32 v5, 31, v4
	v_addc_co_u32_e32 v72, vcc, v3, v6, vcc
	v_lshlrev_b64 v[5:6], 4, v[4:5]
	v_add_u32_e32 v4, s0, v4
	v_add_co_u32_e32 v73, vcc, v2, v5
	v_ashrrev_i32_e32 v5, 31, v4
	v_addc_co_u32_e32 v74, vcc, v3, v6, vcc
	;; [unrolled: 5-line block ×53, first 2 shown]
	v_lshlrev_b64 v[5:6], 4, v[4:5]
	v_add_u32_e32 v4, s0, v4
	v_add_co_u32_e32 v91, vcc, v2, v5
	v_ashrrev_i32_e32 v5, 31, v4
	v_lshlrev_b64 v[4:5], 4, v[4:5]
	v_addc_co_u32_e32 v92, vcc, v3, v6, vcc
	v_add_co_u32_e32 v119, vcc, v2, v4
	v_addc_co_u32_e32 v120, vcc, v3, v5, vcc
	v_lshlrev_b32_e32 v4, 4, v0
	v_add_co_u32_e32 v4, vcc, v2, v4
	s_ashr_i32 s1, s0, 31
	v_addc_co_u32_e32 v5, vcc, 0, v3, vcc
	s_lshl_b64 s[0:1], s[0:1], 4
	v_mov_b32_e32 v2, s1
	v_add_co_u32_e32 v77, vcc, s0, v4
	v_addc_co_u32_e32 v78, vcc, v5, v2, vcc
	buffer_store_dword v4, off, s[20:23], 0 offset:1144 ; 4-byte Folded Spill
	s_nop 0
	buffer_store_dword v5, off, s[20:23], 0 offset:1148 ; 4-byte Folded Spill
	s_movk_i32 s0, 0x390
	s_add_i32 s1, s2, 0
	v_mad_u32_u24 v125, v1, s0, 0
	v_lshl_add_u32 v127, v1, 4, s1
	v_cmp_ne_u32_e64 s[2:3], 0, v0
	v_cmp_eq_u32_e64 s[0:1], 0, v0
	global_load_dwordx4 v[1:4], v[4:5], off
	s_waitcnt vmcnt(0)
	buffer_store_dword v1, off, s[20:23], 0 offset:704 ; 4-byte Folded Spill
	s_nop 0
	buffer_store_dword v2, off, s[20:23], 0 offset:708 ; 4-byte Folded Spill
	buffer_store_dword v3, off, s[20:23], 0 offset:712 ; 4-byte Folded Spill
	buffer_store_dword v4, off, s[20:23], 0 offset:716 ; 4-byte Folded Spill
	buffer_store_dword v77, off, s[20:23], 0 offset:1152 ; 4-byte Folded Spill
	s_nop 0
	buffer_store_dword v78, off, s[20:23], 0 offset:1156 ; 4-byte Folded Spill
	global_load_dwordx4 v[1:4], v[77:78], off
	s_waitcnt vmcnt(0)
	buffer_store_dword v1, off, s[20:23], 0 offset:688 ; 4-byte Folded Spill
	s_nop 0
	buffer_store_dword v2, off, s[20:23], 0 offset:692 ; 4-byte Folded Spill
	buffer_store_dword v3, off, s[20:23], 0 offset:696 ; 4-byte Folded Spill
	buffer_store_dword v4, off, s[20:23], 0 offset:700 ; 4-byte Folded Spill
	buffer_store_dword v71, off, s[20:23], 0 offset:1104 ; 4-byte Folded Spill
	s_nop 0
	buffer_store_dword v72, off, s[20:23], 0 offset:1108 ; 4-byte Folded Spill
	;; [unrolled: 10-line block ×34, first 2 shown]
	global_load_dwordx4 v[1:4], v[61:62], off
	s_nop 0
	buffer_store_dword v63, off, s[20:23], 0 offset:944 ; 4-byte Folded Spill
	s_nop 0
	buffer_store_dword v64, off, s[20:23], 0 offset:948 ; 4-byte Folded Spill
	global_load_dwordx4 v[5:8], v[63:64], off
	s_waitcnt vmcnt(0)
	buffer_store_dword v5, off, s[20:23], 0 offset:160 ; 4-byte Folded Spill
	s_nop 0
	buffer_store_dword v6, off, s[20:23], 0 offset:164 ; 4-byte Folded Spill
	buffer_store_dword v7, off, s[20:23], 0 offset:168 ; 4-byte Folded Spill
	buffer_store_dword v8, off, s[20:23], 0 offset:172 ; 4-byte Folded Spill
	buffer_store_dword v65, off, s[20:23], 0 offset:952 ; 4-byte Folded Spill
	s_nop 0
	buffer_store_dword v66, off, s[20:23], 0 offset:956 ; 4-byte Folded Spill
	global_load_dwordx4 v[5:8], v[65:66], off
	s_waitcnt vmcnt(0)
	buffer_store_dword v5, off, s[20:23], 0 offset:144 ; 4-byte Folded Spill
	s_nop 0
	buffer_store_dword v6, off, s[20:23], 0 offset:148 ; 4-byte Folded Spill
	buffer_store_dword v7, off, s[20:23], 0 offset:152 ; 4-byte Folded Spill
	buffer_store_dword v8, off, s[20:23], 0 offset:156 ; 4-byte Folded Spill
	;; [unrolled: 10-line block ×5, first 2 shown]
	buffer_store_dword v93, off, s[20:23], 0 offset:984 ; 4-byte Folded Spill
	s_nop 0
	buffer_store_dword v94, off, s[20:23], 0 offset:988 ; 4-byte Folded Spill
	v_mov_b32_e32 v87, v91
	v_mov_b32_e32 v88, v92
	global_load_dwordx4 v[5:8], v[93:94], off
	s_waitcnt vmcnt(0)
	buffer_store_dword v5, off, s[20:23], 0 offset:80 ; 4-byte Folded Spill
	s_nop 0
	buffer_store_dword v6, off, s[20:23], 0 offset:84 ; 4-byte Folded Spill
	buffer_store_dword v7, off, s[20:23], 0 offset:88 ; 4-byte Folded Spill
	;; [unrolled: 1-line block ×4, first 2 shown]
	s_nop 0
	buffer_store_dword v96, off, s[20:23], 0 offset:996 ; 4-byte Folded Spill
	v_mov_b32_e32 v94, v4
	v_mov_b32_e32 v93, v3
	;; [unrolled: 1-line block ×4, first 2 shown]
	global_load_dwordx4 v[5:8], v[95:96], off
	s_waitcnt vmcnt(0)
	buffer_store_dword v5, off, s[20:23], 0 offset:64 ; 4-byte Folded Spill
	s_nop 0
	buffer_store_dword v6, off, s[20:23], 0 offset:68 ; 4-byte Folded Spill
	buffer_store_dword v7, off, s[20:23], 0 offset:72 ; 4-byte Folded Spill
	buffer_store_dword v8, off, s[20:23], 0 offset:76 ; 4-byte Folded Spill
	buffer_store_dword v97, off, s[20:23], 0 offset:1000 ; 4-byte Folded Spill
	s_nop 0
	buffer_store_dword v98, off, s[20:23], 0 offset:1004 ; 4-byte Folded Spill
	global_load_dwordx4 v[5:8], v[97:98], off
	s_waitcnt vmcnt(0)
	buffer_store_dword v5, off, s[20:23], 0 offset:48 ; 4-byte Folded Spill
	s_nop 0
	buffer_store_dword v6, off, s[20:23], 0 offset:52 ; 4-byte Folded Spill
	buffer_store_dword v7, off, s[20:23], 0 offset:56 ; 4-byte Folded Spill
	buffer_store_dword v8, off, s[20:23], 0 offset:60 ; 4-byte Folded Spill
	buffer_store_dword v99, off, s[20:23], 0 offset:1008 ; 4-byte Folded Spill
	s_nop 0
	buffer_store_dword v100, off, s[20:23], 0 offset:1012 ; 4-byte Folded Spill
	global_load_dwordx4 v[5:8], v[99:100], off
	s_waitcnt vmcnt(0)
	buffer_store_dword v5, off, s[20:23], 0 offset:32 ; 4-byte Folded Spill
	s_nop 0
	buffer_store_dword v6, off, s[20:23], 0 offset:36 ; 4-byte Folded Spill
	buffer_store_dword v7, off, s[20:23], 0 offset:40 ; 4-byte Folded Spill
	buffer_store_dword v8, off, s[20:23], 0 offset:44 ; 4-byte Folded Spill
	buffer_store_dword v101, off, s[20:23], 0 offset:1016 ; 4-byte Folded Spill
	s_nop 0
	buffer_store_dword v102, off, s[20:23], 0 offset:1020 ; 4-byte Folded Spill
	global_load_dwordx4 v[5:8], v[101:102], off
	s_waitcnt vmcnt(0)
	buffer_store_dword v5, off, s[20:23], 0 offset:16 ; 4-byte Folded Spill
	s_nop 0
	buffer_store_dword v6, off, s[20:23], 0 offset:20 ; 4-byte Folded Spill
	buffer_store_dword v7, off, s[20:23], 0 offset:24 ; 4-byte Folded Spill
	buffer_store_dword v8, off, s[20:23], 0 offset:28 ; 4-byte Folded Spill
	buffer_store_dword v103, off, s[20:23], 0 offset:1024 ; 4-byte Folded Spill
	s_nop 0
	buffer_store_dword v104, off, s[20:23], 0 offset:1028 ; 4-byte Folded Spill
	global_load_dwordx4 v[5:8], v[103:104], off
	s_waitcnt vmcnt(0)
	buffer_store_dword v5, off, s[20:23], 0 ; 4-byte Folded Spill
	s_nop 0
	buffer_store_dword v6, off, s[20:23], 0 offset:4 ; 4-byte Folded Spill
	buffer_store_dword v7, off, s[20:23], 0 offset:8 ; 4-byte Folded Spill
	;; [unrolled: 1-line block ×4, first 2 shown]
	s_nop 0
	buffer_store_dword v106, off, s[20:23], 0 offset:1036 ; 4-byte Folded Spill
	global_load_dwordx4 v[37:40], v[105:106], off
	s_nop 0
	buffer_store_dword v107, off, s[20:23], 0 offset:1040 ; 4-byte Folded Spill
	s_nop 0
	buffer_store_dword v108, off, s[20:23], 0 offset:1044 ; 4-byte Folded Spill
	global_load_dwordx4 v[33:36], v[107:108], off
	s_nop 0
	buffer_store_dword v109, off, s[20:23], 0 offset:1048 ; 4-byte Folded Spill
	;; [unrolled: 5-line block ×10, first 2 shown]
	s_nop 0
	buffer_store_dword v120, off, s[20:23], 0 offset:1732 ; 4-byte Folded Spill
	global_load_dwordx4 v[121:124], v[119:120], off
	s_and_saveexec_b64 s[6:7], s[0:1]
	s_cbranch_execz .LBB113_8
; %bb.2:
	buffer_load_dword v95, off, s[20:23], 0 offset:704 ; 4-byte Folded Reload
	buffer_load_dword v96, off, s[20:23], 0 offset:708 ; 4-byte Folded Reload
	;; [unrolled: 1-line block ×4, first 2 shown]
	s_waitcnt vmcnt(0)
	ds_write2_b64 v127, v[95:96], v[97:98] offset1:1
	buffer_load_dword v95, off, s[20:23], 0 offset:688 ; 4-byte Folded Reload
	buffer_load_dword v96, off, s[20:23], 0 offset:692 ; 4-byte Folded Reload
	buffer_load_dword v97, off, s[20:23], 0 offset:696 ; 4-byte Folded Reload
	buffer_load_dword v98, off, s[20:23], 0 offset:700 ; 4-byte Folded Reload
	s_waitcnt vmcnt(0)
	ds_write2_b64 v125, v[95:96], v[97:98] offset0:2 offset1:3
	buffer_load_dword v95, off, s[20:23], 0 offset:672 ; 4-byte Folded Reload
	buffer_load_dword v96, off, s[20:23], 0 offset:676 ; 4-byte Folded Reload
	buffer_load_dword v97, off, s[20:23], 0 offset:680 ; 4-byte Folded Reload
	buffer_load_dword v98, off, s[20:23], 0 offset:684 ; 4-byte Folded Reload
	s_waitcnt vmcnt(0)
	ds_write2_b64 v125, v[95:96], v[97:98] offset0:4 offset1:5
	;; [unrolled: 6-line block ×33, first 2 shown]
	ds_write2_b64 v125, v[91:92], v[93:94] offset0:68 offset1:69
	buffer_load_dword v77, off, s[20:23], 0 offset:160 ; 4-byte Folded Reload
	buffer_load_dword v78, off, s[20:23], 0 offset:164 ; 4-byte Folded Reload
	buffer_load_dword v79, off, s[20:23], 0 offset:168 ; 4-byte Folded Reload
	buffer_load_dword v80, off, s[20:23], 0 offset:172 ; 4-byte Folded Reload
	s_waitcnt vmcnt(0)
	ds_write2_b64 v125, v[77:78], v[79:80] offset0:70 offset1:71
	buffer_load_dword v77, off, s[20:23], 0 offset:144 ; 4-byte Folded Reload
	buffer_load_dword v78, off, s[20:23], 0 offset:148 ; 4-byte Folded Reload
	buffer_load_dword v79, off, s[20:23], 0 offset:152 ; 4-byte Folded Reload
	buffer_load_dword v80, off, s[20:23], 0 offset:156 ; 4-byte Folded Reload
	s_waitcnt vmcnt(0)
	;; [unrolled: 6-line block ×10, first 2 shown]
	ds_write2_b64 v125, v[45:46], v[47:48] offset0:88 offset1:89
	buffer_load_dword v41, off, s[20:23], 0 ; 4-byte Folded Reload
	buffer_load_dword v42, off, s[20:23], 0 offset:4 ; 4-byte Folded Reload
	buffer_load_dword v43, off, s[20:23], 0 offset:8 ; 4-byte Folded Reload
	buffer_load_dword v44, off, s[20:23], 0 offset:12 ; 4-byte Folded Reload
	s_waitcnt vmcnt(0)
	ds_write2_b64 v125, v[41:42], v[43:44] offset0:90 offset1:91
	ds_write2_b64 v125, v[37:38], v[39:40] offset0:92 offset1:93
	;; [unrolled: 1-line block ×12, first 2 shown]
	ds_read2_b64 v[97:100], v127 offset1:1
	s_waitcnt lgkmcnt(0)
	v_cmp_neq_f64_e32 vcc, 0, v[97:98]
	v_cmp_neq_f64_e64 s[4:5], 0, v[99:100]
	s_or_b64 s[4:5], vcc, s[4:5]
	s_and_b64 exec, exec, s[4:5]
	s_cbranch_execz .LBB113_8
; %bb.3:
	v_cmp_ngt_f64_e64 s[4:5], |v[97:98]|, |v[99:100]|
                                        ; implicit-def: $vgpr101_vgpr102
	s_and_saveexec_b64 s[8:9], s[4:5]
	s_xor_b64 s[4:5], exec, s[8:9]
                                        ; implicit-def: $vgpr103_vgpr104
	s_cbranch_execz .LBB113_5
; %bb.4:
	v_div_scale_f64 v[101:102], s[8:9], v[99:100], v[99:100], v[97:98]
	v_rcp_f64_e32 v[103:104], v[101:102]
	v_fma_f64 v[105:106], -v[101:102], v[103:104], 1.0
	v_fma_f64 v[103:104], v[103:104], v[105:106], v[103:104]
	v_div_scale_f64 v[105:106], vcc, v[97:98], v[99:100], v[97:98]
	v_fma_f64 v[107:108], -v[101:102], v[103:104], 1.0
	v_fma_f64 v[103:104], v[103:104], v[107:108], v[103:104]
	v_mul_f64 v[107:108], v[105:106], v[103:104]
	v_fma_f64 v[101:102], -v[101:102], v[107:108], v[105:106]
	v_div_fmas_f64 v[101:102], v[101:102], v[103:104], v[107:108]
	v_div_fixup_f64 v[101:102], v[101:102], v[99:100], v[97:98]
	v_fma_f64 v[97:98], v[97:98], v[101:102], v[99:100]
	v_div_scale_f64 v[99:100], s[8:9], v[97:98], v[97:98], 1.0
	v_div_scale_f64 v[107:108], vcc, 1.0, v[97:98], 1.0
	v_rcp_f64_e32 v[103:104], v[99:100]
	v_fma_f64 v[105:106], -v[99:100], v[103:104], 1.0
	v_fma_f64 v[103:104], v[103:104], v[105:106], v[103:104]
	v_fma_f64 v[105:106], -v[99:100], v[103:104], 1.0
	v_fma_f64 v[103:104], v[103:104], v[105:106], v[103:104]
	v_mul_f64 v[105:106], v[107:108], v[103:104]
	v_fma_f64 v[99:100], -v[99:100], v[105:106], v[107:108]
	v_div_fmas_f64 v[99:100], v[99:100], v[103:104], v[105:106]
	v_div_fixup_f64 v[103:104], v[99:100], v[97:98], 1.0
                                        ; implicit-def: $vgpr97_vgpr98
	v_mul_f64 v[101:102], v[101:102], v[103:104]
	v_xor_b32_e32 v104, 0x80000000, v104
.LBB113_5:
	s_andn2_saveexec_b64 s[4:5], s[4:5]
	s_cbranch_execz .LBB113_7
; %bb.6:
	v_div_scale_f64 v[101:102], s[8:9], v[97:98], v[97:98], v[99:100]
	v_rcp_f64_e32 v[103:104], v[101:102]
	v_fma_f64 v[105:106], -v[101:102], v[103:104], 1.0
	v_fma_f64 v[103:104], v[103:104], v[105:106], v[103:104]
	v_div_scale_f64 v[105:106], vcc, v[99:100], v[97:98], v[99:100]
	v_fma_f64 v[107:108], -v[101:102], v[103:104], 1.0
	v_fma_f64 v[103:104], v[103:104], v[107:108], v[103:104]
	v_mul_f64 v[107:108], v[105:106], v[103:104]
	v_fma_f64 v[101:102], -v[101:102], v[107:108], v[105:106]
	v_div_fmas_f64 v[101:102], v[101:102], v[103:104], v[107:108]
	v_div_fixup_f64 v[103:104], v[101:102], v[97:98], v[99:100]
	v_fma_f64 v[97:98], v[99:100], v[103:104], v[97:98]
	v_div_scale_f64 v[99:100], s[8:9], v[97:98], v[97:98], 1.0
	v_div_scale_f64 v[107:108], vcc, 1.0, v[97:98], 1.0
	v_rcp_f64_e32 v[101:102], v[99:100]
	v_fma_f64 v[105:106], -v[99:100], v[101:102], 1.0
	v_fma_f64 v[101:102], v[101:102], v[105:106], v[101:102]
	v_fma_f64 v[105:106], -v[99:100], v[101:102], 1.0
	v_fma_f64 v[101:102], v[101:102], v[105:106], v[101:102]
	v_mul_f64 v[105:106], v[107:108], v[101:102]
	v_fma_f64 v[99:100], -v[99:100], v[105:106], v[107:108]
	v_div_fmas_f64 v[99:100], v[99:100], v[101:102], v[105:106]
	v_div_fixup_f64 v[101:102], v[99:100], v[97:98], 1.0
	v_mul_f64 v[103:104], v[103:104], -v[101:102]
.LBB113_7:
	s_or_b64 exec, exec, s[4:5]
	ds_write2_b64 v127, v[101:102], v[103:104] offset1:1
.LBB113_8:
	s_or_b64 exec, exec, s[6:7]
	s_waitcnt vmcnt(0) lgkmcnt(0)
	s_barrier
	ds_read2_b64 v[95:98], v127 offset1:1
	s_waitcnt lgkmcnt(0)
	buffer_store_dword v95, off, s[20:23], 0 offset:1160 ; 4-byte Folded Spill
	s_nop 0
	buffer_store_dword v96, off, s[20:23], 0 offset:1164 ; 4-byte Folded Spill
	buffer_store_dword v97, off, s[20:23], 0 offset:1168 ; 4-byte Folded Spill
	;; [unrolled: 1-line block ×3, first 2 shown]
	s_and_saveexec_b64 s[4:5], s[2:3]
	s_cbranch_execz .LBB113_10
; %bb.9:
	buffer_load_dword v107, off, s[20:23], 0 offset:704 ; 4-byte Folded Reload
	buffer_load_dword v108, off, s[20:23], 0 offset:708 ; 4-byte Folded Reload
	;; [unrolled: 1-line block ×8, first 2 shown]
	s_waitcnt vmcnt(0)
	v_mul_f64 v[97:98], v[101:102], v[109:110]
	v_fma_f64 v[97:98], v[99:100], v[107:108], -v[97:98]
	v_mul_f64 v[99:100], v[99:100], v[109:110]
	v_fma_f64 v[109:110], v[101:102], v[107:108], v[99:100]
	ds_read2_b64 v[99:102], v125 offset0:2 offset1:3
	buffer_load_dword v105, off, s[20:23], 0 offset:688 ; 4-byte Folded Reload
	buffer_load_dword v106, off, s[20:23], 0 offset:692 ; 4-byte Folded Reload
	buffer_load_dword v107, off, s[20:23], 0 offset:696 ; 4-byte Folded Reload
	buffer_load_dword v108, off, s[20:23], 0 offset:700 ; 4-byte Folded Reload
	s_waitcnt lgkmcnt(0)
	v_mul_f64 v[103:104], v[101:102], v[109:110]
	v_fma_f64 v[103:104], v[99:100], v[97:98], -v[103:104]
	v_mul_f64 v[99:100], v[99:100], v[109:110]
	v_fma_f64 v[99:100], v[101:102], v[97:98], v[99:100]
	s_waitcnt vmcnt(2)
	v_add_f64 v[105:106], v[105:106], -v[103:104]
	s_waitcnt vmcnt(0)
	v_add_f64 v[107:108], v[107:108], -v[99:100]
	buffer_store_dword v105, off, s[20:23], 0 offset:688 ; 4-byte Folded Spill
	s_nop 0
	buffer_store_dword v106, off, s[20:23], 0 offset:692 ; 4-byte Folded Spill
	buffer_store_dword v107, off, s[20:23], 0 offset:696 ; 4-byte Folded Spill
	buffer_store_dword v108, off, s[20:23], 0 offset:700 ; 4-byte Folded Spill
	ds_read2_b64 v[99:102], v125 offset0:4 offset1:5
	buffer_load_dword v105, off, s[20:23], 0 offset:672 ; 4-byte Folded Reload
	buffer_load_dword v106, off, s[20:23], 0 offset:676 ; 4-byte Folded Reload
	buffer_load_dword v107, off, s[20:23], 0 offset:680 ; 4-byte Folded Reload
	buffer_load_dword v108, off, s[20:23], 0 offset:684 ; 4-byte Folded Reload
	s_waitcnt lgkmcnt(0)
	v_mul_f64 v[103:104], v[101:102], v[109:110]
	v_fma_f64 v[103:104], v[99:100], v[97:98], -v[103:104]
	v_mul_f64 v[99:100], v[99:100], v[109:110]
	v_fma_f64 v[99:100], v[101:102], v[97:98], v[99:100]
	s_waitcnt vmcnt(2)
	v_add_f64 v[105:106], v[105:106], -v[103:104]
	s_waitcnt vmcnt(0)
	v_add_f64 v[107:108], v[107:108], -v[99:100]
	buffer_store_dword v105, off, s[20:23], 0 offset:672 ; 4-byte Folded Spill
	s_nop 0
	buffer_store_dword v106, off, s[20:23], 0 offset:676 ; 4-byte Folded Spill
	buffer_store_dword v107, off, s[20:23], 0 offset:680 ; 4-byte Folded Spill
	buffer_store_dword v108, off, s[20:23], 0 offset:684 ; 4-byte Folded Spill
	;; [unrolled: 19-line block ×33, first 2 shown]
	ds_read2_b64 v[99:102], v125 offset0:68 offset1:69
	v_mov_b32_e32 v108, v98
	v_mov_b32_e32 v107, v97
	s_waitcnt lgkmcnt(0)
	v_mul_f64 v[103:104], v[101:102], v[109:110]
	v_fma_f64 v[103:104], v[99:100], v[97:98], -v[103:104]
	v_mul_f64 v[99:100], v[99:100], v[109:110]
	v_add_f64 v[91:92], v[91:92], -v[103:104]
	v_fma_f64 v[99:100], v[101:102], v[97:98], v[99:100]
	v_add_f64 v[93:94], v[93:94], -v[99:100]
	ds_read2_b64 v[99:102], v125 offset0:70 offset1:71
	buffer_load_dword v77, off, s[20:23], 0 offset:160 ; 4-byte Folded Reload
	buffer_load_dword v78, off, s[20:23], 0 offset:164 ; 4-byte Folded Reload
	buffer_load_dword v79, off, s[20:23], 0 offset:168 ; 4-byte Folded Reload
	buffer_load_dword v80, off, s[20:23], 0 offset:172 ; 4-byte Folded Reload
	s_waitcnt lgkmcnt(0)
	v_mul_f64 v[103:104], v[101:102], v[109:110]
	v_fma_f64 v[103:104], v[99:100], v[97:98], -v[103:104]
	v_mul_f64 v[99:100], v[99:100], v[109:110]
	v_fma_f64 v[99:100], v[101:102], v[97:98], v[99:100]
	s_waitcnt vmcnt(2)
	v_add_f64 v[77:78], v[77:78], -v[103:104]
	s_waitcnt vmcnt(0)
	v_add_f64 v[79:80], v[79:80], -v[99:100]
	buffer_store_dword v77, off, s[20:23], 0 offset:160 ; 4-byte Folded Spill
	s_nop 0
	buffer_store_dword v78, off, s[20:23], 0 offset:164 ; 4-byte Folded Spill
	buffer_store_dword v79, off, s[20:23], 0 offset:168 ; 4-byte Folded Spill
	buffer_store_dword v80, off, s[20:23], 0 offset:172 ; 4-byte Folded Spill
	ds_read2_b64 v[99:102], v125 offset0:72 offset1:73
	buffer_load_dword v77, off, s[20:23], 0 offset:144 ; 4-byte Folded Reload
	buffer_load_dword v78, off, s[20:23], 0 offset:148 ; 4-byte Folded Reload
	buffer_load_dword v79, off, s[20:23], 0 offset:152 ; 4-byte Folded Reload
	buffer_load_dword v80, off, s[20:23], 0 offset:156 ; 4-byte Folded Reload
	s_waitcnt lgkmcnt(0)
	v_mul_f64 v[103:104], v[101:102], v[109:110]
	v_fma_f64 v[103:104], v[99:100], v[97:98], -v[103:104]
	v_mul_f64 v[99:100], v[99:100], v[109:110]
	v_fma_f64 v[99:100], v[101:102], v[97:98], v[99:100]
	s_waitcnt vmcnt(2)
	v_add_f64 v[77:78], v[77:78], -v[103:104]
	s_waitcnt vmcnt(0)
	v_add_f64 v[79:80], v[79:80], -v[99:100]
	buffer_store_dword v77, off, s[20:23], 0 offset:144 ; 4-byte Folded Spill
	s_nop 0
	buffer_store_dword v78, off, s[20:23], 0 offset:148 ; 4-byte Folded Spill
	buffer_store_dword v79, off, s[20:23], 0 offset:152 ; 4-byte Folded Spill
	buffer_store_dword v80, off, s[20:23], 0 offset:156 ; 4-byte Folded Spill
	;; [unrolled: 19-line block ×10, first 2 shown]
	ds_read2_b64 v[99:102], v125 offset0:90 offset1:91
	buffer_load_dword v41, off, s[20:23], 0 ; 4-byte Folded Reload
	buffer_load_dword v42, off, s[20:23], 0 offset:4 ; 4-byte Folded Reload
	buffer_load_dword v43, off, s[20:23], 0 offset:8 ; 4-byte Folded Reload
	;; [unrolled: 1-line block ×3, first 2 shown]
	s_waitcnt lgkmcnt(0)
	v_mul_f64 v[103:104], v[101:102], v[109:110]
	v_fma_f64 v[103:104], v[99:100], v[97:98], -v[103:104]
	v_mul_f64 v[99:100], v[99:100], v[109:110]
	v_fma_f64 v[99:100], v[101:102], v[97:98], v[99:100]
	s_waitcnt vmcnt(2)
	v_add_f64 v[41:42], v[41:42], -v[103:104]
	s_waitcnt vmcnt(0)
	v_add_f64 v[43:44], v[43:44], -v[99:100]
	buffer_store_dword v41, off, s[20:23], 0 ; 4-byte Folded Spill
	s_nop 0
	buffer_store_dword v42, off, s[20:23], 0 offset:4 ; 4-byte Folded Spill
	buffer_store_dword v43, off, s[20:23], 0 offset:8 ; 4-byte Folded Spill
	;; [unrolled: 1-line block ×3, first 2 shown]
	ds_read2_b64 v[99:102], v125 offset0:92 offset1:93
	s_waitcnt lgkmcnt(0)
	v_mul_f64 v[103:104], v[101:102], v[109:110]
	v_fma_f64 v[103:104], v[99:100], v[97:98], -v[103:104]
	v_mul_f64 v[99:100], v[99:100], v[109:110]
	v_add_f64 v[37:38], v[37:38], -v[103:104]
	v_fma_f64 v[99:100], v[101:102], v[97:98], v[99:100]
	v_add_f64 v[39:40], v[39:40], -v[99:100]
	ds_read2_b64 v[99:102], v125 offset0:94 offset1:95
	s_waitcnt lgkmcnt(0)
	v_mul_f64 v[103:104], v[101:102], v[109:110]
	v_fma_f64 v[103:104], v[99:100], v[97:98], -v[103:104]
	v_mul_f64 v[99:100], v[99:100], v[109:110]
	v_add_f64 v[33:34], v[33:34], -v[103:104]
	v_fma_f64 v[99:100], v[101:102], v[97:98], v[99:100]
	v_add_f64 v[35:36], v[35:36], -v[99:100]
	;; [unrolled: 8-line block ×9, first 2 shown]
	ds_read2_b64 v[99:102], v125 offset0:110 offset1:111
	s_waitcnt lgkmcnt(0)
	v_mul_f64 v[103:104], v[101:102], v[109:110]
	v_fma_f64 v[103:104], v[99:100], v[97:98], -v[103:104]
	v_mul_f64 v[99:100], v[99:100], v[109:110]
	v_add_f64 v[1:2], v[1:2], -v[103:104]
	v_fma_f64 v[99:100], v[101:102], v[97:98], v[99:100]
	ds_read2_b64 v[101:104], v125 offset0:112 offset1:113
	v_add_f64 v[3:4], v[3:4], -v[99:100]
	s_waitcnt lgkmcnt(0)
	v_mul_f64 v[99:100], v[103:104], v[109:110]
	v_fma_f64 v[99:100], v[101:102], v[97:98], -v[99:100]
	v_mul_f64 v[101:102], v[101:102], v[109:110]
	buffer_store_dword v107, off, s[20:23], 0 offset:704 ; 4-byte Folded Spill
	s_nop 0
	buffer_store_dword v108, off, s[20:23], 0 offset:708 ; 4-byte Folded Spill
	buffer_store_dword v109, off, s[20:23], 0 offset:712 ; 4-byte Folded Spill
	;; [unrolled: 1-line block ×3, first 2 shown]
	v_add_f64 v[121:122], v[121:122], -v[99:100]
	v_fma_f64 v[101:102], v[103:104], v[97:98], v[101:102]
	v_add_f64 v[123:124], v[123:124], -v[101:102]
.LBB113_10:
	s_or_b64 exec, exec, s[4:5]
	v_cmp_eq_u32_e32 vcc, 1, v0
	s_waitcnt vmcnt(0)
	s_barrier
	s_and_saveexec_b64 s[4:5], vcc
	s_cbranch_execz .LBB113_17
; %bb.11:
	buffer_load_dword v95, off, s[20:23], 0 offset:688 ; 4-byte Folded Reload
	buffer_load_dword v96, off, s[20:23], 0 offset:692 ; 4-byte Folded Reload
	;; [unrolled: 1-line block ×4, first 2 shown]
	s_waitcnt vmcnt(0)
	ds_write2_b64 v127, v[95:96], v[97:98] offset1:1
	buffer_load_dword v95, off, s[20:23], 0 offset:672 ; 4-byte Folded Reload
	buffer_load_dword v96, off, s[20:23], 0 offset:676 ; 4-byte Folded Reload
	buffer_load_dword v97, off, s[20:23], 0 offset:680 ; 4-byte Folded Reload
	buffer_load_dword v98, off, s[20:23], 0 offset:684 ; 4-byte Folded Reload
	s_waitcnt vmcnt(0)
	ds_write2_b64 v125, v[95:96], v[97:98] offset0:4 offset1:5
	buffer_load_dword v95, off, s[20:23], 0 offset:656 ; 4-byte Folded Reload
	buffer_load_dword v96, off, s[20:23], 0 offset:660 ; 4-byte Folded Reload
	buffer_load_dword v97, off, s[20:23], 0 offset:664 ; 4-byte Folded Reload
	buffer_load_dword v98, off, s[20:23], 0 offset:668 ; 4-byte Folded Reload
	s_waitcnt vmcnt(0)
	ds_write2_b64 v125, v[95:96], v[97:98] offset0:6 offset1:7
	buffer_load_dword v95, off, s[20:23], 0 offset:640 ; 4-byte Folded Reload
	buffer_load_dword v96, off, s[20:23], 0 offset:644 ; 4-byte Folded Reload
	buffer_load_dword v97, off, s[20:23], 0 offset:648 ; 4-byte Folded Reload
	buffer_load_dword v98, off, s[20:23], 0 offset:652 ; 4-byte Folded Reload
	s_waitcnt vmcnt(0)
	ds_write2_b64 v125, v[95:96], v[97:98] offset0:8 offset1:9
	buffer_load_dword v95, off, s[20:23], 0 offset:624 ; 4-byte Folded Reload
	buffer_load_dword v96, off, s[20:23], 0 offset:628 ; 4-byte Folded Reload
	buffer_load_dword v97, off, s[20:23], 0 offset:632 ; 4-byte Folded Reload
	buffer_load_dword v98, off, s[20:23], 0 offset:636 ; 4-byte Folded Reload
	s_waitcnt vmcnt(0)
	ds_write2_b64 v125, v[95:96], v[97:98] offset0:10 offset1:11
	buffer_load_dword v95, off, s[20:23], 0 offset:608 ; 4-byte Folded Reload
	buffer_load_dword v96, off, s[20:23], 0 offset:612 ; 4-byte Folded Reload
	buffer_load_dword v97, off, s[20:23], 0 offset:616 ; 4-byte Folded Reload
	buffer_load_dword v98, off, s[20:23], 0 offset:620 ; 4-byte Folded Reload
	s_waitcnt vmcnt(0)
	ds_write2_b64 v125, v[95:96], v[97:98] offset0:12 offset1:13
	buffer_load_dword v95, off, s[20:23], 0 offset:592 ; 4-byte Folded Reload
	buffer_load_dword v96, off, s[20:23], 0 offset:596 ; 4-byte Folded Reload
	buffer_load_dword v97, off, s[20:23], 0 offset:600 ; 4-byte Folded Reload
	buffer_load_dword v98, off, s[20:23], 0 offset:604 ; 4-byte Folded Reload
	s_waitcnt vmcnt(0)
	ds_write2_b64 v125, v[95:96], v[97:98] offset0:14 offset1:15
	buffer_load_dword v95, off, s[20:23], 0 offset:576 ; 4-byte Folded Reload
	buffer_load_dword v96, off, s[20:23], 0 offset:580 ; 4-byte Folded Reload
	buffer_load_dword v97, off, s[20:23], 0 offset:584 ; 4-byte Folded Reload
	buffer_load_dword v98, off, s[20:23], 0 offset:588 ; 4-byte Folded Reload
	s_waitcnt vmcnt(0)
	ds_write2_b64 v125, v[95:96], v[97:98] offset0:16 offset1:17
	buffer_load_dword v95, off, s[20:23], 0 offset:560 ; 4-byte Folded Reload
	buffer_load_dword v96, off, s[20:23], 0 offset:564 ; 4-byte Folded Reload
	buffer_load_dword v97, off, s[20:23], 0 offset:568 ; 4-byte Folded Reload
	buffer_load_dword v98, off, s[20:23], 0 offset:572 ; 4-byte Folded Reload
	s_waitcnt vmcnt(0)
	ds_write2_b64 v125, v[95:96], v[97:98] offset0:18 offset1:19
	buffer_load_dword v95, off, s[20:23], 0 offset:544 ; 4-byte Folded Reload
	buffer_load_dword v96, off, s[20:23], 0 offset:548 ; 4-byte Folded Reload
	buffer_load_dword v97, off, s[20:23], 0 offset:552 ; 4-byte Folded Reload
	buffer_load_dword v98, off, s[20:23], 0 offset:556 ; 4-byte Folded Reload
	s_waitcnt vmcnt(0)
	ds_write2_b64 v125, v[95:96], v[97:98] offset0:20 offset1:21
	buffer_load_dword v95, off, s[20:23], 0 offset:528 ; 4-byte Folded Reload
	buffer_load_dword v96, off, s[20:23], 0 offset:532 ; 4-byte Folded Reload
	buffer_load_dword v97, off, s[20:23], 0 offset:536 ; 4-byte Folded Reload
	buffer_load_dword v98, off, s[20:23], 0 offset:540 ; 4-byte Folded Reload
	s_waitcnt vmcnt(0)
	ds_write2_b64 v125, v[95:96], v[97:98] offset0:22 offset1:23
	buffer_load_dword v95, off, s[20:23], 0 offset:512 ; 4-byte Folded Reload
	buffer_load_dword v96, off, s[20:23], 0 offset:516 ; 4-byte Folded Reload
	buffer_load_dword v97, off, s[20:23], 0 offset:520 ; 4-byte Folded Reload
	buffer_load_dword v98, off, s[20:23], 0 offset:524 ; 4-byte Folded Reload
	s_waitcnt vmcnt(0)
	ds_write2_b64 v125, v[95:96], v[97:98] offset0:24 offset1:25
	buffer_load_dword v95, off, s[20:23], 0 offset:496 ; 4-byte Folded Reload
	buffer_load_dword v96, off, s[20:23], 0 offset:500 ; 4-byte Folded Reload
	buffer_load_dword v97, off, s[20:23], 0 offset:504 ; 4-byte Folded Reload
	buffer_load_dword v98, off, s[20:23], 0 offset:508 ; 4-byte Folded Reload
	s_waitcnt vmcnt(0)
	ds_write2_b64 v125, v[95:96], v[97:98] offset0:26 offset1:27
	buffer_load_dword v95, off, s[20:23], 0 offset:480 ; 4-byte Folded Reload
	buffer_load_dword v96, off, s[20:23], 0 offset:484 ; 4-byte Folded Reload
	buffer_load_dword v97, off, s[20:23], 0 offset:488 ; 4-byte Folded Reload
	buffer_load_dword v98, off, s[20:23], 0 offset:492 ; 4-byte Folded Reload
	s_waitcnt vmcnt(0)
	ds_write2_b64 v125, v[95:96], v[97:98] offset0:28 offset1:29
	buffer_load_dword v95, off, s[20:23], 0 offset:464 ; 4-byte Folded Reload
	buffer_load_dword v96, off, s[20:23], 0 offset:468 ; 4-byte Folded Reload
	buffer_load_dword v97, off, s[20:23], 0 offset:472 ; 4-byte Folded Reload
	buffer_load_dword v98, off, s[20:23], 0 offset:476 ; 4-byte Folded Reload
	s_waitcnt vmcnt(0)
	ds_write2_b64 v125, v[95:96], v[97:98] offset0:30 offset1:31
	buffer_load_dword v95, off, s[20:23], 0 offset:448 ; 4-byte Folded Reload
	buffer_load_dword v96, off, s[20:23], 0 offset:452 ; 4-byte Folded Reload
	buffer_load_dword v97, off, s[20:23], 0 offset:456 ; 4-byte Folded Reload
	buffer_load_dword v98, off, s[20:23], 0 offset:460 ; 4-byte Folded Reload
	s_waitcnt vmcnt(0)
	ds_write2_b64 v125, v[95:96], v[97:98] offset0:32 offset1:33
	buffer_load_dword v95, off, s[20:23], 0 offset:432 ; 4-byte Folded Reload
	buffer_load_dword v96, off, s[20:23], 0 offset:436 ; 4-byte Folded Reload
	buffer_load_dword v97, off, s[20:23], 0 offset:440 ; 4-byte Folded Reload
	buffer_load_dword v98, off, s[20:23], 0 offset:444 ; 4-byte Folded Reload
	s_waitcnt vmcnt(0)
	ds_write2_b64 v125, v[95:96], v[97:98] offset0:34 offset1:35
	buffer_load_dword v95, off, s[20:23], 0 offset:416 ; 4-byte Folded Reload
	buffer_load_dword v96, off, s[20:23], 0 offset:420 ; 4-byte Folded Reload
	buffer_load_dword v97, off, s[20:23], 0 offset:424 ; 4-byte Folded Reload
	buffer_load_dword v98, off, s[20:23], 0 offset:428 ; 4-byte Folded Reload
	s_waitcnt vmcnt(0)
	ds_write2_b64 v125, v[95:96], v[97:98] offset0:36 offset1:37
	buffer_load_dword v95, off, s[20:23], 0 offset:400 ; 4-byte Folded Reload
	buffer_load_dword v96, off, s[20:23], 0 offset:404 ; 4-byte Folded Reload
	buffer_load_dword v97, off, s[20:23], 0 offset:408 ; 4-byte Folded Reload
	buffer_load_dword v98, off, s[20:23], 0 offset:412 ; 4-byte Folded Reload
	s_waitcnt vmcnt(0)
	ds_write2_b64 v125, v[95:96], v[97:98] offset0:38 offset1:39
	buffer_load_dword v95, off, s[20:23], 0 offset:384 ; 4-byte Folded Reload
	buffer_load_dword v96, off, s[20:23], 0 offset:388 ; 4-byte Folded Reload
	buffer_load_dword v97, off, s[20:23], 0 offset:392 ; 4-byte Folded Reload
	buffer_load_dword v98, off, s[20:23], 0 offset:396 ; 4-byte Folded Reload
	s_waitcnt vmcnt(0)
	ds_write2_b64 v125, v[95:96], v[97:98] offset0:40 offset1:41
	buffer_load_dword v95, off, s[20:23], 0 offset:368 ; 4-byte Folded Reload
	buffer_load_dword v96, off, s[20:23], 0 offset:372 ; 4-byte Folded Reload
	buffer_load_dword v97, off, s[20:23], 0 offset:376 ; 4-byte Folded Reload
	buffer_load_dword v98, off, s[20:23], 0 offset:380 ; 4-byte Folded Reload
	s_waitcnt vmcnt(0)
	ds_write2_b64 v125, v[95:96], v[97:98] offset0:42 offset1:43
	buffer_load_dword v95, off, s[20:23], 0 offset:352 ; 4-byte Folded Reload
	buffer_load_dword v96, off, s[20:23], 0 offset:356 ; 4-byte Folded Reload
	buffer_load_dword v97, off, s[20:23], 0 offset:360 ; 4-byte Folded Reload
	buffer_load_dword v98, off, s[20:23], 0 offset:364 ; 4-byte Folded Reload
	s_waitcnt vmcnt(0)
	ds_write2_b64 v125, v[95:96], v[97:98] offset0:44 offset1:45
	buffer_load_dword v95, off, s[20:23], 0 offset:336 ; 4-byte Folded Reload
	buffer_load_dword v96, off, s[20:23], 0 offset:340 ; 4-byte Folded Reload
	buffer_load_dword v97, off, s[20:23], 0 offset:344 ; 4-byte Folded Reload
	buffer_load_dword v98, off, s[20:23], 0 offset:348 ; 4-byte Folded Reload
	s_waitcnt vmcnt(0)
	ds_write2_b64 v125, v[95:96], v[97:98] offset0:46 offset1:47
	buffer_load_dword v95, off, s[20:23], 0 offset:320 ; 4-byte Folded Reload
	buffer_load_dword v96, off, s[20:23], 0 offset:324 ; 4-byte Folded Reload
	buffer_load_dword v97, off, s[20:23], 0 offset:328 ; 4-byte Folded Reload
	buffer_load_dword v98, off, s[20:23], 0 offset:332 ; 4-byte Folded Reload
	s_waitcnt vmcnt(0)
	ds_write2_b64 v125, v[95:96], v[97:98] offset0:48 offset1:49
	buffer_load_dword v95, off, s[20:23], 0 offset:304 ; 4-byte Folded Reload
	buffer_load_dword v96, off, s[20:23], 0 offset:308 ; 4-byte Folded Reload
	buffer_load_dword v97, off, s[20:23], 0 offset:312 ; 4-byte Folded Reload
	buffer_load_dword v98, off, s[20:23], 0 offset:316 ; 4-byte Folded Reload
	s_waitcnt vmcnt(0)
	ds_write2_b64 v125, v[95:96], v[97:98] offset0:50 offset1:51
	buffer_load_dword v95, off, s[20:23], 0 offset:288 ; 4-byte Folded Reload
	buffer_load_dword v96, off, s[20:23], 0 offset:292 ; 4-byte Folded Reload
	buffer_load_dword v97, off, s[20:23], 0 offset:296 ; 4-byte Folded Reload
	buffer_load_dword v98, off, s[20:23], 0 offset:300 ; 4-byte Folded Reload
	s_waitcnt vmcnt(0)
	ds_write2_b64 v125, v[95:96], v[97:98] offset0:52 offset1:53
	buffer_load_dword v95, off, s[20:23], 0 offset:272 ; 4-byte Folded Reload
	buffer_load_dword v96, off, s[20:23], 0 offset:276 ; 4-byte Folded Reload
	buffer_load_dword v97, off, s[20:23], 0 offset:280 ; 4-byte Folded Reload
	buffer_load_dword v98, off, s[20:23], 0 offset:284 ; 4-byte Folded Reload
	s_waitcnt vmcnt(0)
	ds_write2_b64 v125, v[95:96], v[97:98] offset0:54 offset1:55
	buffer_load_dword v95, off, s[20:23], 0 offset:256 ; 4-byte Folded Reload
	buffer_load_dword v96, off, s[20:23], 0 offset:260 ; 4-byte Folded Reload
	buffer_load_dword v97, off, s[20:23], 0 offset:264 ; 4-byte Folded Reload
	buffer_load_dword v98, off, s[20:23], 0 offset:268 ; 4-byte Folded Reload
	s_waitcnt vmcnt(0)
	ds_write2_b64 v125, v[95:96], v[97:98] offset0:56 offset1:57
	buffer_load_dword v95, off, s[20:23], 0 offset:240 ; 4-byte Folded Reload
	buffer_load_dword v96, off, s[20:23], 0 offset:244 ; 4-byte Folded Reload
	buffer_load_dword v97, off, s[20:23], 0 offset:248 ; 4-byte Folded Reload
	buffer_load_dword v98, off, s[20:23], 0 offset:252 ; 4-byte Folded Reload
	s_waitcnt vmcnt(0)
	ds_write2_b64 v125, v[95:96], v[97:98] offset0:58 offset1:59
	buffer_load_dword v95, off, s[20:23], 0 offset:224 ; 4-byte Folded Reload
	buffer_load_dword v96, off, s[20:23], 0 offset:228 ; 4-byte Folded Reload
	buffer_load_dword v97, off, s[20:23], 0 offset:232 ; 4-byte Folded Reload
	buffer_load_dword v98, off, s[20:23], 0 offset:236 ; 4-byte Folded Reload
	s_waitcnt vmcnt(0)
	ds_write2_b64 v125, v[95:96], v[97:98] offset0:60 offset1:61
	buffer_load_dword v95, off, s[20:23], 0 offset:208 ; 4-byte Folded Reload
	buffer_load_dword v96, off, s[20:23], 0 offset:212 ; 4-byte Folded Reload
	buffer_load_dword v97, off, s[20:23], 0 offset:216 ; 4-byte Folded Reload
	buffer_load_dword v98, off, s[20:23], 0 offset:220 ; 4-byte Folded Reload
	s_waitcnt vmcnt(0)
	ds_write2_b64 v125, v[95:96], v[97:98] offset0:62 offset1:63
	buffer_load_dword v95, off, s[20:23], 0 offset:192 ; 4-byte Folded Reload
	buffer_load_dword v96, off, s[20:23], 0 offset:196 ; 4-byte Folded Reload
	buffer_load_dword v97, off, s[20:23], 0 offset:200 ; 4-byte Folded Reload
	buffer_load_dword v98, off, s[20:23], 0 offset:204 ; 4-byte Folded Reload
	s_waitcnt vmcnt(0)
	ds_write2_b64 v125, v[95:96], v[97:98] offset0:64 offset1:65
	buffer_load_dword v95, off, s[20:23], 0 offset:176 ; 4-byte Folded Reload
	buffer_load_dword v96, off, s[20:23], 0 offset:180 ; 4-byte Folded Reload
	buffer_load_dword v97, off, s[20:23], 0 offset:184 ; 4-byte Folded Reload
	buffer_load_dword v98, off, s[20:23], 0 offset:188 ; 4-byte Folded Reload
	s_waitcnt vmcnt(0)
	ds_write2_b64 v125, v[95:96], v[97:98] offset0:66 offset1:67
	ds_write2_b64 v125, v[91:92], v[93:94] offset0:68 offset1:69
	buffer_load_dword v77, off, s[20:23], 0 offset:160 ; 4-byte Folded Reload
	buffer_load_dword v78, off, s[20:23], 0 offset:164 ; 4-byte Folded Reload
	buffer_load_dword v79, off, s[20:23], 0 offset:168 ; 4-byte Folded Reload
	buffer_load_dword v80, off, s[20:23], 0 offset:172 ; 4-byte Folded Reload
	s_waitcnt vmcnt(0)
	ds_write2_b64 v125, v[77:78], v[79:80] offset0:70 offset1:71
	buffer_load_dword v77, off, s[20:23], 0 offset:144 ; 4-byte Folded Reload
	buffer_load_dword v78, off, s[20:23], 0 offset:148 ; 4-byte Folded Reload
	buffer_load_dword v79, off, s[20:23], 0 offset:152 ; 4-byte Folded Reload
	buffer_load_dword v80, off, s[20:23], 0 offset:156 ; 4-byte Folded Reload
	s_waitcnt vmcnt(0)
	ds_write2_b64 v125, v[77:78], v[79:80] offset0:72 offset1:73
	buffer_load_dword v73, off, s[20:23], 0 offset:128 ; 4-byte Folded Reload
	buffer_load_dword v74, off, s[20:23], 0 offset:132 ; 4-byte Folded Reload
	buffer_load_dword v75, off, s[20:23], 0 offset:136 ; 4-byte Folded Reload
	buffer_load_dword v76, off, s[20:23], 0 offset:140 ; 4-byte Folded Reload
	s_waitcnt vmcnt(0)
	ds_write2_b64 v125, v[73:74], v[75:76] offset0:74 offset1:75
	buffer_load_dword v69, off, s[20:23], 0 offset:112 ; 4-byte Folded Reload
	buffer_load_dword v70, off, s[20:23], 0 offset:116 ; 4-byte Folded Reload
	buffer_load_dword v71, off, s[20:23], 0 offset:120 ; 4-byte Folded Reload
	buffer_load_dword v72, off, s[20:23], 0 offset:124 ; 4-byte Folded Reload
	s_waitcnt vmcnt(0)
	ds_write2_b64 v125, v[69:70], v[71:72] offset0:76 offset1:77
	buffer_load_dword v65, off, s[20:23], 0 offset:96 ; 4-byte Folded Reload
	buffer_load_dword v66, off, s[20:23], 0 offset:100 ; 4-byte Folded Reload
	buffer_load_dword v67, off, s[20:23], 0 offset:104 ; 4-byte Folded Reload
	buffer_load_dword v68, off, s[20:23], 0 offset:108 ; 4-byte Folded Reload
	s_waitcnt vmcnt(0)
	ds_write2_b64 v125, v[65:66], v[67:68] offset0:78 offset1:79
	buffer_load_dword v61, off, s[20:23], 0 offset:80 ; 4-byte Folded Reload
	buffer_load_dword v62, off, s[20:23], 0 offset:84 ; 4-byte Folded Reload
	buffer_load_dword v63, off, s[20:23], 0 offset:88 ; 4-byte Folded Reload
	buffer_load_dword v64, off, s[20:23], 0 offset:92 ; 4-byte Folded Reload
	s_waitcnt vmcnt(0)
	ds_write2_b64 v125, v[61:62], v[63:64] offset0:80 offset1:81
	buffer_load_dword v57, off, s[20:23], 0 offset:64 ; 4-byte Folded Reload
	buffer_load_dword v58, off, s[20:23], 0 offset:68 ; 4-byte Folded Reload
	buffer_load_dword v59, off, s[20:23], 0 offset:72 ; 4-byte Folded Reload
	buffer_load_dword v60, off, s[20:23], 0 offset:76 ; 4-byte Folded Reload
	s_waitcnt vmcnt(0)
	ds_write2_b64 v125, v[57:58], v[59:60] offset0:82 offset1:83
	buffer_load_dword v53, off, s[20:23], 0 offset:48 ; 4-byte Folded Reload
	buffer_load_dword v54, off, s[20:23], 0 offset:52 ; 4-byte Folded Reload
	buffer_load_dword v55, off, s[20:23], 0 offset:56 ; 4-byte Folded Reload
	buffer_load_dword v56, off, s[20:23], 0 offset:60 ; 4-byte Folded Reload
	s_waitcnt vmcnt(0)
	ds_write2_b64 v125, v[53:54], v[55:56] offset0:84 offset1:85
	buffer_load_dword v49, off, s[20:23], 0 offset:32 ; 4-byte Folded Reload
	buffer_load_dword v50, off, s[20:23], 0 offset:36 ; 4-byte Folded Reload
	buffer_load_dword v51, off, s[20:23], 0 offset:40 ; 4-byte Folded Reload
	buffer_load_dword v52, off, s[20:23], 0 offset:44 ; 4-byte Folded Reload
	s_waitcnt vmcnt(0)
	ds_write2_b64 v125, v[49:50], v[51:52] offset0:86 offset1:87
	buffer_load_dword v45, off, s[20:23], 0 offset:16 ; 4-byte Folded Reload
	buffer_load_dword v46, off, s[20:23], 0 offset:20 ; 4-byte Folded Reload
	buffer_load_dword v47, off, s[20:23], 0 offset:24 ; 4-byte Folded Reload
	buffer_load_dword v48, off, s[20:23], 0 offset:28 ; 4-byte Folded Reload
	s_waitcnt vmcnt(0)
	ds_write2_b64 v125, v[45:46], v[47:48] offset0:88 offset1:89
	buffer_load_dword v41, off, s[20:23], 0 ; 4-byte Folded Reload
	buffer_load_dword v42, off, s[20:23], 0 offset:4 ; 4-byte Folded Reload
	buffer_load_dword v43, off, s[20:23], 0 offset:8 ; 4-byte Folded Reload
	;; [unrolled: 1-line block ×3, first 2 shown]
	s_waitcnt vmcnt(0)
	ds_write2_b64 v125, v[41:42], v[43:44] offset0:90 offset1:91
	ds_write2_b64 v125, v[37:38], v[39:40] offset0:92 offset1:93
	;; [unrolled: 1-line block ×12, first 2 shown]
	ds_read2_b64 v[97:100], v127 offset1:1
	s_waitcnt lgkmcnt(0)
	v_cmp_neq_f64_e32 vcc, 0, v[97:98]
	v_cmp_neq_f64_e64 s[2:3], 0, v[99:100]
	s_or_b64 s[2:3], vcc, s[2:3]
	s_and_b64 exec, exec, s[2:3]
	s_cbranch_execz .LBB113_17
; %bb.12:
	v_cmp_ngt_f64_e64 s[2:3], |v[97:98]|, |v[99:100]|
                                        ; implicit-def: $vgpr101_vgpr102
	s_and_saveexec_b64 s[6:7], s[2:3]
	s_xor_b64 s[2:3], exec, s[6:7]
                                        ; implicit-def: $vgpr103_vgpr104
	s_cbranch_execz .LBB113_14
; %bb.13:
	v_div_scale_f64 v[101:102], s[6:7], v[99:100], v[99:100], v[97:98]
	v_rcp_f64_e32 v[103:104], v[101:102]
	v_fma_f64 v[105:106], -v[101:102], v[103:104], 1.0
	v_fma_f64 v[103:104], v[103:104], v[105:106], v[103:104]
	v_div_scale_f64 v[105:106], vcc, v[97:98], v[99:100], v[97:98]
	v_fma_f64 v[107:108], -v[101:102], v[103:104], 1.0
	v_fma_f64 v[103:104], v[103:104], v[107:108], v[103:104]
	v_mul_f64 v[107:108], v[105:106], v[103:104]
	v_fma_f64 v[101:102], -v[101:102], v[107:108], v[105:106]
	v_div_fmas_f64 v[101:102], v[101:102], v[103:104], v[107:108]
	v_div_fixup_f64 v[101:102], v[101:102], v[99:100], v[97:98]
	v_fma_f64 v[97:98], v[97:98], v[101:102], v[99:100]
	v_div_scale_f64 v[99:100], s[6:7], v[97:98], v[97:98], 1.0
	v_div_scale_f64 v[107:108], vcc, 1.0, v[97:98], 1.0
	v_rcp_f64_e32 v[103:104], v[99:100]
	v_fma_f64 v[105:106], -v[99:100], v[103:104], 1.0
	v_fma_f64 v[103:104], v[103:104], v[105:106], v[103:104]
	v_fma_f64 v[105:106], -v[99:100], v[103:104], 1.0
	v_fma_f64 v[103:104], v[103:104], v[105:106], v[103:104]
	v_mul_f64 v[105:106], v[107:108], v[103:104]
	v_fma_f64 v[99:100], -v[99:100], v[105:106], v[107:108]
	v_div_fmas_f64 v[99:100], v[99:100], v[103:104], v[105:106]
	v_div_fixup_f64 v[103:104], v[99:100], v[97:98], 1.0
                                        ; implicit-def: $vgpr97_vgpr98
	v_mul_f64 v[101:102], v[101:102], v[103:104]
	v_xor_b32_e32 v104, 0x80000000, v104
.LBB113_14:
	s_andn2_saveexec_b64 s[2:3], s[2:3]
	s_cbranch_execz .LBB113_16
; %bb.15:
	v_div_scale_f64 v[101:102], s[6:7], v[97:98], v[97:98], v[99:100]
	v_rcp_f64_e32 v[103:104], v[101:102]
	v_fma_f64 v[105:106], -v[101:102], v[103:104], 1.0
	v_fma_f64 v[103:104], v[103:104], v[105:106], v[103:104]
	v_div_scale_f64 v[105:106], vcc, v[99:100], v[97:98], v[99:100]
	v_fma_f64 v[107:108], -v[101:102], v[103:104], 1.0
	v_fma_f64 v[103:104], v[103:104], v[107:108], v[103:104]
	v_mul_f64 v[107:108], v[105:106], v[103:104]
	v_fma_f64 v[101:102], -v[101:102], v[107:108], v[105:106]
	v_div_fmas_f64 v[101:102], v[101:102], v[103:104], v[107:108]
	v_div_fixup_f64 v[103:104], v[101:102], v[97:98], v[99:100]
	v_fma_f64 v[97:98], v[99:100], v[103:104], v[97:98]
	v_div_scale_f64 v[99:100], s[6:7], v[97:98], v[97:98], 1.0
	v_div_scale_f64 v[107:108], vcc, 1.0, v[97:98], 1.0
	v_rcp_f64_e32 v[101:102], v[99:100]
	v_fma_f64 v[105:106], -v[99:100], v[101:102], 1.0
	v_fma_f64 v[101:102], v[101:102], v[105:106], v[101:102]
	v_fma_f64 v[105:106], -v[99:100], v[101:102], 1.0
	v_fma_f64 v[101:102], v[101:102], v[105:106], v[101:102]
	v_mul_f64 v[105:106], v[107:108], v[101:102]
	v_fma_f64 v[99:100], -v[99:100], v[105:106], v[107:108]
	v_div_fmas_f64 v[99:100], v[99:100], v[101:102], v[105:106]
	v_div_fixup_f64 v[101:102], v[99:100], v[97:98], 1.0
	v_mul_f64 v[103:104], v[103:104], -v[101:102]
.LBB113_16:
	s_or_b64 exec, exec, s[2:3]
	ds_write2_b64 v127, v[101:102], v[103:104] offset1:1
.LBB113_17:
	s_or_b64 exec, exec, s[4:5]
	s_waitcnt lgkmcnt(0)
	s_barrier
	ds_read2_b64 v[95:98], v127 offset1:1
	v_cmp_lt_u32_e32 vcc, 1, v0
	s_waitcnt lgkmcnt(0)
	buffer_store_dword v95, off, s[20:23], 0 offset:1176 ; 4-byte Folded Spill
	s_nop 0
	buffer_store_dword v96, off, s[20:23], 0 offset:1180 ; 4-byte Folded Spill
	buffer_store_dword v97, off, s[20:23], 0 offset:1184 ; 4-byte Folded Spill
	;; [unrolled: 1-line block ×3, first 2 shown]
	s_and_saveexec_b64 s[2:3], vcc
	s_cbranch_execz .LBB113_19
; %bb.18:
	buffer_load_dword v107, off, s[20:23], 0 offset:688 ; 4-byte Folded Reload
	buffer_load_dword v108, off, s[20:23], 0 offset:692 ; 4-byte Folded Reload
	;; [unrolled: 1-line block ×8, first 2 shown]
	s_waitcnt vmcnt(0)
	v_mul_f64 v[97:98], v[101:102], v[109:110]
	v_fma_f64 v[97:98], v[99:100], v[107:108], -v[97:98]
	v_mul_f64 v[99:100], v[99:100], v[109:110]
	v_fma_f64 v[109:110], v[101:102], v[107:108], v[99:100]
	ds_read2_b64 v[99:102], v125 offset0:4 offset1:5
	buffer_load_dword v105, off, s[20:23], 0 offset:672 ; 4-byte Folded Reload
	buffer_load_dword v106, off, s[20:23], 0 offset:676 ; 4-byte Folded Reload
	buffer_load_dword v107, off, s[20:23], 0 offset:680 ; 4-byte Folded Reload
	buffer_load_dword v108, off, s[20:23], 0 offset:684 ; 4-byte Folded Reload
	s_waitcnt lgkmcnt(0)
	v_mul_f64 v[103:104], v[101:102], v[109:110]
	v_fma_f64 v[103:104], v[99:100], v[97:98], -v[103:104]
	v_mul_f64 v[99:100], v[99:100], v[109:110]
	v_fma_f64 v[99:100], v[101:102], v[97:98], v[99:100]
	s_waitcnt vmcnt(2)
	v_add_f64 v[105:106], v[105:106], -v[103:104]
	s_waitcnt vmcnt(0)
	v_add_f64 v[107:108], v[107:108], -v[99:100]
	buffer_store_dword v105, off, s[20:23], 0 offset:672 ; 4-byte Folded Spill
	s_nop 0
	buffer_store_dword v106, off, s[20:23], 0 offset:676 ; 4-byte Folded Spill
	buffer_store_dword v107, off, s[20:23], 0 offset:680 ; 4-byte Folded Spill
	buffer_store_dword v108, off, s[20:23], 0 offset:684 ; 4-byte Folded Spill
	ds_read2_b64 v[99:102], v125 offset0:6 offset1:7
	buffer_load_dword v105, off, s[20:23], 0 offset:656 ; 4-byte Folded Reload
	buffer_load_dword v106, off, s[20:23], 0 offset:660 ; 4-byte Folded Reload
	buffer_load_dword v107, off, s[20:23], 0 offset:664 ; 4-byte Folded Reload
	buffer_load_dword v108, off, s[20:23], 0 offset:668 ; 4-byte Folded Reload
	s_waitcnt lgkmcnt(0)
	v_mul_f64 v[103:104], v[101:102], v[109:110]
	v_fma_f64 v[103:104], v[99:100], v[97:98], -v[103:104]
	v_mul_f64 v[99:100], v[99:100], v[109:110]
	v_fma_f64 v[99:100], v[101:102], v[97:98], v[99:100]
	s_waitcnt vmcnt(2)
	v_add_f64 v[105:106], v[105:106], -v[103:104]
	s_waitcnt vmcnt(0)
	v_add_f64 v[107:108], v[107:108], -v[99:100]
	buffer_store_dword v105, off, s[20:23], 0 offset:656 ; 4-byte Folded Spill
	s_nop 0
	buffer_store_dword v106, off, s[20:23], 0 offset:660 ; 4-byte Folded Spill
	buffer_store_dword v107, off, s[20:23], 0 offset:664 ; 4-byte Folded Spill
	buffer_store_dword v108, off, s[20:23], 0 offset:668 ; 4-byte Folded Spill
	;; [unrolled: 19-line block ×32, first 2 shown]
	ds_read2_b64 v[99:102], v125 offset0:68 offset1:69
	v_mov_b32_e32 v108, v98
	v_mov_b32_e32 v107, v97
	s_waitcnt lgkmcnt(0)
	v_mul_f64 v[103:104], v[101:102], v[109:110]
	v_fma_f64 v[103:104], v[99:100], v[97:98], -v[103:104]
	v_mul_f64 v[99:100], v[99:100], v[109:110]
	v_add_f64 v[91:92], v[91:92], -v[103:104]
	v_fma_f64 v[99:100], v[101:102], v[97:98], v[99:100]
	v_add_f64 v[93:94], v[93:94], -v[99:100]
	ds_read2_b64 v[99:102], v125 offset0:70 offset1:71
	buffer_load_dword v77, off, s[20:23], 0 offset:160 ; 4-byte Folded Reload
	buffer_load_dword v78, off, s[20:23], 0 offset:164 ; 4-byte Folded Reload
	buffer_load_dword v79, off, s[20:23], 0 offset:168 ; 4-byte Folded Reload
	buffer_load_dword v80, off, s[20:23], 0 offset:172 ; 4-byte Folded Reload
	s_waitcnt lgkmcnt(0)
	v_mul_f64 v[103:104], v[101:102], v[109:110]
	v_fma_f64 v[103:104], v[99:100], v[97:98], -v[103:104]
	v_mul_f64 v[99:100], v[99:100], v[109:110]
	v_fma_f64 v[99:100], v[101:102], v[97:98], v[99:100]
	s_waitcnt vmcnt(2)
	v_add_f64 v[77:78], v[77:78], -v[103:104]
	s_waitcnt vmcnt(0)
	v_add_f64 v[79:80], v[79:80], -v[99:100]
	buffer_store_dword v77, off, s[20:23], 0 offset:160 ; 4-byte Folded Spill
	s_nop 0
	buffer_store_dword v78, off, s[20:23], 0 offset:164 ; 4-byte Folded Spill
	buffer_store_dword v79, off, s[20:23], 0 offset:168 ; 4-byte Folded Spill
	buffer_store_dword v80, off, s[20:23], 0 offset:172 ; 4-byte Folded Spill
	ds_read2_b64 v[99:102], v125 offset0:72 offset1:73
	buffer_load_dword v77, off, s[20:23], 0 offset:144 ; 4-byte Folded Reload
	buffer_load_dword v78, off, s[20:23], 0 offset:148 ; 4-byte Folded Reload
	buffer_load_dword v79, off, s[20:23], 0 offset:152 ; 4-byte Folded Reload
	buffer_load_dword v80, off, s[20:23], 0 offset:156 ; 4-byte Folded Reload
	s_waitcnt lgkmcnt(0)
	v_mul_f64 v[103:104], v[101:102], v[109:110]
	v_fma_f64 v[103:104], v[99:100], v[97:98], -v[103:104]
	v_mul_f64 v[99:100], v[99:100], v[109:110]
	v_fma_f64 v[99:100], v[101:102], v[97:98], v[99:100]
	s_waitcnt vmcnt(2)
	v_add_f64 v[77:78], v[77:78], -v[103:104]
	s_waitcnt vmcnt(0)
	v_add_f64 v[79:80], v[79:80], -v[99:100]
	buffer_store_dword v77, off, s[20:23], 0 offset:144 ; 4-byte Folded Spill
	s_nop 0
	buffer_store_dword v78, off, s[20:23], 0 offset:148 ; 4-byte Folded Spill
	buffer_store_dword v79, off, s[20:23], 0 offset:152 ; 4-byte Folded Spill
	buffer_store_dword v80, off, s[20:23], 0 offset:156 ; 4-byte Folded Spill
	ds_read2_b64 v[99:102], v125 offset0:74 offset1:75
	buffer_load_dword v73, off, s[20:23], 0 offset:128 ; 4-byte Folded Reload
	buffer_load_dword v74, off, s[20:23], 0 offset:132 ; 4-byte Folded Reload
	buffer_load_dword v75, off, s[20:23], 0 offset:136 ; 4-byte Folded Reload
	buffer_load_dword v76, off, s[20:23], 0 offset:140 ; 4-byte Folded Reload
	s_waitcnt lgkmcnt(0)
	v_mul_f64 v[103:104], v[101:102], v[109:110]
	v_fma_f64 v[103:104], v[99:100], v[97:98], -v[103:104]
	v_mul_f64 v[99:100], v[99:100], v[109:110]
	v_fma_f64 v[99:100], v[101:102], v[97:98], v[99:100]
	s_waitcnt vmcnt(2)
	v_add_f64 v[73:74], v[73:74], -v[103:104]
	s_waitcnt vmcnt(0)
	v_add_f64 v[75:76], v[75:76], -v[99:100]
	buffer_store_dword v73, off, s[20:23], 0 offset:128 ; 4-byte Folded Spill
	s_nop 0
	buffer_store_dword v74, off, s[20:23], 0 offset:132 ; 4-byte Folded Spill
	buffer_store_dword v75, off, s[20:23], 0 offset:136 ; 4-byte Folded Spill
	buffer_store_dword v76, off, s[20:23], 0 offset:140 ; 4-byte Folded Spill
	ds_read2_b64 v[99:102], v125 offset0:76 offset1:77
	buffer_load_dword v69, off, s[20:23], 0 offset:112 ; 4-byte Folded Reload
	buffer_load_dword v70, off, s[20:23], 0 offset:116 ; 4-byte Folded Reload
	buffer_load_dword v71, off, s[20:23], 0 offset:120 ; 4-byte Folded Reload
	buffer_load_dword v72, off, s[20:23], 0 offset:124 ; 4-byte Folded Reload
	s_waitcnt lgkmcnt(0)
	v_mul_f64 v[103:104], v[101:102], v[109:110]
	v_fma_f64 v[103:104], v[99:100], v[97:98], -v[103:104]
	v_mul_f64 v[99:100], v[99:100], v[109:110]
	v_fma_f64 v[99:100], v[101:102], v[97:98], v[99:100]
	s_waitcnt vmcnt(2)
	v_add_f64 v[69:70], v[69:70], -v[103:104]
	s_waitcnt vmcnt(0)
	v_add_f64 v[71:72], v[71:72], -v[99:100]
	buffer_store_dword v69, off, s[20:23], 0 offset:112 ; 4-byte Folded Spill
	s_nop 0
	buffer_store_dword v70, off, s[20:23], 0 offset:116 ; 4-byte Folded Spill
	buffer_store_dword v71, off, s[20:23], 0 offset:120 ; 4-byte Folded Spill
	buffer_store_dword v72, off, s[20:23], 0 offset:124 ; 4-byte Folded Spill
	ds_read2_b64 v[99:102], v125 offset0:78 offset1:79
	buffer_load_dword v65, off, s[20:23], 0 offset:96 ; 4-byte Folded Reload
	buffer_load_dword v66, off, s[20:23], 0 offset:100 ; 4-byte Folded Reload
	buffer_load_dword v67, off, s[20:23], 0 offset:104 ; 4-byte Folded Reload
	buffer_load_dword v68, off, s[20:23], 0 offset:108 ; 4-byte Folded Reload
	s_waitcnt lgkmcnt(0)
	v_mul_f64 v[103:104], v[101:102], v[109:110]
	v_fma_f64 v[103:104], v[99:100], v[97:98], -v[103:104]
	v_mul_f64 v[99:100], v[99:100], v[109:110]
	v_fma_f64 v[99:100], v[101:102], v[97:98], v[99:100]
	s_waitcnt vmcnt(2)
	v_add_f64 v[65:66], v[65:66], -v[103:104]
	s_waitcnt vmcnt(0)
	v_add_f64 v[67:68], v[67:68], -v[99:100]
	buffer_store_dword v65, off, s[20:23], 0 offset:96 ; 4-byte Folded Spill
	s_nop 0
	buffer_store_dword v66, off, s[20:23], 0 offset:100 ; 4-byte Folded Spill
	buffer_store_dword v67, off, s[20:23], 0 offset:104 ; 4-byte Folded Spill
	buffer_store_dword v68, off, s[20:23], 0 offset:108 ; 4-byte Folded Spill
	ds_read2_b64 v[99:102], v125 offset0:80 offset1:81
	buffer_load_dword v61, off, s[20:23], 0 offset:80 ; 4-byte Folded Reload
	buffer_load_dword v62, off, s[20:23], 0 offset:84 ; 4-byte Folded Reload
	buffer_load_dword v63, off, s[20:23], 0 offset:88 ; 4-byte Folded Reload
	buffer_load_dword v64, off, s[20:23], 0 offset:92 ; 4-byte Folded Reload
	s_waitcnt lgkmcnt(0)
	v_mul_f64 v[103:104], v[101:102], v[109:110]
	v_fma_f64 v[103:104], v[99:100], v[97:98], -v[103:104]
	v_mul_f64 v[99:100], v[99:100], v[109:110]
	v_fma_f64 v[99:100], v[101:102], v[97:98], v[99:100]
	s_waitcnt vmcnt(2)
	v_add_f64 v[61:62], v[61:62], -v[103:104]
	s_waitcnt vmcnt(0)
	v_add_f64 v[63:64], v[63:64], -v[99:100]
	buffer_store_dword v61, off, s[20:23], 0 offset:80 ; 4-byte Folded Spill
	s_nop 0
	buffer_store_dword v62, off, s[20:23], 0 offset:84 ; 4-byte Folded Spill
	buffer_store_dword v63, off, s[20:23], 0 offset:88 ; 4-byte Folded Spill
	buffer_store_dword v64, off, s[20:23], 0 offset:92 ; 4-byte Folded Spill
	ds_read2_b64 v[99:102], v125 offset0:82 offset1:83
	buffer_load_dword v57, off, s[20:23], 0 offset:64 ; 4-byte Folded Reload
	buffer_load_dword v58, off, s[20:23], 0 offset:68 ; 4-byte Folded Reload
	buffer_load_dword v59, off, s[20:23], 0 offset:72 ; 4-byte Folded Reload
	buffer_load_dword v60, off, s[20:23], 0 offset:76 ; 4-byte Folded Reload
	s_waitcnt lgkmcnt(0)
	v_mul_f64 v[103:104], v[101:102], v[109:110]
	v_fma_f64 v[103:104], v[99:100], v[97:98], -v[103:104]
	v_mul_f64 v[99:100], v[99:100], v[109:110]
	v_fma_f64 v[99:100], v[101:102], v[97:98], v[99:100]
	s_waitcnt vmcnt(2)
	v_add_f64 v[57:58], v[57:58], -v[103:104]
	s_waitcnt vmcnt(0)
	v_add_f64 v[59:60], v[59:60], -v[99:100]
	buffer_store_dword v57, off, s[20:23], 0 offset:64 ; 4-byte Folded Spill
	s_nop 0
	buffer_store_dword v58, off, s[20:23], 0 offset:68 ; 4-byte Folded Spill
	buffer_store_dword v59, off, s[20:23], 0 offset:72 ; 4-byte Folded Spill
	buffer_store_dword v60, off, s[20:23], 0 offset:76 ; 4-byte Folded Spill
	ds_read2_b64 v[99:102], v125 offset0:84 offset1:85
	buffer_load_dword v53, off, s[20:23], 0 offset:48 ; 4-byte Folded Reload
	buffer_load_dword v54, off, s[20:23], 0 offset:52 ; 4-byte Folded Reload
	buffer_load_dword v55, off, s[20:23], 0 offset:56 ; 4-byte Folded Reload
	buffer_load_dword v56, off, s[20:23], 0 offset:60 ; 4-byte Folded Reload
	s_waitcnt lgkmcnt(0)
	v_mul_f64 v[103:104], v[101:102], v[109:110]
	v_fma_f64 v[103:104], v[99:100], v[97:98], -v[103:104]
	v_mul_f64 v[99:100], v[99:100], v[109:110]
	v_fma_f64 v[99:100], v[101:102], v[97:98], v[99:100]
	s_waitcnt vmcnt(2)
	v_add_f64 v[53:54], v[53:54], -v[103:104]
	s_waitcnt vmcnt(0)
	v_add_f64 v[55:56], v[55:56], -v[99:100]
	buffer_store_dword v53, off, s[20:23], 0 offset:48 ; 4-byte Folded Spill
	s_nop 0
	buffer_store_dword v54, off, s[20:23], 0 offset:52 ; 4-byte Folded Spill
	buffer_store_dword v55, off, s[20:23], 0 offset:56 ; 4-byte Folded Spill
	buffer_store_dword v56, off, s[20:23], 0 offset:60 ; 4-byte Folded Spill
	ds_read2_b64 v[99:102], v125 offset0:86 offset1:87
	buffer_load_dword v49, off, s[20:23], 0 offset:32 ; 4-byte Folded Reload
	buffer_load_dword v50, off, s[20:23], 0 offset:36 ; 4-byte Folded Reload
	buffer_load_dword v51, off, s[20:23], 0 offset:40 ; 4-byte Folded Reload
	buffer_load_dword v52, off, s[20:23], 0 offset:44 ; 4-byte Folded Reload
	s_waitcnt lgkmcnt(0)
	v_mul_f64 v[103:104], v[101:102], v[109:110]
	v_fma_f64 v[103:104], v[99:100], v[97:98], -v[103:104]
	v_mul_f64 v[99:100], v[99:100], v[109:110]
	v_fma_f64 v[99:100], v[101:102], v[97:98], v[99:100]
	s_waitcnt vmcnt(2)
	v_add_f64 v[49:50], v[49:50], -v[103:104]
	s_waitcnt vmcnt(0)
	v_add_f64 v[51:52], v[51:52], -v[99:100]
	buffer_store_dword v49, off, s[20:23], 0 offset:32 ; 4-byte Folded Spill
	s_nop 0
	buffer_store_dword v50, off, s[20:23], 0 offset:36 ; 4-byte Folded Spill
	buffer_store_dword v51, off, s[20:23], 0 offset:40 ; 4-byte Folded Spill
	buffer_store_dword v52, off, s[20:23], 0 offset:44 ; 4-byte Folded Spill
	ds_read2_b64 v[99:102], v125 offset0:88 offset1:89
	buffer_load_dword v45, off, s[20:23], 0 offset:16 ; 4-byte Folded Reload
	buffer_load_dword v46, off, s[20:23], 0 offset:20 ; 4-byte Folded Reload
	buffer_load_dword v47, off, s[20:23], 0 offset:24 ; 4-byte Folded Reload
	buffer_load_dword v48, off, s[20:23], 0 offset:28 ; 4-byte Folded Reload
	s_waitcnt lgkmcnt(0)
	v_mul_f64 v[103:104], v[101:102], v[109:110]
	v_fma_f64 v[103:104], v[99:100], v[97:98], -v[103:104]
	v_mul_f64 v[99:100], v[99:100], v[109:110]
	v_fma_f64 v[99:100], v[101:102], v[97:98], v[99:100]
	s_waitcnt vmcnt(2)
	v_add_f64 v[45:46], v[45:46], -v[103:104]
	s_waitcnt vmcnt(0)
	v_add_f64 v[47:48], v[47:48], -v[99:100]
	buffer_store_dword v45, off, s[20:23], 0 offset:16 ; 4-byte Folded Spill
	s_nop 0
	buffer_store_dword v46, off, s[20:23], 0 offset:20 ; 4-byte Folded Spill
	buffer_store_dword v47, off, s[20:23], 0 offset:24 ; 4-byte Folded Spill
	buffer_store_dword v48, off, s[20:23], 0 offset:28 ; 4-byte Folded Spill
	ds_read2_b64 v[99:102], v125 offset0:90 offset1:91
	buffer_load_dword v41, off, s[20:23], 0 ; 4-byte Folded Reload
	buffer_load_dword v42, off, s[20:23], 0 offset:4 ; 4-byte Folded Reload
	buffer_load_dword v43, off, s[20:23], 0 offset:8 ; 4-byte Folded Reload
	;; [unrolled: 1-line block ×3, first 2 shown]
	s_waitcnt lgkmcnt(0)
	v_mul_f64 v[103:104], v[101:102], v[109:110]
	v_fma_f64 v[103:104], v[99:100], v[97:98], -v[103:104]
	v_mul_f64 v[99:100], v[99:100], v[109:110]
	v_fma_f64 v[99:100], v[101:102], v[97:98], v[99:100]
	s_waitcnt vmcnt(2)
	v_add_f64 v[41:42], v[41:42], -v[103:104]
	s_waitcnt vmcnt(0)
	v_add_f64 v[43:44], v[43:44], -v[99:100]
	buffer_store_dword v41, off, s[20:23], 0 ; 4-byte Folded Spill
	s_nop 0
	buffer_store_dword v42, off, s[20:23], 0 offset:4 ; 4-byte Folded Spill
	buffer_store_dword v43, off, s[20:23], 0 offset:8 ; 4-byte Folded Spill
	;; [unrolled: 1-line block ×3, first 2 shown]
	ds_read2_b64 v[99:102], v125 offset0:92 offset1:93
	s_waitcnt lgkmcnt(0)
	v_mul_f64 v[103:104], v[101:102], v[109:110]
	v_fma_f64 v[103:104], v[99:100], v[97:98], -v[103:104]
	v_mul_f64 v[99:100], v[99:100], v[109:110]
	v_add_f64 v[37:38], v[37:38], -v[103:104]
	v_fma_f64 v[99:100], v[101:102], v[97:98], v[99:100]
	v_add_f64 v[39:40], v[39:40], -v[99:100]
	ds_read2_b64 v[99:102], v125 offset0:94 offset1:95
	s_waitcnt lgkmcnt(0)
	v_mul_f64 v[103:104], v[101:102], v[109:110]
	v_fma_f64 v[103:104], v[99:100], v[97:98], -v[103:104]
	v_mul_f64 v[99:100], v[99:100], v[109:110]
	v_add_f64 v[33:34], v[33:34], -v[103:104]
	v_fma_f64 v[99:100], v[101:102], v[97:98], v[99:100]
	v_add_f64 v[35:36], v[35:36], -v[99:100]
	;; [unrolled: 8-line block ×9, first 2 shown]
	ds_read2_b64 v[99:102], v125 offset0:110 offset1:111
	s_waitcnt lgkmcnt(0)
	v_mul_f64 v[103:104], v[101:102], v[109:110]
	v_fma_f64 v[103:104], v[99:100], v[97:98], -v[103:104]
	v_mul_f64 v[99:100], v[99:100], v[109:110]
	v_add_f64 v[1:2], v[1:2], -v[103:104]
	v_fma_f64 v[99:100], v[101:102], v[97:98], v[99:100]
	ds_read2_b64 v[101:104], v125 offset0:112 offset1:113
	v_add_f64 v[3:4], v[3:4], -v[99:100]
	s_waitcnt lgkmcnt(0)
	v_mul_f64 v[99:100], v[103:104], v[109:110]
	v_fma_f64 v[99:100], v[101:102], v[97:98], -v[99:100]
	v_mul_f64 v[101:102], v[101:102], v[109:110]
	buffer_store_dword v107, off, s[20:23], 0 offset:688 ; 4-byte Folded Spill
	s_nop 0
	buffer_store_dword v108, off, s[20:23], 0 offset:692 ; 4-byte Folded Spill
	buffer_store_dword v109, off, s[20:23], 0 offset:696 ; 4-byte Folded Spill
	;; [unrolled: 1-line block ×3, first 2 shown]
	v_add_f64 v[121:122], v[121:122], -v[99:100]
	v_fma_f64 v[101:102], v[103:104], v[97:98], v[101:102]
	v_add_f64 v[123:124], v[123:124], -v[101:102]
.LBB113_19:
	s_or_b64 exec, exec, s[2:3]
	v_cmp_eq_u32_e32 vcc, 2, v0
	s_waitcnt vmcnt(0)
	s_barrier
	s_and_saveexec_b64 s[4:5], vcc
	s_cbranch_execz .LBB113_26
; %bb.20:
	buffer_load_dword v95, off, s[20:23], 0 offset:672 ; 4-byte Folded Reload
	buffer_load_dword v96, off, s[20:23], 0 offset:676 ; 4-byte Folded Reload
	;; [unrolled: 1-line block ×4, first 2 shown]
	s_waitcnt vmcnt(0)
	ds_write2_b64 v127, v[95:96], v[97:98] offset1:1
	buffer_load_dword v95, off, s[20:23], 0 offset:656 ; 4-byte Folded Reload
	buffer_load_dword v96, off, s[20:23], 0 offset:660 ; 4-byte Folded Reload
	buffer_load_dword v97, off, s[20:23], 0 offset:664 ; 4-byte Folded Reload
	buffer_load_dword v98, off, s[20:23], 0 offset:668 ; 4-byte Folded Reload
	s_waitcnt vmcnt(0)
	ds_write2_b64 v125, v[95:96], v[97:98] offset0:6 offset1:7
	buffer_load_dword v95, off, s[20:23], 0 offset:640 ; 4-byte Folded Reload
	buffer_load_dword v96, off, s[20:23], 0 offset:644 ; 4-byte Folded Reload
	buffer_load_dword v97, off, s[20:23], 0 offset:648 ; 4-byte Folded Reload
	buffer_load_dword v98, off, s[20:23], 0 offset:652 ; 4-byte Folded Reload
	s_waitcnt vmcnt(0)
	ds_write2_b64 v125, v[95:96], v[97:98] offset0:8 offset1:9
	;; [unrolled: 6-line block ×31, first 2 shown]
	ds_write2_b64 v125, v[91:92], v[93:94] offset0:68 offset1:69
	buffer_load_dword v77, off, s[20:23], 0 offset:160 ; 4-byte Folded Reload
	buffer_load_dword v78, off, s[20:23], 0 offset:164 ; 4-byte Folded Reload
	buffer_load_dword v79, off, s[20:23], 0 offset:168 ; 4-byte Folded Reload
	buffer_load_dword v80, off, s[20:23], 0 offset:172 ; 4-byte Folded Reload
	s_waitcnt vmcnt(0)
	ds_write2_b64 v125, v[77:78], v[79:80] offset0:70 offset1:71
	buffer_load_dword v77, off, s[20:23], 0 offset:144 ; 4-byte Folded Reload
	buffer_load_dword v78, off, s[20:23], 0 offset:148 ; 4-byte Folded Reload
	buffer_load_dword v79, off, s[20:23], 0 offset:152 ; 4-byte Folded Reload
	buffer_load_dword v80, off, s[20:23], 0 offset:156 ; 4-byte Folded Reload
	s_waitcnt vmcnt(0)
	;; [unrolled: 6-line block ×10, first 2 shown]
	ds_write2_b64 v125, v[45:46], v[47:48] offset0:88 offset1:89
	buffer_load_dword v41, off, s[20:23], 0 ; 4-byte Folded Reload
	buffer_load_dword v42, off, s[20:23], 0 offset:4 ; 4-byte Folded Reload
	buffer_load_dword v43, off, s[20:23], 0 offset:8 ; 4-byte Folded Reload
	;; [unrolled: 1-line block ×3, first 2 shown]
	s_waitcnt vmcnt(0)
	ds_write2_b64 v125, v[41:42], v[43:44] offset0:90 offset1:91
	ds_write2_b64 v125, v[37:38], v[39:40] offset0:92 offset1:93
	;; [unrolled: 1-line block ×12, first 2 shown]
	ds_read2_b64 v[97:100], v127 offset1:1
	s_waitcnt lgkmcnt(0)
	v_cmp_neq_f64_e32 vcc, 0, v[97:98]
	v_cmp_neq_f64_e64 s[2:3], 0, v[99:100]
	s_or_b64 s[2:3], vcc, s[2:3]
	s_and_b64 exec, exec, s[2:3]
	s_cbranch_execz .LBB113_26
; %bb.21:
	v_cmp_ngt_f64_e64 s[2:3], |v[97:98]|, |v[99:100]|
                                        ; implicit-def: $vgpr101_vgpr102
	s_and_saveexec_b64 s[6:7], s[2:3]
	s_xor_b64 s[2:3], exec, s[6:7]
                                        ; implicit-def: $vgpr103_vgpr104
	s_cbranch_execz .LBB113_23
; %bb.22:
	v_div_scale_f64 v[101:102], s[6:7], v[99:100], v[99:100], v[97:98]
	v_rcp_f64_e32 v[103:104], v[101:102]
	v_fma_f64 v[105:106], -v[101:102], v[103:104], 1.0
	v_fma_f64 v[103:104], v[103:104], v[105:106], v[103:104]
	v_div_scale_f64 v[105:106], vcc, v[97:98], v[99:100], v[97:98]
	v_fma_f64 v[107:108], -v[101:102], v[103:104], 1.0
	v_fma_f64 v[103:104], v[103:104], v[107:108], v[103:104]
	v_mul_f64 v[107:108], v[105:106], v[103:104]
	v_fma_f64 v[101:102], -v[101:102], v[107:108], v[105:106]
	v_div_fmas_f64 v[101:102], v[101:102], v[103:104], v[107:108]
	v_div_fixup_f64 v[101:102], v[101:102], v[99:100], v[97:98]
	v_fma_f64 v[97:98], v[97:98], v[101:102], v[99:100]
	v_div_scale_f64 v[99:100], s[6:7], v[97:98], v[97:98], 1.0
	v_div_scale_f64 v[107:108], vcc, 1.0, v[97:98], 1.0
	v_rcp_f64_e32 v[103:104], v[99:100]
	v_fma_f64 v[105:106], -v[99:100], v[103:104], 1.0
	v_fma_f64 v[103:104], v[103:104], v[105:106], v[103:104]
	v_fma_f64 v[105:106], -v[99:100], v[103:104], 1.0
	v_fma_f64 v[103:104], v[103:104], v[105:106], v[103:104]
	v_mul_f64 v[105:106], v[107:108], v[103:104]
	v_fma_f64 v[99:100], -v[99:100], v[105:106], v[107:108]
	v_div_fmas_f64 v[99:100], v[99:100], v[103:104], v[105:106]
	v_div_fixup_f64 v[103:104], v[99:100], v[97:98], 1.0
                                        ; implicit-def: $vgpr97_vgpr98
	v_mul_f64 v[101:102], v[101:102], v[103:104]
	v_xor_b32_e32 v104, 0x80000000, v104
.LBB113_23:
	s_andn2_saveexec_b64 s[2:3], s[2:3]
	s_cbranch_execz .LBB113_25
; %bb.24:
	v_div_scale_f64 v[101:102], s[6:7], v[97:98], v[97:98], v[99:100]
	v_rcp_f64_e32 v[103:104], v[101:102]
	v_fma_f64 v[105:106], -v[101:102], v[103:104], 1.0
	v_fma_f64 v[103:104], v[103:104], v[105:106], v[103:104]
	v_div_scale_f64 v[105:106], vcc, v[99:100], v[97:98], v[99:100]
	v_fma_f64 v[107:108], -v[101:102], v[103:104], 1.0
	v_fma_f64 v[103:104], v[103:104], v[107:108], v[103:104]
	v_mul_f64 v[107:108], v[105:106], v[103:104]
	v_fma_f64 v[101:102], -v[101:102], v[107:108], v[105:106]
	v_div_fmas_f64 v[101:102], v[101:102], v[103:104], v[107:108]
	v_div_fixup_f64 v[103:104], v[101:102], v[97:98], v[99:100]
	v_fma_f64 v[97:98], v[99:100], v[103:104], v[97:98]
	v_div_scale_f64 v[99:100], s[6:7], v[97:98], v[97:98], 1.0
	v_div_scale_f64 v[107:108], vcc, 1.0, v[97:98], 1.0
	v_rcp_f64_e32 v[101:102], v[99:100]
	v_fma_f64 v[105:106], -v[99:100], v[101:102], 1.0
	v_fma_f64 v[101:102], v[101:102], v[105:106], v[101:102]
	v_fma_f64 v[105:106], -v[99:100], v[101:102], 1.0
	v_fma_f64 v[101:102], v[101:102], v[105:106], v[101:102]
	v_mul_f64 v[105:106], v[107:108], v[101:102]
	v_fma_f64 v[99:100], -v[99:100], v[105:106], v[107:108]
	v_div_fmas_f64 v[99:100], v[99:100], v[101:102], v[105:106]
	v_div_fixup_f64 v[101:102], v[99:100], v[97:98], 1.0
	v_mul_f64 v[103:104], v[103:104], -v[101:102]
.LBB113_25:
	s_or_b64 exec, exec, s[2:3]
	ds_write2_b64 v127, v[101:102], v[103:104] offset1:1
.LBB113_26:
	s_or_b64 exec, exec, s[4:5]
	s_waitcnt lgkmcnt(0)
	s_barrier
	ds_read2_b64 v[87:90], v127 offset1:1
	v_cmp_lt_u32_e32 vcc, 2, v0
	s_waitcnt lgkmcnt(0)
	buffer_store_dword v87, off, s[20:23], 0 offset:1200 ; 4-byte Folded Spill
	s_nop 0
	buffer_store_dword v88, off, s[20:23], 0 offset:1204 ; 4-byte Folded Spill
	buffer_store_dword v89, off, s[20:23], 0 offset:1208 ; 4-byte Folded Spill
	;; [unrolled: 1-line block ×3, first 2 shown]
	s_and_saveexec_b64 s[2:3], vcc
	s_cbranch_execz .LBB113_28
; %bb.27:
	buffer_load_dword v107, off, s[20:23], 0 offset:672 ; 4-byte Folded Reload
	buffer_load_dword v108, off, s[20:23], 0 offset:676 ; 4-byte Folded Reload
	;; [unrolled: 1-line block ×8, first 2 shown]
	s_waitcnt vmcnt(2)
	v_mul_f64 v[99:100], v[87:88], v[109:110]
	s_waitcnt vmcnt(0)
	v_mul_f64 v[97:98], v[89:90], v[109:110]
	v_fma_f64 v[109:110], v[89:90], v[107:108], v[99:100]
	ds_read2_b64 v[99:102], v125 offset0:6 offset1:7
	v_fma_f64 v[97:98], v[87:88], v[107:108], -v[97:98]
	buffer_load_dword v105, off, s[20:23], 0 offset:656 ; 4-byte Folded Reload
	buffer_load_dword v106, off, s[20:23], 0 offset:660 ; 4-byte Folded Reload
	buffer_load_dword v107, off, s[20:23], 0 offset:664 ; 4-byte Folded Reload
	buffer_load_dword v108, off, s[20:23], 0 offset:668 ; 4-byte Folded Reload
	s_waitcnt lgkmcnt(0)
	v_mul_f64 v[103:104], v[101:102], v[109:110]
	v_fma_f64 v[103:104], v[99:100], v[97:98], -v[103:104]
	v_mul_f64 v[99:100], v[99:100], v[109:110]
	v_fma_f64 v[99:100], v[101:102], v[97:98], v[99:100]
	s_waitcnt vmcnt(2)
	v_add_f64 v[105:106], v[105:106], -v[103:104]
	s_waitcnt vmcnt(0)
	v_add_f64 v[107:108], v[107:108], -v[99:100]
	buffer_store_dword v105, off, s[20:23], 0 offset:656 ; 4-byte Folded Spill
	s_nop 0
	buffer_store_dword v106, off, s[20:23], 0 offset:660 ; 4-byte Folded Spill
	buffer_store_dword v107, off, s[20:23], 0 offset:664 ; 4-byte Folded Spill
	buffer_store_dword v108, off, s[20:23], 0 offset:668 ; 4-byte Folded Spill
	ds_read2_b64 v[99:102], v125 offset0:8 offset1:9
	buffer_load_dword v105, off, s[20:23], 0 offset:640 ; 4-byte Folded Reload
	buffer_load_dword v106, off, s[20:23], 0 offset:644 ; 4-byte Folded Reload
	buffer_load_dword v107, off, s[20:23], 0 offset:648 ; 4-byte Folded Reload
	buffer_load_dword v108, off, s[20:23], 0 offset:652 ; 4-byte Folded Reload
	s_waitcnt lgkmcnt(0)
	v_mul_f64 v[103:104], v[101:102], v[109:110]
	v_fma_f64 v[103:104], v[99:100], v[97:98], -v[103:104]
	v_mul_f64 v[99:100], v[99:100], v[109:110]
	v_fma_f64 v[99:100], v[101:102], v[97:98], v[99:100]
	s_waitcnt vmcnt(2)
	v_add_f64 v[105:106], v[105:106], -v[103:104]
	s_waitcnt vmcnt(0)
	v_add_f64 v[107:108], v[107:108], -v[99:100]
	buffer_store_dword v105, off, s[20:23], 0 offset:640 ; 4-byte Folded Spill
	s_nop 0
	buffer_store_dword v106, off, s[20:23], 0 offset:644 ; 4-byte Folded Spill
	buffer_store_dword v107, off, s[20:23], 0 offset:648 ; 4-byte Folded Spill
	buffer_store_dword v108, off, s[20:23], 0 offset:652 ; 4-byte Folded Spill
	ds_read2_b64 v[99:102], v125 offset0:10 offset1:11
	buffer_load_dword v105, off, s[20:23], 0 offset:624 ; 4-byte Folded Reload
	buffer_load_dword v106, off, s[20:23], 0 offset:628 ; 4-byte Folded Reload
	buffer_load_dword v107, off, s[20:23], 0 offset:632 ; 4-byte Folded Reload
	buffer_load_dword v108, off, s[20:23], 0 offset:636 ; 4-byte Folded Reload
	s_waitcnt lgkmcnt(0)
	v_mul_f64 v[103:104], v[101:102], v[109:110]
	v_fma_f64 v[103:104], v[99:100], v[97:98], -v[103:104]
	v_mul_f64 v[99:100], v[99:100], v[109:110]
	v_fma_f64 v[99:100], v[101:102], v[97:98], v[99:100]
	s_waitcnt vmcnt(2)
	v_add_f64 v[105:106], v[105:106], -v[103:104]
	s_waitcnt vmcnt(0)
	v_add_f64 v[107:108], v[107:108], -v[99:100]
	buffer_store_dword v105, off, s[20:23], 0 offset:624 ; 4-byte Folded Spill
	s_nop 0
	buffer_store_dword v106, off, s[20:23], 0 offset:628 ; 4-byte Folded Spill
	buffer_store_dword v107, off, s[20:23], 0 offset:632 ; 4-byte Folded Spill
	buffer_store_dword v108, off, s[20:23], 0 offset:636 ; 4-byte Folded Spill
	ds_read2_b64 v[99:102], v125 offset0:12 offset1:13
	buffer_load_dword v105, off, s[20:23], 0 offset:608 ; 4-byte Folded Reload
	buffer_load_dword v106, off, s[20:23], 0 offset:612 ; 4-byte Folded Reload
	buffer_load_dword v107, off, s[20:23], 0 offset:616 ; 4-byte Folded Reload
	buffer_load_dword v108, off, s[20:23], 0 offset:620 ; 4-byte Folded Reload
	s_waitcnt lgkmcnt(0)
	v_mul_f64 v[103:104], v[101:102], v[109:110]
	v_fma_f64 v[103:104], v[99:100], v[97:98], -v[103:104]
	v_mul_f64 v[99:100], v[99:100], v[109:110]
	v_fma_f64 v[99:100], v[101:102], v[97:98], v[99:100]
	s_waitcnt vmcnt(2)
	v_add_f64 v[105:106], v[105:106], -v[103:104]
	s_waitcnt vmcnt(0)
	v_add_f64 v[107:108], v[107:108], -v[99:100]
	buffer_store_dword v105, off, s[20:23], 0 offset:608 ; 4-byte Folded Spill
	s_nop 0
	buffer_store_dword v106, off, s[20:23], 0 offset:612 ; 4-byte Folded Spill
	buffer_store_dword v107, off, s[20:23], 0 offset:616 ; 4-byte Folded Spill
	buffer_store_dword v108, off, s[20:23], 0 offset:620 ; 4-byte Folded Spill
	ds_read2_b64 v[99:102], v125 offset0:14 offset1:15
	buffer_load_dword v105, off, s[20:23], 0 offset:592 ; 4-byte Folded Reload
	buffer_load_dword v106, off, s[20:23], 0 offset:596 ; 4-byte Folded Reload
	buffer_load_dword v107, off, s[20:23], 0 offset:600 ; 4-byte Folded Reload
	buffer_load_dword v108, off, s[20:23], 0 offset:604 ; 4-byte Folded Reload
	s_waitcnt lgkmcnt(0)
	v_mul_f64 v[103:104], v[101:102], v[109:110]
	v_fma_f64 v[103:104], v[99:100], v[97:98], -v[103:104]
	v_mul_f64 v[99:100], v[99:100], v[109:110]
	v_fma_f64 v[99:100], v[101:102], v[97:98], v[99:100]
	s_waitcnt vmcnt(2)
	v_add_f64 v[105:106], v[105:106], -v[103:104]
	s_waitcnt vmcnt(0)
	v_add_f64 v[107:108], v[107:108], -v[99:100]
	buffer_store_dword v105, off, s[20:23], 0 offset:592 ; 4-byte Folded Spill
	s_nop 0
	buffer_store_dword v106, off, s[20:23], 0 offset:596 ; 4-byte Folded Spill
	buffer_store_dword v107, off, s[20:23], 0 offset:600 ; 4-byte Folded Spill
	buffer_store_dword v108, off, s[20:23], 0 offset:604 ; 4-byte Folded Spill
	ds_read2_b64 v[99:102], v125 offset0:16 offset1:17
	buffer_load_dword v105, off, s[20:23], 0 offset:576 ; 4-byte Folded Reload
	buffer_load_dword v106, off, s[20:23], 0 offset:580 ; 4-byte Folded Reload
	buffer_load_dword v107, off, s[20:23], 0 offset:584 ; 4-byte Folded Reload
	buffer_load_dword v108, off, s[20:23], 0 offset:588 ; 4-byte Folded Reload
	s_waitcnt lgkmcnt(0)
	v_mul_f64 v[103:104], v[101:102], v[109:110]
	v_fma_f64 v[103:104], v[99:100], v[97:98], -v[103:104]
	v_mul_f64 v[99:100], v[99:100], v[109:110]
	v_fma_f64 v[99:100], v[101:102], v[97:98], v[99:100]
	s_waitcnt vmcnt(2)
	v_add_f64 v[105:106], v[105:106], -v[103:104]
	s_waitcnt vmcnt(0)
	v_add_f64 v[107:108], v[107:108], -v[99:100]
	buffer_store_dword v105, off, s[20:23], 0 offset:576 ; 4-byte Folded Spill
	s_nop 0
	buffer_store_dword v106, off, s[20:23], 0 offset:580 ; 4-byte Folded Spill
	buffer_store_dword v107, off, s[20:23], 0 offset:584 ; 4-byte Folded Spill
	buffer_store_dword v108, off, s[20:23], 0 offset:588 ; 4-byte Folded Spill
	ds_read2_b64 v[99:102], v125 offset0:18 offset1:19
	buffer_load_dword v105, off, s[20:23], 0 offset:560 ; 4-byte Folded Reload
	buffer_load_dword v106, off, s[20:23], 0 offset:564 ; 4-byte Folded Reload
	buffer_load_dword v107, off, s[20:23], 0 offset:568 ; 4-byte Folded Reload
	buffer_load_dword v108, off, s[20:23], 0 offset:572 ; 4-byte Folded Reload
	s_waitcnt lgkmcnt(0)
	v_mul_f64 v[103:104], v[101:102], v[109:110]
	v_fma_f64 v[103:104], v[99:100], v[97:98], -v[103:104]
	v_mul_f64 v[99:100], v[99:100], v[109:110]
	v_fma_f64 v[99:100], v[101:102], v[97:98], v[99:100]
	s_waitcnt vmcnt(2)
	v_add_f64 v[105:106], v[105:106], -v[103:104]
	s_waitcnt vmcnt(0)
	v_add_f64 v[107:108], v[107:108], -v[99:100]
	buffer_store_dword v105, off, s[20:23], 0 offset:560 ; 4-byte Folded Spill
	s_nop 0
	buffer_store_dword v106, off, s[20:23], 0 offset:564 ; 4-byte Folded Spill
	buffer_store_dword v107, off, s[20:23], 0 offset:568 ; 4-byte Folded Spill
	buffer_store_dword v108, off, s[20:23], 0 offset:572 ; 4-byte Folded Spill
	ds_read2_b64 v[99:102], v125 offset0:20 offset1:21
	buffer_load_dword v105, off, s[20:23], 0 offset:544 ; 4-byte Folded Reload
	buffer_load_dword v106, off, s[20:23], 0 offset:548 ; 4-byte Folded Reload
	buffer_load_dword v107, off, s[20:23], 0 offset:552 ; 4-byte Folded Reload
	buffer_load_dword v108, off, s[20:23], 0 offset:556 ; 4-byte Folded Reload
	s_waitcnt lgkmcnt(0)
	v_mul_f64 v[103:104], v[101:102], v[109:110]
	v_fma_f64 v[103:104], v[99:100], v[97:98], -v[103:104]
	v_mul_f64 v[99:100], v[99:100], v[109:110]
	v_fma_f64 v[99:100], v[101:102], v[97:98], v[99:100]
	s_waitcnt vmcnt(2)
	v_add_f64 v[105:106], v[105:106], -v[103:104]
	s_waitcnt vmcnt(0)
	v_add_f64 v[107:108], v[107:108], -v[99:100]
	buffer_store_dword v105, off, s[20:23], 0 offset:544 ; 4-byte Folded Spill
	s_nop 0
	buffer_store_dword v106, off, s[20:23], 0 offset:548 ; 4-byte Folded Spill
	buffer_store_dword v107, off, s[20:23], 0 offset:552 ; 4-byte Folded Spill
	buffer_store_dword v108, off, s[20:23], 0 offset:556 ; 4-byte Folded Spill
	ds_read2_b64 v[99:102], v125 offset0:22 offset1:23
	buffer_load_dword v105, off, s[20:23], 0 offset:528 ; 4-byte Folded Reload
	buffer_load_dword v106, off, s[20:23], 0 offset:532 ; 4-byte Folded Reload
	buffer_load_dword v107, off, s[20:23], 0 offset:536 ; 4-byte Folded Reload
	buffer_load_dword v108, off, s[20:23], 0 offset:540 ; 4-byte Folded Reload
	s_waitcnt lgkmcnt(0)
	v_mul_f64 v[103:104], v[101:102], v[109:110]
	v_fma_f64 v[103:104], v[99:100], v[97:98], -v[103:104]
	v_mul_f64 v[99:100], v[99:100], v[109:110]
	v_fma_f64 v[99:100], v[101:102], v[97:98], v[99:100]
	s_waitcnt vmcnt(2)
	v_add_f64 v[105:106], v[105:106], -v[103:104]
	s_waitcnt vmcnt(0)
	v_add_f64 v[107:108], v[107:108], -v[99:100]
	buffer_store_dword v105, off, s[20:23], 0 offset:528 ; 4-byte Folded Spill
	s_nop 0
	buffer_store_dword v106, off, s[20:23], 0 offset:532 ; 4-byte Folded Spill
	buffer_store_dword v107, off, s[20:23], 0 offset:536 ; 4-byte Folded Spill
	buffer_store_dword v108, off, s[20:23], 0 offset:540 ; 4-byte Folded Spill
	ds_read2_b64 v[99:102], v125 offset0:24 offset1:25
	buffer_load_dword v105, off, s[20:23], 0 offset:512 ; 4-byte Folded Reload
	buffer_load_dword v106, off, s[20:23], 0 offset:516 ; 4-byte Folded Reload
	buffer_load_dword v107, off, s[20:23], 0 offset:520 ; 4-byte Folded Reload
	buffer_load_dword v108, off, s[20:23], 0 offset:524 ; 4-byte Folded Reload
	s_waitcnt lgkmcnt(0)
	v_mul_f64 v[103:104], v[101:102], v[109:110]
	v_fma_f64 v[103:104], v[99:100], v[97:98], -v[103:104]
	v_mul_f64 v[99:100], v[99:100], v[109:110]
	v_fma_f64 v[99:100], v[101:102], v[97:98], v[99:100]
	s_waitcnt vmcnt(2)
	v_add_f64 v[105:106], v[105:106], -v[103:104]
	s_waitcnt vmcnt(0)
	v_add_f64 v[107:108], v[107:108], -v[99:100]
	buffer_store_dword v105, off, s[20:23], 0 offset:512 ; 4-byte Folded Spill
	s_nop 0
	buffer_store_dword v106, off, s[20:23], 0 offset:516 ; 4-byte Folded Spill
	buffer_store_dword v107, off, s[20:23], 0 offset:520 ; 4-byte Folded Spill
	buffer_store_dword v108, off, s[20:23], 0 offset:524 ; 4-byte Folded Spill
	ds_read2_b64 v[99:102], v125 offset0:26 offset1:27
	buffer_load_dword v105, off, s[20:23], 0 offset:496 ; 4-byte Folded Reload
	buffer_load_dword v106, off, s[20:23], 0 offset:500 ; 4-byte Folded Reload
	buffer_load_dword v107, off, s[20:23], 0 offset:504 ; 4-byte Folded Reload
	buffer_load_dword v108, off, s[20:23], 0 offset:508 ; 4-byte Folded Reload
	s_waitcnt lgkmcnt(0)
	v_mul_f64 v[103:104], v[101:102], v[109:110]
	v_fma_f64 v[103:104], v[99:100], v[97:98], -v[103:104]
	v_mul_f64 v[99:100], v[99:100], v[109:110]
	v_fma_f64 v[99:100], v[101:102], v[97:98], v[99:100]
	s_waitcnt vmcnt(2)
	v_add_f64 v[105:106], v[105:106], -v[103:104]
	s_waitcnt vmcnt(0)
	v_add_f64 v[107:108], v[107:108], -v[99:100]
	buffer_store_dword v105, off, s[20:23], 0 offset:496 ; 4-byte Folded Spill
	s_nop 0
	buffer_store_dword v106, off, s[20:23], 0 offset:500 ; 4-byte Folded Spill
	buffer_store_dword v107, off, s[20:23], 0 offset:504 ; 4-byte Folded Spill
	buffer_store_dword v108, off, s[20:23], 0 offset:508 ; 4-byte Folded Spill
	ds_read2_b64 v[99:102], v125 offset0:28 offset1:29
	buffer_load_dword v105, off, s[20:23], 0 offset:480 ; 4-byte Folded Reload
	buffer_load_dword v106, off, s[20:23], 0 offset:484 ; 4-byte Folded Reload
	buffer_load_dword v107, off, s[20:23], 0 offset:488 ; 4-byte Folded Reload
	buffer_load_dword v108, off, s[20:23], 0 offset:492 ; 4-byte Folded Reload
	s_waitcnt lgkmcnt(0)
	v_mul_f64 v[103:104], v[101:102], v[109:110]
	v_fma_f64 v[103:104], v[99:100], v[97:98], -v[103:104]
	v_mul_f64 v[99:100], v[99:100], v[109:110]
	v_fma_f64 v[99:100], v[101:102], v[97:98], v[99:100]
	s_waitcnt vmcnt(2)
	v_add_f64 v[105:106], v[105:106], -v[103:104]
	s_waitcnt vmcnt(0)
	v_add_f64 v[107:108], v[107:108], -v[99:100]
	buffer_store_dword v105, off, s[20:23], 0 offset:480 ; 4-byte Folded Spill
	s_nop 0
	buffer_store_dword v106, off, s[20:23], 0 offset:484 ; 4-byte Folded Spill
	buffer_store_dword v107, off, s[20:23], 0 offset:488 ; 4-byte Folded Spill
	buffer_store_dword v108, off, s[20:23], 0 offset:492 ; 4-byte Folded Spill
	ds_read2_b64 v[99:102], v125 offset0:30 offset1:31
	buffer_load_dword v105, off, s[20:23], 0 offset:464 ; 4-byte Folded Reload
	buffer_load_dword v106, off, s[20:23], 0 offset:468 ; 4-byte Folded Reload
	buffer_load_dword v107, off, s[20:23], 0 offset:472 ; 4-byte Folded Reload
	buffer_load_dword v108, off, s[20:23], 0 offset:476 ; 4-byte Folded Reload
	s_waitcnt lgkmcnt(0)
	v_mul_f64 v[103:104], v[101:102], v[109:110]
	v_fma_f64 v[103:104], v[99:100], v[97:98], -v[103:104]
	v_mul_f64 v[99:100], v[99:100], v[109:110]
	v_fma_f64 v[99:100], v[101:102], v[97:98], v[99:100]
	s_waitcnt vmcnt(2)
	v_add_f64 v[105:106], v[105:106], -v[103:104]
	s_waitcnt vmcnt(0)
	v_add_f64 v[107:108], v[107:108], -v[99:100]
	buffer_store_dword v105, off, s[20:23], 0 offset:464 ; 4-byte Folded Spill
	s_nop 0
	buffer_store_dword v106, off, s[20:23], 0 offset:468 ; 4-byte Folded Spill
	buffer_store_dword v107, off, s[20:23], 0 offset:472 ; 4-byte Folded Spill
	buffer_store_dword v108, off, s[20:23], 0 offset:476 ; 4-byte Folded Spill
	ds_read2_b64 v[99:102], v125 offset0:32 offset1:33
	buffer_load_dword v105, off, s[20:23], 0 offset:448 ; 4-byte Folded Reload
	buffer_load_dword v106, off, s[20:23], 0 offset:452 ; 4-byte Folded Reload
	buffer_load_dword v107, off, s[20:23], 0 offset:456 ; 4-byte Folded Reload
	buffer_load_dword v108, off, s[20:23], 0 offset:460 ; 4-byte Folded Reload
	s_waitcnt lgkmcnt(0)
	v_mul_f64 v[103:104], v[101:102], v[109:110]
	v_fma_f64 v[103:104], v[99:100], v[97:98], -v[103:104]
	v_mul_f64 v[99:100], v[99:100], v[109:110]
	v_fma_f64 v[99:100], v[101:102], v[97:98], v[99:100]
	s_waitcnt vmcnt(2)
	v_add_f64 v[105:106], v[105:106], -v[103:104]
	s_waitcnt vmcnt(0)
	v_add_f64 v[107:108], v[107:108], -v[99:100]
	buffer_store_dword v105, off, s[20:23], 0 offset:448 ; 4-byte Folded Spill
	s_nop 0
	buffer_store_dword v106, off, s[20:23], 0 offset:452 ; 4-byte Folded Spill
	buffer_store_dword v107, off, s[20:23], 0 offset:456 ; 4-byte Folded Spill
	buffer_store_dword v108, off, s[20:23], 0 offset:460 ; 4-byte Folded Spill
	ds_read2_b64 v[99:102], v125 offset0:34 offset1:35
	buffer_load_dword v105, off, s[20:23], 0 offset:432 ; 4-byte Folded Reload
	buffer_load_dword v106, off, s[20:23], 0 offset:436 ; 4-byte Folded Reload
	buffer_load_dword v107, off, s[20:23], 0 offset:440 ; 4-byte Folded Reload
	buffer_load_dword v108, off, s[20:23], 0 offset:444 ; 4-byte Folded Reload
	s_waitcnt lgkmcnt(0)
	v_mul_f64 v[103:104], v[101:102], v[109:110]
	v_fma_f64 v[103:104], v[99:100], v[97:98], -v[103:104]
	v_mul_f64 v[99:100], v[99:100], v[109:110]
	v_fma_f64 v[99:100], v[101:102], v[97:98], v[99:100]
	s_waitcnt vmcnt(2)
	v_add_f64 v[105:106], v[105:106], -v[103:104]
	s_waitcnt vmcnt(0)
	v_add_f64 v[107:108], v[107:108], -v[99:100]
	buffer_store_dword v105, off, s[20:23], 0 offset:432 ; 4-byte Folded Spill
	s_nop 0
	buffer_store_dword v106, off, s[20:23], 0 offset:436 ; 4-byte Folded Spill
	buffer_store_dword v107, off, s[20:23], 0 offset:440 ; 4-byte Folded Spill
	buffer_store_dword v108, off, s[20:23], 0 offset:444 ; 4-byte Folded Spill
	ds_read2_b64 v[99:102], v125 offset0:36 offset1:37
	buffer_load_dword v105, off, s[20:23], 0 offset:416 ; 4-byte Folded Reload
	buffer_load_dword v106, off, s[20:23], 0 offset:420 ; 4-byte Folded Reload
	buffer_load_dword v107, off, s[20:23], 0 offset:424 ; 4-byte Folded Reload
	buffer_load_dword v108, off, s[20:23], 0 offset:428 ; 4-byte Folded Reload
	s_waitcnt lgkmcnt(0)
	v_mul_f64 v[103:104], v[101:102], v[109:110]
	v_fma_f64 v[103:104], v[99:100], v[97:98], -v[103:104]
	v_mul_f64 v[99:100], v[99:100], v[109:110]
	v_fma_f64 v[99:100], v[101:102], v[97:98], v[99:100]
	s_waitcnt vmcnt(2)
	v_add_f64 v[105:106], v[105:106], -v[103:104]
	s_waitcnt vmcnt(0)
	v_add_f64 v[107:108], v[107:108], -v[99:100]
	buffer_store_dword v105, off, s[20:23], 0 offset:416 ; 4-byte Folded Spill
	s_nop 0
	buffer_store_dword v106, off, s[20:23], 0 offset:420 ; 4-byte Folded Spill
	buffer_store_dword v107, off, s[20:23], 0 offset:424 ; 4-byte Folded Spill
	buffer_store_dword v108, off, s[20:23], 0 offset:428 ; 4-byte Folded Spill
	ds_read2_b64 v[99:102], v125 offset0:38 offset1:39
	buffer_load_dword v105, off, s[20:23], 0 offset:400 ; 4-byte Folded Reload
	buffer_load_dword v106, off, s[20:23], 0 offset:404 ; 4-byte Folded Reload
	buffer_load_dword v107, off, s[20:23], 0 offset:408 ; 4-byte Folded Reload
	buffer_load_dword v108, off, s[20:23], 0 offset:412 ; 4-byte Folded Reload
	s_waitcnt lgkmcnt(0)
	v_mul_f64 v[103:104], v[101:102], v[109:110]
	v_fma_f64 v[103:104], v[99:100], v[97:98], -v[103:104]
	v_mul_f64 v[99:100], v[99:100], v[109:110]
	v_fma_f64 v[99:100], v[101:102], v[97:98], v[99:100]
	s_waitcnt vmcnt(2)
	v_add_f64 v[105:106], v[105:106], -v[103:104]
	s_waitcnt vmcnt(0)
	v_add_f64 v[107:108], v[107:108], -v[99:100]
	buffer_store_dword v105, off, s[20:23], 0 offset:400 ; 4-byte Folded Spill
	s_nop 0
	buffer_store_dword v106, off, s[20:23], 0 offset:404 ; 4-byte Folded Spill
	buffer_store_dword v107, off, s[20:23], 0 offset:408 ; 4-byte Folded Spill
	buffer_store_dword v108, off, s[20:23], 0 offset:412 ; 4-byte Folded Spill
	ds_read2_b64 v[99:102], v125 offset0:40 offset1:41
	buffer_load_dword v105, off, s[20:23], 0 offset:384 ; 4-byte Folded Reload
	buffer_load_dword v106, off, s[20:23], 0 offset:388 ; 4-byte Folded Reload
	buffer_load_dword v107, off, s[20:23], 0 offset:392 ; 4-byte Folded Reload
	buffer_load_dword v108, off, s[20:23], 0 offset:396 ; 4-byte Folded Reload
	s_waitcnt lgkmcnt(0)
	v_mul_f64 v[103:104], v[101:102], v[109:110]
	v_fma_f64 v[103:104], v[99:100], v[97:98], -v[103:104]
	v_mul_f64 v[99:100], v[99:100], v[109:110]
	v_fma_f64 v[99:100], v[101:102], v[97:98], v[99:100]
	s_waitcnt vmcnt(2)
	v_add_f64 v[105:106], v[105:106], -v[103:104]
	s_waitcnt vmcnt(0)
	v_add_f64 v[107:108], v[107:108], -v[99:100]
	buffer_store_dword v105, off, s[20:23], 0 offset:384 ; 4-byte Folded Spill
	s_nop 0
	buffer_store_dword v106, off, s[20:23], 0 offset:388 ; 4-byte Folded Spill
	buffer_store_dword v107, off, s[20:23], 0 offset:392 ; 4-byte Folded Spill
	buffer_store_dword v108, off, s[20:23], 0 offset:396 ; 4-byte Folded Spill
	ds_read2_b64 v[99:102], v125 offset0:42 offset1:43
	buffer_load_dword v105, off, s[20:23], 0 offset:368 ; 4-byte Folded Reload
	buffer_load_dword v106, off, s[20:23], 0 offset:372 ; 4-byte Folded Reload
	buffer_load_dword v107, off, s[20:23], 0 offset:376 ; 4-byte Folded Reload
	buffer_load_dword v108, off, s[20:23], 0 offset:380 ; 4-byte Folded Reload
	s_waitcnt lgkmcnt(0)
	v_mul_f64 v[103:104], v[101:102], v[109:110]
	v_fma_f64 v[103:104], v[99:100], v[97:98], -v[103:104]
	v_mul_f64 v[99:100], v[99:100], v[109:110]
	v_fma_f64 v[99:100], v[101:102], v[97:98], v[99:100]
	s_waitcnt vmcnt(2)
	v_add_f64 v[105:106], v[105:106], -v[103:104]
	s_waitcnt vmcnt(0)
	v_add_f64 v[107:108], v[107:108], -v[99:100]
	buffer_store_dword v105, off, s[20:23], 0 offset:368 ; 4-byte Folded Spill
	s_nop 0
	buffer_store_dword v106, off, s[20:23], 0 offset:372 ; 4-byte Folded Spill
	buffer_store_dword v107, off, s[20:23], 0 offset:376 ; 4-byte Folded Spill
	buffer_store_dword v108, off, s[20:23], 0 offset:380 ; 4-byte Folded Spill
	ds_read2_b64 v[99:102], v125 offset0:44 offset1:45
	buffer_load_dword v105, off, s[20:23], 0 offset:352 ; 4-byte Folded Reload
	buffer_load_dword v106, off, s[20:23], 0 offset:356 ; 4-byte Folded Reload
	buffer_load_dword v107, off, s[20:23], 0 offset:360 ; 4-byte Folded Reload
	buffer_load_dword v108, off, s[20:23], 0 offset:364 ; 4-byte Folded Reload
	s_waitcnt lgkmcnt(0)
	v_mul_f64 v[103:104], v[101:102], v[109:110]
	v_fma_f64 v[103:104], v[99:100], v[97:98], -v[103:104]
	v_mul_f64 v[99:100], v[99:100], v[109:110]
	v_fma_f64 v[99:100], v[101:102], v[97:98], v[99:100]
	s_waitcnt vmcnt(2)
	v_add_f64 v[105:106], v[105:106], -v[103:104]
	s_waitcnt vmcnt(0)
	v_add_f64 v[107:108], v[107:108], -v[99:100]
	buffer_store_dword v105, off, s[20:23], 0 offset:352 ; 4-byte Folded Spill
	s_nop 0
	buffer_store_dword v106, off, s[20:23], 0 offset:356 ; 4-byte Folded Spill
	buffer_store_dword v107, off, s[20:23], 0 offset:360 ; 4-byte Folded Spill
	buffer_store_dword v108, off, s[20:23], 0 offset:364 ; 4-byte Folded Spill
	ds_read2_b64 v[99:102], v125 offset0:46 offset1:47
	buffer_load_dword v105, off, s[20:23], 0 offset:336 ; 4-byte Folded Reload
	buffer_load_dword v106, off, s[20:23], 0 offset:340 ; 4-byte Folded Reload
	buffer_load_dword v107, off, s[20:23], 0 offset:344 ; 4-byte Folded Reload
	buffer_load_dword v108, off, s[20:23], 0 offset:348 ; 4-byte Folded Reload
	s_waitcnt lgkmcnt(0)
	v_mul_f64 v[103:104], v[101:102], v[109:110]
	v_fma_f64 v[103:104], v[99:100], v[97:98], -v[103:104]
	v_mul_f64 v[99:100], v[99:100], v[109:110]
	v_fma_f64 v[99:100], v[101:102], v[97:98], v[99:100]
	s_waitcnt vmcnt(2)
	v_add_f64 v[105:106], v[105:106], -v[103:104]
	s_waitcnt vmcnt(0)
	v_add_f64 v[107:108], v[107:108], -v[99:100]
	buffer_store_dword v105, off, s[20:23], 0 offset:336 ; 4-byte Folded Spill
	s_nop 0
	buffer_store_dword v106, off, s[20:23], 0 offset:340 ; 4-byte Folded Spill
	buffer_store_dword v107, off, s[20:23], 0 offset:344 ; 4-byte Folded Spill
	buffer_store_dword v108, off, s[20:23], 0 offset:348 ; 4-byte Folded Spill
	ds_read2_b64 v[99:102], v125 offset0:48 offset1:49
	buffer_load_dword v105, off, s[20:23], 0 offset:320 ; 4-byte Folded Reload
	buffer_load_dword v106, off, s[20:23], 0 offset:324 ; 4-byte Folded Reload
	buffer_load_dword v107, off, s[20:23], 0 offset:328 ; 4-byte Folded Reload
	buffer_load_dword v108, off, s[20:23], 0 offset:332 ; 4-byte Folded Reload
	s_waitcnt lgkmcnt(0)
	v_mul_f64 v[103:104], v[101:102], v[109:110]
	v_fma_f64 v[103:104], v[99:100], v[97:98], -v[103:104]
	v_mul_f64 v[99:100], v[99:100], v[109:110]
	v_fma_f64 v[99:100], v[101:102], v[97:98], v[99:100]
	s_waitcnt vmcnt(2)
	v_add_f64 v[105:106], v[105:106], -v[103:104]
	s_waitcnt vmcnt(0)
	v_add_f64 v[107:108], v[107:108], -v[99:100]
	buffer_store_dword v105, off, s[20:23], 0 offset:320 ; 4-byte Folded Spill
	s_nop 0
	buffer_store_dword v106, off, s[20:23], 0 offset:324 ; 4-byte Folded Spill
	buffer_store_dword v107, off, s[20:23], 0 offset:328 ; 4-byte Folded Spill
	buffer_store_dword v108, off, s[20:23], 0 offset:332 ; 4-byte Folded Spill
	ds_read2_b64 v[99:102], v125 offset0:50 offset1:51
	buffer_load_dword v105, off, s[20:23], 0 offset:304 ; 4-byte Folded Reload
	buffer_load_dword v106, off, s[20:23], 0 offset:308 ; 4-byte Folded Reload
	buffer_load_dword v107, off, s[20:23], 0 offset:312 ; 4-byte Folded Reload
	buffer_load_dword v108, off, s[20:23], 0 offset:316 ; 4-byte Folded Reload
	s_waitcnt lgkmcnt(0)
	v_mul_f64 v[103:104], v[101:102], v[109:110]
	v_fma_f64 v[103:104], v[99:100], v[97:98], -v[103:104]
	v_mul_f64 v[99:100], v[99:100], v[109:110]
	v_fma_f64 v[99:100], v[101:102], v[97:98], v[99:100]
	s_waitcnt vmcnt(2)
	v_add_f64 v[105:106], v[105:106], -v[103:104]
	s_waitcnt vmcnt(0)
	v_add_f64 v[107:108], v[107:108], -v[99:100]
	buffer_store_dword v105, off, s[20:23], 0 offset:304 ; 4-byte Folded Spill
	s_nop 0
	buffer_store_dword v106, off, s[20:23], 0 offset:308 ; 4-byte Folded Spill
	buffer_store_dword v107, off, s[20:23], 0 offset:312 ; 4-byte Folded Spill
	buffer_store_dword v108, off, s[20:23], 0 offset:316 ; 4-byte Folded Spill
	ds_read2_b64 v[99:102], v125 offset0:52 offset1:53
	buffer_load_dword v105, off, s[20:23], 0 offset:288 ; 4-byte Folded Reload
	buffer_load_dword v106, off, s[20:23], 0 offset:292 ; 4-byte Folded Reload
	buffer_load_dword v107, off, s[20:23], 0 offset:296 ; 4-byte Folded Reload
	buffer_load_dword v108, off, s[20:23], 0 offset:300 ; 4-byte Folded Reload
	s_waitcnt lgkmcnt(0)
	v_mul_f64 v[103:104], v[101:102], v[109:110]
	v_fma_f64 v[103:104], v[99:100], v[97:98], -v[103:104]
	v_mul_f64 v[99:100], v[99:100], v[109:110]
	v_fma_f64 v[99:100], v[101:102], v[97:98], v[99:100]
	s_waitcnt vmcnt(2)
	v_add_f64 v[105:106], v[105:106], -v[103:104]
	s_waitcnt vmcnt(0)
	v_add_f64 v[107:108], v[107:108], -v[99:100]
	buffer_store_dword v105, off, s[20:23], 0 offset:288 ; 4-byte Folded Spill
	s_nop 0
	buffer_store_dword v106, off, s[20:23], 0 offset:292 ; 4-byte Folded Spill
	buffer_store_dword v107, off, s[20:23], 0 offset:296 ; 4-byte Folded Spill
	buffer_store_dword v108, off, s[20:23], 0 offset:300 ; 4-byte Folded Spill
	ds_read2_b64 v[99:102], v125 offset0:54 offset1:55
	buffer_load_dword v105, off, s[20:23], 0 offset:272 ; 4-byte Folded Reload
	buffer_load_dword v106, off, s[20:23], 0 offset:276 ; 4-byte Folded Reload
	buffer_load_dword v107, off, s[20:23], 0 offset:280 ; 4-byte Folded Reload
	buffer_load_dword v108, off, s[20:23], 0 offset:284 ; 4-byte Folded Reload
	s_waitcnt lgkmcnt(0)
	v_mul_f64 v[103:104], v[101:102], v[109:110]
	v_fma_f64 v[103:104], v[99:100], v[97:98], -v[103:104]
	v_mul_f64 v[99:100], v[99:100], v[109:110]
	v_fma_f64 v[99:100], v[101:102], v[97:98], v[99:100]
	s_waitcnt vmcnt(2)
	v_add_f64 v[105:106], v[105:106], -v[103:104]
	s_waitcnt vmcnt(0)
	v_add_f64 v[107:108], v[107:108], -v[99:100]
	buffer_store_dword v105, off, s[20:23], 0 offset:272 ; 4-byte Folded Spill
	s_nop 0
	buffer_store_dword v106, off, s[20:23], 0 offset:276 ; 4-byte Folded Spill
	buffer_store_dword v107, off, s[20:23], 0 offset:280 ; 4-byte Folded Spill
	buffer_store_dword v108, off, s[20:23], 0 offset:284 ; 4-byte Folded Spill
	ds_read2_b64 v[99:102], v125 offset0:56 offset1:57
	buffer_load_dword v105, off, s[20:23], 0 offset:256 ; 4-byte Folded Reload
	buffer_load_dword v106, off, s[20:23], 0 offset:260 ; 4-byte Folded Reload
	buffer_load_dword v107, off, s[20:23], 0 offset:264 ; 4-byte Folded Reload
	buffer_load_dword v108, off, s[20:23], 0 offset:268 ; 4-byte Folded Reload
	s_waitcnt lgkmcnt(0)
	v_mul_f64 v[103:104], v[101:102], v[109:110]
	v_fma_f64 v[103:104], v[99:100], v[97:98], -v[103:104]
	v_mul_f64 v[99:100], v[99:100], v[109:110]
	v_fma_f64 v[99:100], v[101:102], v[97:98], v[99:100]
	s_waitcnt vmcnt(2)
	v_add_f64 v[105:106], v[105:106], -v[103:104]
	s_waitcnt vmcnt(0)
	v_add_f64 v[107:108], v[107:108], -v[99:100]
	buffer_store_dword v105, off, s[20:23], 0 offset:256 ; 4-byte Folded Spill
	s_nop 0
	buffer_store_dword v106, off, s[20:23], 0 offset:260 ; 4-byte Folded Spill
	buffer_store_dword v107, off, s[20:23], 0 offset:264 ; 4-byte Folded Spill
	buffer_store_dword v108, off, s[20:23], 0 offset:268 ; 4-byte Folded Spill
	ds_read2_b64 v[99:102], v125 offset0:58 offset1:59
	buffer_load_dword v105, off, s[20:23], 0 offset:240 ; 4-byte Folded Reload
	buffer_load_dword v106, off, s[20:23], 0 offset:244 ; 4-byte Folded Reload
	buffer_load_dword v107, off, s[20:23], 0 offset:248 ; 4-byte Folded Reload
	buffer_load_dword v108, off, s[20:23], 0 offset:252 ; 4-byte Folded Reload
	s_waitcnt lgkmcnt(0)
	v_mul_f64 v[103:104], v[101:102], v[109:110]
	v_fma_f64 v[103:104], v[99:100], v[97:98], -v[103:104]
	v_mul_f64 v[99:100], v[99:100], v[109:110]
	v_fma_f64 v[99:100], v[101:102], v[97:98], v[99:100]
	s_waitcnt vmcnt(2)
	v_add_f64 v[105:106], v[105:106], -v[103:104]
	s_waitcnt vmcnt(0)
	v_add_f64 v[107:108], v[107:108], -v[99:100]
	buffer_store_dword v105, off, s[20:23], 0 offset:240 ; 4-byte Folded Spill
	s_nop 0
	buffer_store_dword v106, off, s[20:23], 0 offset:244 ; 4-byte Folded Spill
	buffer_store_dword v107, off, s[20:23], 0 offset:248 ; 4-byte Folded Spill
	buffer_store_dword v108, off, s[20:23], 0 offset:252 ; 4-byte Folded Spill
	ds_read2_b64 v[99:102], v125 offset0:60 offset1:61
	buffer_load_dword v105, off, s[20:23], 0 offset:224 ; 4-byte Folded Reload
	buffer_load_dword v106, off, s[20:23], 0 offset:228 ; 4-byte Folded Reload
	buffer_load_dword v107, off, s[20:23], 0 offset:232 ; 4-byte Folded Reload
	buffer_load_dword v108, off, s[20:23], 0 offset:236 ; 4-byte Folded Reload
	s_waitcnt lgkmcnt(0)
	v_mul_f64 v[103:104], v[101:102], v[109:110]
	v_fma_f64 v[103:104], v[99:100], v[97:98], -v[103:104]
	v_mul_f64 v[99:100], v[99:100], v[109:110]
	v_fma_f64 v[99:100], v[101:102], v[97:98], v[99:100]
	s_waitcnt vmcnt(2)
	v_add_f64 v[105:106], v[105:106], -v[103:104]
	s_waitcnt vmcnt(0)
	v_add_f64 v[107:108], v[107:108], -v[99:100]
	buffer_store_dword v105, off, s[20:23], 0 offset:224 ; 4-byte Folded Spill
	s_nop 0
	buffer_store_dword v106, off, s[20:23], 0 offset:228 ; 4-byte Folded Spill
	buffer_store_dword v107, off, s[20:23], 0 offset:232 ; 4-byte Folded Spill
	buffer_store_dword v108, off, s[20:23], 0 offset:236 ; 4-byte Folded Spill
	ds_read2_b64 v[99:102], v125 offset0:62 offset1:63
	buffer_load_dword v105, off, s[20:23], 0 offset:208 ; 4-byte Folded Reload
	buffer_load_dword v106, off, s[20:23], 0 offset:212 ; 4-byte Folded Reload
	buffer_load_dword v107, off, s[20:23], 0 offset:216 ; 4-byte Folded Reload
	buffer_load_dword v108, off, s[20:23], 0 offset:220 ; 4-byte Folded Reload
	s_waitcnt lgkmcnt(0)
	v_mul_f64 v[103:104], v[101:102], v[109:110]
	v_fma_f64 v[103:104], v[99:100], v[97:98], -v[103:104]
	v_mul_f64 v[99:100], v[99:100], v[109:110]
	v_fma_f64 v[99:100], v[101:102], v[97:98], v[99:100]
	s_waitcnt vmcnt(2)
	v_add_f64 v[105:106], v[105:106], -v[103:104]
	s_waitcnt vmcnt(0)
	v_add_f64 v[107:108], v[107:108], -v[99:100]
	buffer_store_dword v105, off, s[20:23], 0 offset:208 ; 4-byte Folded Spill
	s_nop 0
	buffer_store_dword v106, off, s[20:23], 0 offset:212 ; 4-byte Folded Spill
	buffer_store_dword v107, off, s[20:23], 0 offset:216 ; 4-byte Folded Spill
	buffer_store_dword v108, off, s[20:23], 0 offset:220 ; 4-byte Folded Spill
	ds_read2_b64 v[99:102], v125 offset0:64 offset1:65
	buffer_load_dword v105, off, s[20:23], 0 offset:192 ; 4-byte Folded Reload
	buffer_load_dword v106, off, s[20:23], 0 offset:196 ; 4-byte Folded Reload
	buffer_load_dword v107, off, s[20:23], 0 offset:200 ; 4-byte Folded Reload
	buffer_load_dword v108, off, s[20:23], 0 offset:204 ; 4-byte Folded Reload
	s_waitcnt lgkmcnt(0)
	v_mul_f64 v[103:104], v[101:102], v[109:110]
	v_fma_f64 v[103:104], v[99:100], v[97:98], -v[103:104]
	v_mul_f64 v[99:100], v[99:100], v[109:110]
	v_fma_f64 v[99:100], v[101:102], v[97:98], v[99:100]
	s_waitcnt vmcnt(2)
	v_add_f64 v[105:106], v[105:106], -v[103:104]
	s_waitcnt vmcnt(0)
	v_add_f64 v[107:108], v[107:108], -v[99:100]
	buffer_store_dword v105, off, s[20:23], 0 offset:192 ; 4-byte Folded Spill
	s_nop 0
	buffer_store_dword v106, off, s[20:23], 0 offset:196 ; 4-byte Folded Spill
	buffer_store_dword v107, off, s[20:23], 0 offset:200 ; 4-byte Folded Spill
	buffer_store_dword v108, off, s[20:23], 0 offset:204 ; 4-byte Folded Spill
	ds_read2_b64 v[99:102], v125 offset0:66 offset1:67
	buffer_load_dword v105, off, s[20:23], 0 offset:176 ; 4-byte Folded Reload
	buffer_load_dword v106, off, s[20:23], 0 offset:180 ; 4-byte Folded Reload
	buffer_load_dword v107, off, s[20:23], 0 offset:184 ; 4-byte Folded Reload
	buffer_load_dword v108, off, s[20:23], 0 offset:188 ; 4-byte Folded Reload
	s_waitcnt lgkmcnt(0)
	v_mul_f64 v[103:104], v[101:102], v[109:110]
	v_fma_f64 v[103:104], v[99:100], v[97:98], -v[103:104]
	v_mul_f64 v[99:100], v[99:100], v[109:110]
	v_fma_f64 v[99:100], v[101:102], v[97:98], v[99:100]
	s_waitcnt vmcnt(2)
	v_add_f64 v[105:106], v[105:106], -v[103:104]
	s_waitcnt vmcnt(0)
	v_add_f64 v[107:108], v[107:108], -v[99:100]
	buffer_store_dword v105, off, s[20:23], 0 offset:176 ; 4-byte Folded Spill
	s_nop 0
	buffer_store_dword v106, off, s[20:23], 0 offset:180 ; 4-byte Folded Spill
	buffer_store_dword v107, off, s[20:23], 0 offset:184 ; 4-byte Folded Spill
	buffer_store_dword v108, off, s[20:23], 0 offset:188 ; 4-byte Folded Spill
	ds_read2_b64 v[99:102], v125 offset0:68 offset1:69
	v_mov_b32_e32 v108, v98
	v_mov_b32_e32 v107, v97
	s_waitcnt lgkmcnt(0)
	v_mul_f64 v[103:104], v[101:102], v[109:110]
	v_fma_f64 v[103:104], v[99:100], v[97:98], -v[103:104]
	v_mul_f64 v[99:100], v[99:100], v[109:110]
	v_add_f64 v[91:92], v[91:92], -v[103:104]
	v_fma_f64 v[99:100], v[101:102], v[97:98], v[99:100]
	v_add_f64 v[93:94], v[93:94], -v[99:100]
	ds_read2_b64 v[99:102], v125 offset0:70 offset1:71
	buffer_load_dword v77, off, s[20:23], 0 offset:160 ; 4-byte Folded Reload
	buffer_load_dword v78, off, s[20:23], 0 offset:164 ; 4-byte Folded Reload
	buffer_load_dword v79, off, s[20:23], 0 offset:168 ; 4-byte Folded Reload
	buffer_load_dword v80, off, s[20:23], 0 offset:172 ; 4-byte Folded Reload
	s_waitcnt lgkmcnt(0)
	v_mul_f64 v[103:104], v[101:102], v[109:110]
	v_fma_f64 v[103:104], v[99:100], v[97:98], -v[103:104]
	v_mul_f64 v[99:100], v[99:100], v[109:110]
	v_fma_f64 v[99:100], v[101:102], v[97:98], v[99:100]
	s_waitcnt vmcnt(2)
	v_add_f64 v[77:78], v[77:78], -v[103:104]
	s_waitcnt vmcnt(0)
	v_add_f64 v[79:80], v[79:80], -v[99:100]
	buffer_store_dword v77, off, s[20:23], 0 offset:160 ; 4-byte Folded Spill
	s_nop 0
	buffer_store_dword v78, off, s[20:23], 0 offset:164 ; 4-byte Folded Spill
	buffer_store_dword v79, off, s[20:23], 0 offset:168 ; 4-byte Folded Spill
	buffer_store_dword v80, off, s[20:23], 0 offset:172 ; 4-byte Folded Spill
	ds_read2_b64 v[99:102], v125 offset0:72 offset1:73
	buffer_load_dword v77, off, s[20:23], 0 offset:144 ; 4-byte Folded Reload
	buffer_load_dword v78, off, s[20:23], 0 offset:148 ; 4-byte Folded Reload
	buffer_load_dword v79, off, s[20:23], 0 offset:152 ; 4-byte Folded Reload
	buffer_load_dword v80, off, s[20:23], 0 offset:156 ; 4-byte Folded Reload
	s_waitcnt lgkmcnt(0)
	v_mul_f64 v[103:104], v[101:102], v[109:110]
	v_fma_f64 v[103:104], v[99:100], v[97:98], -v[103:104]
	v_mul_f64 v[99:100], v[99:100], v[109:110]
	v_fma_f64 v[99:100], v[101:102], v[97:98], v[99:100]
	s_waitcnt vmcnt(2)
	v_add_f64 v[77:78], v[77:78], -v[103:104]
	s_waitcnt vmcnt(0)
	v_add_f64 v[79:80], v[79:80], -v[99:100]
	buffer_store_dword v77, off, s[20:23], 0 offset:144 ; 4-byte Folded Spill
	s_nop 0
	buffer_store_dword v78, off, s[20:23], 0 offset:148 ; 4-byte Folded Spill
	buffer_store_dword v79, off, s[20:23], 0 offset:152 ; 4-byte Folded Spill
	buffer_store_dword v80, off, s[20:23], 0 offset:156 ; 4-byte Folded Spill
	ds_read2_b64 v[99:102], v125 offset0:74 offset1:75
	buffer_load_dword v73, off, s[20:23], 0 offset:128 ; 4-byte Folded Reload
	buffer_load_dword v74, off, s[20:23], 0 offset:132 ; 4-byte Folded Reload
	buffer_load_dword v75, off, s[20:23], 0 offset:136 ; 4-byte Folded Reload
	buffer_load_dword v76, off, s[20:23], 0 offset:140 ; 4-byte Folded Reload
	s_waitcnt lgkmcnt(0)
	v_mul_f64 v[103:104], v[101:102], v[109:110]
	v_fma_f64 v[103:104], v[99:100], v[97:98], -v[103:104]
	v_mul_f64 v[99:100], v[99:100], v[109:110]
	v_fma_f64 v[99:100], v[101:102], v[97:98], v[99:100]
	s_waitcnt vmcnt(2)
	v_add_f64 v[73:74], v[73:74], -v[103:104]
	s_waitcnt vmcnt(0)
	v_add_f64 v[75:76], v[75:76], -v[99:100]
	buffer_store_dword v73, off, s[20:23], 0 offset:128 ; 4-byte Folded Spill
	s_nop 0
	buffer_store_dword v74, off, s[20:23], 0 offset:132 ; 4-byte Folded Spill
	buffer_store_dword v75, off, s[20:23], 0 offset:136 ; 4-byte Folded Spill
	buffer_store_dword v76, off, s[20:23], 0 offset:140 ; 4-byte Folded Spill
	ds_read2_b64 v[99:102], v125 offset0:76 offset1:77
	buffer_load_dword v69, off, s[20:23], 0 offset:112 ; 4-byte Folded Reload
	buffer_load_dword v70, off, s[20:23], 0 offset:116 ; 4-byte Folded Reload
	buffer_load_dword v71, off, s[20:23], 0 offset:120 ; 4-byte Folded Reload
	buffer_load_dword v72, off, s[20:23], 0 offset:124 ; 4-byte Folded Reload
	s_waitcnt lgkmcnt(0)
	v_mul_f64 v[103:104], v[101:102], v[109:110]
	v_fma_f64 v[103:104], v[99:100], v[97:98], -v[103:104]
	v_mul_f64 v[99:100], v[99:100], v[109:110]
	v_fma_f64 v[99:100], v[101:102], v[97:98], v[99:100]
	s_waitcnt vmcnt(2)
	v_add_f64 v[69:70], v[69:70], -v[103:104]
	s_waitcnt vmcnt(0)
	v_add_f64 v[71:72], v[71:72], -v[99:100]
	buffer_store_dword v69, off, s[20:23], 0 offset:112 ; 4-byte Folded Spill
	s_nop 0
	buffer_store_dword v70, off, s[20:23], 0 offset:116 ; 4-byte Folded Spill
	buffer_store_dword v71, off, s[20:23], 0 offset:120 ; 4-byte Folded Spill
	buffer_store_dword v72, off, s[20:23], 0 offset:124 ; 4-byte Folded Spill
	ds_read2_b64 v[99:102], v125 offset0:78 offset1:79
	buffer_load_dword v65, off, s[20:23], 0 offset:96 ; 4-byte Folded Reload
	buffer_load_dword v66, off, s[20:23], 0 offset:100 ; 4-byte Folded Reload
	buffer_load_dword v67, off, s[20:23], 0 offset:104 ; 4-byte Folded Reload
	buffer_load_dword v68, off, s[20:23], 0 offset:108 ; 4-byte Folded Reload
	s_waitcnt lgkmcnt(0)
	v_mul_f64 v[103:104], v[101:102], v[109:110]
	v_fma_f64 v[103:104], v[99:100], v[97:98], -v[103:104]
	v_mul_f64 v[99:100], v[99:100], v[109:110]
	v_fma_f64 v[99:100], v[101:102], v[97:98], v[99:100]
	s_waitcnt vmcnt(2)
	v_add_f64 v[65:66], v[65:66], -v[103:104]
	s_waitcnt vmcnt(0)
	v_add_f64 v[67:68], v[67:68], -v[99:100]
	buffer_store_dword v65, off, s[20:23], 0 offset:96 ; 4-byte Folded Spill
	s_nop 0
	buffer_store_dword v66, off, s[20:23], 0 offset:100 ; 4-byte Folded Spill
	buffer_store_dword v67, off, s[20:23], 0 offset:104 ; 4-byte Folded Spill
	buffer_store_dword v68, off, s[20:23], 0 offset:108 ; 4-byte Folded Spill
	ds_read2_b64 v[99:102], v125 offset0:80 offset1:81
	buffer_load_dword v61, off, s[20:23], 0 offset:80 ; 4-byte Folded Reload
	buffer_load_dword v62, off, s[20:23], 0 offset:84 ; 4-byte Folded Reload
	buffer_load_dword v63, off, s[20:23], 0 offset:88 ; 4-byte Folded Reload
	buffer_load_dword v64, off, s[20:23], 0 offset:92 ; 4-byte Folded Reload
	s_waitcnt lgkmcnt(0)
	v_mul_f64 v[103:104], v[101:102], v[109:110]
	v_fma_f64 v[103:104], v[99:100], v[97:98], -v[103:104]
	v_mul_f64 v[99:100], v[99:100], v[109:110]
	v_fma_f64 v[99:100], v[101:102], v[97:98], v[99:100]
	s_waitcnt vmcnt(2)
	v_add_f64 v[61:62], v[61:62], -v[103:104]
	s_waitcnt vmcnt(0)
	v_add_f64 v[63:64], v[63:64], -v[99:100]
	buffer_store_dword v61, off, s[20:23], 0 offset:80 ; 4-byte Folded Spill
	s_nop 0
	buffer_store_dword v62, off, s[20:23], 0 offset:84 ; 4-byte Folded Spill
	buffer_store_dword v63, off, s[20:23], 0 offset:88 ; 4-byte Folded Spill
	buffer_store_dword v64, off, s[20:23], 0 offset:92 ; 4-byte Folded Spill
	ds_read2_b64 v[99:102], v125 offset0:82 offset1:83
	buffer_load_dword v57, off, s[20:23], 0 offset:64 ; 4-byte Folded Reload
	buffer_load_dword v58, off, s[20:23], 0 offset:68 ; 4-byte Folded Reload
	buffer_load_dword v59, off, s[20:23], 0 offset:72 ; 4-byte Folded Reload
	buffer_load_dword v60, off, s[20:23], 0 offset:76 ; 4-byte Folded Reload
	s_waitcnt lgkmcnt(0)
	v_mul_f64 v[103:104], v[101:102], v[109:110]
	v_fma_f64 v[103:104], v[99:100], v[97:98], -v[103:104]
	v_mul_f64 v[99:100], v[99:100], v[109:110]
	v_fma_f64 v[99:100], v[101:102], v[97:98], v[99:100]
	s_waitcnt vmcnt(2)
	v_add_f64 v[57:58], v[57:58], -v[103:104]
	s_waitcnt vmcnt(0)
	v_add_f64 v[59:60], v[59:60], -v[99:100]
	buffer_store_dword v57, off, s[20:23], 0 offset:64 ; 4-byte Folded Spill
	s_nop 0
	buffer_store_dword v58, off, s[20:23], 0 offset:68 ; 4-byte Folded Spill
	buffer_store_dword v59, off, s[20:23], 0 offset:72 ; 4-byte Folded Spill
	buffer_store_dword v60, off, s[20:23], 0 offset:76 ; 4-byte Folded Spill
	ds_read2_b64 v[99:102], v125 offset0:84 offset1:85
	buffer_load_dword v53, off, s[20:23], 0 offset:48 ; 4-byte Folded Reload
	buffer_load_dword v54, off, s[20:23], 0 offset:52 ; 4-byte Folded Reload
	buffer_load_dword v55, off, s[20:23], 0 offset:56 ; 4-byte Folded Reload
	buffer_load_dword v56, off, s[20:23], 0 offset:60 ; 4-byte Folded Reload
	s_waitcnt lgkmcnt(0)
	v_mul_f64 v[103:104], v[101:102], v[109:110]
	v_fma_f64 v[103:104], v[99:100], v[97:98], -v[103:104]
	v_mul_f64 v[99:100], v[99:100], v[109:110]
	v_fma_f64 v[99:100], v[101:102], v[97:98], v[99:100]
	s_waitcnt vmcnt(2)
	v_add_f64 v[53:54], v[53:54], -v[103:104]
	s_waitcnt vmcnt(0)
	v_add_f64 v[55:56], v[55:56], -v[99:100]
	buffer_store_dword v53, off, s[20:23], 0 offset:48 ; 4-byte Folded Spill
	s_nop 0
	buffer_store_dword v54, off, s[20:23], 0 offset:52 ; 4-byte Folded Spill
	buffer_store_dword v55, off, s[20:23], 0 offset:56 ; 4-byte Folded Spill
	buffer_store_dword v56, off, s[20:23], 0 offset:60 ; 4-byte Folded Spill
	ds_read2_b64 v[99:102], v125 offset0:86 offset1:87
	buffer_load_dword v49, off, s[20:23], 0 offset:32 ; 4-byte Folded Reload
	buffer_load_dword v50, off, s[20:23], 0 offset:36 ; 4-byte Folded Reload
	buffer_load_dword v51, off, s[20:23], 0 offset:40 ; 4-byte Folded Reload
	buffer_load_dword v52, off, s[20:23], 0 offset:44 ; 4-byte Folded Reload
	s_waitcnt lgkmcnt(0)
	v_mul_f64 v[103:104], v[101:102], v[109:110]
	v_fma_f64 v[103:104], v[99:100], v[97:98], -v[103:104]
	v_mul_f64 v[99:100], v[99:100], v[109:110]
	v_fma_f64 v[99:100], v[101:102], v[97:98], v[99:100]
	s_waitcnt vmcnt(2)
	v_add_f64 v[49:50], v[49:50], -v[103:104]
	s_waitcnt vmcnt(0)
	v_add_f64 v[51:52], v[51:52], -v[99:100]
	buffer_store_dword v49, off, s[20:23], 0 offset:32 ; 4-byte Folded Spill
	s_nop 0
	buffer_store_dword v50, off, s[20:23], 0 offset:36 ; 4-byte Folded Spill
	buffer_store_dword v51, off, s[20:23], 0 offset:40 ; 4-byte Folded Spill
	buffer_store_dword v52, off, s[20:23], 0 offset:44 ; 4-byte Folded Spill
	ds_read2_b64 v[99:102], v125 offset0:88 offset1:89
	buffer_load_dword v45, off, s[20:23], 0 offset:16 ; 4-byte Folded Reload
	buffer_load_dword v46, off, s[20:23], 0 offset:20 ; 4-byte Folded Reload
	buffer_load_dword v47, off, s[20:23], 0 offset:24 ; 4-byte Folded Reload
	buffer_load_dword v48, off, s[20:23], 0 offset:28 ; 4-byte Folded Reload
	s_waitcnt lgkmcnt(0)
	v_mul_f64 v[103:104], v[101:102], v[109:110]
	v_fma_f64 v[103:104], v[99:100], v[97:98], -v[103:104]
	v_mul_f64 v[99:100], v[99:100], v[109:110]
	v_fma_f64 v[99:100], v[101:102], v[97:98], v[99:100]
	s_waitcnt vmcnt(2)
	v_add_f64 v[45:46], v[45:46], -v[103:104]
	s_waitcnt vmcnt(0)
	v_add_f64 v[47:48], v[47:48], -v[99:100]
	buffer_store_dword v45, off, s[20:23], 0 offset:16 ; 4-byte Folded Spill
	s_nop 0
	buffer_store_dword v46, off, s[20:23], 0 offset:20 ; 4-byte Folded Spill
	buffer_store_dword v47, off, s[20:23], 0 offset:24 ; 4-byte Folded Spill
	buffer_store_dword v48, off, s[20:23], 0 offset:28 ; 4-byte Folded Spill
	ds_read2_b64 v[99:102], v125 offset0:90 offset1:91
	buffer_load_dword v41, off, s[20:23], 0 ; 4-byte Folded Reload
	buffer_load_dword v42, off, s[20:23], 0 offset:4 ; 4-byte Folded Reload
	buffer_load_dword v43, off, s[20:23], 0 offset:8 ; 4-byte Folded Reload
	;; [unrolled: 1-line block ×3, first 2 shown]
	s_waitcnt lgkmcnt(0)
	v_mul_f64 v[103:104], v[101:102], v[109:110]
	v_fma_f64 v[103:104], v[99:100], v[97:98], -v[103:104]
	v_mul_f64 v[99:100], v[99:100], v[109:110]
	v_fma_f64 v[99:100], v[101:102], v[97:98], v[99:100]
	s_waitcnt vmcnt(2)
	v_add_f64 v[41:42], v[41:42], -v[103:104]
	s_waitcnt vmcnt(0)
	v_add_f64 v[43:44], v[43:44], -v[99:100]
	buffer_store_dword v41, off, s[20:23], 0 ; 4-byte Folded Spill
	s_nop 0
	buffer_store_dword v42, off, s[20:23], 0 offset:4 ; 4-byte Folded Spill
	buffer_store_dword v43, off, s[20:23], 0 offset:8 ; 4-byte Folded Spill
	;; [unrolled: 1-line block ×3, first 2 shown]
	ds_read2_b64 v[99:102], v125 offset0:92 offset1:93
	s_waitcnt lgkmcnt(0)
	v_mul_f64 v[103:104], v[101:102], v[109:110]
	v_fma_f64 v[103:104], v[99:100], v[97:98], -v[103:104]
	v_mul_f64 v[99:100], v[99:100], v[109:110]
	v_add_f64 v[37:38], v[37:38], -v[103:104]
	v_fma_f64 v[99:100], v[101:102], v[97:98], v[99:100]
	v_add_f64 v[39:40], v[39:40], -v[99:100]
	ds_read2_b64 v[99:102], v125 offset0:94 offset1:95
	s_waitcnt lgkmcnt(0)
	v_mul_f64 v[103:104], v[101:102], v[109:110]
	v_fma_f64 v[103:104], v[99:100], v[97:98], -v[103:104]
	v_mul_f64 v[99:100], v[99:100], v[109:110]
	v_add_f64 v[33:34], v[33:34], -v[103:104]
	v_fma_f64 v[99:100], v[101:102], v[97:98], v[99:100]
	v_add_f64 v[35:36], v[35:36], -v[99:100]
	;; [unrolled: 8-line block ×9, first 2 shown]
	ds_read2_b64 v[99:102], v125 offset0:110 offset1:111
	s_waitcnt lgkmcnt(0)
	v_mul_f64 v[103:104], v[101:102], v[109:110]
	v_fma_f64 v[103:104], v[99:100], v[97:98], -v[103:104]
	v_mul_f64 v[99:100], v[99:100], v[109:110]
	v_add_f64 v[1:2], v[1:2], -v[103:104]
	v_fma_f64 v[99:100], v[101:102], v[97:98], v[99:100]
	ds_read2_b64 v[101:104], v125 offset0:112 offset1:113
	v_add_f64 v[3:4], v[3:4], -v[99:100]
	s_waitcnt lgkmcnt(0)
	v_mul_f64 v[99:100], v[103:104], v[109:110]
	v_fma_f64 v[99:100], v[101:102], v[97:98], -v[99:100]
	v_mul_f64 v[101:102], v[101:102], v[109:110]
	buffer_store_dword v107, off, s[20:23], 0 offset:672 ; 4-byte Folded Spill
	s_nop 0
	buffer_store_dword v108, off, s[20:23], 0 offset:676 ; 4-byte Folded Spill
	buffer_store_dword v109, off, s[20:23], 0 offset:680 ; 4-byte Folded Spill
	;; [unrolled: 1-line block ×3, first 2 shown]
	v_add_f64 v[121:122], v[121:122], -v[99:100]
	v_fma_f64 v[101:102], v[103:104], v[97:98], v[101:102]
	v_add_f64 v[123:124], v[123:124], -v[101:102]
.LBB113_28:
	s_or_b64 exec, exec, s[2:3]
	v_cmp_eq_u32_e32 vcc, 3, v0
	s_waitcnt vmcnt(0)
	s_barrier
	s_and_saveexec_b64 s[4:5], vcc
	s_cbranch_execz .LBB113_35
; %bb.29:
	buffer_load_dword v95, off, s[20:23], 0 offset:656 ; 4-byte Folded Reload
	buffer_load_dword v96, off, s[20:23], 0 offset:660 ; 4-byte Folded Reload
	;; [unrolled: 1-line block ×4, first 2 shown]
	s_waitcnt vmcnt(0)
	ds_write2_b64 v127, v[95:96], v[97:98] offset1:1
	buffer_load_dword v95, off, s[20:23], 0 offset:640 ; 4-byte Folded Reload
	buffer_load_dword v96, off, s[20:23], 0 offset:644 ; 4-byte Folded Reload
	buffer_load_dword v97, off, s[20:23], 0 offset:648 ; 4-byte Folded Reload
	buffer_load_dword v98, off, s[20:23], 0 offset:652 ; 4-byte Folded Reload
	s_waitcnt vmcnt(0)
	ds_write2_b64 v125, v[95:96], v[97:98] offset0:8 offset1:9
	buffer_load_dword v95, off, s[20:23], 0 offset:624 ; 4-byte Folded Reload
	buffer_load_dword v96, off, s[20:23], 0 offset:628 ; 4-byte Folded Reload
	buffer_load_dword v97, off, s[20:23], 0 offset:632 ; 4-byte Folded Reload
	buffer_load_dword v98, off, s[20:23], 0 offset:636 ; 4-byte Folded Reload
	s_waitcnt vmcnt(0)
	ds_write2_b64 v125, v[95:96], v[97:98] offset0:10 offset1:11
	;; [unrolled: 6-line block ×30, first 2 shown]
	ds_write2_b64 v125, v[91:92], v[93:94] offset0:68 offset1:69
	buffer_load_dword v77, off, s[20:23], 0 offset:160 ; 4-byte Folded Reload
	buffer_load_dword v78, off, s[20:23], 0 offset:164 ; 4-byte Folded Reload
	buffer_load_dword v79, off, s[20:23], 0 offset:168 ; 4-byte Folded Reload
	buffer_load_dword v80, off, s[20:23], 0 offset:172 ; 4-byte Folded Reload
	s_waitcnt vmcnt(0)
	ds_write2_b64 v125, v[77:78], v[79:80] offset0:70 offset1:71
	buffer_load_dword v77, off, s[20:23], 0 offset:144 ; 4-byte Folded Reload
	buffer_load_dword v78, off, s[20:23], 0 offset:148 ; 4-byte Folded Reload
	buffer_load_dword v79, off, s[20:23], 0 offset:152 ; 4-byte Folded Reload
	buffer_load_dword v80, off, s[20:23], 0 offset:156 ; 4-byte Folded Reload
	s_waitcnt vmcnt(0)
	;; [unrolled: 6-line block ×10, first 2 shown]
	ds_write2_b64 v125, v[45:46], v[47:48] offset0:88 offset1:89
	buffer_load_dword v41, off, s[20:23], 0 ; 4-byte Folded Reload
	buffer_load_dword v42, off, s[20:23], 0 offset:4 ; 4-byte Folded Reload
	buffer_load_dword v43, off, s[20:23], 0 offset:8 ; 4-byte Folded Reload
	;; [unrolled: 1-line block ×3, first 2 shown]
	s_waitcnt vmcnt(0)
	ds_write2_b64 v125, v[41:42], v[43:44] offset0:90 offset1:91
	ds_write2_b64 v125, v[37:38], v[39:40] offset0:92 offset1:93
	ds_write2_b64 v125, v[33:34], v[35:36] offset0:94 offset1:95
	ds_write2_b64 v125, v[29:30], v[31:32] offset0:96 offset1:97
	ds_write2_b64 v125, v[25:26], v[27:28] offset0:98 offset1:99
	ds_write2_b64 v125, v[21:22], v[23:24] offset0:100 offset1:101
	ds_write2_b64 v125, v[17:18], v[19:20] offset0:102 offset1:103
	ds_write2_b64 v125, v[13:14], v[15:16] offset0:104 offset1:105
	ds_write2_b64 v125, v[9:10], v[11:12] offset0:106 offset1:107
	ds_write2_b64 v125, v[5:6], v[7:8] offset0:108 offset1:109
	ds_write2_b64 v125, v[1:2], v[3:4] offset0:110 offset1:111
	ds_write2_b64 v125, v[121:122], v[123:124] offset0:112 offset1:113
	ds_read2_b64 v[97:100], v127 offset1:1
	s_waitcnt lgkmcnt(0)
	v_cmp_neq_f64_e32 vcc, 0, v[97:98]
	v_cmp_neq_f64_e64 s[2:3], 0, v[99:100]
	s_or_b64 s[2:3], vcc, s[2:3]
	s_and_b64 exec, exec, s[2:3]
	s_cbranch_execz .LBB113_35
; %bb.30:
	v_cmp_ngt_f64_e64 s[2:3], |v[97:98]|, |v[99:100]|
                                        ; implicit-def: $vgpr101_vgpr102
	s_and_saveexec_b64 s[6:7], s[2:3]
	s_xor_b64 s[2:3], exec, s[6:7]
                                        ; implicit-def: $vgpr103_vgpr104
	s_cbranch_execz .LBB113_32
; %bb.31:
	v_div_scale_f64 v[101:102], s[6:7], v[99:100], v[99:100], v[97:98]
	v_rcp_f64_e32 v[103:104], v[101:102]
	v_fma_f64 v[105:106], -v[101:102], v[103:104], 1.0
	v_fma_f64 v[103:104], v[103:104], v[105:106], v[103:104]
	v_div_scale_f64 v[105:106], vcc, v[97:98], v[99:100], v[97:98]
	v_fma_f64 v[107:108], -v[101:102], v[103:104], 1.0
	v_fma_f64 v[103:104], v[103:104], v[107:108], v[103:104]
	v_mul_f64 v[107:108], v[105:106], v[103:104]
	v_fma_f64 v[101:102], -v[101:102], v[107:108], v[105:106]
	v_div_fmas_f64 v[101:102], v[101:102], v[103:104], v[107:108]
	v_div_fixup_f64 v[101:102], v[101:102], v[99:100], v[97:98]
	v_fma_f64 v[97:98], v[97:98], v[101:102], v[99:100]
	v_div_scale_f64 v[99:100], s[6:7], v[97:98], v[97:98], 1.0
	v_div_scale_f64 v[107:108], vcc, 1.0, v[97:98], 1.0
	v_rcp_f64_e32 v[103:104], v[99:100]
	v_fma_f64 v[105:106], -v[99:100], v[103:104], 1.0
	v_fma_f64 v[103:104], v[103:104], v[105:106], v[103:104]
	v_fma_f64 v[105:106], -v[99:100], v[103:104], 1.0
	v_fma_f64 v[103:104], v[103:104], v[105:106], v[103:104]
	v_mul_f64 v[105:106], v[107:108], v[103:104]
	v_fma_f64 v[99:100], -v[99:100], v[105:106], v[107:108]
	v_div_fmas_f64 v[99:100], v[99:100], v[103:104], v[105:106]
	v_div_fixup_f64 v[103:104], v[99:100], v[97:98], 1.0
                                        ; implicit-def: $vgpr97_vgpr98
	v_mul_f64 v[101:102], v[101:102], v[103:104]
	v_xor_b32_e32 v104, 0x80000000, v104
.LBB113_32:
	s_andn2_saveexec_b64 s[2:3], s[2:3]
	s_cbranch_execz .LBB113_34
; %bb.33:
	v_div_scale_f64 v[101:102], s[6:7], v[97:98], v[97:98], v[99:100]
	v_rcp_f64_e32 v[103:104], v[101:102]
	v_fma_f64 v[105:106], -v[101:102], v[103:104], 1.0
	v_fma_f64 v[103:104], v[103:104], v[105:106], v[103:104]
	v_div_scale_f64 v[105:106], vcc, v[99:100], v[97:98], v[99:100]
	v_fma_f64 v[107:108], -v[101:102], v[103:104], 1.0
	v_fma_f64 v[103:104], v[103:104], v[107:108], v[103:104]
	v_mul_f64 v[107:108], v[105:106], v[103:104]
	v_fma_f64 v[101:102], -v[101:102], v[107:108], v[105:106]
	v_div_fmas_f64 v[101:102], v[101:102], v[103:104], v[107:108]
	v_div_fixup_f64 v[103:104], v[101:102], v[97:98], v[99:100]
	v_fma_f64 v[97:98], v[99:100], v[103:104], v[97:98]
	v_div_scale_f64 v[99:100], s[6:7], v[97:98], v[97:98], 1.0
	v_div_scale_f64 v[107:108], vcc, 1.0, v[97:98], 1.0
	v_rcp_f64_e32 v[101:102], v[99:100]
	v_fma_f64 v[105:106], -v[99:100], v[101:102], 1.0
	v_fma_f64 v[101:102], v[101:102], v[105:106], v[101:102]
	v_fma_f64 v[105:106], -v[99:100], v[101:102], 1.0
	v_fma_f64 v[101:102], v[101:102], v[105:106], v[101:102]
	v_mul_f64 v[105:106], v[107:108], v[101:102]
	v_fma_f64 v[99:100], -v[99:100], v[105:106], v[107:108]
	v_div_fmas_f64 v[99:100], v[99:100], v[101:102], v[105:106]
	v_div_fixup_f64 v[101:102], v[99:100], v[97:98], 1.0
	v_mul_f64 v[103:104], v[103:104], -v[101:102]
.LBB113_34:
	s_or_b64 exec, exec, s[2:3]
	ds_write2_b64 v127, v[101:102], v[103:104] offset1:1
.LBB113_35:
	s_or_b64 exec, exec, s[4:5]
	s_waitcnt lgkmcnt(0)
	s_barrier
	ds_read2_b64 v[87:90], v127 offset1:1
	v_cmp_lt_u32_e32 vcc, 3, v0
	s_waitcnt lgkmcnt(0)
	buffer_store_dword v87, off, s[20:23], 0 offset:1216 ; 4-byte Folded Spill
	s_nop 0
	buffer_store_dword v88, off, s[20:23], 0 offset:1220 ; 4-byte Folded Spill
	buffer_store_dword v89, off, s[20:23], 0 offset:1224 ; 4-byte Folded Spill
	;; [unrolled: 1-line block ×3, first 2 shown]
	s_and_saveexec_b64 s[2:3], vcc
	s_cbranch_execz .LBB113_37
; %bb.36:
	buffer_load_dword v107, off, s[20:23], 0 offset:656 ; 4-byte Folded Reload
	buffer_load_dword v108, off, s[20:23], 0 offset:660 ; 4-byte Folded Reload
	;; [unrolled: 1-line block ×8, first 2 shown]
	s_waitcnt vmcnt(2)
	v_mul_f64 v[99:100], v[87:88], v[109:110]
	s_waitcnt vmcnt(0)
	v_mul_f64 v[97:98], v[89:90], v[109:110]
	v_fma_f64 v[109:110], v[89:90], v[107:108], v[99:100]
	ds_read2_b64 v[99:102], v125 offset0:8 offset1:9
	v_fma_f64 v[97:98], v[87:88], v[107:108], -v[97:98]
	buffer_load_dword v105, off, s[20:23], 0 offset:640 ; 4-byte Folded Reload
	buffer_load_dword v106, off, s[20:23], 0 offset:644 ; 4-byte Folded Reload
	buffer_load_dword v107, off, s[20:23], 0 offset:648 ; 4-byte Folded Reload
	buffer_load_dword v108, off, s[20:23], 0 offset:652 ; 4-byte Folded Reload
	s_waitcnt lgkmcnt(0)
	v_mul_f64 v[103:104], v[101:102], v[109:110]
	v_fma_f64 v[103:104], v[99:100], v[97:98], -v[103:104]
	v_mul_f64 v[99:100], v[99:100], v[109:110]
	v_fma_f64 v[99:100], v[101:102], v[97:98], v[99:100]
	s_waitcnt vmcnt(2)
	v_add_f64 v[105:106], v[105:106], -v[103:104]
	s_waitcnt vmcnt(0)
	v_add_f64 v[107:108], v[107:108], -v[99:100]
	buffer_store_dword v105, off, s[20:23], 0 offset:640 ; 4-byte Folded Spill
	s_nop 0
	buffer_store_dword v106, off, s[20:23], 0 offset:644 ; 4-byte Folded Spill
	buffer_store_dword v107, off, s[20:23], 0 offset:648 ; 4-byte Folded Spill
	buffer_store_dword v108, off, s[20:23], 0 offset:652 ; 4-byte Folded Spill
	ds_read2_b64 v[99:102], v125 offset0:10 offset1:11
	buffer_load_dword v105, off, s[20:23], 0 offset:624 ; 4-byte Folded Reload
	buffer_load_dword v106, off, s[20:23], 0 offset:628 ; 4-byte Folded Reload
	buffer_load_dword v107, off, s[20:23], 0 offset:632 ; 4-byte Folded Reload
	buffer_load_dword v108, off, s[20:23], 0 offset:636 ; 4-byte Folded Reload
	s_waitcnt lgkmcnt(0)
	v_mul_f64 v[103:104], v[101:102], v[109:110]
	v_fma_f64 v[103:104], v[99:100], v[97:98], -v[103:104]
	v_mul_f64 v[99:100], v[99:100], v[109:110]
	v_fma_f64 v[99:100], v[101:102], v[97:98], v[99:100]
	s_waitcnt vmcnt(2)
	v_add_f64 v[105:106], v[105:106], -v[103:104]
	s_waitcnt vmcnt(0)
	v_add_f64 v[107:108], v[107:108], -v[99:100]
	buffer_store_dword v105, off, s[20:23], 0 offset:624 ; 4-byte Folded Spill
	s_nop 0
	buffer_store_dword v106, off, s[20:23], 0 offset:628 ; 4-byte Folded Spill
	buffer_store_dword v107, off, s[20:23], 0 offset:632 ; 4-byte Folded Spill
	buffer_store_dword v108, off, s[20:23], 0 offset:636 ; 4-byte Folded Spill
	ds_read2_b64 v[99:102], v125 offset0:12 offset1:13
	;; [unrolled: 19-line block ×30, first 2 shown]
	v_mov_b32_e32 v108, v98
	v_mov_b32_e32 v107, v97
	s_waitcnt lgkmcnt(0)
	v_mul_f64 v[103:104], v[101:102], v[109:110]
	v_fma_f64 v[103:104], v[99:100], v[97:98], -v[103:104]
	v_mul_f64 v[99:100], v[99:100], v[109:110]
	v_add_f64 v[91:92], v[91:92], -v[103:104]
	v_fma_f64 v[99:100], v[101:102], v[97:98], v[99:100]
	v_add_f64 v[93:94], v[93:94], -v[99:100]
	ds_read2_b64 v[99:102], v125 offset0:70 offset1:71
	buffer_load_dword v77, off, s[20:23], 0 offset:160 ; 4-byte Folded Reload
	buffer_load_dword v78, off, s[20:23], 0 offset:164 ; 4-byte Folded Reload
	buffer_load_dword v79, off, s[20:23], 0 offset:168 ; 4-byte Folded Reload
	buffer_load_dword v80, off, s[20:23], 0 offset:172 ; 4-byte Folded Reload
	s_waitcnt lgkmcnt(0)
	v_mul_f64 v[103:104], v[101:102], v[109:110]
	v_fma_f64 v[103:104], v[99:100], v[97:98], -v[103:104]
	v_mul_f64 v[99:100], v[99:100], v[109:110]
	v_fma_f64 v[99:100], v[101:102], v[97:98], v[99:100]
	s_waitcnt vmcnt(2)
	v_add_f64 v[77:78], v[77:78], -v[103:104]
	s_waitcnt vmcnt(0)
	v_add_f64 v[79:80], v[79:80], -v[99:100]
	buffer_store_dword v77, off, s[20:23], 0 offset:160 ; 4-byte Folded Spill
	s_nop 0
	buffer_store_dword v78, off, s[20:23], 0 offset:164 ; 4-byte Folded Spill
	buffer_store_dword v79, off, s[20:23], 0 offset:168 ; 4-byte Folded Spill
	buffer_store_dword v80, off, s[20:23], 0 offset:172 ; 4-byte Folded Spill
	ds_read2_b64 v[99:102], v125 offset0:72 offset1:73
	buffer_load_dword v77, off, s[20:23], 0 offset:144 ; 4-byte Folded Reload
	buffer_load_dword v78, off, s[20:23], 0 offset:148 ; 4-byte Folded Reload
	buffer_load_dword v79, off, s[20:23], 0 offset:152 ; 4-byte Folded Reload
	buffer_load_dword v80, off, s[20:23], 0 offset:156 ; 4-byte Folded Reload
	s_waitcnt lgkmcnt(0)
	v_mul_f64 v[103:104], v[101:102], v[109:110]
	v_fma_f64 v[103:104], v[99:100], v[97:98], -v[103:104]
	v_mul_f64 v[99:100], v[99:100], v[109:110]
	v_fma_f64 v[99:100], v[101:102], v[97:98], v[99:100]
	s_waitcnt vmcnt(2)
	v_add_f64 v[77:78], v[77:78], -v[103:104]
	s_waitcnt vmcnt(0)
	v_add_f64 v[79:80], v[79:80], -v[99:100]
	buffer_store_dword v77, off, s[20:23], 0 offset:144 ; 4-byte Folded Spill
	s_nop 0
	buffer_store_dword v78, off, s[20:23], 0 offset:148 ; 4-byte Folded Spill
	buffer_store_dword v79, off, s[20:23], 0 offset:152 ; 4-byte Folded Spill
	buffer_store_dword v80, off, s[20:23], 0 offset:156 ; 4-byte Folded Spill
	;; [unrolled: 19-line block ×10, first 2 shown]
	ds_read2_b64 v[99:102], v125 offset0:90 offset1:91
	buffer_load_dword v41, off, s[20:23], 0 ; 4-byte Folded Reload
	buffer_load_dword v42, off, s[20:23], 0 offset:4 ; 4-byte Folded Reload
	buffer_load_dword v43, off, s[20:23], 0 offset:8 ; 4-byte Folded Reload
	;; [unrolled: 1-line block ×3, first 2 shown]
	s_waitcnt lgkmcnt(0)
	v_mul_f64 v[103:104], v[101:102], v[109:110]
	v_fma_f64 v[103:104], v[99:100], v[97:98], -v[103:104]
	v_mul_f64 v[99:100], v[99:100], v[109:110]
	v_fma_f64 v[99:100], v[101:102], v[97:98], v[99:100]
	s_waitcnt vmcnt(2)
	v_add_f64 v[41:42], v[41:42], -v[103:104]
	s_waitcnt vmcnt(0)
	v_add_f64 v[43:44], v[43:44], -v[99:100]
	buffer_store_dword v41, off, s[20:23], 0 ; 4-byte Folded Spill
	s_nop 0
	buffer_store_dword v42, off, s[20:23], 0 offset:4 ; 4-byte Folded Spill
	buffer_store_dword v43, off, s[20:23], 0 offset:8 ; 4-byte Folded Spill
	buffer_store_dword v44, off, s[20:23], 0 offset:12 ; 4-byte Folded Spill
	ds_read2_b64 v[99:102], v125 offset0:92 offset1:93
	s_waitcnt lgkmcnt(0)
	v_mul_f64 v[103:104], v[101:102], v[109:110]
	v_fma_f64 v[103:104], v[99:100], v[97:98], -v[103:104]
	v_mul_f64 v[99:100], v[99:100], v[109:110]
	v_add_f64 v[37:38], v[37:38], -v[103:104]
	v_fma_f64 v[99:100], v[101:102], v[97:98], v[99:100]
	v_add_f64 v[39:40], v[39:40], -v[99:100]
	ds_read2_b64 v[99:102], v125 offset0:94 offset1:95
	s_waitcnt lgkmcnt(0)
	v_mul_f64 v[103:104], v[101:102], v[109:110]
	v_fma_f64 v[103:104], v[99:100], v[97:98], -v[103:104]
	v_mul_f64 v[99:100], v[99:100], v[109:110]
	v_add_f64 v[33:34], v[33:34], -v[103:104]
	v_fma_f64 v[99:100], v[101:102], v[97:98], v[99:100]
	v_add_f64 v[35:36], v[35:36], -v[99:100]
	;; [unrolled: 8-line block ×9, first 2 shown]
	ds_read2_b64 v[99:102], v125 offset0:110 offset1:111
	s_waitcnt lgkmcnt(0)
	v_mul_f64 v[103:104], v[101:102], v[109:110]
	v_fma_f64 v[103:104], v[99:100], v[97:98], -v[103:104]
	v_mul_f64 v[99:100], v[99:100], v[109:110]
	v_add_f64 v[1:2], v[1:2], -v[103:104]
	v_fma_f64 v[99:100], v[101:102], v[97:98], v[99:100]
	ds_read2_b64 v[101:104], v125 offset0:112 offset1:113
	v_add_f64 v[3:4], v[3:4], -v[99:100]
	s_waitcnt lgkmcnt(0)
	v_mul_f64 v[99:100], v[103:104], v[109:110]
	v_fma_f64 v[99:100], v[101:102], v[97:98], -v[99:100]
	v_mul_f64 v[101:102], v[101:102], v[109:110]
	buffer_store_dword v107, off, s[20:23], 0 offset:656 ; 4-byte Folded Spill
	s_nop 0
	buffer_store_dword v108, off, s[20:23], 0 offset:660 ; 4-byte Folded Spill
	buffer_store_dword v109, off, s[20:23], 0 offset:664 ; 4-byte Folded Spill
	;; [unrolled: 1-line block ×3, first 2 shown]
	v_add_f64 v[121:122], v[121:122], -v[99:100]
	v_fma_f64 v[101:102], v[103:104], v[97:98], v[101:102]
	v_add_f64 v[123:124], v[123:124], -v[101:102]
.LBB113_37:
	s_or_b64 exec, exec, s[2:3]
	v_cmp_eq_u32_e32 vcc, 4, v0
	s_waitcnt vmcnt(0)
	s_barrier
	s_and_saveexec_b64 s[4:5], vcc
	s_cbranch_execz .LBB113_44
; %bb.38:
	buffer_load_dword v95, off, s[20:23], 0 offset:640 ; 4-byte Folded Reload
	buffer_load_dword v96, off, s[20:23], 0 offset:644 ; 4-byte Folded Reload
	;; [unrolled: 1-line block ×4, first 2 shown]
	s_waitcnt vmcnt(0)
	ds_write2_b64 v127, v[95:96], v[97:98] offset1:1
	buffer_load_dword v95, off, s[20:23], 0 offset:624 ; 4-byte Folded Reload
	buffer_load_dword v96, off, s[20:23], 0 offset:628 ; 4-byte Folded Reload
	buffer_load_dword v97, off, s[20:23], 0 offset:632 ; 4-byte Folded Reload
	buffer_load_dword v98, off, s[20:23], 0 offset:636 ; 4-byte Folded Reload
	s_waitcnt vmcnt(0)
	ds_write2_b64 v125, v[95:96], v[97:98] offset0:10 offset1:11
	buffer_load_dword v95, off, s[20:23], 0 offset:608 ; 4-byte Folded Reload
	buffer_load_dword v96, off, s[20:23], 0 offset:612 ; 4-byte Folded Reload
	buffer_load_dword v97, off, s[20:23], 0 offset:616 ; 4-byte Folded Reload
	buffer_load_dword v98, off, s[20:23], 0 offset:620 ; 4-byte Folded Reload
	s_waitcnt vmcnt(0)
	ds_write2_b64 v125, v[95:96], v[97:98] offset0:12 offset1:13
	;; [unrolled: 6-line block ×29, first 2 shown]
	ds_write2_b64 v125, v[91:92], v[93:94] offset0:68 offset1:69
	buffer_load_dword v77, off, s[20:23], 0 offset:160 ; 4-byte Folded Reload
	buffer_load_dword v78, off, s[20:23], 0 offset:164 ; 4-byte Folded Reload
	buffer_load_dword v79, off, s[20:23], 0 offset:168 ; 4-byte Folded Reload
	buffer_load_dword v80, off, s[20:23], 0 offset:172 ; 4-byte Folded Reload
	s_waitcnt vmcnt(0)
	ds_write2_b64 v125, v[77:78], v[79:80] offset0:70 offset1:71
	buffer_load_dword v77, off, s[20:23], 0 offset:144 ; 4-byte Folded Reload
	buffer_load_dword v78, off, s[20:23], 0 offset:148 ; 4-byte Folded Reload
	buffer_load_dword v79, off, s[20:23], 0 offset:152 ; 4-byte Folded Reload
	buffer_load_dword v80, off, s[20:23], 0 offset:156 ; 4-byte Folded Reload
	s_waitcnt vmcnt(0)
	ds_write2_b64 v125, v[77:78], v[79:80] offset0:72 offset1:73
	buffer_load_dword v73, off, s[20:23], 0 offset:128 ; 4-byte Folded Reload
	buffer_load_dword v74, off, s[20:23], 0 offset:132 ; 4-byte Folded Reload
	buffer_load_dword v75, off, s[20:23], 0 offset:136 ; 4-byte Folded Reload
	buffer_load_dword v76, off, s[20:23], 0 offset:140 ; 4-byte Folded Reload
	s_waitcnt vmcnt(0)
	ds_write2_b64 v125, v[73:74], v[75:76] offset0:74 offset1:75
	buffer_load_dword v69, off, s[20:23], 0 offset:112 ; 4-byte Folded Reload
	buffer_load_dword v70, off, s[20:23], 0 offset:116 ; 4-byte Folded Reload
	buffer_load_dword v71, off, s[20:23], 0 offset:120 ; 4-byte Folded Reload
	buffer_load_dword v72, off, s[20:23], 0 offset:124 ; 4-byte Folded Reload
	s_waitcnt vmcnt(0)
	ds_write2_b64 v125, v[69:70], v[71:72] offset0:76 offset1:77
	buffer_load_dword v65, off, s[20:23], 0 offset:96 ; 4-byte Folded Reload
	buffer_load_dword v66, off, s[20:23], 0 offset:100 ; 4-byte Folded Reload
	buffer_load_dword v67, off, s[20:23], 0 offset:104 ; 4-byte Folded Reload
	buffer_load_dword v68, off, s[20:23], 0 offset:108 ; 4-byte Folded Reload
	s_waitcnt vmcnt(0)
	ds_write2_b64 v125, v[65:66], v[67:68] offset0:78 offset1:79
	buffer_load_dword v61, off, s[20:23], 0 offset:80 ; 4-byte Folded Reload
	buffer_load_dword v62, off, s[20:23], 0 offset:84 ; 4-byte Folded Reload
	buffer_load_dword v63, off, s[20:23], 0 offset:88 ; 4-byte Folded Reload
	buffer_load_dword v64, off, s[20:23], 0 offset:92 ; 4-byte Folded Reload
	s_waitcnt vmcnt(0)
	ds_write2_b64 v125, v[61:62], v[63:64] offset0:80 offset1:81
	buffer_load_dword v57, off, s[20:23], 0 offset:64 ; 4-byte Folded Reload
	buffer_load_dword v58, off, s[20:23], 0 offset:68 ; 4-byte Folded Reload
	buffer_load_dword v59, off, s[20:23], 0 offset:72 ; 4-byte Folded Reload
	buffer_load_dword v60, off, s[20:23], 0 offset:76 ; 4-byte Folded Reload
	s_waitcnt vmcnt(0)
	ds_write2_b64 v125, v[57:58], v[59:60] offset0:82 offset1:83
	buffer_load_dword v53, off, s[20:23], 0 offset:48 ; 4-byte Folded Reload
	buffer_load_dword v54, off, s[20:23], 0 offset:52 ; 4-byte Folded Reload
	buffer_load_dword v55, off, s[20:23], 0 offset:56 ; 4-byte Folded Reload
	buffer_load_dword v56, off, s[20:23], 0 offset:60 ; 4-byte Folded Reload
	s_waitcnt vmcnt(0)
	ds_write2_b64 v125, v[53:54], v[55:56] offset0:84 offset1:85
	buffer_load_dword v49, off, s[20:23], 0 offset:32 ; 4-byte Folded Reload
	buffer_load_dword v50, off, s[20:23], 0 offset:36 ; 4-byte Folded Reload
	buffer_load_dword v51, off, s[20:23], 0 offset:40 ; 4-byte Folded Reload
	buffer_load_dword v52, off, s[20:23], 0 offset:44 ; 4-byte Folded Reload
	s_waitcnt vmcnt(0)
	ds_write2_b64 v125, v[49:50], v[51:52] offset0:86 offset1:87
	buffer_load_dword v45, off, s[20:23], 0 offset:16 ; 4-byte Folded Reload
	buffer_load_dword v46, off, s[20:23], 0 offset:20 ; 4-byte Folded Reload
	buffer_load_dword v47, off, s[20:23], 0 offset:24 ; 4-byte Folded Reload
	buffer_load_dword v48, off, s[20:23], 0 offset:28 ; 4-byte Folded Reload
	s_waitcnt vmcnt(0)
	ds_write2_b64 v125, v[45:46], v[47:48] offset0:88 offset1:89
	buffer_load_dword v41, off, s[20:23], 0 ; 4-byte Folded Reload
	buffer_load_dword v42, off, s[20:23], 0 offset:4 ; 4-byte Folded Reload
	buffer_load_dword v43, off, s[20:23], 0 offset:8 ; 4-byte Folded Reload
	;; [unrolled: 1-line block ×3, first 2 shown]
	s_waitcnt vmcnt(0)
	ds_write2_b64 v125, v[41:42], v[43:44] offset0:90 offset1:91
	ds_write2_b64 v125, v[37:38], v[39:40] offset0:92 offset1:93
	;; [unrolled: 1-line block ×12, first 2 shown]
	ds_read2_b64 v[97:100], v127 offset1:1
	s_waitcnt lgkmcnt(0)
	v_cmp_neq_f64_e32 vcc, 0, v[97:98]
	v_cmp_neq_f64_e64 s[2:3], 0, v[99:100]
	s_or_b64 s[2:3], vcc, s[2:3]
	s_and_b64 exec, exec, s[2:3]
	s_cbranch_execz .LBB113_44
; %bb.39:
	v_cmp_ngt_f64_e64 s[2:3], |v[97:98]|, |v[99:100]|
                                        ; implicit-def: $vgpr101_vgpr102
	s_and_saveexec_b64 s[6:7], s[2:3]
	s_xor_b64 s[2:3], exec, s[6:7]
                                        ; implicit-def: $vgpr103_vgpr104
	s_cbranch_execz .LBB113_41
; %bb.40:
	v_div_scale_f64 v[101:102], s[6:7], v[99:100], v[99:100], v[97:98]
	v_rcp_f64_e32 v[103:104], v[101:102]
	v_fma_f64 v[105:106], -v[101:102], v[103:104], 1.0
	v_fma_f64 v[103:104], v[103:104], v[105:106], v[103:104]
	v_div_scale_f64 v[105:106], vcc, v[97:98], v[99:100], v[97:98]
	v_fma_f64 v[107:108], -v[101:102], v[103:104], 1.0
	v_fma_f64 v[103:104], v[103:104], v[107:108], v[103:104]
	v_mul_f64 v[107:108], v[105:106], v[103:104]
	v_fma_f64 v[101:102], -v[101:102], v[107:108], v[105:106]
	v_div_fmas_f64 v[101:102], v[101:102], v[103:104], v[107:108]
	v_div_fixup_f64 v[101:102], v[101:102], v[99:100], v[97:98]
	v_fma_f64 v[97:98], v[97:98], v[101:102], v[99:100]
	v_div_scale_f64 v[99:100], s[6:7], v[97:98], v[97:98], 1.0
	v_div_scale_f64 v[107:108], vcc, 1.0, v[97:98], 1.0
	v_rcp_f64_e32 v[103:104], v[99:100]
	v_fma_f64 v[105:106], -v[99:100], v[103:104], 1.0
	v_fma_f64 v[103:104], v[103:104], v[105:106], v[103:104]
	v_fma_f64 v[105:106], -v[99:100], v[103:104], 1.0
	v_fma_f64 v[103:104], v[103:104], v[105:106], v[103:104]
	v_mul_f64 v[105:106], v[107:108], v[103:104]
	v_fma_f64 v[99:100], -v[99:100], v[105:106], v[107:108]
	v_div_fmas_f64 v[99:100], v[99:100], v[103:104], v[105:106]
	v_div_fixup_f64 v[103:104], v[99:100], v[97:98], 1.0
                                        ; implicit-def: $vgpr97_vgpr98
	v_mul_f64 v[101:102], v[101:102], v[103:104]
	v_xor_b32_e32 v104, 0x80000000, v104
.LBB113_41:
	s_andn2_saveexec_b64 s[2:3], s[2:3]
	s_cbranch_execz .LBB113_43
; %bb.42:
	v_div_scale_f64 v[101:102], s[6:7], v[97:98], v[97:98], v[99:100]
	v_rcp_f64_e32 v[103:104], v[101:102]
	v_fma_f64 v[105:106], -v[101:102], v[103:104], 1.0
	v_fma_f64 v[103:104], v[103:104], v[105:106], v[103:104]
	v_div_scale_f64 v[105:106], vcc, v[99:100], v[97:98], v[99:100]
	v_fma_f64 v[107:108], -v[101:102], v[103:104], 1.0
	v_fma_f64 v[103:104], v[103:104], v[107:108], v[103:104]
	v_mul_f64 v[107:108], v[105:106], v[103:104]
	v_fma_f64 v[101:102], -v[101:102], v[107:108], v[105:106]
	v_div_fmas_f64 v[101:102], v[101:102], v[103:104], v[107:108]
	v_div_fixup_f64 v[103:104], v[101:102], v[97:98], v[99:100]
	v_fma_f64 v[97:98], v[99:100], v[103:104], v[97:98]
	v_div_scale_f64 v[99:100], s[6:7], v[97:98], v[97:98], 1.0
	v_div_scale_f64 v[107:108], vcc, 1.0, v[97:98], 1.0
	v_rcp_f64_e32 v[101:102], v[99:100]
	v_fma_f64 v[105:106], -v[99:100], v[101:102], 1.0
	v_fma_f64 v[101:102], v[101:102], v[105:106], v[101:102]
	v_fma_f64 v[105:106], -v[99:100], v[101:102], 1.0
	v_fma_f64 v[101:102], v[101:102], v[105:106], v[101:102]
	v_mul_f64 v[105:106], v[107:108], v[101:102]
	v_fma_f64 v[99:100], -v[99:100], v[105:106], v[107:108]
	v_div_fmas_f64 v[99:100], v[99:100], v[101:102], v[105:106]
	v_div_fixup_f64 v[101:102], v[99:100], v[97:98], 1.0
	v_mul_f64 v[103:104], v[103:104], -v[101:102]
.LBB113_43:
	s_or_b64 exec, exec, s[2:3]
	ds_write2_b64 v127, v[101:102], v[103:104] offset1:1
.LBB113_44:
	s_or_b64 exec, exec, s[4:5]
	s_waitcnt lgkmcnt(0)
	s_barrier
	ds_read2_b64 v[87:90], v127 offset1:1
	v_cmp_lt_u32_e32 vcc, 4, v0
	s_waitcnt lgkmcnt(0)
	buffer_store_dword v87, off, s[20:23], 0 offset:1232 ; 4-byte Folded Spill
	s_nop 0
	buffer_store_dword v88, off, s[20:23], 0 offset:1236 ; 4-byte Folded Spill
	buffer_store_dword v89, off, s[20:23], 0 offset:1240 ; 4-byte Folded Spill
	;; [unrolled: 1-line block ×3, first 2 shown]
	s_and_saveexec_b64 s[2:3], vcc
	s_cbranch_execz .LBB113_46
; %bb.45:
	buffer_load_dword v107, off, s[20:23], 0 offset:640 ; 4-byte Folded Reload
	buffer_load_dword v108, off, s[20:23], 0 offset:644 ; 4-byte Folded Reload
	;; [unrolled: 1-line block ×8, first 2 shown]
	s_waitcnt vmcnt(2)
	v_mul_f64 v[99:100], v[87:88], v[109:110]
	s_waitcnt vmcnt(0)
	v_mul_f64 v[97:98], v[89:90], v[109:110]
	v_fma_f64 v[109:110], v[89:90], v[107:108], v[99:100]
	ds_read2_b64 v[99:102], v125 offset0:10 offset1:11
	v_fma_f64 v[97:98], v[87:88], v[107:108], -v[97:98]
	buffer_load_dword v105, off, s[20:23], 0 offset:624 ; 4-byte Folded Reload
	buffer_load_dword v106, off, s[20:23], 0 offset:628 ; 4-byte Folded Reload
	buffer_load_dword v107, off, s[20:23], 0 offset:632 ; 4-byte Folded Reload
	buffer_load_dword v108, off, s[20:23], 0 offset:636 ; 4-byte Folded Reload
	s_waitcnt lgkmcnt(0)
	v_mul_f64 v[103:104], v[101:102], v[109:110]
	v_fma_f64 v[103:104], v[99:100], v[97:98], -v[103:104]
	v_mul_f64 v[99:100], v[99:100], v[109:110]
	v_fma_f64 v[99:100], v[101:102], v[97:98], v[99:100]
	s_waitcnt vmcnt(2)
	v_add_f64 v[105:106], v[105:106], -v[103:104]
	s_waitcnt vmcnt(0)
	v_add_f64 v[107:108], v[107:108], -v[99:100]
	buffer_store_dword v105, off, s[20:23], 0 offset:624 ; 4-byte Folded Spill
	s_nop 0
	buffer_store_dword v106, off, s[20:23], 0 offset:628 ; 4-byte Folded Spill
	buffer_store_dword v107, off, s[20:23], 0 offset:632 ; 4-byte Folded Spill
	buffer_store_dword v108, off, s[20:23], 0 offset:636 ; 4-byte Folded Spill
	ds_read2_b64 v[99:102], v125 offset0:12 offset1:13
	buffer_load_dword v105, off, s[20:23], 0 offset:608 ; 4-byte Folded Reload
	buffer_load_dword v106, off, s[20:23], 0 offset:612 ; 4-byte Folded Reload
	buffer_load_dword v107, off, s[20:23], 0 offset:616 ; 4-byte Folded Reload
	buffer_load_dword v108, off, s[20:23], 0 offset:620 ; 4-byte Folded Reload
	s_waitcnt lgkmcnt(0)
	v_mul_f64 v[103:104], v[101:102], v[109:110]
	v_fma_f64 v[103:104], v[99:100], v[97:98], -v[103:104]
	v_mul_f64 v[99:100], v[99:100], v[109:110]
	v_fma_f64 v[99:100], v[101:102], v[97:98], v[99:100]
	s_waitcnt vmcnt(2)
	v_add_f64 v[105:106], v[105:106], -v[103:104]
	s_waitcnt vmcnt(0)
	v_add_f64 v[107:108], v[107:108], -v[99:100]
	buffer_store_dword v105, off, s[20:23], 0 offset:608 ; 4-byte Folded Spill
	s_nop 0
	buffer_store_dword v106, off, s[20:23], 0 offset:612 ; 4-byte Folded Spill
	buffer_store_dword v107, off, s[20:23], 0 offset:616 ; 4-byte Folded Spill
	buffer_store_dword v108, off, s[20:23], 0 offset:620 ; 4-byte Folded Spill
	ds_read2_b64 v[99:102], v125 offset0:14 offset1:15
	;; [unrolled: 19-line block ×29, first 2 shown]
	v_mov_b32_e32 v108, v98
	v_mov_b32_e32 v107, v97
	s_waitcnt lgkmcnt(0)
	v_mul_f64 v[103:104], v[101:102], v[109:110]
	v_fma_f64 v[103:104], v[99:100], v[97:98], -v[103:104]
	v_mul_f64 v[99:100], v[99:100], v[109:110]
	v_add_f64 v[91:92], v[91:92], -v[103:104]
	v_fma_f64 v[99:100], v[101:102], v[97:98], v[99:100]
	v_add_f64 v[93:94], v[93:94], -v[99:100]
	ds_read2_b64 v[99:102], v125 offset0:70 offset1:71
	buffer_load_dword v77, off, s[20:23], 0 offset:160 ; 4-byte Folded Reload
	buffer_load_dword v78, off, s[20:23], 0 offset:164 ; 4-byte Folded Reload
	buffer_load_dword v79, off, s[20:23], 0 offset:168 ; 4-byte Folded Reload
	buffer_load_dword v80, off, s[20:23], 0 offset:172 ; 4-byte Folded Reload
	s_waitcnt lgkmcnt(0)
	v_mul_f64 v[103:104], v[101:102], v[109:110]
	v_fma_f64 v[103:104], v[99:100], v[97:98], -v[103:104]
	v_mul_f64 v[99:100], v[99:100], v[109:110]
	v_fma_f64 v[99:100], v[101:102], v[97:98], v[99:100]
	s_waitcnt vmcnt(2)
	v_add_f64 v[77:78], v[77:78], -v[103:104]
	s_waitcnt vmcnt(0)
	v_add_f64 v[79:80], v[79:80], -v[99:100]
	buffer_store_dword v77, off, s[20:23], 0 offset:160 ; 4-byte Folded Spill
	s_nop 0
	buffer_store_dword v78, off, s[20:23], 0 offset:164 ; 4-byte Folded Spill
	buffer_store_dword v79, off, s[20:23], 0 offset:168 ; 4-byte Folded Spill
	buffer_store_dword v80, off, s[20:23], 0 offset:172 ; 4-byte Folded Spill
	ds_read2_b64 v[99:102], v125 offset0:72 offset1:73
	buffer_load_dword v77, off, s[20:23], 0 offset:144 ; 4-byte Folded Reload
	buffer_load_dword v78, off, s[20:23], 0 offset:148 ; 4-byte Folded Reload
	buffer_load_dword v79, off, s[20:23], 0 offset:152 ; 4-byte Folded Reload
	buffer_load_dword v80, off, s[20:23], 0 offset:156 ; 4-byte Folded Reload
	s_waitcnt lgkmcnt(0)
	v_mul_f64 v[103:104], v[101:102], v[109:110]
	v_fma_f64 v[103:104], v[99:100], v[97:98], -v[103:104]
	v_mul_f64 v[99:100], v[99:100], v[109:110]
	v_fma_f64 v[99:100], v[101:102], v[97:98], v[99:100]
	s_waitcnt vmcnt(2)
	v_add_f64 v[77:78], v[77:78], -v[103:104]
	s_waitcnt vmcnt(0)
	v_add_f64 v[79:80], v[79:80], -v[99:100]
	buffer_store_dword v77, off, s[20:23], 0 offset:144 ; 4-byte Folded Spill
	s_nop 0
	buffer_store_dword v78, off, s[20:23], 0 offset:148 ; 4-byte Folded Spill
	buffer_store_dword v79, off, s[20:23], 0 offset:152 ; 4-byte Folded Spill
	buffer_store_dword v80, off, s[20:23], 0 offset:156 ; 4-byte Folded Spill
	ds_read2_b64 v[99:102], v125 offset0:74 offset1:75
	buffer_load_dword v73, off, s[20:23], 0 offset:128 ; 4-byte Folded Reload
	buffer_load_dword v74, off, s[20:23], 0 offset:132 ; 4-byte Folded Reload
	buffer_load_dword v75, off, s[20:23], 0 offset:136 ; 4-byte Folded Reload
	buffer_load_dword v76, off, s[20:23], 0 offset:140 ; 4-byte Folded Reload
	s_waitcnt lgkmcnt(0)
	v_mul_f64 v[103:104], v[101:102], v[109:110]
	v_fma_f64 v[103:104], v[99:100], v[97:98], -v[103:104]
	v_mul_f64 v[99:100], v[99:100], v[109:110]
	v_fma_f64 v[99:100], v[101:102], v[97:98], v[99:100]
	s_waitcnt vmcnt(2)
	v_add_f64 v[73:74], v[73:74], -v[103:104]
	s_waitcnt vmcnt(0)
	v_add_f64 v[75:76], v[75:76], -v[99:100]
	buffer_store_dword v73, off, s[20:23], 0 offset:128 ; 4-byte Folded Spill
	s_nop 0
	buffer_store_dword v74, off, s[20:23], 0 offset:132 ; 4-byte Folded Spill
	buffer_store_dword v75, off, s[20:23], 0 offset:136 ; 4-byte Folded Spill
	buffer_store_dword v76, off, s[20:23], 0 offset:140 ; 4-byte Folded Spill
	ds_read2_b64 v[99:102], v125 offset0:76 offset1:77
	buffer_load_dword v69, off, s[20:23], 0 offset:112 ; 4-byte Folded Reload
	buffer_load_dword v70, off, s[20:23], 0 offset:116 ; 4-byte Folded Reload
	buffer_load_dword v71, off, s[20:23], 0 offset:120 ; 4-byte Folded Reload
	buffer_load_dword v72, off, s[20:23], 0 offset:124 ; 4-byte Folded Reload
	s_waitcnt lgkmcnt(0)
	v_mul_f64 v[103:104], v[101:102], v[109:110]
	v_fma_f64 v[103:104], v[99:100], v[97:98], -v[103:104]
	v_mul_f64 v[99:100], v[99:100], v[109:110]
	v_fma_f64 v[99:100], v[101:102], v[97:98], v[99:100]
	s_waitcnt vmcnt(2)
	v_add_f64 v[69:70], v[69:70], -v[103:104]
	s_waitcnt vmcnt(0)
	v_add_f64 v[71:72], v[71:72], -v[99:100]
	buffer_store_dword v69, off, s[20:23], 0 offset:112 ; 4-byte Folded Spill
	s_nop 0
	buffer_store_dword v70, off, s[20:23], 0 offset:116 ; 4-byte Folded Spill
	buffer_store_dword v71, off, s[20:23], 0 offset:120 ; 4-byte Folded Spill
	buffer_store_dword v72, off, s[20:23], 0 offset:124 ; 4-byte Folded Spill
	ds_read2_b64 v[99:102], v125 offset0:78 offset1:79
	buffer_load_dword v65, off, s[20:23], 0 offset:96 ; 4-byte Folded Reload
	buffer_load_dword v66, off, s[20:23], 0 offset:100 ; 4-byte Folded Reload
	buffer_load_dword v67, off, s[20:23], 0 offset:104 ; 4-byte Folded Reload
	buffer_load_dword v68, off, s[20:23], 0 offset:108 ; 4-byte Folded Reload
	s_waitcnt lgkmcnt(0)
	v_mul_f64 v[103:104], v[101:102], v[109:110]
	v_fma_f64 v[103:104], v[99:100], v[97:98], -v[103:104]
	v_mul_f64 v[99:100], v[99:100], v[109:110]
	v_fma_f64 v[99:100], v[101:102], v[97:98], v[99:100]
	s_waitcnt vmcnt(2)
	v_add_f64 v[65:66], v[65:66], -v[103:104]
	s_waitcnt vmcnt(0)
	v_add_f64 v[67:68], v[67:68], -v[99:100]
	buffer_store_dword v65, off, s[20:23], 0 offset:96 ; 4-byte Folded Spill
	s_nop 0
	buffer_store_dword v66, off, s[20:23], 0 offset:100 ; 4-byte Folded Spill
	buffer_store_dword v67, off, s[20:23], 0 offset:104 ; 4-byte Folded Spill
	buffer_store_dword v68, off, s[20:23], 0 offset:108 ; 4-byte Folded Spill
	ds_read2_b64 v[99:102], v125 offset0:80 offset1:81
	buffer_load_dword v61, off, s[20:23], 0 offset:80 ; 4-byte Folded Reload
	buffer_load_dword v62, off, s[20:23], 0 offset:84 ; 4-byte Folded Reload
	buffer_load_dword v63, off, s[20:23], 0 offset:88 ; 4-byte Folded Reload
	buffer_load_dword v64, off, s[20:23], 0 offset:92 ; 4-byte Folded Reload
	s_waitcnt lgkmcnt(0)
	v_mul_f64 v[103:104], v[101:102], v[109:110]
	v_fma_f64 v[103:104], v[99:100], v[97:98], -v[103:104]
	v_mul_f64 v[99:100], v[99:100], v[109:110]
	v_fma_f64 v[99:100], v[101:102], v[97:98], v[99:100]
	s_waitcnt vmcnt(2)
	v_add_f64 v[61:62], v[61:62], -v[103:104]
	s_waitcnt vmcnt(0)
	v_add_f64 v[63:64], v[63:64], -v[99:100]
	buffer_store_dword v61, off, s[20:23], 0 offset:80 ; 4-byte Folded Spill
	s_nop 0
	buffer_store_dword v62, off, s[20:23], 0 offset:84 ; 4-byte Folded Spill
	buffer_store_dword v63, off, s[20:23], 0 offset:88 ; 4-byte Folded Spill
	buffer_store_dword v64, off, s[20:23], 0 offset:92 ; 4-byte Folded Spill
	ds_read2_b64 v[99:102], v125 offset0:82 offset1:83
	buffer_load_dword v57, off, s[20:23], 0 offset:64 ; 4-byte Folded Reload
	buffer_load_dword v58, off, s[20:23], 0 offset:68 ; 4-byte Folded Reload
	buffer_load_dword v59, off, s[20:23], 0 offset:72 ; 4-byte Folded Reload
	buffer_load_dword v60, off, s[20:23], 0 offset:76 ; 4-byte Folded Reload
	s_waitcnt lgkmcnt(0)
	v_mul_f64 v[103:104], v[101:102], v[109:110]
	v_fma_f64 v[103:104], v[99:100], v[97:98], -v[103:104]
	v_mul_f64 v[99:100], v[99:100], v[109:110]
	v_fma_f64 v[99:100], v[101:102], v[97:98], v[99:100]
	s_waitcnt vmcnt(2)
	v_add_f64 v[57:58], v[57:58], -v[103:104]
	s_waitcnt vmcnt(0)
	v_add_f64 v[59:60], v[59:60], -v[99:100]
	buffer_store_dword v57, off, s[20:23], 0 offset:64 ; 4-byte Folded Spill
	s_nop 0
	buffer_store_dword v58, off, s[20:23], 0 offset:68 ; 4-byte Folded Spill
	buffer_store_dword v59, off, s[20:23], 0 offset:72 ; 4-byte Folded Spill
	buffer_store_dword v60, off, s[20:23], 0 offset:76 ; 4-byte Folded Spill
	ds_read2_b64 v[99:102], v125 offset0:84 offset1:85
	buffer_load_dword v53, off, s[20:23], 0 offset:48 ; 4-byte Folded Reload
	buffer_load_dword v54, off, s[20:23], 0 offset:52 ; 4-byte Folded Reload
	buffer_load_dword v55, off, s[20:23], 0 offset:56 ; 4-byte Folded Reload
	buffer_load_dword v56, off, s[20:23], 0 offset:60 ; 4-byte Folded Reload
	s_waitcnt lgkmcnt(0)
	v_mul_f64 v[103:104], v[101:102], v[109:110]
	v_fma_f64 v[103:104], v[99:100], v[97:98], -v[103:104]
	v_mul_f64 v[99:100], v[99:100], v[109:110]
	v_fma_f64 v[99:100], v[101:102], v[97:98], v[99:100]
	s_waitcnt vmcnt(2)
	v_add_f64 v[53:54], v[53:54], -v[103:104]
	s_waitcnt vmcnt(0)
	v_add_f64 v[55:56], v[55:56], -v[99:100]
	buffer_store_dword v53, off, s[20:23], 0 offset:48 ; 4-byte Folded Spill
	s_nop 0
	buffer_store_dword v54, off, s[20:23], 0 offset:52 ; 4-byte Folded Spill
	buffer_store_dword v55, off, s[20:23], 0 offset:56 ; 4-byte Folded Spill
	buffer_store_dword v56, off, s[20:23], 0 offset:60 ; 4-byte Folded Spill
	ds_read2_b64 v[99:102], v125 offset0:86 offset1:87
	buffer_load_dword v49, off, s[20:23], 0 offset:32 ; 4-byte Folded Reload
	buffer_load_dword v50, off, s[20:23], 0 offset:36 ; 4-byte Folded Reload
	buffer_load_dword v51, off, s[20:23], 0 offset:40 ; 4-byte Folded Reload
	buffer_load_dword v52, off, s[20:23], 0 offset:44 ; 4-byte Folded Reload
	s_waitcnt lgkmcnt(0)
	v_mul_f64 v[103:104], v[101:102], v[109:110]
	v_fma_f64 v[103:104], v[99:100], v[97:98], -v[103:104]
	v_mul_f64 v[99:100], v[99:100], v[109:110]
	v_fma_f64 v[99:100], v[101:102], v[97:98], v[99:100]
	s_waitcnt vmcnt(2)
	v_add_f64 v[49:50], v[49:50], -v[103:104]
	s_waitcnt vmcnt(0)
	v_add_f64 v[51:52], v[51:52], -v[99:100]
	buffer_store_dword v49, off, s[20:23], 0 offset:32 ; 4-byte Folded Spill
	s_nop 0
	buffer_store_dword v50, off, s[20:23], 0 offset:36 ; 4-byte Folded Spill
	buffer_store_dword v51, off, s[20:23], 0 offset:40 ; 4-byte Folded Spill
	buffer_store_dword v52, off, s[20:23], 0 offset:44 ; 4-byte Folded Spill
	ds_read2_b64 v[99:102], v125 offset0:88 offset1:89
	buffer_load_dword v45, off, s[20:23], 0 offset:16 ; 4-byte Folded Reload
	buffer_load_dword v46, off, s[20:23], 0 offset:20 ; 4-byte Folded Reload
	buffer_load_dword v47, off, s[20:23], 0 offset:24 ; 4-byte Folded Reload
	buffer_load_dword v48, off, s[20:23], 0 offset:28 ; 4-byte Folded Reload
	s_waitcnt lgkmcnt(0)
	v_mul_f64 v[103:104], v[101:102], v[109:110]
	v_fma_f64 v[103:104], v[99:100], v[97:98], -v[103:104]
	v_mul_f64 v[99:100], v[99:100], v[109:110]
	v_fma_f64 v[99:100], v[101:102], v[97:98], v[99:100]
	s_waitcnt vmcnt(2)
	v_add_f64 v[45:46], v[45:46], -v[103:104]
	s_waitcnt vmcnt(0)
	v_add_f64 v[47:48], v[47:48], -v[99:100]
	buffer_store_dword v45, off, s[20:23], 0 offset:16 ; 4-byte Folded Spill
	s_nop 0
	buffer_store_dword v46, off, s[20:23], 0 offset:20 ; 4-byte Folded Spill
	buffer_store_dword v47, off, s[20:23], 0 offset:24 ; 4-byte Folded Spill
	buffer_store_dword v48, off, s[20:23], 0 offset:28 ; 4-byte Folded Spill
	ds_read2_b64 v[99:102], v125 offset0:90 offset1:91
	buffer_load_dword v41, off, s[20:23], 0 ; 4-byte Folded Reload
	buffer_load_dword v42, off, s[20:23], 0 offset:4 ; 4-byte Folded Reload
	buffer_load_dword v43, off, s[20:23], 0 offset:8 ; 4-byte Folded Reload
	;; [unrolled: 1-line block ×3, first 2 shown]
	s_waitcnt lgkmcnt(0)
	v_mul_f64 v[103:104], v[101:102], v[109:110]
	v_fma_f64 v[103:104], v[99:100], v[97:98], -v[103:104]
	v_mul_f64 v[99:100], v[99:100], v[109:110]
	v_fma_f64 v[99:100], v[101:102], v[97:98], v[99:100]
	s_waitcnt vmcnt(2)
	v_add_f64 v[41:42], v[41:42], -v[103:104]
	s_waitcnt vmcnt(0)
	v_add_f64 v[43:44], v[43:44], -v[99:100]
	buffer_store_dword v41, off, s[20:23], 0 ; 4-byte Folded Spill
	s_nop 0
	buffer_store_dword v42, off, s[20:23], 0 offset:4 ; 4-byte Folded Spill
	buffer_store_dword v43, off, s[20:23], 0 offset:8 ; 4-byte Folded Spill
	;; [unrolled: 1-line block ×3, first 2 shown]
	ds_read2_b64 v[99:102], v125 offset0:92 offset1:93
	s_waitcnt lgkmcnt(0)
	v_mul_f64 v[103:104], v[101:102], v[109:110]
	v_fma_f64 v[103:104], v[99:100], v[97:98], -v[103:104]
	v_mul_f64 v[99:100], v[99:100], v[109:110]
	v_add_f64 v[37:38], v[37:38], -v[103:104]
	v_fma_f64 v[99:100], v[101:102], v[97:98], v[99:100]
	v_add_f64 v[39:40], v[39:40], -v[99:100]
	ds_read2_b64 v[99:102], v125 offset0:94 offset1:95
	s_waitcnt lgkmcnt(0)
	v_mul_f64 v[103:104], v[101:102], v[109:110]
	v_fma_f64 v[103:104], v[99:100], v[97:98], -v[103:104]
	v_mul_f64 v[99:100], v[99:100], v[109:110]
	v_add_f64 v[33:34], v[33:34], -v[103:104]
	v_fma_f64 v[99:100], v[101:102], v[97:98], v[99:100]
	v_add_f64 v[35:36], v[35:36], -v[99:100]
	;; [unrolled: 8-line block ×9, first 2 shown]
	ds_read2_b64 v[99:102], v125 offset0:110 offset1:111
	s_waitcnt lgkmcnt(0)
	v_mul_f64 v[103:104], v[101:102], v[109:110]
	v_fma_f64 v[103:104], v[99:100], v[97:98], -v[103:104]
	v_mul_f64 v[99:100], v[99:100], v[109:110]
	v_add_f64 v[1:2], v[1:2], -v[103:104]
	v_fma_f64 v[99:100], v[101:102], v[97:98], v[99:100]
	ds_read2_b64 v[101:104], v125 offset0:112 offset1:113
	v_add_f64 v[3:4], v[3:4], -v[99:100]
	s_waitcnt lgkmcnt(0)
	v_mul_f64 v[99:100], v[103:104], v[109:110]
	v_fma_f64 v[99:100], v[101:102], v[97:98], -v[99:100]
	v_mul_f64 v[101:102], v[101:102], v[109:110]
	buffer_store_dword v107, off, s[20:23], 0 offset:640 ; 4-byte Folded Spill
	s_nop 0
	buffer_store_dword v108, off, s[20:23], 0 offset:644 ; 4-byte Folded Spill
	buffer_store_dword v109, off, s[20:23], 0 offset:648 ; 4-byte Folded Spill
	;; [unrolled: 1-line block ×3, first 2 shown]
	v_add_f64 v[121:122], v[121:122], -v[99:100]
	v_fma_f64 v[101:102], v[103:104], v[97:98], v[101:102]
	v_add_f64 v[123:124], v[123:124], -v[101:102]
.LBB113_46:
	s_or_b64 exec, exec, s[2:3]
	v_cmp_eq_u32_e32 vcc, 5, v0
	s_waitcnt vmcnt(0)
	s_barrier
	s_and_saveexec_b64 s[4:5], vcc
	s_cbranch_execz .LBB113_53
; %bb.47:
	buffer_load_dword v95, off, s[20:23], 0 offset:624 ; 4-byte Folded Reload
	buffer_load_dword v96, off, s[20:23], 0 offset:628 ; 4-byte Folded Reload
	;; [unrolled: 1-line block ×4, first 2 shown]
	s_waitcnt vmcnt(0)
	ds_write2_b64 v127, v[95:96], v[97:98] offset1:1
	buffer_load_dword v95, off, s[20:23], 0 offset:608 ; 4-byte Folded Reload
	buffer_load_dword v96, off, s[20:23], 0 offset:612 ; 4-byte Folded Reload
	buffer_load_dword v97, off, s[20:23], 0 offset:616 ; 4-byte Folded Reload
	buffer_load_dword v98, off, s[20:23], 0 offset:620 ; 4-byte Folded Reload
	s_waitcnt vmcnt(0)
	ds_write2_b64 v125, v[95:96], v[97:98] offset0:12 offset1:13
	buffer_load_dword v95, off, s[20:23], 0 offset:592 ; 4-byte Folded Reload
	buffer_load_dword v96, off, s[20:23], 0 offset:596 ; 4-byte Folded Reload
	buffer_load_dword v97, off, s[20:23], 0 offset:600 ; 4-byte Folded Reload
	buffer_load_dword v98, off, s[20:23], 0 offset:604 ; 4-byte Folded Reload
	s_waitcnt vmcnt(0)
	ds_write2_b64 v125, v[95:96], v[97:98] offset0:14 offset1:15
	;; [unrolled: 6-line block ×28, first 2 shown]
	ds_write2_b64 v125, v[91:92], v[93:94] offset0:68 offset1:69
	buffer_load_dword v77, off, s[20:23], 0 offset:160 ; 4-byte Folded Reload
	buffer_load_dword v78, off, s[20:23], 0 offset:164 ; 4-byte Folded Reload
	buffer_load_dword v79, off, s[20:23], 0 offset:168 ; 4-byte Folded Reload
	buffer_load_dword v80, off, s[20:23], 0 offset:172 ; 4-byte Folded Reload
	s_waitcnt vmcnt(0)
	ds_write2_b64 v125, v[77:78], v[79:80] offset0:70 offset1:71
	buffer_load_dword v77, off, s[20:23], 0 offset:144 ; 4-byte Folded Reload
	buffer_load_dword v78, off, s[20:23], 0 offset:148 ; 4-byte Folded Reload
	buffer_load_dword v79, off, s[20:23], 0 offset:152 ; 4-byte Folded Reload
	buffer_load_dword v80, off, s[20:23], 0 offset:156 ; 4-byte Folded Reload
	s_waitcnt vmcnt(0)
	;; [unrolled: 6-line block ×10, first 2 shown]
	ds_write2_b64 v125, v[45:46], v[47:48] offset0:88 offset1:89
	buffer_load_dword v41, off, s[20:23], 0 ; 4-byte Folded Reload
	buffer_load_dword v42, off, s[20:23], 0 offset:4 ; 4-byte Folded Reload
	buffer_load_dword v43, off, s[20:23], 0 offset:8 ; 4-byte Folded Reload
	;; [unrolled: 1-line block ×3, first 2 shown]
	s_waitcnt vmcnt(0)
	ds_write2_b64 v125, v[41:42], v[43:44] offset0:90 offset1:91
	ds_write2_b64 v125, v[37:38], v[39:40] offset0:92 offset1:93
	;; [unrolled: 1-line block ×12, first 2 shown]
	ds_read2_b64 v[97:100], v127 offset1:1
	s_waitcnt lgkmcnt(0)
	v_cmp_neq_f64_e32 vcc, 0, v[97:98]
	v_cmp_neq_f64_e64 s[2:3], 0, v[99:100]
	s_or_b64 s[2:3], vcc, s[2:3]
	s_and_b64 exec, exec, s[2:3]
	s_cbranch_execz .LBB113_53
; %bb.48:
	v_cmp_ngt_f64_e64 s[2:3], |v[97:98]|, |v[99:100]|
                                        ; implicit-def: $vgpr101_vgpr102
	s_and_saveexec_b64 s[6:7], s[2:3]
	s_xor_b64 s[2:3], exec, s[6:7]
                                        ; implicit-def: $vgpr103_vgpr104
	s_cbranch_execz .LBB113_50
; %bb.49:
	v_div_scale_f64 v[101:102], s[6:7], v[99:100], v[99:100], v[97:98]
	v_rcp_f64_e32 v[103:104], v[101:102]
	v_fma_f64 v[105:106], -v[101:102], v[103:104], 1.0
	v_fma_f64 v[103:104], v[103:104], v[105:106], v[103:104]
	v_div_scale_f64 v[105:106], vcc, v[97:98], v[99:100], v[97:98]
	v_fma_f64 v[107:108], -v[101:102], v[103:104], 1.0
	v_fma_f64 v[103:104], v[103:104], v[107:108], v[103:104]
	v_mul_f64 v[107:108], v[105:106], v[103:104]
	v_fma_f64 v[101:102], -v[101:102], v[107:108], v[105:106]
	v_div_fmas_f64 v[101:102], v[101:102], v[103:104], v[107:108]
	v_div_fixup_f64 v[101:102], v[101:102], v[99:100], v[97:98]
	v_fma_f64 v[97:98], v[97:98], v[101:102], v[99:100]
	v_div_scale_f64 v[99:100], s[6:7], v[97:98], v[97:98], 1.0
	v_div_scale_f64 v[107:108], vcc, 1.0, v[97:98], 1.0
	v_rcp_f64_e32 v[103:104], v[99:100]
	v_fma_f64 v[105:106], -v[99:100], v[103:104], 1.0
	v_fma_f64 v[103:104], v[103:104], v[105:106], v[103:104]
	v_fma_f64 v[105:106], -v[99:100], v[103:104], 1.0
	v_fma_f64 v[103:104], v[103:104], v[105:106], v[103:104]
	v_mul_f64 v[105:106], v[107:108], v[103:104]
	v_fma_f64 v[99:100], -v[99:100], v[105:106], v[107:108]
	v_div_fmas_f64 v[99:100], v[99:100], v[103:104], v[105:106]
	v_div_fixup_f64 v[103:104], v[99:100], v[97:98], 1.0
                                        ; implicit-def: $vgpr97_vgpr98
	v_mul_f64 v[101:102], v[101:102], v[103:104]
	v_xor_b32_e32 v104, 0x80000000, v104
.LBB113_50:
	s_andn2_saveexec_b64 s[2:3], s[2:3]
	s_cbranch_execz .LBB113_52
; %bb.51:
	v_div_scale_f64 v[101:102], s[6:7], v[97:98], v[97:98], v[99:100]
	v_rcp_f64_e32 v[103:104], v[101:102]
	v_fma_f64 v[105:106], -v[101:102], v[103:104], 1.0
	v_fma_f64 v[103:104], v[103:104], v[105:106], v[103:104]
	v_div_scale_f64 v[105:106], vcc, v[99:100], v[97:98], v[99:100]
	v_fma_f64 v[107:108], -v[101:102], v[103:104], 1.0
	v_fma_f64 v[103:104], v[103:104], v[107:108], v[103:104]
	v_mul_f64 v[107:108], v[105:106], v[103:104]
	v_fma_f64 v[101:102], -v[101:102], v[107:108], v[105:106]
	v_div_fmas_f64 v[101:102], v[101:102], v[103:104], v[107:108]
	v_div_fixup_f64 v[103:104], v[101:102], v[97:98], v[99:100]
	v_fma_f64 v[97:98], v[99:100], v[103:104], v[97:98]
	v_div_scale_f64 v[99:100], s[6:7], v[97:98], v[97:98], 1.0
	v_div_scale_f64 v[107:108], vcc, 1.0, v[97:98], 1.0
	v_rcp_f64_e32 v[101:102], v[99:100]
	v_fma_f64 v[105:106], -v[99:100], v[101:102], 1.0
	v_fma_f64 v[101:102], v[101:102], v[105:106], v[101:102]
	v_fma_f64 v[105:106], -v[99:100], v[101:102], 1.0
	v_fma_f64 v[101:102], v[101:102], v[105:106], v[101:102]
	v_mul_f64 v[105:106], v[107:108], v[101:102]
	v_fma_f64 v[99:100], -v[99:100], v[105:106], v[107:108]
	v_div_fmas_f64 v[99:100], v[99:100], v[101:102], v[105:106]
	v_div_fixup_f64 v[101:102], v[99:100], v[97:98], 1.0
	v_mul_f64 v[103:104], v[103:104], -v[101:102]
.LBB113_52:
	s_or_b64 exec, exec, s[2:3]
	ds_write2_b64 v127, v[101:102], v[103:104] offset1:1
.LBB113_53:
	s_or_b64 exec, exec, s[4:5]
	s_waitcnt lgkmcnt(0)
	s_barrier
	ds_read2_b64 v[87:90], v127 offset1:1
	v_cmp_lt_u32_e32 vcc, 5, v0
	s_waitcnt lgkmcnt(0)
	buffer_store_dword v87, off, s[20:23], 0 offset:1248 ; 4-byte Folded Spill
	s_nop 0
	buffer_store_dword v88, off, s[20:23], 0 offset:1252 ; 4-byte Folded Spill
	buffer_store_dword v89, off, s[20:23], 0 offset:1256 ; 4-byte Folded Spill
	buffer_store_dword v90, off, s[20:23], 0 offset:1260 ; 4-byte Folded Spill
	s_and_saveexec_b64 s[2:3], vcc
	s_cbranch_execz .LBB113_55
; %bb.54:
	buffer_load_dword v107, off, s[20:23], 0 offset:624 ; 4-byte Folded Reload
	buffer_load_dword v108, off, s[20:23], 0 offset:628 ; 4-byte Folded Reload
	;; [unrolled: 1-line block ×8, first 2 shown]
	s_waitcnt vmcnt(2)
	v_mul_f64 v[99:100], v[87:88], v[109:110]
	s_waitcnt vmcnt(0)
	v_mul_f64 v[97:98], v[89:90], v[109:110]
	v_fma_f64 v[109:110], v[89:90], v[107:108], v[99:100]
	ds_read2_b64 v[99:102], v125 offset0:12 offset1:13
	v_fma_f64 v[97:98], v[87:88], v[107:108], -v[97:98]
	buffer_load_dword v105, off, s[20:23], 0 offset:608 ; 4-byte Folded Reload
	buffer_load_dword v106, off, s[20:23], 0 offset:612 ; 4-byte Folded Reload
	buffer_load_dword v107, off, s[20:23], 0 offset:616 ; 4-byte Folded Reload
	buffer_load_dword v108, off, s[20:23], 0 offset:620 ; 4-byte Folded Reload
	s_waitcnt lgkmcnt(0)
	v_mul_f64 v[103:104], v[101:102], v[109:110]
	v_fma_f64 v[103:104], v[99:100], v[97:98], -v[103:104]
	v_mul_f64 v[99:100], v[99:100], v[109:110]
	v_fma_f64 v[99:100], v[101:102], v[97:98], v[99:100]
	s_waitcnt vmcnt(2)
	v_add_f64 v[105:106], v[105:106], -v[103:104]
	s_waitcnt vmcnt(0)
	v_add_f64 v[107:108], v[107:108], -v[99:100]
	buffer_store_dword v105, off, s[20:23], 0 offset:608 ; 4-byte Folded Spill
	s_nop 0
	buffer_store_dword v106, off, s[20:23], 0 offset:612 ; 4-byte Folded Spill
	buffer_store_dword v107, off, s[20:23], 0 offset:616 ; 4-byte Folded Spill
	buffer_store_dword v108, off, s[20:23], 0 offset:620 ; 4-byte Folded Spill
	ds_read2_b64 v[99:102], v125 offset0:14 offset1:15
	buffer_load_dword v105, off, s[20:23], 0 offset:592 ; 4-byte Folded Reload
	buffer_load_dword v106, off, s[20:23], 0 offset:596 ; 4-byte Folded Reload
	buffer_load_dword v107, off, s[20:23], 0 offset:600 ; 4-byte Folded Reload
	buffer_load_dword v108, off, s[20:23], 0 offset:604 ; 4-byte Folded Reload
	s_waitcnt lgkmcnt(0)
	v_mul_f64 v[103:104], v[101:102], v[109:110]
	v_fma_f64 v[103:104], v[99:100], v[97:98], -v[103:104]
	v_mul_f64 v[99:100], v[99:100], v[109:110]
	v_fma_f64 v[99:100], v[101:102], v[97:98], v[99:100]
	s_waitcnt vmcnt(2)
	v_add_f64 v[105:106], v[105:106], -v[103:104]
	s_waitcnt vmcnt(0)
	v_add_f64 v[107:108], v[107:108], -v[99:100]
	buffer_store_dword v105, off, s[20:23], 0 offset:592 ; 4-byte Folded Spill
	s_nop 0
	buffer_store_dword v106, off, s[20:23], 0 offset:596 ; 4-byte Folded Spill
	buffer_store_dword v107, off, s[20:23], 0 offset:600 ; 4-byte Folded Spill
	buffer_store_dword v108, off, s[20:23], 0 offset:604 ; 4-byte Folded Spill
	ds_read2_b64 v[99:102], v125 offset0:16 offset1:17
	;; [unrolled: 19-line block ×28, first 2 shown]
	v_mov_b32_e32 v108, v98
	v_mov_b32_e32 v107, v97
	s_waitcnt lgkmcnt(0)
	v_mul_f64 v[103:104], v[101:102], v[109:110]
	v_fma_f64 v[103:104], v[99:100], v[97:98], -v[103:104]
	v_mul_f64 v[99:100], v[99:100], v[109:110]
	v_add_f64 v[91:92], v[91:92], -v[103:104]
	v_fma_f64 v[99:100], v[101:102], v[97:98], v[99:100]
	v_add_f64 v[93:94], v[93:94], -v[99:100]
	ds_read2_b64 v[99:102], v125 offset0:70 offset1:71
	buffer_load_dword v77, off, s[20:23], 0 offset:160 ; 4-byte Folded Reload
	buffer_load_dword v78, off, s[20:23], 0 offset:164 ; 4-byte Folded Reload
	buffer_load_dword v79, off, s[20:23], 0 offset:168 ; 4-byte Folded Reload
	buffer_load_dword v80, off, s[20:23], 0 offset:172 ; 4-byte Folded Reload
	s_waitcnt lgkmcnt(0)
	v_mul_f64 v[103:104], v[101:102], v[109:110]
	v_fma_f64 v[103:104], v[99:100], v[97:98], -v[103:104]
	v_mul_f64 v[99:100], v[99:100], v[109:110]
	v_fma_f64 v[99:100], v[101:102], v[97:98], v[99:100]
	s_waitcnt vmcnt(2)
	v_add_f64 v[77:78], v[77:78], -v[103:104]
	s_waitcnt vmcnt(0)
	v_add_f64 v[79:80], v[79:80], -v[99:100]
	buffer_store_dword v77, off, s[20:23], 0 offset:160 ; 4-byte Folded Spill
	s_nop 0
	buffer_store_dword v78, off, s[20:23], 0 offset:164 ; 4-byte Folded Spill
	buffer_store_dword v79, off, s[20:23], 0 offset:168 ; 4-byte Folded Spill
	buffer_store_dword v80, off, s[20:23], 0 offset:172 ; 4-byte Folded Spill
	ds_read2_b64 v[99:102], v125 offset0:72 offset1:73
	buffer_load_dword v77, off, s[20:23], 0 offset:144 ; 4-byte Folded Reload
	buffer_load_dword v78, off, s[20:23], 0 offset:148 ; 4-byte Folded Reload
	buffer_load_dword v79, off, s[20:23], 0 offset:152 ; 4-byte Folded Reload
	buffer_load_dword v80, off, s[20:23], 0 offset:156 ; 4-byte Folded Reload
	s_waitcnt lgkmcnt(0)
	v_mul_f64 v[103:104], v[101:102], v[109:110]
	v_fma_f64 v[103:104], v[99:100], v[97:98], -v[103:104]
	v_mul_f64 v[99:100], v[99:100], v[109:110]
	v_fma_f64 v[99:100], v[101:102], v[97:98], v[99:100]
	s_waitcnt vmcnt(2)
	v_add_f64 v[77:78], v[77:78], -v[103:104]
	s_waitcnt vmcnt(0)
	v_add_f64 v[79:80], v[79:80], -v[99:100]
	buffer_store_dword v77, off, s[20:23], 0 offset:144 ; 4-byte Folded Spill
	s_nop 0
	buffer_store_dword v78, off, s[20:23], 0 offset:148 ; 4-byte Folded Spill
	buffer_store_dword v79, off, s[20:23], 0 offset:152 ; 4-byte Folded Spill
	buffer_store_dword v80, off, s[20:23], 0 offset:156 ; 4-byte Folded Spill
	;; [unrolled: 19-line block ×10, first 2 shown]
	ds_read2_b64 v[99:102], v125 offset0:90 offset1:91
	buffer_load_dword v41, off, s[20:23], 0 ; 4-byte Folded Reload
	buffer_load_dword v42, off, s[20:23], 0 offset:4 ; 4-byte Folded Reload
	buffer_load_dword v43, off, s[20:23], 0 offset:8 ; 4-byte Folded Reload
	;; [unrolled: 1-line block ×3, first 2 shown]
	s_waitcnt lgkmcnt(0)
	v_mul_f64 v[103:104], v[101:102], v[109:110]
	v_fma_f64 v[103:104], v[99:100], v[97:98], -v[103:104]
	v_mul_f64 v[99:100], v[99:100], v[109:110]
	v_fma_f64 v[99:100], v[101:102], v[97:98], v[99:100]
	s_waitcnt vmcnt(2)
	v_add_f64 v[41:42], v[41:42], -v[103:104]
	s_waitcnt vmcnt(0)
	v_add_f64 v[43:44], v[43:44], -v[99:100]
	buffer_store_dword v41, off, s[20:23], 0 ; 4-byte Folded Spill
	s_nop 0
	buffer_store_dword v42, off, s[20:23], 0 offset:4 ; 4-byte Folded Spill
	buffer_store_dword v43, off, s[20:23], 0 offset:8 ; 4-byte Folded Spill
	;; [unrolled: 1-line block ×3, first 2 shown]
	ds_read2_b64 v[99:102], v125 offset0:92 offset1:93
	s_waitcnt lgkmcnt(0)
	v_mul_f64 v[103:104], v[101:102], v[109:110]
	v_fma_f64 v[103:104], v[99:100], v[97:98], -v[103:104]
	v_mul_f64 v[99:100], v[99:100], v[109:110]
	v_add_f64 v[37:38], v[37:38], -v[103:104]
	v_fma_f64 v[99:100], v[101:102], v[97:98], v[99:100]
	v_add_f64 v[39:40], v[39:40], -v[99:100]
	ds_read2_b64 v[99:102], v125 offset0:94 offset1:95
	s_waitcnt lgkmcnt(0)
	v_mul_f64 v[103:104], v[101:102], v[109:110]
	v_fma_f64 v[103:104], v[99:100], v[97:98], -v[103:104]
	v_mul_f64 v[99:100], v[99:100], v[109:110]
	v_add_f64 v[33:34], v[33:34], -v[103:104]
	v_fma_f64 v[99:100], v[101:102], v[97:98], v[99:100]
	v_add_f64 v[35:36], v[35:36], -v[99:100]
	ds_read2_b64 v[99:102], v125 offset0:96 offset1:97
	s_waitcnt lgkmcnt(0)
	v_mul_f64 v[103:104], v[101:102], v[109:110]
	v_fma_f64 v[103:104], v[99:100], v[97:98], -v[103:104]
	v_mul_f64 v[99:100], v[99:100], v[109:110]
	v_add_f64 v[29:30], v[29:30], -v[103:104]
	v_fma_f64 v[99:100], v[101:102], v[97:98], v[99:100]
	v_add_f64 v[31:32], v[31:32], -v[99:100]
	ds_read2_b64 v[99:102], v125 offset0:98 offset1:99
	s_waitcnt lgkmcnt(0)
	v_mul_f64 v[103:104], v[101:102], v[109:110]
	v_fma_f64 v[103:104], v[99:100], v[97:98], -v[103:104]
	v_mul_f64 v[99:100], v[99:100], v[109:110]
	v_add_f64 v[25:26], v[25:26], -v[103:104]
	v_fma_f64 v[99:100], v[101:102], v[97:98], v[99:100]
	v_add_f64 v[27:28], v[27:28], -v[99:100]
	ds_read2_b64 v[99:102], v125 offset0:100 offset1:101
	s_waitcnt lgkmcnt(0)
	v_mul_f64 v[103:104], v[101:102], v[109:110]
	v_fma_f64 v[103:104], v[99:100], v[97:98], -v[103:104]
	v_mul_f64 v[99:100], v[99:100], v[109:110]
	v_add_f64 v[21:22], v[21:22], -v[103:104]
	v_fma_f64 v[99:100], v[101:102], v[97:98], v[99:100]
	v_add_f64 v[23:24], v[23:24], -v[99:100]
	ds_read2_b64 v[99:102], v125 offset0:102 offset1:103
	s_waitcnt lgkmcnt(0)
	v_mul_f64 v[103:104], v[101:102], v[109:110]
	v_fma_f64 v[103:104], v[99:100], v[97:98], -v[103:104]
	v_mul_f64 v[99:100], v[99:100], v[109:110]
	v_add_f64 v[17:18], v[17:18], -v[103:104]
	v_fma_f64 v[99:100], v[101:102], v[97:98], v[99:100]
	v_add_f64 v[19:20], v[19:20], -v[99:100]
	ds_read2_b64 v[99:102], v125 offset0:104 offset1:105
	s_waitcnt lgkmcnt(0)
	v_mul_f64 v[103:104], v[101:102], v[109:110]
	v_fma_f64 v[103:104], v[99:100], v[97:98], -v[103:104]
	v_mul_f64 v[99:100], v[99:100], v[109:110]
	v_add_f64 v[13:14], v[13:14], -v[103:104]
	v_fma_f64 v[99:100], v[101:102], v[97:98], v[99:100]
	v_add_f64 v[15:16], v[15:16], -v[99:100]
	ds_read2_b64 v[99:102], v125 offset0:106 offset1:107
	s_waitcnt lgkmcnt(0)
	v_mul_f64 v[103:104], v[101:102], v[109:110]
	v_fma_f64 v[103:104], v[99:100], v[97:98], -v[103:104]
	v_mul_f64 v[99:100], v[99:100], v[109:110]
	v_add_f64 v[9:10], v[9:10], -v[103:104]
	v_fma_f64 v[99:100], v[101:102], v[97:98], v[99:100]
	v_add_f64 v[11:12], v[11:12], -v[99:100]
	ds_read2_b64 v[99:102], v125 offset0:108 offset1:109
	s_waitcnt lgkmcnt(0)
	v_mul_f64 v[103:104], v[101:102], v[109:110]
	v_fma_f64 v[103:104], v[99:100], v[97:98], -v[103:104]
	v_mul_f64 v[99:100], v[99:100], v[109:110]
	v_add_f64 v[5:6], v[5:6], -v[103:104]
	v_fma_f64 v[99:100], v[101:102], v[97:98], v[99:100]
	v_add_f64 v[7:8], v[7:8], -v[99:100]
	ds_read2_b64 v[99:102], v125 offset0:110 offset1:111
	s_waitcnt lgkmcnt(0)
	v_mul_f64 v[103:104], v[101:102], v[109:110]
	v_fma_f64 v[103:104], v[99:100], v[97:98], -v[103:104]
	v_mul_f64 v[99:100], v[99:100], v[109:110]
	v_add_f64 v[1:2], v[1:2], -v[103:104]
	v_fma_f64 v[99:100], v[101:102], v[97:98], v[99:100]
	ds_read2_b64 v[101:104], v125 offset0:112 offset1:113
	v_add_f64 v[3:4], v[3:4], -v[99:100]
	s_waitcnt lgkmcnt(0)
	v_mul_f64 v[99:100], v[103:104], v[109:110]
	v_fma_f64 v[99:100], v[101:102], v[97:98], -v[99:100]
	v_mul_f64 v[101:102], v[101:102], v[109:110]
	buffer_store_dword v107, off, s[20:23], 0 offset:624 ; 4-byte Folded Spill
	s_nop 0
	buffer_store_dword v108, off, s[20:23], 0 offset:628 ; 4-byte Folded Spill
	buffer_store_dword v109, off, s[20:23], 0 offset:632 ; 4-byte Folded Spill
	;; [unrolled: 1-line block ×3, first 2 shown]
	v_add_f64 v[121:122], v[121:122], -v[99:100]
	v_fma_f64 v[101:102], v[103:104], v[97:98], v[101:102]
	v_add_f64 v[123:124], v[123:124], -v[101:102]
.LBB113_55:
	s_or_b64 exec, exec, s[2:3]
	v_cmp_eq_u32_e32 vcc, 6, v0
	s_waitcnt vmcnt(0)
	s_barrier
	s_and_saveexec_b64 s[4:5], vcc
	s_cbranch_execz .LBB113_62
; %bb.56:
	buffer_load_dword v95, off, s[20:23], 0 offset:608 ; 4-byte Folded Reload
	buffer_load_dword v96, off, s[20:23], 0 offset:612 ; 4-byte Folded Reload
	;; [unrolled: 1-line block ×4, first 2 shown]
	s_waitcnt vmcnt(0)
	ds_write2_b64 v127, v[95:96], v[97:98] offset1:1
	buffer_load_dword v95, off, s[20:23], 0 offset:592 ; 4-byte Folded Reload
	buffer_load_dword v96, off, s[20:23], 0 offset:596 ; 4-byte Folded Reload
	buffer_load_dword v97, off, s[20:23], 0 offset:600 ; 4-byte Folded Reload
	buffer_load_dword v98, off, s[20:23], 0 offset:604 ; 4-byte Folded Reload
	s_waitcnt vmcnt(0)
	ds_write2_b64 v125, v[95:96], v[97:98] offset0:14 offset1:15
	buffer_load_dword v95, off, s[20:23], 0 offset:576 ; 4-byte Folded Reload
	buffer_load_dword v96, off, s[20:23], 0 offset:580 ; 4-byte Folded Reload
	buffer_load_dword v97, off, s[20:23], 0 offset:584 ; 4-byte Folded Reload
	buffer_load_dword v98, off, s[20:23], 0 offset:588 ; 4-byte Folded Reload
	s_waitcnt vmcnt(0)
	ds_write2_b64 v125, v[95:96], v[97:98] offset0:16 offset1:17
	;; [unrolled: 6-line block ×27, first 2 shown]
	ds_write2_b64 v125, v[91:92], v[93:94] offset0:68 offset1:69
	buffer_load_dword v77, off, s[20:23], 0 offset:160 ; 4-byte Folded Reload
	buffer_load_dword v78, off, s[20:23], 0 offset:164 ; 4-byte Folded Reload
	buffer_load_dword v79, off, s[20:23], 0 offset:168 ; 4-byte Folded Reload
	buffer_load_dword v80, off, s[20:23], 0 offset:172 ; 4-byte Folded Reload
	s_waitcnt vmcnt(0)
	ds_write2_b64 v125, v[77:78], v[79:80] offset0:70 offset1:71
	buffer_load_dword v77, off, s[20:23], 0 offset:144 ; 4-byte Folded Reload
	buffer_load_dword v78, off, s[20:23], 0 offset:148 ; 4-byte Folded Reload
	buffer_load_dword v79, off, s[20:23], 0 offset:152 ; 4-byte Folded Reload
	buffer_load_dword v80, off, s[20:23], 0 offset:156 ; 4-byte Folded Reload
	s_waitcnt vmcnt(0)
	;; [unrolled: 6-line block ×10, first 2 shown]
	ds_write2_b64 v125, v[45:46], v[47:48] offset0:88 offset1:89
	buffer_load_dword v41, off, s[20:23], 0 ; 4-byte Folded Reload
	buffer_load_dword v42, off, s[20:23], 0 offset:4 ; 4-byte Folded Reload
	buffer_load_dword v43, off, s[20:23], 0 offset:8 ; 4-byte Folded Reload
	;; [unrolled: 1-line block ×3, first 2 shown]
	s_waitcnt vmcnt(0)
	ds_write2_b64 v125, v[41:42], v[43:44] offset0:90 offset1:91
	ds_write2_b64 v125, v[37:38], v[39:40] offset0:92 offset1:93
	;; [unrolled: 1-line block ×12, first 2 shown]
	ds_read2_b64 v[97:100], v127 offset1:1
	s_waitcnt lgkmcnt(0)
	v_cmp_neq_f64_e32 vcc, 0, v[97:98]
	v_cmp_neq_f64_e64 s[2:3], 0, v[99:100]
	s_or_b64 s[2:3], vcc, s[2:3]
	s_and_b64 exec, exec, s[2:3]
	s_cbranch_execz .LBB113_62
; %bb.57:
	v_cmp_ngt_f64_e64 s[2:3], |v[97:98]|, |v[99:100]|
                                        ; implicit-def: $vgpr101_vgpr102
	s_and_saveexec_b64 s[6:7], s[2:3]
	s_xor_b64 s[2:3], exec, s[6:7]
                                        ; implicit-def: $vgpr103_vgpr104
	s_cbranch_execz .LBB113_59
; %bb.58:
	v_div_scale_f64 v[101:102], s[6:7], v[99:100], v[99:100], v[97:98]
	v_rcp_f64_e32 v[103:104], v[101:102]
	v_fma_f64 v[105:106], -v[101:102], v[103:104], 1.0
	v_fma_f64 v[103:104], v[103:104], v[105:106], v[103:104]
	v_div_scale_f64 v[105:106], vcc, v[97:98], v[99:100], v[97:98]
	v_fma_f64 v[107:108], -v[101:102], v[103:104], 1.0
	v_fma_f64 v[103:104], v[103:104], v[107:108], v[103:104]
	v_mul_f64 v[107:108], v[105:106], v[103:104]
	v_fma_f64 v[101:102], -v[101:102], v[107:108], v[105:106]
	v_div_fmas_f64 v[101:102], v[101:102], v[103:104], v[107:108]
	v_div_fixup_f64 v[101:102], v[101:102], v[99:100], v[97:98]
	v_fma_f64 v[97:98], v[97:98], v[101:102], v[99:100]
	v_div_scale_f64 v[99:100], s[6:7], v[97:98], v[97:98], 1.0
	v_div_scale_f64 v[107:108], vcc, 1.0, v[97:98], 1.0
	v_rcp_f64_e32 v[103:104], v[99:100]
	v_fma_f64 v[105:106], -v[99:100], v[103:104], 1.0
	v_fma_f64 v[103:104], v[103:104], v[105:106], v[103:104]
	v_fma_f64 v[105:106], -v[99:100], v[103:104], 1.0
	v_fma_f64 v[103:104], v[103:104], v[105:106], v[103:104]
	v_mul_f64 v[105:106], v[107:108], v[103:104]
	v_fma_f64 v[99:100], -v[99:100], v[105:106], v[107:108]
	v_div_fmas_f64 v[99:100], v[99:100], v[103:104], v[105:106]
	v_div_fixup_f64 v[103:104], v[99:100], v[97:98], 1.0
                                        ; implicit-def: $vgpr97_vgpr98
	v_mul_f64 v[101:102], v[101:102], v[103:104]
	v_xor_b32_e32 v104, 0x80000000, v104
.LBB113_59:
	s_andn2_saveexec_b64 s[2:3], s[2:3]
	s_cbranch_execz .LBB113_61
; %bb.60:
	v_div_scale_f64 v[101:102], s[6:7], v[97:98], v[97:98], v[99:100]
	v_rcp_f64_e32 v[103:104], v[101:102]
	v_fma_f64 v[105:106], -v[101:102], v[103:104], 1.0
	v_fma_f64 v[103:104], v[103:104], v[105:106], v[103:104]
	v_div_scale_f64 v[105:106], vcc, v[99:100], v[97:98], v[99:100]
	v_fma_f64 v[107:108], -v[101:102], v[103:104], 1.0
	v_fma_f64 v[103:104], v[103:104], v[107:108], v[103:104]
	v_mul_f64 v[107:108], v[105:106], v[103:104]
	v_fma_f64 v[101:102], -v[101:102], v[107:108], v[105:106]
	v_div_fmas_f64 v[101:102], v[101:102], v[103:104], v[107:108]
	v_div_fixup_f64 v[103:104], v[101:102], v[97:98], v[99:100]
	v_fma_f64 v[97:98], v[99:100], v[103:104], v[97:98]
	v_div_scale_f64 v[99:100], s[6:7], v[97:98], v[97:98], 1.0
	v_div_scale_f64 v[107:108], vcc, 1.0, v[97:98], 1.0
	v_rcp_f64_e32 v[101:102], v[99:100]
	v_fma_f64 v[105:106], -v[99:100], v[101:102], 1.0
	v_fma_f64 v[101:102], v[101:102], v[105:106], v[101:102]
	v_fma_f64 v[105:106], -v[99:100], v[101:102], 1.0
	v_fma_f64 v[101:102], v[101:102], v[105:106], v[101:102]
	v_mul_f64 v[105:106], v[107:108], v[101:102]
	v_fma_f64 v[99:100], -v[99:100], v[105:106], v[107:108]
	v_div_fmas_f64 v[99:100], v[99:100], v[101:102], v[105:106]
	v_div_fixup_f64 v[101:102], v[99:100], v[97:98], 1.0
	v_mul_f64 v[103:104], v[103:104], -v[101:102]
.LBB113_61:
	s_or_b64 exec, exec, s[2:3]
	ds_write2_b64 v127, v[101:102], v[103:104] offset1:1
.LBB113_62:
	s_or_b64 exec, exec, s[4:5]
	s_waitcnt lgkmcnt(0)
	s_barrier
	ds_read2_b64 v[87:90], v127 offset1:1
	v_cmp_lt_u32_e32 vcc, 6, v0
	s_waitcnt lgkmcnt(0)
	buffer_store_dword v87, off, s[20:23], 0 offset:1264 ; 4-byte Folded Spill
	s_nop 0
	buffer_store_dword v88, off, s[20:23], 0 offset:1268 ; 4-byte Folded Spill
	buffer_store_dword v89, off, s[20:23], 0 offset:1272 ; 4-byte Folded Spill
	;; [unrolled: 1-line block ×3, first 2 shown]
	s_and_saveexec_b64 s[2:3], vcc
	s_cbranch_execz .LBB113_64
; %bb.63:
	buffer_load_dword v107, off, s[20:23], 0 offset:608 ; 4-byte Folded Reload
	buffer_load_dword v108, off, s[20:23], 0 offset:612 ; 4-byte Folded Reload
	;; [unrolled: 1-line block ×8, first 2 shown]
	s_waitcnt vmcnt(2)
	v_mul_f64 v[99:100], v[87:88], v[109:110]
	s_waitcnt vmcnt(0)
	v_mul_f64 v[97:98], v[89:90], v[109:110]
	v_fma_f64 v[109:110], v[89:90], v[107:108], v[99:100]
	ds_read2_b64 v[99:102], v125 offset0:14 offset1:15
	v_fma_f64 v[97:98], v[87:88], v[107:108], -v[97:98]
	buffer_load_dword v105, off, s[20:23], 0 offset:592 ; 4-byte Folded Reload
	buffer_load_dword v106, off, s[20:23], 0 offset:596 ; 4-byte Folded Reload
	buffer_load_dword v107, off, s[20:23], 0 offset:600 ; 4-byte Folded Reload
	buffer_load_dword v108, off, s[20:23], 0 offset:604 ; 4-byte Folded Reload
	s_waitcnt lgkmcnt(0)
	v_mul_f64 v[103:104], v[101:102], v[109:110]
	v_fma_f64 v[103:104], v[99:100], v[97:98], -v[103:104]
	v_mul_f64 v[99:100], v[99:100], v[109:110]
	v_fma_f64 v[99:100], v[101:102], v[97:98], v[99:100]
	s_waitcnt vmcnt(2)
	v_add_f64 v[105:106], v[105:106], -v[103:104]
	s_waitcnt vmcnt(0)
	v_add_f64 v[107:108], v[107:108], -v[99:100]
	buffer_store_dword v105, off, s[20:23], 0 offset:592 ; 4-byte Folded Spill
	s_nop 0
	buffer_store_dword v106, off, s[20:23], 0 offset:596 ; 4-byte Folded Spill
	buffer_store_dword v107, off, s[20:23], 0 offset:600 ; 4-byte Folded Spill
	buffer_store_dword v108, off, s[20:23], 0 offset:604 ; 4-byte Folded Spill
	ds_read2_b64 v[99:102], v125 offset0:16 offset1:17
	buffer_load_dword v105, off, s[20:23], 0 offset:576 ; 4-byte Folded Reload
	buffer_load_dword v106, off, s[20:23], 0 offset:580 ; 4-byte Folded Reload
	buffer_load_dword v107, off, s[20:23], 0 offset:584 ; 4-byte Folded Reload
	buffer_load_dword v108, off, s[20:23], 0 offset:588 ; 4-byte Folded Reload
	s_waitcnt lgkmcnt(0)
	v_mul_f64 v[103:104], v[101:102], v[109:110]
	v_fma_f64 v[103:104], v[99:100], v[97:98], -v[103:104]
	v_mul_f64 v[99:100], v[99:100], v[109:110]
	v_fma_f64 v[99:100], v[101:102], v[97:98], v[99:100]
	s_waitcnt vmcnt(2)
	v_add_f64 v[105:106], v[105:106], -v[103:104]
	s_waitcnt vmcnt(0)
	v_add_f64 v[107:108], v[107:108], -v[99:100]
	buffer_store_dword v105, off, s[20:23], 0 offset:576 ; 4-byte Folded Spill
	s_nop 0
	buffer_store_dword v106, off, s[20:23], 0 offset:580 ; 4-byte Folded Spill
	buffer_store_dword v107, off, s[20:23], 0 offset:584 ; 4-byte Folded Spill
	buffer_store_dword v108, off, s[20:23], 0 offset:588 ; 4-byte Folded Spill
	ds_read2_b64 v[99:102], v125 offset0:18 offset1:19
	;; [unrolled: 19-line block ×27, first 2 shown]
	v_mov_b32_e32 v108, v98
	v_mov_b32_e32 v107, v97
	s_waitcnt lgkmcnt(0)
	v_mul_f64 v[103:104], v[101:102], v[109:110]
	v_fma_f64 v[103:104], v[99:100], v[97:98], -v[103:104]
	v_mul_f64 v[99:100], v[99:100], v[109:110]
	v_add_f64 v[91:92], v[91:92], -v[103:104]
	v_fma_f64 v[99:100], v[101:102], v[97:98], v[99:100]
	v_add_f64 v[93:94], v[93:94], -v[99:100]
	ds_read2_b64 v[99:102], v125 offset0:70 offset1:71
	buffer_load_dword v77, off, s[20:23], 0 offset:160 ; 4-byte Folded Reload
	buffer_load_dword v78, off, s[20:23], 0 offset:164 ; 4-byte Folded Reload
	buffer_load_dword v79, off, s[20:23], 0 offset:168 ; 4-byte Folded Reload
	buffer_load_dword v80, off, s[20:23], 0 offset:172 ; 4-byte Folded Reload
	s_waitcnt lgkmcnt(0)
	v_mul_f64 v[103:104], v[101:102], v[109:110]
	v_fma_f64 v[103:104], v[99:100], v[97:98], -v[103:104]
	v_mul_f64 v[99:100], v[99:100], v[109:110]
	v_fma_f64 v[99:100], v[101:102], v[97:98], v[99:100]
	s_waitcnt vmcnt(2)
	v_add_f64 v[77:78], v[77:78], -v[103:104]
	s_waitcnt vmcnt(0)
	v_add_f64 v[79:80], v[79:80], -v[99:100]
	buffer_store_dword v77, off, s[20:23], 0 offset:160 ; 4-byte Folded Spill
	s_nop 0
	buffer_store_dword v78, off, s[20:23], 0 offset:164 ; 4-byte Folded Spill
	buffer_store_dword v79, off, s[20:23], 0 offset:168 ; 4-byte Folded Spill
	buffer_store_dword v80, off, s[20:23], 0 offset:172 ; 4-byte Folded Spill
	ds_read2_b64 v[99:102], v125 offset0:72 offset1:73
	buffer_load_dword v77, off, s[20:23], 0 offset:144 ; 4-byte Folded Reload
	buffer_load_dword v78, off, s[20:23], 0 offset:148 ; 4-byte Folded Reload
	buffer_load_dword v79, off, s[20:23], 0 offset:152 ; 4-byte Folded Reload
	buffer_load_dword v80, off, s[20:23], 0 offset:156 ; 4-byte Folded Reload
	s_waitcnt lgkmcnt(0)
	v_mul_f64 v[103:104], v[101:102], v[109:110]
	v_fma_f64 v[103:104], v[99:100], v[97:98], -v[103:104]
	v_mul_f64 v[99:100], v[99:100], v[109:110]
	v_fma_f64 v[99:100], v[101:102], v[97:98], v[99:100]
	s_waitcnt vmcnt(2)
	v_add_f64 v[77:78], v[77:78], -v[103:104]
	s_waitcnt vmcnt(0)
	v_add_f64 v[79:80], v[79:80], -v[99:100]
	buffer_store_dword v77, off, s[20:23], 0 offset:144 ; 4-byte Folded Spill
	s_nop 0
	buffer_store_dword v78, off, s[20:23], 0 offset:148 ; 4-byte Folded Spill
	buffer_store_dword v79, off, s[20:23], 0 offset:152 ; 4-byte Folded Spill
	buffer_store_dword v80, off, s[20:23], 0 offset:156 ; 4-byte Folded Spill
	;; [unrolled: 19-line block ×10, first 2 shown]
	ds_read2_b64 v[99:102], v125 offset0:90 offset1:91
	buffer_load_dword v41, off, s[20:23], 0 ; 4-byte Folded Reload
	buffer_load_dword v42, off, s[20:23], 0 offset:4 ; 4-byte Folded Reload
	buffer_load_dword v43, off, s[20:23], 0 offset:8 ; 4-byte Folded Reload
	;; [unrolled: 1-line block ×3, first 2 shown]
	s_waitcnt lgkmcnt(0)
	v_mul_f64 v[103:104], v[101:102], v[109:110]
	v_fma_f64 v[103:104], v[99:100], v[97:98], -v[103:104]
	v_mul_f64 v[99:100], v[99:100], v[109:110]
	v_fma_f64 v[99:100], v[101:102], v[97:98], v[99:100]
	s_waitcnt vmcnt(2)
	v_add_f64 v[41:42], v[41:42], -v[103:104]
	s_waitcnt vmcnt(0)
	v_add_f64 v[43:44], v[43:44], -v[99:100]
	buffer_store_dword v41, off, s[20:23], 0 ; 4-byte Folded Spill
	s_nop 0
	buffer_store_dword v42, off, s[20:23], 0 offset:4 ; 4-byte Folded Spill
	buffer_store_dword v43, off, s[20:23], 0 offset:8 ; 4-byte Folded Spill
	;; [unrolled: 1-line block ×3, first 2 shown]
	ds_read2_b64 v[99:102], v125 offset0:92 offset1:93
	s_waitcnt lgkmcnt(0)
	v_mul_f64 v[103:104], v[101:102], v[109:110]
	v_fma_f64 v[103:104], v[99:100], v[97:98], -v[103:104]
	v_mul_f64 v[99:100], v[99:100], v[109:110]
	v_add_f64 v[37:38], v[37:38], -v[103:104]
	v_fma_f64 v[99:100], v[101:102], v[97:98], v[99:100]
	v_add_f64 v[39:40], v[39:40], -v[99:100]
	ds_read2_b64 v[99:102], v125 offset0:94 offset1:95
	s_waitcnt lgkmcnt(0)
	v_mul_f64 v[103:104], v[101:102], v[109:110]
	v_fma_f64 v[103:104], v[99:100], v[97:98], -v[103:104]
	v_mul_f64 v[99:100], v[99:100], v[109:110]
	v_add_f64 v[33:34], v[33:34], -v[103:104]
	v_fma_f64 v[99:100], v[101:102], v[97:98], v[99:100]
	v_add_f64 v[35:36], v[35:36], -v[99:100]
	;; [unrolled: 8-line block ×9, first 2 shown]
	ds_read2_b64 v[99:102], v125 offset0:110 offset1:111
	s_waitcnt lgkmcnt(0)
	v_mul_f64 v[103:104], v[101:102], v[109:110]
	v_fma_f64 v[103:104], v[99:100], v[97:98], -v[103:104]
	v_mul_f64 v[99:100], v[99:100], v[109:110]
	v_add_f64 v[1:2], v[1:2], -v[103:104]
	v_fma_f64 v[99:100], v[101:102], v[97:98], v[99:100]
	ds_read2_b64 v[101:104], v125 offset0:112 offset1:113
	v_add_f64 v[3:4], v[3:4], -v[99:100]
	s_waitcnt lgkmcnt(0)
	v_mul_f64 v[99:100], v[103:104], v[109:110]
	v_fma_f64 v[99:100], v[101:102], v[97:98], -v[99:100]
	v_mul_f64 v[101:102], v[101:102], v[109:110]
	buffer_store_dword v107, off, s[20:23], 0 offset:608 ; 4-byte Folded Spill
	s_nop 0
	buffer_store_dword v108, off, s[20:23], 0 offset:612 ; 4-byte Folded Spill
	buffer_store_dword v109, off, s[20:23], 0 offset:616 ; 4-byte Folded Spill
	;; [unrolled: 1-line block ×3, first 2 shown]
	v_add_f64 v[121:122], v[121:122], -v[99:100]
	v_fma_f64 v[101:102], v[103:104], v[97:98], v[101:102]
	v_add_f64 v[123:124], v[123:124], -v[101:102]
.LBB113_64:
	s_or_b64 exec, exec, s[2:3]
	v_cmp_eq_u32_e32 vcc, 7, v0
	s_waitcnt vmcnt(0)
	s_barrier
	s_and_saveexec_b64 s[4:5], vcc
	s_cbranch_execz .LBB113_71
; %bb.65:
	buffer_load_dword v95, off, s[20:23], 0 offset:592 ; 4-byte Folded Reload
	buffer_load_dword v96, off, s[20:23], 0 offset:596 ; 4-byte Folded Reload
	buffer_load_dword v97, off, s[20:23], 0 offset:600 ; 4-byte Folded Reload
	buffer_load_dword v98, off, s[20:23], 0 offset:604 ; 4-byte Folded Reload
	s_waitcnt vmcnt(0)
	ds_write2_b64 v127, v[95:96], v[97:98] offset1:1
	buffer_load_dword v95, off, s[20:23], 0 offset:576 ; 4-byte Folded Reload
	buffer_load_dword v96, off, s[20:23], 0 offset:580 ; 4-byte Folded Reload
	buffer_load_dword v97, off, s[20:23], 0 offset:584 ; 4-byte Folded Reload
	buffer_load_dword v98, off, s[20:23], 0 offset:588 ; 4-byte Folded Reload
	s_waitcnt vmcnt(0)
	ds_write2_b64 v125, v[95:96], v[97:98] offset0:16 offset1:17
	buffer_load_dword v95, off, s[20:23], 0 offset:560 ; 4-byte Folded Reload
	buffer_load_dword v96, off, s[20:23], 0 offset:564 ; 4-byte Folded Reload
	buffer_load_dword v97, off, s[20:23], 0 offset:568 ; 4-byte Folded Reload
	buffer_load_dword v98, off, s[20:23], 0 offset:572 ; 4-byte Folded Reload
	s_waitcnt vmcnt(0)
	ds_write2_b64 v125, v[95:96], v[97:98] offset0:18 offset1:19
	;; [unrolled: 6-line block ×26, first 2 shown]
	ds_write2_b64 v125, v[91:92], v[93:94] offset0:68 offset1:69
	buffer_load_dword v77, off, s[20:23], 0 offset:160 ; 4-byte Folded Reload
	buffer_load_dword v78, off, s[20:23], 0 offset:164 ; 4-byte Folded Reload
	buffer_load_dword v79, off, s[20:23], 0 offset:168 ; 4-byte Folded Reload
	buffer_load_dword v80, off, s[20:23], 0 offset:172 ; 4-byte Folded Reload
	s_waitcnt vmcnt(0)
	ds_write2_b64 v125, v[77:78], v[79:80] offset0:70 offset1:71
	buffer_load_dword v77, off, s[20:23], 0 offset:144 ; 4-byte Folded Reload
	buffer_load_dword v78, off, s[20:23], 0 offset:148 ; 4-byte Folded Reload
	buffer_load_dword v79, off, s[20:23], 0 offset:152 ; 4-byte Folded Reload
	buffer_load_dword v80, off, s[20:23], 0 offset:156 ; 4-byte Folded Reload
	s_waitcnt vmcnt(0)
	ds_write2_b64 v125, v[77:78], v[79:80] offset0:72 offset1:73
	buffer_load_dword v73, off, s[20:23], 0 offset:128 ; 4-byte Folded Reload
	buffer_load_dword v74, off, s[20:23], 0 offset:132 ; 4-byte Folded Reload
	buffer_load_dword v75, off, s[20:23], 0 offset:136 ; 4-byte Folded Reload
	buffer_load_dword v76, off, s[20:23], 0 offset:140 ; 4-byte Folded Reload
	s_waitcnt vmcnt(0)
	ds_write2_b64 v125, v[73:74], v[75:76] offset0:74 offset1:75
	buffer_load_dword v69, off, s[20:23], 0 offset:112 ; 4-byte Folded Reload
	buffer_load_dword v70, off, s[20:23], 0 offset:116 ; 4-byte Folded Reload
	buffer_load_dword v71, off, s[20:23], 0 offset:120 ; 4-byte Folded Reload
	buffer_load_dword v72, off, s[20:23], 0 offset:124 ; 4-byte Folded Reload
	s_waitcnt vmcnt(0)
	ds_write2_b64 v125, v[69:70], v[71:72] offset0:76 offset1:77
	buffer_load_dword v65, off, s[20:23], 0 offset:96 ; 4-byte Folded Reload
	buffer_load_dword v66, off, s[20:23], 0 offset:100 ; 4-byte Folded Reload
	buffer_load_dword v67, off, s[20:23], 0 offset:104 ; 4-byte Folded Reload
	buffer_load_dword v68, off, s[20:23], 0 offset:108 ; 4-byte Folded Reload
	s_waitcnt vmcnt(0)
	ds_write2_b64 v125, v[65:66], v[67:68] offset0:78 offset1:79
	buffer_load_dword v61, off, s[20:23], 0 offset:80 ; 4-byte Folded Reload
	buffer_load_dword v62, off, s[20:23], 0 offset:84 ; 4-byte Folded Reload
	buffer_load_dword v63, off, s[20:23], 0 offset:88 ; 4-byte Folded Reload
	buffer_load_dword v64, off, s[20:23], 0 offset:92 ; 4-byte Folded Reload
	s_waitcnt vmcnt(0)
	ds_write2_b64 v125, v[61:62], v[63:64] offset0:80 offset1:81
	buffer_load_dword v57, off, s[20:23], 0 offset:64 ; 4-byte Folded Reload
	buffer_load_dword v58, off, s[20:23], 0 offset:68 ; 4-byte Folded Reload
	buffer_load_dword v59, off, s[20:23], 0 offset:72 ; 4-byte Folded Reload
	buffer_load_dword v60, off, s[20:23], 0 offset:76 ; 4-byte Folded Reload
	s_waitcnt vmcnt(0)
	ds_write2_b64 v125, v[57:58], v[59:60] offset0:82 offset1:83
	buffer_load_dword v53, off, s[20:23], 0 offset:48 ; 4-byte Folded Reload
	buffer_load_dword v54, off, s[20:23], 0 offset:52 ; 4-byte Folded Reload
	buffer_load_dword v55, off, s[20:23], 0 offset:56 ; 4-byte Folded Reload
	buffer_load_dword v56, off, s[20:23], 0 offset:60 ; 4-byte Folded Reload
	s_waitcnt vmcnt(0)
	ds_write2_b64 v125, v[53:54], v[55:56] offset0:84 offset1:85
	buffer_load_dword v49, off, s[20:23], 0 offset:32 ; 4-byte Folded Reload
	buffer_load_dword v50, off, s[20:23], 0 offset:36 ; 4-byte Folded Reload
	buffer_load_dword v51, off, s[20:23], 0 offset:40 ; 4-byte Folded Reload
	buffer_load_dword v52, off, s[20:23], 0 offset:44 ; 4-byte Folded Reload
	s_waitcnt vmcnt(0)
	ds_write2_b64 v125, v[49:50], v[51:52] offset0:86 offset1:87
	buffer_load_dword v45, off, s[20:23], 0 offset:16 ; 4-byte Folded Reload
	buffer_load_dword v46, off, s[20:23], 0 offset:20 ; 4-byte Folded Reload
	buffer_load_dword v47, off, s[20:23], 0 offset:24 ; 4-byte Folded Reload
	buffer_load_dword v48, off, s[20:23], 0 offset:28 ; 4-byte Folded Reload
	s_waitcnt vmcnt(0)
	ds_write2_b64 v125, v[45:46], v[47:48] offset0:88 offset1:89
	buffer_load_dword v41, off, s[20:23], 0 ; 4-byte Folded Reload
	buffer_load_dword v42, off, s[20:23], 0 offset:4 ; 4-byte Folded Reload
	buffer_load_dword v43, off, s[20:23], 0 offset:8 ; 4-byte Folded Reload
	;; [unrolled: 1-line block ×3, first 2 shown]
	s_waitcnt vmcnt(0)
	ds_write2_b64 v125, v[41:42], v[43:44] offset0:90 offset1:91
	ds_write2_b64 v125, v[37:38], v[39:40] offset0:92 offset1:93
	;; [unrolled: 1-line block ×12, first 2 shown]
	ds_read2_b64 v[97:100], v127 offset1:1
	s_waitcnt lgkmcnt(0)
	v_cmp_neq_f64_e32 vcc, 0, v[97:98]
	v_cmp_neq_f64_e64 s[2:3], 0, v[99:100]
	s_or_b64 s[2:3], vcc, s[2:3]
	s_and_b64 exec, exec, s[2:3]
	s_cbranch_execz .LBB113_71
; %bb.66:
	v_cmp_ngt_f64_e64 s[2:3], |v[97:98]|, |v[99:100]|
                                        ; implicit-def: $vgpr101_vgpr102
	s_and_saveexec_b64 s[6:7], s[2:3]
	s_xor_b64 s[2:3], exec, s[6:7]
                                        ; implicit-def: $vgpr103_vgpr104
	s_cbranch_execz .LBB113_68
; %bb.67:
	v_div_scale_f64 v[101:102], s[6:7], v[99:100], v[99:100], v[97:98]
	v_rcp_f64_e32 v[103:104], v[101:102]
	v_fma_f64 v[105:106], -v[101:102], v[103:104], 1.0
	v_fma_f64 v[103:104], v[103:104], v[105:106], v[103:104]
	v_div_scale_f64 v[105:106], vcc, v[97:98], v[99:100], v[97:98]
	v_fma_f64 v[107:108], -v[101:102], v[103:104], 1.0
	v_fma_f64 v[103:104], v[103:104], v[107:108], v[103:104]
	v_mul_f64 v[107:108], v[105:106], v[103:104]
	v_fma_f64 v[101:102], -v[101:102], v[107:108], v[105:106]
	v_div_fmas_f64 v[101:102], v[101:102], v[103:104], v[107:108]
	v_div_fixup_f64 v[101:102], v[101:102], v[99:100], v[97:98]
	v_fma_f64 v[97:98], v[97:98], v[101:102], v[99:100]
	v_div_scale_f64 v[99:100], s[6:7], v[97:98], v[97:98], 1.0
	v_div_scale_f64 v[107:108], vcc, 1.0, v[97:98], 1.0
	v_rcp_f64_e32 v[103:104], v[99:100]
	v_fma_f64 v[105:106], -v[99:100], v[103:104], 1.0
	v_fma_f64 v[103:104], v[103:104], v[105:106], v[103:104]
	v_fma_f64 v[105:106], -v[99:100], v[103:104], 1.0
	v_fma_f64 v[103:104], v[103:104], v[105:106], v[103:104]
	v_mul_f64 v[105:106], v[107:108], v[103:104]
	v_fma_f64 v[99:100], -v[99:100], v[105:106], v[107:108]
	v_div_fmas_f64 v[99:100], v[99:100], v[103:104], v[105:106]
	v_div_fixup_f64 v[103:104], v[99:100], v[97:98], 1.0
                                        ; implicit-def: $vgpr97_vgpr98
	v_mul_f64 v[101:102], v[101:102], v[103:104]
	v_xor_b32_e32 v104, 0x80000000, v104
.LBB113_68:
	s_andn2_saveexec_b64 s[2:3], s[2:3]
	s_cbranch_execz .LBB113_70
; %bb.69:
	v_div_scale_f64 v[101:102], s[6:7], v[97:98], v[97:98], v[99:100]
	v_rcp_f64_e32 v[103:104], v[101:102]
	v_fma_f64 v[105:106], -v[101:102], v[103:104], 1.0
	v_fma_f64 v[103:104], v[103:104], v[105:106], v[103:104]
	v_div_scale_f64 v[105:106], vcc, v[99:100], v[97:98], v[99:100]
	v_fma_f64 v[107:108], -v[101:102], v[103:104], 1.0
	v_fma_f64 v[103:104], v[103:104], v[107:108], v[103:104]
	v_mul_f64 v[107:108], v[105:106], v[103:104]
	v_fma_f64 v[101:102], -v[101:102], v[107:108], v[105:106]
	v_div_fmas_f64 v[101:102], v[101:102], v[103:104], v[107:108]
	v_div_fixup_f64 v[103:104], v[101:102], v[97:98], v[99:100]
	v_fma_f64 v[97:98], v[99:100], v[103:104], v[97:98]
	v_div_scale_f64 v[99:100], s[6:7], v[97:98], v[97:98], 1.0
	v_div_scale_f64 v[107:108], vcc, 1.0, v[97:98], 1.0
	v_rcp_f64_e32 v[101:102], v[99:100]
	v_fma_f64 v[105:106], -v[99:100], v[101:102], 1.0
	v_fma_f64 v[101:102], v[101:102], v[105:106], v[101:102]
	v_fma_f64 v[105:106], -v[99:100], v[101:102], 1.0
	v_fma_f64 v[101:102], v[101:102], v[105:106], v[101:102]
	v_mul_f64 v[105:106], v[107:108], v[101:102]
	v_fma_f64 v[99:100], -v[99:100], v[105:106], v[107:108]
	v_div_fmas_f64 v[99:100], v[99:100], v[101:102], v[105:106]
	v_div_fixup_f64 v[101:102], v[99:100], v[97:98], 1.0
	v_mul_f64 v[103:104], v[103:104], -v[101:102]
.LBB113_70:
	s_or_b64 exec, exec, s[2:3]
	ds_write2_b64 v127, v[101:102], v[103:104] offset1:1
.LBB113_71:
	s_or_b64 exec, exec, s[4:5]
	s_waitcnt lgkmcnt(0)
	s_barrier
	ds_read2_b64 v[87:90], v127 offset1:1
	v_cmp_lt_u32_e32 vcc, 7, v0
	s_waitcnt lgkmcnt(0)
	buffer_store_dword v87, off, s[20:23], 0 offset:1280 ; 4-byte Folded Spill
	s_nop 0
	buffer_store_dword v88, off, s[20:23], 0 offset:1284 ; 4-byte Folded Spill
	buffer_store_dword v89, off, s[20:23], 0 offset:1288 ; 4-byte Folded Spill
	;; [unrolled: 1-line block ×3, first 2 shown]
	s_and_saveexec_b64 s[2:3], vcc
	s_cbranch_execz .LBB113_73
; %bb.72:
	buffer_load_dword v107, off, s[20:23], 0 offset:592 ; 4-byte Folded Reload
	buffer_load_dword v108, off, s[20:23], 0 offset:596 ; 4-byte Folded Reload
	;; [unrolled: 1-line block ×8, first 2 shown]
	s_waitcnt vmcnt(2)
	v_mul_f64 v[99:100], v[87:88], v[109:110]
	s_waitcnt vmcnt(0)
	v_mul_f64 v[97:98], v[89:90], v[109:110]
	v_fma_f64 v[109:110], v[89:90], v[107:108], v[99:100]
	ds_read2_b64 v[99:102], v125 offset0:16 offset1:17
	v_fma_f64 v[97:98], v[87:88], v[107:108], -v[97:98]
	buffer_load_dword v105, off, s[20:23], 0 offset:576 ; 4-byte Folded Reload
	buffer_load_dword v106, off, s[20:23], 0 offset:580 ; 4-byte Folded Reload
	buffer_load_dword v107, off, s[20:23], 0 offset:584 ; 4-byte Folded Reload
	buffer_load_dword v108, off, s[20:23], 0 offset:588 ; 4-byte Folded Reload
	s_waitcnt lgkmcnt(0)
	v_mul_f64 v[103:104], v[101:102], v[109:110]
	v_fma_f64 v[103:104], v[99:100], v[97:98], -v[103:104]
	v_mul_f64 v[99:100], v[99:100], v[109:110]
	v_fma_f64 v[99:100], v[101:102], v[97:98], v[99:100]
	s_waitcnt vmcnt(2)
	v_add_f64 v[105:106], v[105:106], -v[103:104]
	s_waitcnt vmcnt(0)
	v_add_f64 v[107:108], v[107:108], -v[99:100]
	buffer_store_dword v105, off, s[20:23], 0 offset:576 ; 4-byte Folded Spill
	s_nop 0
	buffer_store_dword v106, off, s[20:23], 0 offset:580 ; 4-byte Folded Spill
	buffer_store_dword v107, off, s[20:23], 0 offset:584 ; 4-byte Folded Spill
	buffer_store_dword v108, off, s[20:23], 0 offset:588 ; 4-byte Folded Spill
	ds_read2_b64 v[99:102], v125 offset0:18 offset1:19
	buffer_load_dword v105, off, s[20:23], 0 offset:560 ; 4-byte Folded Reload
	buffer_load_dword v106, off, s[20:23], 0 offset:564 ; 4-byte Folded Reload
	buffer_load_dword v107, off, s[20:23], 0 offset:568 ; 4-byte Folded Reload
	buffer_load_dword v108, off, s[20:23], 0 offset:572 ; 4-byte Folded Reload
	s_waitcnt lgkmcnt(0)
	v_mul_f64 v[103:104], v[101:102], v[109:110]
	v_fma_f64 v[103:104], v[99:100], v[97:98], -v[103:104]
	v_mul_f64 v[99:100], v[99:100], v[109:110]
	v_fma_f64 v[99:100], v[101:102], v[97:98], v[99:100]
	s_waitcnt vmcnt(2)
	v_add_f64 v[105:106], v[105:106], -v[103:104]
	s_waitcnt vmcnt(0)
	v_add_f64 v[107:108], v[107:108], -v[99:100]
	buffer_store_dword v105, off, s[20:23], 0 offset:560 ; 4-byte Folded Spill
	s_nop 0
	buffer_store_dword v106, off, s[20:23], 0 offset:564 ; 4-byte Folded Spill
	buffer_store_dword v107, off, s[20:23], 0 offset:568 ; 4-byte Folded Spill
	buffer_store_dword v108, off, s[20:23], 0 offset:572 ; 4-byte Folded Spill
	ds_read2_b64 v[99:102], v125 offset0:20 offset1:21
	;; [unrolled: 19-line block ×26, first 2 shown]
	v_mov_b32_e32 v108, v98
	v_mov_b32_e32 v107, v97
	s_waitcnt lgkmcnt(0)
	v_mul_f64 v[103:104], v[101:102], v[109:110]
	v_fma_f64 v[103:104], v[99:100], v[97:98], -v[103:104]
	v_mul_f64 v[99:100], v[99:100], v[109:110]
	v_add_f64 v[91:92], v[91:92], -v[103:104]
	v_fma_f64 v[99:100], v[101:102], v[97:98], v[99:100]
	v_add_f64 v[93:94], v[93:94], -v[99:100]
	ds_read2_b64 v[99:102], v125 offset0:70 offset1:71
	buffer_load_dword v77, off, s[20:23], 0 offset:160 ; 4-byte Folded Reload
	buffer_load_dword v78, off, s[20:23], 0 offset:164 ; 4-byte Folded Reload
	buffer_load_dword v79, off, s[20:23], 0 offset:168 ; 4-byte Folded Reload
	buffer_load_dword v80, off, s[20:23], 0 offset:172 ; 4-byte Folded Reload
	s_waitcnt lgkmcnt(0)
	v_mul_f64 v[103:104], v[101:102], v[109:110]
	v_fma_f64 v[103:104], v[99:100], v[97:98], -v[103:104]
	v_mul_f64 v[99:100], v[99:100], v[109:110]
	v_fma_f64 v[99:100], v[101:102], v[97:98], v[99:100]
	s_waitcnt vmcnt(2)
	v_add_f64 v[77:78], v[77:78], -v[103:104]
	s_waitcnt vmcnt(0)
	v_add_f64 v[79:80], v[79:80], -v[99:100]
	buffer_store_dword v77, off, s[20:23], 0 offset:160 ; 4-byte Folded Spill
	s_nop 0
	buffer_store_dword v78, off, s[20:23], 0 offset:164 ; 4-byte Folded Spill
	buffer_store_dword v79, off, s[20:23], 0 offset:168 ; 4-byte Folded Spill
	buffer_store_dword v80, off, s[20:23], 0 offset:172 ; 4-byte Folded Spill
	ds_read2_b64 v[99:102], v125 offset0:72 offset1:73
	buffer_load_dword v77, off, s[20:23], 0 offset:144 ; 4-byte Folded Reload
	buffer_load_dword v78, off, s[20:23], 0 offset:148 ; 4-byte Folded Reload
	buffer_load_dword v79, off, s[20:23], 0 offset:152 ; 4-byte Folded Reload
	buffer_load_dword v80, off, s[20:23], 0 offset:156 ; 4-byte Folded Reload
	s_waitcnt lgkmcnt(0)
	v_mul_f64 v[103:104], v[101:102], v[109:110]
	v_fma_f64 v[103:104], v[99:100], v[97:98], -v[103:104]
	v_mul_f64 v[99:100], v[99:100], v[109:110]
	v_fma_f64 v[99:100], v[101:102], v[97:98], v[99:100]
	s_waitcnt vmcnt(2)
	v_add_f64 v[77:78], v[77:78], -v[103:104]
	s_waitcnt vmcnt(0)
	v_add_f64 v[79:80], v[79:80], -v[99:100]
	buffer_store_dword v77, off, s[20:23], 0 offset:144 ; 4-byte Folded Spill
	s_nop 0
	buffer_store_dword v78, off, s[20:23], 0 offset:148 ; 4-byte Folded Spill
	buffer_store_dword v79, off, s[20:23], 0 offset:152 ; 4-byte Folded Spill
	buffer_store_dword v80, off, s[20:23], 0 offset:156 ; 4-byte Folded Spill
	;; [unrolled: 19-line block ×10, first 2 shown]
	ds_read2_b64 v[99:102], v125 offset0:90 offset1:91
	buffer_load_dword v41, off, s[20:23], 0 ; 4-byte Folded Reload
	buffer_load_dword v42, off, s[20:23], 0 offset:4 ; 4-byte Folded Reload
	buffer_load_dword v43, off, s[20:23], 0 offset:8 ; 4-byte Folded Reload
	;; [unrolled: 1-line block ×3, first 2 shown]
	s_waitcnt lgkmcnt(0)
	v_mul_f64 v[103:104], v[101:102], v[109:110]
	v_fma_f64 v[103:104], v[99:100], v[97:98], -v[103:104]
	v_mul_f64 v[99:100], v[99:100], v[109:110]
	v_fma_f64 v[99:100], v[101:102], v[97:98], v[99:100]
	s_waitcnt vmcnt(2)
	v_add_f64 v[41:42], v[41:42], -v[103:104]
	s_waitcnt vmcnt(0)
	v_add_f64 v[43:44], v[43:44], -v[99:100]
	buffer_store_dword v41, off, s[20:23], 0 ; 4-byte Folded Spill
	s_nop 0
	buffer_store_dword v42, off, s[20:23], 0 offset:4 ; 4-byte Folded Spill
	buffer_store_dword v43, off, s[20:23], 0 offset:8 ; 4-byte Folded Spill
	;; [unrolled: 1-line block ×3, first 2 shown]
	ds_read2_b64 v[99:102], v125 offset0:92 offset1:93
	s_waitcnt lgkmcnt(0)
	v_mul_f64 v[103:104], v[101:102], v[109:110]
	v_fma_f64 v[103:104], v[99:100], v[97:98], -v[103:104]
	v_mul_f64 v[99:100], v[99:100], v[109:110]
	v_add_f64 v[37:38], v[37:38], -v[103:104]
	v_fma_f64 v[99:100], v[101:102], v[97:98], v[99:100]
	v_add_f64 v[39:40], v[39:40], -v[99:100]
	ds_read2_b64 v[99:102], v125 offset0:94 offset1:95
	s_waitcnt lgkmcnt(0)
	v_mul_f64 v[103:104], v[101:102], v[109:110]
	v_fma_f64 v[103:104], v[99:100], v[97:98], -v[103:104]
	v_mul_f64 v[99:100], v[99:100], v[109:110]
	v_add_f64 v[33:34], v[33:34], -v[103:104]
	v_fma_f64 v[99:100], v[101:102], v[97:98], v[99:100]
	v_add_f64 v[35:36], v[35:36], -v[99:100]
	;; [unrolled: 8-line block ×9, first 2 shown]
	ds_read2_b64 v[99:102], v125 offset0:110 offset1:111
	s_waitcnt lgkmcnt(0)
	v_mul_f64 v[103:104], v[101:102], v[109:110]
	v_fma_f64 v[103:104], v[99:100], v[97:98], -v[103:104]
	v_mul_f64 v[99:100], v[99:100], v[109:110]
	v_add_f64 v[1:2], v[1:2], -v[103:104]
	v_fma_f64 v[99:100], v[101:102], v[97:98], v[99:100]
	ds_read2_b64 v[101:104], v125 offset0:112 offset1:113
	v_add_f64 v[3:4], v[3:4], -v[99:100]
	s_waitcnt lgkmcnt(0)
	v_mul_f64 v[99:100], v[103:104], v[109:110]
	v_fma_f64 v[99:100], v[101:102], v[97:98], -v[99:100]
	v_mul_f64 v[101:102], v[101:102], v[109:110]
	buffer_store_dword v107, off, s[20:23], 0 offset:592 ; 4-byte Folded Spill
	s_nop 0
	buffer_store_dword v108, off, s[20:23], 0 offset:596 ; 4-byte Folded Spill
	buffer_store_dword v109, off, s[20:23], 0 offset:600 ; 4-byte Folded Spill
	;; [unrolled: 1-line block ×3, first 2 shown]
	v_add_f64 v[121:122], v[121:122], -v[99:100]
	v_fma_f64 v[101:102], v[103:104], v[97:98], v[101:102]
	v_add_f64 v[123:124], v[123:124], -v[101:102]
.LBB113_73:
	s_or_b64 exec, exec, s[2:3]
	v_cmp_eq_u32_e32 vcc, 8, v0
	s_waitcnt vmcnt(0)
	s_barrier
	s_and_saveexec_b64 s[4:5], vcc
	s_cbranch_execz .LBB113_80
; %bb.74:
	buffer_load_dword v95, off, s[20:23], 0 offset:576 ; 4-byte Folded Reload
	buffer_load_dword v96, off, s[20:23], 0 offset:580 ; 4-byte Folded Reload
	buffer_load_dword v97, off, s[20:23], 0 offset:584 ; 4-byte Folded Reload
	buffer_load_dword v98, off, s[20:23], 0 offset:588 ; 4-byte Folded Reload
	s_waitcnt vmcnt(0)
	ds_write2_b64 v127, v[95:96], v[97:98] offset1:1
	buffer_load_dword v95, off, s[20:23], 0 offset:560 ; 4-byte Folded Reload
	buffer_load_dword v96, off, s[20:23], 0 offset:564 ; 4-byte Folded Reload
	buffer_load_dword v97, off, s[20:23], 0 offset:568 ; 4-byte Folded Reload
	buffer_load_dword v98, off, s[20:23], 0 offset:572 ; 4-byte Folded Reload
	s_waitcnt vmcnt(0)
	ds_write2_b64 v125, v[95:96], v[97:98] offset0:18 offset1:19
	buffer_load_dword v95, off, s[20:23], 0 offset:544 ; 4-byte Folded Reload
	buffer_load_dword v96, off, s[20:23], 0 offset:548 ; 4-byte Folded Reload
	buffer_load_dword v97, off, s[20:23], 0 offset:552 ; 4-byte Folded Reload
	buffer_load_dword v98, off, s[20:23], 0 offset:556 ; 4-byte Folded Reload
	s_waitcnt vmcnt(0)
	ds_write2_b64 v125, v[95:96], v[97:98] offset0:20 offset1:21
	;; [unrolled: 6-line block ×25, first 2 shown]
	ds_write2_b64 v125, v[91:92], v[93:94] offset0:68 offset1:69
	buffer_load_dword v77, off, s[20:23], 0 offset:160 ; 4-byte Folded Reload
	buffer_load_dword v78, off, s[20:23], 0 offset:164 ; 4-byte Folded Reload
	buffer_load_dword v79, off, s[20:23], 0 offset:168 ; 4-byte Folded Reload
	buffer_load_dword v80, off, s[20:23], 0 offset:172 ; 4-byte Folded Reload
	s_waitcnt vmcnt(0)
	ds_write2_b64 v125, v[77:78], v[79:80] offset0:70 offset1:71
	buffer_load_dword v77, off, s[20:23], 0 offset:144 ; 4-byte Folded Reload
	buffer_load_dword v78, off, s[20:23], 0 offset:148 ; 4-byte Folded Reload
	buffer_load_dword v79, off, s[20:23], 0 offset:152 ; 4-byte Folded Reload
	buffer_load_dword v80, off, s[20:23], 0 offset:156 ; 4-byte Folded Reload
	s_waitcnt vmcnt(0)
	;; [unrolled: 6-line block ×10, first 2 shown]
	ds_write2_b64 v125, v[45:46], v[47:48] offset0:88 offset1:89
	buffer_load_dword v41, off, s[20:23], 0 ; 4-byte Folded Reload
	buffer_load_dword v42, off, s[20:23], 0 offset:4 ; 4-byte Folded Reload
	buffer_load_dword v43, off, s[20:23], 0 offset:8 ; 4-byte Folded Reload
	;; [unrolled: 1-line block ×3, first 2 shown]
	s_waitcnt vmcnt(0)
	ds_write2_b64 v125, v[41:42], v[43:44] offset0:90 offset1:91
	ds_write2_b64 v125, v[37:38], v[39:40] offset0:92 offset1:93
	;; [unrolled: 1-line block ×12, first 2 shown]
	ds_read2_b64 v[97:100], v127 offset1:1
	s_waitcnt lgkmcnt(0)
	v_cmp_neq_f64_e32 vcc, 0, v[97:98]
	v_cmp_neq_f64_e64 s[2:3], 0, v[99:100]
	s_or_b64 s[2:3], vcc, s[2:3]
	s_and_b64 exec, exec, s[2:3]
	s_cbranch_execz .LBB113_80
; %bb.75:
	v_cmp_ngt_f64_e64 s[2:3], |v[97:98]|, |v[99:100]|
                                        ; implicit-def: $vgpr101_vgpr102
	s_and_saveexec_b64 s[6:7], s[2:3]
	s_xor_b64 s[2:3], exec, s[6:7]
                                        ; implicit-def: $vgpr103_vgpr104
	s_cbranch_execz .LBB113_77
; %bb.76:
	v_div_scale_f64 v[101:102], s[6:7], v[99:100], v[99:100], v[97:98]
	v_rcp_f64_e32 v[103:104], v[101:102]
	v_fma_f64 v[105:106], -v[101:102], v[103:104], 1.0
	v_fma_f64 v[103:104], v[103:104], v[105:106], v[103:104]
	v_div_scale_f64 v[105:106], vcc, v[97:98], v[99:100], v[97:98]
	v_fma_f64 v[107:108], -v[101:102], v[103:104], 1.0
	v_fma_f64 v[103:104], v[103:104], v[107:108], v[103:104]
	v_mul_f64 v[107:108], v[105:106], v[103:104]
	v_fma_f64 v[101:102], -v[101:102], v[107:108], v[105:106]
	v_div_fmas_f64 v[101:102], v[101:102], v[103:104], v[107:108]
	v_div_fixup_f64 v[101:102], v[101:102], v[99:100], v[97:98]
	v_fma_f64 v[97:98], v[97:98], v[101:102], v[99:100]
	v_div_scale_f64 v[99:100], s[6:7], v[97:98], v[97:98], 1.0
	v_div_scale_f64 v[107:108], vcc, 1.0, v[97:98], 1.0
	v_rcp_f64_e32 v[103:104], v[99:100]
	v_fma_f64 v[105:106], -v[99:100], v[103:104], 1.0
	v_fma_f64 v[103:104], v[103:104], v[105:106], v[103:104]
	v_fma_f64 v[105:106], -v[99:100], v[103:104], 1.0
	v_fma_f64 v[103:104], v[103:104], v[105:106], v[103:104]
	v_mul_f64 v[105:106], v[107:108], v[103:104]
	v_fma_f64 v[99:100], -v[99:100], v[105:106], v[107:108]
	v_div_fmas_f64 v[99:100], v[99:100], v[103:104], v[105:106]
	v_div_fixup_f64 v[103:104], v[99:100], v[97:98], 1.0
                                        ; implicit-def: $vgpr97_vgpr98
	v_mul_f64 v[101:102], v[101:102], v[103:104]
	v_xor_b32_e32 v104, 0x80000000, v104
.LBB113_77:
	s_andn2_saveexec_b64 s[2:3], s[2:3]
	s_cbranch_execz .LBB113_79
; %bb.78:
	v_div_scale_f64 v[101:102], s[6:7], v[97:98], v[97:98], v[99:100]
	v_rcp_f64_e32 v[103:104], v[101:102]
	v_fma_f64 v[105:106], -v[101:102], v[103:104], 1.0
	v_fma_f64 v[103:104], v[103:104], v[105:106], v[103:104]
	v_div_scale_f64 v[105:106], vcc, v[99:100], v[97:98], v[99:100]
	v_fma_f64 v[107:108], -v[101:102], v[103:104], 1.0
	v_fma_f64 v[103:104], v[103:104], v[107:108], v[103:104]
	v_mul_f64 v[107:108], v[105:106], v[103:104]
	v_fma_f64 v[101:102], -v[101:102], v[107:108], v[105:106]
	v_div_fmas_f64 v[101:102], v[101:102], v[103:104], v[107:108]
	v_div_fixup_f64 v[103:104], v[101:102], v[97:98], v[99:100]
	v_fma_f64 v[97:98], v[99:100], v[103:104], v[97:98]
	v_div_scale_f64 v[99:100], s[6:7], v[97:98], v[97:98], 1.0
	v_div_scale_f64 v[107:108], vcc, 1.0, v[97:98], 1.0
	v_rcp_f64_e32 v[101:102], v[99:100]
	v_fma_f64 v[105:106], -v[99:100], v[101:102], 1.0
	v_fma_f64 v[101:102], v[101:102], v[105:106], v[101:102]
	v_fma_f64 v[105:106], -v[99:100], v[101:102], 1.0
	v_fma_f64 v[101:102], v[101:102], v[105:106], v[101:102]
	v_mul_f64 v[105:106], v[107:108], v[101:102]
	v_fma_f64 v[99:100], -v[99:100], v[105:106], v[107:108]
	v_div_fmas_f64 v[99:100], v[99:100], v[101:102], v[105:106]
	v_div_fixup_f64 v[101:102], v[99:100], v[97:98], 1.0
	v_mul_f64 v[103:104], v[103:104], -v[101:102]
.LBB113_79:
	s_or_b64 exec, exec, s[2:3]
	ds_write2_b64 v127, v[101:102], v[103:104] offset1:1
.LBB113_80:
	s_or_b64 exec, exec, s[4:5]
	s_waitcnt lgkmcnt(0)
	s_barrier
	ds_read2_b64 v[87:90], v127 offset1:1
	v_cmp_lt_u32_e32 vcc, 8, v0
	s_waitcnt lgkmcnt(0)
	buffer_store_dword v87, off, s[20:23], 0 offset:1296 ; 4-byte Folded Spill
	s_nop 0
	buffer_store_dword v88, off, s[20:23], 0 offset:1300 ; 4-byte Folded Spill
	buffer_store_dword v89, off, s[20:23], 0 offset:1304 ; 4-byte Folded Spill
	buffer_store_dword v90, off, s[20:23], 0 offset:1308 ; 4-byte Folded Spill
	s_and_saveexec_b64 s[2:3], vcc
	s_cbranch_execz .LBB113_82
; %bb.81:
	buffer_load_dword v107, off, s[20:23], 0 offset:576 ; 4-byte Folded Reload
	buffer_load_dword v108, off, s[20:23], 0 offset:580 ; 4-byte Folded Reload
	;; [unrolled: 1-line block ×8, first 2 shown]
	s_waitcnt vmcnt(2)
	v_mul_f64 v[99:100], v[87:88], v[109:110]
	s_waitcnt vmcnt(0)
	v_mul_f64 v[97:98], v[89:90], v[109:110]
	v_fma_f64 v[109:110], v[89:90], v[107:108], v[99:100]
	ds_read2_b64 v[99:102], v125 offset0:18 offset1:19
	v_fma_f64 v[97:98], v[87:88], v[107:108], -v[97:98]
	buffer_load_dword v105, off, s[20:23], 0 offset:560 ; 4-byte Folded Reload
	buffer_load_dword v106, off, s[20:23], 0 offset:564 ; 4-byte Folded Reload
	buffer_load_dword v107, off, s[20:23], 0 offset:568 ; 4-byte Folded Reload
	buffer_load_dword v108, off, s[20:23], 0 offset:572 ; 4-byte Folded Reload
	s_waitcnt lgkmcnt(0)
	v_mul_f64 v[103:104], v[101:102], v[109:110]
	v_fma_f64 v[103:104], v[99:100], v[97:98], -v[103:104]
	v_mul_f64 v[99:100], v[99:100], v[109:110]
	v_fma_f64 v[99:100], v[101:102], v[97:98], v[99:100]
	s_waitcnt vmcnt(2)
	v_add_f64 v[105:106], v[105:106], -v[103:104]
	s_waitcnt vmcnt(0)
	v_add_f64 v[107:108], v[107:108], -v[99:100]
	buffer_store_dword v105, off, s[20:23], 0 offset:560 ; 4-byte Folded Spill
	s_nop 0
	buffer_store_dword v106, off, s[20:23], 0 offset:564 ; 4-byte Folded Spill
	buffer_store_dword v107, off, s[20:23], 0 offset:568 ; 4-byte Folded Spill
	buffer_store_dword v108, off, s[20:23], 0 offset:572 ; 4-byte Folded Spill
	ds_read2_b64 v[99:102], v125 offset0:20 offset1:21
	buffer_load_dword v105, off, s[20:23], 0 offset:544 ; 4-byte Folded Reload
	buffer_load_dword v106, off, s[20:23], 0 offset:548 ; 4-byte Folded Reload
	buffer_load_dword v107, off, s[20:23], 0 offset:552 ; 4-byte Folded Reload
	buffer_load_dword v108, off, s[20:23], 0 offset:556 ; 4-byte Folded Reload
	s_waitcnt lgkmcnt(0)
	v_mul_f64 v[103:104], v[101:102], v[109:110]
	v_fma_f64 v[103:104], v[99:100], v[97:98], -v[103:104]
	v_mul_f64 v[99:100], v[99:100], v[109:110]
	v_fma_f64 v[99:100], v[101:102], v[97:98], v[99:100]
	s_waitcnt vmcnt(2)
	v_add_f64 v[105:106], v[105:106], -v[103:104]
	s_waitcnt vmcnt(0)
	v_add_f64 v[107:108], v[107:108], -v[99:100]
	buffer_store_dword v105, off, s[20:23], 0 offset:544 ; 4-byte Folded Spill
	s_nop 0
	buffer_store_dword v106, off, s[20:23], 0 offset:548 ; 4-byte Folded Spill
	buffer_store_dword v107, off, s[20:23], 0 offset:552 ; 4-byte Folded Spill
	buffer_store_dword v108, off, s[20:23], 0 offset:556 ; 4-byte Folded Spill
	ds_read2_b64 v[99:102], v125 offset0:22 offset1:23
	;; [unrolled: 19-line block ×25, first 2 shown]
	v_mov_b32_e32 v108, v98
	v_mov_b32_e32 v107, v97
	s_waitcnt lgkmcnt(0)
	v_mul_f64 v[103:104], v[101:102], v[109:110]
	v_fma_f64 v[103:104], v[99:100], v[97:98], -v[103:104]
	v_mul_f64 v[99:100], v[99:100], v[109:110]
	v_add_f64 v[91:92], v[91:92], -v[103:104]
	v_fma_f64 v[99:100], v[101:102], v[97:98], v[99:100]
	v_add_f64 v[93:94], v[93:94], -v[99:100]
	ds_read2_b64 v[99:102], v125 offset0:70 offset1:71
	buffer_load_dword v77, off, s[20:23], 0 offset:160 ; 4-byte Folded Reload
	buffer_load_dword v78, off, s[20:23], 0 offset:164 ; 4-byte Folded Reload
	buffer_load_dword v79, off, s[20:23], 0 offset:168 ; 4-byte Folded Reload
	buffer_load_dword v80, off, s[20:23], 0 offset:172 ; 4-byte Folded Reload
	s_waitcnt lgkmcnt(0)
	v_mul_f64 v[103:104], v[101:102], v[109:110]
	v_fma_f64 v[103:104], v[99:100], v[97:98], -v[103:104]
	v_mul_f64 v[99:100], v[99:100], v[109:110]
	v_fma_f64 v[99:100], v[101:102], v[97:98], v[99:100]
	s_waitcnt vmcnt(2)
	v_add_f64 v[77:78], v[77:78], -v[103:104]
	s_waitcnt vmcnt(0)
	v_add_f64 v[79:80], v[79:80], -v[99:100]
	buffer_store_dword v77, off, s[20:23], 0 offset:160 ; 4-byte Folded Spill
	s_nop 0
	buffer_store_dword v78, off, s[20:23], 0 offset:164 ; 4-byte Folded Spill
	buffer_store_dword v79, off, s[20:23], 0 offset:168 ; 4-byte Folded Spill
	buffer_store_dword v80, off, s[20:23], 0 offset:172 ; 4-byte Folded Spill
	ds_read2_b64 v[99:102], v125 offset0:72 offset1:73
	buffer_load_dword v77, off, s[20:23], 0 offset:144 ; 4-byte Folded Reload
	buffer_load_dword v78, off, s[20:23], 0 offset:148 ; 4-byte Folded Reload
	buffer_load_dword v79, off, s[20:23], 0 offset:152 ; 4-byte Folded Reload
	buffer_load_dword v80, off, s[20:23], 0 offset:156 ; 4-byte Folded Reload
	s_waitcnt lgkmcnt(0)
	v_mul_f64 v[103:104], v[101:102], v[109:110]
	v_fma_f64 v[103:104], v[99:100], v[97:98], -v[103:104]
	v_mul_f64 v[99:100], v[99:100], v[109:110]
	v_fma_f64 v[99:100], v[101:102], v[97:98], v[99:100]
	s_waitcnt vmcnt(2)
	v_add_f64 v[77:78], v[77:78], -v[103:104]
	s_waitcnt vmcnt(0)
	v_add_f64 v[79:80], v[79:80], -v[99:100]
	buffer_store_dword v77, off, s[20:23], 0 offset:144 ; 4-byte Folded Spill
	s_nop 0
	buffer_store_dword v78, off, s[20:23], 0 offset:148 ; 4-byte Folded Spill
	buffer_store_dword v79, off, s[20:23], 0 offset:152 ; 4-byte Folded Spill
	buffer_store_dword v80, off, s[20:23], 0 offset:156 ; 4-byte Folded Spill
	;; [unrolled: 19-line block ×10, first 2 shown]
	ds_read2_b64 v[99:102], v125 offset0:90 offset1:91
	buffer_load_dword v41, off, s[20:23], 0 ; 4-byte Folded Reload
	buffer_load_dword v42, off, s[20:23], 0 offset:4 ; 4-byte Folded Reload
	buffer_load_dword v43, off, s[20:23], 0 offset:8 ; 4-byte Folded Reload
	;; [unrolled: 1-line block ×3, first 2 shown]
	s_waitcnt lgkmcnt(0)
	v_mul_f64 v[103:104], v[101:102], v[109:110]
	v_fma_f64 v[103:104], v[99:100], v[97:98], -v[103:104]
	v_mul_f64 v[99:100], v[99:100], v[109:110]
	v_fma_f64 v[99:100], v[101:102], v[97:98], v[99:100]
	s_waitcnt vmcnt(2)
	v_add_f64 v[41:42], v[41:42], -v[103:104]
	s_waitcnt vmcnt(0)
	v_add_f64 v[43:44], v[43:44], -v[99:100]
	buffer_store_dword v41, off, s[20:23], 0 ; 4-byte Folded Spill
	s_nop 0
	buffer_store_dword v42, off, s[20:23], 0 offset:4 ; 4-byte Folded Spill
	buffer_store_dword v43, off, s[20:23], 0 offset:8 ; 4-byte Folded Spill
	;; [unrolled: 1-line block ×3, first 2 shown]
	ds_read2_b64 v[99:102], v125 offset0:92 offset1:93
	s_waitcnt lgkmcnt(0)
	v_mul_f64 v[103:104], v[101:102], v[109:110]
	v_fma_f64 v[103:104], v[99:100], v[97:98], -v[103:104]
	v_mul_f64 v[99:100], v[99:100], v[109:110]
	v_add_f64 v[37:38], v[37:38], -v[103:104]
	v_fma_f64 v[99:100], v[101:102], v[97:98], v[99:100]
	v_add_f64 v[39:40], v[39:40], -v[99:100]
	ds_read2_b64 v[99:102], v125 offset0:94 offset1:95
	s_waitcnt lgkmcnt(0)
	v_mul_f64 v[103:104], v[101:102], v[109:110]
	v_fma_f64 v[103:104], v[99:100], v[97:98], -v[103:104]
	v_mul_f64 v[99:100], v[99:100], v[109:110]
	v_add_f64 v[33:34], v[33:34], -v[103:104]
	v_fma_f64 v[99:100], v[101:102], v[97:98], v[99:100]
	v_add_f64 v[35:36], v[35:36], -v[99:100]
	;; [unrolled: 8-line block ×9, first 2 shown]
	ds_read2_b64 v[99:102], v125 offset0:110 offset1:111
	s_waitcnt lgkmcnt(0)
	v_mul_f64 v[103:104], v[101:102], v[109:110]
	v_fma_f64 v[103:104], v[99:100], v[97:98], -v[103:104]
	v_mul_f64 v[99:100], v[99:100], v[109:110]
	v_add_f64 v[1:2], v[1:2], -v[103:104]
	v_fma_f64 v[99:100], v[101:102], v[97:98], v[99:100]
	ds_read2_b64 v[101:104], v125 offset0:112 offset1:113
	v_add_f64 v[3:4], v[3:4], -v[99:100]
	s_waitcnt lgkmcnt(0)
	v_mul_f64 v[99:100], v[103:104], v[109:110]
	v_fma_f64 v[99:100], v[101:102], v[97:98], -v[99:100]
	v_mul_f64 v[101:102], v[101:102], v[109:110]
	buffer_store_dword v107, off, s[20:23], 0 offset:576 ; 4-byte Folded Spill
	s_nop 0
	buffer_store_dword v108, off, s[20:23], 0 offset:580 ; 4-byte Folded Spill
	buffer_store_dword v109, off, s[20:23], 0 offset:584 ; 4-byte Folded Spill
	;; [unrolled: 1-line block ×3, first 2 shown]
	v_add_f64 v[121:122], v[121:122], -v[99:100]
	v_fma_f64 v[101:102], v[103:104], v[97:98], v[101:102]
	v_add_f64 v[123:124], v[123:124], -v[101:102]
.LBB113_82:
	s_or_b64 exec, exec, s[2:3]
	v_cmp_eq_u32_e32 vcc, 9, v0
	s_waitcnt vmcnt(0)
	s_barrier
	s_and_saveexec_b64 s[4:5], vcc
	s_cbranch_execz .LBB113_89
; %bb.83:
	buffer_load_dword v95, off, s[20:23], 0 offset:560 ; 4-byte Folded Reload
	buffer_load_dword v96, off, s[20:23], 0 offset:564 ; 4-byte Folded Reload
	buffer_load_dword v97, off, s[20:23], 0 offset:568 ; 4-byte Folded Reload
	buffer_load_dword v98, off, s[20:23], 0 offset:572 ; 4-byte Folded Reload
	s_waitcnt vmcnt(0)
	ds_write2_b64 v127, v[95:96], v[97:98] offset1:1
	buffer_load_dword v95, off, s[20:23], 0 offset:544 ; 4-byte Folded Reload
	buffer_load_dword v96, off, s[20:23], 0 offset:548 ; 4-byte Folded Reload
	buffer_load_dword v97, off, s[20:23], 0 offset:552 ; 4-byte Folded Reload
	buffer_load_dword v98, off, s[20:23], 0 offset:556 ; 4-byte Folded Reload
	s_waitcnt vmcnt(0)
	ds_write2_b64 v125, v[95:96], v[97:98] offset0:20 offset1:21
	buffer_load_dword v95, off, s[20:23], 0 offset:528 ; 4-byte Folded Reload
	buffer_load_dword v96, off, s[20:23], 0 offset:532 ; 4-byte Folded Reload
	buffer_load_dword v97, off, s[20:23], 0 offset:536 ; 4-byte Folded Reload
	buffer_load_dword v98, off, s[20:23], 0 offset:540 ; 4-byte Folded Reload
	s_waitcnt vmcnt(0)
	ds_write2_b64 v125, v[95:96], v[97:98] offset0:22 offset1:23
	;; [unrolled: 6-line block ×24, first 2 shown]
	ds_write2_b64 v125, v[91:92], v[93:94] offset0:68 offset1:69
	buffer_load_dword v77, off, s[20:23], 0 offset:160 ; 4-byte Folded Reload
	buffer_load_dword v78, off, s[20:23], 0 offset:164 ; 4-byte Folded Reload
	buffer_load_dword v79, off, s[20:23], 0 offset:168 ; 4-byte Folded Reload
	buffer_load_dword v80, off, s[20:23], 0 offset:172 ; 4-byte Folded Reload
	s_waitcnt vmcnt(0)
	ds_write2_b64 v125, v[77:78], v[79:80] offset0:70 offset1:71
	buffer_load_dword v77, off, s[20:23], 0 offset:144 ; 4-byte Folded Reload
	buffer_load_dword v78, off, s[20:23], 0 offset:148 ; 4-byte Folded Reload
	buffer_load_dword v79, off, s[20:23], 0 offset:152 ; 4-byte Folded Reload
	buffer_load_dword v80, off, s[20:23], 0 offset:156 ; 4-byte Folded Reload
	s_waitcnt vmcnt(0)
	;; [unrolled: 6-line block ×10, first 2 shown]
	ds_write2_b64 v125, v[45:46], v[47:48] offset0:88 offset1:89
	buffer_load_dword v41, off, s[20:23], 0 ; 4-byte Folded Reload
	buffer_load_dword v42, off, s[20:23], 0 offset:4 ; 4-byte Folded Reload
	buffer_load_dword v43, off, s[20:23], 0 offset:8 ; 4-byte Folded Reload
	;; [unrolled: 1-line block ×3, first 2 shown]
	s_waitcnt vmcnt(0)
	ds_write2_b64 v125, v[41:42], v[43:44] offset0:90 offset1:91
	ds_write2_b64 v125, v[37:38], v[39:40] offset0:92 offset1:93
	;; [unrolled: 1-line block ×12, first 2 shown]
	ds_read2_b64 v[97:100], v127 offset1:1
	s_waitcnt lgkmcnt(0)
	v_cmp_neq_f64_e32 vcc, 0, v[97:98]
	v_cmp_neq_f64_e64 s[2:3], 0, v[99:100]
	s_or_b64 s[2:3], vcc, s[2:3]
	s_and_b64 exec, exec, s[2:3]
	s_cbranch_execz .LBB113_89
; %bb.84:
	v_cmp_ngt_f64_e64 s[2:3], |v[97:98]|, |v[99:100]|
                                        ; implicit-def: $vgpr101_vgpr102
	s_and_saveexec_b64 s[6:7], s[2:3]
	s_xor_b64 s[2:3], exec, s[6:7]
                                        ; implicit-def: $vgpr103_vgpr104
	s_cbranch_execz .LBB113_86
; %bb.85:
	v_div_scale_f64 v[101:102], s[6:7], v[99:100], v[99:100], v[97:98]
	v_rcp_f64_e32 v[103:104], v[101:102]
	v_fma_f64 v[105:106], -v[101:102], v[103:104], 1.0
	v_fma_f64 v[103:104], v[103:104], v[105:106], v[103:104]
	v_div_scale_f64 v[105:106], vcc, v[97:98], v[99:100], v[97:98]
	v_fma_f64 v[107:108], -v[101:102], v[103:104], 1.0
	v_fma_f64 v[103:104], v[103:104], v[107:108], v[103:104]
	v_mul_f64 v[107:108], v[105:106], v[103:104]
	v_fma_f64 v[101:102], -v[101:102], v[107:108], v[105:106]
	v_div_fmas_f64 v[101:102], v[101:102], v[103:104], v[107:108]
	v_div_fixup_f64 v[101:102], v[101:102], v[99:100], v[97:98]
	v_fma_f64 v[97:98], v[97:98], v[101:102], v[99:100]
	v_div_scale_f64 v[99:100], s[6:7], v[97:98], v[97:98], 1.0
	v_div_scale_f64 v[107:108], vcc, 1.0, v[97:98], 1.0
	v_rcp_f64_e32 v[103:104], v[99:100]
	v_fma_f64 v[105:106], -v[99:100], v[103:104], 1.0
	v_fma_f64 v[103:104], v[103:104], v[105:106], v[103:104]
	v_fma_f64 v[105:106], -v[99:100], v[103:104], 1.0
	v_fma_f64 v[103:104], v[103:104], v[105:106], v[103:104]
	v_mul_f64 v[105:106], v[107:108], v[103:104]
	v_fma_f64 v[99:100], -v[99:100], v[105:106], v[107:108]
	v_div_fmas_f64 v[99:100], v[99:100], v[103:104], v[105:106]
	v_div_fixup_f64 v[103:104], v[99:100], v[97:98], 1.0
                                        ; implicit-def: $vgpr97_vgpr98
	v_mul_f64 v[101:102], v[101:102], v[103:104]
	v_xor_b32_e32 v104, 0x80000000, v104
.LBB113_86:
	s_andn2_saveexec_b64 s[2:3], s[2:3]
	s_cbranch_execz .LBB113_88
; %bb.87:
	v_div_scale_f64 v[101:102], s[6:7], v[97:98], v[97:98], v[99:100]
	v_rcp_f64_e32 v[103:104], v[101:102]
	v_fma_f64 v[105:106], -v[101:102], v[103:104], 1.0
	v_fma_f64 v[103:104], v[103:104], v[105:106], v[103:104]
	v_div_scale_f64 v[105:106], vcc, v[99:100], v[97:98], v[99:100]
	v_fma_f64 v[107:108], -v[101:102], v[103:104], 1.0
	v_fma_f64 v[103:104], v[103:104], v[107:108], v[103:104]
	v_mul_f64 v[107:108], v[105:106], v[103:104]
	v_fma_f64 v[101:102], -v[101:102], v[107:108], v[105:106]
	v_div_fmas_f64 v[101:102], v[101:102], v[103:104], v[107:108]
	v_div_fixup_f64 v[103:104], v[101:102], v[97:98], v[99:100]
	v_fma_f64 v[97:98], v[99:100], v[103:104], v[97:98]
	v_div_scale_f64 v[99:100], s[6:7], v[97:98], v[97:98], 1.0
	v_div_scale_f64 v[107:108], vcc, 1.0, v[97:98], 1.0
	v_rcp_f64_e32 v[101:102], v[99:100]
	v_fma_f64 v[105:106], -v[99:100], v[101:102], 1.0
	v_fma_f64 v[101:102], v[101:102], v[105:106], v[101:102]
	v_fma_f64 v[105:106], -v[99:100], v[101:102], 1.0
	v_fma_f64 v[101:102], v[101:102], v[105:106], v[101:102]
	v_mul_f64 v[105:106], v[107:108], v[101:102]
	v_fma_f64 v[99:100], -v[99:100], v[105:106], v[107:108]
	v_div_fmas_f64 v[99:100], v[99:100], v[101:102], v[105:106]
	v_div_fixup_f64 v[101:102], v[99:100], v[97:98], 1.0
	v_mul_f64 v[103:104], v[103:104], -v[101:102]
.LBB113_88:
	s_or_b64 exec, exec, s[2:3]
	ds_write2_b64 v127, v[101:102], v[103:104] offset1:1
.LBB113_89:
	s_or_b64 exec, exec, s[4:5]
	s_waitcnt lgkmcnt(0)
	s_barrier
	ds_read2_b64 v[87:90], v127 offset1:1
	v_cmp_lt_u32_e32 vcc, 9, v0
	s_waitcnt lgkmcnt(0)
	buffer_store_dword v87, off, s[20:23], 0 offset:1312 ; 4-byte Folded Spill
	s_nop 0
	buffer_store_dword v88, off, s[20:23], 0 offset:1316 ; 4-byte Folded Spill
	buffer_store_dword v89, off, s[20:23], 0 offset:1320 ; 4-byte Folded Spill
	buffer_store_dword v90, off, s[20:23], 0 offset:1324 ; 4-byte Folded Spill
	s_and_saveexec_b64 s[2:3], vcc
	s_cbranch_execz .LBB113_91
; %bb.90:
	buffer_load_dword v107, off, s[20:23], 0 offset:560 ; 4-byte Folded Reload
	buffer_load_dword v108, off, s[20:23], 0 offset:564 ; 4-byte Folded Reload
	;; [unrolled: 1-line block ×8, first 2 shown]
	s_waitcnt vmcnt(2)
	v_mul_f64 v[99:100], v[87:88], v[109:110]
	s_waitcnt vmcnt(0)
	v_mul_f64 v[97:98], v[89:90], v[109:110]
	v_fma_f64 v[109:110], v[89:90], v[107:108], v[99:100]
	ds_read2_b64 v[99:102], v125 offset0:20 offset1:21
	v_fma_f64 v[97:98], v[87:88], v[107:108], -v[97:98]
	buffer_load_dword v105, off, s[20:23], 0 offset:544 ; 4-byte Folded Reload
	buffer_load_dword v106, off, s[20:23], 0 offset:548 ; 4-byte Folded Reload
	buffer_load_dword v107, off, s[20:23], 0 offset:552 ; 4-byte Folded Reload
	buffer_load_dword v108, off, s[20:23], 0 offset:556 ; 4-byte Folded Reload
	s_waitcnt lgkmcnt(0)
	v_mul_f64 v[103:104], v[101:102], v[109:110]
	v_fma_f64 v[103:104], v[99:100], v[97:98], -v[103:104]
	v_mul_f64 v[99:100], v[99:100], v[109:110]
	v_fma_f64 v[99:100], v[101:102], v[97:98], v[99:100]
	s_waitcnt vmcnt(2)
	v_add_f64 v[105:106], v[105:106], -v[103:104]
	s_waitcnt vmcnt(0)
	v_add_f64 v[107:108], v[107:108], -v[99:100]
	buffer_store_dword v105, off, s[20:23], 0 offset:544 ; 4-byte Folded Spill
	s_nop 0
	buffer_store_dword v106, off, s[20:23], 0 offset:548 ; 4-byte Folded Spill
	buffer_store_dword v107, off, s[20:23], 0 offset:552 ; 4-byte Folded Spill
	buffer_store_dword v108, off, s[20:23], 0 offset:556 ; 4-byte Folded Spill
	ds_read2_b64 v[99:102], v125 offset0:22 offset1:23
	buffer_load_dword v105, off, s[20:23], 0 offset:528 ; 4-byte Folded Reload
	buffer_load_dword v106, off, s[20:23], 0 offset:532 ; 4-byte Folded Reload
	buffer_load_dword v107, off, s[20:23], 0 offset:536 ; 4-byte Folded Reload
	buffer_load_dword v108, off, s[20:23], 0 offset:540 ; 4-byte Folded Reload
	s_waitcnt lgkmcnt(0)
	v_mul_f64 v[103:104], v[101:102], v[109:110]
	v_fma_f64 v[103:104], v[99:100], v[97:98], -v[103:104]
	v_mul_f64 v[99:100], v[99:100], v[109:110]
	v_fma_f64 v[99:100], v[101:102], v[97:98], v[99:100]
	s_waitcnt vmcnt(2)
	v_add_f64 v[105:106], v[105:106], -v[103:104]
	s_waitcnt vmcnt(0)
	v_add_f64 v[107:108], v[107:108], -v[99:100]
	buffer_store_dword v105, off, s[20:23], 0 offset:528 ; 4-byte Folded Spill
	s_nop 0
	buffer_store_dword v106, off, s[20:23], 0 offset:532 ; 4-byte Folded Spill
	buffer_store_dword v107, off, s[20:23], 0 offset:536 ; 4-byte Folded Spill
	buffer_store_dword v108, off, s[20:23], 0 offset:540 ; 4-byte Folded Spill
	ds_read2_b64 v[99:102], v125 offset0:24 offset1:25
	;; [unrolled: 19-line block ×24, first 2 shown]
	v_mov_b32_e32 v108, v98
	v_mov_b32_e32 v107, v97
	s_waitcnt lgkmcnt(0)
	v_mul_f64 v[103:104], v[101:102], v[109:110]
	v_fma_f64 v[103:104], v[99:100], v[97:98], -v[103:104]
	v_mul_f64 v[99:100], v[99:100], v[109:110]
	v_add_f64 v[91:92], v[91:92], -v[103:104]
	v_fma_f64 v[99:100], v[101:102], v[97:98], v[99:100]
	v_add_f64 v[93:94], v[93:94], -v[99:100]
	ds_read2_b64 v[99:102], v125 offset0:70 offset1:71
	buffer_load_dword v77, off, s[20:23], 0 offset:160 ; 4-byte Folded Reload
	buffer_load_dword v78, off, s[20:23], 0 offset:164 ; 4-byte Folded Reload
	buffer_load_dword v79, off, s[20:23], 0 offset:168 ; 4-byte Folded Reload
	buffer_load_dword v80, off, s[20:23], 0 offset:172 ; 4-byte Folded Reload
	s_waitcnt lgkmcnt(0)
	v_mul_f64 v[103:104], v[101:102], v[109:110]
	v_fma_f64 v[103:104], v[99:100], v[97:98], -v[103:104]
	v_mul_f64 v[99:100], v[99:100], v[109:110]
	v_fma_f64 v[99:100], v[101:102], v[97:98], v[99:100]
	s_waitcnt vmcnt(2)
	v_add_f64 v[77:78], v[77:78], -v[103:104]
	s_waitcnt vmcnt(0)
	v_add_f64 v[79:80], v[79:80], -v[99:100]
	buffer_store_dword v77, off, s[20:23], 0 offset:160 ; 4-byte Folded Spill
	s_nop 0
	buffer_store_dword v78, off, s[20:23], 0 offset:164 ; 4-byte Folded Spill
	buffer_store_dword v79, off, s[20:23], 0 offset:168 ; 4-byte Folded Spill
	buffer_store_dword v80, off, s[20:23], 0 offset:172 ; 4-byte Folded Spill
	ds_read2_b64 v[99:102], v125 offset0:72 offset1:73
	buffer_load_dword v77, off, s[20:23], 0 offset:144 ; 4-byte Folded Reload
	buffer_load_dword v78, off, s[20:23], 0 offset:148 ; 4-byte Folded Reload
	buffer_load_dword v79, off, s[20:23], 0 offset:152 ; 4-byte Folded Reload
	buffer_load_dword v80, off, s[20:23], 0 offset:156 ; 4-byte Folded Reload
	s_waitcnt lgkmcnt(0)
	v_mul_f64 v[103:104], v[101:102], v[109:110]
	v_fma_f64 v[103:104], v[99:100], v[97:98], -v[103:104]
	v_mul_f64 v[99:100], v[99:100], v[109:110]
	v_fma_f64 v[99:100], v[101:102], v[97:98], v[99:100]
	s_waitcnt vmcnt(2)
	v_add_f64 v[77:78], v[77:78], -v[103:104]
	s_waitcnt vmcnt(0)
	v_add_f64 v[79:80], v[79:80], -v[99:100]
	buffer_store_dword v77, off, s[20:23], 0 offset:144 ; 4-byte Folded Spill
	s_nop 0
	buffer_store_dword v78, off, s[20:23], 0 offset:148 ; 4-byte Folded Spill
	buffer_store_dword v79, off, s[20:23], 0 offset:152 ; 4-byte Folded Spill
	buffer_store_dword v80, off, s[20:23], 0 offset:156 ; 4-byte Folded Spill
	;; [unrolled: 19-line block ×10, first 2 shown]
	ds_read2_b64 v[99:102], v125 offset0:90 offset1:91
	buffer_load_dword v41, off, s[20:23], 0 ; 4-byte Folded Reload
	buffer_load_dword v42, off, s[20:23], 0 offset:4 ; 4-byte Folded Reload
	buffer_load_dword v43, off, s[20:23], 0 offset:8 ; 4-byte Folded Reload
	;; [unrolled: 1-line block ×3, first 2 shown]
	s_waitcnt lgkmcnt(0)
	v_mul_f64 v[103:104], v[101:102], v[109:110]
	v_fma_f64 v[103:104], v[99:100], v[97:98], -v[103:104]
	v_mul_f64 v[99:100], v[99:100], v[109:110]
	v_fma_f64 v[99:100], v[101:102], v[97:98], v[99:100]
	s_waitcnt vmcnt(2)
	v_add_f64 v[41:42], v[41:42], -v[103:104]
	s_waitcnt vmcnt(0)
	v_add_f64 v[43:44], v[43:44], -v[99:100]
	buffer_store_dword v41, off, s[20:23], 0 ; 4-byte Folded Spill
	s_nop 0
	buffer_store_dword v42, off, s[20:23], 0 offset:4 ; 4-byte Folded Spill
	buffer_store_dword v43, off, s[20:23], 0 offset:8 ; 4-byte Folded Spill
	;; [unrolled: 1-line block ×3, first 2 shown]
	ds_read2_b64 v[99:102], v125 offset0:92 offset1:93
	s_waitcnt lgkmcnt(0)
	v_mul_f64 v[103:104], v[101:102], v[109:110]
	v_fma_f64 v[103:104], v[99:100], v[97:98], -v[103:104]
	v_mul_f64 v[99:100], v[99:100], v[109:110]
	v_add_f64 v[37:38], v[37:38], -v[103:104]
	v_fma_f64 v[99:100], v[101:102], v[97:98], v[99:100]
	v_add_f64 v[39:40], v[39:40], -v[99:100]
	ds_read2_b64 v[99:102], v125 offset0:94 offset1:95
	s_waitcnt lgkmcnt(0)
	v_mul_f64 v[103:104], v[101:102], v[109:110]
	v_fma_f64 v[103:104], v[99:100], v[97:98], -v[103:104]
	v_mul_f64 v[99:100], v[99:100], v[109:110]
	v_add_f64 v[33:34], v[33:34], -v[103:104]
	v_fma_f64 v[99:100], v[101:102], v[97:98], v[99:100]
	v_add_f64 v[35:36], v[35:36], -v[99:100]
	;; [unrolled: 8-line block ×9, first 2 shown]
	ds_read2_b64 v[99:102], v125 offset0:110 offset1:111
	s_waitcnt lgkmcnt(0)
	v_mul_f64 v[103:104], v[101:102], v[109:110]
	v_fma_f64 v[103:104], v[99:100], v[97:98], -v[103:104]
	v_mul_f64 v[99:100], v[99:100], v[109:110]
	v_add_f64 v[1:2], v[1:2], -v[103:104]
	v_fma_f64 v[99:100], v[101:102], v[97:98], v[99:100]
	ds_read2_b64 v[101:104], v125 offset0:112 offset1:113
	v_add_f64 v[3:4], v[3:4], -v[99:100]
	s_waitcnt lgkmcnt(0)
	v_mul_f64 v[99:100], v[103:104], v[109:110]
	v_fma_f64 v[99:100], v[101:102], v[97:98], -v[99:100]
	v_mul_f64 v[101:102], v[101:102], v[109:110]
	buffer_store_dword v107, off, s[20:23], 0 offset:560 ; 4-byte Folded Spill
	s_nop 0
	buffer_store_dword v108, off, s[20:23], 0 offset:564 ; 4-byte Folded Spill
	buffer_store_dword v109, off, s[20:23], 0 offset:568 ; 4-byte Folded Spill
	;; [unrolled: 1-line block ×3, first 2 shown]
	v_add_f64 v[121:122], v[121:122], -v[99:100]
	v_fma_f64 v[101:102], v[103:104], v[97:98], v[101:102]
	v_add_f64 v[123:124], v[123:124], -v[101:102]
.LBB113_91:
	s_or_b64 exec, exec, s[2:3]
	v_cmp_eq_u32_e32 vcc, 10, v0
	s_waitcnt vmcnt(0)
	s_barrier
	s_and_saveexec_b64 s[4:5], vcc
	s_cbranch_execz .LBB113_98
; %bb.92:
	buffer_load_dword v95, off, s[20:23], 0 offset:544 ; 4-byte Folded Reload
	buffer_load_dword v96, off, s[20:23], 0 offset:548 ; 4-byte Folded Reload
	;; [unrolled: 1-line block ×4, first 2 shown]
	s_waitcnt vmcnt(0)
	ds_write2_b64 v127, v[95:96], v[97:98] offset1:1
	buffer_load_dword v95, off, s[20:23], 0 offset:528 ; 4-byte Folded Reload
	buffer_load_dword v96, off, s[20:23], 0 offset:532 ; 4-byte Folded Reload
	buffer_load_dword v97, off, s[20:23], 0 offset:536 ; 4-byte Folded Reload
	buffer_load_dword v98, off, s[20:23], 0 offset:540 ; 4-byte Folded Reload
	s_waitcnt vmcnt(0)
	ds_write2_b64 v125, v[95:96], v[97:98] offset0:22 offset1:23
	buffer_load_dword v95, off, s[20:23], 0 offset:512 ; 4-byte Folded Reload
	buffer_load_dword v96, off, s[20:23], 0 offset:516 ; 4-byte Folded Reload
	buffer_load_dword v97, off, s[20:23], 0 offset:520 ; 4-byte Folded Reload
	buffer_load_dword v98, off, s[20:23], 0 offset:524 ; 4-byte Folded Reload
	s_waitcnt vmcnt(0)
	ds_write2_b64 v125, v[95:96], v[97:98] offset0:24 offset1:25
	;; [unrolled: 6-line block ×23, first 2 shown]
	ds_write2_b64 v125, v[91:92], v[93:94] offset0:68 offset1:69
	buffer_load_dword v77, off, s[20:23], 0 offset:160 ; 4-byte Folded Reload
	buffer_load_dword v78, off, s[20:23], 0 offset:164 ; 4-byte Folded Reload
	buffer_load_dword v79, off, s[20:23], 0 offset:168 ; 4-byte Folded Reload
	buffer_load_dword v80, off, s[20:23], 0 offset:172 ; 4-byte Folded Reload
	s_waitcnt vmcnt(0)
	ds_write2_b64 v125, v[77:78], v[79:80] offset0:70 offset1:71
	buffer_load_dword v77, off, s[20:23], 0 offset:144 ; 4-byte Folded Reload
	buffer_load_dword v78, off, s[20:23], 0 offset:148 ; 4-byte Folded Reload
	buffer_load_dword v79, off, s[20:23], 0 offset:152 ; 4-byte Folded Reload
	buffer_load_dword v80, off, s[20:23], 0 offset:156 ; 4-byte Folded Reload
	s_waitcnt vmcnt(0)
	;; [unrolled: 6-line block ×10, first 2 shown]
	ds_write2_b64 v125, v[45:46], v[47:48] offset0:88 offset1:89
	buffer_load_dword v41, off, s[20:23], 0 ; 4-byte Folded Reload
	buffer_load_dword v42, off, s[20:23], 0 offset:4 ; 4-byte Folded Reload
	buffer_load_dword v43, off, s[20:23], 0 offset:8 ; 4-byte Folded Reload
	buffer_load_dword v44, off, s[20:23], 0 offset:12 ; 4-byte Folded Reload
	s_waitcnt vmcnt(0)
	ds_write2_b64 v125, v[41:42], v[43:44] offset0:90 offset1:91
	ds_write2_b64 v125, v[37:38], v[39:40] offset0:92 offset1:93
	;; [unrolled: 1-line block ×12, first 2 shown]
	ds_read2_b64 v[97:100], v127 offset1:1
	s_waitcnt lgkmcnt(0)
	v_cmp_neq_f64_e32 vcc, 0, v[97:98]
	v_cmp_neq_f64_e64 s[2:3], 0, v[99:100]
	s_or_b64 s[2:3], vcc, s[2:3]
	s_and_b64 exec, exec, s[2:3]
	s_cbranch_execz .LBB113_98
; %bb.93:
	v_cmp_ngt_f64_e64 s[2:3], |v[97:98]|, |v[99:100]|
                                        ; implicit-def: $vgpr101_vgpr102
	s_and_saveexec_b64 s[6:7], s[2:3]
	s_xor_b64 s[2:3], exec, s[6:7]
                                        ; implicit-def: $vgpr103_vgpr104
	s_cbranch_execz .LBB113_95
; %bb.94:
	v_div_scale_f64 v[101:102], s[6:7], v[99:100], v[99:100], v[97:98]
	v_rcp_f64_e32 v[103:104], v[101:102]
	v_fma_f64 v[105:106], -v[101:102], v[103:104], 1.0
	v_fma_f64 v[103:104], v[103:104], v[105:106], v[103:104]
	v_div_scale_f64 v[105:106], vcc, v[97:98], v[99:100], v[97:98]
	v_fma_f64 v[107:108], -v[101:102], v[103:104], 1.0
	v_fma_f64 v[103:104], v[103:104], v[107:108], v[103:104]
	v_mul_f64 v[107:108], v[105:106], v[103:104]
	v_fma_f64 v[101:102], -v[101:102], v[107:108], v[105:106]
	v_div_fmas_f64 v[101:102], v[101:102], v[103:104], v[107:108]
	v_div_fixup_f64 v[101:102], v[101:102], v[99:100], v[97:98]
	v_fma_f64 v[97:98], v[97:98], v[101:102], v[99:100]
	v_div_scale_f64 v[99:100], s[6:7], v[97:98], v[97:98], 1.0
	v_div_scale_f64 v[107:108], vcc, 1.0, v[97:98], 1.0
	v_rcp_f64_e32 v[103:104], v[99:100]
	v_fma_f64 v[105:106], -v[99:100], v[103:104], 1.0
	v_fma_f64 v[103:104], v[103:104], v[105:106], v[103:104]
	v_fma_f64 v[105:106], -v[99:100], v[103:104], 1.0
	v_fma_f64 v[103:104], v[103:104], v[105:106], v[103:104]
	v_mul_f64 v[105:106], v[107:108], v[103:104]
	v_fma_f64 v[99:100], -v[99:100], v[105:106], v[107:108]
	v_div_fmas_f64 v[99:100], v[99:100], v[103:104], v[105:106]
	v_div_fixup_f64 v[103:104], v[99:100], v[97:98], 1.0
                                        ; implicit-def: $vgpr97_vgpr98
	v_mul_f64 v[101:102], v[101:102], v[103:104]
	v_xor_b32_e32 v104, 0x80000000, v104
.LBB113_95:
	s_andn2_saveexec_b64 s[2:3], s[2:3]
	s_cbranch_execz .LBB113_97
; %bb.96:
	v_div_scale_f64 v[101:102], s[6:7], v[97:98], v[97:98], v[99:100]
	v_rcp_f64_e32 v[103:104], v[101:102]
	v_fma_f64 v[105:106], -v[101:102], v[103:104], 1.0
	v_fma_f64 v[103:104], v[103:104], v[105:106], v[103:104]
	v_div_scale_f64 v[105:106], vcc, v[99:100], v[97:98], v[99:100]
	v_fma_f64 v[107:108], -v[101:102], v[103:104], 1.0
	v_fma_f64 v[103:104], v[103:104], v[107:108], v[103:104]
	v_mul_f64 v[107:108], v[105:106], v[103:104]
	v_fma_f64 v[101:102], -v[101:102], v[107:108], v[105:106]
	v_div_fmas_f64 v[101:102], v[101:102], v[103:104], v[107:108]
	v_div_fixup_f64 v[103:104], v[101:102], v[97:98], v[99:100]
	v_fma_f64 v[97:98], v[99:100], v[103:104], v[97:98]
	v_div_scale_f64 v[99:100], s[6:7], v[97:98], v[97:98], 1.0
	v_div_scale_f64 v[107:108], vcc, 1.0, v[97:98], 1.0
	v_rcp_f64_e32 v[101:102], v[99:100]
	v_fma_f64 v[105:106], -v[99:100], v[101:102], 1.0
	v_fma_f64 v[101:102], v[101:102], v[105:106], v[101:102]
	v_fma_f64 v[105:106], -v[99:100], v[101:102], 1.0
	v_fma_f64 v[101:102], v[101:102], v[105:106], v[101:102]
	v_mul_f64 v[105:106], v[107:108], v[101:102]
	v_fma_f64 v[99:100], -v[99:100], v[105:106], v[107:108]
	v_div_fmas_f64 v[99:100], v[99:100], v[101:102], v[105:106]
	v_div_fixup_f64 v[101:102], v[99:100], v[97:98], 1.0
	v_mul_f64 v[103:104], v[103:104], -v[101:102]
.LBB113_97:
	s_or_b64 exec, exec, s[2:3]
	ds_write2_b64 v127, v[101:102], v[103:104] offset1:1
.LBB113_98:
	s_or_b64 exec, exec, s[4:5]
	s_waitcnt lgkmcnt(0)
	s_barrier
	ds_read2_b64 v[87:90], v127 offset1:1
	v_cmp_lt_u32_e32 vcc, 10, v0
	s_waitcnt lgkmcnt(0)
	buffer_store_dword v87, off, s[20:23], 0 offset:1328 ; 4-byte Folded Spill
	s_nop 0
	buffer_store_dword v88, off, s[20:23], 0 offset:1332 ; 4-byte Folded Spill
	buffer_store_dword v89, off, s[20:23], 0 offset:1336 ; 4-byte Folded Spill
	;; [unrolled: 1-line block ×3, first 2 shown]
	s_and_saveexec_b64 s[2:3], vcc
	s_cbranch_execz .LBB113_100
; %bb.99:
	buffer_load_dword v107, off, s[20:23], 0 offset:544 ; 4-byte Folded Reload
	buffer_load_dword v108, off, s[20:23], 0 offset:548 ; 4-byte Folded Reload
	;; [unrolled: 1-line block ×8, first 2 shown]
	s_waitcnt vmcnt(2)
	v_mul_f64 v[99:100], v[87:88], v[109:110]
	s_waitcnt vmcnt(0)
	v_mul_f64 v[97:98], v[89:90], v[109:110]
	v_fma_f64 v[109:110], v[89:90], v[107:108], v[99:100]
	ds_read2_b64 v[99:102], v125 offset0:22 offset1:23
	v_fma_f64 v[97:98], v[87:88], v[107:108], -v[97:98]
	buffer_load_dword v105, off, s[20:23], 0 offset:528 ; 4-byte Folded Reload
	buffer_load_dword v106, off, s[20:23], 0 offset:532 ; 4-byte Folded Reload
	buffer_load_dword v107, off, s[20:23], 0 offset:536 ; 4-byte Folded Reload
	buffer_load_dword v108, off, s[20:23], 0 offset:540 ; 4-byte Folded Reload
	s_waitcnt lgkmcnt(0)
	v_mul_f64 v[103:104], v[101:102], v[109:110]
	v_fma_f64 v[103:104], v[99:100], v[97:98], -v[103:104]
	v_mul_f64 v[99:100], v[99:100], v[109:110]
	v_fma_f64 v[99:100], v[101:102], v[97:98], v[99:100]
	s_waitcnt vmcnt(2)
	v_add_f64 v[105:106], v[105:106], -v[103:104]
	s_waitcnt vmcnt(0)
	v_add_f64 v[107:108], v[107:108], -v[99:100]
	buffer_store_dword v105, off, s[20:23], 0 offset:528 ; 4-byte Folded Spill
	s_nop 0
	buffer_store_dword v106, off, s[20:23], 0 offset:532 ; 4-byte Folded Spill
	buffer_store_dword v107, off, s[20:23], 0 offset:536 ; 4-byte Folded Spill
	buffer_store_dword v108, off, s[20:23], 0 offset:540 ; 4-byte Folded Spill
	ds_read2_b64 v[99:102], v125 offset0:24 offset1:25
	buffer_load_dword v105, off, s[20:23], 0 offset:512 ; 4-byte Folded Reload
	buffer_load_dword v106, off, s[20:23], 0 offset:516 ; 4-byte Folded Reload
	buffer_load_dword v107, off, s[20:23], 0 offset:520 ; 4-byte Folded Reload
	buffer_load_dword v108, off, s[20:23], 0 offset:524 ; 4-byte Folded Reload
	s_waitcnt lgkmcnt(0)
	v_mul_f64 v[103:104], v[101:102], v[109:110]
	v_fma_f64 v[103:104], v[99:100], v[97:98], -v[103:104]
	v_mul_f64 v[99:100], v[99:100], v[109:110]
	v_fma_f64 v[99:100], v[101:102], v[97:98], v[99:100]
	s_waitcnt vmcnt(2)
	v_add_f64 v[105:106], v[105:106], -v[103:104]
	s_waitcnt vmcnt(0)
	v_add_f64 v[107:108], v[107:108], -v[99:100]
	buffer_store_dword v105, off, s[20:23], 0 offset:512 ; 4-byte Folded Spill
	s_nop 0
	buffer_store_dword v106, off, s[20:23], 0 offset:516 ; 4-byte Folded Spill
	buffer_store_dword v107, off, s[20:23], 0 offset:520 ; 4-byte Folded Spill
	buffer_store_dword v108, off, s[20:23], 0 offset:524 ; 4-byte Folded Spill
	ds_read2_b64 v[99:102], v125 offset0:26 offset1:27
	buffer_load_dword v105, off, s[20:23], 0 offset:496 ; 4-byte Folded Reload
	buffer_load_dword v106, off, s[20:23], 0 offset:500 ; 4-byte Folded Reload
	buffer_load_dword v107, off, s[20:23], 0 offset:504 ; 4-byte Folded Reload
	buffer_load_dword v108, off, s[20:23], 0 offset:508 ; 4-byte Folded Reload
	s_waitcnt lgkmcnt(0)
	v_mul_f64 v[103:104], v[101:102], v[109:110]
	v_fma_f64 v[103:104], v[99:100], v[97:98], -v[103:104]
	v_mul_f64 v[99:100], v[99:100], v[109:110]
	v_fma_f64 v[99:100], v[101:102], v[97:98], v[99:100]
	s_waitcnt vmcnt(2)
	v_add_f64 v[105:106], v[105:106], -v[103:104]
	s_waitcnt vmcnt(0)
	v_add_f64 v[107:108], v[107:108], -v[99:100]
	buffer_store_dword v105, off, s[20:23], 0 offset:496 ; 4-byte Folded Spill
	s_nop 0
	buffer_store_dword v106, off, s[20:23], 0 offset:500 ; 4-byte Folded Spill
	buffer_store_dword v107, off, s[20:23], 0 offset:504 ; 4-byte Folded Spill
	buffer_store_dword v108, off, s[20:23], 0 offset:508 ; 4-byte Folded Spill
	ds_read2_b64 v[99:102], v125 offset0:28 offset1:29
	buffer_load_dword v105, off, s[20:23], 0 offset:480 ; 4-byte Folded Reload
	buffer_load_dword v106, off, s[20:23], 0 offset:484 ; 4-byte Folded Reload
	buffer_load_dword v107, off, s[20:23], 0 offset:488 ; 4-byte Folded Reload
	buffer_load_dword v108, off, s[20:23], 0 offset:492 ; 4-byte Folded Reload
	s_waitcnt lgkmcnt(0)
	v_mul_f64 v[103:104], v[101:102], v[109:110]
	v_fma_f64 v[103:104], v[99:100], v[97:98], -v[103:104]
	v_mul_f64 v[99:100], v[99:100], v[109:110]
	v_fma_f64 v[99:100], v[101:102], v[97:98], v[99:100]
	s_waitcnt vmcnt(2)
	v_add_f64 v[105:106], v[105:106], -v[103:104]
	s_waitcnt vmcnt(0)
	v_add_f64 v[107:108], v[107:108], -v[99:100]
	buffer_store_dword v105, off, s[20:23], 0 offset:480 ; 4-byte Folded Spill
	s_nop 0
	buffer_store_dword v106, off, s[20:23], 0 offset:484 ; 4-byte Folded Spill
	buffer_store_dword v107, off, s[20:23], 0 offset:488 ; 4-byte Folded Spill
	buffer_store_dword v108, off, s[20:23], 0 offset:492 ; 4-byte Folded Spill
	ds_read2_b64 v[99:102], v125 offset0:30 offset1:31
	buffer_load_dword v105, off, s[20:23], 0 offset:464 ; 4-byte Folded Reload
	buffer_load_dword v106, off, s[20:23], 0 offset:468 ; 4-byte Folded Reload
	buffer_load_dword v107, off, s[20:23], 0 offset:472 ; 4-byte Folded Reload
	buffer_load_dword v108, off, s[20:23], 0 offset:476 ; 4-byte Folded Reload
	s_waitcnt lgkmcnt(0)
	v_mul_f64 v[103:104], v[101:102], v[109:110]
	v_fma_f64 v[103:104], v[99:100], v[97:98], -v[103:104]
	v_mul_f64 v[99:100], v[99:100], v[109:110]
	v_fma_f64 v[99:100], v[101:102], v[97:98], v[99:100]
	s_waitcnt vmcnt(2)
	v_add_f64 v[105:106], v[105:106], -v[103:104]
	s_waitcnt vmcnt(0)
	v_add_f64 v[107:108], v[107:108], -v[99:100]
	buffer_store_dword v105, off, s[20:23], 0 offset:464 ; 4-byte Folded Spill
	s_nop 0
	buffer_store_dword v106, off, s[20:23], 0 offset:468 ; 4-byte Folded Spill
	buffer_store_dword v107, off, s[20:23], 0 offset:472 ; 4-byte Folded Spill
	buffer_store_dword v108, off, s[20:23], 0 offset:476 ; 4-byte Folded Spill
	ds_read2_b64 v[99:102], v125 offset0:32 offset1:33
	buffer_load_dword v105, off, s[20:23], 0 offset:448 ; 4-byte Folded Reload
	buffer_load_dword v106, off, s[20:23], 0 offset:452 ; 4-byte Folded Reload
	buffer_load_dword v107, off, s[20:23], 0 offset:456 ; 4-byte Folded Reload
	buffer_load_dword v108, off, s[20:23], 0 offset:460 ; 4-byte Folded Reload
	s_waitcnt lgkmcnt(0)
	v_mul_f64 v[103:104], v[101:102], v[109:110]
	v_fma_f64 v[103:104], v[99:100], v[97:98], -v[103:104]
	v_mul_f64 v[99:100], v[99:100], v[109:110]
	v_fma_f64 v[99:100], v[101:102], v[97:98], v[99:100]
	s_waitcnt vmcnt(2)
	v_add_f64 v[105:106], v[105:106], -v[103:104]
	s_waitcnt vmcnt(0)
	v_add_f64 v[107:108], v[107:108], -v[99:100]
	buffer_store_dword v105, off, s[20:23], 0 offset:448 ; 4-byte Folded Spill
	s_nop 0
	buffer_store_dword v106, off, s[20:23], 0 offset:452 ; 4-byte Folded Spill
	buffer_store_dword v107, off, s[20:23], 0 offset:456 ; 4-byte Folded Spill
	buffer_store_dword v108, off, s[20:23], 0 offset:460 ; 4-byte Folded Spill
	ds_read2_b64 v[99:102], v125 offset0:34 offset1:35
	buffer_load_dword v105, off, s[20:23], 0 offset:432 ; 4-byte Folded Reload
	buffer_load_dword v106, off, s[20:23], 0 offset:436 ; 4-byte Folded Reload
	buffer_load_dword v107, off, s[20:23], 0 offset:440 ; 4-byte Folded Reload
	buffer_load_dword v108, off, s[20:23], 0 offset:444 ; 4-byte Folded Reload
	s_waitcnt lgkmcnt(0)
	v_mul_f64 v[103:104], v[101:102], v[109:110]
	v_fma_f64 v[103:104], v[99:100], v[97:98], -v[103:104]
	v_mul_f64 v[99:100], v[99:100], v[109:110]
	v_fma_f64 v[99:100], v[101:102], v[97:98], v[99:100]
	s_waitcnt vmcnt(2)
	v_add_f64 v[105:106], v[105:106], -v[103:104]
	s_waitcnt vmcnt(0)
	v_add_f64 v[107:108], v[107:108], -v[99:100]
	buffer_store_dword v105, off, s[20:23], 0 offset:432 ; 4-byte Folded Spill
	s_nop 0
	buffer_store_dword v106, off, s[20:23], 0 offset:436 ; 4-byte Folded Spill
	buffer_store_dword v107, off, s[20:23], 0 offset:440 ; 4-byte Folded Spill
	buffer_store_dword v108, off, s[20:23], 0 offset:444 ; 4-byte Folded Spill
	ds_read2_b64 v[99:102], v125 offset0:36 offset1:37
	buffer_load_dword v105, off, s[20:23], 0 offset:416 ; 4-byte Folded Reload
	buffer_load_dword v106, off, s[20:23], 0 offset:420 ; 4-byte Folded Reload
	buffer_load_dword v107, off, s[20:23], 0 offset:424 ; 4-byte Folded Reload
	buffer_load_dword v108, off, s[20:23], 0 offset:428 ; 4-byte Folded Reload
	s_waitcnt lgkmcnt(0)
	v_mul_f64 v[103:104], v[101:102], v[109:110]
	v_fma_f64 v[103:104], v[99:100], v[97:98], -v[103:104]
	v_mul_f64 v[99:100], v[99:100], v[109:110]
	v_fma_f64 v[99:100], v[101:102], v[97:98], v[99:100]
	s_waitcnt vmcnt(2)
	v_add_f64 v[105:106], v[105:106], -v[103:104]
	s_waitcnt vmcnt(0)
	v_add_f64 v[107:108], v[107:108], -v[99:100]
	buffer_store_dword v105, off, s[20:23], 0 offset:416 ; 4-byte Folded Spill
	s_nop 0
	buffer_store_dword v106, off, s[20:23], 0 offset:420 ; 4-byte Folded Spill
	buffer_store_dword v107, off, s[20:23], 0 offset:424 ; 4-byte Folded Spill
	buffer_store_dword v108, off, s[20:23], 0 offset:428 ; 4-byte Folded Spill
	ds_read2_b64 v[99:102], v125 offset0:38 offset1:39
	buffer_load_dword v105, off, s[20:23], 0 offset:400 ; 4-byte Folded Reload
	buffer_load_dword v106, off, s[20:23], 0 offset:404 ; 4-byte Folded Reload
	buffer_load_dword v107, off, s[20:23], 0 offset:408 ; 4-byte Folded Reload
	buffer_load_dword v108, off, s[20:23], 0 offset:412 ; 4-byte Folded Reload
	s_waitcnt lgkmcnt(0)
	v_mul_f64 v[103:104], v[101:102], v[109:110]
	v_fma_f64 v[103:104], v[99:100], v[97:98], -v[103:104]
	v_mul_f64 v[99:100], v[99:100], v[109:110]
	v_fma_f64 v[99:100], v[101:102], v[97:98], v[99:100]
	s_waitcnt vmcnt(2)
	v_add_f64 v[105:106], v[105:106], -v[103:104]
	s_waitcnt vmcnt(0)
	v_add_f64 v[107:108], v[107:108], -v[99:100]
	buffer_store_dword v105, off, s[20:23], 0 offset:400 ; 4-byte Folded Spill
	s_nop 0
	buffer_store_dword v106, off, s[20:23], 0 offset:404 ; 4-byte Folded Spill
	buffer_store_dword v107, off, s[20:23], 0 offset:408 ; 4-byte Folded Spill
	buffer_store_dword v108, off, s[20:23], 0 offset:412 ; 4-byte Folded Spill
	ds_read2_b64 v[99:102], v125 offset0:40 offset1:41
	buffer_load_dword v105, off, s[20:23], 0 offset:384 ; 4-byte Folded Reload
	buffer_load_dword v106, off, s[20:23], 0 offset:388 ; 4-byte Folded Reload
	buffer_load_dword v107, off, s[20:23], 0 offset:392 ; 4-byte Folded Reload
	buffer_load_dword v108, off, s[20:23], 0 offset:396 ; 4-byte Folded Reload
	s_waitcnt lgkmcnt(0)
	v_mul_f64 v[103:104], v[101:102], v[109:110]
	v_fma_f64 v[103:104], v[99:100], v[97:98], -v[103:104]
	v_mul_f64 v[99:100], v[99:100], v[109:110]
	v_fma_f64 v[99:100], v[101:102], v[97:98], v[99:100]
	s_waitcnt vmcnt(2)
	v_add_f64 v[105:106], v[105:106], -v[103:104]
	s_waitcnt vmcnt(0)
	v_add_f64 v[107:108], v[107:108], -v[99:100]
	buffer_store_dword v105, off, s[20:23], 0 offset:384 ; 4-byte Folded Spill
	s_nop 0
	buffer_store_dword v106, off, s[20:23], 0 offset:388 ; 4-byte Folded Spill
	buffer_store_dword v107, off, s[20:23], 0 offset:392 ; 4-byte Folded Spill
	buffer_store_dword v108, off, s[20:23], 0 offset:396 ; 4-byte Folded Spill
	ds_read2_b64 v[99:102], v125 offset0:42 offset1:43
	buffer_load_dword v105, off, s[20:23], 0 offset:368 ; 4-byte Folded Reload
	buffer_load_dword v106, off, s[20:23], 0 offset:372 ; 4-byte Folded Reload
	buffer_load_dword v107, off, s[20:23], 0 offset:376 ; 4-byte Folded Reload
	buffer_load_dword v108, off, s[20:23], 0 offset:380 ; 4-byte Folded Reload
	s_waitcnt lgkmcnt(0)
	v_mul_f64 v[103:104], v[101:102], v[109:110]
	v_fma_f64 v[103:104], v[99:100], v[97:98], -v[103:104]
	v_mul_f64 v[99:100], v[99:100], v[109:110]
	v_fma_f64 v[99:100], v[101:102], v[97:98], v[99:100]
	s_waitcnt vmcnt(2)
	v_add_f64 v[105:106], v[105:106], -v[103:104]
	s_waitcnt vmcnt(0)
	v_add_f64 v[107:108], v[107:108], -v[99:100]
	buffer_store_dword v105, off, s[20:23], 0 offset:368 ; 4-byte Folded Spill
	s_nop 0
	buffer_store_dword v106, off, s[20:23], 0 offset:372 ; 4-byte Folded Spill
	buffer_store_dword v107, off, s[20:23], 0 offset:376 ; 4-byte Folded Spill
	buffer_store_dword v108, off, s[20:23], 0 offset:380 ; 4-byte Folded Spill
	ds_read2_b64 v[99:102], v125 offset0:44 offset1:45
	buffer_load_dword v105, off, s[20:23], 0 offset:352 ; 4-byte Folded Reload
	buffer_load_dword v106, off, s[20:23], 0 offset:356 ; 4-byte Folded Reload
	buffer_load_dword v107, off, s[20:23], 0 offset:360 ; 4-byte Folded Reload
	buffer_load_dword v108, off, s[20:23], 0 offset:364 ; 4-byte Folded Reload
	s_waitcnt lgkmcnt(0)
	v_mul_f64 v[103:104], v[101:102], v[109:110]
	v_fma_f64 v[103:104], v[99:100], v[97:98], -v[103:104]
	v_mul_f64 v[99:100], v[99:100], v[109:110]
	v_fma_f64 v[99:100], v[101:102], v[97:98], v[99:100]
	s_waitcnt vmcnt(2)
	v_add_f64 v[105:106], v[105:106], -v[103:104]
	s_waitcnt vmcnt(0)
	v_add_f64 v[107:108], v[107:108], -v[99:100]
	buffer_store_dword v105, off, s[20:23], 0 offset:352 ; 4-byte Folded Spill
	s_nop 0
	buffer_store_dword v106, off, s[20:23], 0 offset:356 ; 4-byte Folded Spill
	buffer_store_dword v107, off, s[20:23], 0 offset:360 ; 4-byte Folded Spill
	buffer_store_dword v108, off, s[20:23], 0 offset:364 ; 4-byte Folded Spill
	ds_read2_b64 v[99:102], v125 offset0:46 offset1:47
	buffer_load_dword v105, off, s[20:23], 0 offset:336 ; 4-byte Folded Reload
	buffer_load_dword v106, off, s[20:23], 0 offset:340 ; 4-byte Folded Reload
	buffer_load_dword v107, off, s[20:23], 0 offset:344 ; 4-byte Folded Reload
	buffer_load_dword v108, off, s[20:23], 0 offset:348 ; 4-byte Folded Reload
	s_waitcnt lgkmcnt(0)
	v_mul_f64 v[103:104], v[101:102], v[109:110]
	v_fma_f64 v[103:104], v[99:100], v[97:98], -v[103:104]
	v_mul_f64 v[99:100], v[99:100], v[109:110]
	v_fma_f64 v[99:100], v[101:102], v[97:98], v[99:100]
	s_waitcnt vmcnt(2)
	v_add_f64 v[105:106], v[105:106], -v[103:104]
	s_waitcnt vmcnt(0)
	v_add_f64 v[107:108], v[107:108], -v[99:100]
	buffer_store_dword v105, off, s[20:23], 0 offset:336 ; 4-byte Folded Spill
	s_nop 0
	buffer_store_dword v106, off, s[20:23], 0 offset:340 ; 4-byte Folded Spill
	buffer_store_dword v107, off, s[20:23], 0 offset:344 ; 4-byte Folded Spill
	buffer_store_dword v108, off, s[20:23], 0 offset:348 ; 4-byte Folded Spill
	ds_read2_b64 v[99:102], v125 offset0:48 offset1:49
	buffer_load_dword v105, off, s[20:23], 0 offset:320 ; 4-byte Folded Reload
	buffer_load_dword v106, off, s[20:23], 0 offset:324 ; 4-byte Folded Reload
	buffer_load_dword v107, off, s[20:23], 0 offset:328 ; 4-byte Folded Reload
	buffer_load_dword v108, off, s[20:23], 0 offset:332 ; 4-byte Folded Reload
	s_waitcnt lgkmcnt(0)
	v_mul_f64 v[103:104], v[101:102], v[109:110]
	v_fma_f64 v[103:104], v[99:100], v[97:98], -v[103:104]
	v_mul_f64 v[99:100], v[99:100], v[109:110]
	v_fma_f64 v[99:100], v[101:102], v[97:98], v[99:100]
	s_waitcnt vmcnt(2)
	v_add_f64 v[105:106], v[105:106], -v[103:104]
	s_waitcnt vmcnt(0)
	v_add_f64 v[107:108], v[107:108], -v[99:100]
	buffer_store_dword v105, off, s[20:23], 0 offset:320 ; 4-byte Folded Spill
	s_nop 0
	buffer_store_dword v106, off, s[20:23], 0 offset:324 ; 4-byte Folded Spill
	buffer_store_dword v107, off, s[20:23], 0 offset:328 ; 4-byte Folded Spill
	buffer_store_dword v108, off, s[20:23], 0 offset:332 ; 4-byte Folded Spill
	ds_read2_b64 v[99:102], v125 offset0:50 offset1:51
	buffer_load_dword v105, off, s[20:23], 0 offset:304 ; 4-byte Folded Reload
	buffer_load_dword v106, off, s[20:23], 0 offset:308 ; 4-byte Folded Reload
	buffer_load_dword v107, off, s[20:23], 0 offset:312 ; 4-byte Folded Reload
	buffer_load_dword v108, off, s[20:23], 0 offset:316 ; 4-byte Folded Reload
	s_waitcnt lgkmcnt(0)
	v_mul_f64 v[103:104], v[101:102], v[109:110]
	v_fma_f64 v[103:104], v[99:100], v[97:98], -v[103:104]
	v_mul_f64 v[99:100], v[99:100], v[109:110]
	v_fma_f64 v[99:100], v[101:102], v[97:98], v[99:100]
	s_waitcnt vmcnt(2)
	v_add_f64 v[105:106], v[105:106], -v[103:104]
	s_waitcnt vmcnt(0)
	v_add_f64 v[107:108], v[107:108], -v[99:100]
	buffer_store_dword v105, off, s[20:23], 0 offset:304 ; 4-byte Folded Spill
	s_nop 0
	buffer_store_dword v106, off, s[20:23], 0 offset:308 ; 4-byte Folded Spill
	buffer_store_dword v107, off, s[20:23], 0 offset:312 ; 4-byte Folded Spill
	buffer_store_dword v108, off, s[20:23], 0 offset:316 ; 4-byte Folded Spill
	ds_read2_b64 v[99:102], v125 offset0:52 offset1:53
	buffer_load_dword v105, off, s[20:23], 0 offset:288 ; 4-byte Folded Reload
	buffer_load_dword v106, off, s[20:23], 0 offset:292 ; 4-byte Folded Reload
	buffer_load_dword v107, off, s[20:23], 0 offset:296 ; 4-byte Folded Reload
	buffer_load_dword v108, off, s[20:23], 0 offset:300 ; 4-byte Folded Reload
	s_waitcnt lgkmcnt(0)
	v_mul_f64 v[103:104], v[101:102], v[109:110]
	v_fma_f64 v[103:104], v[99:100], v[97:98], -v[103:104]
	v_mul_f64 v[99:100], v[99:100], v[109:110]
	v_fma_f64 v[99:100], v[101:102], v[97:98], v[99:100]
	s_waitcnt vmcnt(2)
	v_add_f64 v[105:106], v[105:106], -v[103:104]
	s_waitcnt vmcnt(0)
	v_add_f64 v[107:108], v[107:108], -v[99:100]
	buffer_store_dword v105, off, s[20:23], 0 offset:288 ; 4-byte Folded Spill
	s_nop 0
	buffer_store_dword v106, off, s[20:23], 0 offset:292 ; 4-byte Folded Spill
	buffer_store_dword v107, off, s[20:23], 0 offset:296 ; 4-byte Folded Spill
	buffer_store_dword v108, off, s[20:23], 0 offset:300 ; 4-byte Folded Spill
	ds_read2_b64 v[99:102], v125 offset0:54 offset1:55
	buffer_load_dword v105, off, s[20:23], 0 offset:272 ; 4-byte Folded Reload
	buffer_load_dword v106, off, s[20:23], 0 offset:276 ; 4-byte Folded Reload
	buffer_load_dword v107, off, s[20:23], 0 offset:280 ; 4-byte Folded Reload
	buffer_load_dword v108, off, s[20:23], 0 offset:284 ; 4-byte Folded Reload
	s_waitcnt lgkmcnt(0)
	v_mul_f64 v[103:104], v[101:102], v[109:110]
	v_fma_f64 v[103:104], v[99:100], v[97:98], -v[103:104]
	v_mul_f64 v[99:100], v[99:100], v[109:110]
	v_fma_f64 v[99:100], v[101:102], v[97:98], v[99:100]
	s_waitcnt vmcnt(2)
	v_add_f64 v[105:106], v[105:106], -v[103:104]
	s_waitcnt vmcnt(0)
	v_add_f64 v[107:108], v[107:108], -v[99:100]
	buffer_store_dword v105, off, s[20:23], 0 offset:272 ; 4-byte Folded Spill
	s_nop 0
	buffer_store_dword v106, off, s[20:23], 0 offset:276 ; 4-byte Folded Spill
	buffer_store_dword v107, off, s[20:23], 0 offset:280 ; 4-byte Folded Spill
	buffer_store_dword v108, off, s[20:23], 0 offset:284 ; 4-byte Folded Spill
	ds_read2_b64 v[99:102], v125 offset0:56 offset1:57
	buffer_load_dword v105, off, s[20:23], 0 offset:256 ; 4-byte Folded Reload
	buffer_load_dword v106, off, s[20:23], 0 offset:260 ; 4-byte Folded Reload
	buffer_load_dword v107, off, s[20:23], 0 offset:264 ; 4-byte Folded Reload
	buffer_load_dword v108, off, s[20:23], 0 offset:268 ; 4-byte Folded Reload
	s_waitcnt lgkmcnt(0)
	v_mul_f64 v[103:104], v[101:102], v[109:110]
	v_fma_f64 v[103:104], v[99:100], v[97:98], -v[103:104]
	v_mul_f64 v[99:100], v[99:100], v[109:110]
	v_fma_f64 v[99:100], v[101:102], v[97:98], v[99:100]
	s_waitcnt vmcnt(2)
	v_add_f64 v[105:106], v[105:106], -v[103:104]
	s_waitcnt vmcnt(0)
	v_add_f64 v[107:108], v[107:108], -v[99:100]
	buffer_store_dword v105, off, s[20:23], 0 offset:256 ; 4-byte Folded Spill
	s_nop 0
	buffer_store_dword v106, off, s[20:23], 0 offset:260 ; 4-byte Folded Spill
	buffer_store_dword v107, off, s[20:23], 0 offset:264 ; 4-byte Folded Spill
	buffer_store_dword v108, off, s[20:23], 0 offset:268 ; 4-byte Folded Spill
	ds_read2_b64 v[99:102], v125 offset0:58 offset1:59
	buffer_load_dword v105, off, s[20:23], 0 offset:240 ; 4-byte Folded Reload
	buffer_load_dword v106, off, s[20:23], 0 offset:244 ; 4-byte Folded Reload
	buffer_load_dword v107, off, s[20:23], 0 offset:248 ; 4-byte Folded Reload
	buffer_load_dword v108, off, s[20:23], 0 offset:252 ; 4-byte Folded Reload
	s_waitcnt lgkmcnt(0)
	v_mul_f64 v[103:104], v[101:102], v[109:110]
	v_fma_f64 v[103:104], v[99:100], v[97:98], -v[103:104]
	v_mul_f64 v[99:100], v[99:100], v[109:110]
	v_fma_f64 v[99:100], v[101:102], v[97:98], v[99:100]
	s_waitcnt vmcnt(2)
	v_add_f64 v[105:106], v[105:106], -v[103:104]
	s_waitcnt vmcnt(0)
	v_add_f64 v[107:108], v[107:108], -v[99:100]
	buffer_store_dword v105, off, s[20:23], 0 offset:240 ; 4-byte Folded Spill
	s_nop 0
	buffer_store_dword v106, off, s[20:23], 0 offset:244 ; 4-byte Folded Spill
	buffer_store_dword v107, off, s[20:23], 0 offset:248 ; 4-byte Folded Spill
	buffer_store_dword v108, off, s[20:23], 0 offset:252 ; 4-byte Folded Spill
	ds_read2_b64 v[99:102], v125 offset0:60 offset1:61
	buffer_load_dword v105, off, s[20:23], 0 offset:224 ; 4-byte Folded Reload
	buffer_load_dword v106, off, s[20:23], 0 offset:228 ; 4-byte Folded Reload
	buffer_load_dword v107, off, s[20:23], 0 offset:232 ; 4-byte Folded Reload
	buffer_load_dword v108, off, s[20:23], 0 offset:236 ; 4-byte Folded Reload
	s_waitcnt lgkmcnt(0)
	v_mul_f64 v[103:104], v[101:102], v[109:110]
	v_fma_f64 v[103:104], v[99:100], v[97:98], -v[103:104]
	v_mul_f64 v[99:100], v[99:100], v[109:110]
	v_fma_f64 v[99:100], v[101:102], v[97:98], v[99:100]
	s_waitcnt vmcnt(2)
	v_add_f64 v[105:106], v[105:106], -v[103:104]
	s_waitcnt vmcnt(0)
	v_add_f64 v[107:108], v[107:108], -v[99:100]
	buffer_store_dword v105, off, s[20:23], 0 offset:224 ; 4-byte Folded Spill
	s_nop 0
	buffer_store_dword v106, off, s[20:23], 0 offset:228 ; 4-byte Folded Spill
	buffer_store_dword v107, off, s[20:23], 0 offset:232 ; 4-byte Folded Spill
	buffer_store_dword v108, off, s[20:23], 0 offset:236 ; 4-byte Folded Spill
	ds_read2_b64 v[99:102], v125 offset0:62 offset1:63
	buffer_load_dword v105, off, s[20:23], 0 offset:208 ; 4-byte Folded Reload
	buffer_load_dword v106, off, s[20:23], 0 offset:212 ; 4-byte Folded Reload
	buffer_load_dword v107, off, s[20:23], 0 offset:216 ; 4-byte Folded Reload
	buffer_load_dword v108, off, s[20:23], 0 offset:220 ; 4-byte Folded Reload
	s_waitcnt lgkmcnt(0)
	v_mul_f64 v[103:104], v[101:102], v[109:110]
	v_fma_f64 v[103:104], v[99:100], v[97:98], -v[103:104]
	v_mul_f64 v[99:100], v[99:100], v[109:110]
	v_fma_f64 v[99:100], v[101:102], v[97:98], v[99:100]
	s_waitcnt vmcnt(2)
	v_add_f64 v[105:106], v[105:106], -v[103:104]
	s_waitcnt vmcnt(0)
	v_add_f64 v[107:108], v[107:108], -v[99:100]
	buffer_store_dword v105, off, s[20:23], 0 offset:208 ; 4-byte Folded Spill
	s_nop 0
	buffer_store_dword v106, off, s[20:23], 0 offset:212 ; 4-byte Folded Spill
	buffer_store_dword v107, off, s[20:23], 0 offset:216 ; 4-byte Folded Spill
	buffer_store_dword v108, off, s[20:23], 0 offset:220 ; 4-byte Folded Spill
	ds_read2_b64 v[99:102], v125 offset0:64 offset1:65
	buffer_load_dword v105, off, s[20:23], 0 offset:192 ; 4-byte Folded Reload
	buffer_load_dword v106, off, s[20:23], 0 offset:196 ; 4-byte Folded Reload
	buffer_load_dword v107, off, s[20:23], 0 offset:200 ; 4-byte Folded Reload
	buffer_load_dword v108, off, s[20:23], 0 offset:204 ; 4-byte Folded Reload
	s_waitcnt lgkmcnt(0)
	v_mul_f64 v[103:104], v[101:102], v[109:110]
	v_fma_f64 v[103:104], v[99:100], v[97:98], -v[103:104]
	v_mul_f64 v[99:100], v[99:100], v[109:110]
	v_fma_f64 v[99:100], v[101:102], v[97:98], v[99:100]
	s_waitcnt vmcnt(2)
	v_add_f64 v[105:106], v[105:106], -v[103:104]
	s_waitcnt vmcnt(0)
	v_add_f64 v[107:108], v[107:108], -v[99:100]
	buffer_store_dword v105, off, s[20:23], 0 offset:192 ; 4-byte Folded Spill
	s_nop 0
	buffer_store_dword v106, off, s[20:23], 0 offset:196 ; 4-byte Folded Spill
	buffer_store_dword v107, off, s[20:23], 0 offset:200 ; 4-byte Folded Spill
	buffer_store_dword v108, off, s[20:23], 0 offset:204 ; 4-byte Folded Spill
	ds_read2_b64 v[99:102], v125 offset0:66 offset1:67
	buffer_load_dword v105, off, s[20:23], 0 offset:176 ; 4-byte Folded Reload
	buffer_load_dword v106, off, s[20:23], 0 offset:180 ; 4-byte Folded Reload
	buffer_load_dword v107, off, s[20:23], 0 offset:184 ; 4-byte Folded Reload
	buffer_load_dword v108, off, s[20:23], 0 offset:188 ; 4-byte Folded Reload
	s_waitcnt lgkmcnt(0)
	v_mul_f64 v[103:104], v[101:102], v[109:110]
	v_fma_f64 v[103:104], v[99:100], v[97:98], -v[103:104]
	v_mul_f64 v[99:100], v[99:100], v[109:110]
	v_fma_f64 v[99:100], v[101:102], v[97:98], v[99:100]
	s_waitcnt vmcnt(2)
	v_add_f64 v[105:106], v[105:106], -v[103:104]
	s_waitcnt vmcnt(0)
	v_add_f64 v[107:108], v[107:108], -v[99:100]
	buffer_store_dword v105, off, s[20:23], 0 offset:176 ; 4-byte Folded Spill
	s_nop 0
	buffer_store_dword v106, off, s[20:23], 0 offset:180 ; 4-byte Folded Spill
	buffer_store_dword v107, off, s[20:23], 0 offset:184 ; 4-byte Folded Spill
	buffer_store_dword v108, off, s[20:23], 0 offset:188 ; 4-byte Folded Spill
	ds_read2_b64 v[99:102], v125 offset0:68 offset1:69
	v_mov_b32_e32 v108, v98
	v_mov_b32_e32 v107, v97
	s_waitcnt lgkmcnt(0)
	v_mul_f64 v[103:104], v[101:102], v[109:110]
	v_fma_f64 v[103:104], v[99:100], v[97:98], -v[103:104]
	v_mul_f64 v[99:100], v[99:100], v[109:110]
	v_add_f64 v[91:92], v[91:92], -v[103:104]
	v_fma_f64 v[99:100], v[101:102], v[97:98], v[99:100]
	v_add_f64 v[93:94], v[93:94], -v[99:100]
	ds_read2_b64 v[99:102], v125 offset0:70 offset1:71
	buffer_load_dword v77, off, s[20:23], 0 offset:160 ; 4-byte Folded Reload
	buffer_load_dword v78, off, s[20:23], 0 offset:164 ; 4-byte Folded Reload
	buffer_load_dword v79, off, s[20:23], 0 offset:168 ; 4-byte Folded Reload
	buffer_load_dword v80, off, s[20:23], 0 offset:172 ; 4-byte Folded Reload
	s_waitcnt lgkmcnt(0)
	v_mul_f64 v[103:104], v[101:102], v[109:110]
	v_fma_f64 v[103:104], v[99:100], v[97:98], -v[103:104]
	v_mul_f64 v[99:100], v[99:100], v[109:110]
	v_fma_f64 v[99:100], v[101:102], v[97:98], v[99:100]
	s_waitcnt vmcnt(2)
	v_add_f64 v[77:78], v[77:78], -v[103:104]
	s_waitcnt vmcnt(0)
	v_add_f64 v[79:80], v[79:80], -v[99:100]
	buffer_store_dword v77, off, s[20:23], 0 offset:160 ; 4-byte Folded Spill
	s_nop 0
	buffer_store_dword v78, off, s[20:23], 0 offset:164 ; 4-byte Folded Spill
	buffer_store_dword v79, off, s[20:23], 0 offset:168 ; 4-byte Folded Spill
	buffer_store_dword v80, off, s[20:23], 0 offset:172 ; 4-byte Folded Spill
	ds_read2_b64 v[99:102], v125 offset0:72 offset1:73
	buffer_load_dword v77, off, s[20:23], 0 offset:144 ; 4-byte Folded Reload
	buffer_load_dword v78, off, s[20:23], 0 offset:148 ; 4-byte Folded Reload
	buffer_load_dword v79, off, s[20:23], 0 offset:152 ; 4-byte Folded Reload
	buffer_load_dword v80, off, s[20:23], 0 offset:156 ; 4-byte Folded Reload
	s_waitcnt lgkmcnt(0)
	v_mul_f64 v[103:104], v[101:102], v[109:110]
	v_fma_f64 v[103:104], v[99:100], v[97:98], -v[103:104]
	v_mul_f64 v[99:100], v[99:100], v[109:110]
	v_fma_f64 v[99:100], v[101:102], v[97:98], v[99:100]
	s_waitcnt vmcnt(2)
	v_add_f64 v[77:78], v[77:78], -v[103:104]
	s_waitcnt vmcnt(0)
	v_add_f64 v[79:80], v[79:80], -v[99:100]
	buffer_store_dword v77, off, s[20:23], 0 offset:144 ; 4-byte Folded Spill
	s_nop 0
	buffer_store_dword v78, off, s[20:23], 0 offset:148 ; 4-byte Folded Spill
	buffer_store_dword v79, off, s[20:23], 0 offset:152 ; 4-byte Folded Spill
	buffer_store_dword v80, off, s[20:23], 0 offset:156 ; 4-byte Folded Spill
	;; [unrolled: 19-line block ×10, first 2 shown]
	ds_read2_b64 v[99:102], v125 offset0:90 offset1:91
	buffer_load_dword v41, off, s[20:23], 0 ; 4-byte Folded Reload
	buffer_load_dword v42, off, s[20:23], 0 offset:4 ; 4-byte Folded Reload
	buffer_load_dword v43, off, s[20:23], 0 offset:8 ; 4-byte Folded Reload
	;; [unrolled: 1-line block ×3, first 2 shown]
	s_waitcnt lgkmcnt(0)
	v_mul_f64 v[103:104], v[101:102], v[109:110]
	v_fma_f64 v[103:104], v[99:100], v[97:98], -v[103:104]
	v_mul_f64 v[99:100], v[99:100], v[109:110]
	v_fma_f64 v[99:100], v[101:102], v[97:98], v[99:100]
	s_waitcnt vmcnt(2)
	v_add_f64 v[41:42], v[41:42], -v[103:104]
	s_waitcnt vmcnt(0)
	v_add_f64 v[43:44], v[43:44], -v[99:100]
	buffer_store_dword v41, off, s[20:23], 0 ; 4-byte Folded Spill
	s_nop 0
	buffer_store_dword v42, off, s[20:23], 0 offset:4 ; 4-byte Folded Spill
	buffer_store_dword v43, off, s[20:23], 0 offset:8 ; 4-byte Folded Spill
	;; [unrolled: 1-line block ×3, first 2 shown]
	ds_read2_b64 v[99:102], v125 offset0:92 offset1:93
	s_waitcnt lgkmcnt(0)
	v_mul_f64 v[103:104], v[101:102], v[109:110]
	v_fma_f64 v[103:104], v[99:100], v[97:98], -v[103:104]
	v_mul_f64 v[99:100], v[99:100], v[109:110]
	v_add_f64 v[37:38], v[37:38], -v[103:104]
	v_fma_f64 v[99:100], v[101:102], v[97:98], v[99:100]
	v_add_f64 v[39:40], v[39:40], -v[99:100]
	ds_read2_b64 v[99:102], v125 offset0:94 offset1:95
	s_waitcnt lgkmcnt(0)
	v_mul_f64 v[103:104], v[101:102], v[109:110]
	v_fma_f64 v[103:104], v[99:100], v[97:98], -v[103:104]
	v_mul_f64 v[99:100], v[99:100], v[109:110]
	v_add_f64 v[33:34], v[33:34], -v[103:104]
	v_fma_f64 v[99:100], v[101:102], v[97:98], v[99:100]
	v_add_f64 v[35:36], v[35:36], -v[99:100]
	;; [unrolled: 8-line block ×9, first 2 shown]
	ds_read2_b64 v[99:102], v125 offset0:110 offset1:111
	s_waitcnt lgkmcnt(0)
	v_mul_f64 v[103:104], v[101:102], v[109:110]
	v_fma_f64 v[103:104], v[99:100], v[97:98], -v[103:104]
	v_mul_f64 v[99:100], v[99:100], v[109:110]
	v_add_f64 v[1:2], v[1:2], -v[103:104]
	v_fma_f64 v[99:100], v[101:102], v[97:98], v[99:100]
	ds_read2_b64 v[101:104], v125 offset0:112 offset1:113
	v_add_f64 v[3:4], v[3:4], -v[99:100]
	s_waitcnt lgkmcnt(0)
	v_mul_f64 v[99:100], v[103:104], v[109:110]
	v_fma_f64 v[99:100], v[101:102], v[97:98], -v[99:100]
	v_mul_f64 v[101:102], v[101:102], v[109:110]
	buffer_store_dword v107, off, s[20:23], 0 offset:544 ; 4-byte Folded Spill
	s_nop 0
	buffer_store_dword v108, off, s[20:23], 0 offset:548 ; 4-byte Folded Spill
	buffer_store_dword v109, off, s[20:23], 0 offset:552 ; 4-byte Folded Spill
	;; [unrolled: 1-line block ×3, first 2 shown]
	v_add_f64 v[121:122], v[121:122], -v[99:100]
	v_fma_f64 v[101:102], v[103:104], v[97:98], v[101:102]
	v_add_f64 v[123:124], v[123:124], -v[101:102]
.LBB113_100:
	s_or_b64 exec, exec, s[2:3]
	v_cmp_eq_u32_e32 vcc, 11, v0
	s_waitcnt vmcnt(0)
	s_barrier
	s_and_saveexec_b64 s[4:5], vcc
	s_cbranch_execz .LBB113_107
; %bb.101:
	buffer_load_dword v95, off, s[20:23], 0 offset:528 ; 4-byte Folded Reload
	buffer_load_dword v96, off, s[20:23], 0 offset:532 ; 4-byte Folded Reload
	;; [unrolled: 1-line block ×4, first 2 shown]
	s_waitcnt vmcnt(0)
	ds_write2_b64 v127, v[95:96], v[97:98] offset1:1
	buffer_load_dword v95, off, s[20:23], 0 offset:512 ; 4-byte Folded Reload
	buffer_load_dword v96, off, s[20:23], 0 offset:516 ; 4-byte Folded Reload
	buffer_load_dword v97, off, s[20:23], 0 offset:520 ; 4-byte Folded Reload
	buffer_load_dword v98, off, s[20:23], 0 offset:524 ; 4-byte Folded Reload
	s_waitcnt vmcnt(0)
	ds_write2_b64 v125, v[95:96], v[97:98] offset0:24 offset1:25
	buffer_load_dword v95, off, s[20:23], 0 offset:496 ; 4-byte Folded Reload
	buffer_load_dword v96, off, s[20:23], 0 offset:500 ; 4-byte Folded Reload
	buffer_load_dword v97, off, s[20:23], 0 offset:504 ; 4-byte Folded Reload
	buffer_load_dword v98, off, s[20:23], 0 offset:508 ; 4-byte Folded Reload
	s_waitcnt vmcnt(0)
	ds_write2_b64 v125, v[95:96], v[97:98] offset0:26 offset1:27
	;; [unrolled: 6-line block ×22, first 2 shown]
	ds_write2_b64 v125, v[91:92], v[93:94] offset0:68 offset1:69
	buffer_load_dword v77, off, s[20:23], 0 offset:160 ; 4-byte Folded Reload
	buffer_load_dword v78, off, s[20:23], 0 offset:164 ; 4-byte Folded Reload
	buffer_load_dword v79, off, s[20:23], 0 offset:168 ; 4-byte Folded Reload
	buffer_load_dword v80, off, s[20:23], 0 offset:172 ; 4-byte Folded Reload
	s_waitcnt vmcnt(0)
	ds_write2_b64 v125, v[77:78], v[79:80] offset0:70 offset1:71
	buffer_load_dword v77, off, s[20:23], 0 offset:144 ; 4-byte Folded Reload
	buffer_load_dword v78, off, s[20:23], 0 offset:148 ; 4-byte Folded Reload
	buffer_load_dword v79, off, s[20:23], 0 offset:152 ; 4-byte Folded Reload
	buffer_load_dword v80, off, s[20:23], 0 offset:156 ; 4-byte Folded Reload
	s_waitcnt vmcnt(0)
	;; [unrolled: 6-line block ×10, first 2 shown]
	ds_write2_b64 v125, v[45:46], v[47:48] offset0:88 offset1:89
	buffer_load_dword v41, off, s[20:23], 0 ; 4-byte Folded Reload
	buffer_load_dword v42, off, s[20:23], 0 offset:4 ; 4-byte Folded Reload
	buffer_load_dword v43, off, s[20:23], 0 offset:8 ; 4-byte Folded Reload
	;; [unrolled: 1-line block ×3, first 2 shown]
	s_waitcnt vmcnt(0)
	ds_write2_b64 v125, v[41:42], v[43:44] offset0:90 offset1:91
	ds_write2_b64 v125, v[37:38], v[39:40] offset0:92 offset1:93
	;; [unrolled: 1-line block ×12, first 2 shown]
	ds_read2_b64 v[97:100], v127 offset1:1
	s_waitcnt lgkmcnt(0)
	v_cmp_neq_f64_e32 vcc, 0, v[97:98]
	v_cmp_neq_f64_e64 s[2:3], 0, v[99:100]
	s_or_b64 s[2:3], vcc, s[2:3]
	s_and_b64 exec, exec, s[2:3]
	s_cbranch_execz .LBB113_107
; %bb.102:
	v_cmp_ngt_f64_e64 s[2:3], |v[97:98]|, |v[99:100]|
                                        ; implicit-def: $vgpr101_vgpr102
	s_and_saveexec_b64 s[6:7], s[2:3]
	s_xor_b64 s[2:3], exec, s[6:7]
                                        ; implicit-def: $vgpr103_vgpr104
	s_cbranch_execz .LBB113_104
; %bb.103:
	v_div_scale_f64 v[101:102], s[6:7], v[99:100], v[99:100], v[97:98]
	v_rcp_f64_e32 v[103:104], v[101:102]
	v_fma_f64 v[105:106], -v[101:102], v[103:104], 1.0
	v_fma_f64 v[103:104], v[103:104], v[105:106], v[103:104]
	v_div_scale_f64 v[105:106], vcc, v[97:98], v[99:100], v[97:98]
	v_fma_f64 v[107:108], -v[101:102], v[103:104], 1.0
	v_fma_f64 v[103:104], v[103:104], v[107:108], v[103:104]
	v_mul_f64 v[107:108], v[105:106], v[103:104]
	v_fma_f64 v[101:102], -v[101:102], v[107:108], v[105:106]
	v_div_fmas_f64 v[101:102], v[101:102], v[103:104], v[107:108]
	v_div_fixup_f64 v[101:102], v[101:102], v[99:100], v[97:98]
	v_fma_f64 v[97:98], v[97:98], v[101:102], v[99:100]
	v_div_scale_f64 v[99:100], s[6:7], v[97:98], v[97:98], 1.0
	v_div_scale_f64 v[107:108], vcc, 1.0, v[97:98], 1.0
	v_rcp_f64_e32 v[103:104], v[99:100]
	v_fma_f64 v[105:106], -v[99:100], v[103:104], 1.0
	v_fma_f64 v[103:104], v[103:104], v[105:106], v[103:104]
	v_fma_f64 v[105:106], -v[99:100], v[103:104], 1.0
	v_fma_f64 v[103:104], v[103:104], v[105:106], v[103:104]
	v_mul_f64 v[105:106], v[107:108], v[103:104]
	v_fma_f64 v[99:100], -v[99:100], v[105:106], v[107:108]
	v_div_fmas_f64 v[99:100], v[99:100], v[103:104], v[105:106]
	v_div_fixup_f64 v[103:104], v[99:100], v[97:98], 1.0
                                        ; implicit-def: $vgpr97_vgpr98
	v_mul_f64 v[101:102], v[101:102], v[103:104]
	v_xor_b32_e32 v104, 0x80000000, v104
.LBB113_104:
	s_andn2_saveexec_b64 s[2:3], s[2:3]
	s_cbranch_execz .LBB113_106
; %bb.105:
	v_div_scale_f64 v[101:102], s[6:7], v[97:98], v[97:98], v[99:100]
	v_rcp_f64_e32 v[103:104], v[101:102]
	v_fma_f64 v[105:106], -v[101:102], v[103:104], 1.0
	v_fma_f64 v[103:104], v[103:104], v[105:106], v[103:104]
	v_div_scale_f64 v[105:106], vcc, v[99:100], v[97:98], v[99:100]
	v_fma_f64 v[107:108], -v[101:102], v[103:104], 1.0
	v_fma_f64 v[103:104], v[103:104], v[107:108], v[103:104]
	v_mul_f64 v[107:108], v[105:106], v[103:104]
	v_fma_f64 v[101:102], -v[101:102], v[107:108], v[105:106]
	v_div_fmas_f64 v[101:102], v[101:102], v[103:104], v[107:108]
	v_div_fixup_f64 v[103:104], v[101:102], v[97:98], v[99:100]
	v_fma_f64 v[97:98], v[99:100], v[103:104], v[97:98]
	v_div_scale_f64 v[99:100], s[6:7], v[97:98], v[97:98], 1.0
	v_div_scale_f64 v[107:108], vcc, 1.0, v[97:98], 1.0
	v_rcp_f64_e32 v[101:102], v[99:100]
	v_fma_f64 v[105:106], -v[99:100], v[101:102], 1.0
	v_fma_f64 v[101:102], v[101:102], v[105:106], v[101:102]
	v_fma_f64 v[105:106], -v[99:100], v[101:102], 1.0
	v_fma_f64 v[101:102], v[101:102], v[105:106], v[101:102]
	v_mul_f64 v[105:106], v[107:108], v[101:102]
	v_fma_f64 v[99:100], -v[99:100], v[105:106], v[107:108]
	v_div_fmas_f64 v[99:100], v[99:100], v[101:102], v[105:106]
	v_div_fixup_f64 v[101:102], v[99:100], v[97:98], 1.0
	v_mul_f64 v[103:104], v[103:104], -v[101:102]
.LBB113_106:
	s_or_b64 exec, exec, s[2:3]
	ds_write2_b64 v127, v[101:102], v[103:104] offset1:1
.LBB113_107:
	s_or_b64 exec, exec, s[4:5]
	s_waitcnt lgkmcnt(0)
	s_barrier
	ds_read2_b64 v[87:90], v127 offset1:1
	v_cmp_lt_u32_e32 vcc, 11, v0
	s_waitcnt lgkmcnt(0)
	buffer_store_dword v87, off, s[20:23], 0 offset:1344 ; 4-byte Folded Spill
	s_nop 0
	buffer_store_dword v88, off, s[20:23], 0 offset:1348 ; 4-byte Folded Spill
	buffer_store_dword v89, off, s[20:23], 0 offset:1352 ; 4-byte Folded Spill
	;; [unrolled: 1-line block ×3, first 2 shown]
	s_and_saveexec_b64 s[2:3], vcc
	s_cbranch_execz .LBB113_109
; %bb.108:
	buffer_load_dword v107, off, s[20:23], 0 offset:528 ; 4-byte Folded Reload
	buffer_load_dword v108, off, s[20:23], 0 offset:532 ; 4-byte Folded Reload
	;; [unrolled: 1-line block ×8, first 2 shown]
	s_waitcnt vmcnt(2)
	v_mul_f64 v[99:100], v[87:88], v[109:110]
	s_waitcnt vmcnt(0)
	v_mul_f64 v[97:98], v[89:90], v[109:110]
	v_fma_f64 v[109:110], v[89:90], v[107:108], v[99:100]
	ds_read2_b64 v[99:102], v125 offset0:24 offset1:25
	v_fma_f64 v[97:98], v[87:88], v[107:108], -v[97:98]
	buffer_load_dword v105, off, s[20:23], 0 offset:512 ; 4-byte Folded Reload
	buffer_load_dword v106, off, s[20:23], 0 offset:516 ; 4-byte Folded Reload
	buffer_load_dword v107, off, s[20:23], 0 offset:520 ; 4-byte Folded Reload
	buffer_load_dword v108, off, s[20:23], 0 offset:524 ; 4-byte Folded Reload
	s_waitcnt lgkmcnt(0)
	v_mul_f64 v[103:104], v[101:102], v[109:110]
	v_fma_f64 v[103:104], v[99:100], v[97:98], -v[103:104]
	v_mul_f64 v[99:100], v[99:100], v[109:110]
	v_fma_f64 v[99:100], v[101:102], v[97:98], v[99:100]
	s_waitcnt vmcnt(2)
	v_add_f64 v[105:106], v[105:106], -v[103:104]
	s_waitcnt vmcnt(0)
	v_add_f64 v[107:108], v[107:108], -v[99:100]
	buffer_store_dword v105, off, s[20:23], 0 offset:512 ; 4-byte Folded Spill
	s_nop 0
	buffer_store_dword v106, off, s[20:23], 0 offset:516 ; 4-byte Folded Spill
	buffer_store_dword v107, off, s[20:23], 0 offset:520 ; 4-byte Folded Spill
	buffer_store_dword v108, off, s[20:23], 0 offset:524 ; 4-byte Folded Spill
	ds_read2_b64 v[99:102], v125 offset0:26 offset1:27
	buffer_load_dword v105, off, s[20:23], 0 offset:496 ; 4-byte Folded Reload
	buffer_load_dword v106, off, s[20:23], 0 offset:500 ; 4-byte Folded Reload
	buffer_load_dword v107, off, s[20:23], 0 offset:504 ; 4-byte Folded Reload
	buffer_load_dword v108, off, s[20:23], 0 offset:508 ; 4-byte Folded Reload
	s_waitcnt lgkmcnt(0)
	v_mul_f64 v[103:104], v[101:102], v[109:110]
	v_fma_f64 v[103:104], v[99:100], v[97:98], -v[103:104]
	v_mul_f64 v[99:100], v[99:100], v[109:110]
	v_fma_f64 v[99:100], v[101:102], v[97:98], v[99:100]
	s_waitcnt vmcnt(2)
	v_add_f64 v[105:106], v[105:106], -v[103:104]
	s_waitcnt vmcnt(0)
	v_add_f64 v[107:108], v[107:108], -v[99:100]
	buffer_store_dword v105, off, s[20:23], 0 offset:496 ; 4-byte Folded Spill
	s_nop 0
	buffer_store_dword v106, off, s[20:23], 0 offset:500 ; 4-byte Folded Spill
	buffer_store_dword v107, off, s[20:23], 0 offset:504 ; 4-byte Folded Spill
	buffer_store_dword v108, off, s[20:23], 0 offset:508 ; 4-byte Folded Spill
	ds_read2_b64 v[99:102], v125 offset0:28 offset1:29
	;; [unrolled: 19-line block ×22, first 2 shown]
	v_mov_b32_e32 v108, v98
	v_mov_b32_e32 v107, v97
	s_waitcnt lgkmcnt(0)
	v_mul_f64 v[103:104], v[101:102], v[109:110]
	v_fma_f64 v[103:104], v[99:100], v[97:98], -v[103:104]
	v_mul_f64 v[99:100], v[99:100], v[109:110]
	v_add_f64 v[91:92], v[91:92], -v[103:104]
	v_fma_f64 v[99:100], v[101:102], v[97:98], v[99:100]
	v_add_f64 v[93:94], v[93:94], -v[99:100]
	ds_read2_b64 v[99:102], v125 offset0:70 offset1:71
	buffer_load_dword v77, off, s[20:23], 0 offset:160 ; 4-byte Folded Reload
	buffer_load_dword v78, off, s[20:23], 0 offset:164 ; 4-byte Folded Reload
	buffer_load_dword v79, off, s[20:23], 0 offset:168 ; 4-byte Folded Reload
	buffer_load_dword v80, off, s[20:23], 0 offset:172 ; 4-byte Folded Reload
	s_waitcnt lgkmcnt(0)
	v_mul_f64 v[103:104], v[101:102], v[109:110]
	v_fma_f64 v[103:104], v[99:100], v[97:98], -v[103:104]
	v_mul_f64 v[99:100], v[99:100], v[109:110]
	v_fma_f64 v[99:100], v[101:102], v[97:98], v[99:100]
	s_waitcnt vmcnt(2)
	v_add_f64 v[77:78], v[77:78], -v[103:104]
	s_waitcnt vmcnt(0)
	v_add_f64 v[79:80], v[79:80], -v[99:100]
	buffer_store_dword v77, off, s[20:23], 0 offset:160 ; 4-byte Folded Spill
	s_nop 0
	buffer_store_dword v78, off, s[20:23], 0 offset:164 ; 4-byte Folded Spill
	buffer_store_dword v79, off, s[20:23], 0 offset:168 ; 4-byte Folded Spill
	buffer_store_dword v80, off, s[20:23], 0 offset:172 ; 4-byte Folded Spill
	ds_read2_b64 v[99:102], v125 offset0:72 offset1:73
	buffer_load_dword v77, off, s[20:23], 0 offset:144 ; 4-byte Folded Reload
	buffer_load_dword v78, off, s[20:23], 0 offset:148 ; 4-byte Folded Reload
	buffer_load_dword v79, off, s[20:23], 0 offset:152 ; 4-byte Folded Reload
	buffer_load_dword v80, off, s[20:23], 0 offset:156 ; 4-byte Folded Reload
	s_waitcnt lgkmcnt(0)
	v_mul_f64 v[103:104], v[101:102], v[109:110]
	v_fma_f64 v[103:104], v[99:100], v[97:98], -v[103:104]
	v_mul_f64 v[99:100], v[99:100], v[109:110]
	v_fma_f64 v[99:100], v[101:102], v[97:98], v[99:100]
	s_waitcnt vmcnt(2)
	v_add_f64 v[77:78], v[77:78], -v[103:104]
	s_waitcnt vmcnt(0)
	v_add_f64 v[79:80], v[79:80], -v[99:100]
	buffer_store_dword v77, off, s[20:23], 0 offset:144 ; 4-byte Folded Spill
	s_nop 0
	buffer_store_dword v78, off, s[20:23], 0 offset:148 ; 4-byte Folded Spill
	buffer_store_dword v79, off, s[20:23], 0 offset:152 ; 4-byte Folded Spill
	buffer_store_dword v80, off, s[20:23], 0 offset:156 ; 4-byte Folded Spill
	;; [unrolled: 19-line block ×10, first 2 shown]
	ds_read2_b64 v[99:102], v125 offset0:90 offset1:91
	buffer_load_dword v41, off, s[20:23], 0 ; 4-byte Folded Reload
	buffer_load_dword v42, off, s[20:23], 0 offset:4 ; 4-byte Folded Reload
	buffer_load_dword v43, off, s[20:23], 0 offset:8 ; 4-byte Folded Reload
	;; [unrolled: 1-line block ×3, first 2 shown]
	s_waitcnt lgkmcnt(0)
	v_mul_f64 v[103:104], v[101:102], v[109:110]
	v_fma_f64 v[103:104], v[99:100], v[97:98], -v[103:104]
	v_mul_f64 v[99:100], v[99:100], v[109:110]
	v_fma_f64 v[99:100], v[101:102], v[97:98], v[99:100]
	s_waitcnt vmcnt(2)
	v_add_f64 v[41:42], v[41:42], -v[103:104]
	s_waitcnt vmcnt(0)
	v_add_f64 v[43:44], v[43:44], -v[99:100]
	buffer_store_dword v41, off, s[20:23], 0 ; 4-byte Folded Spill
	s_nop 0
	buffer_store_dword v42, off, s[20:23], 0 offset:4 ; 4-byte Folded Spill
	buffer_store_dword v43, off, s[20:23], 0 offset:8 ; 4-byte Folded Spill
	;; [unrolled: 1-line block ×3, first 2 shown]
	ds_read2_b64 v[99:102], v125 offset0:92 offset1:93
	s_waitcnt lgkmcnt(0)
	v_mul_f64 v[103:104], v[101:102], v[109:110]
	v_fma_f64 v[103:104], v[99:100], v[97:98], -v[103:104]
	v_mul_f64 v[99:100], v[99:100], v[109:110]
	v_add_f64 v[37:38], v[37:38], -v[103:104]
	v_fma_f64 v[99:100], v[101:102], v[97:98], v[99:100]
	v_add_f64 v[39:40], v[39:40], -v[99:100]
	ds_read2_b64 v[99:102], v125 offset0:94 offset1:95
	s_waitcnt lgkmcnt(0)
	v_mul_f64 v[103:104], v[101:102], v[109:110]
	v_fma_f64 v[103:104], v[99:100], v[97:98], -v[103:104]
	v_mul_f64 v[99:100], v[99:100], v[109:110]
	v_add_f64 v[33:34], v[33:34], -v[103:104]
	v_fma_f64 v[99:100], v[101:102], v[97:98], v[99:100]
	v_add_f64 v[35:36], v[35:36], -v[99:100]
	;; [unrolled: 8-line block ×9, first 2 shown]
	ds_read2_b64 v[99:102], v125 offset0:110 offset1:111
	s_waitcnt lgkmcnt(0)
	v_mul_f64 v[103:104], v[101:102], v[109:110]
	v_fma_f64 v[103:104], v[99:100], v[97:98], -v[103:104]
	v_mul_f64 v[99:100], v[99:100], v[109:110]
	v_add_f64 v[1:2], v[1:2], -v[103:104]
	v_fma_f64 v[99:100], v[101:102], v[97:98], v[99:100]
	ds_read2_b64 v[101:104], v125 offset0:112 offset1:113
	v_add_f64 v[3:4], v[3:4], -v[99:100]
	s_waitcnt lgkmcnt(0)
	v_mul_f64 v[99:100], v[103:104], v[109:110]
	v_fma_f64 v[99:100], v[101:102], v[97:98], -v[99:100]
	v_mul_f64 v[101:102], v[101:102], v[109:110]
	buffer_store_dword v107, off, s[20:23], 0 offset:528 ; 4-byte Folded Spill
	s_nop 0
	buffer_store_dword v108, off, s[20:23], 0 offset:532 ; 4-byte Folded Spill
	buffer_store_dword v109, off, s[20:23], 0 offset:536 ; 4-byte Folded Spill
	;; [unrolled: 1-line block ×3, first 2 shown]
	v_add_f64 v[121:122], v[121:122], -v[99:100]
	v_fma_f64 v[101:102], v[103:104], v[97:98], v[101:102]
	v_add_f64 v[123:124], v[123:124], -v[101:102]
.LBB113_109:
	s_or_b64 exec, exec, s[2:3]
	v_cmp_eq_u32_e32 vcc, 12, v0
	s_waitcnt vmcnt(0)
	s_barrier
	s_and_saveexec_b64 s[4:5], vcc
	s_cbranch_execz .LBB113_116
; %bb.110:
	buffer_load_dword v95, off, s[20:23], 0 offset:512 ; 4-byte Folded Reload
	buffer_load_dword v96, off, s[20:23], 0 offset:516 ; 4-byte Folded Reload
	;; [unrolled: 1-line block ×4, first 2 shown]
	s_waitcnt vmcnt(0)
	ds_write2_b64 v127, v[95:96], v[97:98] offset1:1
	buffer_load_dword v95, off, s[20:23], 0 offset:496 ; 4-byte Folded Reload
	buffer_load_dword v96, off, s[20:23], 0 offset:500 ; 4-byte Folded Reload
	buffer_load_dword v97, off, s[20:23], 0 offset:504 ; 4-byte Folded Reload
	buffer_load_dword v98, off, s[20:23], 0 offset:508 ; 4-byte Folded Reload
	s_waitcnt vmcnt(0)
	ds_write2_b64 v125, v[95:96], v[97:98] offset0:26 offset1:27
	buffer_load_dword v95, off, s[20:23], 0 offset:480 ; 4-byte Folded Reload
	buffer_load_dword v96, off, s[20:23], 0 offset:484 ; 4-byte Folded Reload
	buffer_load_dword v97, off, s[20:23], 0 offset:488 ; 4-byte Folded Reload
	buffer_load_dword v98, off, s[20:23], 0 offset:492 ; 4-byte Folded Reload
	s_waitcnt vmcnt(0)
	ds_write2_b64 v125, v[95:96], v[97:98] offset0:28 offset1:29
	;; [unrolled: 6-line block ×21, first 2 shown]
	ds_write2_b64 v125, v[91:92], v[93:94] offset0:68 offset1:69
	buffer_load_dword v77, off, s[20:23], 0 offset:160 ; 4-byte Folded Reload
	buffer_load_dword v78, off, s[20:23], 0 offset:164 ; 4-byte Folded Reload
	buffer_load_dword v79, off, s[20:23], 0 offset:168 ; 4-byte Folded Reload
	buffer_load_dword v80, off, s[20:23], 0 offset:172 ; 4-byte Folded Reload
	s_waitcnt vmcnt(0)
	ds_write2_b64 v125, v[77:78], v[79:80] offset0:70 offset1:71
	buffer_load_dword v77, off, s[20:23], 0 offset:144 ; 4-byte Folded Reload
	buffer_load_dword v78, off, s[20:23], 0 offset:148 ; 4-byte Folded Reload
	buffer_load_dword v79, off, s[20:23], 0 offset:152 ; 4-byte Folded Reload
	buffer_load_dword v80, off, s[20:23], 0 offset:156 ; 4-byte Folded Reload
	s_waitcnt vmcnt(0)
	;; [unrolled: 6-line block ×10, first 2 shown]
	ds_write2_b64 v125, v[45:46], v[47:48] offset0:88 offset1:89
	buffer_load_dword v41, off, s[20:23], 0 ; 4-byte Folded Reload
	buffer_load_dword v42, off, s[20:23], 0 offset:4 ; 4-byte Folded Reload
	buffer_load_dword v43, off, s[20:23], 0 offset:8 ; 4-byte Folded Reload
	;; [unrolled: 1-line block ×3, first 2 shown]
	s_waitcnt vmcnt(0)
	ds_write2_b64 v125, v[41:42], v[43:44] offset0:90 offset1:91
	ds_write2_b64 v125, v[37:38], v[39:40] offset0:92 offset1:93
	;; [unrolled: 1-line block ×12, first 2 shown]
	ds_read2_b64 v[97:100], v127 offset1:1
	s_waitcnt lgkmcnt(0)
	v_cmp_neq_f64_e32 vcc, 0, v[97:98]
	v_cmp_neq_f64_e64 s[2:3], 0, v[99:100]
	s_or_b64 s[2:3], vcc, s[2:3]
	s_and_b64 exec, exec, s[2:3]
	s_cbranch_execz .LBB113_116
; %bb.111:
	v_cmp_ngt_f64_e64 s[2:3], |v[97:98]|, |v[99:100]|
                                        ; implicit-def: $vgpr101_vgpr102
	s_and_saveexec_b64 s[6:7], s[2:3]
	s_xor_b64 s[2:3], exec, s[6:7]
                                        ; implicit-def: $vgpr103_vgpr104
	s_cbranch_execz .LBB113_113
; %bb.112:
	v_div_scale_f64 v[101:102], s[6:7], v[99:100], v[99:100], v[97:98]
	v_rcp_f64_e32 v[103:104], v[101:102]
	v_fma_f64 v[105:106], -v[101:102], v[103:104], 1.0
	v_fma_f64 v[103:104], v[103:104], v[105:106], v[103:104]
	v_div_scale_f64 v[105:106], vcc, v[97:98], v[99:100], v[97:98]
	v_fma_f64 v[107:108], -v[101:102], v[103:104], 1.0
	v_fma_f64 v[103:104], v[103:104], v[107:108], v[103:104]
	v_mul_f64 v[107:108], v[105:106], v[103:104]
	v_fma_f64 v[101:102], -v[101:102], v[107:108], v[105:106]
	v_div_fmas_f64 v[101:102], v[101:102], v[103:104], v[107:108]
	v_div_fixup_f64 v[101:102], v[101:102], v[99:100], v[97:98]
	v_fma_f64 v[97:98], v[97:98], v[101:102], v[99:100]
	v_div_scale_f64 v[99:100], s[6:7], v[97:98], v[97:98], 1.0
	v_div_scale_f64 v[107:108], vcc, 1.0, v[97:98], 1.0
	v_rcp_f64_e32 v[103:104], v[99:100]
	v_fma_f64 v[105:106], -v[99:100], v[103:104], 1.0
	v_fma_f64 v[103:104], v[103:104], v[105:106], v[103:104]
	v_fma_f64 v[105:106], -v[99:100], v[103:104], 1.0
	v_fma_f64 v[103:104], v[103:104], v[105:106], v[103:104]
	v_mul_f64 v[105:106], v[107:108], v[103:104]
	v_fma_f64 v[99:100], -v[99:100], v[105:106], v[107:108]
	v_div_fmas_f64 v[99:100], v[99:100], v[103:104], v[105:106]
	v_div_fixup_f64 v[103:104], v[99:100], v[97:98], 1.0
                                        ; implicit-def: $vgpr97_vgpr98
	v_mul_f64 v[101:102], v[101:102], v[103:104]
	v_xor_b32_e32 v104, 0x80000000, v104
.LBB113_113:
	s_andn2_saveexec_b64 s[2:3], s[2:3]
	s_cbranch_execz .LBB113_115
; %bb.114:
	v_div_scale_f64 v[101:102], s[6:7], v[97:98], v[97:98], v[99:100]
	v_rcp_f64_e32 v[103:104], v[101:102]
	v_fma_f64 v[105:106], -v[101:102], v[103:104], 1.0
	v_fma_f64 v[103:104], v[103:104], v[105:106], v[103:104]
	v_div_scale_f64 v[105:106], vcc, v[99:100], v[97:98], v[99:100]
	v_fma_f64 v[107:108], -v[101:102], v[103:104], 1.0
	v_fma_f64 v[103:104], v[103:104], v[107:108], v[103:104]
	v_mul_f64 v[107:108], v[105:106], v[103:104]
	v_fma_f64 v[101:102], -v[101:102], v[107:108], v[105:106]
	v_div_fmas_f64 v[101:102], v[101:102], v[103:104], v[107:108]
	v_div_fixup_f64 v[103:104], v[101:102], v[97:98], v[99:100]
	v_fma_f64 v[97:98], v[99:100], v[103:104], v[97:98]
	v_div_scale_f64 v[99:100], s[6:7], v[97:98], v[97:98], 1.0
	v_div_scale_f64 v[107:108], vcc, 1.0, v[97:98], 1.0
	v_rcp_f64_e32 v[101:102], v[99:100]
	v_fma_f64 v[105:106], -v[99:100], v[101:102], 1.0
	v_fma_f64 v[101:102], v[101:102], v[105:106], v[101:102]
	v_fma_f64 v[105:106], -v[99:100], v[101:102], 1.0
	v_fma_f64 v[101:102], v[101:102], v[105:106], v[101:102]
	v_mul_f64 v[105:106], v[107:108], v[101:102]
	v_fma_f64 v[99:100], -v[99:100], v[105:106], v[107:108]
	v_div_fmas_f64 v[99:100], v[99:100], v[101:102], v[105:106]
	v_div_fixup_f64 v[101:102], v[99:100], v[97:98], 1.0
	v_mul_f64 v[103:104], v[103:104], -v[101:102]
.LBB113_115:
	s_or_b64 exec, exec, s[2:3]
	ds_write2_b64 v127, v[101:102], v[103:104] offset1:1
.LBB113_116:
	s_or_b64 exec, exec, s[4:5]
	s_waitcnt lgkmcnt(0)
	s_barrier
	ds_read2_b64 v[87:90], v127 offset1:1
	v_cmp_lt_u32_e32 vcc, 12, v0
	s_waitcnt lgkmcnt(0)
	buffer_store_dword v87, off, s[20:23], 0 offset:1360 ; 4-byte Folded Spill
	s_nop 0
	buffer_store_dword v88, off, s[20:23], 0 offset:1364 ; 4-byte Folded Spill
	buffer_store_dword v89, off, s[20:23], 0 offset:1368 ; 4-byte Folded Spill
	;; [unrolled: 1-line block ×3, first 2 shown]
	s_and_saveexec_b64 s[2:3], vcc
	s_cbranch_execz .LBB113_118
; %bb.117:
	buffer_load_dword v107, off, s[20:23], 0 offset:512 ; 4-byte Folded Reload
	buffer_load_dword v108, off, s[20:23], 0 offset:516 ; 4-byte Folded Reload
	;; [unrolled: 1-line block ×8, first 2 shown]
	s_waitcnt vmcnt(2)
	v_mul_f64 v[99:100], v[87:88], v[109:110]
	s_waitcnt vmcnt(0)
	v_mul_f64 v[97:98], v[89:90], v[109:110]
	v_fma_f64 v[109:110], v[89:90], v[107:108], v[99:100]
	ds_read2_b64 v[99:102], v125 offset0:26 offset1:27
	v_fma_f64 v[97:98], v[87:88], v[107:108], -v[97:98]
	buffer_load_dword v105, off, s[20:23], 0 offset:496 ; 4-byte Folded Reload
	buffer_load_dword v106, off, s[20:23], 0 offset:500 ; 4-byte Folded Reload
	buffer_load_dword v107, off, s[20:23], 0 offset:504 ; 4-byte Folded Reload
	buffer_load_dword v108, off, s[20:23], 0 offset:508 ; 4-byte Folded Reload
	s_waitcnt lgkmcnt(0)
	v_mul_f64 v[103:104], v[101:102], v[109:110]
	v_fma_f64 v[103:104], v[99:100], v[97:98], -v[103:104]
	v_mul_f64 v[99:100], v[99:100], v[109:110]
	v_fma_f64 v[99:100], v[101:102], v[97:98], v[99:100]
	s_waitcnt vmcnt(2)
	v_add_f64 v[105:106], v[105:106], -v[103:104]
	s_waitcnt vmcnt(0)
	v_add_f64 v[107:108], v[107:108], -v[99:100]
	buffer_store_dword v105, off, s[20:23], 0 offset:496 ; 4-byte Folded Spill
	s_nop 0
	buffer_store_dword v106, off, s[20:23], 0 offset:500 ; 4-byte Folded Spill
	buffer_store_dword v107, off, s[20:23], 0 offset:504 ; 4-byte Folded Spill
	buffer_store_dword v108, off, s[20:23], 0 offset:508 ; 4-byte Folded Spill
	ds_read2_b64 v[99:102], v125 offset0:28 offset1:29
	buffer_load_dword v105, off, s[20:23], 0 offset:480 ; 4-byte Folded Reload
	buffer_load_dword v106, off, s[20:23], 0 offset:484 ; 4-byte Folded Reload
	buffer_load_dword v107, off, s[20:23], 0 offset:488 ; 4-byte Folded Reload
	buffer_load_dword v108, off, s[20:23], 0 offset:492 ; 4-byte Folded Reload
	s_waitcnt lgkmcnt(0)
	v_mul_f64 v[103:104], v[101:102], v[109:110]
	v_fma_f64 v[103:104], v[99:100], v[97:98], -v[103:104]
	v_mul_f64 v[99:100], v[99:100], v[109:110]
	v_fma_f64 v[99:100], v[101:102], v[97:98], v[99:100]
	s_waitcnt vmcnt(2)
	v_add_f64 v[105:106], v[105:106], -v[103:104]
	s_waitcnt vmcnt(0)
	v_add_f64 v[107:108], v[107:108], -v[99:100]
	buffer_store_dword v105, off, s[20:23], 0 offset:480 ; 4-byte Folded Spill
	s_nop 0
	buffer_store_dword v106, off, s[20:23], 0 offset:484 ; 4-byte Folded Spill
	buffer_store_dword v107, off, s[20:23], 0 offset:488 ; 4-byte Folded Spill
	buffer_store_dword v108, off, s[20:23], 0 offset:492 ; 4-byte Folded Spill
	ds_read2_b64 v[99:102], v125 offset0:30 offset1:31
	;; [unrolled: 19-line block ×21, first 2 shown]
	v_mov_b32_e32 v108, v98
	v_mov_b32_e32 v107, v97
	s_waitcnt lgkmcnt(0)
	v_mul_f64 v[103:104], v[101:102], v[109:110]
	v_fma_f64 v[103:104], v[99:100], v[97:98], -v[103:104]
	v_mul_f64 v[99:100], v[99:100], v[109:110]
	v_add_f64 v[91:92], v[91:92], -v[103:104]
	v_fma_f64 v[99:100], v[101:102], v[97:98], v[99:100]
	v_add_f64 v[93:94], v[93:94], -v[99:100]
	ds_read2_b64 v[99:102], v125 offset0:70 offset1:71
	buffer_load_dword v77, off, s[20:23], 0 offset:160 ; 4-byte Folded Reload
	buffer_load_dword v78, off, s[20:23], 0 offset:164 ; 4-byte Folded Reload
	buffer_load_dword v79, off, s[20:23], 0 offset:168 ; 4-byte Folded Reload
	buffer_load_dword v80, off, s[20:23], 0 offset:172 ; 4-byte Folded Reload
	s_waitcnt lgkmcnt(0)
	v_mul_f64 v[103:104], v[101:102], v[109:110]
	v_fma_f64 v[103:104], v[99:100], v[97:98], -v[103:104]
	v_mul_f64 v[99:100], v[99:100], v[109:110]
	v_fma_f64 v[99:100], v[101:102], v[97:98], v[99:100]
	s_waitcnt vmcnt(2)
	v_add_f64 v[77:78], v[77:78], -v[103:104]
	s_waitcnt vmcnt(0)
	v_add_f64 v[79:80], v[79:80], -v[99:100]
	buffer_store_dword v77, off, s[20:23], 0 offset:160 ; 4-byte Folded Spill
	s_nop 0
	buffer_store_dword v78, off, s[20:23], 0 offset:164 ; 4-byte Folded Spill
	buffer_store_dword v79, off, s[20:23], 0 offset:168 ; 4-byte Folded Spill
	buffer_store_dword v80, off, s[20:23], 0 offset:172 ; 4-byte Folded Spill
	ds_read2_b64 v[99:102], v125 offset0:72 offset1:73
	buffer_load_dword v77, off, s[20:23], 0 offset:144 ; 4-byte Folded Reload
	buffer_load_dword v78, off, s[20:23], 0 offset:148 ; 4-byte Folded Reload
	buffer_load_dword v79, off, s[20:23], 0 offset:152 ; 4-byte Folded Reload
	buffer_load_dword v80, off, s[20:23], 0 offset:156 ; 4-byte Folded Reload
	s_waitcnt lgkmcnt(0)
	v_mul_f64 v[103:104], v[101:102], v[109:110]
	v_fma_f64 v[103:104], v[99:100], v[97:98], -v[103:104]
	v_mul_f64 v[99:100], v[99:100], v[109:110]
	v_fma_f64 v[99:100], v[101:102], v[97:98], v[99:100]
	s_waitcnt vmcnt(2)
	v_add_f64 v[77:78], v[77:78], -v[103:104]
	s_waitcnt vmcnt(0)
	v_add_f64 v[79:80], v[79:80], -v[99:100]
	buffer_store_dword v77, off, s[20:23], 0 offset:144 ; 4-byte Folded Spill
	s_nop 0
	buffer_store_dword v78, off, s[20:23], 0 offset:148 ; 4-byte Folded Spill
	buffer_store_dword v79, off, s[20:23], 0 offset:152 ; 4-byte Folded Spill
	buffer_store_dword v80, off, s[20:23], 0 offset:156 ; 4-byte Folded Spill
	;; [unrolled: 19-line block ×10, first 2 shown]
	ds_read2_b64 v[99:102], v125 offset0:90 offset1:91
	buffer_load_dword v41, off, s[20:23], 0 ; 4-byte Folded Reload
	buffer_load_dword v42, off, s[20:23], 0 offset:4 ; 4-byte Folded Reload
	buffer_load_dword v43, off, s[20:23], 0 offset:8 ; 4-byte Folded Reload
	;; [unrolled: 1-line block ×3, first 2 shown]
	s_waitcnt lgkmcnt(0)
	v_mul_f64 v[103:104], v[101:102], v[109:110]
	v_fma_f64 v[103:104], v[99:100], v[97:98], -v[103:104]
	v_mul_f64 v[99:100], v[99:100], v[109:110]
	v_fma_f64 v[99:100], v[101:102], v[97:98], v[99:100]
	s_waitcnt vmcnt(2)
	v_add_f64 v[41:42], v[41:42], -v[103:104]
	s_waitcnt vmcnt(0)
	v_add_f64 v[43:44], v[43:44], -v[99:100]
	buffer_store_dword v41, off, s[20:23], 0 ; 4-byte Folded Spill
	s_nop 0
	buffer_store_dword v42, off, s[20:23], 0 offset:4 ; 4-byte Folded Spill
	buffer_store_dword v43, off, s[20:23], 0 offset:8 ; 4-byte Folded Spill
	;; [unrolled: 1-line block ×3, first 2 shown]
	ds_read2_b64 v[99:102], v125 offset0:92 offset1:93
	s_waitcnt lgkmcnt(0)
	v_mul_f64 v[103:104], v[101:102], v[109:110]
	v_fma_f64 v[103:104], v[99:100], v[97:98], -v[103:104]
	v_mul_f64 v[99:100], v[99:100], v[109:110]
	v_add_f64 v[37:38], v[37:38], -v[103:104]
	v_fma_f64 v[99:100], v[101:102], v[97:98], v[99:100]
	v_add_f64 v[39:40], v[39:40], -v[99:100]
	ds_read2_b64 v[99:102], v125 offset0:94 offset1:95
	s_waitcnt lgkmcnt(0)
	v_mul_f64 v[103:104], v[101:102], v[109:110]
	v_fma_f64 v[103:104], v[99:100], v[97:98], -v[103:104]
	v_mul_f64 v[99:100], v[99:100], v[109:110]
	v_add_f64 v[33:34], v[33:34], -v[103:104]
	v_fma_f64 v[99:100], v[101:102], v[97:98], v[99:100]
	v_add_f64 v[35:36], v[35:36], -v[99:100]
	;; [unrolled: 8-line block ×9, first 2 shown]
	ds_read2_b64 v[99:102], v125 offset0:110 offset1:111
	s_waitcnt lgkmcnt(0)
	v_mul_f64 v[103:104], v[101:102], v[109:110]
	v_fma_f64 v[103:104], v[99:100], v[97:98], -v[103:104]
	v_mul_f64 v[99:100], v[99:100], v[109:110]
	v_add_f64 v[1:2], v[1:2], -v[103:104]
	v_fma_f64 v[99:100], v[101:102], v[97:98], v[99:100]
	ds_read2_b64 v[101:104], v125 offset0:112 offset1:113
	v_add_f64 v[3:4], v[3:4], -v[99:100]
	s_waitcnt lgkmcnt(0)
	v_mul_f64 v[99:100], v[103:104], v[109:110]
	v_fma_f64 v[99:100], v[101:102], v[97:98], -v[99:100]
	v_mul_f64 v[101:102], v[101:102], v[109:110]
	buffer_store_dword v107, off, s[20:23], 0 offset:512 ; 4-byte Folded Spill
	s_nop 0
	buffer_store_dword v108, off, s[20:23], 0 offset:516 ; 4-byte Folded Spill
	buffer_store_dword v109, off, s[20:23], 0 offset:520 ; 4-byte Folded Spill
	;; [unrolled: 1-line block ×3, first 2 shown]
	v_add_f64 v[121:122], v[121:122], -v[99:100]
	v_fma_f64 v[101:102], v[103:104], v[97:98], v[101:102]
	v_add_f64 v[123:124], v[123:124], -v[101:102]
.LBB113_118:
	s_or_b64 exec, exec, s[2:3]
	v_cmp_eq_u32_e32 vcc, 13, v0
	s_waitcnt vmcnt(0)
	s_barrier
	s_and_saveexec_b64 s[4:5], vcc
	s_cbranch_execz .LBB113_125
; %bb.119:
	buffer_load_dword v95, off, s[20:23], 0 offset:496 ; 4-byte Folded Reload
	buffer_load_dword v96, off, s[20:23], 0 offset:500 ; 4-byte Folded Reload
	;; [unrolled: 1-line block ×4, first 2 shown]
	s_waitcnt vmcnt(0)
	ds_write2_b64 v127, v[95:96], v[97:98] offset1:1
	buffer_load_dword v95, off, s[20:23], 0 offset:480 ; 4-byte Folded Reload
	buffer_load_dword v96, off, s[20:23], 0 offset:484 ; 4-byte Folded Reload
	buffer_load_dword v97, off, s[20:23], 0 offset:488 ; 4-byte Folded Reload
	buffer_load_dword v98, off, s[20:23], 0 offset:492 ; 4-byte Folded Reload
	s_waitcnt vmcnt(0)
	ds_write2_b64 v125, v[95:96], v[97:98] offset0:28 offset1:29
	buffer_load_dword v95, off, s[20:23], 0 offset:464 ; 4-byte Folded Reload
	buffer_load_dword v96, off, s[20:23], 0 offset:468 ; 4-byte Folded Reload
	buffer_load_dword v97, off, s[20:23], 0 offset:472 ; 4-byte Folded Reload
	buffer_load_dword v98, off, s[20:23], 0 offset:476 ; 4-byte Folded Reload
	s_waitcnt vmcnt(0)
	ds_write2_b64 v125, v[95:96], v[97:98] offset0:30 offset1:31
	;; [unrolled: 6-line block ×20, first 2 shown]
	ds_write2_b64 v125, v[91:92], v[93:94] offset0:68 offset1:69
	buffer_load_dword v77, off, s[20:23], 0 offset:160 ; 4-byte Folded Reload
	buffer_load_dword v78, off, s[20:23], 0 offset:164 ; 4-byte Folded Reload
	buffer_load_dword v79, off, s[20:23], 0 offset:168 ; 4-byte Folded Reload
	buffer_load_dword v80, off, s[20:23], 0 offset:172 ; 4-byte Folded Reload
	s_waitcnt vmcnt(0)
	ds_write2_b64 v125, v[77:78], v[79:80] offset0:70 offset1:71
	buffer_load_dword v77, off, s[20:23], 0 offset:144 ; 4-byte Folded Reload
	buffer_load_dword v78, off, s[20:23], 0 offset:148 ; 4-byte Folded Reload
	buffer_load_dword v79, off, s[20:23], 0 offset:152 ; 4-byte Folded Reload
	buffer_load_dword v80, off, s[20:23], 0 offset:156 ; 4-byte Folded Reload
	s_waitcnt vmcnt(0)
	;; [unrolled: 6-line block ×10, first 2 shown]
	ds_write2_b64 v125, v[45:46], v[47:48] offset0:88 offset1:89
	buffer_load_dword v41, off, s[20:23], 0 ; 4-byte Folded Reload
	buffer_load_dword v42, off, s[20:23], 0 offset:4 ; 4-byte Folded Reload
	buffer_load_dword v43, off, s[20:23], 0 offset:8 ; 4-byte Folded Reload
	;; [unrolled: 1-line block ×3, first 2 shown]
	s_waitcnt vmcnt(0)
	ds_write2_b64 v125, v[41:42], v[43:44] offset0:90 offset1:91
	ds_write2_b64 v125, v[37:38], v[39:40] offset0:92 offset1:93
	;; [unrolled: 1-line block ×12, first 2 shown]
	ds_read2_b64 v[97:100], v127 offset1:1
	s_waitcnt lgkmcnt(0)
	v_cmp_neq_f64_e32 vcc, 0, v[97:98]
	v_cmp_neq_f64_e64 s[2:3], 0, v[99:100]
	s_or_b64 s[2:3], vcc, s[2:3]
	s_and_b64 exec, exec, s[2:3]
	s_cbranch_execz .LBB113_125
; %bb.120:
	v_cmp_ngt_f64_e64 s[2:3], |v[97:98]|, |v[99:100]|
                                        ; implicit-def: $vgpr101_vgpr102
	s_and_saveexec_b64 s[6:7], s[2:3]
	s_xor_b64 s[2:3], exec, s[6:7]
                                        ; implicit-def: $vgpr103_vgpr104
	s_cbranch_execz .LBB113_122
; %bb.121:
	v_div_scale_f64 v[101:102], s[6:7], v[99:100], v[99:100], v[97:98]
	v_rcp_f64_e32 v[103:104], v[101:102]
	v_fma_f64 v[105:106], -v[101:102], v[103:104], 1.0
	v_fma_f64 v[103:104], v[103:104], v[105:106], v[103:104]
	v_div_scale_f64 v[105:106], vcc, v[97:98], v[99:100], v[97:98]
	v_fma_f64 v[107:108], -v[101:102], v[103:104], 1.0
	v_fma_f64 v[103:104], v[103:104], v[107:108], v[103:104]
	v_mul_f64 v[107:108], v[105:106], v[103:104]
	v_fma_f64 v[101:102], -v[101:102], v[107:108], v[105:106]
	v_div_fmas_f64 v[101:102], v[101:102], v[103:104], v[107:108]
	v_div_fixup_f64 v[101:102], v[101:102], v[99:100], v[97:98]
	v_fma_f64 v[97:98], v[97:98], v[101:102], v[99:100]
	v_div_scale_f64 v[99:100], s[6:7], v[97:98], v[97:98], 1.0
	v_div_scale_f64 v[107:108], vcc, 1.0, v[97:98], 1.0
	v_rcp_f64_e32 v[103:104], v[99:100]
	v_fma_f64 v[105:106], -v[99:100], v[103:104], 1.0
	v_fma_f64 v[103:104], v[103:104], v[105:106], v[103:104]
	v_fma_f64 v[105:106], -v[99:100], v[103:104], 1.0
	v_fma_f64 v[103:104], v[103:104], v[105:106], v[103:104]
	v_mul_f64 v[105:106], v[107:108], v[103:104]
	v_fma_f64 v[99:100], -v[99:100], v[105:106], v[107:108]
	v_div_fmas_f64 v[99:100], v[99:100], v[103:104], v[105:106]
	v_div_fixup_f64 v[103:104], v[99:100], v[97:98], 1.0
                                        ; implicit-def: $vgpr97_vgpr98
	v_mul_f64 v[101:102], v[101:102], v[103:104]
	v_xor_b32_e32 v104, 0x80000000, v104
.LBB113_122:
	s_andn2_saveexec_b64 s[2:3], s[2:3]
	s_cbranch_execz .LBB113_124
; %bb.123:
	v_div_scale_f64 v[101:102], s[6:7], v[97:98], v[97:98], v[99:100]
	v_rcp_f64_e32 v[103:104], v[101:102]
	v_fma_f64 v[105:106], -v[101:102], v[103:104], 1.0
	v_fma_f64 v[103:104], v[103:104], v[105:106], v[103:104]
	v_div_scale_f64 v[105:106], vcc, v[99:100], v[97:98], v[99:100]
	v_fma_f64 v[107:108], -v[101:102], v[103:104], 1.0
	v_fma_f64 v[103:104], v[103:104], v[107:108], v[103:104]
	v_mul_f64 v[107:108], v[105:106], v[103:104]
	v_fma_f64 v[101:102], -v[101:102], v[107:108], v[105:106]
	v_div_fmas_f64 v[101:102], v[101:102], v[103:104], v[107:108]
	v_div_fixup_f64 v[103:104], v[101:102], v[97:98], v[99:100]
	v_fma_f64 v[97:98], v[99:100], v[103:104], v[97:98]
	v_div_scale_f64 v[99:100], s[6:7], v[97:98], v[97:98], 1.0
	v_div_scale_f64 v[107:108], vcc, 1.0, v[97:98], 1.0
	v_rcp_f64_e32 v[101:102], v[99:100]
	v_fma_f64 v[105:106], -v[99:100], v[101:102], 1.0
	v_fma_f64 v[101:102], v[101:102], v[105:106], v[101:102]
	v_fma_f64 v[105:106], -v[99:100], v[101:102], 1.0
	v_fma_f64 v[101:102], v[101:102], v[105:106], v[101:102]
	v_mul_f64 v[105:106], v[107:108], v[101:102]
	v_fma_f64 v[99:100], -v[99:100], v[105:106], v[107:108]
	v_div_fmas_f64 v[99:100], v[99:100], v[101:102], v[105:106]
	v_div_fixup_f64 v[101:102], v[99:100], v[97:98], 1.0
	v_mul_f64 v[103:104], v[103:104], -v[101:102]
.LBB113_124:
	s_or_b64 exec, exec, s[2:3]
	ds_write2_b64 v127, v[101:102], v[103:104] offset1:1
.LBB113_125:
	s_or_b64 exec, exec, s[4:5]
	s_waitcnt lgkmcnt(0)
	s_barrier
	ds_read2_b64 v[87:90], v127 offset1:1
	v_cmp_lt_u32_e32 vcc, 13, v0
	s_waitcnt lgkmcnt(0)
	buffer_store_dword v87, off, s[20:23], 0 offset:1376 ; 4-byte Folded Spill
	s_nop 0
	buffer_store_dword v88, off, s[20:23], 0 offset:1380 ; 4-byte Folded Spill
	buffer_store_dword v89, off, s[20:23], 0 offset:1384 ; 4-byte Folded Spill
	buffer_store_dword v90, off, s[20:23], 0 offset:1388 ; 4-byte Folded Spill
	s_and_saveexec_b64 s[2:3], vcc
	s_cbranch_execz .LBB113_127
; %bb.126:
	buffer_load_dword v107, off, s[20:23], 0 offset:496 ; 4-byte Folded Reload
	buffer_load_dword v108, off, s[20:23], 0 offset:500 ; 4-byte Folded Reload
	buffer_load_dword v109, off, s[20:23], 0 offset:504 ; 4-byte Folded Reload
	buffer_load_dword v110, off, s[20:23], 0 offset:508 ; 4-byte Folded Reload
	buffer_load_dword v87, off, s[20:23], 0 offset:1376 ; 4-byte Folded Reload
	buffer_load_dword v88, off, s[20:23], 0 offset:1380 ; 4-byte Folded Reload
	buffer_load_dword v89, off, s[20:23], 0 offset:1384 ; 4-byte Folded Reload
	buffer_load_dword v90, off, s[20:23], 0 offset:1388 ; 4-byte Folded Reload
	s_waitcnt vmcnt(2)
	v_mul_f64 v[99:100], v[87:88], v[109:110]
	s_waitcnt vmcnt(0)
	v_mul_f64 v[97:98], v[89:90], v[109:110]
	v_fma_f64 v[109:110], v[89:90], v[107:108], v[99:100]
	ds_read2_b64 v[99:102], v125 offset0:28 offset1:29
	v_fma_f64 v[97:98], v[87:88], v[107:108], -v[97:98]
	buffer_load_dword v105, off, s[20:23], 0 offset:480 ; 4-byte Folded Reload
	buffer_load_dword v106, off, s[20:23], 0 offset:484 ; 4-byte Folded Reload
	buffer_load_dword v107, off, s[20:23], 0 offset:488 ; 4-byte Folded Reload
	buffer_load_dword v108, off, s[20:23], 0 offset:492 ; 4-byte Folded Reload
	s_waitcnt lgkmcnt(0)
	v_mul_f64 v[103:104], v[101:102], v[109:110]
	v_fma_f64 v[103:104], v[99:100], v[97:98], -v[103:104]
	v_mul_f64 v[99:100], v[99:100], v[109:110]
	v_fma_f64 v[99:100], v[101:102], v[97:98], v[99:100]
	s_waitcnt vmcnt(2)
	v_add_f64 v[105:106], v[105:106], -v[103:104]
	s_waitcnt vmcnt(0)
	v_add_f64 v[107:108], v[107:108], -v[99:100]
	buffer_store_dword v105, off, s[20:23], 0 offset:480 ; 4-byte Folded Spill
	s_nop 0
	buffer_store_dword v106, off, s[20:23], 0 offset:484 ; 4-byte Folded Spill
	buffer_store_dword v107, off, s[20:23], 0 offset:488 ; 4-byte Folded Spill
	buffer_store_dword v108, off, s[20:23], 0 offset:492 ; 4-byte Folded Spill
	ds_read2_b64 v[99:102], v125 offset0:30 offset1:31
	buffer_load_dword v105, off, s[20:23], 0 offset:464 ; 4-byte Folded Reload
	buffer_load_dword v106, off, s[20:23], 0 offset:468 ; 4-byte Folded Reload
	buffer_load_dword v107, off, s[20:23], 0 offset:472 ; 4-byte Folded Reload
	buffer_load_dword v108, off, s[20:23], 0 offset:476 ; 4-byte Folded Reload
	s_waitcnt lgkmcnt(0)
	v_mul_f64 v[103:104], v[101:102], v[109:110]
	v_fma_f64 v[103:104], v[99:100], v[97:98], -v[103:104]
	v_mul_f64 v[99:100], v[99:100], v[109:110]
	v_fma_f64 v[99:100], v[101:102], v[97:98], v[99:100]
	s_waitcnt vmcnt(2)
	v_add_f64 v[105:106], v[105:106], -v[103:104]
	s_waitcnt vmcnt(0)
	v_add_f64 v[107:108], v[107:108], -v[99:100]
	buffer_store_dword v105, off, s[20:23], 0 offset:464 ; 4-byte Folded Spill
	s_nop 0
	buffer_store_dword v106, off, s[20:23], 0 offset:468 ; 4-byte Folded Spill
	buffer_store_dword v107, off, s[20:23], 0 offset:472 ; 4-byte Folded Spill
	buffer_store_dword v108, off, s[20:23], 0 offset:476 ; 4-byte Folded Spill
	ds_read2_b64 v[99:102], v125 offset0:32 offset1:33
	;; [unrolled: 19-line block ×20, first 2 shown]
	v_mov_b32_e32 v108, v98
	v_mov_b32_e32 v107, v97
	s_waitcnt lgkmcnt(0)
	v_mul_f64 v[103:104], v[101:102], v[109:110]
	v_fma_f64 v[103:104], v[99:100], v[97:98], -v[103:104]
	v_mul_f64 v[99:100], v[99:100], v[109:110]
	v_add_f64 v[91:92], v[91:92], -v[103:104]
	v_fma_f64 v[99:100], v[101:102], v[97:98], v[99:100]
	v_add_f64 v[93:94], v[93:94], -v[99:100]
	ds_read2_b64 v[99:102], v125 offset0:70 offset1:71
	buffer_load_dword v77, off, s[20:23], 0 offset:160 ; 4-byte Folded Reload
	buffer_load_dword v78, off, s[20:23], 0 offset:164 ; 4-byte Folded Reload
	buffer_load_dword v79, off, s[20:23], 0 offset:168 ; 4-byte Folded Reload
	buffer_load_dword v80, off, s[20:23], 0 offset:172 ; 4-byte Folded Reload
	s_waitcnt lgkmcnt(0)
	v_mul_f64 v[103:104], v[101:102], v[109:110]
	v_fma_f64 v[103:104], v[99:100], v[97:98], -v[103:104]
	v_mul_f64 v[99:100], v[99:100], v[109:110]
	v_fma_f64 v[99:100], v[101:102], v[97:98], v[99:100]
	s_waitcnt vmcnt(2)
	v_add_f64 v[77:78], v[77:78], -v[103:104]
	s_waitcnt vmcnt(0)
	v_add_f64 v[79:80], v[79:80], -v[99:100]
	buffer_store_dword v77, off, s[20:23], 0 offset:160 ; 4-byte Folded Spill
	s_nop 0
	buffer_store_dword v78, off, s[20:23], 0 offset:164 ; 4-byte Folded Spill
	buffer_store_dword v79, off, s[20:23], 0 offset:168 ; 4-byte Folded Spill
	buffer_store_dword v80, off, s[20:23], 0 offset:172 ; 4-byte Folded Spill
	ds_read2_b64 v[99:102], v125 offset0:72 offset1:73
	buffer_load_dword v77, off, s[20:23], 0 offset:144 ; 4-byte Folded Reload
	buffer_load_dword v78, off, s[20:23], 0 offset:148 ; 4-byte Folded Reload
	buffer_load_dword v79, off, s[20:23], 0 offset:152 ; 4-byte Folded Reload
	buffer_load_dword v80, off, s[20:23], 0 offset:156 ; 4-byte Folded Reload
	s_waitcnt lgkmcnt(0)
	v_mul_f64 v[103:104], v[101:102], v[109:110]
	v_fma_f64 v[103:104], v[99:100], v[97:98], -v[103:104]
	v_mul_f64 v[99:100], v[99:100], v[109:110]
	v_fma_f64 v[99:100], v[101:102], v[97:98], v[99:100]
	s_waitcnt vmcnt(2)
	v_add_f64 v[77:78], v[77:78], -v[103:104]
	s_waitcnt vmcnt(0)
	v_add_f64 v[79:80], v[79:80], -v[99:100]
	buffer_store_dword v77, off, s[20:23], 0 offset:144 ; 4-byte Folded Spill
	s_nop 0
	buffer_store_dword v78, off, s[20:23], 0 offset:148 ; 4-byte Folded Spill
	buffer_store_dword v79, off, s[20:23], 0 offset:152 ; 4-byte Folded Spill
	buffer_store_dword v80, off, s[20:23], 0 offset:156 ; 4-byte Folded Spill
	;; [unrolled: 19-line block ×10, first 2 shown]
	ds_read2_b64 v[99:102], v125 offset0:90 offset1:91
	buffer_load_dword v41, off, s[20:23], 0 ; 4-byte Folded Reload
	buffer_load_dword v42, off, s[20:23], 0 offset:4 ; 4-byte Folded Reload
	buffer_load_dword v43, off, s[20:23], 0 offset:8 ; 4-byte Folded Reload
	;; [unrolled: 1-line block ×3, first 2 shown]
	s_waitcnt lgkmcnt(0)
	v_mul_f64 v[103:104], v[101:102], v[109:110]
	v_fma_f64 v[103:104], v[99:100], v[97:98], -v[103:104]
	v_mul_f64 v[99:100], v[99:100], v[109:110]
	v_fma_f64 v[99:100], v[101:102], v[97:98], v[99:100]
	s_waitcnt vmcnt(2)
	v_add_f64 v[41:42], v[41:42], -v[103:104]
	s_waitcnt vmcnt(0)
	v_add_f64 v[43:44], v[43:44], -v[99:100]
	buffer_store_dword v41, off, s[20:23], 0 ; 4-byte Folded Spill
	s_nop 0
	buffer_store_dword v42, off, s[20:23], 0 offset:4 ; 4-byte Folded Spill
	buffer_store_dword v43, off, s[20:23], 0 offset:8 ; 4-byte Folded Spill
	;; [unrolled: 1-line block ×3, first 2 shown]
	ds_read2_b64 v[99:102], v125 offset0:92 offset1:93
	s_waitcnt lgkmcnt(0)
	v_mul_f64 v[103:104], v[101:102], v[109:110]
	v_fma_f64 v[103:104], v[99:100], v[97:98], -v[103:104]
	v_mul_f64 v[99:100], v[99:100], v[109:110]
	v_add_f64 v[37:38], v[37:38], -v[103:104]
	v_fma_f64 v[99:100], v[101:102], v[97:98], v[99:100]
	v_add_f64 v[39:40], v[39:40], -v[99:100]
	ds_read2_b64 v[99:102], v125 offset0:94 offset1:95
	s_waitcnt lgkmcnt(0)
	v_mul_f64 v[103:104], v[101:102], v[109:110]
	v_fma_f64 v[103:104], v[99:100], v[97:98], -v[103:104]
	v_mul_f64 v[99:100], v[99:100], v[109:110]
	v_add_f64 v[33:34], v[33:34], -v[103:104]
	v_fma_f64 v[99:100], v[101:102], v[97:98], v[99:100]
	v_add_f64 v[35:36], v[35:36], -v[99:100]
	;; [unrolled: 8-line block ×9, first 2 shown]
	ds_read2_b64 v[99:102], v125 offset0:110 offset1:111
	s_waitcnt lgkmcnt(0)
	v_mul_f64 v[103:104], v[101:102], v[109:110]
	v_fma_f64 v[103:104], v[99:100], v[97:98], -v[103:104]
	v_mul_f64 v[99:100], v[99:100], v[109:110]
	v_add_f64 v[1:2], v[1:2], -v[103:104]
	v_fma_f64 v[99:100], v[101:102], v[97:98], v[99:100]
	ds_read2_b64 v[101:104], v125 offset0:112 offset1:113
	v_add_f64 v[3:4], v[3:4], -v[99:100]
	s_waitcnt lgkmcnt(0)
	v_mul_f64 v[99:100], v[103:104], v[109:110]
	v_fma_f64 v[99:100], v[101:102], v[97:98], -v[99:100]
	v_mul_f64 v[101:102], v[101:102], v[109:110]
	buffer_store_dword v107, off, s[20:23], 0 offset:496 ; 4-byte Folded Spill
	s_nop 0
	buffer_store_dword v108, off, s[20:23], 0 offset:500 ; 4-byte Folded Spill
	buffer_store_dword v109, off, s[20:23], 0 offset:504 ; 4-byte Folded Spill
	;; [unrolled: 1-line block ×3, first 2 shown]
	v_add_f64 v[121:122], v[121:122], -v[99:100]
	v_fma_f64 v[101:102], v[103:104], v[97:98], v[101:102]
	v_add_f64 v[123:124], v[123:124], -v[101:102]
.LBB113_127:
	s_or_b64 exec, exec, s[2:3]
	v_cmp_eq_u32_e32 vcc, 14, v0
	s_waitcnt vmcnt(0)
	s_barrier
	s_and_saveexec_b64 s[4:5], vcc
	s_cbranch_execz .LBB113_134
; %bb.128:
	buffer_load_dword v95, off, s[20:23], 0 offset:480 ; 4-byte Folded Reload
	buffer_load_dword v96, off, s[20:23], 0 offset:484 ; 4-byte Folded Reload
	;; [unrolled: 1-line block ×4, first 2 shown]
	s_waitcnt vmcnt(0)
	ds_write2_b64 v127, v[95:96], v[97:98] offset1:1
	buffer_load_dword v95, off, s[20:23], 0 offset:464 ; 4-byte Folded Reload
	buffer_load_dword v96, off, s[20:23], 0 offset:468 ; 4-byte Folded Reload
	buffer_load_dword v97, off, s[20:23], 0 offset:472 ; 4-byte Folded Reload
	buffer_load_dword v98, off, s[20:23], 0 offset:476 ; 4-byte Folded Reload
	s_waitcnt vmcnt(0)
	ds_write2_b64 v125, v[95:96], v[97:98] offset0:30 offset1:31
	buffer_load_dword v95, off, s[20:23], 0 offset:448 ; 4-byte Folded Reload
	buffer_load_dword v96, off, s[20:23], 0 offset:452 ; 4-byte Folded Reload
	buffer_load_dword v97, off, s[20:23], 0 offset:456 ; 4-byte Folded Reload
	buffer_load_dword v98, off, s[20:23], 0 offset:460 ; 4-byte Folded Reload
	s_waitcnt vmcnt(0)
	ds_write2_b64 v125, v[95:96], v[97:98] offset0:32 offset1:33
	;; [unrolled: 6-line block ×19, first 2 shown]
	ds_write2_b64 v125, v[91:92], v[93:94] offset0:68 offset1:69
	buffer_load_dword v77, off, s[20:23], 0 offset:160 ; 4-byte Folded Reload
	buffer_load_dword v78, off, s[20:23], 0 offset:164 ; 4-byte Folded Reload
	buffer_load_dword v79, off, s[20:23], 0 offset:168 ; 4-byte Folded Reload
	buffer_load_dword v80, off, s[20:23], 0 offset:172 ; 4-byte Folded Reload
	s_waitcnt vmcnt(0)
	ds_write2_b64 v125, v[77:78], v[79:80] offset0:70 offset1:71
	buffer_load_dword v77, off, s[20:23], 0 offset:144 ; 4-byte Folded Reload
	buffer_load_dword v78, off, s[20:23], 0 offset:148 ; 4-byte Folded Reload
	buffer_load_dword v79, off, s[20:23], 0 offset:152 ; 4-byte Folded Reload
	buffer_load_dword v80, off, s[20:23], 0 offset:156 ; 4-byte Folded Reload
	s_waitcnt vmcnt(0)
	;; [unrolled: 6-line block ×10, first 2 shown]
	ds_write2_b64 v125, v[45:46], v[47:48] offset0:88 offset1:89
	buffer_load_dword v41, off, s[20:23], 0 ; 4-byte Folded Reload
	buffer_load_dword v42, off, s[20:23], 0 offset:4 ; 4-byte Folded Reload
	buffer_load_dword v43, off, s[20:23], 0 offset:8 ; 4-byte Folded Reload
	;; [unrolled: 1-line block ×3, first 2 shown]
	s_waitcnt vmcnt(0)
	ds_write2_b64 v125, v[41:42], v[43:44] offset0:90 offset1:91
	ds_write2_b64 v125, v[37:38], v[39:40] offset0:92 offset1:93
	;; [unrolled: 1-line block ×12, first 2 shown]
	ds_read2_b64 v[97:100], v127 offset1:1
	s_waitcnt lgkmcnt(0)
	v_cmp_neq_f64_e32 vcc, 0, v[97:98]
	v_cmp_neq_f64_e64 s[2:3], 0, v[99:100]
	s_or_b64 s[2:3], vcc, s[2:3]
	s_and_b64 exec, exec, s[2:3]
	s_cbranch_execz .LBB113_134
; %bb.129:
	v_cmp_ngt_f64_e64 s[2:3], |v[97:98]|, |v[99:100]|
                                        ; implicit-def: $vgpr101_vgpr102
	s_and_saveexec_b64 s[6:7], s[2:3]
	s_xor_b64 s[2:3], exec, s[6:7]
                                        ; implicit-def: $vgpr103_vgpr104
	s_cbranch_execz .LBB113_131
; %bb.130:
	v_div_scale_f64 v[101:102], s[6:7], v[99:100], v[99:100], v[97:98]
	v_rcp_f64_e32 v[103:104], v[101:102]
	v_fma_f64 v[105:106], -v[101:102], v[103:104], 1.0
	v_fma_f64 v[103:104], v[103:104], v[105:106], v[103:104]
	v_div_scale_f64 v[105:106], vcc, v[97:98], v[99:100], v[97:98]
	v_fma_f64 v[107:108], -v[101:102], v[103:104], 1.0
	v_fma_f64 v[103:104], v[103:104], v[107:108], v[103:104]
	v_mul_f64 v[107:108], v[105:106], v[103:104]
	v_fma_f64 v[101:102], -v[101:102], v[107:108], v[105:106]
	v_div_fmas_f64 v[101:102], v[101:102], v[103:104], v[107:108]
	v_div_fixup_f64 v[101:102], v[101:102], v[99:100], v[97:98]
	v_fma_f64 v[97:98], v[97:98], v[101:102], v[99:100]
	v_div_scale_f64 v[99:100], s[6:7], v[97:98], v[97:98], 1.0
	v_div_scale_f64 v[107:108], vcc, 1.0, v[97:98], 1.0
	v_rcp_f64_e32 v[103:104], v[99:100]
	v_fma_f64 v[105:106], -v[99:100], v[103:104], 1.0
	v_fma_f64 v[103:104], v[103:104], v[105:106], v[103:104]
	v_fma_f64 v[105:106], -v[99:100], v[103:104], 1.0
	v_fma_f64 v[103:104], v[103:104], v[105:106], v[103:104]
	v_mul_f64 v[105:106], v[107:108], v[103:104]
	v_fma_f64 v[99:100], -v[99:100], v[105:106], v[107:108]
	v_div_fmas_f64 v[99:100], v[99:100], v[103:104], v[105:106]
	v_div_fixup_f64 v[103:104], v[99:100], v[97:98], 1.0
                                        ; implicit-def: $vgpr97_vgpr98
	v_mul_f64 v[101:102], v[101:102], v[103:104]
	v_xor_b32_e32 v104, 0x80000000, v104
.LBB113_131:
	s_andn2_saveexec_b64 s[2:3], s[2:3]
	s_cbranch_execz .LBB113_133
; %bb.132:
	v_div_scale_f64 v[101:102], s[6:7], v[97:98], v[97:98], v[99:100]
	v_rcp_f64_e32 v[103:104], v[101:102]
	v_fma_f64 v[105:106], -v[101:102], v[103:104], 1.0
	v_fma_f64 v[103:104], v[103:104], v[105:106], v[103:104]
	v_div_scale_f64 v[105:106], vcc, v[99:100], v[97:98], v[99:100]
	v_fma_f64 v[107:108], -v[101:102], v[103:104], 1.0
	v_fma_f64 v[103:104], v[103:104], v[107:108], v[103:104]
	v_mul_f64 v[107:108], v[105:106], v[103:104]
	v_fma_f64 v[101:102], -v[101:102], v[107:108], v[105:106]
	v_div_fmas_f64 v[101:102], v[101:102], v[103:104], v[107:108]
	v_div_fixup_f64 v[103:104], v[101:102], v[97:98], v[99:100]
	v_fma_f64 v[97:98], v[99:100], v[103:104], v[97:98]
	v_div_scale_f64 v[99:100], s[6:7], v[97:98], v[97:98], 1.0
	v_div_scale_f64 v[107:108], vcc, 1.0, v[97:98], 1.0
	v_rcp_f64_e32 v[101:102], v[99:100]
	v_fma_f64 v[105:106], -v[99:100], v[101:102], 1.0
	v_fma_f64 v[101:102], v[101:102], v[105:106], v[101:102]
	v_fma_f64 v[105:106], -v[99:100], v[101:102], 1.0
	v_fma_f64 v[101:102], v[101:102], v[105:106], v[101:102]
	v_mul_f64 v[105:106], v[107:108], v[101:102]
	v_fma_f64 v[99:100], -v[99:100], v[105:106], v[107:108]
	v_div_fmas_f64 v[99:100], v[99:100], v[101:102], v[105:106]
	v_div_fixup_f64 v[101:102], v[99:100], v[97:98], 1.0
	v_mul_f64 v[103:104], v[103:104], -v[101:102]
.LBB113_133:
	s_or_b64 exec, exec, s[2:3]
	ds_write2_b64 v127, v[101:102], v[103:104] offset1:1
.LBB113_134:
	s_or_b64 exec, exec, s[4:5]
	s_waitcnt lgkmcnt(0)
	s_barrier
	ds_read2_b64 v[87:90], v127 offset1:1
	v_cmp_lt_u32_e32 vcc, 14, v0
	s_waitcnt lgkmcnt(0)
	buffer_store_dword v87, off, s[20:23], 0 offset:1392 ; 4-byte Folded Spill
	s_nop 0
	buffer_store_dword v88, off, s[20:23], 0 offset:1396 ; 4-byte Folded Spill
	buffer_store_dword v89, off, s[20:23], 0 offset:1400 ; 4-byte Folded Spill
	;; [unrolled: 1-line block ×3, first 2 shown]
	s_and_saveexec_b64 s[2:3], vcc
	s_cbranch_execz .LBB113_136
; %bb.135:
	buffer_load_dword v107, off, s[20:23], 0 offset:480 ; 4-byte Folded Reload
	buffer_load_dword v108, off, s[20:23], 0 offset:484 ; 4-byte Folded Reload
	;; [unrolled: 1-line block ×8, first 2 shown]
	s_waitcnt vmcnt(2)
	v_mul_f64 v[99:100], v[87:88], v[109:110]
	s_waitcnt vmcnt(0)
	v_mul_f64 v[97:98], v[89:90], v[109:110]
	v_fma_f64 v[109:110], v[89:90], v[107:108], v[99:100]
	ds_read2_b64 v[99:102], v125 offset0:30 offset1:31
	v_fma_f64 v[97:98], v[87:88], v[107:108], -v[97:98]
	buffer_load_dword v105, off, s[20:23], 0 offset:464 ; 4-byte Folded Reload
	buffer_load_dword v106, off, s[20:23], 0 offset:468 ; 4-byte Folded Reload
	buffer_load_dword v107, off, s[20:23], 0 offset:472 ; 4-byte Folded Reload
	buffer_load_dword v108, off, s[20:23], 0 offset:476 ; 4-byte Folded Reload
	s_waitcnt lgkmcnt(0)
	v_mul_f64 v[103:104], v[101:102], v[109:110]
	v_fma_f64 v[103:104], v[99:100], v[97:98], -v[103:104]
	v_mul_f64 v[99:100], v[99:100], v[109:110]
	v_fma_f64 v[99:100], v[101:102], v[97:98], v[99:100]
	s_waitcnt vmcnt(2)
	v_add_f64 v[105:106], v[105:106], -v[103:104]
	s_waitcnt vmcnt(0)
	v_add_f64 v[107:108], v[107:108], -v[99:100]
	buffer_store_dword v105, off, s[20:23], 0 offset:464 ; 4-byte Folded Spill
	s_nop 0
	buffer_store_dword v106, off, s[20:23], 0 offset:468 ; 4-byte Folded Spill
	buffer_store_dword v107, off, s[20:23], 0 offset:472 ; 4-byte Folded Spill
	buffer_store_dword v108, off, s[20:23], 0 offset:476 ; 4-byte Folded Spill
	ds_read2_b64 v[99:102], v125 offset0:32 offset1:33
	buffer_load_dword v105, off, s[20:23], 0 offset:448 ; 4-byte Folded Reload
	buffer_load_dword v106, off, s[20:23], 0 offset:452 ; 4-byte Folded Reload
	buffer_load_dword v107, off, s[20:23], 0 offset:456 ; 4-byte Folded Reload
	buffer_load_dword v108, off, s[20:23], 0 offset:460 ; 4-byte Folded Reload
	s_waitcnt lgkmcnt(0)
	v_mul_f64 v[103:104], v[101:102], v[109:110]
	v_fma_f64 v[103:104], v[99:100], v[97:98], -v[103:104]
	v_mul_f64 v[99:100], v[99:100], v[109:110]
	v_fma_f64 v[99:100], v[101:102], v[97:98], v[99:100]
	s_waitcnt vmcnt(2)
	v_add_f64 v[105:106], v[105:106], -v[103:104]
	s_waitcnt vmcnt(0)
	v_add_f64 v[107:108], v[107:108], -v[99:100]
	buffer_store_dword v105, off, s[20:23], 0 offset:448 ; 4-byte Folded Spill
	s_nop 0
	buffer_store_dword v106, off, s[20:23], 0 offset:452 ; 4-byte Folded Spill
	buffer_store_dword v107, off, s[20:23], 0 offset:456 ; 4-byte Folded Spill
	buffer_store_dword v108, off, s[20:23], 0 offset:460 ; 4-byte Folded Spill
	ds_read2_b64 v[99:102], v125 offset0:34 offset1:35
	buffer_load_dword v105, off, s[20:23], 0 offset:432 ; 4-byte Folded Reload
	buffer_load_dword v106, off, s[20:23], 0 offset:436 ; 4-byte Folded Reload
	buffer_load_dword v107, off, s[20:23], 0 offset:440 ; 4-byte Folded Reload
	buffer_load_dword v108, off, s[20:23], 0 offset:444 ; 4-byte Folded Reload
	s_waitcnt lgkmcnt(0)
	v_mul_f64 v[103:104], v[101:102], v[109:110]
	v_fma_f64 v[103:104], v[99:100], v[97:98], -v[103:104]
	v_mul_f64 v[99:100], v[99:100], v[109:110]
	v_fma_f64 v[99:100], v[101:102], v[97:98], v[99:100]
	s_waitcnt vmcnt(2)
	v_add_f64 v[105:106], v[105:106], -v[103:104]
	s_waitcnt vmcnt(0)
	v_add_f64 v[107:108], v[107:108], -v[99:100]
	buffer_store_dword v105, off, s[20:23], 0 offset:432 ; 4-byte Folded Spill
	s_nop 0
	buffer_store_dword v106, off, s[20:23], 0 offset:436 ; 4-byte Folded Spill
	buffer_store_dword v107, off, s[20:23], 0 offset:440 ; 4-byte Folded Spill
	buffer_store_dword v108, off, s[20:23], 0 offset:444 ; 4-byte Folded Spill
	ds_read2_b64 v[99:102], v125 offset0:36 offset1:37
	buffer_load_dword v105, off, s[20:23], 0 offset:416 ; 4-byte Folded Reload
	buffer_load_dword v106, off, s[20:23], 0 offset:420 ; 4-byte Folded Reload
	buffer_load_dword v107, off, s[20:23], 0 offset:424 ; 4-byte Folded Reload
	buffer_load_dword v108, off, s[20:23], 0 offset:428 ; 4-byte Folded Reload
	s_waitcnt lgkmcnt(0)
	v_mul_f64 v[103:104], v[101:102], v[109:110]
	v_fma_f64 v[103:104], v[99:100], v[97:98], -v[103:104]
	v_mul_f64 v[99:100], v[99:100], v[109:110]
	v_fma_f64 v[99:100], v[101:102], v[97:98], v[99:100]
	s_waitcnt vmcnt(2)
	v_add_f64 v[105:106], v[105:106], -v[103:104]
	s_waitcnt vmcnt(0)
	v_add_f64 v[107:108], v[107:108], -v[99:100]
	buffer_store_dword v105, off, s[20:23], 0 offset:416 ; 4-byte Folded Spill
	s_nop 0
	buffer_store_dword v106, off, s[20:23], 0 offset:420 ; 4-byte Folded Spill
	buffer_store_dword v107, off, s[20:23], 0 offset:424 ; 4-byte Folded Spill
	buffer_store_dword v108, off, s[20:23], 0 offset:428 ; 4-byte Folded Spill
	ds_read2_b64 v[99:102], v125 offset0:38 offset1:39
	buffer_load_dword v105, off, s[20:23], 0 offset:400 ; 4-byte Folded Reload
	buffer_load_dword v106, off, s[20:23], 0 offset:404 ; 4-byte Folded Reload
	buffer_load_dword v107, off, s[20:23], 0 offset:408 ; 4-byte Folded Reload
	buffer_load_dword v108, off, s[20:23], 0 offset:412 ; 4-byte Folded Reload
	s_waitcnt lgkmcnt(0)
	v_mul_f64 v[103:104], v[101:102], v[109:110]
	v_fma_f64 v[103:104], v[99:100], v[97:98], -v[103:104]
	v_mul_f64 v[99:100], v[99:100], v[109:110]
	v_fma_f64 v[99:100], v[101:102], v[97:98], v[99:100]
	s_waitcnt vmcnt(2)
	v_add_f64 v[105:106], v[105:106], -v[103:104]
	s_waitcnt vmcnt(0)
	v_add_f64 v[107:108], v[107:108], -v[99:100]
	buffer_store_dword v105, off, s[20:23], 0 offset:400 ; 4-byte Folded Spill
	s_nop 0
	buffer_store_dword v106, off, s[20:23], 0 offset:404 ; 4-byte Folded Spill
	buffer_store_dword v107, off, s[20:23], 0 offset:408 ; 4-byte Folded Spill
	buffer_store_dword v108, off, s[20:23], 0 offset:412 ; 4-byte Folded Spill
	ds_read2_b64 v[99:102], v125 offset0:40 offset1:41
	buffer_load_dword v105, off, s[20:23], 0 offset:384 ; 4-byte Folded Reload
	buffer_load_dword v106, off, s[20:23], 0 offset:388 ; 4-byte Folded Reload
	buffer_load_dword v107, off, s[20:23], 0 offset:392 ; 4-byte Folded Reload
	buffer_load_dword v108, off, s[20:23], 0 offset:396 ; 4-byte Folded Reload
	s_waitcnt lgkmcnt(0)
	v_mul_f64 v[103:104], v[101:102], v[109:110]
	v_fma_f64 v[103:104], v[99:100], v[97:98], -v[103:104]
	v_mul_f64 v[99:100], v[99:100], v[109:110]
	v_fma_f64 v[99:100], v[101:102], v[97:98], v[99:100]
	s_waitcnt vmcnt(2)
	v_add_f64 v[105:106], v[105:106], -v[103:104]
	s_waitcnt vmcnt(0)
	v_add_f64 v[107:108], v[107:108], -v[99:100]
	buffer_store_dword v105, off, s[20:23], 0 offset:384 ; 4-byte Folded Spill
	s_nop 0
	buffer_store_dword v106, off, s[20:23], 0 offset:388 ; 4-byte Folded Spill
	buffer_store_dword v107, off, s[20:23], 0 offset:392 ; 4-byte Folded Spill
	buffer_store_dword v108, off, s[20:23], 0 offset:396 ; 4-byte Folded Spill
	ds_read2_b64 v[99:102], v125 offset0:42 offset1:43
	buffer_load_dword v105, off, s[20:23], 0 offset:368 ; 4-byte Folded Reload
	buffer_load_dword v106, off, s[20:23], 0 offset:372 ; 4-byte Folded Reload
	buffer_load_dword v107, off, s[20:23], 0 offset:376 ; 4-byte Folded Reload
	buffer_load_dword v108, off, s[20:23], 0 offset:380 ; 4-byte Folded Reload
	s_waitcnt lgkmcnt(0)
	v_mul_f64 v[103:104], v[101:102], v[109:110]
	v_fma_f64 v[103:104], v[99:100], v[97:98], -v[103:104]
	v_mul_f64 v[99:100], v[99:100], v[109:110]
	v_fma_f64 v[99:100], v[101:102], v[97:98], v[99:100]
	s_waitcnt vmcnt(2)
	v_add_f64 v[105:106], v[105:106], -v[103:104]
	s_waitcnt vmcnt(0)
	v_add_f64 v[107:108], v[107:108], -v[99:100]
	buffer_store_dword v105, off, s[20:23], 0 offset:368 ; 4-byte Folded Spill
	s_nop 0
	buffer_store_dword v106, off, s[20:23], 0 offset:372 ; 4-byte Folded Spill
	buffer_store_dword v107, off, s[20:23], 0 offset:376 ; 4-byte Folded Spill
	buffer_store_dword v108, off, s[20:23], 0 offset:380 ; 4-byte Folded Spill
	ds_read2_b64 v[99:102], v125 offset0:44 offset1:45
	buffer_load_dword v105, off, s[20:23], 0 offset:352 ; 4-byte Folded Reload
	buffer_load_dword v106, off, s[20:23], 0 offset:356 ; 4-byte Folded Reload
	buffer_load_dword v107, off, s[20:23], 0 offset:360 ; 4-byte Folded Reload
	buffer_load_dword v108, off, s[20:23], 0 offset:364 ; 4-byte Folded Reload
	s_waitcnt lgkmcnt(0)
	v_mul_f64 v[103:104], v[101:102], v[109:110]
	v_fma_f64 v[103:104], v[99:100], v[97:98], -v[103:104]
	v_mul_f64 v[99:100], v[99:100], v[109:110]
	v_fma_f64 v[99:100], v[101:102], v[97:98], v[99:100]
	s_waitcnt vmcnt(2)
	v_add_f64 v[105:106], v[105:106], -v[103:104]
	s_waitcnt vmcnt(0)
	v_add_f64 v[107:108], v[107:108], -v[99:100]
	buffer_store_dword v105, off, s[20:23], 0 offset:352 ; 4-byte Folded Spill
	s_nop 0
	buffer_store_dword v106, off, s[20:23], 0 offset:356 ; 4-byte Folded Spill
	buffer_store_dword v107, off, s[20:23], 0 offset:360 ; 4-byte Folded Spill
	buffer_store_dword v108, off, s[20:23], 0 offset:364 ; 4-byte Folded Spill
	ds_read2_b64 v[99:102], v125 offset0:46 offset1:47
	buffer_load_dword v105, off, s[20:23], 0 offset:336 ; 4-byte Folded Reload
	buffer_load_dword v106, off, s[20:23], 0 offset:340 ; 4-byte Folded Reload
	buffer_load_dword v107, off, s[20:23], 0 offset:344 ; 4-byte Folded Reload
	buffer_load_dword v108, off, s[20:23], 0 offset:348 ; 4-byte Folded Reload
	s_waitcnt lgkmcnt(0)
	v_mul_f64 v[103:104], v[101:102], v[109:110]
	v_fma_f64 v[103:104], v[99:100], v[97:98], -v[103:104]
	v_mul_f64 v[99:100], v[99:100], v[109:110]
	v_fma_f64 v[99:100], v[101:102], v[97:98], v[99:100]
	s_waitcnt vmcnt(2)
	v_add_f64 v[105:106], v[105:106], -v[103:104]
	s_waitcnt vmcnt(0)
	v_add_f64 v[107:108], v[107:108], -v[99:100]
	buffer_store_dword v105, off, s[20:23], 0 offset:336 ; 4-byte Folded Spill
	s_nop 0
	buffer_store_dword v106, off, s[20:23], 0 offset:340 ; 4-byte Folded Spill
	buffer_store_dword v107, off, s[20:23], 0 offset:344 ; 4-byte Folded Spill
	buffer_store_dword v108, off, s[20:23], 0 offset:348 ; 4-byte Folded Spill
	ds_read2_b64 v[99:102], v125 offset0:48 offset1:49
	buffer_load_dword v105, off, s[20:23], 0 offset:320 ; 4-byte Folded Reload
	buffer_load_dword v106, off, s[20:23], 0 offset:324 ; 4-byte Folded Reload
	buffer_load_dword v107, off, s[20:23], 0 offset:328 ; 4-byte Folded Reload
	buffer_load_dword v108, off, s[20:23], 0 offset:332 ; 4-byte Folded Reload
	s_waitcnt lgkmcnt(0)
	v_mul_f64 v[103:104], v[101:102], v[109:110]
	v_fma_f64 v[103:104], v[99:100], v[97:98], -v[103:104]
	v_mul_f64 v[99:100], v[99:100], v[109:110]
	v_fma_f64 v[99:100], v[101:102], v[97:98], v[99:100]
	s_waitcnt vmcnt(2)
	v_add_f64 v[105:106], v[105:106], -v[103:104]
	s_waitcnt vmcnt(0)
	v_add_f64 v[107:108], v[107:108], -v[99:100]
	buffer_store_dword v105, off, s[20:23], 0 offset:320 ; 4-byte Folded Spill
	s_nop 0
	buffer_store_dword v106, off, s[20:23], 0 offset:324 ; 4-byte Folded Spill
	buffer_store_dword v107, off, s[20:23], 0 offset:328 ; 4-byte Folded Spill
	buffer_store_dword v108, off, s[20:23], 0 offset:332 ; 4-byte Folded Spill
	ds_read2_b64 v[99:102], v125 offset0:50 offset1:51
	buffer_load_dword v105, off, s[20:23], 0 offset:304 ; 4-byte Folded Reload
	buffer_load_dword v106, off, s[20:23], 0 offset:308 ; 4-byte Folded Reload
	buffer_load_dword v107, off, s[20:23], 0 offset:312 ; 4-byte Folded Reload
	buffer_load_dword v108, off, s[20:23], 0 offset:316 ; 4-byte Folded Reload
	s_waitcnt lgkmcnt(0)
	v_mul_f64 v[103:104], v[101:102], v[109:110]
	v_fma_f64 v[103:104], v[99:100], v[97:98], -v[103:104]
	v_mul_f64 v[99:100], v[99:100], v[109:110]
	v_fma_f64 v[99:100], v[101:102], v[97:98], v[99:100]
	s_waitcnt vmcnt(2)
	v_add_f64 v[105:106], v[105:106], -v[103:104]
	s_waitcnt vmcnt(0)
	v_add_f64 v[107:108], v[107:108], -v[99:100]
	buffer_store_dword v105, off, s[20:23], 0 offset:304 ; 4-byte Folded Spill
	s_nop 0
	buffer_store_dword v106, off, s[20:23], 0 offset:308 ; 4-byte Folded Spill
	buffer_store_dword v107, off, s[20:23], 0 offset:312 ; 4-byte Folded Spill
	buffer_store_dword v108, off, s[20:23], 0 offset:316 ; 4-byte Folded Spill
	ds_read2_b64 v[99:102], v125 offset0:52 offset1:53
	buffer_load_dword v105, off, s[20:23], 0 offset:288 ; 4-byte Folded Reload
	buffer_load_dword v106, off, s[20:23], 0 offset:292 ; 4-byte Folded Reload
	buffer_load_dword v107, off, s[20:23], 0 offset:296 ; 4-byte Folded Reload
	buffer_load_dword v108, off, s[20:23], 0 offset:300 ; 4-byte Folded Reload
	s_waitcnt lgkmcnt(0)
	v_mul_f64 v[103:104], v[101:102], v[109:110]
	v_fma_f64 v[103:104], v[99:100], v[97:98], -v[103:104]
	v_mul_f64 v[99:100], v[99:100], v[109:110]
	v_fma_f64 v[99:100], v[101:102], v[97:98], v[99:100]
	s_waitcnt vmcnt(2)
	v_add_f64 v[105:106], v[105:106], -v[103:104]
	s_waitcnt vmcnt(0)
	v_add_f64 v[107:108], v[107:108], -v[99:100]
	buffer_store_dword v105, off, s[20:23], 0 offset:288 ; 4-byte Folded Spill
	s_nop 0
	buffer_store_dword v106, off, s[20:23], 0 offset:292 ; 4-byte Folded Spill
	buffer_store_dword v107, off, s[20:23], 0 offset:296 ; 4-byte Folded Spill
	buffer_store_dword v108, off, s[20:23], 0 offset:300 ; 4-byte Folded Spill
	ds_read2_b64 v[99:102], v125 offset0:54 offset1:55
	buffer_load_dword v105, off, s[20:23], 0 offset:272 ; 4-byte Folded Reload
	buffer_load_dword v106, off, s[20:23], 0 offset:276 ; 4-byte Folded Reload
	buffer_load_dword v107, off, s[20:23], 0 offset:280 ; 4-byte Folded Reload
	buffer_load_dword v108, off, s[20:23], 0 offset:284 ; 4-byte Folded Reload
	s_waitcnt lgkmcnt(0)
	v_mul_f64 v[103:104], v[101:102], v[109:110]
	v_fma_f64 v[103:104], v[99:100], v[97:98], -v[103:104]
	v_mul_f64 v[99:100], v[99:100], v[109:110]
	v_fma_f64 v[99:100], v[101:102], v[97:98], v[99:100]
	s_waitcnt vmcnt(2)
	v_add_f64 v[105:106], v[105:106], -v[103:104]
	s_waitcnt vmcnt(0)
	v_add_f64 v[107:108], v[107:108], -v[99:100]
	buffer_store_dword v105, off, s[20:23], 0 offset:272 ; 4-byte Folded Spill
	s_nop 0
	buffer_store_dword v106, off, s[20:23], 0 offset:276 ; 4-byte Folded Spill
	buffer_store_dword v107, off, s[20:23], 0 offset:280 ; 4-byte Folded Spill
	buffer_store_dword v108, off, s[20:23], 0 offset:284 ; 4-byte Folded Spill
	ds_read2_b64 v[99:102], v125 offset0:56 offset1:57
	buffer_load_dword v105, off, s[20:23], 0 offset:256 ; 4-byte Folded Reload
	buffer_load_dword v106, off, s[20:23], 0 offset:260 ; 4-byte Folded Reload
	buffer_load_dword v107, off, s[20:23], 0 offset:264 ; 4-byte Folded Reload
	buffer_load_dword v108, off, s[20:23], 0 offset:268 ; 4-byte Folded Reload
	s_waitcnt lgkmcnt(0)
	v_mul_f64 v[103:104], v[101:102], v[109:110]
	v_fma_f64 v[103:104], v[99:100], v[97:98], -v[103:104]
	v_mul_f64 v[99:100], v[99:100], v[109:110]
	v_fma_f64 v[99:100], v[101:102], v[97:98], v[99:100]
	s_waitcnt vmcnt(2)
	v_add_f64 v[105:106], v[105:106], -v[103:104]
	s_waitcnt vmcnt(0)
	v_add_f64 v[107:108], v[107:108], -v[99:100]
	buffer_store_dword v105, off, s[20:23], 0 offset:256 ; 4-byte Folded Spill
	s_nop 0
	buffer_store_dword v106, off, s[20:23], 0 offset:260 ; 4-byte Folded Spill
	buffer_store_dword v107, off, s[20:23], 0 offset:264 ; 4-byte Folded Spill
	buffer_store_dword v108, off, s[20:23], 0 offset:268 ; 4-byte Folded Spill
	ds_read2_b64 v[99:102], v125 offset0:58 offset1:59
	buffer_load_dword v105, off, s[20:23], 0 offset:240 ; 4-byte Folded Reload
	buffer_load_dword v106, off, s[20:23], 0 offset:244 ; 4-byte Folded Reload
	buffer_load_dword v107, off, s[20:23], 0 offset:248 ; 4-byte Folded Reload
	buffer_load_dword v108, off, s[20:23], 0 offset:252 ; 4-byte Folded Reload
	s_waitcnt lgkmcnt(0)
	v_mul_f64 v[103:104], v[101:102], v[109:110]
	v_fma_f64 v[103:104], v[99:100], v[97:98], -v[103:104]
	v_mul_f64 v[99:100], v[99:100], v[109:110]
	v_fma_f64 v[99:100], v[101:102], v[97:98], v[99:100]
	s_waitcnt vmcnt(2)
	v_add_f64 v[105:106], v[105:106], -v[103:104]
	s_waitcnt vmcnt(0)
	v_add_f64 v[107:108], v[107:108], -v[99:100]
	buffer_store_dword v105, off, s[20:23], 0 offset:240 ; 4-byte Folded Spill
	s_nop 0
	buffer_store_dword v106, off, s[20:23], 0 offset:244 ; 4-byte Folded Spill
	buffer_store_dword v107, off, s[20:23], 0 offset:248 ; 4-byte Folded Spill
	buffer_store_dword v108, off, s[20:23], 0 offset:252 ; 4-byte Folded Spill
	ds_read2_b64 v[99:102], v125 offset0:60 offset1:61
	buffer_load_dword v105, off, s[20:23], 0 offset:224 ; 4-byte Folded Reload
	buffer_load_dword v106, off, s[20:23], 0 offset:228 ; 4-byte Folded Reload
	buffer_load_dword v107, off, s[20:23], 0 offset:232 ; 4-byte Folded Reload
	buffer_load_dword v108, off, s[20:23], 0 offset:236 ; 4-byte Folded Reload
	s_waitcnt lgkmcnt(0)
	v_mul_f64 v[103:104], v[101:102], v[109:110]
	v_fma_f64 v[103:104], v[99:100], v[97:98], -v[103:104]
	v_mul_f64 v[99:100], v[99:100], v[109:110]
	v_fma_f64 v[99:100], v[101:102], v[97:98], v[99:100]
	s_waitcnt vmcnt(2)
	v_add_f64 v[105:106], v[105:106], -v[103:104]
	s_waitcnt vmcnt(0)
	v_add_f64 v[107:108], v[107:108], -v[99:100]
	buffer_store_dword v105, off, s[20:23], 0 offset:224 ; 4-byte Folded Spill
	s_nop 0
	buffer_store_dword v106, off, s[20:23], 0 offset:228 ; 4-byte Folded Spill
	buffer_store_dword v107, off, s[20:23], 0 offset:232 ; 4-byte Folded Spill
	buffer_store_dword v108, off, s[20:23], 0 offset:236 ; 4-byte Folded Spill
	ds_read2_b64 v[99:102], v125 offset0:62 offset1:63
	buffer_load_dword v105, off, s[20:23], 0 offset:208 ; 4-byte Folded Reload
	buffer_load_dword v106, off, s[20:23], 0 offset:212 ; 4-byte Folded Reload
	buffer_load_dword v107, off, s[20:23], 0 offset:216 ; 4-byte Folded Reload
	buffer_load_dword v108, off, s[20:23], 0 offset:220 ; 4-byte Folded Reload
	s_waitcnt lgkmcnt(0)
	v_mul_f64 v[103:104], v[101:102], v[109:110]
	v_fma_f64 v[103:104], v[99:100], v[97:98], -v[103:104]
	v_mul_f64 v[99:100], v[99:100], v[109:110]
	v_fma_f64 v[99:100], v[101:102], v[97:98], v[99:100]
	s_waitcnt vmcnt(2)
	v_add_f64 v[105:106], v[105:106], -v[103:104]
	s_waitcnt vmcnt(0)
	v_add_f64 v[107:108], v[107:108], -v[99:100]
	buffer_store_dword v105, off, s[20:23], 0 offset:208 ; 4-byte Folded Spill
	s_nop 0
	buffer_store_dword v106, off, s[20:23], 0 offset:212 ; 4-byte Folded Spill
	buffer_store_dword v107, off, s[20:23], 0 offset:216 ; 4-byte Folded Spill
	buffer_store_dword v108, off, s[20:23], 0 offset:220 ; 4-byte Folded Spill
	ds_read2_b64 v[99:102], v125 offset0:64 offset1:65
	buffer_load_dword v105, off, s[20:23], 0 offset:192 ; 4-byte Folded Reload
	buffer_load_dword v106, off, s[20:23], 0 offset:196 ; 4-byte Folded Reload
	buffer_load_dword v107, off, s[20:23], 0 offset:200 ; 4-byte Folded Reload
	buffer_load_dword v108, off, s[20:23], 0 offset:204 ; 4-byte Folded Reload
	s_waitcnt lgkmcnt(0)
	v_mul_f64 v[103:104], v[101:102], v[109:110]
	v_fma_f64 v[103:104], v[99:100], v[97:98], -v[103:104]
	v_mul_f64 v[99:100], v[99:100], v[109:110]
	v_fma_f64 v[99:100], v[101:102], v[97:98], v[99:100]
	s_waitcnt vmcnt(2)
	v_add_f64 v[105:106], v[105:106], -v[103:104]
	s_waitcnt vmcnt(0)
	v_add_f64 v[107:108], v[107:108], -v[99:100]
	buffer_store_dword v105, off, s[20:23], 0 offset:192 ; 4-byte Folded Spill
	s_nop 0
	buffer_store_dword v106, off, s[20:23], 0 offset:196 ; 4-byte Folded Spill
	buffer_store_dword v107, off, s[20:23], 0 offset:200 ; 4-byte Folded Spill
	buffer_store_dword v108, off, s[20:23], 0 offset:204 ; 4-byte Folded Spill
	ds_read2_b64 v[99:102], v125 offset0:66 offset1:67
	buffer_load_dword v105, off, s[20:23], 0 offset:176 ; 4-byte Folded Reload
	buffer_load_dword v106, off, s[20:23], 0 offset:180 ; 4-byte Folded Reload
	buffer_load_dword v107, off, s[20:23], 0 offset:184 ; 4-byte Folded Reload
	buffer_load_dword v108, off, s[20:23], 0 offset:188 ; 4-byte Folded Reload
	s_waitcnt lgkmcnt(0)
	v_mul_f64 v[103:104], v[101:102], v[109:110]
	v_fma_f64 v[103:104], v[99:100], v[97:98], -v[103:104]
	v_mul_f64 v[99:100], v[99:100], v[109:110]
	v_fma_f64 v[99:100], v[101:102], v[97:98], v[99:100]
	s_waitcnt vmcnt(2)
	v_add_f64 v[105:106], v[105:106], -v[103:104]
	s_waitcnt vmcnt(0)
	v_add_f64 v[107:108], v[107:108], -v[99:100]
	buffer_store_dword v105, off, s[20:23], 0 offset:176 ; 4-byte Folded Spill
	s_nop 0
	buffer_store_dword v106, off, s[20:23], 0 offset:180 ; 4-byte Folded Spill
	buffer_store_dword v107, off, s[20:23], 0 offset:184 ; 4-byte Folded Spill
	buffer_store_dword v108, off, s[20:23], 0 offset:188 ; 4-byte Folded Spill
	ds_read2_b64 v[99:102], v125 offset0:68 offset1:69
	v_mov_b32_e32 v108, v98
	v_mov_b32_e32 v107, v97
	s_waitcnt lgkmcnt(0)
	v_mul_f64 v[103:104], v[101:102], v[109:110]
	v_fma_f64 v[103:104], v[99:100], v[97:98], -v[103:104]
	v_mul_f64 v[99:100], v[99:100], v[109:110]
	v_add_f64 v[91:92], v[91:92], -v[103:104]
	v_fma_f64 v[99:100], v[101:102], v[97:98], v[99:100]
	v_add_f64 v[93:94], v[93:94], -v[99:100]
	ds_read2_b64 v[99:102], v125 offset0:70 offset1:71
	buffer_load_dword v77, off, s[20:23], 0 offset:160 ; 4-byte Folded Reload
	buffer_load_dword v78, off, s[20:23], 0 offset:164 ; 4-byte Folded Reload
	buffer_load_dword v79, off, s[20:23], 0 offset:168 ; 4-byte Folded Reload
	buffer_load_dword v80, off, s[20:23], 0 offset:172 ; 4-byte Folded Reload
	s_waitcnt lgkmcnt(0)
	v_mul_f64 v[103:104], v[101:102], v[109:110]
	v_fma_f64 v[103:104], v[99:100], v[97:98], -v[103:104]
	v_mul_f64 v[99:100], v[99:100], v[109:110]
	v_fma_f64 v[99:100], v[101:102], v[97:98], v[99:100]
	s_waitcnt vmcnt(2)
	v_add_f64 v[77:78], v[77:78], -v[103:104]
	s_waitcnt vmcnt(0)
	v_add_f64 v[79:80], v[79:80], -v[99:100]
	buffer_store_dword v77, off, s[20:23], 0 offset:160 ; 4-byte Folded Spill
	s_nop 0
	buffer_store_dword v78, off, s[20:23], 0 offset:164 ; 4-byte Folded Spill
	buffer_store_dword v79, off, s[20:23], 0 offset:168 ; 4-byte Folded Spill
	buffer_store_dword v80, off, s[20:23], 0 offset:172 ; 4-byte Folded Spill
	ds_read2_b64 v[99:102], v125 offset0:72 offset1:73
	buffer_load_dword v77, off, s[20:23], 0 offset:144 ; 4-byte Folded Reload
	buffer_load_dword v78, off, s[20:23], 0 offset:148 ; 4-byte Folded Reload
	buffer_load_dword v79, off, s[20:23], 0 offset:152 ; 4-byte Folded Reload
	buffer_load_dword v80, off, s[20:23], 0 offset:156 ; 4-byte Folded Reload
	s_waitcnt lgkmcnt(0)
	v_mul_f64 v[103:104], v[101:102], v[109:110]
	v_fma_f64 v[103:104], v[99:100], v[97:98], -v[103:104]
	v_mul_f64 v[99:100], v[99:100], v[109:110]
	v_fma_f64 v[99:100], v[101:102], v[97:98], v[99:100]
	s_waitcnt vmcnt(2)
	v_add_f64 v[77:78], v[77:78], -v[103:104]
	s_waitcnt vmcnt(0)
	v_add_f64 v[79:80], v[79:80], -v[99:100]
	buffer_store_dword v77, off, s[20:23], 0 offset:144 ; 4-byte Folded Spill
	s_nop 0
	buffer_store_dword v78, off, s[20:23], 0 offset:148 ; 4-byte Folded Spill
	buffer_store_dword v79, off, s[20:23], 0 offset:152 ; 4-byte Folded Spill
	buffer_store_dword v80, off, s[20:23], 0 offset:156 ; 4-byte Folded Spill
	;; [unrolled: 19-line block ×10, first 2 shown]
	ds_read2_b64 v[99:102], v125 offset0:90 offset1:91
	buffer_load_dword v41, off, s[20:23], 0 ; 4-byte Folded Reload
	buffer_load_dword v42, off, s[20:23], 0 offset:4 ; 4-byte Folded Reload
	buffer_load_dword v43, off, s[20:23], 0 offset:8 ; 4-byte Folded Reload
	;; [unrolled: 1-line block ×3, first 2 shown]
	s_waitcnt lgkmcnt(0)
	v_mul_f64 v[103:104], v[101:102], v[109:110]
	v_fma_f64 v[103:104], v[99:100], v[97:98], -v[103:104]
	v_mul_f64 v[99:100], v[99:100], v[109:110]
	v_fma_f64 v[99:100], v[101:102], v[97:98], v[99:100]
	s_waitcnt vmcnt(2)
	v_add_f64 v[41:42], v[41:42], -v[103:104]
	s_waitcnt vmcnt(0)
	v_add_f64 v[43:44], v[43:44], -v[99:100]
	buffer_store_dword v41, off, s[20:23], 0 ; 4-byte Folded Spill
	s_nop 0
	buffer_store_dword v42, off, s[20:23], 0 offset:4 ; 4-byte Folded Spill
	buffer_store_dword v43, off, s[20:23], 0 offset:8 ; 4-byte Folded Spill
	;; [unrolled: 1-line block ×3, first 2 shown]
	ds_read2_b64 v[99:102], v125 offset0:92 offset1:93
	s_waitcnt lgkmcnt(0)
	v_mul_f64 v[103:104], v[101:102], v[109:110]
	v_fma_f64 v[103:104], v[99:100], v[97:98], -v[103:104]
	v_mul_f64 v[99:100], v[99:100], v[109:110]
	v_add_f64 v[37:38], v[37:38], -v[103:104]
	v_fma_f64 v[99:100], v[101:102], v[97:98], v[99:100]
	v_add_f64 v[39:40], v[39:40], -v[99:100]
	ds_read2_b64 v[99:102], v125 offset0:94 offset1:95
	s_waitcnt lgkmcnt(0)
	v_mul_f64 v[103:104], v[101:102], v[109:110]
	v_fma_f64 v[103:104], v[99:100], v[97:98], -v[103:104]
	v_mul_f64 v[99:100], v[99:100], v[109:110]
	v_add_f64 v[33:34], v[33:34], -v[103:104]
	v_fma_f64 v[99:100], v[101:102], v[97:98], v[99:100]
	v_add_f64 v[35:36], v[35:36], -v[99:100]
	;; [unrolled: 8-line block ×10, first 2 shown]
	ds_read2_b64 v[99:102], v125 offset0:112 offset1:113
	s_waitcnt lgkmcnt(0)
	v_mul_f64 v[103:104], v[101:102], v[109:110]
	v_fma_f64 v[103:104], v[99:100], v[97:98], -v[103:104]
	v_mul_f64 v[99:100], v[99:100], v[109:110]
	buffer_store_dword v107, off, s[20:23], 0 offset:480 ; 4-byte Folded Spill
	s_nop 0
	buffer_store_dword v108, off, s[20:23], 0 offset:484 ; 4-byte Folded Spill
	buffer_store_dword v109, off, s[20:23], 0 offset:488 ; 4-byte Folded Spill
	;; [unrolled: 1-line block ×3, first 2 shown]
	v_add_f64 v[121:122], v[121:122], -v[103:104]
	v_fma_f64 v[99:100], v[101:102], v[97:98], v[99:100]
	v_add_f64 v[123:124], v[123:124], -v[99:100]
.LBB113_136:
	s_or_b64 exec, exec, s[2:3]
	v_cmp_eq_u32_e32 vcc, 15, v0
	s_waitcnt vmcnt(0)
	s_barrier
	s_and_saveexec_b64 s[4:5], vcc
	s_cbranch_execz .LBB113_143
; %bb.137:
	buffer_load_dword v95, off, s[20:23], 0 offset:464 ; 4-byte Folded Reload
	buffer_load_dword v96, off, s[20:23], 0 offset:468 ; 4-byte Folded Reload
	;; [unrolled: 1-line block ×4, first 2 shown]
	s_waitcnt vmcnt(0)
	ds_write2_b64 v127, v[95:96], v[97:98] offset1:1
	buffer_load_dword v95, off, s[20:23], 0 offset:448 ; 4-byte Folded Reload
	buffer_load_dword v96, off, s[20:23], 0 offset:452 ; 4-byte Folded Reload
	buffer_load_dword v97, off, s[20:23], 0 offset:456 ; 4-byte Folded Reload
	buffer_load_dword v98, off, s[20:23], 0 offset:460 ; 4-byte Folded Reload
	s_waitcnt vmcnt(0)
	ds_write2_b64 v125, v[95:96], v[97:98] offset0:32 offset1:33
	buffer_load_dword v95, off, s[20:23], 0 offset:432 ; 4-byte Folded Reload
	buffer_load_dword v96, off, s[20:23], 0 offset:436 ; 4-byte Folded Reload
	buffer_load_dword v97, off, s[20:23], 0 offset:440 ; 4-byte Folded Reload
	buffer_load_dword v98, off, s[20:23], 0 offset:444 ; 4-byte Folded Reload
	s_waitcnt vmcnt(0)
	ds_write2_b64 v125, v[95:96], v[97:98] offset0:34 offset1:35
	;; [unrolled: 6-line block ×18, first 2 shown]
	ds_write2_b64 v125, v[91:92], v[93:94] offset0:68 offset1:69
	buffer_load_dword v77, off, s[20:23], 0 offset:160 ; 4-byte Folded Reload
	buffer_load_dword v78, off, s[20:23], 0 offset:164 ; 4-byte Folded Reload
	buffer_load_dword v79, off, s[20:23], 0 offset:168 ; 4-byte Folded Reload
	buffer_load_dword v80, off, s[20:23], 0 offset:172 ; 4-byte Folded Reload
	s_waitcnt vmcnt(0)
	ds_write2_b64 v125, v[77:78], v[79:80] offset0:70 offset1:71
	buffer_load_dword v77, off, s[20:23], 0 offset:144 ; 4-byte Folded Reload
	buffer_load_dword v78, off, s[20:23], 0 offset:148 ; 4-byte Folded Reload
	buffer_load_dword v79, off, s[20:23], 0 offset:152 ; 4-byte Folded Reload
	buffer_load_dword v80, off, s[20:23], 0 offset:156 ; 4-byte Folded Reload
	s_waitcnt vmcnt(0)
	;; [unrolled: 6-line block ×10, first 2 shown]
	ds_write2_b64 v125, v[45:46], v[47:48] offset0:88 offset1:89
	buffer_load_dword v41, off, s[20:23], 0 ; 4-byte Folded Reload
	buffer_load_dword v42, off, s[20:23], 0 offset:4 ; 4-byte Folded Reload
	buffer_load_dword v43, off, s[20:23], 0 offset:8 ; 4-byte Folded Reload
	;; [unrolled: 1-line block ×3, first 2 shown]
	s_waitcnt vmcnt(0)
	ds_write2_b64 v125, v[41:42], v[43:44] offset0:90 offset1:91
	ds_write2_b64 v125, v[37:38], v[39:40] offset0:92 offset1:93
	;; [unrolled: 1-line block ×12, first 2 shown]
	ds_read2_b64 v[97:100], v127 offset1:1
	s_waitcnt lgkmcnt(0)
	v_cmp_neq_f64_e32 vcc, 0, v[97:98]
	v_cmp_neq_f64_e64 s[2:3], 0, v[99:100]
	s_or_b64 s[2:3], vcc, s[2:3]
	s_and_b64 exec, exec, s[2:3]
	s_cbranch_execz .LBB113_143
; %bb.138:
	v_cmp_ngt_f64_e64 s[2:3], |v[97:98]|, |v[99:100]|
                                        ; implicit-def: $vgpr101_vgpr102
	s_and_saveexec_b64 s[6:7], s[2:3]
	s_xor_b64 s[2:3], exec, s[6:7]
                                        ; implicit-def: $vgpr103_vgpr104
	s_cbranch_execz .LBB113_140
; %bb.139:
	v_div_scale_f64 v[101:102], s[6:7], v[99:100], v[99:100], v[97:98]
	v_rcp_f64_e32 v[103:104], v[101:102]
	v_fma_f64 v[105:106], -v[101:102], v[103:104], 1.0
	v_fma_f64 v[103:104], v[103:104], v[105:106], v[103:104]
	v_div_scale_f64 v[105:106], vcc, v[97:98], v[99:100], v[97:98]
	v_fma_f64 v[107:108], -v[101:102], v[103:104], 1.0
	v_fma_f64 v[103:104], v[103:104], v[107:108], v[103:104]
	v_mul_f64 v[107:108], v[105:106], v[103:104]
	v_fma_f64 v[101:102], -v[101:102], v[107:108], v[105:106]
	v_div_fmas_f64 v[101:102], v[101:102], v[103:104], v[107:108]
	v_div_fixup_f64 v[101:102], v[101:102], v[99:100], v[97:98]
	v_fma_f64 v[97:98], v[97:98], v[101:102], v[99:100]
	v_div_scale_f64 v[99:100], s[6:7], v[97:98], v[97:98], 1.0
	v_div_scale_f64 v[107:108], vcc, 1.0, v[97:98], 1.0
	v_rcp_f64_e32 v[103:104], v[99:100]
	v_fma_f64 v[105:106], -v[99:100], v[103:104], 1.0
	v_fma_f64 v[103:104], v[103:104], v[105:106], v[103:104]
	v_fma_f64 v[105:106], -v[99:100], v[103:104], 1.0
	v_fma_f64 v[103:104], v[103:104], v[105:106], v[103:104]
	v_mul_f64 v[105:106], v[107:108], v[103:104]
	v_fma_f64 v[99:100], -v[99:100], v[105:106], v[107:108]
	v_div_fmas_f64 v[99:100], v[99:100], v[103:104], v[105:106]
	v_div_fixup_f64 v[103:104], v[99:100], v[97:98], 1.0
                                        ; implicit-def: $vgpr97_vgpr98
	v_mul_f64 v[101:102], v[101:102], v[103:104]
	v_xor_b32_e32 v104, 0x80000000, v104
.LBB113_140:
	s_andn2_saveexec_b64 s[2:3], s[2:3]
	s_cbranch_execz .LBB113_142
; %bb.141:
	v_div_scale_f64 v[101:102], s[6:7], v[97:98], v[97:98], v[99:100]
	v_rcp_f64_e32 v[103:104], v[101:102]
	v_fma_f64 v[105:106], -v[101:102], v[103:104], 1.0
	v_fma_f64 v[103:104], v[103:104], v[105:106], v[103:104]
	v_div_scale_f64 v[105:106], vcc, v[99:100], v[97:98], v[99:100]
	v_fma_f64 v[107:108], -v[101:102], v[103:104], 1.0
	v_fma_f64 v[103:104], v[103:104], v[107:108], v[103:104]
	v_mul_f64 v[107:108], v[105:106], v[103:104]
	v_fma_f64 v[101:102], -v[101:102], v[107:108], v[105:106]
	v_div_fmas_f64 v[101:102], v[101:102], v[103:104], v[107:108]
	v_div_fixup_f64 v[103:104], v[101:102], v[97:98], v[99:100]
	v_fma_f64 v[97:98], v[99:100], v[103:104], v[97:98]
	v_div_scale_f64 v[99:100], s[6:7], v[97:98], v[97:98], 1.0
	v_div_scale_f64 v[107:108], vcc, 1.0, v[97:98], 1.0
	v_rcp_f64_e32 v[101:102], v[99:100]
	v_fma_f64 v[105:106], -v[99:100], v[101:102], 1.0
	v_fma_f64 v[101:102], v[101:102], v[105:106], v[101:102]
	v_fma_f64 v[105:106], -v[99:100], v[101:102], 1.0
	v_fma_f64 v[101:102], v[101:102], v[105:106], v[101:102]
	v_mul_f64 v[105:106], v[107:108], v[101:102]
	v_fma_f64 v[99:100], -v[99:100], v[105:106], v[107:108]
	v_div_fmas_f64 v[99:100], v[99:100], v[101:102], v[105:106]
	v_div_fixup_f64 v[101:102], v[99:100], v[97:98], 1.0
	v_mul_f64 v[103:104], v[103:104], -v[101:102]
.LBB113_142:
	s_or_b64 exec, exec, s[2:3]
	ds_write2_b64 v127, v[101:102], v[103:104] offset1:1
.LBB113_143:
	s_or_b64 exec, exec, s[4:5]
	s_waitcnt lgkmcnt(0)
	s_barrier
	ds_read2_b64 v[87:90], v127 offset1:1
	v_cmp_lt_u32_e32 vcc, 15, v0
	s_waitcnt lgkmcnt(0)
	buffer_store_dword v87, off, s[20:23], 0 offset:1408 ; 4-byte Folded Spill
	s_nop 0
	buffer_store_dword v88, off, s[20:23], 0 offset:1412 ; 4-byte Folded Spill
	buffer_store_dword v89, off, s[20:23], 0 offset:1416 ; 4-byte Folded Spill
	;; [unrolled: 1-line block ×3, first 2 shown]
	s_and_saveexec_b64 s[2:3], vcc
	s_cbranch_execz .LBB113_145
; %bb.144:
	buffer_load_dword v107, off, s[20:23], 0 offset:464 ; 4-byte Folded Reload
	buffer_load_dword v108, off, s[20:23], 0 offset:468 ; 4-byte Folded Reload
	;; [unrolled: 1-line block ×8, first 2 shown]
	s_waitcnt vmcnt(2)
	v_mul_f64 v[99:100], v[87:88], v[109:110]
	s_waitcnt vmcnt(0)
	v_mul_f64 v[97:98], v[89:90], v[109:110]
	v_fma_f64 v[109:110], v[89:90], v[107:108], v[99:100]
	ds_read2_b64 v[99:102], v125 offset0:32 offset1:33
	v_fma_f64 v[97:98], v[87:88], v[107:108], -v[97:98]
	buffer_load_dword v105, off, s[20:23], 0 offset:448 ; 4-byte Folded Reload
	buffer_load_dword v106, off, s[20:23], 0 offset:452 ; 4-byte Folded Reload
	buffer_load_dword v107, off, s[20:23], 0 offset:456 ; 4-byte Folded Reload
	buffer_load_dword v108, off, s[20:23], 0 offset:460 ; 4-byte Folded Reload
	s_waitcnt lgkmcnt(0)
	v_mul_f64 v[103:104], v[101:102], v[109:110]
	v_fma_f64 v[103:104], v[99:100], v[97:98], -v[103:104]
	v_mul_f64 v[99:100], v[99:100], v[109:110]
	v_fma_f64 v[99:100], v[101:102], v[97:98], v[99:100]
	s_waitcnt vmcnt(2)
	v_add_f64 v[105:106], v[105:106], -v[103:104]
	s_waitcnt vmcnt(0)
	v_add_f64 v[107:108], v[107:108], -v[99:100]
	buffer_store_dword v105, off, s[20:23], 0 offset:448 ; 4-byte Folded Spill
	s_nop 0
	buffer_store_dword v106, off, s[20:23], 0 offset:452 ; 4-byte Folded Spill
	buffer_store_dword v107, off, s[20:23], 0 offset:456 ; 4-byte Folded Spill
	buffer_store_dword v108, off, s[20:23], 0 offset:460 ; 4-byte Folded Spill
	ds_read2_b64 v[99:102], v125 offset0:34 offset1:35
	buffer_load_dword v105, off, s[20:23], 0 offset:432 ; 4-byte Folded Reload
	buffer_load_dword v106, off, s[20:23], 0 offset:436 ; 4-byte Folded Reload
	buffer_load_dword v107, off, s[20:23], 0 offset:440 ; 4-byte Folded Reload
	buffer_load_dword v108, off, s[20:23], 0 offset:444 ; 4-byte Folded Reload
	s_waitcnt lgkmcnt(0)
	v_mul_f64 v[103:104], v[101:102], v[109:110]
	v_fma_f64 v[103:104], v[99:100], v[97:98], -v[103:104]
	v_mul_f64 v[99:100], v[99:100], v[109:110]
	v_fma_f64 v[99:100], v[101:102], v[97:98], v[99:100]
	s_waitcnt vmcnt(2)
	v_add_f64 v[105:106], v[105:106], -v[103:104]
	s_waitcnt vmcnt(0)
	v_add_f64 v[107:108], v[107:108], -v[99:100]
	buffer_store_dword v105, off, s[20:23], 0 offset:432 ; 4-byte Folded Spill
	s_nop 0
	buffer_store_dword v106, off, s[20:23], 0 offset:436 ; 4-byte Folded Spill
	buffer_store_dword v107, off, s[20:23], 0 offset:440 ; 4-byte Folded Spill
	buffer_store_dword v108, off, s[20:23], 0 offset:444 ; 4-byte Folded Spill
	ds_read2_b64 v[99:102], v125 offset0:36 offset1:37
	;; [unrolled: 19-line block ×18, first 2 shown]
	v_mov_b32_e32 v108, v98
	v_mov_b32_e32 v107, v97
	s_waitcnt lgkmcnt(0)
	v_mul_f64 v[103:104], v[101:102], v[109:110]
	v_fma_f64 v[103:104], v[99:100], v[97:98], -v[103:104]
	v_mul_f64 v[99:100], v[99:100], v[109:110]
	v_add_f64 v[91:92], v[91:92], -v[103:104]
	v_fma_f64 v[99:100], v[101:102], v[97:98], v[99:100]
	v_add_f64 v[93:94], v[93:94], -v[99:100]
	ds_read2_b64 v[99:102], v125 offset0:70 offset1:71
	buffer_load_dword v77, off, s[20:23], 0 offset:160 ; 4-byte Folded Reload
	buffer_load_dword v78, off, s[20:23], 0 offset:164 ; 4-byte Folded Reload
	buffer_load_dword v79, off, s[20:23], 0 offset:168 ; 4-byte Folded Reload
	buffer_load_dword v80, off, s[20:23], 0 offset:172 ; 4-byte Folded Reload
	s_waitcnt lgkmcnt(0)
	v_mul_f64 v[103:104], v[101:102], v[109:110]
	v_fma_f64 v[103:104], v[99:100], v[97:98], -v[103:104]
	v_mul_f64 v[99:100], v[99:100], v[109:110]
	v_fma_f64 v[99:100], v[101:102], v[97:98], v[99:100]
	s_waitcnt vmcnt(2)
	v_add_f64 v[77:78], v[77:78], -v[103:104]
	s_waitcnt vmcnt(0)
	v_add_f64 v[79:80], v[79:80], -v[99:100]
	buffer_store_dword v77, off, s[20:23], 0 offset:160 ; 4-byte Folded Spill
	s_nop 0
	buffer_store_dword v78, off, s[20:23], 0 offset:164 ; 4-byte Folded Spill
	buffer_store_dword v79, off, s[20:23], 0 offset:168 ; 4-byte Folded Spill
	buffer_store_dword v80, off, s[20:23], 0 offset:172 ; 4-byte Folded Spill
	ds_read2_b64 v[99:102], v125 offset0:72 offset1:73
	buffer_load_dword v77, off, s[20:23], 0 offset:144 ; 4-byte Folded Reload
	buffer_load_dword v78, off, s[20:23], 0 offset:148 ; 4-byte Folded Reload
	buffer_load_dword v79, off, s[20:23], 0 offset:152 ; 4-byte Folded Reload
	buffer_load_dword v80, off, s[20:23], 0 offset:156 ; 4-byte Folded Reload
	s_waitcnt lgkmcnt(0)
	v_mul_f64 v[103:104], v[101:102], v[109:110]
	v_fma_f64 v[103:104], v[99:100], v[97:98], -v[103:104]
	v_mul_f64 v[99:100], v[99:100], v[109:110]
	v_fma_f64 v[99:100], v[101:102], v[97:98], v[99:100]
	s_waitcnt vmcnt(2)
	v_add_f64 v[77:78], v[77:78], -v[103:104]
	s_waitcnt vmcnt(0)
	v_add_f64 v[79:80], v[79:80], -v[99:100]
	buffer_store_dword v77, off, s[20:23], 0 offset:144 ; 4-byte Folded Spill
	s_nop 0
	buffer_store_dword v78, off, s[20:23], 0 offset:148 ; 4-byte Folded Spill
	buffer_store_dword v79, off, s[20:23], 0 offset:152 ; 4-byte Folded Spill
	buffer_store_dword v80, off, s[20:23], 0 offset:156 ; 4-byte Folded Spill
	;; [unrolled: 19-line block ×10, first 2 shown]
	ds_read2_b64 v[99:102], v125 offset0:90 offset1:91
	buffer_load_dword v41, off, s[20:23], 0 ; 4-byte Folded Reload
	buffer_load_dword v42, off, s[20:23], 0 offset:4 ; 4-byte Folded Reload
	buffer_load_dword v43, off, s[20:23], 0 offset:8 ; 4-byte Folded Reload
	buffer_load_dword v44, off, s[20:23], 0 offset:12 ; 4-byte Folded Reload
	s_waitcnt lgkmcnt(0)
	v_mul_f64 v[103:104], v[101:102], v[109:110]
	v_fma_f64 v[103:104], v[99:100], v[97:98], -v[103:104]
	v_mul_f64 v[99:100], v[99:100], v[109:110]
	v_fma_f64 v[99:100], v[101:102], v[97:98], v[99:100]
	s_waitcnt vmcnt(2)
	v_add_f64 v[41:42], v[41:42], -v[103:104]
	s_waitcnt vmcnt(0)
	v_add_f64 v[43:44], v[43:44], -v[99:100]
	buffer_store_dword v41, off, s[20:23], 0 ; 4-byte Folded Spill
	s_nop 0
	buffer_store_dword v42, off, s[20:23], 0 offset:4 ; 4-byte Folded Spill
	buffer_store_dword v43, off, s[20:23], 0 offset:8 ; 4-byte Folded Spill
	;; [unrolled: 1-line block ×3, first 2 shown]
	ds_read2_b64 v[99:102], v125 offset0:92 offset1:93
	s_waitcnt lgkmcnt(0)
	v_mul_f64 v[103:104], v[101:102], v[109:110]
	v_fma_f64 v[103:104], v[99:100], v[97:98], -v[103:104]
	v_mul_f64 v[99:100], v[99:100], v[109:110]
	v_add_f64 v[37:38], v[37:38], -v[103:104]
	v_fma_f64 v[99:100], v[101:102], v[97:98], v[99:100]
	v_add_f64 v[39:40], v[39:40], -v[99:100]
	ds_read2_b64 v[99:102], v125 offset0:94 offset1:95
	s_waitcnt lgkmcnt(0)
	v_mul_f64 v[103:104], v[101:102], v[109:110]
	v_fma_f64 v[103:104], v[99:100], v[97:98], -v[103:104]
	v_mul_f64 v[99:100], v[99:100], v[109:110]
	v_add_f64 v[33:34], v[33:34], -v[103:104]
	v_fma_f64 v[99:100], v[101:102], v[97:98], v[99:100]
	v_add_f64 v[35:36], v[35:36], -v[99:100]
	;; [unrolled: 8-line block ×10, first 2 shown]
	ds_read2_b64 v[99:102], v125 offset0:112 offset1:113
	s_waitcnt lgkmcnt(0)
	v_mul_f64 v[103:104], v[101:102], v[109:110]
	v_fma_f64 v[103:104], v[99:100], v[97:98], -v[103:104]
	v_mul_f64 v[99:100], v[99:100], v[109:110]
	buffer_store_dword v107, off, s[20:23], 0 offset:464 ; 4-byte Folded Spill
	s_nop 0
	buffer_store_dword v108, off, s[20:23], 0 offset:468 ; 4-byte Folded Spill
	buffer_store_dword v109, off, s[20:23], 0 offset:472 ; 4-byte Folded Spill
	;; [unrolled: 1-line block ×3, first 2 shown]
	v_add_f64 v[121:122], v[121:122], -v[103:104]
	v_fma_f64 v[99:100], v[101:102], v[97:98], v[99:100]
	v_add_f64 v[123:124], v[123:124], -v[99:100]
.LBB113_145:
	s_or_b64 exec, exec, s[2:3]
	v_cmp_eq_u32_e32 vcc, 16, v0
	s_waitcnt vmcnt(0)
	s_barrier
	s_and_saveexec_b64 s[4:5], vcc
	s_cbranch_execz .LBB113_152
; %bb.146:
	buffer_load_dword v95, off, s[20:23], 0 offset:448 ; 4-byte Folded Reload
	buffer_load_dword v96, off, s[20:23], 0 offset:452 ; 4-byte Folded Reload
	;; [unrolled: 1-line block ×4, first 2 shown]
	s_waitcnt vmcnt(0)
	ds_write2_b64 v127, v[95:96], v[97:98] offset1:1
	buffer_load_dword v95, off, s[20:23], 0 offset:432 ; 4-byte Folded Reload
	buffer_load_dword v96, off, s[20:23], 0 offset:436 ; 4-byte Folded Reload
	buffer_load_dword v97, off, s[20:23], 0 offset:440 ; 4-byte Folded Reload
	buffer_load_dword v98, off, s[20:23], 0 offset:444 ; 4-byte Folded Reload
	s_waitcnt vmcnt(0)
	ds_write2_b64 v125, v[95:96], v[97:98] offset0:34 offset1:35
	buffer_load_dword v95, off, s[20:23], 0 offset:416 ; 4-byte Folded Reload
	buffer_load_dword v96, off, s[20:23], 0 offset:420 ; 4-byte Folded Reload
	buffer_load_dword v97, off, s[20:23], 0 offset:424 ; 4-byte Folded Reload
	buffer_load_dword v98, off, s[20:23], 0 offset:428 ; 4-byte Folded Reload
	s_waitcnt vmcnt(0)
	ds_write2_b64 v125, v[95:96], v[97:98] offset0:36 offset1:37
	;; [unrolled: 6-line block ×17, first 2 shown]
	ds_write2_b64 v125, v[91:92], v[93:94] offset0:68 offset1:69
	buffer_load_dword v77, off, s[20:23], 0 offset:160 ; 4-byte Folded Reload
	buffer_load_dword v78, off, s[20:23], 0 offset:164 ; 4-byte Folded Reload
	buffer_load_dword v79, off, s[20:23], 0 offset:168 ; 4-byte Folded Reload
	buffer_load_dword v80, off, s[20:23], 0 offset:172 ; 4-byte Folded Reload
	s_waitcnt vmcnt(0)
	ds_write2_b64 v125, v[77:78], v[79:80] offset0:70 offset1:71
	buffer_load_dword v77, off, s[20:23], 0 offset:144 ; 4-byte Folded Reload
	buffer_load_dword v78, off, s[20:23], 0 offset:148 ; 4-byte Folded Reload
	buffer_load_dword v79, off, s[20:23], 0 offset:152 ; 4-byte Folded Reload
	buffer_load_dword v80, off, s[20:23], 0 offset:156 ; 4-byte Folded Reload
	s_waitcnt vmcnt(0)
	;; [unrolled: 6-line block ×10, first 2 shown]
	ds_write2_b64 v125, v[45:46], v[47:48] offset0:88 offset1:89
	buffer_load_dword v41, off, s[20:23], 0 ; 4-byte Folded Reload
	buffer_load_dword v42, off, s[20:23], 0 offset:4 ; 4-byte Folded Reload
	buffer_load_dword v43, off, s[20:23], 0 offset:8 ; 4-byte Folded Reload
	;; [unrolled: 1-line block ×3, first 2 shown]
	s_waitcnt vmcnt(0)
	ds_write2_b64 v125, v[41:42], v[43:44] offset0:90 offset1:91
	ds_write2_b64 v125, v[37:38], v[39:40] offset0:92 offset1:93
	;; [unrolled: 1-line block ×12, first 2 shown]
	ds_read2_b64 v[97:100], v127 offset1:1
	s_waitcnt lgkmcnt(0)
	v_cmp_neq_f64_e32 vcc, 0, v[97:98]
	v_cmp_neq_f64_e64 s[2:3], 0, v[99:100]
	s_or_b64 s[2:3], vcc, s[2:3]
	s_and_b64 exec, exec, s[2:3]
	s_cbranch_execz .LBB113_152
; %bb.147:
	v_cmp_ngt_f64_e64 s[2:3], |v[97:98]|, |v[99:100]|
                                        ; implicit-def: $vgpr101_vgpr102
	s_and_saveexec_b64 s[6:7], s[2:3]
	s_xor_b64 s[2:3], exec, s[6:7]
                                        ; implicit-def: $vgpr103_vgpr104
	s_cbranch_execz .LBB113_149
; %bb.148:
	v_div_scale_f64 v[101:102], s[6:7], v[99:100], v[99:100], v[97:98]
	v_rcp_f64_e32 v[103:104], v[101:102]
	v_fma_f64 v[105:106], -v[101:102], v[103:104], 1.0
	v_fma_f64 v[103:104], v[103:104], v[105:106], v[103:104]
	v_div_scale_f64 v[105:106], vcc, v[97:98], v[99:100], v[97:98]
	v_fma_f64 v[107:108], -v[101:102], v[103:104], 1.0
	v_fma_f64 v[103:104], v[103:104], v[107:108], v[103:104]
	v_mul_f64 v[107:108], v[105:106], v[103:104]
	v_fma_f64 v[101:102], -v[101:102], v[107:108], v[105:106]
	v_div_fmas_f64 v[101:102], v[101:102], v[103:104], v[107:108]
	v_div_fixup_f64 v[101:102], v[101:102], v[99:100], v[97:98]
	v_fma_f64 v[97:98], v[97:98], v[101:102], v[99:100]
	v_div_scale_f64 v[99:100], s[6:7], v[97:98], v[97:98], 1.0
	v_div_scale_f64 v[107:108], vcc, 1.0, v[97:98], 1.0
	v_rcp_f64_e32 v[103:104], v[99:100]
	v_fma_f64 v[105:106], -v[99:100], v[103:104], 1.0
	v_fma_f64 v[103:104], v[103:104], v[105:106], v[103:104]
	v_fma_f64 v[105:106], -v[99:100], v[103:104], 1.0
	v_fma_f64 v[103:104], v[103:104], v[105:106], v[103:104]
	v_mul_f64 v[105:106], v[107:108], v[103:104]
	v_fma_f64 v[99:100], -v[99:100], v[105:106], v[107:108]
	v_div_fmas_f64 v[99:100], v[99:100], v[103:104], v[105:106]
	v_div_fixup_f64 v[103:104], v[99:100], v[97:98], 1.0
                                        ; implicit-def: $vgpr97_vgpr98
	v_mul_f64 v[101:102], v[101:102], v[103:104]
	v_xor_b32_e32 v104, 0x80000000, v104
.LBB113_149:
	s_andn2_saveexec_b64 s[2:3], s[2:3]
	s_cbranch_execz .LBB113_151
; %bb.150:
	v_div_scale_f64 v[101:102], s[6:7], v[97:98], v[97:98], v[99:100]
	v_rcp_f64_e32 v[103:104], v[101:102]
	v_fma_f64 v[105:106], -v[101:102], v[103:104], 1.0
	v_fma_f64 v[103:104], v[103:104], v[105:106], v[103:104]
	v_div_scale_f64 v[105:106], vcc, v[99:100], v[97:98], v[99:100]
	v_fma_f64 v[107:108], -v[101:102], v[103:104], 1.0
	v_fma_f64 v[103:104], v[103:104], v[107:108], v[103:104]
	v_mul_f64 v[107:108], v[105:106], v[103:104]
	v_fma_f64 v[101:102], -v[101:102], v[107:108], v[105:106]
	v_div_fmas_f64 v[101:102], v[101:102], v[103:104], v[107:108]
	v_div_fixup_f64 v[103:104], v[101:102], v[97:98], v[99:100]
	v_fma_f64 v[97:98], v[99:100], v[103:104], v[97:98]
	v_div_scale_f64 v[99:100], s[6:7], v[97:98], v[97:98], 1.0
	v_div_scale_f64 v[107:108], vcc, 1.0, v[97:98], 1.0
	v_rcp_f64_e32 v[101:102], v[99:100]
	v_fma_f64 v[105:106], -v[99:100], v[101:102], 1.0
	v_fma_f64 v[101:102], v[101:102], v[105:106], v[101:102]
	v_fma_f64 v[105:106], -v[99:100], v[101:102], 1.0
	v_fma_f64 v[101:102], v[101:102], v[105:106], v[101:102]
	v_mul_f64 v[105:106], v[107:108], v[101:102]
	v_fma_f64 v[99:100], -v[99:100], v[105:106], v[107:108]
	v_div_fmas_f64 v[99:100], v[99:100], v[101:102], v[105:106]
	v_div_fixup_f64 v[101:102], v[99:100], v[97:98], 1.0
	v_mul_f64 v[103:104], v[103:104], -v[101:102]
.LBB113_151:
	s_or_b64 exec, exec, s[2:3]
	ds_write2_b64 v127, v[101:102], v[103:104] offset1:1
.LBB113_152:
	s_or_b64 exec, exec, s[4:5]
	s_waitcnt lgkmcnt(0)
	s_barrier
	ds_read2_b64 v[87:90], v127 offset1:1
	v_cmp_lt_u32_e32 vcc, 16, v0
	s_waitcnt lgkmcnt(0)
	buffer_store_dword v87, off, s[20:23], 0 offset:1424 ; 4-byte Folded Spill
	s_nop 0
	buffer_store_dword v88, off, s[20:23], 0 offset:1428 ; 4-byte Folded Spill
	buffer_store_dword v89, off, s[20:23], 0 offset:1432 ; 4-byte Folded Spill
	;; [unrolled: 1-line block ×3, first 2 shown]
	s_and_saveexec_b64 s[2:3], vcc
	s_cbranch_execz .LBB113_154
; %bb.153:
	buffer_load_dword v107, off, s[20:23], 0 offset:448 ; 4-byte Folded Reload
	buffer_load_dword v108, off, s[20:23], 0 offset:452 ; 4-byte Folded Reload
	buffer_load_dword v109, off, s[20:23], 0 offset:456 ; 4-byte Folded Reload
	buffer_load_dword v110, off, s[20:23], 0 offset:460 ; 4-byte Folded Reload
	buffer_load_dword v87, off, s[20:23], 0 offset:1424 ; 4-byte Folded Reload
	buffer_load_dword v88, off, s[20:23], 0 offset:1428 ; 4-byte Folded Reload
	buffer_load_dword v89, off, s[20:23], 0 offset:1432 ; 4-byte Folded Reload
	buffer_load_dword v90, off, s[20:23], 0 offset:1436 ; 4-byte Folded Reload
	s_waitcnt vmcnt(2)
	v_mul_f64 v[99:100], v[87:88], v[109:110]
	s_waitcnt vmcnt(0)
	v_mul_f64 v[97:98], v[89:90], v[109:110]
	v_fma_f64 v[109:110], v[89:90], v[107:108], v[99:100]
	ds_read2_b64 v[99:102], v125 offset0:34 offset1:35
	v_fma_f64 v[97:98], v[87:88], v[107:108], -v[97:98]
	buffer_load_dword v105, off, s[20:23], 0 offset:432 ; 4-byte Folded Reload
	buffer_load_dword v106, off, s[20:23], 0 offset:436 ; 4-byte Folded Reload
	buffer_load_dword v107, off, s[20:23], 0 offset:440 ; 4-byte Folded Reload
	buffer_load_dword v108, off, s[20:23], 0 offset:444 ; 4-byte Folded Reload
	s_waitcnt lgkmcnt(0)
	v_mul_f64 v[103:104], v[101:102], v[109:110]
	v_fma_f64 v[103:104], v[99:100], v[97:98], -v[103:104]
	v_mul_f64 v[99:100], v[99:100], v[109:110]
	v_fma_f64 v[99:100], v[101:102], v[97:98], v[99:100]
	s_waitcnt vmcnt(2)
	v_add_f64 v[105:106], v[105:106], -v[103:104]
	s_waitcnt vmcnt(0)
	v_add_f64 v[107:108], v[107:108], -v[99:100]
	buffer_store_dword v105, off, s[20:23], 0 offset:432 ; 4-byte Folded Spill
	s_nop 0
	buffer_store_dword v106, off, s[20:23], 0 offset:436 ; 4-byte Folded Spill
	buffer_store_dword v107, off, s[20:23], 0 offset:440 ; 4-byte Folded Spill
	buffer_store_dword v108, off, s[20:23], 0 offset:444 ; 4-byte Folded Spill
	ds_read2_b64 v[99:102], v125 offset0:36 offset1:37
	buffer_load_dword v105, off, s[20:23], 0 offset:416 ; 4-byte Folded Reload
	buffer_load_dword v106, off, s[20:23], 0 offset:420 ; 4-byte Folded Reload
	buffer_load_dword v107, off, s[20:23], 0 offset:424 ; 4-byte Folded Reload
	buffer_load_dword v108, off, s[20:23], 0 offset:428 ; 4-byte Folded Reload
	s_waitcnt lgkmcnt(0)
	v_mul_f64 v[103:104], v[101:102], v[109:110]
	v_fma_f64 v[103:104], v[99:100], v[97:98], -v[103:104]
	v_mul_f64 v[99:100], v[99:100], v[109:110]
	v_fma_f64 v[99:100], v[101:102], v[97:98], v[99:100]
	s_waitcnt vmcnt(2)
	v_add_f64 v[105:106], v[105:106], -v[103:104]
	s_waitcnt vmcnt(0)
	v_add_f64 v[107:108], v[107:108], -v[99:100]
	buffer_store_dword v105, off, s[20:23], 0 offset:416 ; 4-byte Folded Spill
	s_nop 0
	buffer_store_dword v106, off, s[20:23], 0 offset:420 ; 4-byte Folded Spill
	buffer_store_dword v107, off, s[20:23], 0 offset:424 ; 4-byte Folded Spill
	buffer_store_dword v108, off, s[20:23], 0 offset:428 ; 4-byte Folded Spill
	ds_read2_b64 v[99:102], v125 offset0:38 offset1:39
	;; [unrolled: 19-line block ×17, first 2 shown]
	v_mov_b32_e32 v108, v98
	v_mov_b32_e32 v107, v97
	s_waitcnt lgkmcnt(0)
	v_mul_f64 v[103:104], v[101:102], v[109:110]
	v_fma_f64 v[103:104], v[99:100], v[97:98], -v[103:104]
	v_mul_f64 v[99:100], v[99:100], v[109:110]
	v_add_f64 v[91:92], v[91:92], -v[103:104]
	v_fma_f64 v[99:100], v[101:102], v[97:98], v[99:100]
	v_add_f64 v[93:94], v[93:94], -v[99:100]
	ds_read2_b64 v[99:102], v125 offset0:70 offset1:71
	buffer_load_dword v77, off, s[20:23], 0 offset:160 ; 4-byte Folded Reload
	buffer_load_dword v78, off, s[20:23], 0 offset:164 ; 4-byte Folded Reload
	buffer_load_dword v79, off, s[20:23], 0 offset:168 ; 4-byte Folded Reload
	buffer_load_dword v80, off, s[20:23], 0 offset:172 ; 4-byte Folded Reload
	s_waitcnt lgkmcnt(0)
	v_mul_f64 v[103:104], v[101:102], v[109:110]
	v_fma_f64 v[103:104], v[99:100], v[97:98], -v[103:104]
	v_mul_f64 v[99:100], v[99:100], v[109:110]
	v_fma_f64 v[99:100], v[101:102], v[97:98], v[99:100]
	s_waitcnt vmcnt(2)
	v_add_f64 v[77:78], v[77:78], -v[103:104]
	s_waitcnt vmcnt(0)
	v_add_f64 v[79:80], v[79:80], -v[99:100]
	buffer_store_dword v77, off, s[20:23], 0 offset:160 ; 4-byte Folded Spill
	s_nop 0
	buffer_store_dword v78, off, s[20:23], 0 offset:164 ; 4-byte Folded Spill
	buffer_store_dword v79, off, s[20:23], 0 offset:168 ; 4-byte Folded Spill
	buffer_store_dword v80, off, s[20:23], 0 offset:172 ; 4-byte Folded Spill
	ds_read2_b64 v[99:102], v125 offset0:72 offset1:73
	buffer_load_dword v77, off, s[20:23], 0 offset:144 ; 4-byte Folded Reload
	buffer_load_dword v78, off, s[20:23], 0 offset:148 ; 4-byte Folded Reload
	buffer_load_dword v79, off, s[20:23], 0 offset:152 ; 4-byte Folded Reload
	buffer_load_dword v80, off, s[20:23], 0 offset:156 ; 4-byte Folded Reload
	s_waitcnt lgkmcnt(0)
	v_mul_f64 v[103:104], v[101:102], v[109:110]
	v_fma_f64 v[103:104], v[99:100], v[97:98], -v[103:104]
	v_mul_f64 v[99:100], v[99:100], v[109:110]
	v_fma_f64 v[99:100], v[101:102], v[97:98], v[99:100]
	s_waitcnt vmcnt(2)
	v_add_f64 v[77:78], v[77:78], -v[103:104]
	s_waitcnt vmcnt(0)
	v_add_f64 v[79:80], v[79:80], -v[99:100]
	buffer_store_dword v77, off, s[20:23], 0 offset:144 ; 4-byte Folded Spill
	s_nop 0
	buffer_store_dword v78, off, s[20:23], 0 offset:148 ; 4-byte Folded Spill
	buffer_store_dword v79, off, s[20:23], 0 offset:152 ; 4-byte Folded Spill
	buffer_store_dword v80, off, s[20:23], 0 offset:156 ; 4-byte Folded Spill
	;; [unrolled: 19-line block ×10, first 2 shown]
	ds_read2_b64 v[99:102], v125 offset0:90 offset1:91
	buffer_load_dword v41, off, s[20:23], 0 ; 4-byte Folded Reload
	buffer_load_dword v42, off, s[20:23], 0 offset:4 ; 4-byte Folded Reload
	buffer_load_dword v43, off, s[20:23], 0 offset:8 ; 4-byte Folded Reload
	;; [unrolled: 1-line block ×3, first 2 shown]
	s_waitcnt lgkmcnt(0)
	v_mul_f64 v[103:104], v[101:102], v[109:110]
	v_fma_f64 v[103:104], v[99:100], v[97:98], -v[103:104]
	v_mul_f64 v[99:100], v[99:100], v[109:110]
	v_fma_f64 v[99:100], v[101:102], v[97:98], v[99:100]
	s_waitcnt vmcnt(2)
	v_add_f64 v[41:42], v[41:42], -v[103:104]
	s_waitcnt vmcnt(0)
	v_add_f64 v[43:44], v[43:44], -v[99:100]
	buffer_store_dword v41, off, s[20:23], 0 ; 4-byte Folded Spill
	s_nop 0
	buffer_store_dword v42, off, s[20:23], 0 offset:4 ; 4-byte Folded Spill
	buffer_store_dword v43, off, s[20:23], 0 offset:8 ; 4-byte Folded Spill
	;; [unrolled: 1-line block ×3, first 2 shown]
	ds_read2_b64 v[99:102], v125 offset0:92 offset1:93
	s_waitcnt lgkmcnt(0)
	v_mul_f64 v[103:104], v[101:102], v[109:110]
	v_fma_f64 v[103:104], v[99:100], v[97:98], -v[103:104]
	v_mul_f64 v[99:100], v[99:100], v[109:110]
	v_add_f64 v[37:38], v[37:38], -v[103:104]
	v_fma_f64 v[99:100], v[101:102], v[97:98], v[99:100]
	v_add_f64 v[39:40], v[39:40], -v[99:100]
	ds_read2_b64 v[99:102], v125 offset0:94 offset1:95
	s_waitcnt lgkmcnt(0)
	v_mul_f64 v[103:104], v[101:102], v[109:110]
	v_fma_f64 v[103:104], v[99:100], v[97:98], -v[103:104]
	v_mul_f64 v[99:100], v[99:100], v[109:110]
	v_add_f64 v[33:34], v[33:34], -v[103:104]
	v_fma_f64 v[99:100], v[101:102], v[97:98], v[99:100]
	v_add_f64 v[35:36], v[35:36], -v[99:100]
	;; [unrolled: 8-line block ×10, first 2 shown]
	ds_read2_b64 v[99:102], v125 offset0:112 offset1:113
	s_waitcnt lgkmcnt(0)
	v_mul_f64 v[103:104], v[101:102], v[109:110]
	v_fma_f64 v[103:104], v[99:100], v[97:98], -v[103:104]
	v_mul_f64 v[99:100], v[99:100], v[109:110]
	buffer_store_dword v107, off, s[20:23], 0 offset:448 ; 4-byte Folded Spill
	s_nop 0
	buffer_store_dword v108, off, s[20:23], 0 offset:452 ; 4-byte Folded Spill
	buffer_store_dword v109, off, s[20:23], 0 offset:456 ; 4-byte Folded Spill
	buffer_store_dword v110, off, s[20:23], 0 offset:460 ; 4-byte Folded Spill
	v_add_f64 v[121:122], v[121:122], -v[103:104]
	v_fma_f64 v[99:100], v[101:102], v[97:98], v[99:100]
	v_add_f64 v[123:124], v[123:124], -v[99:100]
.LBB113_154:
	s_or_b64 exec, exec, s[2:3]
	v_cmp_eq_u32_e32 vcc, 17, v0
	s_waitcnt vmcnt(0)
	s_barrier
	s_and_saveexec_b64 s[4:5], vcc
	s_cbranch_execz .LBB113_161
; %bb.155:
	buffer_load_dword v95, off, s[20:23], 0 offset:432 ; 4-byte Folded Reload
	buffer_load_dword v96, off, s[20:23], 0 offset:436 ; 4-byte Folded Reload
	;; [unrolled: 1-line block ×4, first 2 shown]
	s_waitcnt vmcnt(0)
	ds_write2_b64 v127, v[95:96], v[97:98] offset1:1
	buffer_load_dword v95, off, s[20:23], 0 offset:416 ; 4-byte Folded Reload
	buffer_load_dword v96, off, s[20:23], 0 offset:420 ; 4-byte Folded Reload
	buffer_load_dword v97, off, s[20:23], 0 offset:424 ; 4-byte Folded Reload
	buffer_load_dword v98, off, s[20:23], 0 offset:428 ; 4-byte Folded Reload
	s_waitcnt vmcnt(0)
	ds_write2_b64 v125, v[95:96], v[97:98] offset0:36 offset1:37
	buffer_load_dword v95, off, s[20:23], 0 offset:400 ; 4-byte Folded Reload
	buffer_load_dword v96, off, s[20:23], 0 offset:404 ; 4-byte Folded Reload
	buffer_load_dword v97, off, s[20:23], 0 offset:408 ; 4-byte Folded Reload
	buffer_load_dword v98, off, s[20:23], 0 offset:412 ; 4-byte Folded Reload
	s_waitcnt vmcnt(0)
	ds_write2_b64 v125, v[95:96], v[97:98] offset0:38 offset1:39
	;; [unrolled: 6-line block ×16, first 2 shown]
	ds_write2_b64 v125, v[91:92], v[93:94] offset0:68 offset1:69
	buffer_load_dword v77, off, s[20:23], 0 offset:160 ; 4-byte Folded Reload
	buffer_load_dword v78, off, s[20:23], 0 offset:164 ; 4-byte Folded Reload
	buffer_load_dword v79, off, s[20:23], 0 offset:168 ; 4-byte Folded Reload
	buffer_load_dword v80, off, s[20:23], 0 offset:172 ; 4-byte Folded Reload
	s_waitcnt vmcnt(0)
	ds_write2_b64 v125, v[77:78], v[79:80] offset0:70 offset1:71
	buffer_load_dword v77, off, s[20:23], 0 offset:144 ; 4-byte Folded Reload
	buffer_load_dword v78, off, s[20:23], 0 offset:148 ; 4-byte Folded Reload
	buffer_load_dword v79, off, s[20:23], 0 offset:152 ; 4-byte Folded Reload
	buffer_load_dword v80, off, s[20:23], 0 offset:156 ; 4-byte Folded Reload
	s_waitcnt vmcnt(0)
	;; [unrolled: 6-line block ×10, first 2 shown]
	ds_write2_b64 v125, v[45:46], v[47:48] offset0:88 offset1:89
	buffer_load_dword v41, off, s[20:23], 0 ; 4-byte Folded Reload
	buffer_load_dword v42, off, s[20:23], 0 offset:4 ; 4-byte Folded Reload
	buffer_load_dword v43, off, s[20:23], 0 offset:8 ; 4-byte Folded Reload
	;; [unrolled: 1-line block ×3, first 2 shown]
	s_waitcnt vmcnt(0)
	ds_write2_b64 v125, v[41:42], v[43:44] offset0:90 offset1:91
	ds_write2_b64 v125, v[37:38], v[39:40] offset0:92 offset1:93
	;; [unrolled: 1-line block ×12, first 2 shown]
	ds_read2_b64 v[97:100], v127 offset1:1
	s_waitcnt lgkmcnt(0)
	v_cmp_neq_f64_e32 vcc, 0, v[97:98]
	v_cmp_neq_f64_e64 s[2:3], 0, v[99:100]
	s_or_b64 s[2:3], vcc, s[2:3]
	s_and_b64 exec, exec, s[2:3]
	s_cbranch_execz .LBB113_161
; %bb.156:
	v_cmp_ngt_f64_e64 s[2:3], |v[97:98]|, |v[99:100]|
                                        ; implicit-def: $vgpr101_vgpr102
	s_and_saveexec_b64 s[6:7], s[2:3]
	s_xor_b64 s[2:3], exec, s[6:7]
                                        ; implicit-def: $vgpr103_vgpr104
	s_cbranch_execz .LBB113_158
; %bb.157:
	v_div_scale_f64 v[101:102], s[6:7], v[99:100], v[99:100], v[97:98]
	v_rcp_f64_e32 v[103:104], v[101:102]
	v_fma_f64 v[105:106], -v[101:102], v[103:104], 1.0
	v_fma_f64 v[103:104], v[103:104], v[105:106], v[103:104]
	v_div_scale_f64 v[105:106], vcc, v[97:98], v[99:100], v[97:98]
	v_fma_f64 v[107:108], -v[101:102], v[103:104], 1.0
	v_fma_f64 v[103:104], v[103:104], v[107:108], v[103:104]
	v_mul_f64 v[107:108], v[105:106], v[103:104]
	v_fma_f64 v[101:102], -v[101:102], v[107:108], v[105:106]
	v_div_fmas_f64 v[101:102], v[101:102], v[103:104], v[107:108]
	v_div_fixup_f64 v[101:102], v[101:102], v[99:100], v[97:98]
	v_fma_f64 v[97:98], v[97:98], v[101:102], v[99:100]
	v_div_scale_f64 v[99:100], s[6:7], v[97:98], v[97:98], 1.0
	v_div_scale_f64 v[107:108], vcc, 1.0, v[97:98], 1.0
	v_rcp_f64_e32 v[103:104], v[99:100]
	v_fma_f64 v[105:106], -v[99:100], v[103:104], 1.0
	v_fma_f64 v[103:104], v[103:104], v[105:106], v[103:104]
	v_fma_f64 v[105:106], -v[99:100], v[103:104], 1.0
	v_fma_f64 v[103:104], v[103:104], v[105:106], v[103:104]
	v_mul_f64 v[105:106], v[107:108], v[103:104]
	v_fma_f64 v[99:100], -v[99:100], v[105:106], v[107:108]
	v_div_fmas_f64 v[99:100], v[99:100], v[103:104], v[105:106]
	v_div_fixup_f64 v[103:104], v[99:100], v[97:98], 1.0
                                        ; implicit-def: $vgpr97_vgpr98
	v_mul_f64 v[101:102], v[101:102], v[103:104]
	v_xor_b32_e32 v104, 0x80000000, v104
.LBB113_158:
	s_andn2_saveexec_b64 s[2:3], s[2:3]
	s_cbranch_execz .LBB113_160
; %bb.159:
	v_div_scale_f64 v[101:102], s[6:7], v[97:98], v[97:98], v[99:100]
	v_rcp_f64_e32 v[103:104], v[101:102]
	v_fma_f64 v[105:106], -v[101:102], v[103:104], 1.0
	v_fma_f64 v[103:104], v[103:104], v[105:106], v[103:104]
	v_div_scale_f64 v[105:106], vcc, v[99:100], v[97:98], v[99:100]
	v_fma_f64 v[107:108], -v[101:102], v[103:104], 1.0
	v_fma_f64 v[103:104], v[103:104], v[107:108], v[103:104]
	v_mul_f64 v[107:108], v[105:106], v[103:104]
	v_fma_f64 v[101:102], -v[101:102], v[107:108], v[105:106]
	v_div_fmas_f64 v[101:102], v[101:102], v[103:104], v[107:108]
	v_div_fixup_f64 v[103:104], v[101:102], v[97:98], v[99:100]
	v_fma_f64 v[97:98], v[99:100], v[103:104], v[97:98]
	v_div_scale_f64 v[99:100], s[6:7], v[97:98], v[97:98], 1.0
	v_div_scale_f64 v[107:108], vcc, 1.0, v[97:98], 1.0
	v_rcp_f64_e32 v[101:102], v[99:100]
	v_fma_f64 v[105:106], -v[99:100], v[101:102], 1.0
	v_fma_f64 v[101:102], v[101:102], v[105:106], v[101:102]
	v_fma_f64 v[105:106], -v[99:100], v[101:102], 1.0
	v_fma_f64 v[101:102], v[101:102], v[105:106], v[101:102]
	v_mul_f64 v[105:106], v[107:108], v[101:102]
	v_fma_f64 v[99:100], -v[99:100], v[105:106], v[107:108]
	v_div_fmas_f64 v[99:100], v[99:100], v[101:102], v[105:106]
	v_div_fixup_f64 v[101:102], v[99:100], v[97:98], 1.0
	v_mul_f64 v[103:104], v[103:104], -v[101:102]
.LBB113_160:
	s_or_b64 exec, exec, s[2:3]
	ds_write2_b64 v127, v[101:102], v[103:104] offset1:1
.LBB113_161:
	s_or_b64 exec, exec, s[4:5]
	s_waitcnt lgkmcnt(0)
	s_barrier
	ds_read2_b64 v[87:90], v127 offset1:1
	v_cmp_lt_u32_e32 vcc, 17, v0
	s_waitcnt lgkmcnt(0)
	buffer_store_dword v87, off, s[20:23], 0 offset:1440 ; 4-byte Folded Spill
	s_nop 0
	buffer_store_dword v88, off, s[20:23], 0 offset:1444 ; 4-byte Folded Spill
	buffer_store_dword v89, off, s[20:23], 0 offset:1448 ; 4-byte Folded Spill
	;; [unrolled: 1-line block ×3, first 2 shown]
	s_and_saveexec_b64 s[2:3], vcc
	s_cbranch_execz .LBB113_163
; %bb.162:
	buffer_load_dword v107, off, s[20:23], 0 offset:432 ; 4-byte Folded Reload
	buffer_load_dword v108, off, s[20:23], 0 offset:436 ; 4-byte Folded Reload
	;; [unrolled: 1-line block ×8, first 2 shown]
	s_waitcnt vmcnt(2)
	v_mul_f64 v[99:100], v[87:88], v[109:110]
	s_waitcnt vmcnt(0)
	v_mul_f64 v[97:98], v[89:90], v[109:110]
	v_fma_f64 v[109:110], v[89:90], v[107:108], v[99:100]
	ds_read2_b64 v[99:102], v125 offset0:36 offset1:37
	v_fma_f64 v[97:98], v[87:88], v[107:108], -v[97:98]
	buffer_load_dword v105, off, s[20:23], 0 offset:416 ; 4-byte Folded Reload
	buffer_load_dword v106, off, s[20:23], 0 offset:420 ; 4-byte Folded Reload
	buffer_load_dword v107, off, s[20:23], 0 offset:424 ; 4-byte Folded Reload
	buffer_load_dword v108, off, s[20:23], 0 offset:428 ; 4-byte Folded Reload
	s_waitcnt lgkmcnt(0)
	v_mul_f64 v[103:104], v[101:102], v[109:110]
	v_fma_f64 v[103:104], v[99:100], v[97:98], -v[103:104]
	v_mul_f64 v[99:100], v[99:100], v[109:110]
	v_fma_f64 v[99:100], v[101:102], v[97:98], v[99:100]
	s_waitcnt vmcnt(2)
	v_add_f64 v[105:106], v[105:106], -v[103:104]
	s_waitcnt vmcnt(0)
	v_add_f64 v[107:108], v[107:108], -v[99:100]
	buffer_store_dword v105, off, s[20:23], 0 offset:416 ; 4-byte Folded Spill
	s_nop 0
	buffer_store_dword v106, off, s[20:23], 0 offset:420 ; 4-byte Folded Spill
	buffer_store_dword v107, off, s[20:23], 0 offset:424 ; 4-byte Folded Spill
	buffer_store_dword v108, off, s[20:23], 0 offset:428 ; 4-byte Folded Spill
	ds_read2_b64 v[99:102], v125 offset0:38 offset1:39
	buffer_load_dword v105, off, s[20:23], 0 offset:400 ; 4-byte Folded Reload
	buffer_load_dword v106, off, s[20:23], 0 offset:404 ; 4-byte Folded Reload
	buffer_load_dword v107, off, s[20:23], 0 offset:408 ; 4-byte Folded Reload
	buffer_load_dword v108, off, s[20:23], 0 offset:412 ; 4-byte Folded Reload
	s_waitcnt lgkmcnt(0)
	v_mul_f64 v[103:104], v[101:102], v[109:110]
	v_fma_f64 v[103:104], v[99:100], v[97:98], -v[103:104]
	v_mul_f64 v[99:100], v[99:100], v[109:110]
	v_fma_f64 v[99:100], v[101:102], v[97:98], v[99:100]
	s_waitcnt vmcnt(2)
	v_add_f64 v[105:106], v[105:106], -v[103:104]
	s_waitcnt vmcnt(0)
	v_add_f64 v[107:108], v[107:108], -v[99:100]
	buffer_store_dword v105, off, s[20:23], 0 offset:400 ; 4-byte Folded Spill
	s_nop 0
	buffer_store_dword v106, off, s[20:23], 0 offset:404 ; 4-byte Folded Spill
	buffer_store_dword v107, off, s[20:23], 0 offset:408 ; 4-byte Folded Spill
	buffer_store_dword v108, off, s[20:23], 0 offset:412 ; 4-byte Folded Spill
	ds_read2_b64 v[99:102], v125 offset0:40 offset1:41
	;; [unrolled: 19-line block ×16, first 2 shown]
	v_mov_b32_e32 v108, v98
	v_mov_b32_e32 v107, v97
	s_waitcnt lgkmcnt(0)
	v_mul_f64 v[103:104], v[101:102], v[109:110]
	v_fma_f64 v[103:104], v[99:100], v[97:98], -v[103:104]
	v_mul_f64 v[99:100], v[99:100], v[109:110]
	v_add_f64 v[91:92], v[91:92], -v[103:104]
	v_fma_f64 v[99:100], v[101:102], v[97:98], v[99:100]
	v_add_f64 v[93:94], v[93:94], -v[99:100]
	ds_read2_b64 v[99:102], v125 offset0:70 offset1:71
	buffer_load_dword v77, off, s[20:23], 0 offset:160 ; 4-byte Folded Reload
	buffer_load_dword v78, off, s[20:23], 0 offset:164 ; 4-byte Folded Reload
	buffer_load_dword v79, off, s[20:23], 0 offset:168 ; 4-byte Folded Reload
	buffer_load_dword v80, off, s[20:23], 0 offset:172 ; 4-byte Folded Reload
	s_waitcnt lgkmcnt(0)
	v_mul_f64 v[103:104], v[101:102], v[109:110]
	v_fma_f64 v[103:104], v[99:100], v[97:98], -v[103:104]
	v_mul_f64 v[99:100], v[99:100], v[109:110]
	v_fma_f64 v[99:100], v[101:102], v[97:98], v[99:100]
	s_waitcnt vmcnt(2)
	v_add_f64 v[77:78], v[77:78], -v[103:104]
	s_waitcnt vmcnt(0)
	v_add_f64 v[79:80], v[79:80], -v[99:100]
	buffer_store_dword v77, off, s[20:23], 0 offset:160 ; 4-byte Folded Spill
	s_nop 0
	buffer_store_dword v78, off, s[20:23], 0 offset:164 ; 4-byte Folded Spill
	buffer_store_dword v79, off, s[20:23], 0 offset:168 ; 4-byte Folded Spill
	buffer_store_dword v80, off, s[20:23], 0 offset:172 ; 4-byte Folded Spill
	ds_read2_b64 v[99:102], v125 offset0:72 offset1:73
	buffer_load_dword v77, off, s[20:23], 0 offset:144 ; 4-byte Folded Reload
	buffer_load_dword v78, off, s[20:23], 0 offset:148 ; 4-byte Folded Reload
	buffer_load_dword v79, off, s[20:23], 0 offset:152 ; 4-byte Folded Reload
	buffer_load_dword v80, off, s[20:23], 0 offset:156 ; 4-byte Folded Reload
	s_waitcnt lgkmcnt(0)
	v_mul_f64 v[103:104], v[101:102], v[109:110]
	v_fma_f64 v[103:104], v[99:100], v[97:98], -v[103:104]
	v_mul_f64 v[99:100], v[99:100], v[109:110]
	v_fma_f64 v[99:100], v[101:102], v[97:98], v[99:100]
	s_waitcnt vmcnt(2)
	v_add_f64 v[77:78], v[77:78], -v[103:104]
	s_waitcnt vmcnt(0)
	v_add_f64 v[79:80], v[79:80], -v[99:100]
	buffer_store_dword v77, off, s[20:23], 0 offset:144 ; 4-byte Folded Spill
	s_nop 0
	buffer_store_dword v78, off, s[20:23], 0 offset:148 ; 4-byte Folded Spill
	buffer_store_dword v79, off, s[20:23], 0 offset:152 ; 4-byte Folded Spill
	buffer_store_dword v80, off, s[20:23], 0 offset:156 ; 4-byte Folded Spill
	;; [unrolled: 19-line block ×10, first 2 shown]
	ds_read2_b64 v[99:102], v125 offset0:90 offset1:91
	buffer_load_dword v41, off, s[20:23], 0 ; 4-byte Folded Reload
	buffer_load_dword v42, off, s[20:23], 0 offset:4 ; 4-byte Folded Reload
	buffer_load_dword v43, off, s[20:23], 0 offset:8 ; 4-byte Folded Reload
	;; [unrolled: 1-line block ×3, first 2 shown]
	s_waitcnt lgkmcnt(0)
	v_mul_f64 v[103:104], v[101:102], v[109:110]
	v_fma_f64 v[103:104], v[99:100], v[97:98], -v[103:104]
	v_mul_f64 v[99:100], v[99:100], v[109:110]
	v_fma_f64 v[99:100], v[101:102], v[97:98], v[99:100]
	s_waitcnt vmcnt(2)
	v_add_f64 v[41:42], v[41:42], -v[103:104]
	s_waitcnt vmcnt(0)
	v_add_f64 v[43:44], v[43:44], -v[99:100]
	buffer_store_dword v41, off, s[20:23], 0 ; 4-byte Folded Spill
	s_nop 0
	buffer_store_dword v42, off, s[20:23], 0 offset:4 ; 4-byte Folded Spill
	buffer_store_dword v43, off, s[20:23], 0 offset:8 ; 4-byte Folded Spill
	;; [unrolled: 1-line block ×3, first 2 shown]
	ds_read2_b64 v[99:102], v125 offset0:92 offset1:93
	s_waitcnt lgkmcnt(0)
	v_mul_f64 v[103:104], v[101:102], v[109:110]
	v_fma_f64 v[103:104], v[99:100], v[97:98], -v[103:104]
	v_mul_f64 v[99:100], v[99:100], v[109:110]
	v_add_f64 v[37:38], v[37:38], -v[103:104]
	v_fma_f64 v[99:100], v[101:102], v[97:98], v[99:100]
	v_add_f64 v[39:40], v[39:40], -v[99:100]
	ds_read2_b64 v[99:102], v125 offset0:94 offset1:95
	s_waitcnt lgkmcnt(0)
	v_mul_f64 v[103:104], v[101:102], v[109:110]
	v_fma_f64 v[103:104], v[99:100], v[97:98], -v[103:104]
	v_mul_f64 v[99:100], v[99:100], v[109:110]
	v_add_f64 v[33:34], v[33:34], -v[103:104]
	v_fma_f64 v[99:100], v[101:102], v[97:98], v[99:100]
	v_add_f64 v[35:36], v[35:36], -v[99:100]
	;; [unrolled: 8-line block ×10, first 2 shown]
	ds_read2_b64 v[99:102], v125 offset0:112 offset1:113
	s_waitcnt lgkmcnt(0)
	v_mul_f64 v[103:104], v[101:102], v[109:110]
	v_fma_f64 v[103:104], v[99:100], v[97:98], -v[103:104]
	v_mul_f64 v[99:100], v[99:100], v[109:110]
	buffer_store_dword v107, off, s[20:23], 0 offset:432 ; 4-byte Folded Spill
	s_nop 0
	buffer_store_dword v108, off, s[20:23], 0 offset:436 ; 4-byte Folded Spill
	buffer_store_dword v109, off, s[20:23], 0 offset:440 ; 4-byte Folded Spill
	;; [unrolled: 1-line block ×3, first 2 shown]
	v_add_f64 v[121:122], v[121:122], -v[103:104]
	v_fma_f64 v[99:100], v[101:102], v[97:98], v[99:100]
	v_add_f64 v[123:124], v[123:124], -v[99:100]
.LBB113_163:
	s_or_b64 exec, exec, s[2:3]
	v_cmp_eq_u32_e32 vcc, 18, v0
	s_waitcnt vmcnt(0)
	s_barrier
	s_and_saveexec_b64 s[4:5], vcc
	s_cbranch_execz .LBB113_170
; %bb.164:
	buffer_load_dword v95, off, s[20:23], 0 offset:416 ; 4-byte Folded Reload
	buffer_load_dword v96, off, s[20:23], 0 offset:420 ; 4-byte Folded Reload
	;; [unrolled: 1-line block ×4, first 2 shown]
	s_waitcnt vmcnt(0)
	ds_write2_b64 v127, v[95:96], v[97:98] offset1:1
	buffer_load_dword v95, off, s[20:23], 0 offset:400 ; 4-byte Folded Reload
	buffer_load_dword v96, off, s[20:23], 0 offset:404 ; 4-byte Folded Reload
	buffer_load_dword v97, off, s[20:23], 0 offset:408 ; 4-byte Folded Reload
	buffer_load_dword v98, off, s[20:23], 0 offset:412 ; 4-byte Folded Reload
	s_waitcnt vmcnt(0)
	ds_write2_b64 v125, v[95:96], v[97:98] offset0:38 offset1:39
	buffer_load_dword v95, off, s[20:23], 0 offset:384 ; 4-byte Folded Reload
	buffer_load_dword v96, off, s[20:23], 0 offset:388 ; 4-byte Folded Reload
	buffer_load_dword v97, off, s[20:23], 0 offset:392 ; 4-byte Folded Reload
	buffer_load_dword v98, off, s[20:23], 0 offset:396 ; 4-byte Folded Reload
	s_waitcnt vmcnt(0)
	ds_write2_b64 v125, v[95:96], v[97:98] offset0:40 offset1:41
	;; [unrolled: 6-line block ×15, first 2 shown]
	ds_write2_b64 v125, v[91:92], v[93:94] offset0:68 offset1:69
	buffer_load_dword v77, off, s[20:23], 0 offset:160 ; 4-byte Folded Reload
	buffer_load_dword v78, off, s[20:23], 0 offset:164 ; 4-byte Folded Reload
	buffer_load_dword v79, off, s[20:23], 0 offset:168 ; 4-byte Folded Reload
	buffer_load_dword v80, off, s[20:23], 0 offset:172 ; 4-byte Folded Reload
	s_waitcnt vmcnt(0)
	ds_write2_b64 v125, v[77:78], v[79:80] offset0:70 offset1:71
	buffer_load_dword v77, off, s[20:23], 0 offset:144 ; 4-byte Folded Reload
	buffer_load_dword v78, off, s[20:23], 0 offset:148 ; 4-byte Folded Reload
	buffer_load_dword v79, off, s[20:23], 0 offset:152 ; 4-byte Folded Reload
	buffer_load_dword v80, off, s[20:23], 0 offset:156 ; 4-byte Folded Reload
	s_waitcnt vmcnt(0)
	;; [unrolled: 6-line block ×10, first 2 shown]
	ds_write2_b64 v125, v[45:46], v[47:48] offset0:88 offset1:89
	buffer_load_dword v41, off, s[20:23], 0 ; 4-byte Folded Reload
	buffer_load_dword v42, off, s[20:23], 0 offset:4 ; 4-byte Folded Reload
	buffer_load_dword v43, off, s[20:23], 0 offset:8 ; 4-byte Folded Reload
	;; [unrolled: 1-line block ×3, first 2 shown]
	s_waitcnt vmcnt(0)
	ds_write2_b64 v125, v[41:42], v[43:44] offset0:90 offset1:91
	ds_write2_b64 v125, v[37:38], v[39:40] offset0:92 offset1:93
	;; [unrolled: 1-line block ×12, first 2 shown]
	ds_read2_b64 v[97:100], v127 offset1:1
	s_waitcnt lgkmcnt(0)
	v_cmp_neq_f64_e32 vcc, 0, v[97:98]
	v_cmp_neq_f64_e64 s[2:3], 0, v[99:100]
	s_or_b64 s[2:3], vcc, s[2:3]
	s_and_b64 exec, exec, s[2:3]
	s_cbranch_execz .LBB113_170
; %bb.165:
	v_cmp_ngt_f64_e64 s[2:3], |v[97:98]|, |v[99:100]|
                                        ; implicit-def: $vgpr101_vgpr102
	s_and_saveexec_b64 s[6:7], s[2:3]
	s_xor_b64 s[2:3], exec, s[6:7]
                                        ; implicit-def: $vgpr103_vgpr104
	s_cbranch_execz .LBB113_167
; %bb.166:
	v_div_scale_f64 v[101:102], s[6:7], v[99:100], v[99:100], v[97:98]
	v_rcp_f64_e32 v[103:104], v[101:102]
	v_fma_f64 v[105:106], -v[101:102], v[103:104], 1.0
	v_fma_f64 v[103:104], v[103:104], v[105:106], v[103:104]
	v_div_scale_f64 v[105:106], vcc, v[97:98], v[99:100], v[97:98]
	v_fma_f64 v[107:108], -v[101:102], v[103:104], 1.0
	v_fma_f64 v[103:104], v[103:104], v[107:108], v[103:104]
	v_mul_f64 v[107:108], v[105:106], v[103:104]
	v_fma_f64 v[101:102], -v[101:102], v[107:108], v[105:106]
	v_div_fmas_f64 v[101:102], v[101:102], v[103:104], v[107:108]
	v_div_fixup_f64 v[101:102], v[101:102], v[99:100], v[97:98]
	v_fma_f64 v[97:98], v[97:98], v[101:102], v[99:100]
	v_div_scale_f64 v[99:100], s[6:7], v[97:98], v[97:98], 1.0
	v_div_scale_f64 v[107:108], vcc, 1.0, v[97:98], 1.0
	v_rcp_f64_e32 v[103:104], v[99:100]
	v_fma_f64 v[105:106], -v[99:100], v[103:104], 1.0
	v_fma_f64 v[103:104], v[103:104], v[105:106], v[103:104]
	v_fma_f64 v[105:106], -v[99:100], v[103:104], 1.0
	v_fma_f64 v[103:104], v[103:104], v[105:106], v[103:104]
	v_mul_f64 v[105:106], v[107:108], v[103:104]
	v_fma_f64 v[99:100], -v[99:100], v[105:106], v[107:108]
	v_div_fmas_f64 v[99:100], v[99:100], v[103:104], v[105:106]
	v_div_fixup_f64 v[103:104], v[99:100], v[97:98], 1.0
                                        ; implicit-def: $vgpr97_vgpr98
	v_mul_f64 v[101:102], v[101:102], v[103:104]
	v_xor_b32_e32 v104, 0x80000000, v104
.LBB113_167:
	s_andn2_saveexec_b64 s[2:3], s[2:3]
	s_cbranch_execz .LBB113_169
; %bb.168:
	v_div_scale_f64 v[101:102], s[6:7], v[97:98], v[97:98], v[99:100]
	v_rcp_f64_e32 v[103:104], v[101:102]
	v_fma_f64 v[105:106], -v[101:102], v[103:104], 1.0
	v_fma_f64 v[103:104], v[103:104], v[105:106], v[103:104]
	v_div_scale_f64 v[105:106], vcc, v[99:100], v[97:98], v[99:100]
	v_fma_f64 v[107:108], -v[101:102], v[103:104], 1.0
	v_fma_f64 v[103:104], v[103:104], v[107:108], v[103:104]
	v_mul_f64 v[107:108], v[105:106], v[103:104]
	v_fma_f64 v[101:102], -v[101:102], v[107:108], v[105:106]
	v_div_fmas_f64 v[101:102], v[101:102], v[103:104], v[107:108]
	v_div_fixup_f64 v[103:104], v[101:102], v[97:98], v[99:100]
	v_fma_f64 v[97:98], v[99:100], v[103:104], v[97:98]
	v_div_scale_f64 v[99:100], s[6:7], v[97:98], v[97:98], 1.0
	v_div_scale_f64 v[107:108], vcc, 1.0, v[97:98], 1.0
	v_rcp_f64_e32 v[101:102], v[99:100]
	v_fma_f64 v[105:106], -v[99:100], v[101:102], 1.0
	v_fma_f64 v[101:102], v[101:102], v[105:106], v[101:102]
	v_fma_f64 v[105:106], -v[99:100], v[101:102], 1.0
	v_fma_f64 v[101:102], v[101:102], v[105:106], v[101:102]
	v_mul_f64 v[105:106], v[107:108], v[101:102]
	v_fma_f64 v[99:100], -v[99:100], v[105:106], v[107:108]
	v_div_fmas_f64 v[99:100], v[99:100], v[101:102], v[105:106]
	v_div_fixup_f64 v[101:102], v[99:100], v[97:98], 1.0
	v_mul_f64 v[103:104], v[103:104], -v[101:102]
.LBB113_169:
	s_or_b64 exec, exec, s[2:3]
	ds_write2_b64 v127, v[101:102], v[103:104] offset1:1
.LBB113_170:
	s_or_b64 exec, exec, s[4:5]
	s_waitcnt lgkmcnt(0)
	s_barrier
	ds_read2_b64 v[87:90], v127 offset1:1
	v_cmp_lt_u32_e32 vcc, 18, v0
	s_waitcnt lgkmcnt(0)
	buffer_store_dword v87, off, s[20:23], 0 offset:1456 ; 4-byte Folded Spill
	s_nop 0
	buffer_store_dword v88, off, s[20:23], 0 offset:1460 ; 4-byte Folded Spill
	buffer_store_dword v89, off, s[20:23], 0 offset:1464 ; 4-byte Folded Spill
	;; [unrolled: 1-line block ×3, first 2 shown]
	s_and_saveexec_b64 s[2:3], vcc
	s_cbranch_execz .LBB113_172
; %bb.171:
	buffer_load_dword v107, off, s[20:23], 0 offset:416 ; 4-byte Folded Reload
	buffer_load_dword v108, off, s[20:23], 0 offset:420 ; 4-byte Folded Reload
	;; [unrolled: 1-line block ×8, first 2 shown]
	s_waitcnt vmcnt(2)
	v_mul_f64 v[99:100], v[87:88], v[109:110]
	s_waitcnt vmcnt(0)
	v_mul_f64 v[97:98], v[89:90], v[109:110]
	v_fma_f64 v[109:110], v[89:90], v[107:108], v[99:100]
	ds_read2_b64 v[99:102], v125 offset0:38 offset1:39
	v_fma_f64 v[97:98], v[87:88], v[107:108], -v[97:98]
	buffer_load_dword v105, off, s[20:23], 0 offset:400 ; 4-byte Folded Reload
	buffer_load_dword v106, off, s[20:23], 0 offset:404 ; 4-byte Folded Reload
	buffer_load_dword v107, off, s[20:23], 0 offset:408 ; 4-byte Folded Reload
	buffer_load_dword v108, off, s[20:23], 0 offset:412 ; 4-byte Folded Reload
	s_waitcnt lgkmcnt(0)
	v_mul_f64 v[103:104], v[101:102], v[109:110]
	v_fma_f64 v[103:104], v[99:100], v[97:98], -v[103:104]
	v_mul_f64 v[99:100], v[99:100], v[109:110]
	v_fma_f64 v[99:100], v[101:102], v[97:98], v[99:100]
	s_waitcnt vmcnt(2)
	v_add_f64 v[105:106], v[105:106], -v[103:104]
	s_waitcnt vmcnt(0)
	v_add_f64 v[107:108], v[107:108], -v[99:100]
	buffer_store_dword v105, off, s[20:23], 0 offset:400 ; 4-byte Folded Spill
	s_nop 0
	buffer_store_dword v106, off, s[20:23], 0 offset:404 ; 4-byte Folded Spill
	buffer_store_dword v107, off, s[20:23], 0 offset:408 ; 4-byte Folded Spill
	buffer_store_dword v108, off, s[20:23], 0 offset:412 ; 4-byte Folded Spill
	ds_read2_b64 v[99:102], v125 offset0:40 offset1:41
	buffer_load_dword v105, off, s[20:23], 0 offset:384 ; 4-byte Folded Reload
	buffer_load_dword v106, off, s[20:23], 0 offset:388 ; 4-byte Folded Reload
	buffer_load_dword v107, off, s[20:23], 0 offset:392 ; 4-byte Folded Reload
	buffer_load_dword v108, off, s[20:23], 0 offset:396 ; 4-byte Folded Reload
	s_waitcnt lgkmcnt(0)
	v_mul_f64 v[103:104], v[101:102], v[109:110]
	v_fma_f64 v[103:104], v[99:100], v[97:98], -v[103:104]
	v_mul_f64 v[99:100], v[99:100], v[109:110]
	v_fma_f64 v[99:100], v[101:102], v[97:98], v[99:100]
	s_waitcnt vmcnt(2)
	v_add_f64 v[105:106], v[105:106], -v[103:104]
	s_waitcnt vmcnt(0)
	v_add_f64 v[107:108], v[107:108], -v[99:100]
	buffer_store_dword v105, off, s[20:23], 0 offset:384 ; 4-byte Folded Spill
	s_nop 0
	buffer_store_dword v106, off, s[20:23], 0 offset:388 ; 4-byte Folded Spill
	buffer_store_dword v107, off, s[20:23], 0 offset:392 ; 4-byte Folded Spill
	buffer_store_dword v108, off, s[20:23], 0 offset:396 ; 4-byte Folded Spill
	ds_read2_b64 v[99:102], v125 offset0:42 offset1:43
	;; [unrolled: 19-line block ×15, first 2 shown]
	v_mov_b32_e32 v108, v98
	v_mov_b32_e32 v107, v97
	s_waitcnt lgkmcnt(0)
	v_mul_f64 v[103:104], v[101:102], v[109:110]
	v_fma_f64 v[103:104], v[99:100], v[97:98], -v[103:104]
	v_mul_f64 v[99:100], v[99:100], v[109:110]
	v_add_f64 v[91:92], v[91:92], -v[103:104]
	v_fma_f64 v[99:100], v[101:102], v[97:98], v[99:100]
	v_add_f64 v[93:94], v[93:94], -v[99:100]
	ds_read2_b64 v[99:102], v125 offset0:70 offset1:71
	buffer_load_dword v77, off, s[20:23], 0 offset:160 ; 4-byte Folded Reload
	buffer_load_dword v78, off, s[20:23], 0 offset:164 ; 4-byte Folded Reload
	buffer_load_dword v79, off, s[20:23], 0 offset:168 ; 4-byte Folded Reload
	buffer_load_dword v80, off, s[20:23], 0 offset:172 ; 4-byte Folded Reload
	s_waitcnt lgkmcnt(0)
	v_mul_f64 v[103:104], v[101:102], v[109:110]
	v_fma_f64 v[103:104], v[99:100], v[97:98], -v[103:104]
	v_mul_f64 v[99:100], v[99:100], v[109:110]
	v_fma_f64 v[99:100], v[101:102], v[97:98], v[99:100]
	s_waitcnt vmcnt(2)
	v_add_f64 v[77:78], v[77:78], -v[103:104]
	s_waitcnt vmcnt(0)
	v_add_f64 v[79:80], v[79:80], -v[99:100]
	buffer_store_dword v77, off, s[20:23], 0 offset:160 ; 4-byte Folded Spill
	s_nop 0
	buffer_store_dword v78, off, s[20:23], 0 offset:164 ; 4-byte Folded Spill
	buffer_store_dword v79, off, s[20:23], 0 offset:168 ; 4-byte Folded Spill
	buffer_store_dword v80, off, s[20:23], 0 offset:172 ; 4-byte Folded Spill
	ds_read2_b64 v[99:102], v125 offset0:72 offset1:73
	buffer_load_dword v77, off, s[20:23], 0 offset:144 ; 4-byte Folded Reload
	buffer_load_dword v78, off, s[20:23], 0 offset:148 ; 4-byte Folded Reload
	buffer_load_dword v79, off, s[20:23], 0 offset:152 ; 4-byte Folded Reload
	buffer_load_dword v80, off, s[20:23], 0 offset:156 ; 4-byte Folded Reload
	s_waitcnt lgkmcnt(0)
	v_mul_f64 v[103:104], v[101:102], v[109:110]
	v_fma_f64 v[103:104], v[99:100], v[97:98], -v[103:104]
	v_mul_f64 v[99:100], v[99:100], v[109:110]
	v_fma_f64 v[99:100], v[101:102], v[97:98], v[99:100]
	s_waitcnt vmcnt(2)
	v_add_f64 v[77:78], v[77:78], -v[103:104]
	s_waitcnt vmcnt(0)
	v_add_f64 v[79:80], v[79:80], -v[99:100]
	buffer_store_dword v77, off, s[20:23], 0 offset:144 ; 4-byte Folded Spill
	s_nop 0
	buffer_store_dword v78, off, s[20:23], 0 offset:148 ; 4-byte Folded Spill
	buffer_store_dword v79, off, s[20:23], 0 offset:152 ; 4-byte Folded Spill
	buffer_store_dword v80, off, s[20:23], 0 offset:156 ; 4-byte Folded Spill
	;; [unrolled: 19-line block ×10, first 2 shown]
	ds_read2_b64 v[99:102], v125 offset0:90 offset1:91
	buffer_load_dword v41, off, s[20:23], 0 ; 4-byte Folded Reload
	buffer_load_dword v42, off, s[20:23], 0 offset:4 ; 4-byte Folded Reload
	buffer_load_dword v43, off, s[20:23], 0 offset:8 ; 4-byte Folded Reload
	;; [unrolled: 1-line block ×3, first 2 shown]
	s_waitcnt lgkmcnt(0)
	v_mul_f64 v[103:104], v[101:102], v[109:110]
	v_fma_f64 v[103:104], v[99:100], v[97:98], -v[103:104]
	v_mul_f64 v[99:100], v[99:100], v[109:110]
	v_fma_f64 v[99:100], v[101:102], v[97:98], v[99:100]
	s_waitcnt vmcnt(2)
	v_add_f64 v[41:42], v[41:42], -v[103:104]
	s_waitcnt vmcnt(0)
	v_add_f64 v[43:44], v[43:44], -v[99:100]
	buffer_store_dword v41, off, s[20:23], 0 ; 4-byte Folded Spill
	s_nop 0
	buffer_store_dword v42, off, s[20:23], 0 offset:4 ; 4-byte Folded Spill
	buffer_store_dword v43, off, s[20:23], 0 offset:8 ; 4-byte Folded Spill
	;; [unrolled: 1-line block ×3, first 2 shown]
	ds_read2_b64 v[99:102], v125 offset0:92 offset1:93
	s_waitcnt lgkmcnt(0)
	v_mul_f64 v[103:104], v[101:102], v[109:110]
	v_fma_f64 v[103:104], v[99:100], v[97:98], -v[103:104]
	v_mul_f64 v[99:100], v[99:100], v[109:110]
	v_add_f64 v[37:38], v[37:38], -v[103:104]
	v_fma_f64 v[99:100], v[101:102], v[97:98], v[99:100]
	v_add_f64 v[39:40], v[39:40], -v[99:100]
	ds_read2_b64 v[99:102], v125 offset0:94 offset1:95
	s_waitcnt lgkmcnt(0)
	v_mul_f64 v[103:104], v[101:102], v[109:110]
	v_fma_f64 v[103:104], v[99:100], v[97:98], -v[103:104]
	v_mul_f64 v[99:100], v[99:100], v[109:110]
	v_add_f64 v[33:34], v[33:34], -v[103:104]
	v_fma_f64 v[99:100], v[101:102], v[97:98], v[99:100]
	v_add_f64 v[35:36], v[35:36], -v[99:100]
	;; [unrolled: 8-line block ×10, first 2 shown]
	ds_read2_b64 v[99:102], v125 offset0:112 offset1:113
	s_waitcnt lgkmcnt(0)
	v_mul_f64 v[103:104], v[101:102], v[109:110]
	v_fma_f64 v[103:104], v[99:100], v[97:98], -v[103:104]
	v_mul_f64 v[99:100], v[99:100], v[109:110]
	buffer_store_dword v107, off, s[20:23], 0 offset:416 ; 4-byte Folded Spill
	s_nop 0
	buffer_store_dword v108, off, s[20:23], 0 offset:420 ; 4-byte Folded Spill
	buffer_store_dword v109, off, s[20:23], 0 offset:424 ; 4-byte Folded Spill
	;; [unrolled: 1-line block ×3, first 2 shown]
	v_add_f64 v[121:122], v[121:122], -v[103:104]
	v_fma_f64 v[99:100], v[101:102], v[97:98], v[99:100]
	v_add_f64 v[123:124], v[123:124], -v[99:100]
.LBB113_172:
	s_or_b64 exec, exec, s[2:3]
	v_cmp_eq_u32_e32 vcc, 19, v0
	s_waitcnt vmcnt(0)
	s_barrier
	s_and_saveexec_b64 s[4:5], vcc
	s_cbranch_execz .LBB113_179
; %bb.173:
	buffer_load_dword v95, off, s[20:23], 0 offset:400 ; 4-byte Folded Reload
	buffer_load_dword v96, off, s[20:23], 0 offset:404 ; 4-byte Folded Reload
	;; [unrolled: 1-line block ×4, first 2 shown]
	s_waitcnt vmcnt(0)
	ds_write2_b64 v127, v[95:96], v[97:98] offset1:1
	buffer_load_dword v95, off, s[20:23], 0 offset:384 ; 4-byte Folded Reload
	buffer_load_dword v96, off, s[20:23], 0 offset:388 ; 4-byte Folded Reload
	buffer_load_dword v97, off, s[20:23], 0 offset:392 ; 4-byte Folded Reload
	buffer_load_dword v98, off, s[20:23], 0 offset:396 ; 4-byte Folded Reload
	s_waitcnt vmcnt(0)
	ds_write2_b64 v125, v[95:96], v[97:98] offset0:40 offset1:41
	buffer_load_dword v95, off, s[20:23], 0 offset:368 ; 4-byte Folded Reload
	buffer_load_dword v96, off, s[20:23], 0 offset:372 ; 4-byte Folded Reload
	buffer_load_dword v97, off, s[20:23], 0 offset:376 ; 4-byte Folded Reload
	buffer_load_dword v98, off, s[20:23], 0 offset:380 ; 4-byte Folded Reload
	s_waitcnt vmcnt(0)
	ds_write2_b64 v125, v[95:96], v[97:98] offset0:42 offset1:43
	buffer_load_dword v95, off, s[20:23], 0 offset:352 ; 4-byte Folded Reload
	buffer_load_dword v96, off, s[20:23], 0 offset:356 ; 4-byte Folded Reload
	buffer_load_dword v97, off, s[20:23], 0 offset:360 ; 4-byte Folded Reload
	buffer_load_dword v98, off, s[20:23], 0 offset:364 ; 4-byte Folded Reload
	s_waitcnt vmcnt(0)
	ds_write2_b64 v125, v[95:96], v[97:98] offset0:44 offset1:45
	buffer_load_dword v95, off, s[20:23], 0 offset:336 ; 4-byte Folded Reload
	buffer_load_dword v96, off, s[20:23], 0 offset:340 ; 4-byte Folded Reload
	buffer_load_dword v97, off, s[20:23], 0 offset:344 ; 4-byte Folded Reload
	buffer_load_dword v98, off, s[20:23], 0 offset:348 ; 4-byte Folded Reload
	s_waitcnt vmcnt(0)
	ds_write2_b64 v125, v[95:96], v[97:98] offset0:46 offset1:47
	buffer_load_dword v95, off, s[20:23], 0 offset:320 ; 4-byte Folded Reload
	buffer_load_dword v96, off, s[20:23], 0 offset:324 ; 4-byte Folded Reload
	buffer_load_dword v97, off, s[20:23], 0 offset:328 ; 4-byte Folded Reload
	buffer_load_dword v98, off, s[20:23], 0 offset:332 ; 4-byte Folded Reload
	s_waitcnt vmcnt(0)
	ds_write2_b64 v125, v[95:96], v[97:98] offset0:48 offset1:49
	buffer_load_dword v95, off, s[20:23], 0 offset:304 ; 4-byte Folded Reload
	buffer_load_dword v96, off, s[20:23], 0 offset:308 ; 4-byte Folded Reload
	buffer_load_dword v97, off, s[20:23], 0 offset:312 ; 4-byte Folded Reload
	buffer_load_dword v98, off, s[20:23], 0 offset:316 ; 4-byte Folded Reload
	s_waitcnt vmcnt(0)
	ds_write2_b64 v125, v[95:96], v[97:98] offset0:50 offset1:51
	buffer_load_dword v95, off, s[20:23], 0 offset:288 ; 4-byte Folded Reload
	buffer_load_dword v96, off, s[20:23], 0 offset:292 ; 4-byte Folded Reload
	buffer_load_dword v97, off, s[20:23], 0 offset:296 ; 4-byte Folded Reload
	buffer_load_dword v98, off, s[20:23], 0 offset:300 ; 4-byte Folded Reload
	s_waitcnt vmcnt(0)
	ds_write2_b64 v125, v[95:96], v[97:98] offset0:52 offset1:53
	buffer_load_dword v95, off, s[20:23], 0 offset:272 ; 4-byte Folded Reload
	buffer_load_dword v96, off, s[20:23], 0 offset:276 ; 4-byte Folded Reload
	buffer_load_dword v97, off, s[20:23], 0 offset:280 ; 4-byte Folded Reload
	buffer_load_dword v98, off, s[20:23], 0 offset:284 ; 4-byte Folded Reload
	s_waitcnt vmcnt(0)
	ds_write2_b64 v125, v[95:96], v[97:98] offset0:54 offset1:55
	buffer_load_dword v95, off, s[20:23], 0 offset:256 ; 4-byte Folded Reload
	buffer_load_dword v96, off, s[20:23], 0 offset:260 ; 4-byte Folded Reload
	buffer_load_dword v97, off, s[20:23], 0 offset:264 ; 4-byte Folded Reload
	buffer_load_dword v98, off, s[20:23], 0 offset:268 ; 4-byte Folded Reload
	s_waitcnt vmcnt(0)
	ds_write2_b64 v125, v[95:96], v[97:98] offset0:56 offset1:57
	buffer_load_dword v95, off, s[20:23], 0 offset:240 ; 4-byte Folded Reload
	buffer_load_dword v96, off, s[20:23], 0 offset:244 ; 4-byte Folded Reload
	buffer_load_dword v97, off, s[20:23], 0 offset:248 ; 4-byte Folded Reload
	buffer_load_dword v98, off, s[20:23], 0 offset:252 ; 4-byte Folded Reload
	s_waitcnt vmcnt(0)
	ds_write2_b64 v125, v[95:96], v[97:98] offset0:58 offset1:59
	buffer_load_dword v95, off, s[20:23], 0 offset:224 ; 4-byte Folded Reload
	buffer_load_dword v96, off, s[20:23], 0 offset:228 ; 4-byte Folded Reload
	buffer_load_dword v97, off, s[20:23], 0 offset:232 ; 4-byte Folded Reload
	buffer_load_dword v98, off, s[20:23], 0 offset:236 ; 4-byte Folded Reload
	s_waitcnt vmcnt(0)
	ds_write2_b64 v125, v[95:96], v[97:98] offset0:60 offset1:61
	buffer_load_dword v95, off, s[20:23], 0 offset:208 ; 4-byte Folded Reload
	buffer_load_dword v96, off, s[20:23], 0 offset:212 ; 4-byte Folded Reload
	buffer_load_dword v97, off, s[20:23], 0 offset:216 ; 4-byte Folded Reload
	buffer_load_dword v98, off, s[20:23], 0 offset:220 ; 4-byte Folded Reload
	s_waitcnt vmcnt(0)
	ds_write2_b64 v125, v[95:96], v[97:98] offset0:62 offset1:63
	buffer_load_dword v95, off, s[20:23], 0 offset:192 ; 4-byte Folded Reload
	buffer_load_dword v96, off, s[20:23], 0 offset:196 ; 4-byte Folded Reload
	buffer_load_dword v97, off, s[20:23], 0 offset:200 ; 4-byte Folded Reload
	buffer_load_dword v98, off, s[20:23], 0 offset:204 ; 4-byte Folded Reload
	s_waitcnt vmcnt(0)
	ds_write2_b64 v125, v[95:96], v[97:98] offset0:64 offset1:65
	buffer_load_dword v95, off, s[20:23], 0 offset:176 ; 4-byte Folded Reload
	buffer_load_dword v96, off, s[20:23], 0 offset:180 ; 4-byte Folded Reload
	buffer_load_dword v97, off, s[20:23], 0 offset:184 ; 4-byte Folded Reload
	buffer_load_dword v98, off, s[20:23], 0 offset:188 ; 4-byte Folded Reload
	s_waitcnt vmcnt(0)
	ds_write2_b64 v125, v[95:96], v[97:98] offset0:66 offset1:67
	ds_write2_b64 v125, v[91:92], v[93:94] offset0:68 offset1:69
	buffer_load_dword v77, off, s[20:23], 0 offset:160 ; 4-byte Folded Reload
	buffer_load_dword v78, off, s[20:23], 0 offset:164 ; 4-byte Folded Reload
	buffer_load_dword v79, off, s[20:23], 0 offset:168 ; 4-byte Folded Reload
	buffer_load_dword v80, off, s[20:23], 0 offset:172 ; 4-byte Folded Reload
	s_waitcnt vmcnt(0)
	ds_write2_b64 v125, v[77:78], v[79:80] offset0:70 offset1:71
	buffer_load_dword v77, off, s[20:23], 0 offset:144 ; 4-byte Folded Reload
	buffer_load_dword v78, off, s[20:23], 0 offset:148 ; 4-byte Folded Reload
	buffer_load_dword v79, off, s[20:23], 0 offset:152 ; 4-byte Folded Reload
	buffer_load_dword v80, off, s[20:23], 0 offset:156 ; 4-byte Folded Reload
	s_waitcnt vmcnt(0)
	;; [unrolled: 6-line block ×10, first 2 shown]
	ds_write2_b64 v125, v[45:46], v[47:48] offset0:88 offset1:89
	buffer_load_dword v41, off, s[20:23], 0 ; 4-byte Folded Reload
	buffer_load_dword v42, off, s[20:23], 0 offset:4 ; 4-byte Folded Reload
	buffer_load_dword v43, off, s[20:23], 0 offset:8 ; 4-byte Folded Reload
	;; [unrolled: 1-line block ×3, first 2 shown]
	s_waitcnt vmcnt(0)
	ds_write2_b64 v125, v[41:42], v[43:44] offset0:90 offset1:91
	ds_write2_b64 v125, v[37:38], v[39:40] offset0:92 offset1:93
	;; [unrolled: 1-line block ×12, first 2 shown]
	ds_read2_b64 v[97:100], v127 offset1:1
	s_waitcnt lgkmcnt(0)
	v_cmp_neq_f64_e32 vcc, 0, v[97:98]
	v_cmp_neq_f64_e64 s[2:3], 0, v[99:100]
	s_or_b64 s[2:3], vcc, s[2:3]
	s_and_b64 exec, exec, s[2:3]
	s_cbranch_execz .LBB113_179
; %bb.174:
	v_cmp_ngt_f64_e64 s[2:3], |v[97:98]|, |v[99:100]|
                                        ; implicit-def: $vgpr101_vgpr102
	s_and_saveexec_b64 s[6:7], s[2:3]
	s_xor_b64 s[2:3], exec, s[6:7]
                                        ; implicit-def: $vgpr103_vgpr104
	s_cbranch_execz .LBB113_176
; %bb.175:
	v_div_scale_f64 v[101:102], s[6:7], v[99:100], v[99:100], v[97:98]
	v_rcp_f64_e32 v[103:104], v[101:102]
	v_fma_f64 v[105:106], -v[101:102], v[103:104], 1.0
	v_fma_f64 v[103:104], v[103:104], v[105:106], v[103:104]
	v_div_scale_f64 v[105:106], vcc, v[97:98], v[99:100], v[97:98]
	v_fma_f64 v[107:108], -v[101:102], v[103:104], 1.0
	v_fma_f64 v[103:104], v[103:104], v[107:108], v[103:104]
	v_mul_f64 v[107:108], v[105:106], v[103:104]
	v_fma_f64 v[101:102], -v[101:102], v[107:108], v[105:106]
	v_div_fmas_f64 v[101:102], v[101:102], v[103:104], v[107:108]
	v_div_fixup_f64 v[101:102], v[101:102], v[99:100], v[97:98]
	v_fma_f64 v[97:98], v[97:98], v[101:102], v[99:100]
	v_div_scale_f64 v[99:100], s[6:7], v[97:98], v[97:98], 1.0
	v_div_scale_f64 v[107:108], vcc, 1.0, v[97:98], 1.0
	v_rcp_f64_e32 v[103:104], v[99:100]
	v_fma_f64 v[105:106], -v[99:100], v[103:104], 1.0
	v_fma_f64 v[103:104], v[103:104], v[105:106], v[103:104]
	v_fma_f64 v[105:106], -v[99:100], v[103:104], 1.0
	v_fma_f64 v[103:104], v[103:104], v[105:106], v[103:104]
	v_mul_f64 v[105:106], v[107:108], v[103:104]
	v_fma_f64 v[99:100], -v[99:100], v[105:106], v[107:108]
	v_div_fmas_f64 v[99:100], v[99:100], v[103:104], v[105:106]
	v_div_fixup_f64 v[103:104], v[99:100], v[97:98], 1.0
                                        ; implicit-def: $vgpr97_vgpr98
	v_mul_f64 v[101:102], v[101:102], v[103:104]
	v_xor_b32_e32 v104, 0x80000000, v104
.LBB113_176:
	s_andn2_saveexec_b64 s[2:3], s[2:3]
	s_cbranch_execz .LBB113_178
; %bb.177:
	v_div_scale_f64 v[101:102], s[6:7], v[97:98], v[97:98], v[99:100]
	v_rcp_f64_e32 v[103:104], v[101:102]
	v_fma_f64 v[105:106], -v[101:102], v[103:104], 1.0
	v_fma_f64 v[103:104], v[103:104], v[105:106], v[103:104]
	v_div_scale_f64 v[105:106], vcc, v[99:100], v[97:98], v[99:100]
	v_fma_f64 v[107:108], -v[101:102], v[103:104], 1.0
	v_fma_f64 v[103:104], v[103:104], v[107:108], v[103:104]
	v_mul_f64 v[107:108], v[105:106], v[103:104]
	v_fma_f64 v[101:102], -v[101:102], v[107:108], v[105:106]
	v_div_fmas_f64 v[101:102], v[101:102], v[103:104], v[107:108]
	v_div_fixup_f64 v[103:104], v[101:102], v[97:98], v[99:100]
	v_fma_f64 v[97:98], v[99:100], v[103:104], v[97:98]
	v_div_scale_f64 v[99:100], s[6:7], v[97:98], v[97:98], 1.0
	v_div_scale_f64 v[107:108], vcc, 1.0, v[97:98], 1.0
	v_rcp_f64_e32 v[101:102], v[99:100]
	v_fma_f64 v[105:106], -v[99:100], v[101:102], 1.0
	v_fma_f64 v[101:102], v[101:102], v[105:106], v[101:102]
	v_fma_f64 v[105:106], -v[99:100], v[101:102], 1.0
	v_fma_f64 v[101:102], v[101:102], v[105:106], v[101:102]
	v_mul_f64 v[105:106], v[107:108], v[101:102]
	v_fma_f64 v[99:100], -v[99:100], v[105:106], v[107:108]
	v_div_fmas_f64 v[99:100], v[99:100], v[101:102], v[105:106]
	v_div_fixup_f64 v[101:102], v[99:100], v[97:98], 1.0
	v_mul_f64 v[103:104], v[103:104], -v[101:102]
.LBB113_178:
	s_or_b64 exec, exec, s[2:3]
	ds_write2_b64 v127, v[101:102], v[103:104] offset1:1
.LBB113_179:
	s_or_b64 exec, exec, s[4:5]
	s_waitcnt lgkmcnt(0)
	s_barrier
	ds_read2_b64 v[87:90], v127 offset1:1
	v_cmp_lt_u32_e32 vcc, 19, v0
	s_waitcnt lgkmcnt(0)
	buffer_store_dword v87, off, s[20:23], 0 offset:1472 ; 4-byte Folded Spill
	s_nop 0
	buffer_store_dword v88, off, s[20:23], 0 offset:1476 ; 4-byte Folded Spill
	buffer_store_dword v89, off, s[20:23], 0 offset:1480 ; 4-byte Folded Spill
	;; [unrolled: 1-line block ×3, first 2 shown]
	s_and_saveexec_b64 s[2:3], vcc
	s_cbranch_execz .LBB113_181
; %bb.180:
	buffer_load_dword v107, off, s[20:23], 0 offset:400 ; 4-byte Folded Reload
	buffer_load_dword v108, off, s[20:23], 0 offset:404 ; 4-byte Folded Reload
	;; [unrolled: 1-line block ×8, first 2 shown]
	s_waitcnt vmcnt(2)
	v_mul_f64 v[99:100], v[87:88], v[109:110]
	s_waitcnt vmcnt(0)
	v_mul_f64 v[97:98], v[89:90], v[109:110]
	v_fma_f64 v[109:110], v[89:90], v[107:108], v[99:100]
	ds_read2_b64 v[99:102], v125 offset0:40 offset1:41
	v_fma_f64 v[97:98], v[87:88], v[107:108], -v[97:98]
	buffer_load_dword v105, off, s[20:23], 0 offset:384 ; 4-byte Folded Reload
	buffer_load_dword v106, off, s[20:23], 0 offset:388 ; 4-byte Folded Reload
	buffer_load_dword v107, off, s[20:23], 0 offset:392 ; 4-byte Folded Reload
	buffer_load_dword v108, off, s[20:23], 0 offset:396 ; 4-byte Folded Reload
	s_waitcnt lgkmcnt(0)
	v_mul_f64 v[103:104], v[101:102], v[109:110]
	v_fma_f64 v[103:104], v[99:100], v[97:98], -v[103:104]
	v_mul_f64 v[99:100], v[99:100], v[109:110]
	v_fma_f64 v[99:100], v[101:102], v[97:98], v[99:100]
	s_waitcnt vmcnt(2)
	v_add_f64 v[105:106], v[105:106], -v[103:104]
	s_waitcnt vmcnt(0)
	v_add_f64 v[107:108], v[107:108], -v[99:100]
	buffer_store_dword v105, off, s[20:23], 0 offset:384 ; 4-byte Folded Spill
	s_nop 0
	buffer_store_dword v106, off, s[20:23], 0 offset:388 ; 4-byte Folded Spill
	buffer_store_dword v107, off, s[20:23], 0 offset:392 ; 4-byte Folded Spill
	buffer_store_dword v108, off, s[20:23], 0 offset:396 ; 4-byte Folded Spill
	ds_read2_b64 v[99:102], v125 offset0:42 offset1:43
	buffer_load_dword v105, off, s[20:23], 0 offset:368 ; 4-byte Folded Reload
	buffer_load_dword v106, off, s[20:23], 0 offset:372 ; 4-byte Folded Reload
	buffer_load_dword v107, off, s[20:23], 0 offset:376 ; 4-byte Folded Reload
	buffer_load_dword v108, off, s[20:23], 0 offset:380 ; 4-byte Folded Reload
	s_waitcnt lgkmcnt(0)
	v_mul_f64 v[103:104], v[101:102], v[109:110]
	v_fma_f64 v[103:104], v[99:100], v[97:98], -v[103:104]
	v_mul_f64 v[99:100], v[99:100], v[109:110]
	v_fma_f64 v[99:100], v[101:102], v[97:98], v[99:100]
	s_waitcnt vmcnt(2)
	v_add_f64 v[105:106], v[105:106], -v[103:104]
	s_waitcnt vmcnt(0)
	v_add_f64 v[107:108], v[107:108], -v[99:100]
	buffer_store_dword v105, off, s[20:23], 0 offset:368 ; 4-byte Folded Spill
	s_nop 0
	buffer_store_dword v106, off, s[20:23], 0 offset:372 ; 4-byte Folded Spill
	buffer_store_dword v107, off, s[20:23], 0 offset:376 ; 4-byte Folded Spill
	buffer_store_dword v108, off, s[20:23], 0 offset:380 ; 4-byte Folded Spill
	ds_read2_b64 v[99:102], v125 offset0:44 offset1:45
	buffer_load_dword v105, off, s[20:23], 0 offset:352 ; 4-byte Folded Reload
	buffer_load_dword v106, off, s[20:23], 0 offset:356 ; 4-byte Folded Reload
	buffer_load_dword v107, off, s[20:23], 0 offset:360 ; 4-byte Folded Reload
	buffer_load_dword v108, off, s[20:23], 0 offset:364 ; 4-byte Folded Reload
	s_waitcnt lgkmcnt(0)
	v_mul_f64 v[103:104], v[101:102], v[109:110]
	v_fma_f64 v[103:104], v[99:100], v[97:98], -v[103:104]
	v_mul_f64 v[99:100], v[99:100], v[109:110]
	v_fma_f64 v[99:100], v[101:102], v[97:98], v[99:100]
	s_waitcnt vmcnt(2)
	v_add_f64 v[105:106], v[105:106], -v[103:104]
	s_waitcnt vmcnt(0)
	v_add_f64 v[107:108], v[107:108], -v[99:100]
	buffer_store_dword v105, off, s[20:23], 0 offset:352 ; 4-byte Folded Spill
	s_nop 0
	buffer_store_dword v106, off, s[20:23], 0 offset:356 ; 4-byte Folded Spill
	buffer_store_dword v107, off, s[20:23], 0 offset:360 ; 4-byte Folded Spill
	buffer_store_dword v108, off, s[20:23], 0 offset:364 ; 4-byte Folded Spill
	ds_read2_b64 v[99:102], v125 offset0:46 offset1:47
	buffer_load_dword v105, off, s[20:23], 0 offset:336 ; 4-byte Folded Reload
	buffer_load_dword v106, off, s[20:23], 0 offset:340 ; 4-byte Folded Reload
	buffer_load_dword v107, off, s[20:23], 0 offset:344 ; 4-byte Folded Reload
	buffer_load_dword v108, off, s[20:23], 0 offset:348 ; 4-byte Folded Reload
	s_waitcnt lgkmcnt(0)
	v_mul_f64 v[103:104], v[101:102], v[109:110]
	v_fma_f64 v[103:104], v[99:100], v[97:98], -v[103:104]
	v_mul_f64 v[99:100], v[99:100], v[109:110]
	v_fma_f64 v[99:100], v[101:102], v[97:98], v[99:100]
	s_waitcnt vmcnt(2)
	v_add_f64 v[105:106], v[105:106], -v[103:104]
	s_waitcnt vmcnt(0)
	v_add_f64 v[107:108], v[107:108], -v[99:100]
	buffer_store_dword v105, off, s[20:23], 0 offset:336 ; 4-byte Folded Spill
	s_nop 0
	buffer_store_dword v106, off, s[20:23], 0 offset:340 ; 4-byte Folded Spill
	buffer_store_dword v107, off, s[20:23], 0 offset:344 ; 4-byte Folded Spill
	buffer_store_dword v108, off, s[20:23], 0 offset:348 ; 4-byte Folded Spill
	ds_read2_b64 v[99:102], v125 offset0:48 offset1:49
	buffer_load_dword v105, off, s[20:23], 0 offset:320 ; 4-byte Folded Reload
	buffer_load_dword v106, off, s[20:23], 0 offset:324 ; 4-byte Folded Reload
	buffer_load_dword v107, off, s[20:23], 0 offset:328 ; 4-byte Folded Reload
	buffer_load_dword v108, off, s[20:23], 0 offset:332 ; 4-byte Folded Reload
	s_waitcnt lgkmcnt(0)
	v_mul_f64 v[103:104], v[101:102], v[109:110]
	v_fma_f64 v[103:104], v[99:100], v[97:98], -v[103:104]
	v_mul_f64 v[99:100], v[99:100], v[109:110]
	v_fma_f64 v[99:100], v[101:102], v[97:98], v[99:100]
	s_waitcnt vmcnt(2)
	v_add_f64 v[105:106], v[105:106], -v[103:104]
	s_waitcnt vmcnt(0)
	v_add_f64 v[107:108], v[107:108], -v[99:100]
	buffer_store_dword v105, off, s[20:23], 0 offset:320 ; 4-byte Folded Spill
	s_nop 0
	buffer_store_dword v106, off, s[20:23], 0 offset:324 ; 4-byte Folded Spill
	buffer_store_dword v107, off, s[20:23], 0 offset:328 ; 4-byte Folded Spill
	buffer_store_dword v108, off, s[20:23], 0 offset:332 ; 4-byte Folded Spill
	ds_read2_b64 v[99:102], v125 offset0:50 offset1:51
	buffer_load_dword v105, off, s[20:23], 0 offset:304 ; 4-byte Folded Reload
	buffer_load_dword v106, off, s[20:23], 0 offset:308 ; 4-byte Folded Reload
	buffer_load_dword v107, off, s[20:23], 0 offset:312 ; 4-byte Folded Reload
	buffer_load_dword v108, off, s[20:23], 0 offset:316 ; 4-byte Folded Reload
	s_waitcnt lgkmcnt(0)
	v_mul_f64 v[103:104], v[101:102], v[109:110]
	v_fma_f64 v[103:104], v[99:100], v[97:98], -v[103:104]
	v_mul_f64 v[99:100], v[99:100], v[109:110]
	v_fma_f64 v[99:100], v[101:102], v[97:98], v[99:100]
	s_waitcnt vmcnt(2)
	v_add_f64 v[105:106], v[105:106], -v[103:104]
	s_waitcnt vmcnt(0)
	v_add_f64 v[107:108], v[107:108], -v[99:100]
	buffer_store_dword v105, off, s[20:23], 0 offset:304 ; 4-byte Folded Spill
	s_nop 0
	buffer_store_dword v106, off, s[20:23], 0 offset:308 ; 4-byte Folded Spill
	buffer_store_dword v107, off, s[20:23], 0 offset:312 ; 4-byte Folded Spill
	buffer_store_dword v108, off, s[20:23], 0 offset:316 ; 4-byte Folded Spill
	ds_read2_b64 v[99:102], v125 offset0:52 offset1:53
	buffer_load_dword v105, off, s[20:23], 0 offset:288 ; 4-byte Folded Reload
	buffer_load_dword v106, off, s[20:23], 0 offset:292 ; 4-byte Folded Reload
	buffer_load_dword v107, off, s[20:23], 0 offset:296 ; 4-byte Folded Reload
	buffer_load_dword v108, off, s[20:23], 0 offset:300 ; 4-byte Folded Reload
	s_waitcnt lgkmcnt(0)
	v_mul_f64 v[103:104], v[101:102], v[109:110]
	v_fma_f64 v[103:104], v[99:100], v[97:98], -v[103:104]
	v_mul_f64 v[99:100], v[99:100], v[109:110]
	v_fma_f64 v[99:100], v[101:102], v[97:98], v[99:100]
	s_waitcnt vmcnt(2)
	v_add_f64 v[105:106], v[105:106], -v[103:104]
	s_waitcnt vmcnt(0)
	v_add_f64 v[107:108], v[107:108], -v[99:100]
	buffer_store_dword v105, off, s[20:23], 0 offset:288 ; 4-byte Folded Spill
	s_nop 0
	buffer_store_dword v106, off, s[20:23], 0 offset:292 ; 4-byte Folded Spill
	buffer_store_dword v107, off, s[20:23], 0 offset:296 ; 4-byte Folded Spill
	buffer_store_dword v108, off, s[20:23], 0 offset:300 ; 4-byte Folded Spill
	ds_read2_b64 v[99:102], v125 offset0:54 offset1:55
	buffer_load_dword v105, off, s[20:23], 0 offset:272 ; 4-byte Folded Reload
	buffer_load_dword v106, off, s[20:23], 0 offset:276 ; 4-byte Folded Reload
	buffer_load_dword v107, off, s[20:23], 0 offset:280 ; 4-byte Folded Reload
	buffer_load_dword v108, off, s[20:23], 0 offset:284 ; 4-byte Folded Reload
	s_waitcnt lgkmcnt(0)
	v_mul_f64 v[103:104], v[101:102], v[109:110]
	v_fma_f64 v[103:104], v[99:100], v[97:98], -v[103:104]
	v_mul_f64 v[99:100], v[99:100], v[109:110]
	v_fma_f64 v[99:100], v[101:102], v[97:98], v[99:100]
	s_waitcnt vmcnt(2)
	v_add_f64 v[105:106], v[105:106], -v[103:104]
	s_waitcnt vmcnt(0)
	v_add_f64 v[107:108], v[107:108], -v[99:100]
	buffer_store_dword v105, off, s[20:23], 0 offset:272 ; 4-byte Folded Spill
	s_nop 0
	buffer_store_dword v106, off, s[20:23], 0 offset:276 ; 4-byte Folded Spill
	buffer_store_dword v107, off, s[20:23], 0 offset:280 ; 4-byte Folded Spill
	buffer_store_dword v108, off, s[20:23], 0 offset:284 ; 4-byte Folded Spill
	ds_read2_b64 v[99:102], v125 offset0:56 offset1:57
	buffer_load_dword v105, off, s[20:23], 0 offset:256 ; 4-byte Folded Reload
	buffer_load_dword v106, off, s[20:23], 0 offset:260 ; 4-byte Folded Reload
	buffer_load_dword v107, off, s[20:23], 0 offset:264 ; 4-byte Folded Reload
	buffer_load_dword v108, off, s[20:23], 0 offset:268 ; 4-byte Folded Reload
	s_waitcnt lgkmcnt(0)
	v_mul_f64 v[103:104], v[101:102], v[109:110]
	v_fma_f64 v[103:104], v[99:100], v[97:98], -v[103:104]
	v_mul_f64 v[99:100], v[99:100], v[109:110]
	v_fma_f64 v[99:100], v[101:102], v[97:98], v[99:100]
	s_waitcnt vmcnt(2)
	v_add_f64 v[105:106], v[105:106], -v[103:104]
	s_waitcnt vmcnt(0)
	v_add_f64 v[107:108], v[107:108], -v[99:100]
	buffer_store_dword v105, off, s[20:23], 0 offset:256 ; 4-byte Folded Spill
	s_nop 0
	buffer_store_dword v106, off, s[20:23], 0 offset:260 ; 4-byte Folded Spill
	buffer_store_dword v107, off, s[20:23], 0 offset:264 ; 4-byte Folded Spill
	buffer_store_dword v108, off, s[20:23], 0 offset:268 ; 4-byte Folded Spill
	ds_read2_b64 v[99:102], v125 offset0:58 offset1:59
	buffer_load_dword v105, off, s[20:23], 0 offset:240 ; 4-byte Folded Reload
	buffer_load_dword v106, off, s[20:23], 0 offset:244 ; 4-byte Folded Reload
	buffer_load_dword v107, off, s[20:23], 0 offset:248 ; 4-byte Folded Reload
	buffer_load_dword v108, off, s[20:23], 0 offset:252 ; 4-byte Folded Reload
	s_waitcnt lgkmcnt(0)
	v_mul_f64 v[103:104], v[101:102], v[109:110]
	v_fma_f64 v[103:104], v[99:100], v[97:98], -v[103:104]
	v_mul_f64 v[99:100], v[99:100], v[109:110]
	v_fma_f64 v[99:100], v[101:102], v[97:98], v[99:100]
	s_waitcnt vmcnt(2)
	v_add_f64 v[105:106], v[105:106], -v[103:104]
	s_waitcnt vmcnt(0)
	v_add_f64 v[107:108], v[107:108], -v[99:100]
	buffer_store_dword v105, off, s[20:23], 0 offset:240 ; 4-byte Folded Spill
	s_nop 0
	buffer_store_dword v106, off, s[20:23], 0 offset:244 ; 4-byte Folded Spill
	buffer_store_dword v107, off, s[20:23], 0 offset:248 ; 4-byte Folded Spill
	buffer_store_dword v108, off, s[20:23], 0 offset:252 ; 4-byte Folded Spill
	ds_read2_b64 v[99:102], v125 offset0:60 offset1:61
	buffer_load_dword v105, off, s[20:23], 0 offset:224 ; 4-byte Folded Reload
	buffer_load_dword v106, off, s[20:23], 0 offset:228 ; 4-byte Folded Reload
	buffer_load_dword v107, off, s[20:23], 0 offset:232 ; 4-byte Folded Reload
	buffer_load_dword v108, off, s[20:23], 0 offset:236 ; 4-byte Folded Reload
	s_waitcnt lgkmcnt(0)
	v_mul_f64 v[103:104], v[101:102], v[109:110]
	v_fma_f64 v[103:104], v[99:100], v[97:98], -v[103:104]
	v_mul_f64 v[99:100], v[99:100], v[109:110]
	v_fma_f64 v[99:100], v[101:102], v[97:98], v[99:100]
	s_waitcnt vmcnt(2)
	v_add_f64 v[105:106], v[105:106], -v[103:104]
	s_waitcnt vmcnt(0)
	v_add_f64 v[107:108], v[107:108], -v[99:100]
	buffer_store_dword v105, off, s[20:23], 0 offset:224 ; 4-byte Folded Spill
	s_nop 0
	buffer_store_dword v106, off, s[20:23], 0 offset:228 ; 4-byte Folded Spill
	buffer_store_dword v107, off, s[20:23], 0 offset:232 ; 4-byte Folded Spill
	buffer_store_dword v108, off, s[20:23], 0 offset:236 ; 4-byte Folded Spill
	ds_read2_b64 v[99:102], v125 offset0:62 offset1:63
	buffer_load_dword v105, off, s[20:23], 0 offset:208 ; 4-byte Folded Reload
	buffer_load_dword v106, off, s[20:23], 0 offset:212 ; 4-byte Folded Reload
	buffer_load_dword v107, off, s[20:23], 0 offset:216 ; 4-byte Folded Reload
	buffer_load_dword v108, off, s[20:23], 0 offset:220 ; 4-byte Folded Reload
	s_waitcnt lgkmcnt(0)
	v_mul_f64 v[103:104], v[101:102], v[109:110]
	v_fma_f64 v[103:104], v[99:100], v[97:98], -v[103:104]
	v_mul_f64 v[99:100], v[99:100], v[109:110]
	v_fma_f64 v[99:100], v[101:102], v[97:98], v[99:100]
	s_waitcnt vmcnt(2)
	v_add_f64 v[105:106], v[105:106], -v[103:104]
	s_waitcnt vmcnt(0)
	v_add_f64 v[107:108], v[107:108], -v[99:100]
	buffer_store_dword v105, off, s[20:23], 0 offset:208 ; 4-byte Folded Spill
	s_nop 0
	buffer_store_dword v106, off, s[20:23], 0 offset:212 ; 4-byte Folded Spill
	buffer_store_dword v107, off, s[20:23], 0 offset:216 ; 4-byte Folded Spill
	buffer_store_dword v108, off, s[20:23], 0 offset:220 ; 4-byte Folded Spill
	ds_read2_b64 v[99:102], v125 offset0:64 offset1:65
	buffer_load_dword v105, off, s[20:23], 0 offset:192 ; 4-byte Folded Reload
	buffer_load_dword v106, off, s[20:23], 0 offset:196 ; 4-byte Folded Reload
	buffer_load_dword v107, off, s[20:23], 0 offset:200 ; 4-byte Folded Reload
	buffer_load_dword v108, off, s[20:23], 0 offset:204 ; 4-byte Folded Reload
	s_waitcnt lgkmcnt(0)
	v_mul_f64 v[103:104], v[101:102], v[109:110]
	v_fma_f64 v[103:104], v[99:100], v[97:98], -v[103:104]
	v_mul_f64 v[99:100], v[99:100], v[109:110]
	v_fma_f64 v[99:100], v[101:102], v[97:98], v[99:100]
	s_waitcnt vmcnt(2)
	v_add_f64 v[105:106], v[105:106], -v[103:104]
	s_waitcnt vmcnt(0)
	v_add_f64 v[107:108], v[107:108], -v[99:100]
	buffer_store_dword v105, off, s[20:23], 0 offset:192 ; 4-byte Folded Spill
	s_nop 0
	buffer_store_dword v106, off, s[20:23], 0 offset:196 ; 4-byte Folded Spill
	buffer_store_dword v107, off, s[20:23], 0 offset:200 ; 4-byte Folded Spill
	buffer_store_dword v108, off, s[20:23], 0 offset:204 ; 4-byte Folded Spill
	ds_read2_b64 v[99:102], v125 offset0:66 offset1:67
	buffer_load_dword v105, off, s[20:23], 0 offset:176 ; 4-byte Folded Reload
	buffer_load_dword v106, off, s[20:23], 0 offset:180 ; 4-byte Folded Reload
	buffer_load_dword v107, off, s[20:23], 0 offset:184 ; 4-byte Folded Reload
	buffer_load_dword v108, off, s[20:23], 0 offset:188 ; 4-byte Folded Reload
	s_waitcnt lgkmcnt(0)
	v_mul_f64 v[103:104], v[101:102], v[109:110]
	v_fma_f64 v[103:104], v[99:100], v[97:98], -v[103:104]
	v_mul_f64 v[99:100], v[99:100], v[109:110]
	v_fma_f64 v[99:100], v[101:102], v[97:98], v[99:100]
	s_waitcnt vmcnt(2)
	v_add_f64 v[105:106], v[105:106], -v[103:104]
	s_waitcnt vmcnt(0)
	v_add_f64 v[107:108], v[107:108], -v[99:100]
	buffer_store_dword v105, off, s[20:23], 0 offset:176 ; 4-byte Folded Spill
	s_nop 0
	buffer_store_dword v106, off, s[20:23], 0 offset:180 ; 4-byte Folded Spill
	buffer_store_dword v107, off, s[20:23], 0 offset:184 ; 4-byte Folded Spill
	buffer_store_dword v108, off, s[20:23], 0 offset:188 ; 4-byte Folded Spill
	ds_read2_b64 v[99:102], v125 offset0:68 offset1:69
	v_mov_b32_e32 v108, v98
	v_mov_b32_e32 v107, v97
	s_waitcnt lgkmcnt(0)
	v_mul_f64 v[103:104], v[101:102], v[109:110]
	v_fma_f64 v[103:104], v[99:100], v[97:98], -v[103:104]
	v_mul_f64 v[99:100], v[99:100], v[109:110]
	v_add_f64 v[91:92], v[91:92], -v[103:104]
	v_fma_f64 v[99:100], v[101:102], v[97:98], v[99:100]
	v_add_f64 v[93:94], v[93:94], -v[99:100]
	ds_read2_b64 v[99:102], v125 offset0:70 offset1:71
	buffer_load_dword v77, off, s[20:23], 0 offset:160 ; 4-byte Folded Reload
	buffer_load_dword v78, off, s[20:23], 0 offset:164 ; 4-byte Folded Reload
	buffer_load_dword v79, off, s[20:23], 0 offset:168 ; 4-byte Folded Reload
	buffer_load_dword v80, off, s[20:23], 0 offset:172 ; 4-byte Folded Reload
	s_waitcnt lgkmcnt(0)
	v_mul_f64 v[103:104], v[101:102], v[109:110]
	v_fma_f64 v[103:104], v[99:100], v[97:98], -v[103:104]
	v_mul_f64 v[99:100], v[99:100], v[109:110]
	v_fma_f64 v[99:100], v[101:102], v[97:98], v[99:100]
	s_waitcnt vmcnt(2)
	v_add_f64 v[77:78], v[77:78], -v[103:104]
	s_waitcnt vmcnt(0)
	v_add_f64 v[79:80], v[79:80], -v[99:100]
	buffer_store_dword v77, off, s[20:23], 0 offset:160 ; 4-byte Folded Spill
	s_nop 0
	buffer_store_dword v78, off, s[20:23], 0 offset:164 ; 4-byte Folded Spill
	buffer_store_dword v79, off, s[20:23], 0 offset:168 ; 4-byte Folded Spill
	buffer_store_dword v80, off, s[20:23], 0 offset:172 ; 4-byte Folded Spill
	ds_read2_b64 v[99:102], v125 offset0:72 offset1:73
	buffer_load_dword v77, off, s[20:23], 0 offset:144 ; 4-byte Folded Reload
	buffer_load_dword v78, off, s[20:23], 0 offset:148 ; 4-byte Folded Reload
	buffer_load_dword v79, off, s[20:23], 0 offset:152 ; 4-byte Folded Reload
	buffer_load_dword v80, off, s[20:23], 0 offset:156 ; 4-byte Folded Reload
	s_waitcnt lgkmcnt(0)
	v_mul_f64 v[103:104], v[101:102], v[109:110]
	v_fma_f64 v[103:104], v[99:100], v[97:98], -v[103:104]
	v_mul_f64 v[99:100], v[99:100], v[109:110]
	v_fma_f64 v[99:100], v[101:102], v[97:98], v[99:100]
	s_waitcnt vmcnt(2)
	v_add_f64 v[77:78], v[77:78], -v[103:104]
	s_waitcnt vmcnt(0)
	v_add_f64 v[79:80], v[79:80], -v[99:100]
	buffer_store_dword v77, off, s[20:23], 0 offset:144 ; 4-byte Folded Spill
	s_nop 0
	buffer_store_dword v78, off, s[20:23], 0 offset:148 ; 4-byte Folded Spill
	buffer_store_dword v79, off, s[20:23], 0 offset:152 ; 4-byte Folded Spill
	buffer_store_dword v80, off, s[20:23], 0 offset:156 ; 4-byte Folded Spill
	;; [unrolled: 19-line block ×10, first 2 shown]
	ds_read2_b64 v[99:102], v125 offset0:90 offset1:91
	buffer_load_dword v41, off, s[20:23], 0 ; 4-byte Folded Reload
	buffer_load_dword v42, off, s[20:23], 0 offset:4 ; 4-byte Folded Reload
	buffer_load_dword v43, off, s[20:23], 0 offset:8 ; 4-byte Folded Reload
	buffer_load_dword v44, off, s[20:23], 0 offset:12 ; 4-byte Folded Reload
	s_waitcnt lgkmcnt(0)
	v_mul_f64 v[103:104], v[101:102], v[109:110]
	v_fma_f64 v[103:104], v[99:100], v[97:98], -v[103:104]
	v_mul_f64 v[99:100], v[99:100], v[109:110]
	v_fma_f64 v[99:100], v[101:102], v[97:98], v[99:100]
	s_waitcnt vmcnt(2)
	v_add_f64 v[41:42], v[41:42], -v[103:104]
	s_waitcnt vmcnt(0)
	v_add_f64 v[43:44], v[43:44], -v[99:100]
	buffer_store_dword v41, off, s[20:23], 0 ; 4-byte Folded Spill
	s_nop 0
	buffer_store_dword v42, off, s[20:23], 0 offset:4 ; 4-byte Folded Spill
	buffer_store_dword v43, off, s[20:23], 0 offset:8 ; 4-byte Folded Spill
	;; [unrolled: 1-line block ×3, first 2 shown]
	ds_read2_b64 v[99:102], v125 offset0:92 offset1:93
	s_waitcnt lgkmcnt(0)
	v_mul_f64 v[103:104], v[101:102], v[109:110]
	v_fma_f64 v[103:104], v[99:100], v[97:98], -v[103:104]
	v_mul_f64 v[99:100], v[99:100], v[109:110]
	v_add_f64 v[37:38], v[37:38], -v[103:104]
	v_fma_f64 v[99:100], v[101:102], v[97:98], v[99:100]
	v_add_f64 v[39:40], v[39:40], -v[99:100]
	ds_read2_b64 v[99:102], v125 offset0:94 offset1:95
	s_waitcnt lgkmcnt(0)
	v_mul_f64 v[103:104], v[101:102], v[109:110]
	v_fma_f64 v[103:104], v[99:100], v[97:98], -v[103:104]
	v_mul_f64 v[99:100], v[99:100], v[109:110]
	v_add_f64 v[33:34], v[33:34], -v[103:104]
	v_fma_f64 v[99:100], v[101:102], v[97:98], v[99:100]
	v_add_f64 v[35:36], v[35:36], -v[99:100]
	;; [unrolled: 8-line block ×10, first 2 shown]
	ds_read2_b64 v[99:102], v125 offset0:112 offset1:113
	s_waitcnt lgkmcnt(0)
	v_mul_f64 v[103:104], v[101:102], v[109:110]
	v_fma_f64 v[103:104], v[99:100], v[97:98], -v[103:104]
	v_mul_f64 v[99:100], v[99:100], v[109:110]
	buffer_store_dword v107, off, s[20:23], 0 offset:400 ; 4-byte Folded Spill
	s_nop 0
	buffer_store_dword v108, off, s[20:23], 0 offset:404 ; 4-byte Folded Spill
	buffer_store_dword v109, off, s[20:23], 0 offset:408 ; 4-byte Folded Spill
	;; [unrolled: 1-line block ×3, first 2 shown]
	v_add_f64 v[121:122], v[121:122], -v[103:104]
	v_fma_f64 v[99:100], v[101:102], v[97:98], v[99:100]
	v_add_f64 v[123:124], v[123:124], -v[99:100]
.LBB113_181:
	s_or_b64 exec, exec, s[2:3]
	v_cmp_eq_u32_e32 vcc, 20, v0
	s_waitcnt vmcnt(0)
	s_barrier
	s_and_saveexec_b64 s[4:5], vcc
	s_cbranch_execz .LBB113_188
; %bb.182:
	buffer_load_dword v95, off, s[20:23], 0 offset:384 ; 4-byte Folded Reload
	buffer_load_dword v96, off, s[20:23], 0 offset:388 ; 4-byte Folded Reload
	;; [unrolled: 1-line block ×4, first 2 shown]
	s_waitcnt vmcnt(0)
	ds_write2_b64 v127, v[95:96], v[97:98] offset1:1
	buffer_load_dword v95, off, s[20:23], 0 offset:368 ; 4-byte Folded Reload
	buffer_load_dword v96, off, s[20:23], 0 offset:372 ; 4-byte Folded Reload
	buffer_load_dword v97, off, s[20:23], 0 offset:376 ; 4-byte Folded Reload
	buffer_load_dword v98, off, s[20:23], 0 offset:380 ; 4-byte Folded Reload
	s_waitcnt vmcnt(0)
	ds_write2_b64 v125, v[95:96], v[97:98] offset0:42 offset1:43
	buffer_load_dword v95, off, s[20:23], 0 offset:352 ; 4-byte Folded Reload
	buffer_load_dword v96, off, s[20:23], 0 offset:356 ; 4-byte Folded Reload
	buffer_load_dword v97, off, s[20:23], 0 offset:360 ; 4-byte Folded Reload
	buffer_load_dword v98, off, s[20:23], 0 offset:364 ; 4-byte Folded Reload
	s_waitcnt vmcnt(0)
	ds_write2_b64 v125, v[95:96], v[97:98] offset0:44 offset1:45
	;; [unrolled: 6-line block ×13, first 2 shown]
	ds_write2_b64 v125, v[91:92], v[93:94] offset0:68 offset1:69
	buffer_load_dword v77, off, s[20:23], 0 offset:160 ; 4-byte Folded Reload
	buffer_load_dword v78, off, s[20:23], 0 offset:164 ; 4-byte Folded Reload
	buffer_load_dword v79, off, s[20:23], 0 offset:168 ; 4-byte Folded Reload
	buffer_load_dword v80, off, s[20:23], 0 offset:172 ; 4-byte Folded Reload
	s_waitcnt vmcnt(0)
	ds_write2_b64 v125, v[77:78], v[79:80] offset0:70 offset1:71
	buffer_load_dword v77, off, s[20:23], 0 offset:144 ; 4-byte Folded Reload
	buffer_load_dword v78, off, s[20:23], 0 offset:148 ; 4-byte Folded Reload
	buffer_load_dword v79, off, s[20:23], 0 offset:152 ; 4-byte Folded Reload
	buffer_load_dword v80, off, s[20:23], 0 offset:156 ; 4-byte Folded Reload
	s_waitcnt vmcnt(0)
	;; [unrolled: 6-line block ×10, first 2 shown]
	ds_write2_b64 v125, v[45:46], v[47:48] offset0:88 offset1:89
	buffer_load_dword v41, off, s[20:23], 0 ; 4-byte Folded Reload
	buffer_load_dword v42, off, s[20:23], 0 offset:4 ; 4-byte Folded Reload
	buffer_load_dword v43, off, s[20:23], 0 offset:8 ; 4-byte Folded Reload
	;; [unrolled: 1-line block ×3, first 2 shown]
	s_waitcnt vmcnt(0)
	ds_write2_b64 v125, v[41:42], v[43:44] offset0:90 offset1:91
	ds_write2_b64 v125, v[37:38], v[39:40] offset0:92 offset1:93
	;; [unrolled: 1-line block ×12, first 2 shown]
	ds_read2_b64 v[97:100], v127 offset1:1
	s_waitcnt lgkmcnt(0)
	v_cmp_neq_f64_e32 vcc, 0, v[97:98]
	v_cmp_neq_f64_e64 s[2:3], 0, v[99:100]
	s_or_b64 s[2:3], vcc, s[2:3]
	s_and_b64 exec, exec, s[2:3]
	s_cbranch_execz .LBB113_188
; %bb.183:
	v_cmp_ngt_f64_e64 s[2:3], |v[97:98]|, |v[99:100]|
                                        ; implicit-def: $vgpr101_vgpr102
	s_and_saveexec_b64 s[6:7], s[2:3]
	s_xor_b64 s[2:3], exec, s[6:7]
                                        ; implicit-def: $vgpr103_vgpr104
	s_cbranch_execz .LBB113_185
; %bb.184:
	v_div_scale_f64 v[101:102], s[6:7], v[99:100], v[99:100], v[97:98]
	v_rcp_f64_e32 v[103:104], v[101:102]
	v_fma_f64 v[105:106], -v[101:102], v[103:104], 1.0
	v_fma_f64 v[103:104], v[103:104], v[105:106], v[103:104]
	v_div_scale_f64 v[105:106], vcc, v[97:98], v[99:100], v[97:98]
	v_fma_f64 v[107:108], -v[101:102], v[103:104], 1.0
	v_fma_f64 v[103:104], v[103:104], v[107:108], v[103:104]
	v_mul_f64 v[107:108], v[105:106], v[103:104]
	v_fma_f64 v[101:102], -v[101:102], v[107:108], v[105:106]
	v_div_fmas_f64 v[101:102], v[101:102], v[103:104], v[107:108]
	v_div_fixup_f64 v[101:102], v[101:102], v[99:100], v[97:98]
	v_fma_f64 v[97:98], v[97:98], v[101:102], v[99:100]
	v_div_scale_f64 v[99:100], s[6:7], v[97:98], v[97:98], 1.0
	v_div_scale_f64 v[107:108], vcc, 1.0, v[97:98], 1.0
	v_rcp_f64_e32 v[103:104], v[99:100]
	v_fma_f64 v[105:106], -v[99:100], v[103:104], 1.0
	v_fma_f64 v[103:104], v[103:104], v[105:106], v[103:104]
	v_fma_f64 v[105:106], -v[99:100], v[103:104], 1.0
	v_fma_f64 v[103:104], v[103:104], v[105:106], v[103:104]
	v_mul_f64 v[105:106], v[107:108], v[103:104]
	v_fma_f64 v[99:100], -v[99:100], v[105:106], v[107:108]
	v_div_fmas_f64 v[99:100], v[99:100], v[103:104], v[105:106]
	v_div_fixup_f64 v[103:104], v[99:100], v[97:98], 1.0
                                        ; implicit-def: $vgpr97_vgpr98
	v_mul_f64 v[101:102], v[101:102], v[103:104]
	v_xor_b32_e32 v104, 0x80000000, v104
.LBB113_185:
	s_andn2_saveexec_b64 s[2:3], s[2:3]
	s_cbranch_execz .LBB113_187
; %bb.186:
	v_div_scale_f64 v[101:102], s[6:7], v[97:98], v[97:98], v[99:100]
	v_rcp_f64_e32 v[103:104], v[101:102]
	v_fma_f64 v[105:106], -v[101:102], v[103:104], 1.0
	v_fma_f64 v[103:104], v[103:104], v[105:106], v[103:104]
	v_div_scale_f64 v[105:106], vcc, v[99:100], v[97:98], v[99:100]
	v_fma_f64 v[107:108], -v[101:102], v[103:104], 1.0
	v_fma_f64 v[103:104], v[103:104], v[107:108], v[103:104]
	v_mul_f64 v[107:108], v[105:106], v[103:104]
	v_fma_f64 v[101:102], -v[101:102], v[107:108], v[105:106]
	v_div_fmas_f64 v[101:102], v[101:102], v[103:104], v[107:108]
	v_div_fixup_f64 v[103:104], v[101:102], v[97:98], v[99:100]
	v_fma_f64 v[97:98], v[99:100], v[103:104], v[97:98]
	v_div_scale_f64 v[99:100], s[6:7], v[97:98], v[97:98], 1.0
	v_div_scale_f64 v[107:108], vcc, 1.0, v[97:98], 1.0
	v_rcp_f64_e32 v[101:102], v[99:100]
	v_fma_f64 v[105:106], -v[99:100], v[101:102], 1.0
	v_fma_f64 v[101:102], v[101:102], v[105:106], v[101:102]
	v_fma_f64 v[105:106], -v[99:100], v[101:102], 1.0
	v_fma_f64 v[101:102], v[101:102], v[105:106], v[101:102]
	v_mul_f64 v[105:106], v[107:108], v[101:102]
	v_fma_f64 v[99:100], -v[99:100], v[105:106], v[107:108]
	v_div_fmas_f64 v[99:100], v[99:100], v[101:102], v[105:106]
	v_div_fixup_f64 v[101:102], v[99:100], v[97:98], 1.0
	v_mul_f64 v[103:104], v[103:104], -v[101:102]
.LBB113_187:
	s_or_b64 exec, exec, s[2:3]
	ds_write2_b64 v127, v[101:102], v[103:104] offset1:1
.LBB113_188:
	s_or_b64 exec, exec, s[4:5]
	s_waitcnt lgkmcnt(0)
	s_barrier
	ds_read2_b64 v[87:90], v127 offset1:1
	v_cmp_lt_u32_e32 vcc, 20, v0
	s_waitcnt lgkmcnt(0)
	buffer_store_dword v87, off, s[20:23], 0 offset:1488 ; 4-byte Folded Spill
	s_nop 0
	buffer_store_dword v88, off, s[20:23], 0 offset:1492 ; 4-byte Folded Spill
	buffer_store_dword v89, off, s[20:23], 0 offset:1496 ; 4-byte Folded Spill
	buffer_store_dword v90, off, s[20:23], 0 offset:1500 ; 4-byte Folded Spill
	s_and_saveexec_b64 s[2:3], vcc
	s_cbranch_execz .LBB113_190
; %bb.189:
	buffer_load_dword v107, off, s[20:23], 0 offset:384 ; 4-byte Folded Reload
	buffer_load_dword v108, off, s[20:23], 0 offset:388 ; 4-byte Folded Reload
	;; [unrolled: 1-line block ×8, first 2 shown]
	s_waitcnt vmcnt(2)
	v_mul_f64 v[99:100], v[87:88], v[109:110]
	s_waitcnt vmcnt(0)
	v_mul_f64 v[97:98], v[89:90], v[109:110]
	v_fma_f64 v[109:110], v[89:90], v[107:108], v[99:100]
	ds_read2_b64 v[99:102], v125 offset0:42 offset1:43
	v_fma_f64 v[97:98], v[87:88], v[107:108], -v[97:98]
	buffer_load_dword v105, off, s[20:23], 0 offset:368 ; 4-byte Folded Reload
	buffer_load_dword v106, off, s[20:23], 0 offset:372 ; 4-byte Folded Reload
	buffer_load_dword v107, off, s[20:23], 0 offset:376 ; 4-byte Folded Reload
	buffer_load_dword v108, off, s[20:23], 0 offset:380 ; 4-byte Folded Reload
	s_waitcnt lgkmcnt(0)
	v_mul_f64 v[103:104], v[101:102], v[109:110]
	v_fma_f64 v[103:104], v[99:100], v[97:98], -v[103:104]
	v_mul_f64 v[99:100], v[99:100], v[109:110]
	v_fma_f64 v[99:100], v[101:102], v[97:98], v[99:100]
	s_waitcnt vmcnt(2)
	v_add_f64 v[105:106], v[105:106], -v[103:104]
	s_waitcnt vmcnt(0)
	v_add_f64 v[107:108], v[107:108], -v[99:100]
	buffer_store_dword v105, off, s[20:23], 0 offset:368 ; 4-byte Folded Spill
	s_nop 0
	buffer_store_dword v106, off, s[20:23], 0 offset:372 ; 4-byte Folded Spill
	buffer_store_dword v107, off, s[20:23], 0 offset:376 ; 4-byte Folded Spill
	buffer_store_dword v108, off, s[20:23], 0 offset:380 ; 4-byte Folded Spill
	ds_read2_b64 v[99:102], v125 offset0:44 offset1:45
	buffer_load_dword v105, off, s[20:23], 0 offset:352 ; 4-byte Folded Reload
	buffer_load_dword v106, off, s[20:23], 0 offset:356 ; 4-byte Folded Reload
	buffer_load_dword v107, off, s[20:23], 0 offset:360 ; 4-byte Folded Reload
	buffer_load_dword v108, off, s[20:23], 0 offset:364 ; 4-byte Folded Reload
	s_waitcnt lgkmcnt(0)
	v_mul_f64 v[103:104], v[101:102], v[109:110]
	v_fma_f64 v[103:104], v[99:100], v[97:98], -v[103:104]
	v_mul_f64 v[99:100], v[99:100], v[109:110]
	v_fma_f64 v[99:100], v[101:102], v[97:98], v[99:100]
	s_waitcnt vmcnt(2)
	v_add_f64 v[105:106], v[105:106], -v[103:104]
	s_waitcnt vmcnt(0)
	v_add_f64 v[107:108], v[107:108], -v[99:100]
	buffer_store_dword v105, off, s[20:23], 0 offset:352 ; 4-byte Folded Spill
	s_nop 0
	buffer_store_dword v106, off, s[20:23], 0 offset:356 ; 4-byte Folded Spill
	buffer_store_dword v107, off, s[20:23], 0 offset:360 ; 4-byte Folded Spill
	buffer_store_dword v108, off, s[20:23], 0 offset:364 ; 4-byte Folded Spill
	ds_read2_b64 v[99:102], v125 offset0:46 offset1:47
	;; [unrolled: 19-line block ×13, first 2 shown]
	v_mov_b32_e32 v108, v98
	v_mov_b32_e32 v107, v97
	s_waitcnt lgkmcnt(0)
	v_mul_f64 v[103:104], v[101:102], v[109:110]
	v_fma_f64 v[103:104], v[99:100], v[97:98], -v[103:104]
	v_mul_f64 v[99:100], v[99:100], v[109:110]
	v_add_f64 v[91:92], v[91:92], -v[103:104]
	v_fma_f64 v[99:100], v[101:102], v[97:98], v[99:100]
	v_add_f64 v[93:94], v[93:94], -v[99:100]
	ds_read2_b64 v[99:102], v125 offset0:70 offset1:71
	buffer_load_dword v77, off, s[20:23], 0 offset:160 ; 4-byte Folded Reload
	buffer_load_dword v78, off, s[20:23], 0 offset:164 ; 4-byte Folded Reload
	buffer_load_dword v79, off, s[20:23], 0 offset:168 ; 4-byte Folded Reload
	buffer_load_dword v80, off, s[20:23], 0 offset:172 ; 4-byte Folded Reload
	s_waitcnt lgkmcnt(0)
	v_mul_f64 v[103:104], v[101:102], v[109:110]
	v_fma_f64 v[103:104], v[99:100], v[97:98], -v[103:104]
	v_mul_f64 v[99:100], v[99:100], v[109:110]
	v_fma_f64 v[99:100], v[101:102], v[97:98], v[99:100]
	s_waitcnt vmcnt(2)
	v_add_f64 v[77:78], v[77:78], -v[103:104]
	s_waitcnt vmcnt(0)
	v_add_f64 v[79:80], v[79:80], -v[99:100]
	buffer_store_dword v77, off, s[20:23], 0 offset:160 ; 4-byte Folded Spill
	s_nop 0
	buffer_store_dword v78, off, s[20:23], 0 offset:164 ; 4-byte Folded Spill
	buffer_store_dword v79, off, s[20:23], 0 offset:168 ; 4-byte Folded Spill
	buffer_store_dword v80, off, s[20:23], 0 offset:172 ; 4-byte Folded Spill
	ds_read2_b64 v[99:102], v125 offset0:72 offset1:73
	buffer_load_dword v77, off, s[20:23], 0 offset:144 ; 4-byte Folded Reload
	buffer_load_dword v78, off, s[20:23], 0 offset:148 ; 4-byte Folded Reload
	buffer_load_dword v79, off, s[20:23], 0 offset:152 ; 4-byte Folded Reload
	buffer_load_dword v80, off, s[20:23], 0 offset:156 ; 4-byte Folded Reload
	s_waitcnt lgkmcnt(0)
	v_mul_f64 v[103:104], v[101:102], v[109:110]
	v_fma_f64 v[103:104], v[99:100], v[97:98], -v[103:104]
	v_mul_f64 v[99:100], v[99:100], v[109:110]
	v_fma_f64 v[99:100], v[101:102], v[97:98], v[99:100]
	s_waitcnt vmcnt(2)
	v_add_f64 v[77:78], v[77:78], -v[103:104]
	s_waitcnt vmcnt(0)
	v_add_f64 v[79:80], v[79:80], -v[99:100]
	buffer_store_dword v77, off, s[20:23], 0 offset:144 ; 4-byte Folded Spill
	s_nop 0
	buffer_store_dword v78, off, s[20:23], 0 offset:148 ; 4-byte Folded Spill
	buffer_store_dword v79, off, s[20:23], 0 offset:152 ; 4-byte Folded Spill
	buffer_store_dword v80, off, s[20:23], 0 offset:156 ; 4-byte Folded Spill
	;; [unrolled: 19-line block ×10, first 2 shown]
	ds_read2_b64 v[99:102], v125 offset0:90 offset1:91
	buffer_load_dword v41, off, s[20:23], 0 ; 4-byte Folded Reload
	buffer_load_dword v42, off, s[20:23], 0 offset:4 ; 4-byte Folded Reload
	buffer_load_dword v43, off, s[20:23], 0 offset:8 ; 4-byte Folded Reload
	;; [unrolled: 1-line block ×3, first 2 shown]
	s_waitcnt lgkmcnt(0)
	v_mul_f64 v[103:104], v[101:102], v[109:110]
	v_fma_f64 v[103:104], v[99:100], v[97:98], -v[103:104]
	v_mul_f64 v[99:100], v[99:100], v[109:110]
	v_fma_f64 v[99:100], v[101:102], v[97:98], v[99:100]
	s_waitcnt vmcnt(2)
	v_add_f64 v[41:42], v[41:42], -v[103:104]
	s_waitcnt vmcnt(0)
	v_add_f64 v[43:44], v[43:44], -v[99:100]
	buffer_store_dword v41, off, s[20:23], 0 ; 4-byte Folded Spill
	s_nop 0
	buffer_store_dword v42, off, s[20:23], 0 offset:4 ; 4-byte Folded Spill
	buffer_store_dword v43, off, s[20:23], 0 offset:8 ; 4-byte Folded Spill
	;; [unrolled: 1-line block ×3, first 2 shown]
	ds_read2_b64 v[99:102], v125 offset0:92 offset1:93
	s_waitcnt lgkmcnt(0)
	v_mul_f64 v[103:104], v[101:102], v[109:110]
	v_fma_f64 v[103:104], v[99:100], v[97:98], -v[103:104]
	v_mul_f64 v[99:100], v[99:100], v[109:110]
	v_add_f64 v[37:38], v[37:38], -v[103:104]
	v_fma_f64 v[99:100], v[101:102], v[97:98], v[99:100]
	v_add_f64 v[39:40], v[39:40], -v[99:100]
	ds_read2_b64 v[99:102], v125 offset0:94 offset1:95
	s_waitcnt lgkmcnt(0)
	v_mul_f64 v[103:104], v[101:102], v[109:110]
	v_fma_f64 v[103:104], v[99:100], v[97:98], -v[103:104]
	v_mul_f64 v[99:100], v[99:100], v[109:110]
	v_add_f64 v[33:34], v[33:34], -v[103:104]
	v_fma_f64 v[99:100], v[101:102], v[97:98], v[99:100]
	v_add_f64 v[35:36], v[35:36], -v[99:100]
	;; [unrolled: 8-line block ×10, first 2 shown]
	ds_read2_b64 v[99:102], v125 offset0:112 offset1:113
	s_waitcnt lgkmcnt(0)
	v_mul_f64 v[103:104], v[101:102], v[109:110]
	v_fma_f64 v[103:104], v[99:100], v[97:98], -v[103:104]
	v_mul_f64 v[99:100], v[99:100], v[109:110]
	buffer_store_dword v107, off, s[20:23], 0 offset:384 ; 4-byte Folded Spill
	s_nop 0
	buffer_store_dword v108, off, s[20:23], 0 offset:388 ; 4-byte Folded Spill
	buffer_store_dword v109, off, s[20:23], 0 offset:392 ; 4-byte Folded Spill
	;; [unrolled: 1-line block ×3, first 2 shown]
	v_add_f64 v[121:122], v[121:122], -v[103:104]
	v_fma_f64 v[99:100], v[101:102], v[97:98], v[99:100]
	v_add_f64 v[123:124], v[123:124], -v[99:100]
.LBB113_190:
	s_or_b64 exec, exec, s[2:3]
	v_cmp_eq_u32_e32 vcc, 21, v0
	s_waitcnt vmcnt(0)
	s_barrier
	s_and_saveexec_b64 s[4:5], vcc
	s_cbranch_execz .LBB113_197
; %bb.191:
	buffer_load_dword v95, off, s[20:23], 0 offset:368 ; 4-byte Folded Reload
	buffer_load_dword v96, off, s[20:23], 0 offset:372 ; 4-byte Folded Reload
	;; [unrolled: 1-line block ×4, first 2 shown]
	s_waitcnt vmcnt(0)
	ds_write2_b64 v127, v[95:96], v[97:98] offset1:1
	buffer_load_dword v95, off, s[20:23], 0 offset:352 ; 4-byte Folded Reload
	buffer_load_dword v96, off, s[20:23], 0 offset:356 ; 4-byte Folded Reload
	buffer_load_dword v97, off, s[20:23], 0 offset:360 ; 4-byte Folded Reload
	buffer_load_dword v98, off, s[20:23], 0 offset:364 ; 4-byte Folded Reload
	s_waitcnt vmcnt(0)
	ds_write2_b64 v125, v[95:96], v[97:98] offset0:44 offset1:45
	buffer_load_dword v95, off, s[20:23], 0 offset:336 ; 4-byte Folded Reload
	buffer_load_dword v96, off, s[20:23], 0 offset:340 ; 4-byte Folded Reload
	buffer_load_dword v97, off, s[20:23], 0 offset:344 ; 4-byte Folded Reload
	buffer_load_dword v98, off, s[20:23], 0 offset:348 ; 4-byte Folded Reload
	s_waitcnt vmcnt(0)
	ds_write2_b64 v125, v[95:96], v[97:98] offset0:46 offset1:47
	;; [unrolled: 6-line block ×12, first 2 shown]
	ds_write2_b64 v125, v[91:92], v[93:94] offset0:68 offset1:69
	buffer_load_dword v77, off, s[20:23], 0 offset:160 ; 4-byte Folded Reload
	buffer_load_dword v78, off, s[20:23], 0 offset:164 ; 4-byte Folded Reload
	buffer_load_dword v79, off, s[20:23], 0 offset:168 ; 4-byte Folded Reload
	buffer_load_dword v80, off, s[20:23], 0 offset:172 ; 4-byte Folded Reload
	s_waitcnt vmcnt(0)
	ds_write2_b64 v125, v[77:78], v[79:80] offset0:70 offset1:71
	buffer_load_dword v77, off, s[20:23], 0 offset:144 ; 4-byte Folded Reload
	buffer_load_dword v78, off, s[20:23], 0 offset:148 ; 4-byte Folded Reload
	buffer_load_dword v79, off, s[20:23], 0 offset:152 ; 4-byte Folded Reload
	buffer_load_dword v80, off, s[20:23], 0 offset:156 ; 4-byte Folded Reload
	s_waitcnt vmcnt(0)
	ds_write2_b64 v125, v[77:78], v[79:80] offset0:72 offset1:73
	buffer_load_dword v73, off, s[20:23], 0 offset:128 ; 4-byte Folded Reload
	buffer_load_dword v74, off, s[20:23], 0 offset:132 ; 4-byte Folded Reload
	buffer_load_dword v75, off, s[20:23], 0 offset:136 ; 4-byte Folded Reload
	buffer_load_dword v76, off, s[20:23], 0 offset:140 ; 4-byte Folded Reload
	s_waitcnt vmcnt(0)
	ds_write2_b64 v125, v[73:74], v[75:76] offset0:74 offset1:75
	buffer_load_dword v69, off, s[20:23], 0 offset:112 ; 4-byte Folded Reload
	buffer_load_dword v70, off, s[20:23], 0 offset:116 ; 4-byte Folded Reload
	buffer_load_dword v71, off, s[20:23], 0 offset:120 ; 4-byte Folded Reload
	buffer_load_dword v72, off, s[20:23], 0 offset:124 ; 4-byte Folded Reload
	s_waitcnt vmcnt(0)
	ds_write2_b64 v125, v[69:70], v[71:72] offset0:76 offset1:77
	buffer_load_dword v65, off, s[20:23], 0 offset:96 ; 4-byte Folded Reload
	buffer_load_dword v66, off, s[20:23], 0 offset:100 ; 4-byte Folded Reload
	buffer_load_dword v67, off, s[20:23], 0 offset:104 ; 4-byte Folded Reload
	buffer_load_dword v68, off, s[20:23], 0 offset:108 ; 4-byte Folded Reload
	s_waitcnt vmcnt(0)
	ds_write2_b64 v125, v[65:66], v[67:68] offset0:78 offset1:79
	buffer_load_dword v61, off, s[20:23], 0 offset:80 ; 4-byte Folded Reload
	buffer_load_dword v62, off, s[20:23], 0 offset:84 ; 4-byte Folded Reload
	buffer_load_dword v63, off, s[20:23], 0 offset:88 ; 4-byte Folded Reload
	buffer_load_dword v64, off, s[20:23], 0 offset:92 ; 4-byte Folded Reload
	s_waitcnt vmcnt(0)
	ds_write2_b64 v125, v[61:62], v[63:64] offset0:80 offset1:81
	buffer_load_dword v57, off, s[20:23], 0 offset:64 ; 4-byte Folded Reload
	buffer_load_dword v58, off, s[20:23], 0 offset:68 ; 4-byte Folded Reload
	buffer_load_dword v59, off, s[20:23], 0 offset:72 ; 4-byte Folded Reload
	buffer_load_dword v60, off, s[20:23], 0 offset:76 ; 4-byte Folded Reload
	s_waitcnt vmcnt(0)
	ds_write2_b64 v125, v[57:58], v[59:60] offset0:82 offset1:83
	buffer_load_dword v53, off, s[20:23], 0 offset:48 ; 4-byte Folded Reload
	buffer_load_dword v54, off, s[20:23], 0 offset:52 ; 4-byte Folded Reload
	buffer_load_dword v55, off, s[20:23], 0 offset:56 ; 4-byte Folded Reload
	buffer_load_dword v56, off, s[20:23], 0 offset:60 ; 4-byte Folded Reload
	s_waitcnt vmcnt(0)
	ds_write2_b64 v125, v[53:54], v[55:56] offset0:84 offset1:85
	buffer_load_dword v49, off, s[20:23], 0 offset:32 ; 4-byte Folded Reload
	buffer_load_dword v50, off, s[20:23], 0 offset:36 ; 4-byte Folded Reload
	buffer_load_dword v51, off, s[20:23], 0 offset:40 ; 4-byte Folded Reload
	buffer_load_dword v52, off, s[20:23], 0 offset:44 ; 4-byte Folded Reload
	s_waitcnt vmcnt(0)
	ds_write2_b64 v125, v[49:50], v[51:52] offset0:86 offset1:87
	buffer_load_dword v45, off, s[20:23], 0 offset:16 ; 4-byte Folded Reload
	buffer_load_dword v46, off, s[20:23], 0 offset:20 ; 4-byte Folded Reload
	buffer_load_dword v47, off, s[20:23], 0 offset:24 ; 4-byte Folded Reload
	buffer_load_dword v48, off, s[20:23], 0 offset:28 ; 4-byte Folded Reload
	s_waitcnt vmcnt(0)
	ds_write2_b64 v125, v[45:46], v[47:48] offset0:88 offset1:89
	buffer_load_dword v41, off, s[20:23], 0 ; 4-byte Folded Reload
	buffer_load_dword v42, off, s[20:23], 0 offset:4 ; 4-byte Folded Reload
	buffer_load_dword v43, off, s[20:23], 0 offset:8 ; 4-byte Folded Reload
	buffer_load_dword v44, off, s[20:23], 0 offset:12 ; 4-byte Folded Reload
	s_waitcnt vmcnt(0)
	ds_write2_b64 v125, v[41:42], v[43:44] offset0:90 offset1:91
	ds_write2_b64 v125, v[37:38], v[39:40] offset0:92 offset1:93
	;; [unrolled: 1-line block ×12, first 2 shown]
	ds_read2_b64 v[97:100], v127 offset1:1
	s_waitcnt lgkmcnt(0)
	v_cmp_neq_f64_e32 vcc, 0, v[97:98]
	v_cmp_neq_f64_e64 s[2:3], 0, v[99:100]
	s_or_b64 s[2:3], vcc, s[2:3]
	s_and_b64 exec, exec, s[2:3]
	s_cbranch_execz .LBB113_197
; %bb.192:
	v_cmp_ngt_f64_e64 s[2:3], |v[97:98]|, |v[99:100]|
                                        ; implicit-def: $vgpr101_vgpr102
	s_and_saveexec_b64 s[6:7], s[2:3]
	s_xor_b64 s[2:3], exec, s[6:7]
                                        ; implicit-def: $vgpr103_vgpr104
	s_cbranch_execz .LBB113_194
; %bb.193:
	v_div_scale_f64 v[101:102], s[6:7], v[99:100], v[99:100], v[97:98]
	v_rcp_f64_e32 v[103:104], v[101:102]
	v_fma_f64 v[105:106], -v[101:102], v[103:104], 1.0
	v_fma_f64 v[103:104], v[103:104], v[105:106], v[103:104]
	v_div_scale_f64 v[105:106], vcc, v[97:98], v[99:100], v[97:98]
	v_fma_f64 v[107:108], -v[101:102], v[103:104], 1.0
	v_fma_f64 v[103:104], v[103:104], v[107:108], v[103:104]
	v_mul_f64 v[107:108], v[105:106], v[103:104]
	v_fma_f64 v[101:102], -v[101:102], v[107:108], v[105:106]
	v_div_fmas_f64 v[101:102], v[101:102], v[103:104], v[107:108]
	v_div_fixup_f64 v[101:102], v[101:102], v[99:100], v[97:98]
	v_fma_f64 v[97:98], v[97:98], v[101:102], v[99:100]
	v_div_scale_f64 v[99:100], s[6:7], v[97:98], v[97:98], 1.0
	v_div_scale_f64 v[107:108], vcc, 1.0, v[97:98], 1.0
	v_rcp_f64_e32 v[103:104], v[99:100]
	v_fma_f64 v[105:106], -v[99:100], v[103:104], 1.0
	v_fma_f64 v[103:104], v[103:104], v[105:106], v[103:104]
	v_fma_f64 v[105:106], -v[99:100], v[103:104], 1.0
	v_fma_f64 v[103:104], v[103:104], v[105:106], v[103:104]
	v_mul_f64 v[105:106], v[107:108], v[103:104]
	v_fma_f64 v[99:100], -v[99:100], v[105:106], v[107:108]
	v_div_fmas_f64 v[99:100], v[99:100], v[103:104], v[105:106]
	v_div_fixup_f64 v[103:104], v[99:100], v[97:98], 1.0
                                        ; implicit-def: $vgpr97_vgpr98
	v_mul_f64 v[101:102], v[101:102], v[103:104]
	v_xor_b32_e32 v104, 0x80000000, v104
.LBB113_194:
	s_andn2_saveexec_b64 s[2:3], s[2:3]
	s_cbranch_execz .LBB113_196
; %bb.195:
	v_div_scale_f64 v[101:102], s[6:7], v[97:98], v[97:98], v[99:100]
	v_rcp_f64_e32 v[103:104], v[101:102]
	v_fma_f64 v[105:106], -v[101:102], v[103:104], 1.0
	v_fma_f64 v[103:104], v[103:104], v[105:106], v[103:104]
	v_div_scale_f64 v[105:106], vcc, v[99:100], v[97:98], v[99:100]
	v_fma_f64 v[107:108], -v[101:102], v[103:104], 1.0
	v_fma_f64 v[103:104], v[103:104], v[107:108], v[103:104]
	v_mul_f64 v[107:108], v[105:106], v[103:104]
	v_fma_f64 v[101:102], -v[101:102], v[107:108], v[105:106]
	v_div_fmas_f64 v[101:102], v[101:102], v[103:104], v[107:108]
	v_div_fixup_f64 v[103:104], v[101:102], v[97:98], v[99:100]
	v_fma_f64 v[97:98], v[99:100], v[103:104], v[97:98]
	v_div_scale_f64 v[99:100], s[6:7], v[97:98], v[97:98], 1.0
	v_div_scale_f64 v[107:108], vcc, 1.0, v[97:98], 1.0
	v_rcp_f64_e32 v[101:102], v[99:100]
	v_fma_f64 v[105:106], -v[99:100], v[101:102], 1.0
	v_fma_f64 v[101:102], v[101:102], v[105:106], v[101:102]
	v_fma_f64 v[105:106], -v[99:100], v[101:102], 1.0
	v_fma_f64 v[101:102], v[101:102], v[105:106], v[101:102]
	v_mul_f64 v[105:106], v[107:108], v[101:102]
	v_fma_f64 v[99:100], -v[99:100], v[105:106], v[107:108]
	v_div_fmas_f64 v[99:100], v[99:100], v[101:102], v[105:106]
	v_div_fixup_f64 v[101:102], v[99:100], v[97:98], 1.0
	v_mul_f64 v[103:104], v[103:104], -v[101:102]
.LBB113_196:
	s_or_b64 exec, exec, s[2:3]
	ds_write2_b64 v127, v[101:102], v[103:104] offset1:1
.LBB113_197:
	s_or_b64 exec, exec, s[4:5]
	s_waitcnt lgkmcnt(0)
	s_barrier
	ds_read2_b64 v[87:90], v127 offset1:1
	v_cmp_lt_u32_e32 vcc, 21, v0
	s_waitcnt lgkmcnt(0)
	buffer_store_dword v87, off, s[20:23], 0 offset:1504 ; 4-byte Folded Spill
	s_nop 0
	buffer_store_dword v88, off, s[20:23], 0 offset:1508 ; 4-byte Folded Spill
	buffer_store_dword v89, off, s[20:23], 0 offset:1512 ; 4-byte Folded Spill
	;; [unrolled: 1-line block ×3, first 2 shown]
	s_and_saveexec_b64 s[2:3], vcc
	s_cbranch_execz .LBB113_199
; %bb.198:
	buffer_load_dword v107, off, s[20:23], 0 offset:368 ; 4-byte Folded Reload
	buffer_load_dword v108, off, s[20:23], 0 offset:372 ; 4-byte Folded Reload
	;; [unrolled: 1-line block ×8, first 2 shown]
	s_waitcnt vmcnt(2)
	v_mul_f64 v[99:100], v[87:88], v[109:110]
	s_waitcnt vmcnt(0)
	v_mul_f64 v[97:98], v[89:90], v[109:110]
	v_fma_f64 v[109:110], v[89:90], v[107:108], v[99:100]
	ds_read2_b64 v[99:102], v125 offset0:44 offset1:45
	v_fma_f64 v[97:98], v[87:88], v[107:108], -v[97:98]
	buffer_load_dword v105, off, s[20:23], 0 offset:352 ; 4-byte Folded Reload
	buffer_load_dword v106, off, s[20:23], 0 offset:356 ; 4-byte Folded Reload
	buffer_load_dword v107, off, s[20:23], 0 offset:360 ; 4-byte Folded Reload
	buffer_load_dword v108, off, s[20:23], 0 offset:364 ; 4-byte Folded Reload
	s_waitcnt lgkmcnt(0)
	v_mul_f64 v[103:104], v[101:102], v[109:110]
	v_fma_f64 v[103:104], v[99:100], v[97:98], -v[103:104]
	v_mul_f64 v[99:100], v[99:100], v[109:110]
	v_fma_f64 v[99:100], v[101:102], v[97:98], v[99:100]
	s_waitcnt vmcnt(2)
	v_add_f64 v[105:106], v[105:106], -v[103:104]
	s_waitcnt vmcnt(0)
	v_add_f64 v[107:108], v[107:108], -v[99:100]
	buffer_store_dword v105, off, s[20:23], 0 offset:352 ; 4-byte Folded Spill
	s_nop 0
	buffer_store_dword v106, off, s[20:23], 0 offset:356 ; 4-byte Folded Spill
	buffer_store_dword v107, off, s[20:23], 0 offset:360 ; 4-byte Folded Spill
	buffer_store_dword v108, off, s[20:23], 0 offset:364 ; 4-byte Folded Spill
	ds_read2_b64 v[99:102], v125 offset0:46 offset1:47
	buffer_load_dword v105, off, s[20:23], 0 offset:336 ; 4-byte Folded Reload
	buffer_load_dword v106, off, s[20:23], 0 offset:340 ; 4-byte Folded Reload
	buffer_load_dword v107, off, s[20:23], 0 offset:344 ; 4-byte Folded Reload
	buffer_load_dword v108, off, s[20:23], 0 offset:348 ; 4-byte Folded Reload
	s_waitcnt lgkmcnt(0)
	v_mul_f64 v[103:104], v[101:102], v[109:110]
	v_fma_f64 v[103:104], v[99:100], v[97:98], -v[103:104]
	v_mul_f64 v[99:100], v[99:100], v[109:110]
	v_fma_f64 v[99:100], v[101:102], v[97:98], v[99:100]
	s_waitcnt vmcnt(2)
	v_add_f64 v[105:106], v[105:106], -v[103:104]
	s_waitcnt vmcnt(0)
	v_add_f64 v[107:108], v[107:108], -v[99:100]
	buffer_store_dword v105, off, s[20:23], 0 offset:336 ; 4-byte Folded Spill
	s_nop 0
	buffer_store_dword v106, off, s[20:23], 0 offset:340 ; 4-byte Folded Spill
	buffer_store_dword v107, off, s[20:23], 0 offset:344 ; 4-byte Folded Spill
	buffer_store_dword v108, off, s[20:23], 0 offset:348 ; 4-byte Folded Spill
	ds_read2_b64 v[99:102], v125 offset0:48 offset1:49
	;; [unrolled: 19-line block ×12, first 2 shown]
	v_mov_b32_e32 v108, v98
	v_mov_b32_e32 v107, v97
	s_waitcnt lgkmcnt(0)
	v_mul_f64 v[103:104], v[101:102], v[109:110]
	v_fma_f64 v[103:104], v[99:100], v[97:98], -v[103:104]
	v_mul_f64 v[99:100], v[99:100], v[109:110]
	v_add_f64 v[91:92], v[91:92], -v[103:104]
	v_fma_f64 v[99:100], v[101:102], v[97:98], v[99:100]
	v_add_f64 v[93:94], v[93:94], -v[99:100]
	ds_read2_b64 v[99:102], v125 offset0:70 offset1:71
	buffer_load_dword v77, off, s[20:23], 0 offset:160 ; 4-byte Folded Reload
	buffer_load_dword v78, off, s[20:23], 0 offset:164 ; 4-byte Folded Reload
	buffer_load_dword v79, off, s[20:23], 0 offset:168 ; 4-byte Folded Reload
	buffer_load_dword v80, off, s[20:23], 0 offset:172 ; 4-byte Folded Reload
	s_waitcnt lgkmcnt(0)
	v_mul_f64 v[103:104], v[101:102], v[109:110]
	v_fma_f64 v[103:104], v[99:100], v[97:98], -v[103:104]
	v_mul_f64 v[99:100], v[99:100], v[109:110]
	v_fma_f64 v[99:100], v[101:102], v[97:98], v[99:100]
	s_waitcnt vmcnt(2)
	v_add_f64 v[77:78], v[77:78], -v[103:104]
	s_waitcnt vmcnt(0)
	v_add_f64 v[79:80], v[79:80], -v[99:100]
	buffer_store_dword v77, off, s[20:23], 0 offset:160 ; 4-byte Folded Spill
	s_nop 0
	buffer_store_dword v78, off, s[20:23], 0 offset:164 ; 4-byte Folded Spill
	buffer_store_dword v79, off, s[20:23], 0 offset:168 ; 4-byte Folded Spill
	buffer_store_dword v80, off, s[20:23], 0 offset:172 ; 4-byte Folded Spill
	ds_read2_b64 v[99:102], v125 offset0:72 offset1:73
	buffer_load_dword v77, off, s[20:23], 0 offset:144 ; 4-byte Folded Reload
	buffer_load_dword v78, off, s[20:23], 0 offset:148 ; 4-byte Folded Reload
	buffer_load_dword v79, off, s[20:23], 0 offset:152 ; 4-byte Folded Reload
	buffer_load_dword v80, off, s[20:23], 0 offset:156 ; 4-byte Folded Reload
	s_waitcnt lgkmcnt(0)
	v_mul_f64 v[103:104], v[101:102], v[109:110]
	v_fma_f64 v[103:104], v[99:100], v[97:98], -v[103:104]
	v_mul_f64 v[99:100], v[99:100], v[109:110]
	v_fma_f64 v[99:100], v[101:102], v[97:98], v[99:100]
	s_waitcnt vmcnt(2)
	v_add_f64 v[77:78], v[77:78], -v[103:104]
	s_waitcnt vmcnt(0)
	v_add_f64 v[79:80], v[79:80], -v[99:100]
	buffer_store_dword v77, off, s[20:23], 0 offset:144 ; 4-byte Folded Spill
	s_nop 0
	buffer_store_dword v78, off, s[20:23], 0 offset:148 ; 4-byte Folded Spill
	buffer_store_dword v79, off, s[20:23], 0 offset:152 ; 4-byte Folded Spill
	buffer_store_dword v80, off, s[20:23], 0 offset:156 ; 4-byte Folded Spill
	;; [unrolled: 19-line block ×10, first 2 shown]
	ds_read2_b64 v[99:102], v125 offset0:90 offset1:91
	buffer_load_dword v41, off, s[20:23], 0 ; 4-byte Folded Reload
	buffer_load_dword v42, off, s[20:23], 0 offset:4 ; 4-byte Folded Reload
	buffer_load_dword v43, off, s[20:23], 0 offset:8 ; 4-byte Folded Reload
	;; [unrolled: 1-line block ×3, first 2 shown]
	s_waitcnt lgkmcnt(0)
	v_mul_f64 v[103:104], v[101:102], v[109:110]
	v_fma_f64 v[103:104], v[99:100], v[97:98], -v[103:104]
	v_mul_f64 v[99:100], v[99:100], v[109:110]
	v_fma_f64 v[99:100], v[101:102], v[97:98], v[99:100]
	s_waitcnt vmcnt(2)
	v_add_f64 v[41:42], v[41:42], -v[103:104]
	s_waitcnt vmcnt(0)
	v_add_f64 v[43:44], v[43:44], -v[99:100]
	buffer_store_dword v41, off, s[20:23], 0 ; 4-byte Folded Spill
	s_nop 0
	buffer_store_dword v42, off, s[20:23], 0 offset:4 ; 4-byte Folded Spill
	buffer_store_dword v43, off, s[20:23], 0 offset:8 ; 4-byte Folded Spill
	;; [unrolled: 1-line block ×3, first 2 shown]
	ds_read2_b64 v[99:102], v125 offset0:92 offset1:93
	s_waitcnt lgkmcnt(0)
	v_mul_f64 v[103:104], v[101:102], v[109:110]
	v_fma_f64 v[103:104], v[99:100], v[97:98], -v[103:104]
	v_mul_f64 v[99:100], v[99:100], v[109:110]
	v_add_f64 v[37:38], v[37:38], -v[103:104]
	v_fma_f64 v[99:100], v[101:102], v[97:98], v[99:100]
	v_add_f64 v[39:40], v[39:40], -v[99:100]
	ds_read2_b64 v[99:102], v125 offset0:94 offset1:95
	s_waitcnt lgkmcnt(0)
	v_mul_f64 v[103:104], v[101:102], v[109:110]
	v_fma_f64 v[103:104], v[99:100], v[97:98], -v[103:104]
	v_mul_f64 v[99:100], v[99:100], v[109:110]
	v_add_f64 v[33:34], v[33:34], -v[103:104]
	v_fma_f64 v[99:100], v[101:102], v[97:98], v[99:100]
	v_add_f64 v[35:36], v[35:36], -v[99:100]
	;; [unrolled: 8-line block ×10, first 2 shown]
	ds_read2_b64 v[99:102], v125 offset0:112 offset1:113
	s_waitcnt lgkmcnt(0)
	v_mul_f64 v[103:104], v[101:102], v[109:110]
	v_fma_f64 v[103:104], v[99:100], v[97:98], -v[103:104]
	v_mul_f64 v[99:100], v[99:100], v[109:110]
	buffer_store_dword v107, off, s[20:23], 0 offset:368 ; 4-byte Folded Spill
	s_nop 0
	buffer_store_dword v108, off, s[20:23], 0 offset:372 ; 4-byte Folded Spill
	buffer_store_dword v109, off, s[20:23], 0 offset:376 ; 4-byte Folded Spill
	;; [unrolled: 1-line block ×3, first 2 shown]
	v_add_f64 v[121:122], v[121:122], -v[103:104]
	v_fma_f64 v[99:100], v[101:102], v[97:98], v[99:100]
	v_add_f64 v[123:124], v[123:124], -v[99:100]
.LBB113_199:
	s_or_b64 exec, exec, s[2:3]
	v_cmp_eq_u32_e32 vcc, 22, v0
	s_waitcnt vmcnt(0)
	s_barrier
	s_and_saveexec_b64 s[4:5], vcc
	s_cbranch_execz .LBB113_206
; %bb.200:
	buffer_load_dword v95, off, s[20:23], 0 offset:352 ; 4-byte Folded Reload
	buffer_load_dword v96, off, s[20:23], 0 offset:356 ; 4-byte Folded Reload
	;; [unrolled: 1-line block ×4, first 2 shown]
	s_waitcnt vmcnt(0)
	ds_write2_b64 v127, v[95:96], v[97:98] offset1:1
	buffer_load_dword v95, off, s[20:23], 0 offset:336 ; 4-byte Folded Reload
	buffer_load_dword v96, off, s[20:23], 0 offset:340 ; 4-byte Folded Reload
	buffer_load_dword v97, off, s[20:23], 0 offset:344 ; 4-byte Folded Reload
	buffer_load_dword v98, off, s[20:23], 0 offset:348 ; 4-byte Folded Reload
	s_waitcnt vmcnt(0)
	ds_write2_b64 v125, v[95:96], v[97:98] offset0:46 offset1:47
	buffer_load_dword v95, off, s[20:23], 0 offset:320 ; 4-byte Folded Reload
	buffer_load_dword v96, off, s[20:23], 0 offset:324 ; 4-byte Folded Reload
	buffer_load_dword v97, off, s[20:23], 0 offset:328 ; 4-byte Folded Reload
	buffer_load_dword v98, off, s[20:23], 0 offset:332 ; 4-byte Folded Reload
	s_waitcnt vmcnt(0)
	ds_write2_b64 v125, v[95:96], v[97:98] offset0:48 offset1:49
	;; [unrolled: 6-line block ×11, first 2 shown]
	ds_write2_b64 v125, v[91:92], v[93:94] offset0:68 offset1:69
	buffer_load_dword v77, off, s[20:23], 0 offset:160 ; 4-byte Folded Reload
	buffer_load_dword v78, off, s[20:23], 0 offset:164 ; 4-byte Folded Reload
	buffer_load_dword v79, off, s[20:23], 0 offset:168 ; 4-byte Folded Reload
	buffer_load_dword v80, off, s[20:23], 0 offset:172 ; 4-byte Folded Reload
	s_waitcnt vmcnt(0)
	ds_write2_b64 v125, v[77:78], v[79:80] offset0:70 offset1:71
	buffer_load_dword v77, off, s[20:23], 0 offset:144 ; 4-byte Folded Reload
	buffer_load_dword v78, off, s[20:23], 0 offset:148 ; 4-byte Folded Reload
	buffer_load_dword v79, off, s[20:23], 0 offset:152 ; 4-byte Folded Reload
	buffer_load_dword v80, off, s[20:23], 0 offset:156 ; 4-byte Folded Reload
	s_waitcnt vmcnt(0)
	;; [unrolled: 6-line block ×10, first 2 shown]
	ds_write2_b64 v125, v[45:46], v[47:48] offset0:88 offset1:89
	buffer_load_dword v41, off, s[20:23], 0 ; 4-byte Folded Reload
	buffer_load_dword v42, off, s[20:23], 0 offset:4 ; 4-byte Folded Reload
	buffer_load_dword v43, off, s[20:23], 0 offset:8 ; 4-byte Folded Reload
	;; [unrolled: 1-line block ×3, first 2 shown]
	s_waitcnt vmcnt(0)
	ds_write2_b64 v125, v[41:42], v[43:44] offset0:90 offset1:91
	ds_write2_b64 v125, v[37:38], v[39:40] offset0:92 offset1:93
	;; [unrolled: 1-line block ×12, first 2 shown]
	ds_read2_b64 v[97:100], v127 offset1:1
	s_waitcnt lgkmcnt(0)
	v_cmp_neq_f64_e32 vcc, 0, v[97:98]
	v_cmp_neq_f64_e64 s[2:3], 0, v[99:100]
	s_or_b64 s[2:3], vcc, s[2:3]
	s_and_b64 exec, exec, s[2:3]
	s_cbranch_execz .LBB113_206
; %bb.201:
	v_cmp_ngt_f64_e64 s[2:3], |v[97:98]|, |v[99:100]|
                                        ; implicit-def: $vgpr101_vgpr102
	s_and_saveexec_b64 s[6:7], s[2:3]
	s_xor_b64 s[2:3], exec, s[6:7]
                                        ; implicit-def: $vgpr103_vgpr104
	s_cbranch_execz .LBB113_203
; %bb.202:
	v_div_scale_f64 v[101:102], s[6:7], v[99:100], v[99:100], v[97:98]
	v_rcp_f64_e32 v[103:104], v[101:102]
	v_fma_f64 v[105:106], -v[101:102], v[103:104], 1.0
	v_fma_f64 v[103:104], v[103:104], v[105:106], v[103:104]
	v_div_scale_f64 v[105:106], vcc, v[97:98], v[99:100], v[97:98]
	v_fma_f64 v[107:108], -v[101:102], v[103:104], 1.0
	v_fma_f64 v[103:104], v[103:104], v[107:108], v[103:104]
	v_mul_f64 v[107:108], v[105:106], v[103:104]
	v_fma_f64 v[101:102], -v[101:102], v[107:108], v[105:106]
	v_div_fmas_f64 v[101:102], v[101:102], v[103:104], v[107:108]
	v_div_fixup_f64 v[101:102], v[101:102], v[99:100], v[97:98]
	v_fma_f64 v[97:98], v[97:98], v[101:102], v[99:100]
	v_div_scale_f64 v[99:100], s[6:7], v[97:98], v[97:98], 1.0
	v_div_scale_f64 v[107:108], vcc, 1.0, v[97:98], 1.0
	v_rcp_f64_e32 v[103:104], v[99:100]
	v_fma_f64 v[105:106], -v[99:100], v[103:104], 1.0
	v_fma_f64 v[103:104], v[103:104], v[105:106], v[103:104]
	v_fma_f64 v[105:106], -v[99:100], v[103:104], 1.0
	v_fma_f64 v[103:104], v[103:104], v[105:106], v[103:104]
	v_mul_f64 v[105:106], v[107:108], v[103:104]
	v_fma_f64 v[99:100], -v[99:100], v[105:106], v[107:108]
	v_div_fmas_f64 v[99:100], v[99:100], v[103:104], v[105:106]
	v_div_fixup_f64 v[103:104], v[99:100], v[97:98], 1.0
                                        ; implicit-def: $vgpr97_vgpr98
	v_mul_f64 v[101:102], v[101:102], v[103:104]
	v_xor_b32_e32 v104, 0x80000000, v104
.LBB113_203:
	s_andn2_saveexec_b64 s[2:3], s[2:3]
	s_cbranch_execz .LBB113_205
; %bb.204:
	v_div_scale_f64 v[101:102], s[6:7], v[97:98], v[97:98], v[99:100]
	v_rcp_f64_e32 v[103:104], v[101:102]
	v_fma_f64 v[105:106], -v[101:102], v[103:104], 1.0
	v_fma_f64 v[103:104], v[103:104], v[105:106], v[103:104]
	v_div_scale_f64 v[105:106], vcc, v[99:100], v[97:98], v[99:100]
	v_fma_f64 v[107:108], -v[101:102], v[103:104], 1.0
	v_fma_f64 v[103:104], v[103:104], v[107:108], v[103:104]
	v_mul_f64 v[107:108], v[105:106], v[103:104]
	v_fma_f64 v[101:102], -v[101:102], v[107:108], v[105:106]
	v_div_fmas_f64 v[101:102], v[101:102], v[103:104], v[107:108]
	v_div_fixup_f64 v[103:104], v[101:102], v[97:98], v[99:100]
	v_fma_f64 v[97:98], v[99:100], v[103:104], v[97:98]
	v_div_scale_f64 v[99:100], s[6:7], v[97:98], v[97:98], 1.0
	v_div_scale_f64 v[107:108], vcc, 1.0, v[97:98], 1.0
	v_rcp_f64_e32 v[101:102], v[99:100]
	v_fma_f64 v[105:106], -v[99:100], v[101:102], 1.0
	v_fma_f64 v[101:102], v[101:102], v[105:106], v[101:102]
	v_fma_f64 v[105:106], -v[99:100], v[101:102], 1.0
	v_fma_f64 v[101:102], v[101:102], v[105:106], v[101:102]
	v_mul_f64 v[105:106], v[107:108], v[101:102]
	v_fma_f64 v[99:100], -v[99:100], v[105:106], v[107:108]
	v_div_fmas_f64 v[99:100], v[99:100], v[101:102], v[105:106]
	v_div_fixup_f64 v[101:102], v[99:100], v[97:98], 1.0
	v_mul_f64 v[103:104], v[103:104], -v[101:102]
.LBB113_205:
	s_or_b64 exec, exec, s[2:3]
	ds_write2_b64 v127, v[101:102], v[103:104] offset1:1
.LBB113_206:
	s_or_b64 exec, exec, s[4:5]
	s_waitcnt lgkmcnt(0)
	s_barrier
	ds_read2_b64 v[87:90], v127 offset1:1
	v_cmp_lt_u32_e32 vcc, 22, v0
	s_waitcnt lgkmcnt(0)
	buffer_store_dword v87, off, s[20:23], 0 offset:1520 ; 4-byte Folded Spill
	s_nop 0
	buffer_store_dword v88, off, s[20:23], 0 offset:1524 ; 4-byte Folded Spill
	buffer_store_dword v89, off, s[20:23], 0 offset:1528 ; 4-byte Folded Spill
	;; [unrolled: 1-line block ×3, first 2 shown]
	s_and_saveexec_b64 s[2:3], vcc
	s_cbranch_execz .LBB113_208
; %bb.207:
	buffer_load_dword v107, off, s[20:23], 0 offset:352 ; 4-byte Folded Reload
	buffer_load_dword v108, off, s[20:23], 0 offset:356 ; 4-byte Folded Reload
	;; [unrolled: 1-line block ×8, first 2 shown]
	s_waitcnt vmcnt(2)
	v_mul_f64 v[99:100], v[87:88], v[109:110]
	s_waitcnt vmcnt(0)
	v_mul_f64 v[97:98], v[89:90], v[109:110]
	v_fma_f64 v[109:110], v[89:90], v[107:108], v[99:100]
	ds_read2_b64 v[99:102], v125 offset0:46 offset1:47
	v_fma_f64 v[97:98], v[87:88], v[107:108], -v[97:98]
	buffer_load_dword v105, off, s[20:23], 0 offset:336 ; 4-byte Folded Reload
	buffer_load_dword v106, off, s[20:23], 0 offset:340 ; 4-byte Folded Reload
	buffer_load_dword v107, off, s[20:23], 0 offset:344 ; 4-byte Folded Reload
	buffer_load_dword v108, off, s[20:23], 0 offset:348 ; 4-byte Folded Reload
	s_waitcnt lgkmcnt(0)
	v_mul_f64 v[103:104], v[101:102], v[109:110]
	v_fma_f64 v[103:104], v[99:100], v[97:98], -v[103:104]
	v_mul_f64 v[99:100], v[99:100], v[109:110]
	v_fma_f64 v[99:100], v[101:102], v[97:98], v[99:100]
	s_waitcnt vmcnt(2)
	v_add_f64 v[105:106], v[105:106], -v[103:104]
	s_waitcnt vmcnt(0)
	v_add_f64 v[107:108], v[107:108], -v[99:100]
	buffer_store_dword v105, off, s[20:23], 0 offset:336 ; 4-byte Folded Spill
	s_nop 0
	buffer_store_dword v106, off, s[20:23], 0 offset:340 ; 4-byte Folded Spill
	buffer_store_dword v107, off, s[20:23], 0 offset:344 ; 4-byte Folded Spill
	buffer_store_dword v108, off, s[20:23], 0 offset:348 ; 4-byte Folded Spill
	ds_read2_b64 v[99:102], v125 offset0:48 offset1:49
	buffer_load_dword v105, off, s[20:23], 0 offset:320 ; 4-byte Folded Reload
	buffer_load_dword v106, off, s[20:23], 0 offset:324 ; 4-byte Folded Reload
	buffer_load_dword v107, off, s[20:23], 0 offset:328 ; 4-byte Folded Reload
	buffer_load_dword v108, off, s[20:23], 0 offset:332 ; 4-byte Folded Reload
	s_waitcnt lgkmcnt(0)
	v_mul_f64 v[103:104], v[101:102], v[109:110]
	v_fma_f64 v[103:104], v[99:100], v[97:98], -v[103:104]
	v_mul_f64 v[99:100], v[99:100], v[109:110]
	v_fma_f64 v[99:100], v[101:102], v[97:98], v[99:100]
	s_waitcnt vmcnt(2)
	v_add_f64 v[105:106], v[105:106], -v[103:104]
	s_waitcnt vmcnt(0)
	v_add_f64 v[107:108], v[107:108], -v[99:100]
	buffer_store_dword v105, off, s[20:23], 0 offset:320 ; 4-byte Folded Spill
	s_nop 0
	buffer_store_dword v106, off, s[20:23], 0 offset:324 ; 4-byte Folded Spill
	buffer_store_dword v107, off, s[20:23], 0 offset:328 ; 4-byte Folded Spill
	buffer_store_dword v108, off, s[20:23], 0 offset:332 ; 4-byte Folded Spill
	ds_read2_b64 v[99:102], v125 offset0:50 offset1:51
	;; [unrolled: 19-line block ×11, first 2 shown]
	v_mov_b32_e32 v108, v98
	v_mov_b32_e32 v107, v97
	s_waitcnt lgkmcnt(0)
	v_mul_f64 v[103:104], v[101:102], v[109:110]
	v_fma_f64 v[103:104], v[99:100], v[97:98], -v[103:104]
	v_mul_f64 v[99:100], v[99:100], v[109:110]
	v_add_f64 v[91:92], v[91:92], -v[103:104]
	v_fma_f64 v[99:100], v[101:102], v[97:98], v[99:100]
	v_add_f64 v[93:94], v[93:94], -v[99:100]
	ds_read2_b64 v[99:102], v125 offset0:70 offset1:71
	buffer_load_dword v77, off, s[20:23], 0 offset:160 ; 4-byte Folded Reload
	buffer_load_dword v78, off, s[20:23], 0 offset:164 ; 4-byte Folded Reload
	buffer_load_dword v79, off, s[20:23], 0 offset:168 ; 4-byte Folded Reload
	buffer_load_dword v80, off, s[20:23], 0 offset:172 ; 4-byte Folded Reload
	s_waitcnt lgkmcnt(0)
	v_mul_f64 v[103:104], v[101:102], v[109:110]
	v_fma_f64 v[103:104], v[99:100], v[97:98], -v[103:104]
	v_mul_f64 v[99:100], v[99:100], v[109:110]
	v_fma_f64 v[99:100], v[101:102], v[97:98], v[99:100]
	s_waitcnt vmcnt(2)
	v_add_f64 v[77:78], v[77:78], -v[103:104]
	s_waitcnt vmcnt(0)
	v_add_f64 v[79:80], v[79:80], -v[99:100]
	buffer_store_dword v77, off, s[20:23], 0 offset:160 ; 4-byte Folded Spill
	s_nop 0
	buffer_store_dword v78, off, s[20:23], 0 offset:164 ; 4-byte Folded Spill
	buffer_store_dword v79, off, s[20:23], 0 offset:168 ; 4-byte Folded Spill
	buffer_store_dword v80, off, s[20:23], 0 offset:172 ; 4-byte Folded Spill
	ds_read2_b64 v[99:102], v125 offset0:72 offset1:73
	buffer_load_dword v77, off, s[20:23], 0 offset:144 ; 4-byte Folded Reload
	buffer_load_dword v78, off, s[20:23], 0 offset:148 ; 4-byte Folded Reload
	buffer_load_dword v79, off, s[20:23], 0 offset:152 ; 4-byte Folded Reload
	buffer_load_dword v80, off, s[20:23], 0 offset:156 ; 4-byte Folded Reload
	s_waitcnt lgkmcnt(0)
	v_mul_f64 v[103:104], v[101:102], v[109:110]
	v_fma_f64 v[103:104], v[99:100], v[97:98], -v[103:104]
	v_mul_f64 v[99:100], v[99:100], v[109:110]
	v_fma_f64 v[99:100], v[101:102], v[97:98], v[99:100]
	s_waitcnt vmcnt(2)
	v_add_f64 v[77:78], v[77:78], -v[103:104]
	s_waitcnt vmcnt(0)
	v_add_f64 v[79:80], v[79:80], -v[99:100]
	buffer_store_dword v77, off, s[20:23], 0 offset:144 ; 4-byte Folded Spill
	s_nop 0
	buffer_store_dword v78, off, s[20:23], 0 offset:148 ; 4-byte Folded Spill
	buffer_store_dword v79, off, s[20:23], 0 offset:152 ; 4-byte Folded Spill
	buffer_store_dword v80, off, s[20:23], 0 offset:156 ; 4-byte Folded Spill
	;; [unrolled: 19-line block ×10, first 2 shown]
	ds_read2_b64 v[99:102], v125 offset0:90 offset1:91
	buffer_load_dword v41, off, s[20:23], 0 ; 4-byte Folded Reload
	buffer_load_dword v42, off, s[20:23], 0 offset:4 ; 4-byte Folded Reload
	buffer_load_dword v43, off, s[20:23], 0 offset:8 ; 4-byte Folded Reload
	;; [unrolled: 1-line block ×3, first 2 shown]
	s_waitcnt lgkmcnt(0)
	v_mul_f64 v[103:104], v[101:102], v[109:110]
	v_fma_f64 v[103:104], v[99:100], v[97:98], -v[103:104]
	v_mul_f64 v[99:100], v[99:100], v[109:110]
	v_fma_f64 v[99:100], v[101:102], v[97:98], v[99:100]
	s_waitcnt vmcnt(2)
	v_add_f64 v[41:42], v[41:42], -v[103:104]
	s_waitcnt vmcnt(0)
	v_add_f64 v[43:44], v[43:44], -v[99:100]
	buffer_store_dword v41, off, s[20:23], 0 ; 4-byte Folded Spill
	s_nop 0
	buffer_store_dword v42, off, s[20:23], 0 offset:4 ; 4-byte Folded Spill
	buffer_store_dword v43, off, s[20:23], 0 offset:8 ; 4-byte Folded Spill
	;; [unrolled: 1-line block ×3, first 2 shown]
	ds_read2_b64 v[99:102], v125 offset0:92 offset1:93
	s_waitcnt lgkmcnt(0)
	v_mul_f64 v[103:104], v[101:102], v[109:110]
	v_fma_f64 v[103:104], v[99:100], v[97:98], -v[103:104]
	v_mul_f64 v[99:100], v[99:100], v[109:110]
	v_add_f64 v[37:38], v[37:38], -v[103:104]
	v_fma_f64 v[99:100], v[101:102], v[97:98], v[99:100]
	v_add_f64 v[39:40], v[39:40], -v[99:100]
	ds_read2_b64 v[99:102], v125 offset0:94 offset1:95
	s_waitcnt lgkmcnt(0)
	v_mul_f64 v[103:104], v[101:102], v[109:110]
	v_fma_f64 v[103:104], v[99:100], v[97:98], -v[103:104]
	v_mul_f64 v[99:100], v[99:100], v[109:110]
	v_add_f64 v[33:34], v[33:34], -v[103:104]
	v_fma_f64 v[99:100], v[101:102], v[97:98], v[99:100]
	v_add_f64 v[35:36], v[35:36], -v[99:100]
	;; [unrolled: 8-line block ×10, first 2 shown]
	ds_read2_b64 v[99:102], v125 offset0:112 offset1:113
	s_waitcnt lgkmcnt(0)
	v_mul_f64 v[103:104], v[101:102], v[109:110]
	v_fma_f64 v[103:104], v[99:100], v[97:98], -v[103:104]
	v_mul_f64 v[99:100], v[99:100], v[109:110]
	buffer_store_dword v107, off, s[20:23], 0 offset:352 ; 4-byte Folded Spill
	s_nop 0
	buffer_store_dword v108, off, s[20:23], 0 offset:356 ; 4-byte Folded Spill
	buffer_store_dword v109, off, s[20:23], 0 offset:360 ; 4-byte Folded Spill
	;; [unrolled: 1-line block ×3, first 2 shown]
	v_add_f64 v[121:122], v[121:122], -v[103:104]
	v_fma_f64 v[99:100], v[101:102], v[97:98], v[99:100]
	v_add_f64 v[123:124], v[123:124], -v[99:100]
.LBB113_208:
	s_or_b64 exec, exec, s[2:3]
	v_cmp_eq_u32_e32 vcc, 23, v0
	s_waitcnt vmcnt(0)
	s_barrier
	s_and_saveexec_b64 s[4:5], vcc
	s_cbranch_execz .LBB113_215
; %bb.209:
	buffer_load_dword v95, off, s[20:23], 0 offset:336 ; 4-byte Folded Reload
	buffer_load_dword v96, off, s[20:23], 0 offset:340 ; 4-byte Folded Reload
	buffer_load_dword v97, off, s[20:23], 0 offset:344 ; 4-byte Folded Reload
	buffer_load_dword v98, off, s[20:23], 0 offset:348 ; 4-byte Folded Reload
	s_waitcnt vmcnt(0)
	ds_write2_b64 v127, v[95:96], v[97:98] offset1:1
	buffer_load_dword v95, off, s[20:23], 0 offset:320 ; 4-byte Folded Reload
	buffer_load_dword v96, off, s[20:23], 0 offset:324 ; 4-byte Folded Reload
	buffer_load_dword v97, off, s[20:23], 0 offset:328 ; 4-byte Folded Reload
	buffer_load_dword v98, off, s[20:23], 0 offset:332 ; 4-byte Folded Reload
	s_waitcnt vmcnt(0)
	ds_write2_b64 v125, v[95:96], v[97:98] offset0:48 offset1:49
	buffer_load_dword v95, off, s[20:23], 0 offset:304 ; 4-byte Folded Reload
	buffer_load_dword v96, off, s[20:23], 0 offset:308 ; 4-byte Folded Reload
	buffer_load_dword v97, off, s[20:23], 0 offset:312 ; 4-byte Folded Reload
	buffer_load_dword v98, off, s[20:23], 0 offset:316 ; 4-byte Folded Reload
	s_waitcnt vmcnt(0)
	ds_write2_b64 v125, v[95:96], v[97:98] offset0:50 offset1:51
	;; [unrolled: 6-line block ×10, first 2 shown]
	ds_write2_b64 v125, v[91:92], v[93:94] offset0:68 offset1:69
	buffer_load_dword v77, off, s[20:23], 0 offset:160 ; 4-byte Folded Reload
	buffer_load_dword v78, off, s[20:23], 0 offset:164 ; 4-byte Folded Reload
	buffer_load_dword v79, off, s[20:23], 0 offset:168 ; 4-byte Folded Reload
	buffer_load_dword v80, off, s[20:23], 0 offset:172 ; 4-byte Folded Reload
	s_waitcnt vmcnt(0)
	ds_write2_b64 v125, v[77:78], v[79:80] offset0:70 offset1:71
	buffer_load_dword v77, off, s[20:23], 0 offset:144 ; 4-byte Folded Reload
	buffer_load_dword v78, off, s[20:23], 0 offset:148 ; 4-byte Folded Reload
	buffer_load_dword v79, off, s[20:23], 0 offset:152 ; 4-byte Folded Reload
	buffer_load_dword v80, off, s[20:23], 0 offset:156 ; 4-byte Folded Reload
	s_waitcnt vmcnt(0)
	;; [unrolled: 6-line block ×10, first 2 shown]
	ds_write2_b64 v125, v[45:46], v[47:48] offset0:88 offset1:89
	buffer_load_dword v41, off, s[20:23], 0 ; 4-byte Folded Reload
	buffer_load_dword v42, off, s[20:23], 0 offset:4 ; 4-byte Folded Reload
	buffer_load_dword v43, off, s[20:23], 0 offset:8 ; 4-byte Folded Reload
	;; [unrolled: 1-line block ×3, first 2 shown]
	s_waitcnt vmcnt(0)
	ds_write2_b64 v125, v[41:42], v[43:44] offset0:90 offset1:91
	ds_write2_b64 v125, v[37:38], v[39:40] offset0:92 offset1:93
	;; [unrolled: 1-line block ×12, first 2 shown]
	ds_read2_b64 v[97:100], v127 offset1:1
	s_waitcnt lgkmcnt(0)
	v_cmp_neq_f64_e32 vcc, 0, v[97:98]
	v_cmp_neq_f64_e64 s[2:3], 0, v[99:100]
	s_or_b64 s[2:3], vcc, s[2:3]
	s_and_b64 exec, exec, s[2:3]
	s_cbranch_execz .LBB113_215
; %bb.210:
	v_cmp_ngt_f64_e64 s[2:3], |v[97:98]|, |v[99:100]|
                                        ; implicit-def: $vgpr101_vgpr102
	s_and_saveexec_b64 s[6:7], s[2:3]
	s_xor_b64 s[2:3], exec, s[6:7]
                                        ; implicit-def: $vgpr103_vgpr104
	s_cbranch_execz .LBB113_212
; %bb.211:
	v_div_scale_f64 v[101:102], s[6:7], v[99:100], v[99:100], v[97:98]
	v_rcp_f64_e32 v[103:104], v[101:102]
	v_fma_f64 v[105:106], -v[101:102], v[103:104], 1.0
	v_fma_f64 v[103:104], v[103:104], v[105:106], v[103:104]
	v_div_scale_f64 v[105:106], vcc, v[97:98], v[99:100], v[97:98]
	v_fma_f64 v[107:108], -v[101:102], v[103:104], 1.0
	v_fma_f64 v[103:104], v[103:104], v[107:108], v[103:104]
	v_mul_f64 v[107:108], v[105:106], v[103:104]
	v_fma_f64 v[101:102], -v[101:102], v[107:108], v[105:106]
	v_div_fmas_f64 v[101:102], v[101:102], v[103:104], v[107:108]
	v_div_fixup_f64 v[101:102], v[101:102], v[99:100], v[97:98]
	v_fma_f64 v[97:98], v[97:98], v[101:102], v[99:100]
	v_div_scale_f64 v[99:100], s[6:7], v[97:98], v[97:98], 1.0
	v_div_scale_f64 v[107:108], vcc, 1.0, v[97:98], 1.0
	v_rcp_f64_e32 v[103:104], v[99:100]
	v_fma_f64 v[105:106], -v[99:100], v[103:104], 1.0
	v_fma_f64 v[103:104], v[103:104], v[105:106], v[103:104]
	v_fma_f64 v[105:106], -v[99:100], v[103:104], 1.0
	v_fma_f64 v[103:104], v[103:104], v[105:106], v[103:104]
	v_mul_f64 v[105:106], v[107:108], v[103:104]
	v_fma_f64 v[99:100], -v[99:100], v[105:106], v[107:108]
	v_div_fmas_f64 v[99:100], v[99:100], v[103:104], v[105:106]
	v_div_fixup_f64 v[103:104], v[99:100], v[97:98], 1.0
                                        ; implicit-def: $vgpr97_vgpr98
	v_mul_f64 v[101:102], v[101:102], v[103:104]
	v_xor_b32_e32 v104, 0x80000000, v104
.LBB113_212:
	s_andn2_saveexec_b64 s[2:3], s[2:3]
	s_cbranch_execz .LBB113_214
; %bb.213:
	v_div_scale_f64 v[101:102], s[6:7], v[97:98], v[97:98], v[99:100]
	v_rcp_f64_e32 v[103:104], v[101:102]
	v_fma_f64 v[105:106], -v[101:102], v[103:104], 1.0
	v_fma_f64 v[103:104], v[103:104], v[105:106], v[103:104]
	v_div_scale_f64 v[105:106], vcc, v[99:100], v[97:98], v[99:100]
	v_fma_f64 v[107:108], -v[101:102], v[103:104], 1.0
	v_fma_f64 v[103:104], v[103:104], v[107:108], v[103:104]
	v_mul_f64 v[107:108], v[105:106], v[103:104]
	v_fma_f64 v[101:102], -v[101:102], v[107:108], v[105:106]
	v_div_fmas_f64 v[101:102], v[101:102], v[103:104], v[107:108]
	v_div_fixup_f64 v[103:104], v[101:102], v[97:98], v[99:100]
	v_fma_f64 v[97:98], v[99:100], v[103:104], v[97:98]
	v_div_scale_f64 v[99:100], s[6:7], v[97:98], v[97:98], 1.0
	v_div_scale_f64 v[107:108], vcc, 1.0, v[97:98], 1.0
	v_rcp_f64_e32 v[101:102], v[99:100]
	v_fma_f64 v[105:106], -v[99:100], v[101:102], 1.0
	v_fma_f64 v[101:102], v[101:102], v[105:106], v[101:102]
	v_fma_f64 v[105:106], -v[99:100], v[101:102], 1.0
	v_fma_f64 v[101:102], v[101:102], v[105:106], v[101:102]
	v_mul_f64 v[105:106], v[107:108], v[101:102]
	v_fma_f64 v[99:100], -v[99:100], v[105:106], v[107:108]
	v_div_fmas_f64 v[99:100], v[99:100], v[101:102], v[105:106]
	v_div_fixup_f64 v[101:102], v[99:100], v[97:98], 1.0
	v_mul_f64 v[103:104], v[103:104], -v[101:102]
.LBB113_214:
	s_or_b64 exec, exec, s[2:3]
	ds_write2_b64 v127, v[101:102], v[103:104] offset1:1
.LBB113_215:
	s_or_b64 exec, exec, s[4:5]
	s_waitcnt lgkmcnt(0)
	s_barrier
	ds_read2_b64 v[87:90], v127 offset1:1
	v_cmp_lt_u32_e32 vcc, 23, v0
	s_waitcnt lgkmcnt(0)
	buffer_store_dword v87, off, s[20:23], 0 offset:1536 ; 4-byte Folded Spill
	s_nop 0
	buffer_store_dword v88, off, s[20:23], 0 offset:1540 ; 4-byte Folded Spill
	buffer_store_dword v89, off, s[20:23], 0 offset:1544 ; 4-byte Folded Spill
	;; [unrolled: 1-line block ×3, first 2 shown]
	s_and_saveexec_b64 s[2:3], vcc
	s_cbranch_execz .LBB113_217
; %bb.216:
	buffer_load_dword v107, off, s[20:23], 0 offset:336 ; 4-byte Folded Reload
	buffer_load_dword v108, off, s[20:23], 0 offset:340 ; 4-byte Folded Reload
	;; [unrolled: 1-line block ×8, first 2 shown]
	s_waitcnt vmcnt(2)
	v_mul_f64 v[99:100], v[87:88], v[109:110]
	s_waitcnt vmcnt(0)
	v_mul_f64 v[97:98], v[89:90], v[109:110]
	v_fma_f64 v[109:110], v[89:90], v[107:108], v[99:100]
	ds_read2_b64 v[99:102], v125 offset0:48 offset1:49
	v_fma_f64 v[97:98], v[87:88], v[107:108], -v[97:98]
	buffer_load_dword v105, off, s[20:23], 0 offset:320 ; 4-byte Folded Reload
	buffer_load_dword v106, off, s[20:23], 0 offset:324 ; 4-byte Folded Reload
	buffer_load_dword v107, off, s[20:23], 0 offset:328 ; 4-byte Folded Reload
	buffer_load_dword v108, off, s[20:23], 0 offset:332 ; 4-byte Folded Reload
	s_waitcnt lgkmcnt(0)
	v_mul_f64 v[103:104], v[101:102], v[109:110]
	v_fma_f64 v[103:104], v[99:100], v[97:98], -v[103:104]
	v_mul_f64 v[99:100], v[99:100], v[109:110]
	v_fma_f64 v[99:100], v[101:102], v[97:98], v[99:100]
	s_waitcnt vmcnt(2)
	v_add_f64 v[105:106], v[105:106], -v[103:104]
	s_waitcnt vmcnt(0)
	v_add_f64 v[107:108], v[107:108], -v[99:100]
	buffer_store_dword v105, off, s[20:23], 0 offset:320 ; 4-byte Folded Spill
	s_nop 0
	buffer_store_dword v106, off, s[20:23], 0 offset:324 ; 4-byte Folded Spill
	buffer_store_dword v107, off, s[20:23], 0 offset:328 ; 4-byte Folded Spill
	buffer_store_dword v108, off, s[20:23], 0 offset:332 ; 4-byte Folded Spill
	ds_read2_b64 v[99:102], v125 offset0:50 offset1:51
	buffer_load_dword v105, off, s[20:23], 0 offset:304 ; 4-byte Folded Reload
	buffer_load_dword v106, off, s[20:23], 0 offset:308 ; 4-byte Folded Reload
	buffer_load_dword v107, off, s[20:23], 0 offset:312 ; 4-byte Folded Reload
	buffer_load_dword v108, off, s[20:23], 0 offset:316 ; 4-byte Folded Reload
	s_waitcnt lgkmcnt(0)
	v_mul_f64 v[103:104], v[101:102], v[109:110]
	v_fma_f64 v[103:104], v[99:100], v[97:98], -v[103:104]
	v_mul_f64 v[99:100], v[99:100], v[109:110]
	v_fma_f64 v[99:100], v[101:102], v[97:98], v[99:100]
	s_waitcnt vmcnt(2)
	v_add_f64 v[105:106], v[105:106], -v[103:104]
	s_waitcnt vmcnt(0)
	v_add_f64 v[107:108], v[107:108], -v[99:100]
	buffer_store_dword v105, off, s[20:23], 0 offset:304 ; 4-byte Folded Spill
	s_nop 0
	buffer_store_dword v106, off, s[20:23], 0 offset:308 ; 4-byte Folded Spill
	buffer_store_dword v107, off, s[20:23], 0 offset:312 ; 4-byte Folded Spill
	buffer_store_dword v108, off, s[20:23], 0 offset:316 ; 4-byte Folded Spill
	ds_read2_b64 v[99:102], v125 offset0:52 offset1:53
	;; [unrolled: 19-line block ×10, first 2 shown]
	v_mov_b32_e32 v108, v98
	v_mov_b32_e32 v107, v97
	s_waitcnt lgkmcnt(0)
	v_mul_f64 v[103:104], v[101:102], v[109:110]
	v_fma_f64 v[103:104], v[99:100], v[97:98], -v[103:104]
	v_mul_f64 v[99:100], v[99:100], v[109:110]
	v_add_f64 v[91:92], v[91:92], -v[103:104]
	v_fma_f64 v[99:100], v[101:102], v[97:98], v[99:100]
	v_add_f64 v[93:94], v[93:94], -v[99:100]
	ds_read2_b64 v[99:102], v125 offset0:70 offset1:71
	buffer_load_dword v77, off, s[20:23], 0 offset:160 ; 4-byte Folded Reload
	buffer_load_dword v78, off, s[20:23], 0 offset:164 ; 4-byte Folded Reload
	buffer_load_dword v79, off, s[20:23], 0 offset:168 ; 4-byte Folded Reload
	buffer_load_dword v80, off, s[20:23], 0 offset:172 ; 4-byte Folded Reload
	s_waitcnt lgkmcnt(0)
	v_mul_f64 v[103:104], v[101:102], v[109:110]
	v_fma_f64 v[103:104], v[99:100], v[97:98], -v[103:104]
	v_mul_f64 v[99:100], v[99:100], v[109:110]
	v_fma_f64 v[99:100], v[101:102], v[97:98], v[99:100]
	s_waitcnt vmcnt(2)
	v_add_f64 v[77:78], v[77:78], -v[103:104]
	s_waitcnt vmcnt(0)
	v_add_f64 v[79:80], v[79:80], -v[99:100]
	buffer_store_dword v77, off, s[20:23], 0 offset:160 ; 4-byte Folded Spill
	s_nop 0
	buffer_store_dword v78, off, s[20:23], 0 offset:164 ; 4-byte Folded Spill
	buffer_store_dword v79, off, s[20:23], 0 offset:168 ; 4-byte Folded Spill
	buffer_store_dword v80, off, s[20:23], 0 offset:172 ; 4-byte Folded Spill
	ds_read2_b64 v[99:102], v125 offset0:72 offset1:73
	buffer_load_dword v77, off, s[20:23], 0 offset:144 ; 4-byte Folded Reload
	buffer_load_dword v78, off, s[20:23], 0 offset:148 ; 4-byte Folded Reload
	buffer_load_dword v79, off, s[20:23], 0 offset:152 ; 4-byte Folded Reload
	buffer_load_dword v80, off, s[20:23], 0 offset:156 ; 4-byte Folded Reload
	s_waitcnt lgkmcnt(0)
	v_mul_f64 v[103:104], v[101:102], v[109:110]
	v_fma_f64 v[103:104], v[99:100], v[97:98], -v[103:104]
	v_mul_f64 v[99:100], v[99:100], v[109:110]
	v_fma_f64 v[99:100], v[101:102], v[97:98], v[99:100]
	s_waitcnt vmcnt(2)
	v_add_f64 v[77:78], v[77:78], -v[103:104]
	s_waitcnt vmcnt(0)
	v_add_f64 v[79:80], v[79:80], -v[99:100]
	buffer_store_dword v77, off, s[20:23], 0 offset:144 ; 4-byte Folded Spill
	s_nop 0
	buffer_store_dword v78, off, s[20:23], 0 offset:148 ; 4-byte Folded Spill
	buffer_store_dword v79, off, s[20:23], 0 offset:152 ; 4-byte Folded Spill
	buffer_store_dword v80, off, s[20:23], 0 offset:156 ; 4-byte Folded Spill
	;; [unrolled: 19-line block ×10, first 2 shown]
	ds_read2_b64 v[99:102], v125 offset0:90 offset1:91
	buffer_load_dword v41, off, s[20:23], 0 ; 4-byte Folded Reload
	buffer_load_dword v42, off, s[20:23], 0 offset:4 ; 4-byte Folded Reload
	buffer_load_dword v43, off, s[20:23], 0 offset:8 ; 4-byte Folded Reload
	;; [unrolled: 1-line block ×3, first 2 shown]
	s_waitcnt lgkmcnt(0)
	v_mul_f64 v[103:104], v[101:102], v[109:110]
	v_fma_f64 v[103:104], v[99:100], v[97:98], -v[103:104]
	v_mul_f64 v[99:100], v[99:100], v[109:110]
	v_fma_f64 v[99:100], v[101:102], v[97:98], v[99:100]
	s_waitcnt vmcnt(2)
	v_add_f64 v[41:42], v[41:42], -v[103:104]
	s_waitcnt vmcnt(0)
	v_add_f64 v[43:44], v[43:44], -v[99:100]
	buffer_store_dword v41, off, s[20:23], 0 ; 4-byte Folded Spill
	s_nop 0
	buffer_store_dword v42, off, s[20:23], 0 offset:4 ; 4-byte Folded Spill
	buffer_store_dword v43, off, s[20:23], 0 offset:8 ; 4-byte Folded Spill
	;; [unrolled: 1-line block ×3, first 2 shown]
	ds_read2_b64 v[99:102], v125 offset0:92 offset1:93
	s_waitcnt lgkmcnt(0)
	v_mul_f64 v[103:104], v[101:102], v[109:110]
	v_fma_f64 v[103:104], v[99:100], v[97:98], -v[103:104]
	v_mul_f64 v[99:100], v[99:100], v[109:110]
	v_add_f64 v[37:38], v[37:38], -v[103:104]
	v_fma_f64 v[99:100], v[101:102], v[97:98], v[99:100]
	v_add_f64 v[39:40], v[39:40], -v[99:100]
	ds_read2_b64 v[99:102], v125 offset0:94 offset1:95
	s_waitcnt lgkmcnt(0)
	v_mul_f64 v[103:104], v[101:102], v[109:110]
	v_fma_f64 v[103:104], v[99:100], v[97:98], -v[103:104]
	v_mul_f64 v[99:100], v[99:100], v[109:110]
	v_add_f64 v[33:34], v[33:34], -v[103:104]
	v_fma_f64 v[99:100], v[101:102], v[97:98], v[99:100]
	v_add_f64 v[35:36], v[35:36], -v[99:100]
	;; [unrolled: 8-line block ×10, first 2 shown]
	ds_read2_b64 v[99:102], v125 offset0:112 offset1:113
	s_waitcnt lgkmcnt(0)
	v_mul_f64 v[103:104], v[101:102], v[109:110]
	v_fma_f64 v[103:104], v[99:100], v[97:98], -v[103:104]
	v_mul_f64 v[99:100], v[99:100], v[109:110]
	buffer_store_dword v107, off, s[20:23], 0 offset:336 ; 4-byte Folded Spill
	s_nop 0
	buffer_store_dword v108, off, s[20:23], 0 offset:340 ; 4-byte Folded Spill
	buffer_store_dword v109, off, s[20:23], 0 offset:344 ; 4-byte Folded Spill
	;; [unrolled: 1-line block ×3, first 2 shown]
	v_add_f64 v[121:122], v[121:122], -v[103:104]
	v_fma_f64 v[99:100], v[101:102], v[97:98], v[99:100]
	v_add_f64 v[123:124], v[123:124], -v[99:100]
.LBB113_217:
	s_or_b64 exec, exec, s[2:3]
	v_cmp_eq_u32_e32 vcc, 24, v0
	s_waitcnt vmcnt(0)
	s_barrier
	s_and_saveexec_b64 s[4:5], vcc
	s_cbranch_execz .LBB113_224
; %bb.218:
	buffer_load_dword v95, off, s[20:23], 0 offset:320 ; 4-byte Folded Reload
	buffer_load_dword v96, off, s[20:23], 0 offset:324 ; 4-byte Folded Reload
	buffer_load_dword v97, off, s[20:23], 0 offset:328 ; 4-byte Folded Reload
	buffer_load_dword v98, off, s[20:23], 0 offset:332 ; 4-byte Folded Reload
	s_waitcnt vmcnt(0)
	ds_write2_b64 v127, v[95:96], v[97:98] offset1:1
	buffer_load_dword v95, off, s[20:23], 0 offset:304 ; 4-byte Folded Reload
	buffer_load_dword v96, off, s[20:23], 0 offset:308 ; 4-byte Folded Reload
	buffer_load_dword v97, off, s[20:23], 0 offset:312 ; 4-byte Folded Reload
	buffer_load_dword v98, off, s[20:23], 0 offset:316 ; 4-byte Folded Reload
	s_waitcnt vmcnt(0)
	ds_write2_b64 v125, v[95:96], v[97:98] offset0:50 offset1:51
	buffer_load_dword v95, off, s[20:23], 0 offset:288 ; 4-byte Folded Reload
	buffer_load_dword v96, off, s[20:23], 0 offset:292 ; 4-byte Folded Reload
	buffer_load_dword v97, off, s[20:23], 0 offset:296 ; 4-byte Folded Reload
	buffer_load_dword v98, off, s[20:23], 0 offset:300 ; 4-byte Folded Reload
	s_waitcnt vmcnt(0)
	ds_write2_b64 v125, v[95:96], v[97:98] offset0:52 offset1:53
	;; [unrolled: 6-line block ×9, first 2 shown]
	ds_write2_b64 v125, v[91:92], v[93:94] offset0:68 offset1:69
	buffer_load_dword v77, off, s[20:23], 0 offset:160 ; 4-byte Folded Reload
	buffer_load_dword v78, off, s[20:23], 0 offset:164 ; 4-byte Folded Reload
	buffer_load_dword v79, off, s[20:23], 0 offset:168 ; 4-byte Folded Reload
	buffer_load_dword v80, off, s[20:23], 0 offset:172 ; 4-byte Folded Reload
	s_waitcnt vmcnt(0)
	ds_write2_b64 v125, v[77:78], v[79:80] offset0:70 offset1:71
	buffer_load_dword v77, off, s[20:23], 0 offset:144 ; 4-byte Folded Reload
	buffer_load_dword v78, off, s[20:23], 0 offset:148 ; 4-byte Folded Reload
	buffer_load_dword v79, off, s[20:23], 0 offset:152 ; 4-byte Folded Reload
	buffer_load_dword v80, off, s[20:23], 0 offset:156 ; 4-byte Folded Reload
	s_waitcnt vmcnt(0)
	;; [unrolled: 6-line block ×10, first 2 shown]
	ds_write2_b64 v125, v[45:46], v[47:48] offset0:88 offset1:89
	buffer_load_dword v41, off, s[20:23], 0 ; 4-byte Folded Reload
	buffer_load_dword v42, off, s[20:23], 0 offset:4 ; 4-byte Folded Reload
	buffer_load_dword v43, off, s[20:23], 0 offset:8 ; 4-byte Folded Reload
	buffer_load_dword v44, off, s[20:23], 0 offset:12 ; 4-byte Folded Reload
	s_waitcnt vmcnt(0)
	ds_write2_b64 v125, v[41:42], v[43:44] offset0:90 offset1:91
	ds_write2_b64 v125, v[37:38], v[39:40] offset0:92 offset1:93
	ds_write2_b64 v125, v[33:34], v[35:36] offset0:94 offset1:95
	ds_write2_b64 v125, v[29:30], v[31:32] offset0:96 offset1:97
	ds_write2_b64 v125, v[25:26], v[27:28] offset0:98 offset1:99
	ds_write2_b64 v125, v[21:22], v[23:24] offset0:100 offset1:101
	ds_write2_b64 v125, v[17:18], v[19:20] offset0:102 offset1:103
	ds_write2_b64 v125, v[13:14], v[15:16] offset0:104 offset1:105
	ds_write2_b64 v125, v[9:10], v[11:12] offset0:106 offset1:107
	ds_write2_b64 v125, v[5:6], v[7:8] offset0:108 offset1:109
	ds_write2_b64 v125, v[1:2], v[3:4] offset0:110 offset1:111
	ds_write2_b64 v125, v[121:122], v[123:124] offset0:112 offset1:113
	ds_read2_b64 v[97:100], v127 offset1:1
	s_waitcnt lgkmcnt(0)
	v_cmp_neq_f64_e32 vcc, 0, v[97:98]
	v_cmp_neq_f64_e64 s[2:3], 0, v[99:100]
	s_or_b64 s[2:3], vcc, s[2:3]
	s_and_b64 exec, exec, s[2:3]
	s_cbranch_execz .LBB113_224
; %bb.219:
	v_cmp_ngt_f64_e64 s[2:3], |v[97:98]|, |v[99:100]|
                                        ; implicit-def: $vgpr101_vgpr102
	s_and_saveexec_b64 s[6:7], s[2:3]
	s_xor_b64 s[2:3], exec, s[6:7]
                                        ; implicit-def: $vgpr103_vgpr104
	s_cbranch_execz .LBB113_221
; %bb.220:
	v_div_scale_f64 v[101:102], s[6:7], v[99:100], v[99:100], v[97:98]
	v_rcp_f64_e32 v[103:104], v[101:102]
	v_fma_f64 v[105:106], -v[101:102], v[103:104], 1.0
	v_fma_f64 v[103:104], v[103:104], v[105:106], v[103:104]
	v_div_scale_f64 v[105:106], vcc, v[97:98], v[99:100], v[97:98]
	v_fma_f64 v[107:108], -v[101:102], v[103:104], 1.0
	v_fma_f64 v[103:104], v[103:104], v[107:108], v[103:104]
	v_mul_f64 v[107:108], v[105:106], v[103:104]
	v_fma_f64 v[101:102], -v[101:102], v[107:108], v[105:106]
	v_div_fmas_f64 v[101:102], v[101:102], v[103:104], v[107:108]
	v_div_fixup_f64 v[101:102], v[101:102], v[99:100], v[97:98]
	v_fma_f64 v[97:98], v[97:98], v[101:102], v[99:100]
	v_div_scale_f64 v[99:100], s[6:7], v[97:98], v[97:98], 1.0
	v_div_scale_f64 v[107:108], vcc, 1.0, v[97:98], 1.0
	v_rcp_f64_e32 v[103:104], v[99:100]
	v_fma_f64 v[105:106], -v[99:100], v[103:104], 1.0
	v_fma_f64 v[103:104], v[103:104], v[105:106], v[103:104]
	v_fma_f64 v[105:106], -v[99:100], v[103:104], 1.0
	v_fma_f64 v[103:104], v[103:104], v[105:106], v[103:104]
	v_mul_f64 v[105:106], v[107:108], v[103:104]
	v_fma_f64 v[99:100], -v[99:100], v[105:106], v[107:108]
	v_div_fmas_f64 v[99:100], v[99:100], v[103:104], v[105:106]
	v_div_fixup_f64 v[103:104], v[99:100], v[97:98], 1.0
                                        ; implicit-def: $vgpr97_vgpr98
	v_mul_f64 v[101:102], v[101:102], v[103:104]
	v_xor_b32_e32 v104, 0x80000000, v104
.LBB113_221:
	s_andn2_saveexec_b64 s[2:3], s[2:3]
	s_cbranch_execz .LBB113_223
; %bb.222:
	v_div_scale_f64 v[101:102], s[6:7], v[97:98], v[97:98], v[99:100]
	v_rcp_f64_e32 v[103:104], v[101:102]
	v_fma_f64 v[105:106], -v[101:102], v[103:104], 1.0
	v_fma_f64 v[103:104], v[103:104], v[105:106], v[103:104]
	v_div_scale_f64 v[105:106], vcc, v[99:100], v[97:98], v[99:100]
	v_fma_f64 v[107:108], -v[101:102], v[103:104], 1.0
	v_fma_f64 v[103:104], v[103:104], v[107:108], v[103:104]
	v_mul_f64 v[107:108], v[105:106], v[103:104]
	v_fma_f64 v[101:102], -v[101:102], v[107:108], v[105:106]
	v_div_fmas_f64 v[101:102], v[101:102], v[103:104], v[107:108]
	v_div_fixup_f64 v[103:104], v[101:102], v[97:98], v[99:100]
	v_fma_f64 v[97:98], v[99:100], v[103:104], v[97:98]
	v_div_scale_f64 v[99:100], s[6:7], v[97:98], v[97:98], 1.0
	v_div_scale_f64 v[107:108], vcc, 1.0, v[97:98], 1.0
	v_rcp_f64_e32 v[101:102], v[99:100]
	v_fma_f64 v[105:106], -v[99:100], v[101:102], 1.0
	v_fma_f64 v[101:102], v[101:102], v[105:106], v[101:102]
	v_fma_f64 v[105:106], -v[99:100], v[101:102], 1.0
	v_fma_f64 v[101:102], v[101:102], v[105:106], v[101:102]
	v_mul_f64 v[105:106], v[107:108], v[101:102]
	v_fma_f64 v[99:100], -v[99:100], v[105:106], v[107:108]
	v_div_fmas_f64 v[99:100], v[99:100], v[101:102], v[105:106]
	v_div_fixup_f64 v[101:102], v[99:100], v[97:98], 1.0
	v_mul_f64 v[103:104], v[103:104], -v[101:102]
.LBB113_223:
	s_or_b64 exec, exec, s[2:3]
	ds_write2_b64 v127, v[101:102], v[103:104] offset1:1
.LBB113_224:
	s_or_b64 exec, exec, s[4:5]
	s_waitcnt lgkmcnt(0)
	s_barrier
	ds_read2_b64 v[87:90], v127 offset1:1
	v_cmp_lt_u32_e32 vcc, 24, v0
	s_waitcnt lgkmcnt(0)
	buffer_store_dword v87, off, s[20:23], 0 offset:1552 ; 4-byte Folded Spill
	s_nop 0
	buffer_store_dword v88, off, s[20:23], 0 offset:1556 ; 4-byte Folded Spill
	buffer_store_dword v89, off, s[20:23], 0 offset:1560 ; 4-byte Folded Spill
	;; [unrolled: 1-line block ×3, first 2 shown]
	s_and_saveexec_b64 s[2:3], vcc
	s_cbranch_execz .LBB113_226
; %bb.225:
	buffer_load_dword v107, off, s[20:23], 0 offset:320 ; 4-byte Folded Reload
	buffer_load_dword v108, off, s[20:23], 0 offset:324 ; 4-byte Folded Reload
	;; [unrolled: 1-line block ×8, first 2 shown]
	s_waitcnt vmcnt(2)
	v_mul_f64 v[99:100], v[87:88], v[109:110]
	s_waitcnt vmcnt(0)
	v_mul_f64 v[97:98], v[89:90], v[109:110]
	v_fma_f64 v[109:110], v[89:90], v[107:108], v[99:100]
	ds_read2_b64 v[99:102], v125 offset0:50 offset1:51
	v_fma_f64 v[97:98], v[87:88], v[107:108], -v[97:98]
	buffer_load_dword v105, off, s[20:23], 0 offset:304 ; 4-byte Folded Reload
	buffer_load_dword v106, off, s[20:23], 0 offset:308 ; 4-byte Folded Reload
	buffer_load_dword v107, off, s[20:23], 0 offset:312 ; 4-byte Folded Reload
	buffer_load_dword v108, off, s[20:23], 0 offset:316 ; 4-byte Folded Reload
	s_waitcnt lgkmcnt(0)
	v_mul_f64 v[103:104], v[101:102], v[109:110]
	v_fma_f64 v[103:104], v[99:100], v[97:98], -v[103:104]
	v_mul_f64 v[99:100], v[99:100], v[109:110]
	v_fma_f64 v[99:100], v[101:102], v[97:98], v[99:100]
	s_waitcnt vmcnt(2)
	v_add_f64 v[105:106], v[105:106], -v[103:104]
	s_waitcnt vmcnt(0)
	v_add_f64 v[107:108], v[107:108], -v[99:100]
	buffer_store_dword v105, off, s[20:23], 0 offset:304 ; 4-byte Folded Spill
	s_nop 0
	buffer_store_dword v106, off, s[20:23], 0 offset:308 ; 4-byte Folded Spill
	buffer_store_dword v107, off, s[20:23], 0 offset:312 ; 4-byte Folded Spill
	buffer_store_dword v108, off, s[20:23], 0 offset:316 ; 4-byte Folded Spill
	ds_read2_b64 v[99:102], v125 offset0:52 offset1:53
	buffer_load_dword v105, off, s[20:23], 0 offset:288 ; 4-byte Folded Reload
	buffer_load_dword v106, off, s[20:23], 0 offset:292 ; 4-byte Folded Reload
	buffer_load_dword v107, off, s[20:23], 0 offset:296 ; 4-byte Folded Reload
	buffer_load_dword v108, off, s[20:23], 0 offset:300 ; 4-byte Folded Reload
	s_waitcnt lgkmcnt(0)
	v_mul_f64 v[103:104], v[101:102], v[109:110]
	v_fma_f64 v[103:104], v[99:100], v[97:98], -v[103:104]
	v_mul_f64 v[99:100], v[99:100], v[109:110]
	v_fma_f64 v[99:100], v[101:102], v[97:98], v[99:100]
	s_waitcnt vmcnt(2)
	v_add_f64 v[105:106], v[105:106], -v[103:104]
	s_waitcnt vmcnt(0)
	v_add_f64 v[107:108], v[107:108], -v[99:100]
	buffer_store_dword v105, off, s[20:23], 0 offset:288 ; 4-byte Folded Spill
	s_nop 0
	buffer_store_dword v106, off, s[20:23], 0 offset:292 ; 4-byte Folded Spill
	buffer_store_dword v107, off, s[20:23], 0 offset:296 ; 4-byte Folded Spill
	buffer_store_dword v108, off, s[20:23], 0 offset:300 ; 4-byte Folded Spill
	ds_read2_b64 v[99:102], v125 offset0:54 offset1:55
	;; [unrolled: 19-line block ×9, first 2 shown]
	v_mov_b32_e32 v108, v98
	v_mov_b32_e32 v107, v97
	s_waitcnt lgkmcnt(0)
	v_mul_f64 v[103:104], v[101:102], v[109:110]
	v_fma_f64 v[103:104], v[99:100], v[97:98], -v[103:104]
	v_mul_f64 v[99:100], v[99:100], v[109:110]
	v_add_f64 v[91:92], v[91:92], -v[103:104]
	v_fma_f64 v[99:100], v[101:102], v[97:98], v[99:100]
	v_add_f64 v[93:94], v[93:94], -v[99:100]
	ds_read2_b64 v[99:102], v125 offset0:70 offset1:71
	buffer_load_dword v77, off, s[20:23], 0 offset:160 ; 4-byte Folded Reload
	buffer_load_dword v78, off, s[20:23], 0 offset:164 ; 4-byte Folded Reload
	buffer_load_dword v79, off, s[20:23], 0 offset:168 ; 4-byte Folded Reload
	buffer_load_dword v80, off, s[20:23], 0 offset:172 ; 4-byte Folded Reload
	s_waitcnt lgkmcnt(0)
	v_mul_f64 v[103:104], v[101:102], v[109:110]
	v_fma_f64 v[103:104], v[99:100], v[97:98], -v[103:104]
	v_mul_f64 v[99:100], v[99:100], v[109:110]
	v_fma_f64 v[99:100], v[101:102], v[97:98], v[99:100]
	s_waitcnt vmcnt(2)
	v_add_f64 v[77:78], v[77:78], -v[103:104]
	s_waitcnt vmcnt(0)
	v_add_f64 v[79:80], v[79:80], -v[99:100]
	buffer_store_dword v77, off, s[20:23], 0 offset:160 ; 4-byte Folded Spill
	s_nop 0
	buffer_store_dword v78, off, s[20:23], 0 offset:164 ; 4-byte Folded Spill
	buffer_store_dword v79, off, s[20:23], 0 offset:168 ; 4-byte Folded Spill
	buffer_store_dword v80, off, s[20:23], 0 offset:172 ; 4-byte Folded Spill
	ds_read2_b64 v[99:102], v125 offset0:72 offset1:73
	buffer_load_dword v77, off, s[20:23], 0 offset:144 ; 4-byte Folded Reload
	buffer_load_dword v78, off, s[20:23], 0 offset:148 ; 4-byte Folded Reload
	buffer_load_dword v79, off, s[20:23], 0 offset:152 ; 4-byte Folded Reload
	buffer_load_dword v80, off, s[20:23], 0 offset:156 ; 4-byte Folded Reload
	s_waitcnt lgkmcnt(0)
	v_mul_f64 v[103:104], v[101:102], v[109:110]
	v_fma_f64 v[103:104], v[99:100], v[97:98], -v[103:104]
	v_mul_f64 v[99:100], v[99:100], v[109:110]
	v_fma_f64 v[99:100], v[101:102], v[97:98], v[99:100]
	s_waitcnt vmcnt(2)
	v_add_f64 v[77:78], v[77:78], -v[103:104]
	s_waitcnt vmcnt(0)
	v_add_f64 v[79:80], v[79:80], -v[99:100]
	buffer_store_dword v77, off, s[20:23], 0 offset:144 ; 4-byte Folded Spill
	s_nop 0
	buffer_store_dword v78, off, s[20:23], 0 offset:148 ; 4-byte Folded Spill
	buffer_store_dword v79, off, s[20:23], 0 offset:152 ; 4-byte Folded Spill
	buffer_store_dword v80, off, s[20:23], 0 offset:156 ; 4-byte Folded Spill
	;; [unrolled: 19-line block ×10, first 2 shown]
	ds_read2_b64 v[99:102], v125 offset0:90 offset1:91
	buffer_load_dword v41, off, s[20:23], 0 ; 4-byte Folded Reload
	buffer_load_dword v42, off, s[20:23], 0 offset:4 ; 4-byte Folded Reload
	buffer_load_dword v43, off, s[20:23], 0 offset:8 ; 4-byte Folded Reload
	buffer_load_dword v44, off, s[20:23], 0 offset:12 ; 4-byte Folded Reload
	s_waitcnt lgkmcnt(0)
	v_mul_f64 v[103:104], v[101:102], v[109:110]
	v_fma_f64 v[103:104], v[99:100], v[97:98], -v[103:104]
	v_mul_f64 v[99:100], v[99:100], v[109:110]
	v_fma_f64 v[99:100], v[101:102], v[97:98], v[99:100]
	s_waitcnt vmcnt(2)
	v_add_f64 v[41:42], v[41:42], -v[103:104]
	s_waitcnt vmcnt(0)
	v_add_f64 v[43:44], v[43:44], -v[99:100]
	buffer_store_dword v41, off, s[20:23], 0 ; 4-byte Folded Spill
	s_nop 0
	buffer_store_dword v42, off, s[20:23], 0 offset:4 ; 4-byte Folded Spill
	buffer_store_dword v43, off, s[20:23], 0 offset:8 ; 4-byte Folded Spill
	;; [unrolled: 1-line block ×3, first 2 shown]
	ds_read2_b64 v[99:102], v125 offset0:92 offset1:93
	s_waitcnt lgkmcnt(0)
	v_mul_f64 v[103:104], v[101:102], v[109:110]
	v_fma_f64 v[103:104], v[99:100], v[97:98], -v[103:104]
	v_mul_f64 v[99:100], v[99:100], v[109:110]
	v_add_f64 v[37:38], v[37:38], -v[103:104]
	v_fma_f64 v[99:100], v[101:102], v[97:98], v[99:100]
	v_add_f64 v[39:40], v[39:40], -v[99:100]
	ds_read2_b64 v[99:102], v125 offset0:94 offset1:95
	s_waitcnt lgkmcnt(0)
	v_mul_f64 v[103:104], v[101:102], v[109:110]
	v_fma_f64 v[103:104], v[99:100], v[97:98], -v[103:104]
	v_mul_f64 v[99:100], v[99:100], v[109:110]
	v_add_f64 v[33:34], v[33:34], -v[103:104]
	v_fma_f64 v[99:100], v[101:102], v[97:98], v[99:100]
	v_add_f64 v[35:36], v[35:36], -v[99:100]
	;; [unrolled: 8-line block ×10, first 2 shown]
	ds_read2_b64 v[99:102], v125 offset0:112 offset1:113
	s_waitcnt lgkmcnt(0)
	v_mul_f64 v[103:104], v[101:102], v[109:110]
	v_fma_f64 v[103:104], v[99:100], v[97:98], -v[103:104]
	v_mul_f64 v[99:100], v[99:100], v[109:110]
	buffer_store_dword v107, off, s[20:23], 0 offset:320 ; 4-byte Folded Spill
	s_nop 0
	buffer_store_dword v108, off, s[20:23], 0 offset:324 ; 4-byte Folded Spill
	buffer_store_dword v109, off, s[20:23], 0 offset:328 ; 4-byte Folded Spill
	;; [unrolled: 1-line block ×3, first 2 shown]
	v_add_f64 v[121:122], v[121:122], -v[103:104]
	v_fma_f64 v[99:100], v[101:102], v[97:98], v[99:100]
	v_add_f64 v[123:124], v[123:124], -v[99:100]
.LBB113_226:
	s_or_b64 exec, exec, s[2:3]
	v_cmp_eq_u32_e32 vcc, 25, v0
	s_waitcnt vmcnt(0)
	s_barrier
	s_and_saveexec_b64 s[4:5], vcc
	s_cbranch_execz .LBB113_233
; %bb.227:
	buffer_load_dword v95, off, s[20:23], 0 offset:304 ; 4-byte Folded Reload
	buffer_load_dword v96, off, s[20:23], 0 offset:308 ; 4-byte Folded Reload
	;; [unrolled: 1-line block ×4, first 2 shown]
	s_waitcnt vmcnt(0)
	ds_write2_b64 v127, v[95:96], v[97:98] offset1:1
	buffer_load_dword v95, off, s[20:23], 0 offset:288 ; 4-byte Folded Reload
	buffer_load_dword v96, off, s[20:23], 0 offset:292 ; 4-byte Folded Reload
	buffer_load_dword v97, off, s[20:23], 0 offset:296 ; 4-byte Folded Reload
	buffer_load_dword v98, off, s[20:23], 0 offset:300 ; 4-byte Folded Reload
	s_waitcnt vmcnt(0)
	ds_write2_b64 v125, v[95:96], v[97:98] offset0:52 offset1:53
	buffer_load_dword v95, off, s[20:23], 0 offset:272 ; 4-byte Folded Reload
	buffer_load_dword v96, off, s[20:23], 0 offset:276 ; 4-byte Folded Reload
	buffer_load_dword v97, off, s[20:23], 0 offset:280 ; 4-byte Folded Reload
	buffer_load_dword v98, off, s[20:23], 0 offset:284 ; 4-byte Folded Reload
	s_waitcnt vmcnt(0)
	ds_write2_b64 v125, v[95:96], v[97:98] offset0:54 offset1:55
	;; [unrolled: 6-line block ×8, first 2 shown]
	ds_write2_b64 v125, v[91:92], v[93:94] offset0:68 offset1:69
	buffer_load_dword v77, off, s[20:23], 0 offset:160 ; 4-byte Folded Reload
	buffer_load_dword v78, off, s[20:23], 0 offset:164 ; 4-byte Folded Reload
	buffer_load_dword v79, off, s[20:23], 0 offset:168 ; 4-byte Folded Reload
	buffer_load_dword v80, off, s[20:23], 0 offset:172 ; 4-byte Folded Reload
	s_waitcnt vmcnt(0)
	ds_write2_b64 v125, v[77:78], v[79:80] offset0:70 offset1:71
	buffer_load_dword v77, off, s[20:23], 0 offset:144 ; 4-byte Folded Reload
	buffer_load_dword v78, off, s[20:23], 0 offset:148 ; 4-byte Folded Reload
	buffer_load_dword v79, off, s[20:23], 0 offset:152 ; 4-byte Folded Reload
	buffer_load_dword v80, off, s[20:23], 0 offset:156 ; 4-byte Folded Reload
	s_waitcnt vmcnt(0)
	;; [unrolled: 6-line block ×10, first 2 shown]
	ds_write2_b64 v125, v[45:46], v[47:48] offset0:88 offset1:89
	buffer_load_dword v41, off, s[20:23], 0 ; 4-byte Folded Reload
	buffer_load_dword v42, off, s[20:23], 0 offset:4 ; 4-byte Folded Reload
	buffer_load_dword v43, off, s[20:23], 0 offset:8 ; 4-byte Folded Reload
	;; [unrolled: 1-line block ×3, first 2 shown]
	s_waitcnt vmcnt(0)
	ds_write2_b64 v125, v[41:42], v[43:44] offset0:90 offset1:91
	ds_write2_b64 v125, v[37:38], v[39:40] offset0:92 offset1:93
	;; [unrolled: 1-line block ×12, first 2 shown]
	ds_read2_b64 v[97:100], v127 offset1:1
	s_waitcnt lgkmcnt(0)
	v_cmp_neq_f64_e32 vcc, 0, v[97:98]
	v_cmp_neq_f64_e64 s[2:3], 0, v[99:100]
	s_or_b64 s[2:3], vcc, s[2:3]
	s_and_b64 exec, exec, s[2:3]
	s_cbranch_execz .LBB113_233
; %bb.228:
	v_cmp_ngt_f64_e64 s[2:3], |v[97:98]|, |v[99:100]|
                                        ; implicit-def: $vgpr101_vgpr102
	s_and_saveexec_b64 s[6:7], s[2:3]
	s_xor_b64 s[2:3], exec, s[6:7]
                                        ; implicit-def: $vgpr103_vgpr104
	s_cbranch_execz .LBB113_230
; %bb.229:
	v_div_scale_f64 v[101:102], s[6:7], v[99:100], v[99:100], v[97:98]
	v_rcp_f64_e32 v[103:104], v[101:102]
	v_fma_f64 v[105:106], -v[101:102], v[103:104], 1.0
	v_fma_f64 v[103:104], v[103:104], v[105:106], v[103:104]
	v_div_scale_f64 v[105:106], vcc, v[97:98], v[99:100], v[97:98]
	v_fma_f64 v[107:108], -v[101:102], v[103:104], 1.0
	v_fma_f64 v[103:104], v[103:104], v[107:108], v[103:104]
	v_mul_f64 v[107:108], v[105:106], v[103:104]
	v_fma_f64 v[101:102], -v[101:102], v[107:108], v[105:106]
	v_div_fmas_f64 v[101:102], v[101:102], v[103:104], v[107:108]
	v_div_fixup_f64 v[101:102], v[101:102], v[99:100], v[97:98]
	v_fma_f64 v[97:98], v[97:98], v[101:102], v[99:100]
	v_div_scale_f64 v[99:100], s[6:7], v[97:98], v[97:98], 1.0
	v_div_scale_f64 v[107:108], vcc, 1.0, v[97:98], 1.0
	v_rcp_f64_e32 v[103:104], v[99:100]
	v_fma_f64 v[105:106], -v[99:100], v[103:104], 1.0
	v_fma_f64 v[103:104], v[103:104], v[105:106], v[103:104]
	v_fma_f64 v[105:106], -v[99:100], v[103:104], 1.0
	v_fma_f64 v[103:104], v[103:104], v[105:106], v[103:104]
	v_mul_f64 v[105:106], v[107:108], v[103:104]
	v_fma_f64 v[99:100], -v[99:100], v[105:106], v[107:108]
	v_div_fmas_f64 v[99:100], v[99:100], v[103:104], v[105:106]
	v_div_fixup_f64 v[103:104], v[99:100], v[97:98], 1.0
                                        ; implicit-def: $vgpr97_vgpr98
	v_mul_f64 v[101:102], v[101:102], v[103:104]
	v_xor_b32_e32 v104, 0x80000000, v104
.LBB113_230:
	s_andn2_saveexec_b64 s[2:3], s[2:3]
	s_cbranch_execz .LBB113_232
; %bb.231:
	v_div_scale_f64 v[101:102], s[6:7], v[97:98], v[97:98], v[99:100]
	v_rcp_f64_e32 v[103:104], v[101:102]
	v_fma_f64 v[105:106], -v[101:102], v[103:104], 1.0
	v_fma_f64 v[103:104], v[103:104], v[105:106], v[103:104]
	v_div_scale_f64 v[105:106], vcc, v[99:100], v[97:98], v[99:100]
	v_fma_f64 v[107:108], -v[101:102], v[103:104], 1.0
	v_fma_f64 v[103:104], v[103:104], v[107:108], v[103:104]
	v_mul_f64 v[107:108], v[105:106], v[103:104]
	v_fma_f64 v[101:102], -v[101:102], v[107:108], v[105:106]
	v_div_fmas_f64 v[101:102], v[101:102], v[103:104], v[107:108]
	v_div_fixup_f64 v[103:104], v[101:102], v[97:98], v[99:100]
	v_fma_f64 v[97:98], v[99:100], v[103:104], v[97:98]
	v_div_scale_f64 v[99:100], s[6:7], v[97:98], v[97:98], 1.0
	v_div_scale_f64 v[107:108], vcc, 1.0, v[97:98], 1.0
	v_rcp_f64_e32 v[101:102], v[99:100]
	v_fma_f64 v[105:106], -v[99:100], v[101:102], 1.0
	v_fma_f64 v[101:102], v[101:102], v[105:106], v[101:102]
	v_fma_f64 v[105:106], -v[99:100], v[101:102], 1.0
	v_fma_f64 v[101:102], v[101:102], v[105:106], v[101:102]
	v_mul_f64 v[105:106], v[107:108], v[101:102]
	v_fma_f64 v[99:100], -v[99:100], v[105:106], v[107:108]
	v_div_fmas_f64 v[99:100], v[99:100], v[101:102], v[105:106]
	v_div_fixup_f64 v[101:102], v[99:100], v[97:98], 1.0
	v_mul_f64 v[103:104], v[103:104], -v[101:102]
.LBB113_232:
	s_or_b64 exec, exec, s[2:3]
	ds_write2_b64 v127, v[101:102], v[103:104] offset1:1
.LBB113_233:
	s_or_b64 exec, exec, s[4:5]
	s_waitcnt lgkmcnt(0)
	s_barrier
	ds_read2_b64 v[87:90], v127 offset1:1
	v_cmp_lt_u32_e32 vcc, 25, v0
	s_waitcnt lgkmcnt(0)
	buffer_store_dword v87, off, s[20:23], 0 offset:1568 ; 4-byte Folded Spill
	s_nop 0
	buffer_store_dword v88, off, s[20:23], 0 offset:1572 ; 4-byte Folded Spill
	buffer_store_dword v89, off, s[20:23], 0 offset:1576 ; 4-byte Folded Spill
	;; [unrolled: 1-line block ×3, first 2 shown]
	s_and_saveexec_b64 s[2:3], vcc
	s_cbranch_execz .LBB113_235
; %bb.234:
	buffer_load_dword v107, off, s[20:23], 0 offset:304 ; 4-byte Folded Reload
	buffer_load_dword v108, off, s[20:23], 0 offset:308 ; 4-byte Folded Reload
	;; [unrolled: 1-line block ×8, first 2 shown]
	s_waitcnt vmcnt(2)
	v_mul_f64 v[99:100], v[87:88], v[109:110]
	s_waitcnt vmcnt(0)
	v_mul_f64 v[97:98], v[89:90], v[109:110]
	v_fma_f64 v[109:110], v[89:90], v[107:108], v[99:100]
	ds_read2_b64 v[99:102], v125 offset0:52 offset1:53
	v_fma_f64 v[97:98], v[87:88], v[107:108], -v[97:98]
	buffer_load_dword v105, off, s[20:23], 0 offset:288 ; 4-byte Folded Reload
	buffer_load_dword v106, off, s[20:23], 0 offset:292 ; 4-byte Folded Reload
	buffer_load_dword v107, off, s[20:23], 0 offset:296 ; 4-byte Folded Reload
	buffer_load_dword v108, off, s[20:23], 0 offset:300 ; 4-byte Folded Reload
	s_waitcnt lgkmcnt(0)
	v_mul_f64 v[103:104], v[101:102], v[109:110]
	v_fma_f64 v[103:104], v[99:100], v[97:98], -v[103:104]
	v_mul_f64 v[99:100], v[99:100], v[109:110]
	v_fma_f64 v[99:100], v[101:102], v[97:98], v[99:100]
	s_waitcnt vmcnt(2)
	v_add_f64 v[105:106], v[105:106], -v[103:104]
	s_waitcnt vmcnt(0)
	v_add_f64 v[107:108], v[107:108], -v[99:100]
	buffer_store_dword v105, off, s[20:23], 0 offset:288 ; 4-byte Folded Spill
	s_nop 0
	buffer_store_dword v106, off, s[20:23], 0 offset:292 ; 4-byte Folded Spill
	buffer_store_dword v107, off, s[20:23], 0 offset:296 ; 4-byte Folded Spill
	buffer_store_dword v108, off, s[20:23], 0 offset:300 ; 4-byte Folded Spill
	ds_read2_b64 v[99:102], v125 offset0:54 offset1:55
	buffer_load_dword v105, off, s[20:23], 0 offset:272 ; 4-byte Folded Reload
	buffer_load_dword v106, off, s[20:23], 0 offset:276 ; 4-byte Folded Reload
	buffer_load_dword v107, off, s[20:23], 0 offset:280 ; 4-byte Folded Reload
	buffer_load_dword v108, off, s[20:23], 0 offset:284 ; 4-byte Folded Reload
	s_waitcnt lgkmcnt(0)
	v_mul_f64 v[103:104], v[101:102], v[109:110]
	v_fma_f64 v[103:104], v[99:100], v[97:98], -v[103:104]
	v_mul_f64 v[99:100], v[99:100], v[109:110]
	v_fma_f64 v[99:100], v[101:102], v[97:98], v[99:100]
	s_waitcnt vmcnt(2)
	v_add_f64 v[105:106], v[105:106], -v[103:104]
	s_waitcnt vmcnt(0)
	v_add_f64 v[107:108], v[107:108], -v[99:100]
	buffer_store_dword v105, off, s[20:23], 0 offset:272 ; 4-byte Folded Spill
	s_nop 0
	buffer_store_dword v106, off, s[20:23], 0 offset:276 ; 4-byte Folded Spill
	buffer_store_dword v107, off, s[20:23], 0 offset:280 ; 4-byte Folded Spill
	buffer_store_dword v108, off, s[20:23], 0 offset:284 ; 4-byte Folded Spill
	ds_read2_b64 v[99:102], v125 offset0:56 offset1:57
	;; [unrolled: 19-line block ×8, first 2 shown]
	v_mov_b32_e32 v108, v98
	v_mov_b32_e32 v107, v97
	s_waitcnt lgkmcnt(0)
	v_mul_f64 v[103:104], v[101:102], v[109:110]
	v_fma_f64 v[103:104], v[99:100], v[97:98], -v[103:104]
	v_mul_f64 v[99:100], v[99:100], v[109:110]
	v_add_f64 v[91:92], v[91:92], -v[103:104]
	v_fma_f64 v[99:100], v[101:102], v[97:98], v[99:100]
	v_add_f64 v[93:94], v[93:94], -v[99:100]
	ds_read2_b64 v[99:102], v125 offset0:70 offset1:71
	buffer_load_dword v77, off, s[20:23], 0 offset:160 ; 4-byte Folded Reload
	buffer_load_dword v78, off, s[20:23], 0 offset:164 ; 4-byte Folded Reload
	buffer_load_dword v79, off, s[20:23], 0 offset:168 ; 4-byte Folded Reload
	buffer_load_dword v80, off, s[20:23], 0 offset:172 ; 4-byte Folded Reload
	s_waitcnt lgkmcnt(0)
	v_mul_f64 v[103:104], v[101:102], v[109:110]
	v_fma_f64 v[103:104], v[99:100], v[97:98], -v[103:104]
	v_mul_f64 v[99:100], v[99:100], v[109:110]
	v_fma_f64 v[99:100], v[101:102], v[97:98], v[99:100]
	s_waitcnt vmcnt(2)
	v_add_f64 v[77:78], v[77:78], -v[103:104]
	s_waitcnt vmcnt(0)
	v_add_f64 v[79:80], v[79:80], -v[99:100]
	buffer_store_dword v77, off, s[20:23], 0 offset:160 ; 4-byte Folded Spill
	s_nop 0
	buffer_store_dword v78, off, s[20:23], 0 offset:164 ; 4-byte Folded Spill
	buffer_store_dword v79, off, s[20:23], 0 offset:168 ; 4-byte Folded Spill
	buffer_store_dword v80, off, s[20:23], 0 offset:172 ; 4-byte Folded Spill
	ds_read2_b64 v[99:102], v125 offset0:72 offset1:73
	buffer_load_dword v77, off, s[20:23], 0 offset:144 ; 4-byte Folded Reload
	buffer_load_dword v78, off, s[20:23], 0 offset:148 ; 4-byte Folded Reload
	buffer_load_dword v79, off, s[20:23], 0 offset:152 ; 4-byte Folded Reload
	buffer_load_dword v80, off, s[20:23], 0 offset:156 ; 4-byte Folded Reload
	s_waitcnt lgkmcnt(0)
	v_mul_f64 v[103:104], v[101:102], v[109:110]
	v_fma_f64 v[103:104], v[99:100], v[97:98], -v[103:104]
	v_mul_f64 v[99:100], v[99:100], v[109:110]
	v_fma_f64 v[99:100], v[101:102], v[97:98], v[99:100]
	s_waitcnt vmcnt(2)
	v_add_f64 v[77:78], v[77:78], -v[103:104]
	s_waitcnt vmcnt(0)
	v_add_f64 v[79:80], v[79:80], -v[99:100]
	buffer_store_dword v77, off, s[20:23], 0 offset:144 ; 4-byte Folded Spill
	s_nop 0
	buffer_store_dword v78, off, s[20:23], 0 offset:148 ; 4-byte Folded Spill
	buffer_store_dword v79, off, s[20:23], 0 offset:152 ; 4-byte Folded Spill
	buffer_store_dword v80, off, s[20:23], 0 offset:156 ; 4-byte Folded Spill
	;; [unrolled: 19-line block ×10, first 2 shown]
	ds_read2_b64 v[99:102], v125 offset0:90 offset1:91
	buffer_load_dword v41, off, s[20:23], 0 ; 4-byte Folded Reload
	buffer_load_dword v42, off, s[20:23], 0 offset:4 ; 4-byte Folded Reload
	buffer_load_dword v43, off, s[20:23], 0 offset:8 ; 4-byte Folded Reload
	;; [unrolled: 1-line block ×3, first 2 shown]
	s_waitcnt lgkmcnt(0)
	v_mul_f64 v[103:104], v[101:102], v[109:110]
	v_fma_f64 v[103:104], v[99:100], v[97:98], -v[103:104]
	v_mul_f64 v[99:100], v[99:100], v[109:110]
	v_fma_f64 v[99:100], v[101:102], v[97:98], v[99:100]
	s_waitcnt vmcnt(2)
	v_add_f64 v[41:42], v[41:42], -v[103:104]
	s_waitcnt vmcnt(0)
	v_add_f64 v[43:44], v[43:44], -v[99:100]
	buffer_store_dword v41, off, s[20:23], 0 ; 4-byte Folded Spill
	s_nop 0
	buffer_store_dword v42, off, s[20:23], 0 offset:4 ; 4-byte Folded Spill
	buffer_store_dword v43, off, s[20:23], 0 offset:8 ; 4-byte Folded Spill
	;; [unrolled: 1-line block ×3, first 2 shown]
	ds_read2_b64 v[99:102], v125 offset0:92 offset1:93
	s_waitcnt lgkmcnt(0)
	v_mul_f64 v[103:104], v[101:102], v[109:110]
	v_fma_f64 v[103:104], v[99:100], v[97:98], -v[103:104]
	v_mul_f64 v[99:100], v[99:100], v[109:110]
	v_add_f64 v[37:38], v[37:38], -v[103:104]
	v_fma_f64 v[99:100], v[101:102], v[97:98], v[99:100]
	v_add_f64 v[39:40], v[39:40], -v[99:100]
	ds_read2_b64 v[99:102], v125 offset0:94 offset1:95
	s_waitcnt lgkmcnt(0)
	v_mul_f64 v[103:104], v[101:102], v[109:110]
	v_fma_f64 v[103:104], v[99:100], v[97:98], -v[103:104]
	v_mul_f64 v[99:100], v[99:100], v[109:110]
	v_add_f64 v[33:34], v[33:34], -v[103:104]
	v_fma_f64 v[99:100], v[101:102], v[97:98], v[99:100]
	v_add_f64 v[35:36], v[35:36], -v[99:100]
	;; [unrolled: 8-line block ×10, first 2 shown]
	ds_read2_b64 v[99:102], v125 offset0:112 offset1:113
	s_waitcnt lgkmcnt(0)
	v_mul_f64 v[103:104], v[101:102], v[109:110]
	v_fma_f64 v[103:104], v[99:100], v[97:98], -v[103:104]
	v_mul_f64 v[99:100], v[99:100], v[109:110]
	buffer_store_dword v107, off, s[20:23], 0 offset:304 ; 4-byte Folded Spill
	s_nop 0
	buffer_store_dword v108, off, s[20:23], 0 offset:308 ; 4-byte Folded Spill
	buffer_store_dword v109, off, s[20:23], 0 offset:312 ; 4-byte Folded Spill
	;; [unrolled: 1-line block ×3, first 2 shown]
	v_add_f64 v[121:122], v[121:122], -v[103:104]
	v_fma_f64 v[99:100], v[101:102], v[97:98], v[99:100]
	v_add_f64 v[123:124], v[123:124], -v[99:100]
.LBB113_235:
	s_or_b64 exec, exec, s[2:3]
	v_cmp_eq_u32_e32 vcc, 26, v0
	s_waitcnt vmcnt(0)
	s_barrier
	s_and_saveexec_b64 s[4:5], vcc
	s_cbranch_execz .LBB113_242
; %bb.236:
	buffer_load_dword v95, off, s[20:23], 0 offset:288 ; 4-byte Folded Reload
	buffer_load_dword v96, off, s[20:23], 0 offset:292 ; 4-byte Folded Reload
	;; [unrolled: 1-line block ×4, first 2 shown]
	s_waitcnt vmcnt(0)
	ds_write2_b64 v127, v[95:96], v[97:98] offset1:1
	buffer_load_dword v95, off, s[20:23], 0 offset:272 ; 4-byte Folded Reload
	buffer_load_dword v96, off, s[20:23], 0 offset:276 ; 4-byte Folded Reload
	buffer_load_dword v97, off, s[20:23], 0 offset:280 ; 4-byte Folded Reload
	buffer_load_dword v98, off, s[20:23], 0 offset:284 ; 4-byte Folded Reload
	s_waitcnt vmcnt(0)
	ds_write2_b64 v125, v[95:96], v[97:98] offset0:54 offset1:55
	buffer_load_dword v95, off, s[20:23], 0 offset:256 ; 4-byte Folded Reload
	buffer_load_dword v96, off, s[20:23], 0 offset:260 ; 4-byte Folded Reload
	buffer_load_dword v97, off, s[20:23], 0 offset:264 ; 4-byte Folded Reload
	buffer_load_dword v98, off, s[20:23], 0 offset:268 ; 4-byte Folded Reload
	s_waitcnt vmcnt(0)
	ds_write2_b64 v125, v[95:96], v[97:98] offset0:56 offset1:57
	;; [unrolled: 6-line block ×7, first 2 shown]
	ds_write2_b64 v125, v[91:92], v[93:94] offset0:68 offset1:69
	buffer_load_dword v77, off, s[20:23], 0 offset:160 ; 4-byte Folded Reload
	buffer_load_dword v78, off, s[20:23], 0 offset:164 ; 4-byte Folded Reload
	buffer_load_dword v79, off, s[20:23], 0 offset:168 ; 4-byte Folded Reload
	buffer_load_dword v80, off, s[20:23], 0 offset:172 ; 4-byte Folded Reload
	s_waitcnt vmcnt(0)
	ds_write2_b64 v125, v[77:78], v[79:80] offset0:70 offset1:71
	buffer_load_dword v77, off, s[20:23], 0 offset:144 ; 4-byte Folded Reload
	buffer_load_dword v78, off, s[20:23], 0 offset:148 ; 4-byte Folded Reload
	buffer_load_dword v79, off, s[20:23], 0 offset:152 ; 4-byte Folded Reload
	buffer_load_dword v80, off, s[20:23], 0 offset:156 ; 4-byte Folded Reload
	s_waitcnt vmcnt(0)
	;; [unrolled: 6-line block ×10, first 2 shown]
	ds_write2_b64 v125, v[45:46], v[47:48] offset0:88 offset1:89
	buffer_load_dword v41, off, s[20:23], 0 ; 4-byte Folded Reload
	buffer_load_dword v42, off, s[20:23], 0 offset:4 ; 4-byte Folded Reload
	buffer_load_dword v43, off, s[20:23], 0 offset:8 ; 4-byte Folded Reload
	;; [unrolled: 1-line block ×3, first 2 shown]
	s_waitcnt vmcnt(0)
	ds_write2_b64 v125, v[41:42], v[43:44] offset0:90 offset1:91
	ds_write2_b64 v125, v[37:38], v[39:40] offset0:92 offset1:93
	;; [unrolled: 1-line block ×12, first 2 shown]
	ds_read2_b64 v[97:100], v127 offset1:1
	s_waitcnt lgkmcnt(0)
	v_cmp_neq_f64_e32 vcc, 0, v[97:98]
	v_cmp_neq_f64_e64 s[2:3], 0, v[99:100]
	s_or_b64 s[2:3], vcc, s[2:3]
	s_and_b64 exec, exec, s[2:3]
	s_cbranch_execz .LBB113_242
; %bb.237:
	v_cmp_ngt_f64_e64 s[2:3], |v[97:98]|, |v[99:100]|
                                        ; implicit-def: $vgpr101_vgpr102
	s_and_saveexec_b64 s[6:7], s[2:3]
	s_xor_b64 s[2:3], exec, s[6:7]
                                        ; implicit-def: $vgpr103_vgpr104
	s_cbranch_execz .LBB113_239
; %bb.238:
	v_div_scale_f64 v[101:102], s[6:7], v[99:100], v[99:100], v[97:98]
	v_rcp_f64_e32 v[103:104], v[101:102]
	v_fma_f64 v[105:106], -v[101:102], v[103:104], 1.0
	v_fma_f64 v[103:104], v[103:104], v[105:106], v[103:104]
	v_div_scale_f64 v[105:106], vcc, v[97:98], v[99:100], v[97:98]
	v_fma_f64 v[107:108], -v[101:102], v[103:104], 1.0
	v_fma_f64 v[103:104], v[103:104], v[107:108], v[103:104]
	v_mul_f64 v[107:108], v[105:106], v[103:104]
	v_fma_f64 v[101:102], -v[101:102], v[107:108], v[105:106]
	v_div_fmas_f64 v[101:102], v[101:102], v[103:104], v[107:108]
	v_div_fixup_f64 v[101:102], v[101:102], v[99:100], v[97:98]
	v_fma_f64 v[97:98], v[97:98], v[101:102], v[99:100]
	v_div_scale_f64 v[99:100], s[6:7], v[97:98], v[97:98], 1.0
	v_div_scale_f64 v[107:108], vcc, 1.0, v[97:98], 1.0
	v_rcp_f64_e32 v[103:104], v[99:100]
	v_fma_f64 v[105:106], -v[99:100], v[103:104], 1.0
	v_fma_f64 v[103:104], v[103:104], v[105:106], v[103:104]
	v_fma_f64 v[105:106], -v[99:100], v[103:104], 1.0
	v_fma_f64 v[103:104], v[103:104], v[105:106], v[103:104]
	v_mul_f64 v[105:106], v[107:108], v[103:104]
	v_fma_f64 v[99:100], -v[99:100], v[105:106], v[107:108]
	v_div_fmas_f64 v[99:100], v[99:100], v[103:104], v[105:106]
	v_div_fixup_f64 v[103:104], v[99:100], v[97:98], 1.0
                                        ; implicit-def: $vgpr97_vgpr98
	v_mul_f64 v[101:102], v[101:102], v[103:104]
	v_xor_b32_e32 v104, 0x80000000, v104
.LBB113_239:
	s_andn2_saveexec_b64 s[2:3], s[2:3]
	s_cbranch_execz .LBB113_241
; %bb.240:
	v_div_scale_f64 v[101:102], s[6:7], v[97:98], v[97:98], v[99:100]
	v_rcp_f64_e32 v[103:104], v[101:102]
	v_fma_f64 v[105:106], -v[101:102], v[103:104], 1.0
	v_fma_f64 v[103:104], v[103:104], v[105:106], v[103:104]
	v_div_scale_f64 v[105:106], vcc, v[99:100], v[97:98], v[99:100]
	v_fma_f64 v[107:108], -v[101:102], v[103:104], 1.0
	v_fma_f64 v[103:104], v[103:104], v[107:108], v[103:104]
	v_mul_f64 v[107:108], v[105:106], v[103:104]
	v_fma_f64 v[101:102], -v[101:102], v[107:108], v[105:106]
	v_div_fmas_f64 v[101:102], v[101:102], v[103:104], v[107:108]
	v_div_fixup_f64 v[103:104], v[101:102], v[97:98], v[99:100]
	v_fma_f64 v[97:98], v[99:100], v[103:104], v[97:98]
	v_div_scale_f64 v[99:100], s[6:7], v[97:98], v[97:98], 1.0
	v_div_scale_f64 v[107:108], vcc, 1.0, v[97:98], 1.0
	v_rcp_f64_e32 v[101:102], v[99:100]
	v_fma_f64 v[105:106], -v[99:100], v[101:102], 1.0
	v_fma_f64 v[101:102], v[101:102], v[105:106], v[101:102]
	v_fma_f64 v[105:106], -v[99:100], v[101:102], 1.0
	v_fma_f64 v[101:102], v[101:102], v[105:106], v[101:102]
	v_mul_f64 v[105:106], v[107:108], v[101:102]
	v_fma_f64 v[99:100], -v[99:100], v[105:106], v[107:108]
	v_div_fmas_f64 v[99:100], v[99:100], v[101:102], v[105:106]
	v_div_fixup_f64 v[101:102], v[99:100], v[97:98], 1.0
	v_mul_f64 v[103:104], v[103:104], -v[101:102]
.LBB113_241:
	s_or_b64 exec, exec, s[2:3]
	ds_write2_b64 v127, v[101:102], v[103:104] offset1:1
.LBB113_242:
	s_or_b64 exec, exec, s[4:5]
	s_waitcnt lgkmcnt(0)
	s_barrier
	ds_read2_b64 v[87:90], v127 offset1:1
	v_cmp_lt_u32_e32 vcc, 26, v0
	s_waitcnt lgkmcnt(0)
	buffer_store_dword v87, off, s[20:23], 0 offset:1584 ; 4-byte Folded Spill
	s_nop 0
	buffer_store_dword v88, off, s[20:23], 0 offset:1588 ; 4-byte Folded Spill
	buffer_store_dword v89, off, s[20:23], 0 offset:1592 ; 4-byte Folded Spill
	;; [unrolled: 1-line block ×3, first 2 shown]
	s_and_saveexec_b64 s[2:3], vcc
	s_cbranch_execz .LBB113_244
; %bb.243:
	buffer_load_dword v107, off, s[20:23], 0 offset:288 ; 4-byte Folded Reload
	buffer_load_dword v108, off, s[20:23], 0 offset:292 ; 4-byte Folded Reload
	;; [unrolled: 1-line block ×8, first 2 shown]
	s_waitcnt vmcnt(2)
	v_mul_f64 v[99:100], v[87:88], v[109:110]
	s_waitcnt vmcnt(0)
	v_mul_f64 v[97:98], v[89:90], v[109:110]
	v_fma_f64 v[109:110], v[89:90], v[107:108], v[99:100]
	ds_read2_b64 v[99:102], v125 offset0:54 offset1:55
	v_fma_f64 v[97:98], v[87:88], v[107:108], -v[97:98]
	buffer_load_dword v105, off, s[20:23], 0 offset:272 ; 4-byte Folded Reload
	buffer_load_dword v106, off, s[20:23], 0 offset:276 ; 4-byte Folded Reload
	buffer_load_dword v107, off, s[20:23], 0 offset:280 ; 4-byte Folded Reload
	buffer_load_dword v108, off, s[20:23], 0 offset:284 ; 4-byte Folded Reload
	s_waitcnt lgkmcnt(0)
	v_mul_f64 v[103:104], v[101:102], v[109:110]
	v_fma_f64 v[103:104], v[99:100], v[97:98], -v[103:104]
	v_mul_f64 v[99:100], v[99:100], v[109:110]
	v_fma_f64 v[99:100], v[101:102], v[97:98], v[99:100]
	s_waitcnt vmcnt(2)
	v_add_f64 v[105:106], v[105:106], -v[103:104]
	s_waitcnt vmcnt(0)
	v_add_f64 v[107:108], v[107:108], -v[99:100]
	buffer_store_dword v105, off, s[20:23], 0 offset:272 ; 4-byte Folded Spill
	s_nop 0
	buffer_store_dword v106, off, s[20:23], 0 offset:276 ; 4-byte Folded Spill
	buffer_store_dword v107, off, s[20:23], 0 offset:280 ; 4-byte Folded Spill
	buffer_store_dword v108, off, s[20:23], 0 offset:284 ; 4-byte Folded Spill
	ds_read2_b64 v[99:102], v125 offset0:56 offset1:57
	buffer_load_dword v105, off, s[20:23], 0 offset:256 ; 4-byte Folded Reload
	buffer_load_dword v106, off, s[20:23], 0 offset:260 ; 4-byte Folded Reload
	buffer_load_dword v107, off, s[20:23], 0 offset:264 ; 4-byte Folded Reload
	buffer_load_dword v108, off, s[20:23], 0 offset:268 ; 4-byte Folded Reload
	s_waitcnt lgkmcnt(0)
	v_mul_f64 v[103:104], v[101:102], v[109:110]
	v_fma_f64 v[103:104], v[99:100], v[97:98], -v[103:104]
	v_mul_f64 v[99:100], v[99:100], v[109:110]
	v_fma_f64 v[99:100], v[101:102], v[97:98], v[99:100]
	s_waitcnt vmcnt(2)
	v_add_f64 v[105:106], v[105:106], -v[103:104]
	s_waitcnt vmcnt(0)
	v_add_f64 v[107:108], v[107:108], -v[99:100]
	buffer_store_dword v105, off, s[20:23], 0 offset:256 ; 4-byte Folded Spill
	s_nop 0
	buffer_store_dword v106, off, s[20:23], 0 offset:260 ; 4-byte Folded Spill
	buffer_store_dword v107, off, s[20:23], 0 offset:264 ; 4-byte Folded Spill
	buffer_store_dword v108, off, s[20:23], 0 offset:268 ; 4-byte Folded Spill
	ds_read2_b64 v[99:102], v125 offset0:58 offset1:59
	;; [unrolled: 19-line block ×7, first 2 shown]
	v_mov_b32_e32 v108, v98
	v_mov_b32_e32 v107, v97
	s_waitcnt lgkmcnt(0)
	v_mul_f64 v[103:104], v[101:102], v[109:110]
	v_fma_f64 v[103:104], v[99:100], v[97:98], -v[103:104]
	v_mul_f64 v[99:100], v[99:100], v[109:110]
	v_add_f64 v[91:92], v[91:92], -v[103:104]
	v_fma_f64 v[99:100], v[101:102], v[97:98], v[99:100]
	v_add_f64 v[93:94], v[93:94], -v[99:100]
	ds_read2_b64 v[99:102], v125 offset0:70 offset1:71
	buffer_load_dword v77, off, s[20:23], 0 offset:160 ; 4-byte Folded Reload
	buffer_load_dword v78, off, s[20:23], 0 offset:164 ; 4-byte Folded Reload
	buffer_load_dword v79, off, s[20:23], 0 offset:168 ; 4-byte Folded Reload
	buffer_load_dword v80, off, s[20:23], 0 offset:172 ; 4-byte Folded Reload
	s_waitcnt lgkmcnt(0)
	v_mul_f64 v[103:104], v[101:102], v[109:110]
	v_fma_f64 v[103:104], v[99:100], v[97:98], -v[103:104]
	v_mul_f64 v[99:100], v[99:100], v[109:110]
	v_fma_f64 v[99:100], v[101:102], v[97:98], v[99:100]
	s_waitcnt vmcnt(2)
	v_add_f64 v[77:78], v[77:78], -v[103:104]
	s_waitcnt vmcnt(0)
	v_add_f64 v[79:80], v[79:80], -v[99:100]
	buffer_store_dword v77, off, s[20:23], 0 offset:160 ; 4-byte Folded Spill
	s_nop 0
	buffer_store_dword v78, off, s[20:23], 0 offset:164 ; 4-byte Folded Spill
	buffer_store_dword v79, off, s[20:23], 0 offset:168 ; 4-byte Folded Spill
	buffer_store_dword v80, off, s[20:23], 0 offset:172 ; 4-byte Folded Spill
	ds_read2_b64 v[99:102], v125 offset0:72 offset1:73
	buffer_load_dword v77, off, s[20:23], 0 offset:144 ; 4-byte Folded Reload
	buffer_load_dword v78, off, s[20:23], 0 offset:148 ; 4-byte Folded Reload
	buffer_load_dword v79, off, s[20:23], 0 offset:152 ; 4-byte Folded Reload
	buffer_load_dword v80, off, s[20:23], 0 offset:156 ; 4-byte Folded Reload
	s_waitcnt lgkmcnt(0)
	v_mul_f64 v[103:104], v[101:102], v[109:110]
	v_fma_f64 v[103:104], v[99:100], v[97:98], -v[103:104]
	v_mul_f64 v[99:100], v[99:100], v[109:110]
	v_fma_f64 v[99:100], v[101:102], v[97:98], v[99:100]
	s_waitcnt vmcnt(2)
	v_add_f64 v[77:78], v[77:78], -v[103:104]
	s_waitcnt vmcnt(0)
	v_add_f64 v[79:80], v[79:80], -v[99:100]
	buffer_store_dword v77, off, s[20:23], 0 offset:144 ; 4-byte Folded Spill
	s_nop 0
	buffer_store_dword v78, off, s[20:23], 0 offset:148 ; 4-byte Folded Spill
	buffer_store_dword v79, off, s[20:23], 0 offset:152 ; 4-byte Folded Spill
	buffer_store_dword v80, off, s[20:23], 0 offset:156 ; 4-byte Folded Spill
	;; [unrolled: 19-line block ×10, first 2 shown]
	ds_read2_b64 v[99:102], v125 offset0:90 offset1:91
	buffer_load_dword v41, off, s[20:23], 0 ; 4-byte Folded Reload
	buffer_load_dword v42, off, s[20:23], 0 offset:4 ; 4-byte Folded Reload
	buffer_load_dword v43, off, s[20:23], 0 offset:8 ; 4-byte Folded Reload
	;; [unrolled: 1-line block ×3, first 2 shown]
	s_waitcnt lgkmcnt(0)
	v_mul_f64 v[103:104], v[101:102], v[109:110]
	v_fma_f64 v[103:104], v[99:100], v[97:98], -v[103:104]
	v_mul_f64 v[99:100], v[99:100], v[109:110]
	v_fma_f64 v[99:100], v[101:102], v[97:98], v[99:100]
	s_waitcnt vmcnt(2)
	v_add_f64 v[41:42], v[41:42], -v[103:104]
	s_waitcnt vmcnt(0)
	v_add_f64 v[43:44], v[43:44], -v[99:100]
	buffer_store_dword v41, off, s[20:23], 0 ; 4-byte Folded Spill
	s_nop 0
	buffer_store_dword v42, off, s[20:23], 0 offset:4 ; 4-byte Folded Spill
	buffer_store_dword v43, off, s[20:23], 0 offset:8 ; 4-byte Folded Spill
	;; [unrolled: 1-line block ×3, first 2 shown]
	ds_read2_b64 v[99:102], v125 offset0:92 offset1:93
	s_waitcnt lgkmcnt(0)
	v_mul_f64 v[103:104], v[101:102], v[109:110]
	v_fma_f64 v[103:104], v[99:100], v[97:98], -v[103:104]
	v_mul_f64 v[99:100], v[99:100], v[109:110]
	v_add_f64 v[37:38], v[37:38], -v[103:104]
	v_fma_f64 v[99:100], v[101:102], v[97:98], v[99:100]
	v_add_f64 v[39:40], v[39:40], -v[99:100]
	ds_read2_b64 v[99:102], v125 offset0:94 offset1:95
	s_waitcnt lgkmcnt(0)
	v_mul_f64 v[103:104], v[101:102], v[109:110]
	v_fma_f64 v[103:104], v[99:100], v[97:98], -v[103:104]
	v_mul_f64 v[99:100], v[99:100], v[109:110]
	v_add_f64 v[33:34], v[33:34], -v[103:104]
	v_fma_f64 v[99:100], v[101:102], v[97:98], v[99:100]
	v_add_f64 v[35:36], v[35:36], -v[99:100]
	;; [unrolled: 8-line block ×10, first 2 shown]
	ds_read2_b64 v[99:102], v125 offset0:112 offset1:113
	s_waitcnt lgkmcnt(0)
	v_mul_f64 v[103:104], v[101:102], v[109:110]
	v_fma_f64 v[103:104], v[99:100], v[97:98], -v[103:104]
	v_mul_f64 v[99:100], v[99:100], v[109:110]
	buffer_store_dword v107, off, s[20:23], 0 offset:288 ; 4-byte Folded Spill
	s_nop 0
	buffer_store_dword v108, off, s[20:23], 0 offset:292 ; 4-byte Folded Spill
	buffer_store_dword v109, off, s[20:23], 0 offset:296 ; 4-byte Folded Spill
	;; [unrolled: 1-line block ×3, first 2 shown]
	v_add_f64 v[121:122], v[121:122], -v[103:104]
	v_fma_f64 v[99:100], v[101:102], v[97:98], v[99:100]
	v_add_f64 v[123:124], v[123:124], -v[99:100]
.LBB113_244:
	s_or_b64 exec, exec, s[2:3]
	v_cmp_eq_u32_e32 vcc, 27, v0
	s_waitcnt vmcnt(0)
	s_barrier
	s_and_saveexec_b64 s[4:5], vcc
	s_cbranch_execz .LBB113_251
; %bb.245:
	buffer_load_dword v95, off, s[20:23], 0 offset:272 ; 4-byte Folded Reload
	buffer_load_dword v96, off, s[20:23], 0 offset:276 ; 4-byte Folded Reload
	;; [unrolled: 1-line block ×4, first 2 shown]
	s_waitcnt vmcnt(0)
	ds_write2_b64 v127, v[95:96], v[97:98] offset1:1
	buffer_load_dword v95, off, s[20:23], 0 offset:256 ; 4-byte Folded Reload
	buffer_load_dword v96, off, s[20:23], 0 offset:260 ; 4-byte Folded Reload
	buffer_load_dword v97, off, s[20:23], 0 offset:264 ; 4-byte Folded Reload
	buffer_load_dword v98, off, s[20:23], 0 offset:268 ; 4-byte Folded Reload
	s_waitcnt vmcnt(0)
	ds_write2_b64 v125, v[95:96], v[97:98] offset0:56 offset1:57
	buffer_load_dword v95, off, s[20:23], 0 offset:240 ; 4-byte Folded Reload
	buffer_load_dword v96, off, s[20:23], 0 offset:244 ; 4-byte Folded Reload
	buffer_load_dword v97, off, s[20:23], 0 offset:248 ; 4-byte Folded Reload
	buffer_load_dword v98, off, s[20:23], 0 offset:252 ; 4-byte Folded Reload
	s_waitcnt vmcnt(0)
	ds_write2_b64 v125, v[95:96], v[97:98] offset0:58 offset1:59
	;; [unrolled: 6-line block ×6, first 2 shown]
	ds_write2_b64 v125, v[91:92], v[93:94] offset0:68 offset1:69
	buffer_load_dword v77, off, s[20:23], 0 offset:160 ; 4-byte Folded Reload
	buffer_load_dword v78, off, s[20:23], 0 offset:164 ; 4-byte Folded Reload
	buffer_load_dword v79, off, s[20:23], 0 offset:168 ; 4-byte Folded Reload
	buffer_load_dword v80, off, s[20:23], 0 offset:172 ; 4-byte Folded Reload
	s_waitcnt vmcnt(0)
	ds_write2_b64 v125, v[77:78], v[79:80] offset0:70 offset1:71
	buffer_load_dword v77, off, s[20:23], 0 offset:144 ; 4-byte Folded Reload
	buffer_load_dword v78, off, s[20:23], 0 offset:148 ; 4-byte Folded Reload
	buffer_load_dword v79, off, s[20:23], 0 offset:152 ; 4-byte Folded Reload
	buffer_load_dword v80, off, s[20:23], 0 offset:156 ; 4-byte Folded Reload
	s_waitcnt vmcnt(0)
	;; [unrolled: 6-line block ×10, first 2 shown]
	ds_write2_b64 v125, v[45:46], v[47:48] offset0:88 offset1:89
	buffer_load_dword v41, off, s[20:23], 0 ; 4-byte Folded Reload
	buffer_load_dword v42, off, s[20:23], 0 offset:4 ; 4-byte Folded Reload
	buffer_load_dword v43, off, s[20:23], 0 offset:8 ; 4-byte Folded Reload
	;; [unrolled: 1-line block ×3, first 2 shown]
	s_waitcnt vmcnt(0)
	ds_write2_b64 v125, v[41:42], v[43:44] offset0:90 offset1:91
	ds_write2_b64 v125, v[37:38], v[39:40] offset0:92 offset1:93
	;; [unrolled: 1-line block ×12, first 2 shown]
	ds_read2_b64 v[97:100], v127 offset1:1
	s_waitcnt lgkmcnt(0)
	v_cmp_neq_f64_e32 vcc, 0, v[97:98]
	v_cmp_neq_f64_e64 s[2:3], 0, v[99:100]
	s_or_b64 s[2:3], vcc, s[2:3]
	s_and_b64 exec, exec, s[2:3]
	s_cbranch_execz .LBB113_251
; %bb.246:
	v_cmp_ngt_f64_e64 s[2:3], |v[97:98]|, |v[99:100]|
                                        ; implicit-def: $vgpr101_vgpr102
	s_and_saveexec_b64 s[6:7], s[2:3]
	s_xor_b64 s[2:3], exec, s[6:7]
                                        ; implicit-def: $vgpr103_vgpr104
	s_cbranch_execz .LBB113_248
; %bb.247:
	v_div_scale_f64 v[101:102], s[6:7], v[99:100], v[99:100], v[97:98]
	v_rcp_f64_e32 v[103:104], v[101:102]
	v_fma_f64 v[105:106], -v[101:102], v[103:104], 1.0
	v_fma_f64 v[103:104], v[103:104], v[105:106], v[103:104]
	v_div_scale_f64 v[105:106], vcc, v[97:98], v[99:100], v[97:98]
	v_fma_f64 v[107:108], -v[101:102], v[103:104], 1.0
	v_fma_f64 v[103:104], v[103:104], v[107:108], v[103:104]
	v_mul_f64 v[107:108], v[105:106], v[103:104]
	v_fma_f64 v[101:102], -v[101:102], v[107:108], v[105:106]
	v_div_fmas_f64 v[101:102], v[101:102], v[103:104], v[107:108]
	v_div_fixup_f64 v[101:102], v[101:102], v[99:100], v[97:98]
	v_fma_f64 v[97:98], v[97:98], v[101:102], v[99:100]
	v_div_scale_f64 v[99:100], s[6:7], v[97:98], v[97:98], 1.0
	v_div_scale_f64 v[107:108], vcc, 1.0, v[97:98], 1.0
	v_rcp_f64_e32 v[103:104], v[99:100]
	v_fma_f64 v[105:106], -v[99:100], v[103:104], 1.0
	v_fma_f64 v[103:104], v[103:104], v[105:106], v[103:104]
	v_fma_f64 v[105:106], -v[99:100], v[103:104], 1.0
	v_fma_f64 v[103:104], v[103:104], v[105:106], v[103:104]
	v_mul_f64 v[105:106], v[107:108], v[103:104]
	v_fma_f64 v[99:100], -v[99:100], v[105:106], v[107:108]
	v_div_fmas_f64 v[99:100], v[99:100], v[103:104], v[105:106]
	v_div_fixup_f64 v[103:104], v[99:100], v[97:98], 1.0
                                        ; implicit-def: $vgpr97_vgpr98
	v_mul_f64 v[101:102], v[101:102], v[103:104]
	v_xor_b32_e32 v104, 0x80000000, v104
.LBB113_248:
	s_andn2_saveexec_b64 s[2:3], s[2:3]
	s_cbranch_execz .LBB113_250
; %bb.249:
	v_div_scale_f64 v[101:102], s[6:7], v[97:98], v[97:98], v[99:100]
	v_rcp_f64_e32 v[103:104], v[101:102]
	v_fma_f64 v[105:106], -v[101:102], v[103:104], 1.0
	v_fma_f64 v[103:104], v[103:104], v[105:106], v[103:104]
	v_div_scale_f64 v[105:106], vcc, v[99:100], v[97:98], v[99:100]
	v_fma_f64 v[107:108], -v[101:102], v[103:104], 1.0
	v_fma_f64 v[103:104], v[103:104], v[107:108], v[103:104]
	v_mul_f64 v[107:108], v[105:106], v[103:104]
	v_fma_f64 v[101:102], -v[101:102], v[107:108], v[105:106]
	v_div_fmas_f64 v[101:102], v[101:102], v[103:104], v[107:108]
	v_div_fixup_f64 v[103:104], v[101:102], v[97:98], v[99:100]
	v_fma_f64 v[97:98], v[99:100], v[103:104], v[97:98]
	v_div_scale_f64 v[99:100], s[6:7], v[97:98], v[97:98], 1.0
	v_div_scale_f64 v[107:108], vcc, 1.0, v[97:98], 1.0
	v_rcp_f64_e32 v[101:102], v[99:100]
	v_fma_f64 v[105:106], -v[99:100], v[101:102], 1.0
	v_fma_f64 v[101:102], v[101:102], v[105:106], v[101:102]
	v_fma_f64 v[105:106], -v[99:100], v[101:102], 1.0
	v_fma_f64 v[101:102], v[101:102], v[105:106], v[101:102]
	v_mul_f64 v[105:106], v[107:108], v[101:102]
	v_fma_f64 v[99:100], -v[99:100], v[105:106], v[107:108]
	v_div_fmas_f64 v[99:100], v[99:100], v[101:102], v[105:106]
	v_div_fixup_f64 v[101:102], v[99:100], v[97:98], 1.0
	v_mul_f64 v[103:104], v[103:104], -v[101:102]
.LBB113_250:
	s_or_b64 exec, exec, s[2:3]
	ds_write2_b64 v127, v[101:102], v[103:104] offset1:1
.LBB113_251:
	s_or_b64 exec, exec, s[4:5]
	s_waitcnt lgkmcnt(0)
	s_barrier
	ds_read2_b64 v[87:90], v127 offset1:1
	v_cmp_lt_u32_e32 vcc, 27, v0
	s_waitcnt lgkmcnt(0)
	buffer_store_dword v87, off, s[20:23], 0 offset:1600 ; 4-byte Folded Spill
	s_nop 0
	buffer_store_dword v88, off, s[20:23], 0 offset:1604 ; 4-byte Folded Spill
	buffer_store_dword v89, off, s[20:23], 0 offset:1608 ; 4-byte Folded Spill
	;; [unrolled: 1-line block ×3, first 2 shown]
	s_and_saveexec_b64 s[2:3], vcc
	s_cbranch_execz .LBB113_253
; %bb.252:
	buffer_load_dword v107, off, s[20:23], 0 offset:272 ; 4-byte Folded Reload
	buffer_load_dword v108, off, s[20:23], 0 offset:276 ; 4-byte Folded Reload
	;; [unrolled: 1-line block ×8, first 2 shown]
	s_waitcnt vmcnt(2)
	v_mul_f64 v[99:100], v[87:88], v[109:110]
	s_waitcnt vmcnt(0)
	v_mul_f64 v[97:98], v[89:90], v[109:110]
	v_fma_f64 v[109:110], v[89:90], v[107:108], v[99:100]
	ds_read2_b64 v[99:102], v125 offset0:56 offset1:57
	v_fma_f64 v[97:98], v[87:88], v[107:108], -v[97:98]
	buffer_load_dword v105, off, s[20:23], 0 offset:256 ; 4-byte Folded Reload
	buffer_load_dword v106, off, s[20:23], 0 offset:260 ; 4-byte Folded Reload
	buffer_load_dword v107, off, s[20:23], 0 offset:264 ; 4-byte Folded Reload
	buffer_load_dword v108, off, s[20:23], 0 offset:268 ; 4-byte Folded Reload
	s_waitcnt lgkmcnt(0)
	v_mul_f64 v[103:104], v[101:102], v[109:110]
	v_fma_f64 v[103:104], v[99:100], v[97:98], -v[103:104]
	v_mul_f64 v[99:100], v[99:100], v[109:110]
	v_fma_f64 v[99:100], v[101:102], v[97:98], v[99:100]
	s_waitcnt vmcnt(2)
	v_add_f64 v[105:106], v[105:106], -v[103:104]
	s_waitcnt vmcnt(0)
	v_add_f64 v[107:108], v[107:108], -v[99:100]
	buffer_store_dword v105, off, s[20:23], 0 offset:256 ; 4-byte Folded Spill
	s_nop 0
	buffer_store_dword v106, off, s[20:23], 0 offset:260 ; 4-byte Folded Spill
	buffer_store_dword v107, off, s[20:23], 0 offset:264 ; 4-byte Folded Spill
	buffer_store_dword v108, off, s[20:23], 0 offset:268 ; 4-byte Folded Spill
	ds_read2_b64 v[99:102], v125 offset0:58 offset1:59
	buffer_load_dword v105, off, s[20:23], 0 offset:240 ; 4-byte Folded Reload
	buffer_load_dword v106, off, s[20:23], 0 offset:244 ; 4-byte Folded Reload
	buffer_load_dword v107, off, s[20:23], 0 offset:248 ; 4-byte Folded Reload
	buffer_load_dword v108, off, s[20:23], 0 offset:252 ; 4-byte Folded Reload
	s_waitcnt lgkmcnt(0)
	v_mul_f64 v[103:104], v[101:102], v[109:110]
	v_fma_f64 v[103:104], v[99:100], v[97:98], -v[103:104]
	v_mul_f64 v[99:100], v[99:100], v[109:110]
	v_fma_f64 v[99:100], v[101:102], v[97:98], v[99:100]
	s_waitcnt vmcnt(2)
	v_add_f64 v[105:106], v[105:106], -v[103:104]
	s_waitcnt vmcnt(0)
	v_add_f64 v[107:108], v[107:108], -v[99:100]
	buffer_store_dword v105, off, s[20:23], 0 offset:240 ; 4-byte Folded Spill
	s_nop 0
	buffer_store_dword v106, off, s[20:23], 0 offset:244 ; 4-byte Folded Spill
	buffer_store_dword v107, off, s[20:23], 0 offset:248 ; 4-byte Folded Spill
	buffer_store_dword v108, off, s[20:23], 0 offset:252 ; 4-byte Folded Spill
	ds_read2_b64 v[99:102], v125 offset0:60 offset1:61
	;; [unrolled: 19-line block ×6, first 2 shown]
	v_mov_b32_e32 v108, v98
	v_mov_b32_e32 v107, v97
	s_waitcnt lgkmcnt(0)
	v_mul_f64 v[103:104], v[101:102], v[109:110]
	v_fma_f64 v[103:104], v[99:100], v[97:98], -v[103:104]
	v_mul_f64 v[99:100], v[99:100], v[109:110]
	v_add_f64 v[91:92], v[91:92], -v[103:104]
	v_fma_f64 v[99:100], v[101:102], v[97:98], v[99:100]
	v_add_f64 v[93:94], v[93:94], -v[99:100]
	ds_read2_b64 v[99:102], v125 offset0:70 offset1:71
	buffer_load_dword v77, off, s[20:23], 0 offset:160 ; 4-byte Folded Reload
	buffer_load_dword v78, off, s[20:23], 0 offset:164 ; 4-byte Folded Reload
	buffer_load_dword v79, off, s[20:23], 0 offset:168 ; 4-byte Folded Reload
	buffer_load_dword v80, off, s[20:23], 0 offset:172 ; 4-byte Folded Reload
	s_waitcnt lgkmcnt(0)
	v_mul_f64 v[103:104], v[101:102], v[109:110]
	v_fma_f64 v[103:104], v[99:100], v[97:98], -v[103:104]
	v_mul_f64 v[99:100], v[99:100], v[109:110]
	v_fma_f64 v[99:100], v[101:102], v[97:98], v[99:100]
	s_waitcnt vmcnt(2)
	v_add_f64 v[77:78], v[77:78], -v[103:104]
	s_waitcnt vmcnt(0)
	v_add_f64 v[79:80], v[79:80], -v[99:100]
	buffer_store_dword v77, off, s[20:23], 0 offset:160 ; 4-byte Folded Spill
	s_nop 0
	buffer_store_dword v78, off, s[20:23], 0 offset:164 ; 4-byte Folded Spill
	buffer_store_dword v79, off, s[20:23], 0 offset:168 ; 4-byte Folded Spill
	buffer_store_dword v80, off, s[20:23], 0 offset:172 ; 4-byte Folded Spill
	ds_read2_b64 v[99:102], v125 offset0:72 offset1:73
	buffer_load_dword v77, off, s[20:23], 0 offset:144 ; 4-byte Folded Reload
	buffer_load_dword v78, off, s[20:23], 0 offset:148 ; 4-byte Folded Reload
	buffer_load_dword v79, off, s[20:23], 0 offset:152 ; 4-byte Folded Reload
	buffer_load_dword v80, off, s[20:23], 0 offset:156 ; 4-byte Folded Reload
	s_waitcnt lgkmcnt(0)
	v_mul_f64 v[103:104], v[101:102], v[109:110]
	v_fma_f64 v[103:104], v[99:100], v[97:98], -v[103:104]
	v_mul_f64 v[99:100], v[99:100], v[109:110]
	v_fma_f64 v[99:100], v[101:102], v[97:98], v[99:100]
	s_waitcnt vmcnt(2)
	v_add_f64 v[77:78], v[77:78], -v[103:104]
	s_waitcnt vmcnt(0)
	v_add_f64 v[79:80], v[79:80], -v[99:100]
	buffer_store_dword v77, off, s[20:23], 0 offset:144 ; 4-byte Folded Spill
	s_nop 0
	buffer_store_dword v78, off, s[20:23], 0 offset:148 ; 4-byte Folded Spill
	buffer_store_dword v79, off, s[20:23], 0 offset:152 ; 4-byte Folded Spill
	buffer_store_dword v80, off, s[20:23], 0 offset:156 ; 4-byte Folded Spill
	;; [unrolled: 19-line block ×10, first 2 shown]
	ds_read2_b64 v[99:102], v125 offset0:90 offset1:91
	buffer_load_dword v41, off, s[20:23], 0 ; 4-byte Folded Reload
	buffer_load_dword v42, off, s[20:23], 0 offset:4 ; 4-byte Folded Reload
	buffer_load_dword v43, off, s[20:23], 0 offset:8 ; 4-byte Folded Reload
	;; [unrolled: 1-line block ×3, first 2 shown]
	s_waitcnt lgkmcnt(0)
	v_mul_f64 v[103:104], v[101:102], v[109:110]
	v_fma_f64 v[103:104], v[99:100], v[97:98], -v[103:104]
	v_mul_f64 v[99:100], v[99:100], v[109:110]
	v_fma_f64 v[99:100], v[101:102], v[97:98], v[99:100]
	s_waitcnt vmcnt(2)
	v_add_f64 v[41:42], v[41:42], -v[103:104]
	s_waitcnt vmcnt(0)
	v_add_f64 v[43:44], v[43:44], -v[99:100]
	buffer_store_dword v41, off, s[20:23], 0 ; 4-byte Folded Spill
	s_nop 0
	buffer_store_dword v42, off, s[20:23], 0 offset:4 ; 4-byte Folded Spill
	buffer_store_dword v43, off, s[20:23], 0 offset:8 ; 4-byte Folded Spill
	;; [unrolled: 1-line block ×3, first 2 shown]
	ds_read2_b64 v[99:102], v125 offset0:92 offset1:93
	s_waitcnt lgkmcnt(0)
	v_mul_f64 v[103:104], v[101:102], v[109:110]
	v_fma_f64 v[103:104], v[99:100], v[97:98], -v[103:104]
	v_mul_f64 v[99:100], v[99:100], v[109:110]
	v_add_f64 v[37:38], v[37:38], -v[103:104]
	v_fma_f64 v[99:100], v[101:102], v[97:98], v[99:100]
	v_add_f64 v[39:40], v[39:40], -v[99:100]
	ds_read2_b64 v[99:102], v125 offset0:94 offset1:95
	s_waitcnt lgkmcnt(0)
	v_mul_f64 v[103:104], v[101:102], v[109:110]
	v_fma_f64 v[103:104], v[99:100], v[97:98], -v[103:104]
	v_mul_f64 v[99:100], v[99:100], v[109:110]
	v_add_f64 v[33:34], v[33:34], -v[103:104]
	v_fma_f64 v[99:100], v[101:102], v[97:98], v[99:100]
	v_add_f64 v[35:36], v[35:36], -v[99:100]
	;; [unrolled: 8-line block ×10, first 2 shown]
	ds_read2_b64 v[99:102], v125 offset0:112 offset1:113
	s_waitcnt lgkmcnt(0)
	v_mul_f64 v[103:104], v[101:102], v[109:110]
	v_fma_f64 v[103:104], v[99:100], v[97:98], -v[103:104]
	v_mul_f64 v[99:100], v[99:100], v[109:110]
	buffer_store_dword v107, off, s[20:23], 0 offset:272 ; 4-byte Folded Spill
	s_nop 0
	buffer_store_dword v108, off, s[20:23], 0 offset:276 ; 4-byte Folded Spill
	buffer_store_dword v109, off, s[20:23], 0 offset:280 ; 4-byte Folded Spill
	;; [unrolled: 1-line block ×3, first 2 shown]
	v_add_f64 v[121:122], v[121:122], -v[103:104]
	v_fma_f64 v[99:100], v[101:102], v[97:98], v[99:100]
	v_add_f64 v[123:124], v[123:124], -v[99:100]
.LBB113_253:
	s_or_b64 exec, exec, s[2:3]
	v_cmp_eq_u32_e32 vcc, 28, v0
	s_waitcnt vmcnt(0)
	s_barrier
	s_and_saveexec_b64 s[4:5], vcc
	s_cbranch_execz .LBB113_260
; %bb.254:
	buffer_load_dword v95, off, s[20:23], 0 offset:256 ; 4-byte Folded Reload
	buffer_load_dword v96, off, s[20:23], 0 offset:260 ; 4-byte Folded Reload
	;; [unrolled: 1-line block ×4, first 2 shown]
	s_waitcnt vmcnt(0)
	ds_write2_b64 v127, v[95:96], v[97:98] offset1:1
	buffer_load_dword v95, off, s[20:23], 0 offset:240 ; 4-byte Folded Reload
	buffer_load_dword v96, off, s[20:23], 0 offset:244 ; 4-byte Folded Reload
	buffer_load_dword v97, off, s[20:23], 0 offset:248 ; 4-byte Folded Reload
	buffer_load_dword v98, off, s[20:23], 0 offset:252 ; 4-byte Folded Reload
	s_waitcnt vmcnt(0)
	ds_write2_b64 v125, v[95:96], v[97:98] offset0:58 offset1:59
	buffer_load_dword v95, off, s[20:23], 0 offset:224 ; 4-byte Folded Reload
	buffer_load_dword v96, off, s[20:23], 0 offset:228 ; 4-byte Folded Reload
	buffer_load_dword v97, off, s[20:23], 0 offset:232 ; 4-byte Folded Reload
	buffer_load_dword v98, off, s[20:23], 0 offset:236 ; 4-byte Folded Reload
	s_waitcnt vmcnt(0)
	ds_write2_b64 v125, v[95:96], v[97:98] offset0:60 offset1:61
	;; [unrolled: 6-line block ×5, first 2 shown]
	ds_write2_b64 v125, v[91:92], v[93:94] offset0:68 offset1:69
	buffer_load_dword v77, off, s[20:23], 0 offset:160 ; 4-byte Folded Reload
	buffer_load_dword v78, off, s[20:23], 0 offset:164 ; 4-byte Folded Reload
	buffer_load_dword v79, off, s[20:23], 0 offset:168 ; 4-byte Folded Reload
	buffer_load_dword v80, off, s[20:23], 0 offset:172 ; 4-byte Folded Reload
	s_waitcnt vmcnt(0)
	ds_write2_b64 v125, v[77:78], v[79:80] offset0:70 offset1:71
	buffer_load_dword v77, off, s[20:23], 0 offset:144 ; 4-byte Folded Reload
	buffer_load_dword v78, off, s[20:23], 0 offset:148 ; 4-byte Folded Reload
	buffer_load_dword v79, off, s[20:23], 0 offset:152 ; 4-byte Folded Reload
	buffer_load_dword v80, off, s[20:23], 0 offset:156 ; 4-byte Folded Reload
	s_waitcnt vmcnt(0)
	;; [unrolled: 6-line block ×10, first 2 shown]
	ds_write2_b64 v125, v[45:46], v[47:48] offset0:88 offset1:89
	buffer_load_dword v41, off, s[20:23], 0 ; 4-byte Folded Reload
	buffer_load_dword v42, off, s[20:23], 0 offset:4 ; 4-byte Folded Reload
	buffer_load_dword v43, off, s[20:23], 0 offset:8 ; 4-byte Folded Reload
	;; [unrolled: 1-line block ×3, first 2 shown]
	s_waitcnt vmcnt(0)
	ds_write2_b64 v125, v[41:42], v[43:44] offset0:90 offset1:91
	ds_write2_b64 v125, v[37:38], v[39:40] offset0:92 offset1:93
	;; [unrolled: 1-line block ×12, first 2 shown]
	ds_read2_b64 v[97:100], v127 offset1:1
	s_waitcnt lgkmcnt(0)
	v_cmp_neq_f64_e32 vcc, 0, v[97:98]
	v_cmp_neq_f64_e64 s[2:3], 0, v[99:100]
	s_or_b64 s[2:3], vcc, s[2:3]
	s_and_b64 exec, exec, s[2:3]
	s_cbranch_execz .LBB113_260
; %bb.255:
	v_cmp_ngt_f64_e64 s[2:3], |v[97:98]|, |v[99:100]|
                                        ; implicit-def: $vgpr101_vgpr102
	s_and_saveexec_b64 s[6:7], s[2:3]
	s_xor_b64 s[2:3], exec, s[6:7]
                                        ; implicit-def: $vgpr103_vgpr104
	s_cbranch_execz .LBB113_257
; %bb.256:
	v_div_scale_f64 v[101:102], s[6:7], v[99:100], v[99:100], v[97:98]
	v_rcp_f64_e32 v[103:104], v[101:102]
	v_fma_f64 v[105:106], -v[101:102], v[103:104], 1.0
	v_fma_f64 v[103:104], v[103:104], v[105:106], v[103:104]
	v_div_scale_f64 v[105:106], vcc, v[97:98], v[99:100], v[97:98]
	v_fma_f64 v[107:108], -v[101:102], v[103:104], 1.0
	v_fma_f64 v[103:104], v[103:104], v[107:108], v[103:104]
	v_mul_f64 v[107:108], v[105:106], v[103:104]
	v_fma_f64 v[101:102], -v[101:102], v[107:108], v[105:106]
	v_div_fmas_f64 v[101:102], v[101:102], v[103:104], v[107:108]
	v_div_fixup_f64 v[101:102], v[101:102], v[99:100], v[97:98]
	v_fma_f64 v[97:98], v[97:98], v[101:102], v[99:100]
	v_div_scale_f64 v[99:100], s[6:7], v[97:98], v[97:98], 1.0
	v_div_scale_f64 v[107:108], vcc, 1.0, v[97:98], 1.0
	v_rcp_f64_e32 v[103:104], v[99:100]
	v_fma_f64 v[105:106], -v[99:100], v[103:104], 1.0
	v_fma_f64 v[103:104], v[103:104], v[105:106], v[103:104]
	v_fma_f64 v[105:106], -v[99:100], v[103:104], 1.0
	v_fma_f64 v[103:104], v[103:104], v[105:106], v[103:104]
	v_mul_f64 v[105:106], v[107:108], v[103:104]
	v_fma_f64 v[99:100], -v[99:100], v[105:106], v[107:108]
	v_div_fmas_f64 v[99:100], v[99:100], v[103:104], v[105:106]
	v_div_fixup_f64 v[103:104], v[99:100], v[97:98], 1.0
                                        ; implicit-def: $vgpr97_vgpr98
	v_mul_f64 v[101:102], v[101:102], v[103:104]
	v_xor_b32_e32 v104, 0x80000000, v104
.LBB113_257:
	s_andn2_saveexec_b64 s[2:3], s[2:3]
	s_cbranch_execz .LBB113_259
; %bb.258:
	v_div_scale_f64 v[101:102], s[6:7], v[97:98], v[97:98], v[99:100]
	v_rcp_f64_e32 v[103:104], v[101:102]
	v_fma_f64 v[105:106], -v[101:102], v[103:104], 1.0
	v_fma_f64 v[103:104], v[103:104], v[105:106], v[103:104]
	v_div_scale_f64 v[105:106], vcc, v[99:100], v[97:98], v[99:100]
	v_fma_f64 v[107:108], -v[101:102], v[103:104], 1.0
	v_fma_f64 v[103:104], v[103:104], v[107:108], v[103:104]
	v_mul_f64 v[107:108], v[105:106], v[103:104]
	v_fma_f64 v[101:102], -v[101:102], v[107:108], v[105:106]
	v_div_fmas_f64 v[101:102], v[101:102], v[103:104], v[107:108]
	v_div_fixup_f64 v[103:104], v[101:102], v[97:98], v[99:100]
	v_fma_f64 v[97:98], v[99:100], v[103:104], v[97:98]
	v_div_scale_f64 v[99:100], s[6:7], v[97:98], v[97:98], 1.0
	v_div_scale_f64 v[107:108], vcc, 1.0, v[97:98], 1.0
	v_rcp_f64_e32 v[101:102], v[99:100]
	v_fma_f64 v[105:106], -v[99:100], v[101:102], 1.0
	v_fma_f64 v[101:102], v[101:102], v[105:106], v[101:102]
	v_fma_f64 v[105:106], -v[99:100], v[101:102], 1.0
	v_fma_f64 v[101:102], v[101:102], v[105:106], v[101:102]
	v_mul_f64 v[105:106], v[107:108], v[101:102]
	v_fma_f64 v[99:100], -v[99:100], v[105:106], v[107:108]
	v_div_fmas_f64 v[99:100], v[99:100], v[101:102], v[105:106]
	v_div_fixup_f64 v[101:102], v[99:100], v[97:98], 1.0
	v_mul_f64 v[103:104], v[103:104], -v[101:102]
.LBB113_259:
	s_or_b64 exec, exec, s[2:3]
	ds_write2_b64 v127, v[101:102], v[103:104] offset1:1
.LBB113_260:
	s_or_b64 exec, exec, s[4:5]
	s_waitcnt lgkmcnt(0)
	s_barrier
	ds_read2_b64 v[87:90], v127 offset1:1
	v_cmp_lt_u32_e32 vcc, 28, v0
	s_waitcnt lgkmcnt(0)
	buffer_store_dword v87, off, s[20:23], 0 offset:1616 ; 4-byte Folded Spill
	s_nop 0
	buffer_store_dword v88, off, s[20:23], 0 offset:1620 ; 4-byte Folded Spill
	buffer_store_dword v89, off, s[20:23], 0 offset:1624 ; 4-byte Folded Spill
	;; [unrolled: 1-line block ×3, first 2 shown]
	s_and_saveexec_b64 s[2:3], vcc
	s_cbranch_execz .LBB113_262
; %bb.261:
	buffer_load_dword v107, off, s[20:23], 0 offset:256 ; 4-byte Folded Reload
	buffer_load_dword v108, off, s[20:23], 0 offset:260 ; 4-byte Folded Reload
	;; [unrolled: 1-line block ×8, first 2 shown]
	s_waitcnt vmcnt(2)
	v_mul_f64 v[99:100], v[87:88], v[109:110]
	s_waitcnt vmcnt(0)
	v_mul_f64 v[97:98], v[89:90], v[109:110]
	v_fma_f64 v[109:110], v[89:90], v[107:108], v[99:100]
	ds_read2_b64 v[99:102], v125 offset0:58 offset1:59
	v_fma_f64 v[97:98], v[87:88], v[107:108], -v[97:98]
	buffer_load_dword v105, off, s[20:23], 0 offset:240 ; 4-byte Folded Reload
	buffer_load_dword v106, off, s[20:23], 0 offset:244 ; 4-byte Folded Reload
	buffer_load_dword v107, off, s[20:23], 0 offset:248 ; 4-byte Folded Reload
	buffer_load_dword v108, off, s[20:23], 0 offset:252 ; 4-byte Folded Reload
	s_waitcnt lgkmcnt(0)
	v_mul_f64 v[103:104], v[101:102], v[109:110]
	v_fma_f64 v[103:104], v[99:100], v[97:98], -v[103:104]
	v_mul_f64 v[99:100], v[99:100], v[109:110]
	v_fma_f64 v[99:100], v[101:102], v[97:98], v[99:100]
	s_waitcnt vmcnt(2)
	v_add_f64 v[105:106], v[105:106], -v[103:104]
	s_waitcnt vmcnt(0)
	v_add_f64 v[107:108], v[107:108], -v[99:100]
	buffer_store_dword v105, off, s[20:23], 0 offset:240 ; 4-byte Folded Spill
	s_nop 0
	buffer_store_dword v106, off, s[20:23], 0 offset:244 ; 4-byte Folded Spill
	buffer_store_dword v107, off, s[20:23], 0 offset:248 ; 4-byte Folded Spill
	buffer_store_dword v108, off, s[20:23], 0 offset:252 ; 4-byte Folded Spill
	ds_read2_b64 v[99:102], v125 offset0:60 offset1:61
	buffer_load_dword v105, off, s[20:23], 0 offset:224 ; 4-byte Folded Reload
	buffer_load_dword v106, off, s[20:23], 0 offset:228 ; 4-byte Folded Reload
	buffer_load_dword v107, off, s[20:23], 0 offset:232 ; 4-byte Folded Reload
	buffer_load_dword v108, off, s[20:23], 0 offset:236 ; 4-byte Folded Reload
	s_waitcnt lgkmcnt(0)
	v_mul_f64 v[103:104], v[101:102], v[109:110]
	v_fma_f64 v[103:104], v[99:100], v[97:98], -v[103:104]
	v_mul_f64 v[99:100], v[99:100], v[109:110]
	v_fma_f64 v[99:100], v[101:102], v[97:98], v[99:100]
	s_waitcnt vmcnt(2)
	v_add_f64 v[105:106], v[105:106], -v[103:104]
	s_waitcnt vmcnt(0)
	v_add_f64 v[107:108], v[107:108], -v[99:100]
	buffer_store_dword v105, off, s[20:23], 0 offset:224 ; 4-byte Folded Spill
	s_nop 0
	buffer_store_dword v106, off, s[20:23], 0 offset:228 ; 4-byte Folded Spill
	buffer_store_dword v107, off, s[20:23], 0 offset:232 ; 4-byte Folded Spill
	buffer_store_dword v108, off, s[20:23], 0 offset:236 ; 4-byte Folded Spill
	ds_read2_b64 v[99:102], v125 offset0:62 offset1:63
	;; [unrolled: 19-line block ×5, first 2 shown]
	v_mov_b32_e32 v108, v98
	v_mov_b32_e32 v107, v97
	s_waitcnt lgkmcnt(0)
	v_mul_f64 v[103:104], v[101:102], v[109:110]
	v_fma_f64 v[103:104], v[99:100], v[97:98], -v[103:104]
	v_mul_f64 v[99:100], v[99:100], v[109:110]
	v_add_f64 v[91:92], v[91:92], -v[103:104]
	v_fma_f64 v[99:100], v[101:102], v[97:98], v[99:100]
	v_add_f64 v[93:94], v[93:94], -v[99:100]
	ds_read2_b64 v[99:102], v125 offset0:70 offset1:71
	buffer_load_dword v77, off, s[20:23], 0 offset:160 ; 4-byte Folded Reload
	buffer_load_dword v78, off, s[20:23], 0 offset:164 ; 4-byte Folded Reload
	buffer_load_dword v79, off, s[20:23], 0 offset:168 ; 4-byte Folded Reload
	buffer_load_dword v80, off, s[20:23], 0 offset:172 ; 4-byte Folded Reload
	s_waitcnt lgkmcnt(0)
	v_mul_f64 v[103:104], v[101:102], v[109:110]
	v_fma_f64 v[103:104], v[99:100], v[97:98], -v[103:104]
	v_mul_f64 v[99:100], v[99:100], v[109:110]
	v_fma_f64 v[99:100], v[101:102], v[97:98], v[99:100]
	s_waitcnt vmcnt(2)
	v_add_f64 v[77:78], v[77:78], -v[103:104]
	s_waitcnt vmcnt(0)
	v_add_f64 v[79:80], v[79:80], -v[99:100]
	buffer_store_dword v77, off, s[20:23], 0 offset:160 ; 4-byte Folded Spill
	s_nop 0
	buffer_store_dword v78, off, s[20:23], 0 offset:164 ; 4-byte Folded Spill
	buffer_store_dword v79, off, s[20:23], 0 offset:168 ; 4-byte Folded Spill
	buffer_store_dword v80, off, s[20:23], 0 offset:172 ; 4-byte Folded Spill
	ds_read2_b64 v[99:102], v125 offset0:72 offset1:73
	buffer_load_dword v77, off, s[20:23], 0 offset:144 ; 4-byte Folded Reload
	buffer_load_dword v78, off, s[20:23], 0 offset:148 ; 4-byte Folded Reload
	buffer_load_dword v79, off, s[20:23], 0 offset:152 ; 4-byte Folded Reload
	buffer_load_dword v80, off, s[20:23], 0 offset:156 ; 4-byte Folded Reload
	s_waitcnt lgkmcnt(0)
	v_mul_f64 v[103:104], v[101:102], v[109:110]
	v_fma_f64 v[103:104], v[99:100], v[97:98], -v[103:104]
	v_mul_f64 v[99:100], v[99:100], v[109:110]
	v_fma_f64 v[99:100], v[101:102], v[97:98], v[99:100]
	s_waitcnt vmcnt(2)
	v_add_f64 v[77:78], v[77:78], -v[103:104]
	s_waitcnt vmcnt(0)
	v_add_f64 v[79:80], v[79:80], -v[99:100]
	buffer_store_dword v77, off, s[20:23], 0 offset:144 ; 4-byte Folded Spill
	s_nop 0
	buffer_store_dword v78, off, s[20:23], 0 offset:148 ; 4-byte Folded Spill
	buffer_store_dword v79, off, s[20:23], 0 offset:152 ; 4-byte Folded Spill
	buffer_store_dword v80, off, s[20:23], 0 offset:156 ; 4-byte Folded Spill
	;; [unrolled: 19-line block ×10, first 2 shown]
	ds_read2_b64 v[99:102], v125 offset0:90 offset1:91
	buffer_load_dword v41, off, s[20:23], 0 ; 4-byte Folded Reload
	buffer_load_dword v42, off, s[20:23], 0 offset:4 ; 4-byte Folded Reload
	buffer_load_dword v43, off, s[20:23], 0 offset:8 ; 4-byte Folded Reload
	;; [unrolled: 1-line block ×3, first 2 shown]
	s_waitcnt lgkmcnt(0)
	v_mul_f64 v[103:104], v[101:102], v[109:110]
	v_fma_f64 v[103:104], v[99:100], v[97:98], -v[103:104]
	v_mul_f64 v[99:100], v[99:100], v[109:110]
	v_fma_f64 v[99:100], v[101:102], v[97:98], v[99:100]
	s_waitcnt vmcnt(2)
	v_add_f64 v[41:42], v[41:42], -v[103:104]
	s_waitcnt vmcnt(0)
	v_add_f64 v[43:44], v[43:44], -v[99:100]
	buffer_store_dword v41, off, s[20:23], 0 ; 4-byte Folded Spill
	s_nop 0
	buffer_store_dword v42, off, s[20:23], 0 offset:4 ; 4-byte Folded Spill
	buffer_store_dword v43, off, s[20:23], 0 offset:8 ; 4-byte Folded Spill
	;; [unrolled: 1-line block ×3, first 2 shown]
	ds_read2_b64 v[99:102], v125 offset0:92 offset1:93
	s_waitcnt lgkmcnt(0)
	v_mul_f64 v[103:104], v[101:102], v[109:110]
	v_fma_f64 v[103:104], v[99:100], v[97:98], -v[103:104]
	v_mul_f64 v[99:100], v[99:100], v[109:110]
	v_add_f64 v[37:38], v[37:38], -v[103:104]
	v_fma_f64 v[99:100], v[101:102], v[97:98], v[99:100]
	v_add_f64 v[39:40], v[39:40], -v[99:100]
	ds_read2_b64 v[99:102], v125 offset0:94 offset1:95
	s_waitcnt lgkmcnt(0)
	v_mul_f64 v[103:104], v[101:102], v[109:110]
	v_fma_f64 v[103:104], v[99:100], v[97:98], -v[103:104]
	v_mul_f64 v[99:100], v[99:100], v[109:110]
	v_add_f64 v[33:34], v[33:34], -v[103:104]
	v_fma_f64 v[99:100], v[101:102], v[97:98], v[99:100]
	v_add_f64 v[35:36], v[35:36], -v[99:100]
	;; [unrolled: 8-line block ×10, first 2 shown]
	ds_read2_b64 v[99:102], v125 offset0:112 offset1:113
	s_waitcnt lgkmcnt(0)
	v_mul_f64 v[103:104], v[101:102], v[109:110]
	v_fma_f64 v[103:104], v[99:100], v[97:98], -v[103:104]
	v_mul_f64 v[99:100], v[99:100], v[109:110]
	buffer_store_dword v107, off, s[20:23], 0 offset:256 ; 4-byte Folded Spill
	s_nop 0
	buffer_store_dword v108, off, s[20:23], 0 offset:260 ; 4-byte Folded Spill
	buffer_store_dword v109, off, s[20:23], 0 offset:264 ; 4-byte Folded Spill
	;; [unrolled: 1-line block ×3, first 2 shown]
	v_add_f64 v[121:122], v[121:122], -v[103:104]
	v_fma_f64 v[99:100], v[101:102], v[97:98], v[99:100]
	v_add_f64 v[123:124], v[123:124], -v[99:100]
.LBB113_262:
	s_or_b64 exec, exec, s[2:3]
	v_cmp_eq_u32_e32 vcc, 29, v0
	s_waitcnt vmcnt(0)
	s_barrier
	s_and_saveexec_b64 s[4:5], vcc
	s_cbranch_execz .LBB113_269
; %bb.263:
	buffer_load_dword v95, off, s[20:23], 0 offset:240 ; 4-byte Folded Reload
	buffer_load_dword v96, off, s[20:23], 0 offset:244 ; 4-byte Folded Reload
	buffer_load_dword v97, off, s[20:23], 0 offset:248 ; 4-byte Folded Reload
	buffer_load_dword v98, off, s[20:23], 0 offset:252 ; 4-byte Folded Reload
	s_waitcnt vmcnt(0)
	ds_write2_b64 v127, v[95:96], v[97:98] offset1:1
	buffer_load_dword v95, off, s[20:23], 0 offset:224 ; 4-byte Folded Reload
	buffer_load_dword v96, off, s[20:23], 0 offset:228 ; 4-byte Folded Reload
	buffer_load_dword v97, off, s[20:23], 0 offset:232 ; 4-byte Folded Reload
	buffer_load_dword v98, off, s[20:23], 0 offset:236 ; 4-byte Folded Reload
	s_waitcnt vmcnt(0)
	ds_write2_b64 v125, v[95:96], v[97:98] offset0:60 offset1:61
	buffer_load_dword v95, off, s[20:23], 0 offset:208 ; 4-byte Folded Reload
	buffer_load_dword v96, off, s[20:23], 0 offset:212 ; 4-byte Folded Reload
	buffer_load_dword v97, off, s[20:23], 0 offset:216 ; 4-byte Folded Reload
	buffer_load_dword v98, off, s[20:23], 0 offset:220 ; 4-byte Folded Reload
	s_waitcnt vmcnt(0)
	ds_write2_b64 v125, v[95:96], v[97:98] offset0:62 offset1:63
	;; [unrolled: 6-line block ×4, first 2 shown]
	ds_write2_b64 v125, v[91:92], v[93:94] offset0:68 offset1:69
	buffer_load_dword v77, off, s[20:23], 0 offset:160 ; 4-byte Folded Reload
	buffer_load_dword v78, off, s[20:23], 0 offset:164 ; 4-byte Folded Reload
	buffer_load_dword v79, off, s[20:23], 0 offset:168 ; 4-byte Folded Reload
	buffer_load_dword v80, off, s[20:23], 0 offset:172 ; 4-byte Folded Reload
	s_waitcnt vmcnt(0)
	ds_write2_b64 v125, v[77:78], v[79:80] offset0:70 offset1:71
	buffer_load_dword v77, off, s[20:23], 0 offset:144 ; 4-byte Folded Reload
	buffer_load_dword v78, off, s[20:23], 0 offset:148 ; 4-byte Folded Reload
	buffer_load_dword v79, off, s[20:23], 0 offset:152 ; 4-byte Folded Reload
	buffer_load_dword v80, off, s[20:23], 0 offset:156 ; 4-byte Folded Reload
	s_waitcnt vmcnt(0)
	;; [unrolled: 6-line block ×10, first 2 shown]
	ds_write2_b64 v125, v[45:46], v[47:48] offset0:88 offset1:89
	buffer_load_dword v41, off, s[20:23], 0 ; 4-byte Folded Reload
	buffer_load_dword v42, off, s[20:23], 0 offset:4 ; 4-byte Folded Reload
	buffer_load_dword v43, off, s[20:23], 0 offset:8 ; 4-byte Folded Reload
	;; [unrolled: 1-line block ×3, first 2 shown]
	s_waitcnt vmcnt(0)
	ds_write2_b64 v125, v[41:42], v[43:44] offset0:90 offset1:91
	ds_write2_b64 v125, v[37:38], v[39:40] offset0:92 offset1:93
	;; [unrolled: 1-line block ×12, first 2 shown]
	ds_read2_b64 v[97:100], v127 offset1:1
	s_waitcnt lgkmcnt(0)
	v_cmp_neq_f64_e32 vcc, 0, v[97:98]
	v_cmp_neq_f64_e64 s[2:3], 0, v[99:100]
	s_or_b64 s[2:3], vcc, s[2:3]
	s_and_b64 exec, exec, s[2:3]
	s_cbranch_execz .LBB113_269
; %bb.264:
	v_cmp_ngt_f64_e64 s[2:3], |v[97:98]|, |v[99:100]|
                                        ; implicit-def: $vgpr101_vgpr102
	s_and_saveexec_b64 s[6:7], s[2:3]
	s_xor_b64 s[2:3], exec, s[6:7]
                                        ; implicit-def: $vgpr103_vgpr104
	s_cbranch_execz .LBB113_266
; %bb.265:
	v_div_scale_f64 v[101:102], s[6:7], v[99:100], v[99:100], v[97:98]
	v_rcp_f64_e32 v[103:104], v[101:102]
	v_fma_f64 v[105:106], -v[101:102], v[103:104], 1.0
	v_fma_f64 v[103:104], v[103:104], v[105:106], v[103:104]
	v_div_scale_f64 v[105:106], vcc, v[97:98], v[99:100], v[97:98]
	v_fma_f64 v[107:108], -v[101:102], v[103:104], 1.0
	v_fma_f64 v[103:104], v[103:104], v[107:108], v[103:104]
	v_mul_f64 v[107:108], v[105:106], v[103:104]
	v_fma_f64 v[101:102], -v[101:102], v[107:108], v[105:106]
	v_div_fmas_f64 v[101:102], v[101:102], v[103:104], v[107:108]
	v_div_fixup_f64 v[101:102], v[101:102], v[99:100], v[97:98]
	v_fma_f64 v[97:98], v[97:98], v[101:102], v[99:100]
	v_div_scale_f64 v[99:100], s[6:7], v[97:98], v[97:98], 1.0
	v_div_scale_f64 v[107:108], vcc, 1.0, v[97:98], 1.0
	v_rcp_f64_e32 v[103:104], v[99:100]
	v_fma_f64 v[105:106], -v[99:100], v[103:104], 1.0
	v_fma_f64 v[103:104], v[103:104], v[105:106], v[103:104]
	v_fma_f64 v[105:106], -v[99:100], v[103:104], 1.0
	v_fma_f64 v[103:104], v[103:104], v[105:106], v[103:104]
	v_mul_f64 v[105:106], v[107:108], v[103:104]
	v_fma_f64 v[99:100], -v[99:100], v[105:106], v[107:108]
	v_div_fmas_f64 v[99:100], v[99:100], v[103:104], v[105:106]
	v_div_fixup_f64 v[103:104], v[99:100], v[97:98], 1.0
                                        ; implicit-def: $vgpr97_vgpr98
	v_mul_f64 v[101:102], v[101:102], v[103:104]
	v_xor_b32_e32 v104, 0x80000000, v104
.LBB113_266:
	s_andn2_saveexec_b64 s[2:3], s[2:3]
	s_cbranch_execz .LBB113_268
; %bb.267:
	v_div_scale_f64 v[101:102], s[6:7], v[97:98], v[97:98], v[99:100]
	v_rcp_f64_e32 v[103:104], v[101:102]
	v_fma_f64 v[105:106], -v[101:102], v[103:104], 1.0
	v_fma_f64 v[103:104], v[103:104], v[105:106], v[103:104]
	v_div_scale_f64 v[105:106], vcc, v[99:100], v[97:98], v[99:100]
	v_fma_f64 v[107:108], -v[101:102], v[103:104], 1.0
	v_fma_f64 v[103:104], v[103:104], v[107:108], v[103:104]
	v_mul_f64 v[107:108], v[105:106], v[103:104]
	v_fma_f64 v[101:102], -v[101:102], v[107:108], v[105:106]
	v_div_fmas_f64 v[101:102], v[101:102], v[103:104], v[107:108]
	v_div_fixup_f64 v[103:104], v[101:102], v[97:98], v[99:100]
	v_fma_f64 v[97:98], v[99:100], v[103:104], v[97:98]
	v_div_scale_f64 v[99:100], s[6:7], v[97:98], v[97:98], 1.0
	v_div_scale_f64 v[107:108], vcc, 1.0, v[97:98], 1.0
	v_rcp_f64_e32 v[101:102], v[99:100]
	v_fma_f64 v[105:106], -v[99:100], v[101:102], 1.0
	v_fma_f64 v[101:102], v[101:102], v[105:106], v[101:102]
	v_fma_f64 v[105:106], -v[99:100], v[101:102], 1.0
	v_fma_f64 v[101:102], v[101:102], v[105:106], v[101:102]
	v_mul_f64 v[105:106], v[107:108], v[101:102]
	v_fma_f64 v[99:100], -v[99:100], v[105:106], v[107:108]
	v_div_fmas_f64 v[99:100], v[99:100], v[101:102], v[105:106]
	v_div_fixup_f64 v[101:102], v[99:100], v[97:98], 1.0
	v_mul_f64 v[103:104], v[103:104], -v[101:102]
.LBB113_268:
	s_or_b64 exec, exec, s[2:3]
	ds_write2_b64 v127, v[101:102], v[103:104] offset1:1
.LBB113_269:
	s_or_b64 exec, exec, s[4:5]
	s_waitcnt lgkmcnt(0)
	s_barrier
	ds_read2_b64 v[87:90], v127 offset1:1
	v_cmp_lt_u32_e32 vcc, 29, v0
	s_waitcnt lgkmcnt(0)
	buffer_store_dword v87, off, s[20:23], 0 offset:1632 ; 4-byte Folded Spill
	s_nop 0
	buffer_store_dword v88, off, s[20:23], 0 offset:1636 ; 4-byte Folded Spill
	buffer_store_dword v89, off, s[20:23], 0 offset:1640 ; 4-byte Folded Spill
	;; [unrolled: 1-line block ×3, first 2 shown]
	s_and_saveexec_b64 s[2:3], vcc
	s_cbranch_execz .LBB113_271
; %bb.270:
	buffer_load_dword v107, off, s[20:23], 0 offset:240 ; 4-byte Folded Reload
	buffer_load_dword v108, off, s[20:23], 0 offset:244 ; 4-byte Folded Reload
	buffer_load_dword v109, off, s[20:23], 0 offset:248 ; 4-byte Folded Reload
	buffer_load_dword v110, off, s[20:23], 0 offset:252 ; 4-byte Folded Reload
	buffer_load_dword v87, off, s[20:23], 0 offset:1632 ; 4-byte Folded Reload
	buffer_load_dword v88, off, s[20:23], 0 offset:1636 ; 4-byte Folded Reload
	buffer_load_dword v89, off, s[20:23], 0 offset:1640 ; 4-byte Folded Reload
	buffer_load_dword v90, off, s[20:23], 0 offset:1644 ; 4-byte Folded Reload
	s_waitcnt vmcnt(2)
	v_mul_f64 v[99:100], v[87:88], v[109:110]
	s_waitcnt vmcnt(0)
	v_mul_f64 v[97:98], v[89:90], v[109:110]
	v_fma_f64 v[109:110], v[89:90], v[107:108], v[99:100]
	ds_read2_b64 v[99:102], v125 offset0:60 offset1:61
	v_fma_f64 v[97:98], v[87:88], v[107:108], -v[97:98]
	buffer_load_dword v105, off, s[20:23], 0 offset:224 ; 4-byte Folded Reload
	buffer_load_dword v106, off, s[20:23], 0 offset:228 ; 4-byte Folded Reload
	buffer_load_dword v107, off, s[20:23], 0 offset:232 ; 4-byte Folded Reload
	buffer_load_dword v108, off, s[20:23], 0 offset:236 ; 4-byte Folded Reload
	s_waitcnt lgkmcnt(0)
	v_mul_f64 v[103:104], v[101:102], v[109:110]
	v_fma_f64 v[103:104], v[99:100], v[97:98], -v[103:104]
	v_mul_f64 v[99:100], v[99:100], v[109:110]
	v_fma_f64 v[99:100], v[101:102], v[97:98], v[99:100]
	s_waitcnt vmcnt(2)
	v_add_f64 v[105:106], v[105:106], -v[103:104]
	s_waitcnt vmcnt(0)
	v_add_f64 v[107:108], v[107:108], -v[99:100]
	buffer_store_dword v105, off, s[20:23], 0 offset:224 ; 4-byte Folded Spill
	s_nop 0
	buffer_store_dword v106, off, s[20:23], 0 offset:228 ; 4-byte Folded Spill
	buffer_store_dword v107, off, s[20:23], 0 offset:232 ; 4-byte Folded Spill
	buffer_store_dword v108, off, s[20:23], 0 offset:236 ; 4-byte Folded Spill
	ds_read2_b64 v[99:102], v125 offset0:62 offset1:63
	buffer_load_dword v105, off, s[20:23], 0 offset:208 ; 4-byte Folded Reload
	buffer_load_dword v106, off, s[20:23], 0 offset:212 ; 4-byte Folded Reload
	buffer_load_dword v107, off, s[20:23], 0 offset:216 ; 4-byte Folded Reload
	buffer_load_dword v108, off, s[20:23], 0 offset:220 ; 4-byte Folded Reload
	s_waitcnt lgkmcnt(0)
	v_mul_f64 v[103:104], v[101:102], v[109:110]
	v_fma_f64 v[103:104], v[99:100], v[97:98], -v[103:104]
	v_mul_f64 v[99:100], v[99:100], v[109:110]
	v_fma_f64 v[99:100], v[101:102], v[97:98], v[99:100]
	s_waitcnt vmcnt(2)
	v_add_f64 v[105:106], v[105:106], -v[103:104]
	s_waitcnt vmcnt(0)
	v_add_f64 v[107:108], v[107:108], -v[99:100]
	buffer_store_dword v105, off, s[20:23], 0 offset:208 ; 4-byte Folded Spill
	s_nop 0
	buffer_store_dword v106, off, s[20:23], 0 offset:212 ; 4-byte Folded Spill
	buffer_store_dword v107, off, s[20:23], 0 offset:216 ; 4-byte Folded Spill
	buffer_store_dword v108, off, s[20:23], 0 offset:220 ; 4-byte Folded Spill
	ds_read2_b64 v[99:102], v125 offset0:64 offset1:65
	;; [unrolled: 19-line block ×4, first 2 shown]
	v_mov_b32_e32 v108, v98
	v_mov_b32_e32 v107, v97
	s_waitcnt lgkmcnt(0)
	v_mul_f64 v[103:104], v[101:102], v[109:110]
	v_fma_f64 v[103:104], v[99:100], v[97:98], -v[103:104]
	v_mul_f64 v[99:100], v[99:100], v[109:110]
	v_add_f64 v[91:92], v[91:92], -v[103:104]
	v_fma_f64 v[99:100], v[101:102], v[97:98], v[99:100]
	v_add_f64 v[93:94], v[93:94], -v[99:100]
	ds_read2_b64 v[99:102], v125 offset0:70 offset1:71
	buffer_load_dword v77, off, s[20:23], 0 offset:160 ; 4-byte Folded Reload
	buffer_load_dword v78, off, s[20:23], 0 offset:164 ; 4-byte Folded Reload
	buffer_load_dword v79, off, s[20:23], 0 offset:168 ; 4-byte Folded Reload
	buffer_load_dword v80, off, s[20:23], 0 offset:172 ; 4-byte Folded Reload
	s_waitcnt lgkmcnt(0)
	v_mul_f64 v[103:104], v[101:102], v[109:110]
	v_fma_f64 v[103:104], v[99:100], v[97:98], -v[103:104]
	v_mul_f64 v[99:100], v[99:100], v[109:110]
	v_fma_f64 v[99:100], v[101:102], v[97:98], v[99:100]
	s_waitcnt vmcnt(2)
	v_add_f64 v[77:78], v[77:78], -v[103:104]
	s_waitcnt vmcnt(0)
	v_add_f64 v[79:80], v[79:80], -v[99:100]
	buffer_store_dword v77, off, s[20:23], 0 offset:160 ; 4-byte Folded Spill
	s_nop 0
	buffer_store_dword v78, off, s[20:23], 0 offset:164 ; 4-byte Folded Spill
	buffer_store_dword v79, off, s[20:23], 0 offset:168 ; 4-byte Folded Spill
	buffer_store_dword v80, off, s[20:23], 0 offset:172 ; 4-byte Folded Spill
	ds_read2_b64 v[99:102], v125 offset0:72 offset1:73
	buffer_load_dword v77, off, s[20:23], 0 offset:144 ; 4-byte Folded Reload
	buffer_load_dword v78, off, s[20:23], 0 offset:148 ; 4-byte Folded Reload
	buffer_load_dword v79, off, s[20:23], 0 offset:152 ; 4-byte Folded Reload
	buffer_load_dword v80, off, s[20:23], 0 offset:156 ; 4-byte Folded Reload
	s_waitcnt lgkmcnt(0)
	v_mul_f64 v[103:104], v[101:102], v[109:110]
	v_fma_f64 v[103:104], v[99:100], v[97:98], -v[103:104]
	v_mul_f64 v[99:100], v[99:100], v[109:110]
	v_fma_f64 v[99:100], v[101:102], v[97:98], v[99:100]
	s_waitcnt vmcnt(2)
	v_add_f64 v[77:78], v[77:78], -v[103:104]
	s_waitcnt vmcnt(0)
	v_add_f64 v[79:80], v[79:80], -v[99:100]
	buffer_store_dword v77, off, s[20:23], 0 offset:144 ; 4-byte Folded Spill
	s_nop 0
	buffer_store_dword v78, off, s[20:23], 0 offset:148 ; 4-byte Folded Spill
	buffer_store_dword v79, off, s[20:23], 0 offset:152 ; 4-byte Folded Spill
	buffer_store_dword v80, off, s[20:23], 0 offset:156 ; 4-byte Folded Spill
	;; [unrolled: 19-line block ×10, first 2 shown]
	ds_read2_b64 v[99:102], v125 offset0:90 offset1:91
	buffer_load_dword v41, off, s[20:23], 0 ; 4-byte Folded Reload
	buffer_load_dword v42, off, s[20:23], 0 offset:4 ; 4-byte Folded Reload
	buffer_load_dword v43, off, s[20:23], 0 offset:8 ; 4-byte Folded Reload
	;; [unrolled: 1-line block ×3, first 2 shown]
	s_waitcnt lgkmcnt(0)
	v_mul_f64 v[103:104], v[101:102], v[109:110]
	v_fma_f64 v[103:104], v[99:100], v[97:98], -v[103:104]
	v_mul_f64 v[99:100], v[99:100], v[109:110]
	v_fma_f64 v[99:100], v[101:102], v[97:98], v[99:100]
	s_waitcnt vmcnt(2)
	v_add_f64 v[41:42], v[41:42], -v[103:104]
	s_waitcnt vmcnt(0)
	v_add_f64 v[43:44], v[43:44], -v[99:100]
	buffer_store_dword v41, off, s[20:23], 0 ; 4-byte Folded Spill
	s_nop 0
	buffer_store_dword v42, off, s[20:23], 0 offset:4 ; 4-byte Folded Spill
	buffer_store_dword v43, off, s[20:23], 0 offset:8 ; 4-byte Folded Spill
	;; [unrolled: 1-line block ×3, first 2 shown]
	ds_read2_b64 v[99:102], v125 offset0:92 offset1:93
	s_waitcnt lgkmcnt(0)
	v_mul_f64 v[103:104], v[101:102], v[109:110]
	v_fma_f64 v[103:104], v[99:100], v[97:98], -v[103:104]
	v_mul_f64 v[99:100], v[99:100], v[109:110]
	v_add_f64 v[37:38], v[37:38], -v[103:104]
	v_fma_f64 v[99:100], v[101:102], v[97:98], v[99:100]
	v_add_f64 v[39:40], v[39:40], -v[99:100]
	ds_read2_b64 v[99:102], v125 offset0:94 offset1:95
	s_waitcnt lgkmcnt(0)
	v_mul_f64 v[103:104], v[101:102], v[109:110]
	v_fma_f64 v[103:104], v[99:100], v[97:98], -v[103:104]
	v_mul_f64 v[99:100], v[99:100], v[109:110]
	v_add_f64 v[33:34], v[33:34], -v[103:104]
	v_fma_f64 v[99:100], v[101:102], v[97:98], v[99:100]
	v_add_f64 v[35:36], v[35:36], -v[99:100]
	;; [unrolled: 8-line block ×10, first 2 shown]
	ds_read2_b64 v[99:102], v125 offset0:112 offset1:113
	s_waitcnt lgkmcnt(0)
	v_mul_f64 v[103:104], v[101:102], v[109:110]
	v_fma_f64 v[103:104], v[99:100], v[97:98], -v[103:104]
	v_mul_f64 v[99:100], v[99:100], v[109:110]
	buffer_store_dword v107, off, s[20:23], 0 offset:240 ; 4-byte Folded Spill
	s_nop 0
	buffer_store_dword v108, off, s[20:23], 0 offset:244 ; 4-byte Folded Spill
	buffer_store_dword v109, off, s[20:23], 0 offset:248 ; 4-byte Folded Spill
	;; [unrolled: 1-line block ×3, first 2 shown]
	v_add_f64 v[121:122], v[121:122], -v[103:104]
	v_fma_f64 v[99:100], v[101:102], v[97:98], v[99:100]
	v_add_f64 v[123:124], v[123:124], -v[99:100]
.LBB113_271:
	s_or_b64 exec, exec, s[2:3]
	v_cmp_eq_u32_e32 vcc, 30, v0
	s_waitcnt vmcnt(0)
	s_barrier
	s_and_saveexec_b64 s[4:5], vcc
	s_cbranch_execz .LBB113_278
; %bb.272:
	buffer_load_dword v95, off, s[20:23], 0 offset:224 ; 4-byte Folded Reload
	buffer_load_dword v96, off, s[20:23], 0 offset:228 ; 4-byte Folded Reload
	;; [unrolled: 1-line block ×4, first 2 shown]
	s_waitcnt vmcnt(0)
	ds_write2_b64 v127, v[95:96], v[97:98] offset1:1
	buffer_load_dword v95, off, s[20:23], 0 offset:208 ; 4-byte Folded Reload
	buffer_load_dword v96, off, s[20:23], 0 offset:212 ; 4-byte Folded Reload
	buffer_load_dword v97, off, s[20:23], 0 offset:216 ; 4-byte Folded Reload
	buffer_load_dword v98, off, s[20:23], 0 offset:220 ; 4-byte Folded Reload
	s_waitcnt vmcnt(0)
	ds_write2_b64 v125, v[95:96], v[97:98] offset0:62 offset1:63
	buffer_load_dword v95, off, s[20:23], 0 offset:192 ; 4-byte Folded Reload
	buffer_load_dword v96, off, s[20:23], 0 offset:196 ; 4-byte Folded Reload
	buffer_load_dword v97, off, s[20:23], 0 offset:200 ; 4-byte Folded Reload
	buffer_load_dword v98, off, s[20:23], 0 offset:204 ; 4-byte Folded Reload
	s_waitcnt vmcnt(0)
	ds_write2_b64 v125, v[95:96], v[97:98] offset0:64 offset1:65
	;; [unrolled: 6-line block ×3, first 2 shown]
	ds_write2_b64 v125, v[91:92], v[93:94] offset0:68 offset1:69
	buffer_load_dword v77, off, s[20:23], 0 offset:160 ; 4-byte Folded Reload
	buffer_load_dword v78, off, s[20:23], 0 offset:164 ; 4-byte Folded Reload
	buffer_load_dword v79, off, s[20:23], 0 offset:168 ; 4-byte Folded Reload
	buffer_load_dword v80, off, s[20:23], 0 offset:172 ; 4-byte Folded Reload
	s_waitcnt vmcnt(0)
	ds_write2_b64 v125, v[77:78], v[79:80] offset0:70 offset1:71
	buffer_load_dword v77, off, s[20:23], 0 offset:144 ; 4-byte Folded Reload
	buffer_load_dword v78, off, s[20:23], 0 offset:148 ; 4-byte Folded Reload
	buffer_load_dword v79, off, s[20:23], 0 offset:152 ; 4-byte Folded Reload
	buffer_load_dword v80, off, s[20:23], 0 offset:156 ; 4-byte Folded Reload
	s_waitcnt vmcnt(0)
	;; [unrolled: 6-line block ×10, first 2 shown]
	ds_write2_b64 v125, v[45:46], v[47:48] offset0:88 offset1:89
	buffer_load_dword v41, off, s[20:23], 0 ; 4-byte Folded Reload
	buffer_load_dword v42, off, s[20:23], 0 offset:4 ; 4-byte Folded Reload
	buffer_load_dword v43, off, s[20:23], 0 offset:8 ; 4-byte Folded Reload
	;; [unrolled: 1-line block ×3, first 2 shown]
	s_waitcnt vmcnt(0)
	ds_write2_b64 v125, v[41:42], v[43:44] offset0:90 offset1:91
	ds_write2_b64 v125, v[37:38], v[39:40] offset0:92 offset1:93
	;; [unrolled: 1-line block ×12, first 2 shown]
	ds_read2_b64 v[97:100], v127 offset1:1
	s_waitcnt lgkmcnt(0)
	v_cmp_neq_f64_e32 vcc, 0, v[97:98]
	v_cmp_neq_f64_e64 s[2:3], 0, v[99:100]
	s_or_b64 s[2:3], vcc, s[2:3]
	s_and_b64 exec, exec, s[2:3]
	s_cbranch_execz .LBB113_278
; %bb.273:
	v_cmp_ngt_f64_e64 s[2:3], |v[97:98]|, |v[99:100]|
                                        ; implicit-def: $vgpr101_vgpr102
	s_and_saveexec_b64 s[6:7], s[2:3]
	s_xor_b64 s[2:3], exec, s[6:7]
                                        ; implicit-def: $vgpr103_vgpr104
	s_cbranch_execz .LBB113_275
; %bb.274:
	v_div_scale_f64 v[101:102], s[6:7], v[99:100], v[99:100], v[97:98]
	v_rcp_f64_e32 v[103:104], v[101:102]
	v_fma_f64 v[105:106], -v[101:102], v[103:104], 1.0
	v_fma_f64 v[103:104], v[103:104], v[105:106], v[103:104]
	v_div_scale_f64 v[105:106], vcc, v[97:98], v[99:100], v[97:98]
	v_fma_f64 v[107:108], -v[101:102], v[103:104], 1.0
	v_fma_f64 v[103:104], v[103:104], v[107:108], v[103:104]
	v_mul_f64 v[107:108], v[105:106], v[103:104]
	v_fma_f64 v[101:102], -v[101:102], v[107:108], v[105:106]
	v_div_fmas_f64 v[101:102], v[101:102], v[103:104], v[107:108]
	v_div_fixup_f64 v[101:102], v[101:102], v[99:100], v[97:98]
	v_fma_f64 v[97:98], v[97:98], v[101:102], v[99:100]
	v_div_scale_f64 v[99:100], s[6:7], v[97:98], v[97:98], 1.0
	v_div_scale_f64 v[107:108], vcc, 1.0, v[97:98], 1.0
	v_rcp_f64_e32 v[103:104], v[99:100]
	v_fma_f64 v[105:106], -v[99:100], v[103:104], 1.0
	v_fma_f64 v[103:104], v[103:104], v[105:106], v[103:104]
	v_fma_f64 v[105:106], -v[99:100], v[103:104], 1.0
	v_fma_f64 v[103:104], v[103:104], v[105:106], v[103:104]
	v_mul_f64 v[105:106], v[107:108], v[103:104]
	v_fma_f64 v[99:100], -v[99:100], v[105:106], v[107:108]
	v_div_fmas_f64 v[99:100], v[99:100], v[103:104], v[105:106]
	v_div_fixup_f64 v[103:104], v[99:100], v[97:98], 1.0
                                        ; implicit-def: $vgpr97_vgpr98
	v_mul_f64 v[101:102], v[101:102], v[103:104]
	v_xor_b32_e32 v104, 0x80000000, v104
.LBB113_275:
	s_andn2_saveexec_b64 s[2:3], s[2:3]
	s_cbranch_execz .LBB113_277
; %bb.276:
	v_div_scale_f64 v[101:102], s[6:7], v[97:98], v[97:98], v[99:100]
	v_rcp_f64_e32 v[103:104], v[101:102]
	v_fma_f64 v[105:106], -v[101:102], v[103:104], 1.0
	v_fma_f64 v[103:104], v[103:104], v[105:106], v[103:104]
	v_div_scale_f64 v[105:106], vcc, v[99:100], v[97:98], v[99:100]
	v_fma_f64 v[107:108], -v[101:102], v[103:104], 1.0
	v_fma_f64 v[103:104], v[103:104], v[107:108], v[103:104]
	v_mul_f64 v[107:108], v[105:106], v[103:104]
	v_fma_f64 v[101:102], -v[101:102], v[107:108], v[105:106]
	v_div_fmas_f64 v[101:102], v[101:102], v[103:104], v[107:108]
	v_div_fixup_f64 v[103:104], v[101:102], v[97:98], v[99:100]
	v_fma_f64 v[97:98], v[99:100], v[103:104], v[97:98]
	v_div_scale_f64 v[99:100], s[6:7], v[97:98], v[97:98], 1.0
	v_div_scale_f64 v[107:108], vcc, 1.0, v[97:98], 1.0
	v_rcp_f64_e32 v[101:102], v[99:100]
	v_fma_f64 v[105:106], -v[99:100], v[101:102], 1.0
	v_fma_f64 v[101:102], v[101:102], v[105:106], v[101:102]
	v_fma_f64 v[105:106], -v[99:100], v[101:102], 1.0
	v_fma_f64 v[101:102], v[101:102], v[105:106], v[101:102]
	v_mul_f64 v[105:106], v[107:108], v[101:102]
	v_fma_f64 v[99:100], -v[99:100], v[105:106], v[107:108]
	v_div_fmas_f64 v[99:100], v[99:100], v[101:102], v[105:106]
	v_div_fixup_f64 v[101:102], v[99:100], v[97:98], 1.0
	v_mul_f64 v[103:104], v[103:104], -v[101:102]
.LBB113_277:
	s_or_b64 exec, exec, s[2:3]
	ds_write2_b64 v127, v[101:102], v[103:104] offset1:1
.LBB113_278:
	s_or_b64 exec, exec, s[4:5]
	s_waitcnt lgkmcnt(0)
	s_barrier
	ds_read2_b64 v[87:90], v127 offset1:1
	v_cmp_lt_u32_e32 vcc, 30, v0
	s_waitcnt lgkmcnt(0)
	buffer_store_dword v87, off, s[20:23], 0 offset:1648 ; 4-byte Folded Spill
	s_nop 0
	buffer_store_dword v88, off, s[20:23], 0 offset:1652 ; 4-byte Folded Spill
	buffer_store_dword v89, off, s[20:23], 0 offset:1656 ; 4-byte Folded Spill
	;; [unrolled: 1-line block ×3, first 2 shown]
	s_and_saveexec_b64 s[2:3], vcc
	s_cbranch_execz .LBB113_280
; %bb.279:
	buffer_load_dword v107, off, s[20:23], 0 offset:224 ; 4-byte Folded Reload
	buffer_load_dword v108, off, s[20:23], 0 offset:228 ; 4-byte Folded Reload
	;; [unrolled: 1-line block ×8, first 2 shown]
	s_waitcnt vmcnt(2)
	v_mul_f64 v[99:100], v[87:88], v[109:110]
	s_waitcnt vmcnt(0)
	v_mul_f64 v[97:98], v[89:90], v[109:110]
	v_fma_f64 v[109:110], v[89:90], v[107:108], v[99:100]
	ds_read2_b64 v[99:102], v125 offset0:62 offset1:63
	v_fma_f64 v[97:98], v[87:88], v[107:108], -v[97:98]
	buffer_load_dword v105, off, s[20:23], 0 offset:208 ; 4-byte Folded Reload
	buffer_load_dword v106, off, s[20:23], 0 offset:212 ; 4-byte Folded Reload
	buffer_load_dword v107, off, s[20:23], 0 offset:216 ; 4-byte Folded Reload
	buffer_load_dword v108, off, s[20:23], 0 offset:220 ; 4-byte Folded Reload
	s_waitcnt lgkmcnt(0)
	v_mul_f64 v[103:104], v[101:102], v[109:110]
	v_fma_f64 v[103:104], v[99:100], v[97:98], -v[103:104]
	v_mul_f64 v[99:100], v[99:100], v[109:110]
	v_fma_f64 v[99:100], v[101:102], v[97:98], v[99:100]
	s_waitcnt vmcnt(2)
	v_add_f64 v[105:106], v[105:106], -v[103:104]
	s_waitcnt vmcnt(0)
	v_add_f64 v[107:108], v[107:108], -v[99:100]
	buffer_store_dword v105, off, s[20:23], 0 offset:208 ; 4-byte Folded Spill
	s_nop 0
	buffer_store_dword v106, off, s[20:23], 0 offset:212 ; 4-byte Folded Spill
	buffer_store_dword v107, off, s[20:23], 0 offset:216 ; 4-byte Folded Spill
	buffer_store_dword v108, off, s[20:23], 0 offset:220 ; 4-byte Folded Spill
	ds_read2_b64 v[99:102], v125 offset0:64 offset1:65
	buffer_load_dword v105, off, s[20:23], 0 offset:192 ; 4-byte Folded Reload
	buffer_load_dword v106, off, s[20:23], 0 offset:196 ; 4-byte Folded Reload
	buffer_load_dword v107, off, s[20:23], 0 offset:200 ; 4-byte Folded Reload
	buffer_load_dword v108, off, s[20:23], 0 offset:204 ; 4-byte Folded Reload
	s_waitcnt lgkmcnt(0)
	v_mul_f64 v[103:104], v[101:102], v[109:110]
	v_fma_f64 v[103:104], v[99:100], v[97:98], -v[103:104]
	v_mul_f64 v[99:100], v[99:100], v[109:110]
	v_fma_f64 v[99:100], v[101:102], v[97:98], v[99:100]
	s_waitcnt vmcnt(2)
	v_add_f64 v[105:106], v[105:106], -v[103:104]
	s_waitcnt vmcnt(0)
	v_add_f64 v[107:108], v[107:108], -v[99:100]
	buffer_store_dword v105, off, s[20:23], 0 offset:192 ; 4-byte Folded Spill
	s_nop 0
	buffer_store_dword v106, off, s[20:23], 0 offset:196 ; 4-byte Folded Spill
	buffer_store_dword v107, off, s[20:23], 0 offset:200 ; 4-byte Folded Spill
	buffer_store_dword v108, off, s[20:23], 0 offset:204 ; 4-byte Folded Spill
	ds_read2_b64 v[99:102], v125 offset0:66 offset1:67
	;; [unrolled: 19-line block ×3, first 2 shown]
	v_mov_b32_e32 v108, v98
	v_mov_b32_e32 v107, v97
	s_waitcnt lgkmcnt(0)
	v_mul_f64 v[103:104], v[101:102], v[109:110]
	v_fma_f64 v[103:104], v[99:100], v[97:98], -v[103:104]
	v_mul_f64 v[99:100], v[99:100], v[109:110]
	v_add_f64 v[91:92], v[91:92], -v[103:104]
	v_fma_f64 v[99:100], v[101:102], v[97:98], v[99:100]
	v_add_f64 v[93:94], v[93:94], -v[99:100]
	ds_read2_b64 v[99:102], v125 offset0:70 offset1:71
	buffer_load_dword v77, off, s[20:23], 0 offset:160 ; 4-byte Folded Reload
	buffer_load_dword v78, off, s[20:23], 0 offset:164 ; 4-byte Folded Reload
	buffer_load_dword v79, off, s[20:23], 0 offset:168 ; 4-byte Folded Reload
	buffer_load_dword v80, off, s[20:23], 0 offset:172 ; 4-byte Folded Reload
	s_waitcnt lgkmcnt(0)
	v_mul_f64 v[103:104], v[101:102], v[109:110]
	v_fma_f64 v[103:104], v[99:100], v[97:98], -v[103:104]
	v_mul_f64 v[99:100], v[99:100], v[109:110]
	v_fma_f64 v[99:100], v[101:102], v[97:98], v[99:100]
	s_waitcnt vmcnt(2)
	v_add_f64 v[77:78], v[77:78], -v[103:104]
	s_waitcnt vmcnt(0)
	v_add_f64 v[79:80], v[79:80], -v[99:100]
	buffer_store_dword v77, off, s[20:23], 0 offset:160 ; 4-byte Folded Spill
	s_nop 0
	buffer_store_dword v78, off, s[20:23], 0 offset:164 ; 4-byte Folded Spill
	buffer_store_dword v79, off, s[20:23], 0 offset:168 ; 4-byte Folded Spill
	buffer_store_dword v80, off, s[20:23], 0 offset:172 ; 4-byte Folded Spill
	ds_read2_b64 v[99:102], v125 offset0:72 offset1:73
	buffer_load_dword v77, off, s[20:23], 0 offset:144 ; 4-byte Folded Reload
	buffer_load_dword v78, off, s[20:23], 0 offset:148 ; 4-byte Folded Reload
	buffer_load_dword v79, off, s[20:23], 0 offset:152 ; 4-byte Folded Reload
	buffer_load_dword v80, off, s[20:23], 0 offset:156 ; 4-byte Folded Reload
	s_waitcnt lgkmcnt(0)
	v_mul_f64 v[103:104], v[101:102], v[109:110]
	v_fma_f64 v[103:104], v[99:100], v[97:98], -v[103:104]
	v_mul_f64 v[99:100], v[99:100], v[109:110]
	v_fma_f64 v[99:100], v[101:102], v[97:98], v[99:100]
	s_waitcnt vmcnt(2)
	v_add_f64 v[77:78], v[77:78], -v[103:104]
	s_waitcnt vmcnt(0)
	v_add_f64 v[79:80], v[79:80], -v[99:100]
	buffer_store_dword v77, off, s[20:23], 0 offset:144 ; 4-byte Folded Spill
	s_nop 0
	buffer_store_dword v78, off, s[20:23], 0 offset:148 ; 4-byte Folded Spill
	buffer_store_dword v79, off, s[20:23], 0 offset:152 ; 4-byte Folded Spill
	buffer_store_dword v80, off, s[20:23], 0 offset:156 ; 4-byte Folded Spill
	;; [unrolled: 19-line block ×10, first 2 shown]
	ds_read2_b64 v[99:102], v125 offset0:90 offset1:91
	buffer_load_dword v41, off, s[20:23], 0 ; 4-byte Folded Reload
	buffer_load_dword v42, off, s[20:23], 0 offset:4 ; 4-byte Folded Reload
	buffer_load_dword v43, off, s[20:23], 0 offset:8 ; 4-byte Folded Reload
	;; [unrolled: 1-line block ×3, first 2 shown]
	s_waitcnt lgkmcnt(0)
	v_mul_f64 v[103:104], v[101:102], v[109:110]
	v_fma_f64 v[103:104], v[99:100], v[97:98], -v[103:104]
	v_mul_f64 v[99:100], v[99:100], v[109:110]
	v_fma_f64 v[99:100], v[101:102], v[97:98], v[99:100]
	s_waitcnt vmcnt(2)
	v_add_f64 v[41:42], v[41:42], -v[103:104]
	s_waitcnt vmcnt(0)
	v_add_f64 v[43:44], v[43:44], -v[99:100]
	buffer_store_dword v41, off, s[20:23], 0 ; 4-byte Folded Spill
	s_nop 0
	buffer_store_dword v42, off, s[20:23], 0 offset:4 ; 4-byte Folded Spill
	buffer_store_dword v43, off, s[20:23], 0 offset:8 ; 4-byte Folded Spill
	;; [unrolled: 1-line block ×3, first 2 shown]
	ds_read2_b64 v[99:102], v125 offset0:92 offset1:93
	s_waitcnt lgkmcnt(0)
	v_mul_f64 v[103:104], v[101:102], v[109:110]
	v_fma_f64 v[103:104], v[99:100], v[97:98], -v[103:104]
	v_mul_f64 v[99:100], v[99:100], v[109:110]
	v_add_f64 v[37:38], v[37:38], -v[103:104]
	v_fma_f64 v[99:100], v[101:102], v[97:98], v[99:100]
	v_add_f64 v[39:40], v[39:40], -v[99:100]
	ds_read2_b64 v[99:102], v125 offset0:94 offset1:95
	s_waitcnt lgkmcnt(0)
	v_mul_f64 v[103:104], v[101:102], v[109:110]
	v_fma_f64 v[103:104], v[99:100], v[97:98], -v[103:104]
	v_mul_f64 v[99:100], v[99:100], v[109:110]
	v_add_f64 v[33:34], v[33:34], -v[103:104]
	v_fma_f64 v[99:100], v[101:102], v[97:98], v[99:100]
	v_add_f64 v[35:36], v[35:36], -v[99:100]
	ds_read2_b64 v[99:102], v125 offset0:96 offset1:97
	s_waitcnt lgkmcnt(0)
	v_mul_f64 v[103:104], v[101:102], v[109:110]
	v_fma_f64 v[103:104], v[99:100], v[97:98], -v[103:104]
	v_mul_f64 v[99:100], v[99:100], v[109:110]
	v_add_f64 v[29:30], v[29:30], -v[103:104]
	v_fma_f64 v[99:100], v[101:102], v[97:98], v[99:100]
	v_add_f64 v[31:32], v[31:32], -v[99:100]
	ds_read2_b64 v[99:102], v125 offset0:98 offset1:99
	s_waitcnt lgkmcnt(0)
	v_mul_f64 v[103:104], v[101:102], v[109:110]
	v_fma_f64 v[103:104], v[99:100], v[97:98], -v[103:104]
	v_mul_f64 v[99:100], v[99:100], v[109:110]
	v_add_f64 v[25:26], v[25:26], -v[103:104]
	v_fma_f64 v[99:100], v[101:102], v[97:98], v[99:100]
	v_add_f64 v[27:28], v[27:28], -v[99:100]
	ds_read2_b64 v[99:102], v125 offset0:100 offset1:101
	s_waitcnt lgkmcnt(0)
	v_mul_f64 v[103:104], v[101:102], v[109:110]
	v_fma_f64 v[103:104], v[99:100], v[97:98], -v[103:104]
	v_mul_f64 v[99:100], v[99:100], v[109:110]
	v_add_f64 v[21:22], v[21:22], -v[103:104]
	v_fma_f64 v[99:100], v[101:102], v[97:98], v[99:100]
	v_add_f64 v[23:24], v[23:24], -v[99:100]
	ds_read2_b64 v[99:102], v125 offset0:102 offset1:103
	s_waitcnt lgkmcnt(0)
	v_mul_f64 v[103:104], v[101:102], v[109:110]
	v_fma_f64 v[103:104], v[99:100], v[97:98], -v[103:104]
	v_mul_f64 v[99:100], v[99:100], v[109:110]
	v_add_f64 v[17:18], v[17:18], -v[103:104]
	v_fma_f64 v[99:100], v[101:102], v[97:98], v[99:100]
	v_add_f64 v[19:20], v[19:20], -v[99:100]
	ds_read2_b64 v[99:102], v125 offset0:104 offset1:105
	s_waitcnt lgkmcnt(0)
	v_mul_f64 v[103:104], v[101:102], v[109:110]
	v_fma_f64 v[103:104], v[99:100], v[97:98], -v[103:104]
	v_mul_f64 v[99:100], v[99:100], v[109:110]
	v_add_f64 v[13:14], v[13:14], -v[103:104]
	v_fma_f64 v[99:100], v[101:102], v[97:98], v[99:100]
	v_add_f64 v[15:16], v[15:16], -v[99:100]
	ds_read2_b64 v[99:102], v125 offset0:106 offset1:107
	s_waitcnt lgkmcnt(0)
	v_mul_f64 v[103:104], v[101:102], v[109:110]
	v_fma_f64 v[103:104], v[99:100], v[97:98], -v[103:104]
	v_mul_f64 v[99:100], v[99:100], v[109:110]
	v_add_f64 v[9:10], v[9:10], -v[103:104]
	v_fma_f64 v[99:100], v[101:102], v[97:98], v[99:100]
	v_add_f64 v[11:12], v[11:12], -v[99:100]
	ds_read2_b64 v[99:102], v125 offset0:108 offset1:109
	s_waitcnt lgkmcnt(0)
	v_mul_f64 v[103:104], v[101:102], v[109:110]
	v_fma_f64 v[103:104], v[99:100], v[97:98], -v[103:104]
	v_mul_f64 v[99:100], v[99:100], v[109:110]
	v_add_f64 v[5:6], v[5:6], -v[103:104]
	v_fma_f64 v[99:100], v[101:102], v[97:98], v[99:100]
	v_add_f64 v[7:8], v[7:8], -v[99:100]
	ds_read2_b64 v[99:102], v125 offset0:110 offset1:111
	s_waitcnt lgkmcnt(0)
	v_mul_f64 v[103:104], v[101:102], v[109:110]
	v_fma_f64 v[103:104], v[99:100], v[97:98], -v[103:104]
	v_mul_f64 v[99:100], v[99:100], v[109:110]
	v_add_f64 v[1:2], v[1:2], -v[103:104]
	v_fma_f64 v[99:100], v[101:102], v[97:98], v[99:100]
	v_add_f64 v[3:4], v[3:4], -v[99:100]
	ds_read2_b64 v[99:102], v125 offset0:112 offset1:113
	s_waitcnt lgkmcnt(0)
	v_mul_f64 v[103:104], v[101:102], v[109:110]
	v_fma_f64 v[103:104], v[99:100], v[97:98], -v[103:104]
	v_mul_f64 v[99:100], v[99:100], v[109:110]
	buffer_store_dword v107, off, s[20:23], 0 offset:224 ; 4-byte Folded Spill
	s_nop 0
	buffer_store_dword v108, off, s[20:23], 0 offset:228 ; 4-byte Folded Spill
	buffer_store_dword v109, off, s[20:23], 0 offset:232 ; 4-byte Folded Spill
	;; [unrolled: 1-line block ×3, first 2 shown]
	v_add_f64 v[121:122], v[121:122], -v[103:104]
	v_fma_f64 v[99:100], v[101:102], v[97:98], v[99:100]
	v_add_f64 v[123:124], v[123:124], -v[99:100]
.LBB113_280:
	s_or_b64 exec, exec, s[2:3]
	v_cmp_eq_u32_e32 vcc, 31, v0
	s_waitcnt vmcnt(0)
	s_barrier
	s_and_saveexec_b64 s[4:5], vcc
	s_cbranch_execz .LBB113_287
; %bb.281:
	buffer_load_dword v95, off, s[20:23], 0 offset:208 ; 4-byte Folded Reload
	buffer_load_dword v96, off, s[20:23], 0 offset:212 ; 4-byte Folded Reload
	;; [unrolled: 1-line block ×4, first 2 shown]
	s_waitcnt vmcnt(0)
	ds_write2_b64 v127, v[95:96], v[97:98] offset1:1
	buffer_load_dword v95, off, s[20:23], 0 offset:192 ; 4-byte Folded Reload
	buffer_load_dword v96, off, s[20:23], 0 offset:196 ; 4-byte Folded Reload
	;; [unrolled: 1-line block ×4, first 2 shown]
	s_waitcnt vmcnt(0)
	ds_write2_b64 v125, v[95:96], v[97:98] offset0:64 offset1:65
	buffer_load_dword v95, off, s[20:23], 0 offset:176 ; 4-byte Folded Reload
	buffer_load_dword v96, off, s[20:23], 0 offset:180 ; 4-byte Folded Reload
	;; [unrolled: 1-line block ×4, first 2 shown]
	s_waitcnt vmcnt(0)
	ds_write2_b64 v125, v[95:96], v[97:98] offset0:66 offset1:67
	ds_write2_b64 v125, v[91:92], v[93:94] offset0:68 offset1:69
	buffer_load_dword v77, off, s[20:23], 0 offset:160 ; 4-byte Folded Reload
	buffer_load_dword v78, off, s[20:23], 0 offset:164 ; 4-byte Folded Reload
	buffer_load_dword v79, off, s[20:23], 0 offset:168 ; 4-byte Folded Reload
	buffer_load_dword v80, off, s[20:23], 0 offset:172 ; 4-byte Folded Reload
	s_waitcnt vmcnt(0)
	ds_write2_b64 v125, v[77:78], v[79:80] offset0:70 offset1:71
	buffer_load_dword v77, off, s[20:23], 0 offset:144 ; 4-byte Folded Reload
	buffer_load_dword v78, off, s[20:23], 0 offset:148 ; 4-byte Folded Reload
	buffer_load_dword v79, off, s[20:23], 0 offset:152 ; 4-byte Folded Reload
	buffer_load_dword v80, off, s[20:23], 0 offset:156 ; 4-byte Folded Reload
	s_waitcnt vmcnt(0)
	;; [unrolled: 6-line block ×10, first 2 shown]
	ds_write2_b64 v125, v[45:46], v[47:48] offset0:88 offset1:89
	buffer_load_dword v41, off, s[20:23], 0 ; 4-byte Folded Reload
	buffer_load_dword v42, off, s[20:23], 0 offset:4 ; 4-byte Folded Reload
	buffer_load_dword v43, off, s[20:23], 0 offset:8 ; 4-byte Folded Reload
	;; [unrolled: 1-line block ×3, first 2 shown]
	s_waitcnt vmcnt(0)
	ds_write2_b64 v125, v[41:42], v[43:44] offset0:90 offset1:91
	ds_write2_b64 v125, v[37:38], v[39:40] offset0:92 offset1:93
	;; [unrolled: 1-line block ×12, first 2 shown]
	ds_read2_b64 v[97:100], v127 offset1:1
	s_waitcnt lgkmcnt(0)
	v_cmp_neq_f64_e32 vcc, 0, v[97:98]
	v_cmp_neq_f64_e64 s[2:3], 0, v[99:100]
	s_or_b64 s[2:3], vcc, s[2:3]
	s_and_b64 exec, exec, s[2:3]
	s_cbranch_execz .LBB113_287
; %bb.282:
	v_cmp_ngt_f64_e64 s[2:3], |v[97:98]|, |v[99:100]|
                                        ; implicit-def: $vgpr101_vgpr102
	s_and_saveexec_b64 s[6:7], s[2:3]
	s_xor_b64 s[2:3], exec, s[6:7]
                                        ; implicit-def: $vgpr103_vgpr104
	s_cbranch_execz .LBB113_284
; %bb.283:
	v_div_scale_f64 v[101:102], s[6:7], v[99:100], v[99:100], v[97:98]
	v_rcp_f64_e32 v[103:104], v[101:102]
	v_fma_f64 v[105:106], -v[101:102], v[103:104], 1.0
	v_fma_f64 v[103:104], v[103:104], v[105:106], v[103:104]
	v_div_scale_f64 v[105:106], vcc, v[97:98], v[99:100], v[97:98]
	v_fma_f64 v[107:108], -v[101:102], v[103:104], 1.0
	v_fma_f64 v[103:104], v[103:104], v[107:108], v[103:104]
	v_mul_f64 v[107:108], v[105:106], v[103:104]
	v_fma_f64 v[101:102], -v[101:102], v[107:108], v[105:106]
	v_div_fmas_f64 v[101:102], v[101:102], v[103:104], v[107:108]
	v_div_fixup_f64 v[101:102], v[101:102], v[99:100], v[97:98]
	v_fma_f64 v[97:98], v[97:98], v[101:102], v[99:100]
	v_div_scale_f64 v[99:100], s[6:7], v[97:98], v[97:98], 1.0
	v_div_scale_f64 v[107:108], vcc, 1.0, v[97:98], 1.0
	v_rcp_f64_e32 v[103:104], v[99:100]
	v_fma_f64 v[105:106], -v[99:100], v[103:104], 1.0
	v_fma_f64 v[103:104], v[103:104], v[105:106], v[103:104]
	v_fma_f64 v[105:106], -v[99:100], v[103:104], 1.0
	v_fma_f64 v[103:104], v[103:104], v[105:106], v[103:104]
	v_mul_f64 v[105:106], v[107:108], v[103:104]
	v_fma_f64 v[99:100], -v[99:100], v[105:106], v[107:108]
	v_div_fmas_f64 v[99:100], v[99:100], v[103:104], v[105:106]
	v_div_fixup_f64 v[103:104], v[99:100], v[97:98], 1.0
                                        ; implicit-def: $vgpr97_vgpr98
	v_mul_f64 v[101:102], v[101:102], v[103:104]
	v_xor_b32_e32 v104, 0x80000000, v104
.LBB113_284:
	s_andn2_saveexec_b64 s[2:3], s[2:3]
	s_cbranch_execz .LBB113_286
; %bb.285:
	v_div_scale_f64 v[101:102], s[6:7], v[97:98], v[97:98], v[99:100]
	v_rcp_f64_e32 v[103:104], v[101:102]
	v_fma_f64 v[105:106], -v[101:102], v[103:104], 1.0
	v_fma_f64 v[103:104], v[103:104], v[105:106], v[103:104]
	v_div_scale_f64 v[105:106], vcc, v[99:100], v[97:98], v[99:100]
	v_fma_f64 v[107:108], -v[101:102], v[103:104], 1.0
	v_fma_f64 v[103:104], v[103:104], v[107:108], v[103:104]
	v_mul_f64 v[107:108], v[105:106], v[103:104]
	v_fma_f64 v[101:102], -v[101:102], v[107:108], v[105:106]
	v_div_fmas_f64 v[101:102], v[101:102], v[103:104], v[107:108]
	v_div_fixup_f64 v[103:104], v[101:102], v[97:98], v[99:100]
	v_fma_f64 v[97:98], v[99:100], v[103:104], v[97:98]
	v_div_scale_f64 v[99:100], s[6:7], v[97:98], v[97:98], 1.0
	v_div_scale_f64 v[107:108], vcc, 1.0, v[97:98], 1.0
	v_rcp_f64_e32 v[101:102], v[99:100]
	v_fma_f64 v[105:106], -v[99:100], v[101:102], 1.0
	v_fma_f64 v[101:102], v[101:102], v[105:106], v[101:102]
	v_fma_f64 v[105:106], -v[99:100], v[101:102], 1.0
	v_fma_f64 v[101:102], v[101:102], v[105:106], v[101:102]
	v_mul_f64 v[105:106], v[107:108], v[101:102]
	v_fma_f64 v[99:100], -v[99:100], v[105:106], v[107:108]
	v_div_fmas_f64 v[99:100], v[99:100], v[101:102], v[105:106]
	v_div_fixup_f64 v[101:102], v[99:100], v[97:98], 1.0
	v_mul_f64 v[103:104], v[103:104], -v[101:102]
.LBB113_286:
	s_or_b64 exec, exec, s[2:3]
	ds_write2_b64 v127, v[101:102], v[103:104] offset1:1
.LBB113_287:
	s_or_b64 exec, exec, s[4:5]
	s_waitcnt lgkmcnt(0)
	s_barrier
	ds_read2_b64 v[87:90], v127 offset1:1
	v_cmp_lt_u32_e32 vcc, 31, v0
	s_waitcnt lgkmcnt(0)
	buffer_store_dword v87, off, s[20:23], 0 offset:1664 ; 4-byte Folded Spill
	s_nop 0
	buffer_store_dword v88, off, s[20:23], 0 offset:1668 ; 4-byte Folded Spill
	buffer_store_dword v89, off, s[20:23], 0 offset:1672 ; 4-byte Folded Spill
	;; [unrolled: 1-line block ×3, first 2 shown]
	s_and_saveexec_b64 s[2:3], vcc
	s_cbranch_execz .LBB113_289
; %bb.288:
	buffer_load_dword v107, off, s[20:23], 0 offset:208 ; 4-byte Folded Reload
	buffer_load_dword v108, off, s[20:23], 0 offset:212 ; 4-byte Folded Reload
	;; [unrolled: 1-line block ×8, first 2 shown]
	s_waitcnt vmcnt(2)
	v_mul_f64 v[99:100], v[87:88], v[109:110]
	s_waitcnt vmcnt(0)
	v_mul_f64 v[97:98], v[89:90], v[109:110]
	v_fma_f64 v[109:110], v[89:90], v[107:108], v[99:100]
	ds_read2_b64 v[99:102], v125 offset0:64 offset1:65
	v_fma_f64 v[97:98], v[87:88], v[107:108], -v[97:98]
	buffer_load_dword v105, off, s[20:23], 0 offset:192 ; 4-byte Folded Reload
	buffer_load_dword v106, off, s[20:23], 0 offset:196 ; 4-byte Folded Reload
	;; [unrolled: 1-line block ×4, first 2 shown]
	s_waitcnt lgkmcnt(0)
	v_mul_f64 v[103:104], v[101:102], v[109:110]
	v_fma_f64 v[103:104], v[99:100], v[97:98], -v[103:104]
	v_mul_f64 v[99:100], v[99:100], v[109:110]
	v_fma_f64 v[99:100], v[101:102], v[97:98], v[99:100]
	s_waitcnt vmcnt(2)
	v_add_f64 v[105:106], v[105:106], -v[103:104]
	s_waitcnt vmcnt(0)
	v_add_f64 v[107:108], v[107:108], -v[99:100]
	buffer_store_dword v105, off, s[20:23], 0 offset:192 ; 4-byte Folded Spill
	s_nop 0
	buffer_store_dword v106, off, s[20:23], 0 offset:196 ; 4-byte Folded Spill
	buffer_store_dword v107, off, s[20:23], 0 offset:200 ; 4-byte Folded Spill
	;; [unrolled: 1-line block ×3, first 2 shown]
	ds_read2_b64 v[99:102], v125 offset0:66 offset1:67
	buffer_load_dword v105, off, s[20:23], 0 offset:176 ; 4-byte Folded Reload
	buffer_load_dword v106, off, s[20:23], 0 offset:180 ; 4-byte Folded Reload
	;; [unrolled: 1-line block ×4, first 2 shown]
	s_waitcnt lgkmcnt(0)
	v_mul_f64 v[103:104], v[101:102], v[109:110]
	v_fma_f64 v[103:104], v[99:100], v[97:98], -v[103:104]
	v_mul_f64 v[99:100], v[99:100], v[109:110]
	v_fma_f64 v[99:100], v[101:102], v[97:98], v[99:100]
	s_waitcnt vmcnt(2)
	v_add_f64 v[105:106], v[105:106], -v[103:104]
	s_waitcnt vmcnt(0)
	v_add_f64 v[107:108], v[107:108], -v[99:100]
	buffer_store_dword v105, off, s[20:23], 0 offset:176 ; 4-byte Folded Spill
	s_nop 0
	buffer_store_dword v106, off, s[20:23], 0 offset:180 ; 4-byte Folded Spill
	buffer_store_dword v107, off, s[20:23], 0 offset:184 ; 4-byte Folded Spill
	;; [unrolled: 1-line block ×3, first 2 shown]
	ds_read2_b64 v[99:102], v125 offset0:68 offset1:69
	v_mov_b32_e32 v108, v98
	v_mov_b32_e32 v107, v97
	s_waitcnt lgkmcnt(0)
	v_mul_f64 v[103:104], v[101:102], v[109:110]
	v_fma_f64 v[103:104], v[99:100], v[97:98], -v[103:104]
	v_mul_f64 v[99:100], v[99:100], v[109:110]
	v_add_f64 v[91:92], v[91:92], -v[103:104]
	v_fma_f64 v[99:100], v[101:102], v[97:98], v[99:100]
	v_add_f64 v[93:94], v[93:94], -v[99:100]
	ds_read2_b64 v[99:102], v125 offset0:70 offset1:71
	buffer_load_dword v77, off, s[20:23], 0 offset:160 ; 4-byte Folded Reload
	buffer_load_dword v78, off, s[20:23], 0 offset:164 ; 4-byte Folded Reload
	buffer_load_dword v79, off, s[20:23], 0 offset:168 ; 4-byte Folded Reload
	buffer_load_dword v80, off, s[20:23], 0 offset:172 ; 4-byte Folded Reload
	s_waitcnt lgkmcnt(0)
	v_mul_f64 v[103:104], v[101:102], v[109:110]
	v_fma_f64 v[103:104], v[99:100], v[97:98], -v[103:104]
	v_mul_f64 v[99:100], v[99:100], v[109:110]
	v_fma_f64 v[99:100], v[101:102], v[97:98], v[99:100]
	s_waitcnt vmcnt(2)
	v_add_f64 v[77:78], v[77:78], -v[103:104]
	s_waitcnt vmcnt(0)
	v_add_f64 v[79:80], v[79:80], -v[99:100]
	buffer_store_dword v77, off, s[20:23], 0 offset:160 ; 4-byte Folded Spill
	s_nop 0
	buffer_store_dword v78, off, s[20:23], 0 offset:164 ; 4-byte Folded Spill
	buffer_store_dword v79, off, s[20:23], 0 offset:168 ; 4-byte Folded Spill
	buffer_store_dword v80, off, s[20:23], 0 offset:172 ; 4-byte Folded Spill
	ds_read2_b64 v[99:102], v125 offset0:72 offset1:73
	buffer_load_dword v77, off, s[20:23], 0 offset:144 ; 4-byte Folded Reload
	buffer_load_dword v78, off, s[20:23], 0 offset:148 ; 4-byte Folded Reload
	buffer_load_dword v79, off, s[20:23], 0 offset:152 ; 4-byte Folded Reload
	buffer_load_dword v80, off, s[20:23], 0 offset:156 ; 4-byte Folded Reload
	s_waitcnt lgkmcnt(0)
	v_mul_f64 v[103:104], v[101:102], v[109:110]
	v_fma_f64 v[103:104], v[99:100], v[97:98], -v[103:104]
	v_mul_f64 v[99:100], v[99:100], v[109:110]
	v_fma_f64 v[99:100], v[101:102], v[97:98], v[99:100]
	s_waitcnt vmcnt(2)
	v_add_f64 v[77:78], v[77:78], -v[103:104]
	s_waitcnt vmcnt(0)
	v_add_f64 v[79:80], v[79:80], -v[99:100]
	buffer_store_dword v77, off, s[20:23], 0 offset:144 ; 4-byte Folded Spill
	s_nop 0
	buffer_store_dword v78, off, s[20:23], 0 offset:148 ; 4-byte Folded Spill
	buffer_store_dword v79, off, s[20:23], 0 offset:152 ; 4-byte Folded Spill
	buffer_store_dword v80, off, s[20:23], 0 offset:156 ; 4-byte Folded Spill
	;; [unrolled: 19-line block ×10, first 2 shown]
	ds_read2_b64 v[99:102], v125 offset0:90 offset1:91
	buffer_load_dword v41, off, s[20:23], 0 ; 4-byte Folded Reload
	buffer_load_dword v42, off, s[20:23], 0 offset:4 ; 4-byte Folded Reload
	buffer_load_dword v43, off, s[20:23], 0 offset:8 ; 4-byte Folded Reload
	;; [unrolled: 1-line block ×3, first 2 shown]
	s_waitcnt lgkmcnt(0)
	v_mul_f64 v[103:104], v[101:102], v[109:110]
	v_fma_f64 v[103:104], v[99:100], v[97:98], -v[103:104]
	v_mul_f64 v[99:100], v[99:100], v[109:110]
	v_fma_f64 v[99:100], v[101:102], v[97:98], v[99:100]
	s_waitcnt vmcnt(2)
	v_add_f64 v[41:42], v[41:42], -v[103:104]
	s_waitcnt vmcnt(0)
	v_add_f64 v[43:44], v[43:44], -v[99:100]
	buffer_store_dword v41, off, s[20:23], 0 ; 4-byte Folded Spill
	s_nop 0
	buffer_store_dword v42, off, s[20:23], 0 offset:4 ; 4-byte Folded Spill
	buffer_store_dword v43, off, s[20:23], 0 offset:8 ; 4-byte Folded Spill
	;; [unrolled: 1-line block ×3, first 2 shown]
	ds_read2_b64 v[99:102], v125 offset0:92 offset1:93
	s_waitcnt lgkmcnt(0)
	v_mul_f64 v[103:104], v[101:102], v[109:110]
	v_fma_f64 v[103:104], v[99:100], v[97:98], -v[103:104]
	v_mul_f64 v[99:100], v[99:100], v[109:110]
	v_add_f64 v[37:38], v[37:38], -v[103:104]
	v_fma_f64 v[99:100], v[101:102], v[97:98], v[99:100]
	v_add_f64 v[39:40], v[39:40], -v[99:100]
	ds_read2_b64 v[99:102], v125 offset0:94 offset1:95
	s_waitcnt lgkmcnt(0)
	v_mul_f64 v[103:104], v[101:102], v[109:110]
	v_fma_f64 v[103:104], v[99:100], v[97:98], -v[103:104]
	v_mul_f64 v[99:100], v[99:100], v[109:110]
	v_add_f64 v[33:34], v[33:34], -v[103:104]
	v_fma_f64 v[99:100], v[101:102], v[97:98], v[99:100]
	v_add_f64 v[35:36], v[35:36], -v[99:100]
	;; [unrolled: 8-line block ×10, first 2 shown]
	ds_read2_b64 v[99:102], v125 offset0:112 offset1:113
	s_waitcnt lgkmcnt(0)
	v_mul_f64 v[103:104], v[101:102], v[109:110]
	v_fma_f64 v[103:104], v[99:100], v[97:98], -v[103:104]
	v_mul_f64 v[99:100], v[99:100], v[109:110]
	buffer_store_dword v107, off, s[20:23], 0 offset:208 ; 4-byte Folded Spill
	s_nop 0
	buffer_store_dword v108, off, s[20:23], 0 offset:212 ; 4-byte Folded Spill
	buffer_store_dword v109, off, s[20:23], 0 offset:216 ; 4-byte Folded Spill
	;; [unrolled: 1-line block ×3, first 2 shown]
	v_add_f64 v[121:122], v[121:122], -v[103:104]
	v_fma_f64 v[99:100], v[101:102], v[97:98], v[99:100]
	v_add_f64 v[123:124], v[123:124], -v[99:100]
.LBB113_289:
	s_or_b64 exec, exec, s[2:3]
	v_cmp_eq_u32_e32 vcc, 32, v0
	s_waitcnt vmcnt(0)
	s_barrier
	s_and_saveexec_b64 s[4:5], vcc
	s_cbranch_execz .LBB113_296
; %bb.290:
	buffer_load_dword v95, off, s[20:23], 0 offset:192 ; 4-byte Folded Reload
	buffer_load_dword v96, off, s[20:23], 0 offset:196 ; 4-byte Folded Reload
	;; [unrolled: 1-line block ×4, first 2 shown]
	s_waitcnt vmcnt(0)
	ds_write2_b64 v127, v[95:96], v[97:98] offset1:1
	buffer_load_dword v95, off, s[20:23], 0 offset:176 ; 4-byte Folded Reload
	buffer_load_dword v96, off, s[20:23], 0 offset:180 ; 4-byte Folded Reload
	;; [unrolled: 1-line block ×4, first 2 shown]
	s_waitcnt vmcnt(0)
	ds_write2_b64 v125, v[95:96], v[97:98] offset0:66 offset1:67
	ds_write2_b64 v125, v[91:92], v[93:94] offset0:68 offset1:69
	buffer_load_dword v77, off, s[20:23], 0 offset:160 ; 4-byte Folded Reload
	buffer_load_dword v78, off, s[20:23], 0 offset:164 ; 4-byte Folded Reload
	buffer_load_dword v79, off, s[20:23], 0 offset:168 ; 4-byte Folded Reload
	buffer_load_dword v80, off, s[20:23], 0 offset:172 ; 4-byte Folded Reload
	s_waitcnt vmcnt(0)
	ds_write2_b64 v125, v[77:78], v[79:80] offset0:70 offset1:71
	buffer_load_dword v77, off, s[20:23], 0 offset:144 ; 4-byte Folded Reload
	buffer_load_dword v78, off, s[20:23], 0 offset:148 ; 4-byte Folded Reload
	buffer_load_dword v79, off, s[20:23], 0 offset:152 ; 4-byte Folded Reload
	buffer_load_dword v80, off, s[20:23], 0 offset:156 ; 4-byte Folded Reload
	s_waitcnt vmcnt(0)
	;; [unrolled: 6-line block ×10, first 2 shown]
	ds_write2_b64 v125, v[45:46], v[47:48] offset0:88 offset1:89
	buffer_load_dword v41, off, s[20:23], 0 ; 4-byte Folded Reload
	buffer_load_dword v42, off, s[20:23], 0 offset:4 ; 4-byte Folded Reload
	buffer_load_dword v43, off, s[20:23], 0 offset:8 ; 4-byte Folded Reload
	;; [unrolled: 1-line block ×3, first 2 shown]
	s_waitcnt vmcnt(0)
	ds_write2_b64 v125, v[41:42], v[43:44] offset0:90 offset1:91
	ds_write2_b64 v125, v[37:38], v[39:40] offset0:92 offset1:93
	;; [unrolled: 1-line block ×12, first 2 shown]
	ds_read2_b64 v[97:100], v127 offset1:1
	s_waitcnt lgkmcnt(0)
	v_cmp_neq_f64_e32 vcc, 0, v[97:98]
	v_cmp_neq_f64_e64 s[2:3], 0, v[99:100]
	s_or_b64 s[2:3], vcc, s[2:3]
	s_and_b64 exec, exec, s[2:3]
	s_cbranch_execz .LBB113_296
; %bb.291:
	v_cmp_ngt_f64_e64 s[2:3], |v[97:98]|, |v[99:100]|
                                        ; implicit-def: $vgpr101_vgpr102
	s_and_saveexec_b64 s[6:7], s[2:3]
	s_xor_b64 s[2:3], exec, s[6:7]
                                        ; implicit-def: $vgpr103_vgpr104
	s_cbranch_execz .LBB113_293
; %bb.292:
	v_div_scale_f64 v[101:102], s[6:7], v[99:100], v[99:100], v[97:98]
	v_rcp_f64_e32 v[103:104], v[101:102]
	v_fma_f64 v[105:106], -v[101:102], v[103:104], 1.0
	v_fma_f64 v[103:104], v[103:104], v[105:106], v[103:104]
	v_div_scale_f64 v[105:106], vcc, v[97:98], v[99:100], v[97:98]
	v_fma_f64 v[107:108], -v[101:102], v[103:104], 1.0
	v_fma_f64 v[103:104], v[103:104], v[107:108], v[103:104]
	v_mul_f64 v[107:108], v[105:106], v[103:104]
	v_fma_f64 v[101:102], -v[101:102], v[107:108], v[105:106]
	v_div_fmas_f64 v[101:102], v[101:102], v[103:104], v[107:108]
	v_div_fixup_f64 v[101:102], v[101:102], v[99:100], v[97:98]
	v_fma_f64 v[97:98], v[97:98], v[101:102], v[99:100]
	v_div_scale_f64 v[99:100], s[6:7], v[97:98], v[97:98], 1.0
	v_div_scale_f64 v[107:108], vcc, 1.0, v[97:98], 1.0
	v_rcp_f64_e32 v[103:104], v[99:100]
	v_fma_f64 v[105:106], -v[99:100], v[103:104], 1.0
	v_fma_f64 v[103:104], v[103:104], v[105:106], v[103:104]
	v_fma_f64 v[105:106], -v[99:100], v[103:104], 1.0
	v_fma_f64 v[103:104], v[103:104], v[105:106], v[103:104]
	v_mul_f64 v[105:106], v[107:108], v[103:104]
	v_fma_f64 v[99:100], -v[99:100], v[105:106], v[107:108]
	v_div_fmas_f64 v[99:100], v[99:100], v[103:104], v[105:106]
	v_div_fixup_f64 v[103:104], v[99:100], v[97:98], 1.0
                                        ; implicit-def: $vgpr97_vgpr98
	v_mul_f64 v[101:102], v[101:102], v[103:104]
	v_xor_b32_e32 v104, 0x80000000, v104
.LBB113_293:
	s_andn2_saveexec_b64 s[2:3], s[2:3]
	s_cbranch_execz .LBB113_295
; %bb.294:
	v_div_scale_f64 v[101:102], s[6:7], v[97:98], v[97:98], v[99:100]
	v_rcp_f64_e32 v[103:104], v[101:102]
	v_fma_f64 v[105:106], -v[101:102], v[103:104], 1.0
	v_fma_f64 v[103:104], v[103:104], v[105:106], v[103:104]
	v_div_scale_f64 v[105:106], vcc, v[99:100], v[97:98], v[99:100]
	v_fma_f64 v[107:108], -v[101:102], v[103:104], 1.0
	v_fma_f64 v[103:104], v[103:104], v[107:108], v[103:104]
	v_mul_f64 v[107:108], v[105:106], v[103:104]
	v_fma_f64 v[101:102], -v[101:102], v[107:108], v[105:106]
	v_div_fmas_f64 v[101:102], v[101:102], v[103:104], v[107:108]
	v_div_fixup_f64 v[103:104], v[101:102], v[97:98], v[99:100]
	v_fma_f64 v[97:98], v[99:100], v[103:104], v[97:98]
	v_div_scale_f64 v[99:100], s[6:7], v[97:98], v[97:98], 1.0
	v_div_scale_f64 v[107:108], vcc, 1.0, v[97:98], 1.0
	v_rcp_f64_e32 v[101:102], v[99:100]
	v_fma_f64 v[105:106], -v[99:100], v[101:102], 1.0
	v_fma_f64 v[101:102], v[101:102], v[105:106], v[101:102]
	v_fma_f64 v[105:106], -v[99:100], v[101:102], 1.0
	v_fma_f64 v[101:102], v[101:102], v[105:106], v[101:102]
	v_mul_f64 v[105:106], v[107:108], v[101:102]
	v_fma_f64 v[99:100], -v[99:100], v[105:106], v[107:108]
	v_div_fmas_f64 v[99:100], v[99:100], v[101:102], v[105:106]
	v_div_fixup_f64 v[101:102], v[99:100], v[97:98], 1.0
	v_mul_f64 v[103:104], v[103:104], -v[101:102]
.LBB113_295:
	s_or_b64 exec, exec, s[2:3]
	ds_write2_b64 v127, v[101:102], v[103:104] offset1:1
.LBB113_296:
	s_or_b64 exec, exec, s[4:5]
	s_waitcnt lgkmcnt(0)
	s_barrier
	ds_read2_b64 v[87:90], v127 offset1:1
	v_cmp_lt_u32_e32 vcc, 32, v0
	s_waitcnt lgkmcnt(0)
	buffer_store_dword v87, off, s[20:23], 0 offset:1680 ; 4-byte Folded Spill
	s_nop 0
	buffer_store_dword v88, off, s[20:23], 0 offset:1684 ; 4-byte Folded Spill
	buffer_store_dword v89, off, s[20:23], 0 offset:1688 ; 4-byte Folded Spill
	;; [unrolled: 1-line block ×3, first 2 shown]
	s_and_saveexec_b64 s[2:3], vcc
	s_cbranch_execz .LBB113_298
; %bb.297:
	buffer_load_dword v109, off, s[20:23], 0 offset:192 ; 4-byte Folded Reload
	buffer_load_dword v110, off, s[20:23], 0 offset:196 ; 4-byte Folded Reload
	;; [unrolled: 1-line block ×8, first 2 shown]
	ds_read2_b64 v[99:102], v125 offset0:66 offset1:67
	v_mov_b32_e32 v106, v94
	v_mov_b32_e32 v105, v93
	;; [unrolled: 1-line block ×4, first 2 shown]
	s_waitcnt vmcnt(2)
	v_mul_f64 v[95:96], v[87:88], v[111:112]
	s_waitcnt vmcnt(0)
	v_mul_f64 v[97:98], v[89:90], v[111:112]
	v_fma_f64 v[111:112], v[89:90], v[109:110], v[95:96]
	v_fma_f64 v[97:98], v[87:88], v[109:110], -v[97:98]
	buffer_load_dword v107, off, s[20:23], 0 offset:176 ; 4-byte Folded Reload
	buffer_load_dword v108, off, s[20:23], 0 offset:180 ; 4-byte Folded Reload
	buffer_load_dword v109, off, s[20:23], 0 offset:184 ; 4-byte Folded Reload
	buffer_load_dword v110, off, s[20:23], 0 offset:188 ; 4-byte Folded Reload
	s_waitcnt lgkmcnt(0)
	v_mul_f64 v[93:94], v[101:102], v[111:112]
	v_fma_f64 v[93:94], v[99:100], v[97:98], -v[93:94]
	v_mul_f64 v[99:100], v[99:100], v[111:112]
	v_fma_f64 v[99:100], v[101:102], v[97:98], v[99:100]
	s_waitcnt vmcnt(2)
	v_add_f64 v[107:108], v[107:108], -v[93:94]
	s_waitcnt vmcnt(0)
	v_add_f64 v[109:110], v[109:110], -v[99:100]
	buffer_store_dword v107, off, s[20:23], 0 offset:176 ; 4-byte Folded Spill
	s_nop 0
	buffer_store_dword v108, off, s[20:23], 0 offset:180 ; 4-byte Folded Spill
	buffer_store_dword v109, off, s[20:23], 0 offset:184 ; 4-byte Folded Spill
	buffer_store_dword v110, off, s[20:23], 0 offset:188 ; 4-byte Folded Spill
	ds_read2_b64 v[99:102], v125 offset0:68 offset1:69
	v_mov_b32_e32 v110, v98
	v_mov_b32_e32 v109, v97
	s_waitcnt lgkmcnt(0)
	v_mul_f64 v[93:94], v[101:102], v[111:112]
	v_fma_f64 v[93:94], v[99:100], v[97:98], -v[93:94]
	v_mul_f64 v[99:100], v[99:100], v[111:112]
	v_add_f64 v[103:104], v[103:104], -v[93:94]
	v_fma_f64 v[99:100], v[101:102], v[97:98], v[99:100]
	v_add_f64 v[105:106], v[105:106], -v[99:100]
	ds_read2_b64 v[99:102], v125 offset0:70 offset1:71
	buffer_load_dword v77, off, s[20:23], 0 offset:160 ; 4-byte Folded Reload
	buffer_load_dword v78, off, s[20:23], 0 offset:164 ; 4-byte Folded Reload
	buffer_load_dword v79, off, s[20:23], 0 offset:168 ; 4-byte Folded Reload
	buffer_load_dword v80, off, s[20:23], 0 offset:172 ; 4-byte Folded Reload
	s_waitcnt lgkmcnt(0)
	v_mul_f64 v[93:94], v[101:102], v[111:112]
	v_fma_f64 v[93:94], v[99:100], v[97:98], -v[93:94]
	v_mul_f64 v[99:100], v[99:100], v[111:112]
	v_fma_f64 v[99:100], v[101:102], v[97:98], v[99:100]
	s_waitcnt vmcnt(2)
	v_add_f64 v[77:78], v[77:78], -v[93:94]
	s_waitcnt vmcnt(0)
	v_add_f64 v[79:80], v[79:80], -v[99:100]
	buffer_store_dword v77, off, s[20:23], 0 offset:160 ; 4-byte Folded Spill
	s_nop 0
	buffer_store_dword v78, off, s[20:23], 0 offset:164 ; 4-byte Folded Spill
	buffer_store_dword v79, off, s[20:23], 0 offset:168 ; 4-byte Folded Spill
	buffer_store_dword v80, off, s[20:23], 0 offset:172 ; 4-byte Folded Spill
	ds_read2_b64 v[99:102], v125 offset0:72 offset1:73
	buffer_load_dword v77, off, s[20:23], 0 offset:144 ; 4-byte Folded Reload
	buffer_load_dword v78, off, s[20:23], 0 offset:148 ; 4-byte Folded Reload
	buffer_load_dword v79, off, s[20:23], 0 offset:152 ; 4-byte Folded Reload
	buffer_load_dword v80, off, s[20:23], 0 offset:156 ; 4-byte Folded Reload
	s_waitcnt lgkmcnt(0)
	v_mul_f64 v[93:94], v[101:102], v[111:112]
	v_fma_f64 v[93:94], v[99:100], v[97:98], -v[93:94]
	v_mul_f64 v[99:100], v[99:100], v[111:112]
	v_fma_f64 v[99:100], v[101:102], v[97:98], v[99:100]
	s_waitcnt vmcnt(2)
	v_add_f64 v[77:78], v[77:78], -v[93:94]
	s_waitcnt vmcnt(0)
	v_add_f64 v[79:80], v[79:80], -v[99:100]
	buffer_store_dword v77, off, s[20:23], 0 offset:144 ; 4-byte Folded Spill
	s_nop 0
	buffer_store_dword v78, off, s[20:23], 0 offset:148 ; 4-byte Folded Spill
	buffer_store_dword v79, off, s[20:23], 0 offset:152 ; 4-byte Folded Spill
	buffer_store_dword v80, off, s[20:23], 0 offset:156 ; 4-byte Folded Spill
	;; [unrolled: 19-line block ×10, first 2 shown]
	ds_read2_b64 v[99:102], v125 offset0:90 offset1:91
	buffer_load_dword v41, off, s[20:23], 0 ; 4-byte Folded Reload
	buffer_load_dword v42, off, s[20:23], 0 offset:4 ; 4-byte Folded Reload
	buffer_load_dword v43, off, s[20:23], 0 offset:8 ; 4-byte Folded Reload
	;; [unrolled: 1-line block ×3, first 2 shown]
	s_waitcnt lgkmcnt(0)
	v_mul_f64 v[93:94], v[101:102], v[111:112]
	v_fma_f64 v[93:94], v[99:100], v[97:98], -v[93:94]
	v_mul_f64 v[99:100], v[99:100], v[111:112]
	v_fma_f64 v[99:100], v[101:102], v[97:98], v[99:100]
	s_waitcnt vmcnt(2)
	v_add_f64 v[41:42], v[41:42], -v[93:94]
	s_waitcnt vmcnt(0)
	v_add_f64 v[43:44], v[43:44], -v[99:100]
	buffer_store_dword v41, off, s[20:23], 0 ; 4-byte Folded Spill
	s_nop 0
	buffer_store_dword v42, off, s[20:23], 0 offset:4 ; 4-byte Folded Spill
	buffer_store_dword v43, off, s[20:23], 0 offset:8 ; 4-byte Folded Spill
	;; [unrolled: 1-line block ×3, first 2 shown]
	ds_read2_b64 v[99:102], v125 offset0:92 offset1:93
	s_waitcnt lgkmcnt(0)
	v_mul_f64 v[93:94], v[101:102], v[111:112]
	v_fma_f64 v[93:94], v[99:100], v[97:98], -v[93:94]
	v_mul_f64 v[99:100], v[99:100], v[111:112]
	v_add_f64 v[37:38], v[37:38], -v[93:94]
	v_fma_f64 v[99:100], v[101:102], v[97:98], v[99:100]
	v_add_f64 v[39:40], v[39:40], -v[99:100]
	ds_read2_b64 v[99:102], v125 offset0:94 offset1:95
	s_waitcnt lgkmcnt(0)
	v_mul_f64 v[93:94], v[101:102], v[111:112]
	v_fma_f64 v[93:94], v[99:100], v[97:98], -v[93:94]
	v_mul_f64 v[99:100], v[99:100], v[111:112]
	v_add_f64 v[33:34], v[33:34], -v[93:94]
	v_fma_f64 v[99:100], v[101:102], v[97:98], v[99:100]
	v_add_f64 v[35:36], v[35:36], -v[99:100]
	;; [unrolled: 8-line block ×10, first 2 shown]
	ds_read2_b64 v[99:102], v125 offset0:112 offset1:113
	s_waitcnt lgkmcnt(0)
	v_mul_f64 v[93:94], v[101:102], v[111:112]
	v_fma_f64 v[93:94], v[99:100], v[97:98], -v[93:94]
	v_mul_f64 v[99:100], v[99:100], v[111:112]
	buffer_store_dword v109, off, s[20:23], 0 offset:192 ; 4-byte Folded Spill
	s_nop 0
	buffer_store_dword v110, off, s[20:23], 0 offset:196 ; 4-byte Folded Spill
	buffer_store_dword v111, off, s[20:23], 0 offset:200 ; 4-byte Folded Spill
	;; [unrolled: 1-line block ×3, first 2 shown]
	v_add_f64 v[121:122], v[121:122], -v[93:94]
	v_fma_f64 v[99:100], v[101:102], v[97:98], v[99:100]
	v_mov_b32_e32 v91, v103
	v_mov_b32_e32 v92, v104
	;; [unrolled: 1-line block ×4, first 2 shown]
	v_add_f64 v[123:124], v[123:124], -v[99:100]
.LBB113_298:
	s_or_b64 exec, exec, s[2:3]
	v_cmp_eq_u32_e32 vcc, 33, v0
	s_waitcnt vmcnt(0)
	s_barrier
	s_and_saveexec_b64 s[4:5], vcc
	s_cbranch_execz .LBB113_305
; %bb.299:
	buffer_load_dword v95, off, s[20:23], 0 offset:176 ; 4-byte Folded Reload
	buffer_load_dword v96, off, s[20:23], 0 offset:180 ; 4-byte Folded Reload
	;; [unrolled: 1-line block ×4, first 2 shown]
	s_waitcnt vmcnt(0)
	ds_write2_b64 v127, v[95:96], v[97:98] offset1:1
	ds_write2_b64 v125, v[91:92], v[93:94] offset0:68 offset1:69
	buffer_load_dword v77, off, s[20:23], 0 offset:160 ; 4-byte Folded Reload
	buffer_load_dword v78, off, s[20:23], 0 offset:164 ; 4-byte Folded Reload
	buffer_load_dword v79, off, s[20:23], 0 offset:168 ; 4-byte Folded Reload
	buffer_load_dword v80, off, s[20:23], 0 offset:172 ; 4-byte Folded Reload
	s_waitcnt vmcnt(0)
	ds_write2_b64 v125, v[77:78], v[79:80] offset0:70 offset1:71
	buffer_load_dword v77, off, s[20:23], 0 offset:144 ; 4-byte Folded Reload
	buffer_load_dword v78, off, s[20:23], 0 offset:148 ; 4-byte Folded Reload
	buffer_load_dword v79, off, s[20:23], 0 offset:152 ; 4-byte Folded Reload
	buffer_load_dword v80, off, s[20:23], 0 offset:156 ; 4-byte Folded Reload
	s_waitcnt vmcnt(0)
	;; [unrolled: 6-line block ×10, first 2 shown]
	ds_write2_b64 v125, v[45:46], v[47:48] offset0:88 offset1:89
	buffer_load_dword v41, off, s[20:23], 0 ; 4-byte Folded Reload
	buffer_load_dword v42, off, s[20:23], 0 offset:4 ; 4-byte Folded Reload
	buffer_load_dword v43, off, s[20:23], 0 offset:8 ; 4-byte Folded Reload
	;; [unrolled: 1-line block ×3, first 2 shown]
	s_waitcnt vmcnt(0)
	ds_write2_b64 v125, v[41:42], v[43:44] offset0:90 offset1:91
	ds_write2_b64 v125, v[37:38], v[39:40] offset0:92 offset1:93
	;; [unrolled: 1-line block ×12, first 2 shown]
	ds_read2_b64 v[97:100], v127 offset1:1
	s_waitcnt lgkmcnt(0)
	v_cmp_neq_f64_e32 vcc, 0, v[97:98]
	v_cmp_neq_f64_e64 s[2:3], 0, v[99:100]
	s_or_b64 s[2:3], vcc, s[2:3]
	s_and_b64 exec, exec, s[2:3]
	s_cbranch_execz .LBB113_305
; %bb.300:
	v_cmp_ngt_f64_e64 s[2:3], |v[97:98]|, |v[99:100]|
                                        ; implicit-def: $vgpr101_vgpr102
	s_and_saveexec_b64 s[6:7], s[2:3]
	s_xor_b64 s[2:3], exec, s[6:7]
                                        ; implicit-def: $vgpr103_vgpr104
	s_cbranch_execz .LBB113_302
; %bb.301:
	v_div_scale_f64 v[101:102], s[6:7], v[99:100], v[99:100], v[97:98]
	v_rcp_f64_e32 v[103:104], v[101:102]
	v_fma_f64 v[105:106], -v[101:102], v[103:104], 1.0
	v_fma_f64 v[103:104], v[103:104], v[105:106], v[103:104]
	v_div_scale_f64 v[105:106], vcc, v[97:98], v[99:100], v[97:98]
	v_fma_f64 v[107:108], -v[101:102], v[103:104], 1.0
	v_fma_f64 v[103:104], v[103:104], v[107:108], v[103:104]
	v_mul_f64 v[107:108], v[105:106], v[103:104]
	v_fma_f64 v[101:102], -v[101:102], v[107:108], v[105:106]
	v_div_fmas_f64 v[101:102], v[101:102], v[103:104], v[107:108]
	v_div_fixup_f64 v[101:102], v[101:102], v[99:100], v[97:98]
	v_fma_f64 v[97:98], v[97:98], v[101:102], v[99:100]
	v_div_scale_f64 v[99:100], s[6:7], v[97:98], v[97:98], 1.0
	v_div_scale_f64 v[107:108], vcc, 1.0, v[97:98], 1.0
	v_rcp_f64_e32 v[103:104], v[99:100]
	v_fma_f64 v[105:106], -v[99:100], v[103:104], 1.0
	v_fma_f64 v[103:104], v[103:104], v[105:106], v[103:104]
	v_fma_f64 v[105:106], -v[99:100], v[103:104], 1.0
	v_fma_f64 v[103:104], v[103:104], v[105:106], v[103:104]
	v_mul_f64 v[105:106], v[107:108], v[103:104]
	v_fma_f64 v[99:100], -v[99:100], v[105:106], v[107:108]
	v_div_fmas_f64 v[99:100], v[99:100], v[103:104], v[105:106]
	v_div_fixup_f64 v[103:104], v[99:100], v[97:98], 1.0
                                        ; implicit-def: $vgpr97_vgpr98
	v_mul_f64 v[101:102], v[101:102], v[103:104]
	v_xor_b32_e32 v104, 0x80000000, v104
.LBB113_302:
	s_andn2_saveexec_b64 s[2:3], s[2:3]
	s_cbranch_execz .LBB113_304
; %bb.303:
	v_div_scale_f64 v[101:102], s[6:7], v[97:98], v[97:98], v[99:100]
	v_rcp_f64_e32 v[103:104], v[101:102]
	v_fma_f64 v[105:106], -v[101:102], v[103:104], 1.0
	v_fma_f64 v[103:104], v[103:104], v[105:106], v[103:104]
	v_div_scale_f64 v[105:106], vcc, v[99:100], v[97:98], v[99:100]
	v_fma_f64 v[107:108], -v[101:102], v[103:104], 1.0
	v_fma_f64 v[103:104], v[103:104], v[107:108], v[103:104]
	v_mul_f64 v[107:108], v[105:106], v[103:104]
	v_fma_f64 v[101:102], -v[101:102], v[107:108], v[105:106]
	v_div_fmas_f64 v[101:102], v[101:102], v[103:104], v[107:108]
	v_div_fixup_f64 v[103:104], v[101:102], v[97:98], v[99:100]
	v_fma_f64 v[97:98], v[99:100], v[103:104], v[97:98]
	v_div_scale_f64 v[99:100], s[6:7], v[97:98], v[97:98], 1.0
	v_div_scale_f64 v[107:108], vcc, 1.0, v[97:98], 1.0
	v_rcp_f64_e32 v[101:102], v[99:100]
	v_fma_f64 v[105:106], -v[99:100], v[101:102], 1.0
	v_fma_f64 v[101:102], v[101:102], v[105:106], v[101:102]
	v_fma_f64 v[105:106], -v[99:100], v[101:102], 1.0
	v_fma_f64 v[101:102], v[101:102], v[105:106], v[101:102]
	v_mul_f64 v[105:106], v[107:108], v[101:102]
	v_fma_f64 v[99:100], -v[99:100], v[105:106], v[107:108]
	v_div_fmas_f64 v[99:100], v[99:100], v[101:102], v[105:106]
	v_div_fixup_f64 v[101:102], v[99:100], v[97:98], 1.0
	v_mul_f64 v[103:104], v[103:104], -v[101:102]
.LBB113_304:
	s_or_b64 exec, exec, s[2:3]
	ds_write2_b64 v127, v[101:102], v[103:104] offset1:1
.LBB113_305:
	s_or_b64 exec, exec, s[4:5]
	s_waitcnt lgkmcnt(0)
	s_barrier
	ds_read2_b64 v[87:90], v127 offset1:1
	v_cmp_lt_u32_e32 vcc, 33, v0
	s_waitcnt lgkmcnt(0)
	buffer_store_dword v87, off, s[20:23], 0 offset:1696 ; 4-byte Folded Spill
	s_nop 0
	buffer_store_dword v88, off, s[20:23], 0 offset:1700 ; 4-byte Folded Spill
	buffer_store_dword v89, off, s[20:23], 0 offset:1704 ; 4-byte Folded Spill
	;; [unrolled: 1-line block ×3, first 2 shown]
	s_and_saveexec_b64 s[2:3], vcc
	s_cbranch_execz .LBB113_307
; %bb.306:
	buffer_load_dword v107, off, s[20:23], 0 offset:176 ; 4-byte Folded Reload
	buffer_load_dword v108, off, s[20:23], 0 offset:180 ; 4-byte Folded Reload
	;; [unrolled: 1-line block ×8, first 2 shown]
	v_mov_b32_e32 v106, v94
	v_mov_b32_e32 v105, v93
	;; [unrolled: 1-line block ×4, first 2 shown]
	ds_read2_b64 v[99:102], v125 offset0:68 offset1:69
	s_waitcnt vmcnt(2)
	v_mul_f64 v[91:92], v[87:88], v[109:110]
	s_waitcnt vmcnt(0)
	v_mul_f64 v[97:98], v[89:90], v[109:110]
	v_fma_f64 v[109:110], v[89:90], v[107:108], v[91:92]
	v_fma_f64 v[97:98], v[87:88], v[107:108], -v[97:98]
	s_waitcnt lgkmcnt(0)
	v_mul_f64 v[89:90], v[101:102], v[109:110]
	v_mov_b32_e32 v108, v98
	v_mov_b32_e32 v107, v97
	v_fma_f64 v[89:90], v[99:100], v[97:98], -v[89:90]
	v_mul_f64 v[99:100], v[99:100], v[109:110]
	v_add_f64 v[103:104], v[103:104], -v[89:90]
	v_fma_f64 v[99:100], v[101:102], v[97:98], v[99:100]
	v_add_f64 v[105:106], v[105:106], -v[99:100]
	ds_read2_b64 v[99:102], v125 offset0:70 offset1:71
	buffer_load_dword v77, off, s[20:23], 0 offset:160 ; 4-byte Folded Reload
	buffer_load_dword v78, off, s[20:23], 0 offset:164 ; 4-byte Folded Reload
	;; [unrolled: 1-line block ×4, first 2 shown]
	v_mov_b32_e32 v91, v103
	v_mov_b32_e32 v92, v104
	s_waitcnt lgkmcnt(0)
	v_mul_f64 v[89:90], v[101:102], v[109:110]
	v_mov_b32_e32 v93, v105
	v_mov_b32_e32 v94, v106
	v_fma_f64 v[89:90], v[99:100], v[97:98], -v[89:90]
	v_mul_f64 v[99:100], v[99:100], v[109:110]
	v_fma_f64 v[99:100], v[101:102], v[97:98], v[99:100]
	s_waitcnt vmcnt(2)
	v_add_f64 v[77:78], v[77:78], -v[89:90]
	s_waitcnt vmcnt(0)
	v_add_f64 v[79:80], v[79:80], -v[99:100]
	buffer_store_dword v77, off, s[20:23], 0 offset:160 ; 4-byte Folded Spill
	s_nop 0
	buffer_store_dword v78, off, s[20:23], 0 offset:164 ; 4-byte Folded Spill
	buffer_store_dword v79, off, s[20:23], 0 offset:168 ; 4-byte Folded Spill
	buffer_store_dword v80, off, s[20:23], 0 offset:172 ; 4-byte Folded Spill
	ds_read2_b64 v[99:102], v125 offset0:72 offset1:73
	buffer_load_dword v77, off, s[20:23], 0 offset:144 ; 4-byte Folded Reload
	buffer_load_dword v78, off, s[20:23], 0 offset:148 ; 4-byte Folded Reload
	buffer_load_dword v79, off, s[20:23], 0 offset:152 ; 4-byte Folded Reload
	buffer_load_dword v80, off, s[20:23], 0 offset:156 ; 4-byte Folded Reload
	s_waitcnt lgkmcnt(0)
	v_mul_f64 v[89:90], v[101:102], v[109:110]
	v_fma_f64 v[89:90], v[99:100], v[97:98], -v[89:90]
	v_mul_f64 v[99:100], v[99:100], v[109:110]
	v_fma_f64 v[99:100], v[101:102], v[97:98], v[99:100]
	s_waitcnt vmcnt(2)
	v_add_f64 v[77:78], v[77:78], -v[89:90]
	s_waitcnt vmcnt(0)
	v_add_f64 v[79:80], v[79:80], -v[99:100]
	buffer_store_dword v77, off, s[20:23], 0 offset:144 ; 4-byte Folded Spill
	s_nop 0
	buffer_store_dword v78, off, s[20:23], 0 offset:148 ; 4-byte Folded Spill
	buffer_store_dword v79, off, s[20:23], 0 offset:152 ; 4-byte Folded Spill
	buffer_store_dword v80, off, s[20:23], 0 offset:156 ; 4-byte Folded Spill
	ds_read2_b64 v[99:102], v125 offset0:74 offset1:75
	buffer_load_dword v73, off, s[20:23], 0 offset:128 ; 4-byte Folded Reload
	buffer_load_dword v74, off, s[20:23], 0 offset:132 ; 4-byte Folded Reload
	buffer_load_dword v75, off, s[20:23], 0 offset:136 ; 4-byte Folded Reload
	buffer_load_dword v76, off, s[20:23], 0 offset:140 ; 4-byte Folded Reload
	s_waitcnt lgkmcnt(0)
	v_mul_f64 v[89:90], v[101:102], v[109:110]
	;; [unrolled: 19-line block ×9, first 2 shown]
	v_fma_f64 v[89:90], v[99:100], v[97:98], -v[89:90]
	v_mul_f64 v[99:100], v[99:100], v[109:110]
	v_fma_f64 v[99:100], v[101:102], v[97:98], v[99:100]
	s_waitcnt vmcnt(2)
	v_add_f64 v[45:46], v[45:46], -v[89:90]
	s_waitcnt vmcnt(0)
	v_add_f64 v[47:48], v[47:48], -v[99:100]
	buffer_store_dword v45, off, s[20:23], 0 offset:16 ; 4-byte Folded Spill
	s_nop 0
	buffer_store_dword v46, off, s[20:23], 0 offset:20 ; 4-byte Folded Spill
	buffer_store_dword v47, off, s[20:23], 0 offset:24 ; 4-byte Folded Spill
	;; [unrolled: 1-line block ×3, first 2 shown]
	ds_read2_b64 v[99:102], v125 offset0:90 offset1:91
	buffer_load_dword v41, off, s[20:23], 0 ; 4-byte Folded Reload
	buffer_load_dword v42, off, s[20:23], 0 offset:4 ; 4-byte Folded Reload
	buffer_load_dword v43, off, s[20:23], 0 offset:8 ; 4-byte Folded Reload
	;; [unrolled: 1-line block ×3, first 2 shown]
	s_waitcnt lgkmcnt(0)
	v_mul_f64 v[89:90], v[101:102], v[109:110]
	v_fma_f64 v[89:90], v[99:100], v[97:98], -v[89:90]
	v_mul_f64 v[99:100], v[99:100], v[109:110]
	v_fma_f64 v[99:100], v[101:102], v[97:98], v[99:100]
	s_waitcnt vmcnt(2)
	v_add_f64 v[41:42], v[41:42], -v[89:90]
	s_waitcnt vmcnt(0)
	v_add_f64 v[43:44], v[43:44], -v[99:100]
	buffer_store_dword v41, off, s[20:23], 0 ; 4-byte Folded Spill
	s_nop 0
	buffer_store_dword v42, off, s[20:23], 0 offset:4 ; 4-byte Folded Spill
	buffer_store_dword v43, off, s[20:23], 0 offset:8 ; 4-byte Folded Spill
	;; [unrolled: 1-line block ×3, first 2 shown]
	ds_read2_b64 v[99:102], v125 offset0:92 offset1:93
	s_waitcnt lgkmcnt(0)
	v_mul_f64 v[89:90], v[101:102], v[109:110]
	v_fma_f64 v[89:90], v[99:100], v[97:98], -v[89:90]
	v_mul_f64 v[99:100], v[99:100], v[109:110]
	v_add_f64 v[37:38], v[37:38], -v[89:90]
	v_fma_f64 v[99:100], v[101:102], v[97:98], v[99:100]
	v_add_f64 v[39:40], v[39:40], -v[99:100]
	ds_read2_b64 v[99:102], v125 offset0:94 offset1:95
	s_waitcnt lgkmcnt(0)
	v_mul_f64 v[89:90], v[101:102], v[109:110]
	v_fma_f64 v[89:90], v[99:100], v[97:98], -v[89:90]
	v_mul_f64 v[99:100], v[99:100], v[109:110]
	v_add_f64 v[33:34], v[33:34], -v[89:90]
	v_fma_f64 v[99:100], v[101:102], v[97:98], v[99:100]
	v_add_f64 v[35:36], v[35:36], -v[99:100]
	;; [unrolled: 8-line block ×10, first 2 shown]
	ds_read2_b64 v[99:102], v125 offset0:112 offset1:113
	s_waitcnt lgkmcnt(0)
	v_mul_f64 v[89:90], v[101:102], v[109:110]
	v_fma_f64 v[89:90], v[99:100], v[97:98], -v[89:90]
	v_mul_f64 v[99:100], v[99:100], v[109:110]
	buffer_store_dword v107, off, s[20:23], 0 offset:176 ; 4-byte Folded Spill
	s_nop 0
	buffer_store_dword v108, off, s[20:23], 0 offset:180 ; 4-byte Folded Spill
	buffer_store_dword v109, off, s[20:23], 0 offset:184 ; 4-byte Folded Spill
	;; [unrolled: 1-line block ×3, first 2 shown]
	v_add_f64 v[121:122], v[121:122], -v[89:90]
	v_fma_f64 v[99:100], v[101:102], v[97:98], v[99:100]
	v_add_f64 v[123:124], v[123:124], -v[99:100]
.LBB113_307:
	s_or_b64 exec, exec, s[2:3]
	v_cmp_eq_u32_e32 vcc, 34, v0
	s_waitcnt vmcnt(0)
	s_barrier
	s_and_saveexec_b64 s[4:5], vcc
	s_cbranch_execz .LBB113_314
; %bb.308:
	ds_write2_b64 v127, v[91:92], v[93:94] offset1:1
	buffer_load_dword v77, off, s[20:23], 0 offset:160 ; 4-byte Folded Reload
	buffer_load_dword v78, off, s[20:23], 0 offset:164 ; 4-byte Folded Reload
	buffer_load_dword v79, off, s[20:23], 0 offset:168 ; 4-byte Folded Reload
	buffer_load_dword v80, off, s[20:23], 0 offset:172 ; 4-byte Folded Reload
	s_waitcnt vmcnt(0)
	ds_write2_b64 v125, v[77:78], v[79:80] offset0:70 offset1:71
	buffer_load_dword v77, off, s[20:23], 0 offset:144 ; 4-byte Folded Reload
	buffer_load_dword v78, off, s[20:23], 0 offset:148 ; 4-byte Folded Reload
	buffer_load_dword v79, off, s[20:23], 0 offset:152 ; 4-byte Folded Reload
	buffer_load_dword v80, off, s[20:23], 0 offset:156 ; 4-byte Folded Reload
	s_waitcnt vmcnt(0)
	ds_write2_b64 v125, v[77:78], v[79:80] offset0:72 offset1:73
	;; [unrolled: 6-line block ×10, first 2 shown]
	buffer_load_dword v41, off, s[20:23], 0 ; 4-byte Folded Reload
	buffer_load_dword v42, off, s[20:23], 0 offset:4 ; 4-byte Folded Reload
	buffer_load_dword v43, off, s[20:23], 0 offset:8 ; 4-byte Folded Reload
	;; [unrolled: 1-line block ×3, first 2 shown]
	s_waitcnt vmcnt(0)
	ds_write2_b64 v125, v[41:42], v[43:44] offset0:90 offset1:91
	ds_write2_b64 v125, v[37:38], v[39:40] offset0:92 offset1:93
	;; [unrolled: 1-line block ×12, first 2 shown]
	ds_read2_b64 v[97:100], v127 offset1:1
	s_waitcnt lgkmcnt(0)
	v_cmp_neq_f64_e32 vcc, 0, v[97:98]
	v_cmp_neq_f64_e64 s[2:3], 0, v[99:100]
	s_or_b64 s[2:3], vcc, s[2:3]
	s_and_b64 exec, exec, s[2:3]
	s_cbranch_execz .LBB113_314
; %bb.309:
	v_cmp_ngt_f64_e64 s[2:3], |v[97:98]|, |v[99:100]|
                                        ; implicit-def: $vgpr101_vgpr102
	s_and_saveexec_b64 s[6:7], s[2:3]
	s_xor_b64 s[2:3], exec, s[6:7]
                                        ; implicit-def: $vgpr103_vgpr104
	s_cbranch_execz .LBB113_311
; %bb.310:
	v_div_scale_f64 v[101:102], s[6:7], v[99:100], v[99:100], v[97:98]
	v_rcp_f64_e32 v[103:104], v[101:102]
	v_fma_f64 v[105:106], -v[101:102], v[103:104], 1.0
	v_fma_f64 v[103:104], v[103:104], v[105:106], v[103:104]
	v_div_scale_f64 v[105:106], vcc, v[97:98], v[99:100], v[97:98]
	v_fma_f64 v[107:108], -v[101:102], v[103:104], 1.0
	v_fma_f64 v[103:104], v[103:104], v[107:108], v[103:104]
	v_mul_f64 v[107:108], v[105:106], v[103:104]
	v_fma_f64 v[101:102], -v[101:102], v[107:108], v[105:106]
	v_div_fmas_f64 v[101:102], v[101:102], v[103:104], v[107:108]
	v_div_fixup_f64 v[101:102], v[101:102], v[99:100], v[97:98]
	v_fma_f64 v[97:98], v[97:98], v[101:102], v[99:100]
	v_div_scale_f64 v[99:100], s[6:7], v[97:98], v[97:98], 1.0
	v_div_scale_f64 v[107:108], vcc, 1.0, v[97:98], 1.0
	v_rcp_f64_e32 v[103:104], v[99:100]
	v_fma_f64 v[105:106], -v[99:100], v[103:104], 1.0
	v_fma_f64 v[103:104], v[103:104], v[105:106], v[103:104]
	v_fma_f64 v[105:106], -v[99:100], v[103:104], 1.0
	v_fma_f64 v[103:104], v[103:104], v[105:106], v[103:104]
	v_mul_f64 v[105:106], v[107:108], v[103:104]
	v_fma_f64 v[99:100], -v[99:100], v[105:106], v[107:108]
	v_div_fmas_f64 v[99:100], v[99:100], v[103:104], v[105:106]
	v_div_fixup_f64 v[103:104], v[99:100], v[97:98], 1.0
                                        ; implicit-def: $vgpr97_vgpr98
	v_mul_f64 v[101:102], v[101:102], v[103:104]
	v_xor_b32_e32 v104, 0x80000000, v104
.LBB113_311:
	s_andn2_saveexec_b64 s[2:3], s[2:3]
	s_cbranch_execz .LBB113_313
; %bb.312:
	v_div_scale_f64 v[101:102], s[6:7], v[97:98], v[97:98], v[99:100]
	v_rcp_f64_e32 v[103:104], v[101:102]
	v_fma_f64 v[105:106], -v[101:102], v[103:104], 1.0
	v_fma_f64 v[103:104], v[103:104], v[105:106], v[103:104]
	v_div_scale_f64 v[105:106], vcc, v[99:100], v[97:98], v[99:100]
	v_fma_f64 v[107:108], -v[101:102], v[103:104], 1.0
	v_fma_f64 v[103:104], v[103:104], v[107:108], v[103:104]
	v_mul_f64 v[107:108], v[105:106], v[103:104]
	v_fma_f64 v[101:102], -v[101:102], v[107:108], v[105:106]
	v_div_fmas_f64 v[101:102], v[101:102], v[103:104], v[107:108]
	v_div_fixup_f64 v[103:104], v[101:102], v[97:98], v[99:100]
	v_fma_f64 v[97:98], v[99:100], v[103:104], v[97:98]
	v_div_scale_f64 v[99:100], s[6:7], v[97:98], v[97:98], 1.0
	v_div_scale_f64 v[107:108], vcc, 1.0, v[97:98], 1.0
	v_rcp_f64_e32 v[101:102], v[99:100]
	v_fma_f64 v[105:106], -v[99:100], v[101:102], 1.0
	v_fma_f64 v[101:102], v[101:102], v[105:106], v[101:102]
	v_fma_f64 v[105:106], -v[99:100], v[101:102], 1.0
	v_fma_f64 v[101:102], v[101:102], v[105:106], v[101:102]
	v_mul_f64 v[105:106], v[107:108], v[101:102]
	v_fma_f64 v[99:100], -v[99:100], v[105:106], v[107:108]
	v_div_fmas_f64 v[99:100], v[99:100], v[101:102], v[105:106]
	v_div_fixup_f64 v[101:102], v[99:100], v[97:98], 1.0
	v_mul_f64 v[103:104], v[103:104], -v[101:102]
.LBB113_313:
	s_or_b64 exec, exec, s[2:3]
	ds_write2_b64 v127, v[101:102], v[103:104] offset1:1
.LBB113_314:
	s_or_b64 exec, exec, s[4:5]
	s_waitcnt lgkmcnt(0)
	s_barrier
	ds_read2_b64 v[87:90], v127 offset1:1
	v_cmp_lt_u32_e32 vcc, 34, v0
	s_waitcnt lgkmcnt(0)
	buffer_store_dword v87, off, s[20:23], 0 offset:1712 ; 4-byte Folded Spill
	s_nop 0
	buffer_store_dword v88, off, s[20:23], 0 offset:1716 ; 4-byte Folded Spill
	buffer_store_dword v89, off, s[20:23], 0 offset:1720 ; 4-byte Folded Spill
	;; [unrolled: 1-line block ×3, first 2 shown]
	s_and_saveexec_b64 s[2:3], vcc
	s_cbranch_execz .LBB113_316
; %bb.315:
	buffer_load_dword v87, off, s[20:23], 0 offset:1712 ; 4-byte Folded Reload
	buffer_load_dword v88, off, s[20:23], 0 offset:1716 ; 4-byte Folded Reload
	;; [unrolled: 1-line block ×4, first 2 shown]
	v_mov_b32_e32 v104, v94
	v_mov_b32_e32 v103, v93
	;; [unrolled: 1-line block ×4, first 2 shown]
	s_waitcnt vmcnt(0)
	v_mul_f64 v[97:98], v[89:90], v[93:94]
	v_fma_f64 v[97:98], v[87:88], v[91:92], -v[97:98]
	v_mul_f64 v[87:88], v[87:88], v[103:104]
	v_mov_b32_e32 v91, v97
	v_fma_f64 v[103:104], v[89:90], v[101:102], v[87:88]
	ds_read2_b64 v[99:102], v125 offset0:70 offset1:71
	buffer_load_dword v77, off, s[20:23], 0 offset:160 ; 4-byte Folded Reload
	buffer_load_dword v78, off, s[20:23], 0 offset:164 ; 4-byte Folded Reload
	;; [unrolled: 1-line block ×4, first 2 shown]
	v_mov_b32_e32 v92, v98
	s_waitcnt lgkmcnt(0)
	v_mul_f64 v[85:86], v[101:102], v[103:104]
	v_mov_b32_e32 v93, v103
	v_mov_b32_e32 v94, v104
	v_fma_f64 v[85:86], v[99:100], v[97:98], -v[85:86]
	v_mul_f64 v[99:100], v[99:100], v[103:104]
	v_fma_f64 v[99:100], v[101:102], v[97:98], v[99:100]
	s_waitcnt vmcnt(2)
	v_add_f64 v[77:78], v[77:78], -v[85:86]
	s_waitcnt vmcnt(0)
	v_add_f64 v[79:80], v[79:80], -v[99:100]
	buffer_store_dword v77, off, s[20:23], 0 offset:160 ; 4-byte Folded Spill
	s_nop 0
	buffer_store_dword v78, off, s[20:23], 0 offset:164 ; 4-byte Folded Spill
	buffer_store_dword v79, off, s[20:23], 0 offset:168 ; 4-byte Folded Spill
	buffer_store_dword v80, off, s[20:23], 0 offset:172 ; 4-byte Folded Spill
	ds_read2_b64 v[99:102], v125 offset0:72 offset1:73
	buffer_load_dword v77, off, s[20:23], 0 offset:144 ; 4-byte Folded Reload
	buffer_load_dword v78, off, s[20:23], 0 offset:148 ; 4-byte Folded Reload
	buffer_load_dword v79, off, s[20:23], 0 offset:152 ; 4-byte Folded Reload
	buffer_load_dword v80, off, s[20:23], 0 offset:156 ; 4-byte Folded Reload
	s_waitcnt lgkmcnt(0)
	v_mul_f64 v[85:86], v[101:102], v[103:104]
	v_fma_f64 v[85:86], v[99:100], v[97:98], -v[85:86]
	v_mul_f64 v[99:100], v[99:100], v[103:104]
	v_fma_f64 v[99:100], v[101:102], v[97:98], v[99:100]
	s_waitcnt vmcnt(2)
	v_add_f64 v[77:78], v[77:78], -v[85:86]
	s_waitcnt vmcnt(0)
	v_add_f64 v[79:80], v[79:80], -v[99:100]
	buffer_store_dword v77, off, s[20:23], 0 offset:144 ; 4-byte Folded Spill
	s_nop 0
	buffer_store_dword v78, off, s[20:23], 0 offset:148 ; 4-byte Folded Spill
	buffer_store_dword v79, off, s[20:23], 0 offset:152 ; 4-byte Folded Spill
	buffer_store_dword v80, off, s[20:23], 0 offset:156 ; 4-byte Folded Spill
	ds_read2_b64 v[99:102], v125 offset0:74 offset1:75
	buffer_load_dword v73, off, s[20:23], 0 offset:128 ; 4-byte Folded Reload
	buffer_load_dword v74, off, s[20:23], 0 offset:132 ; 4-byte Folded Reload
	buffer_load_dword v75, off, s[20:23], 0 offset:136 ; 4-byte Folded Reload
	buffer_load_dword v76, off, s[20:23], 0 offset:140 ; 4-byte Folded Reload
	s_waitcnt lgkmcnt(0)
	v_mul_f64 v[85:86], v[101:102], v[103:104]
	v_fma_f64 v[85:86], v[99:100], v[97:98], -v[85:86]
	v_mul_f64 v[99:100], v[99:100], v[103:104]
	v_fma_f64 v[99:100], v[101:102], v[97:98], v[99:100]
	s_waitcnt vmcnt(2)
	v_add_f64 v[73:74], v[73:74], -v[85:86]
	s_waitcnt vmcnt(0)
	v_add_f64 v[75:76], v[75:76], -v[99:100]
	buffer_store_dword v73, off, s[20:23], 0 offset:128 ; 4-byte Folded Spill
	s_nop 0
	buffer_store_dword v74, off, s[20:23], 0 offset:132 ; 4-byte Folded Spill
	buffer_store_dword v75, off, s[20:23], 0 offset:136 ; 4-byte Folded Spill
	buffer_store_dword v76, off, s[20:23], 0 offset:140 ; 4-byte Folded Spill
	ds_read2_b64 v[99:102], v125 offset0:76 offset1:77
	buffer_load_dword v69, off, s[20:23], 0 offset:112 ; 4-byte Folded Reload
	buffer_load_dword v70, off, s[20:23], 0 offset:116 ; 4-byte Folded Reload
	buffer_load_dword v71, off, s[20:23], 0 offset:120 ; 4-byte Folded Reload
	buffer_load_dword v72, off, s[20:23], 0 offset:124 ; 4-byte Folded Reload
	s_waitcnt lgkmcnt(0)
	v_mul_f64 v[85:86], v[101:102], v[103:104]
	v_fma_f64 v[85:86], v[99:100], v[97:98], -v[85:86]
	v_mul_f64 v[99:100], v[99:100], v[103:104]
	v_fma_f64 v[99:100], v[101:102], v[97:98], v[99:100]
	s_waitcnt vmcnt(2)
	v_add_f64 v[69:70], v[69:70], -v[85:86]
	s_waitcnt vmcnt(0)
	v_add_f64 v[71:72], v[71:72], -v[99:100]
	buffer_store_dword v69, off, s[20:23], 0 offset:112 ; 4-byte Folded Spill
	s_nop 0
	buffer_store_dword v70, off, s[20:23], 0 offset:116 ; 4-byte Folded Spill
	buffer_store_dword v71, off, s[20:23], 0 offset:120 ; 4-byte Folded Spill
	buffer_store_dword v72, off, s[20:23], 0 offset:124 ; 4-byte Folded Spill
	ds_read2_b64 v[99:102], v125 offset0:78 offset1:79
	buffer_load_dword v65, off, s[20:23], 0 offset:96 ; 4-byte Folded Reload
	buffer_load_dword v66, off, s[20:23], 0 offset:100 ; 4-byte Folded Reload
	buffer_load_dword v67, off, s[20:23], 0 offset:104 ; 4-byte Folded Reload
	buffer_load_dword v68, off, s[20:23], 0 offset:108 ; 4-byte Folded Reload
	s_waitcnt lgkmcnt(0)
	v_mul_f64 v[85:86], v[101:102], v[103:104]
	v_fma_f64 v[85:86], v[99:100], v[97:98], -v[85:86]
	v_mul_f64 v[99:100], v[99:100], v[103:104]
	v_fma_f64 v[99:100], v[101:102], v[97:98], v[99:100]
	s_waitcnt vmcnt(2)
	v_add_f64 v[65:66], v[65:66], -v[85:86]
	s_waitcnt vmcnt(0)
	v_add_f64 v[67:68], v[67:68], -v[99:100]
	buffer_store_dword v65, off, s[20:23], 0 offset:96 ; 4-byte Folded Spill
	s_nop 0
	buffer_store_dword v66, off, s[20:23], 0 offset:100 ; 4-byte Folded Spill
	buffer_store_dword v67, off, s[20:23], 0 offset:104 ; 4-byte Folded Spill
	buffer_store_dword v68, off, s[20:23], 0 offset:108 ; 4-byte Folded Spill
	ds_read2_b64 v[99:102], v125 offset0:80 offset1:81
	buffer_load_dword v61, off, s[20:23], 0 offset:80 ; 4-byte Folded Reload
	buffer_load_dword v62, off, s[20:23], 0 offset:84 ; 4-byte Folded Reload
	buffer_load_dword v63, off, s[20:23], 0 offset:88 ; 4-byte Folded Reload
	buffer_load_dword v64, off, s[20:23], 0 offset:92 ; 4-byte Folded Reload
	s_waitcnt lgkmcnt(0)
	v_mul_f64 v[85:86], v[101:102], v[103:104]
	v_fma_f64 v[85:86], v[99:100], v[97:98], -v[85:86]
	v_mul_f64 v[99:100], v[99:100], v[103:104]
	v_fma_f64 v[99:100], v[101:102], v[97:98], v[99:100]
	s_waitcnt vmcnt(2)
	v_add_f64 v[61:62], v[61:62], -v[85:86]
	s_waitcnt vmcnt(0)
	v_add_f64 v[63:64], v[63:64], -v[99:100]
	buffer_store_dword v61, off, s[20:23], 0 offset:80 ; 4-byte Folded Spill
	s_nop 0
	buffer_store_dword v62, off, s[20:23], 0 offset:84 ; 4-byte Folded Spill
	buffer_store_dword v63, off, s[20:23], 0 offset:88 ; 4-byte Folded Spill
	buffer_store_dword v64, off, s[20:23], 0 offset:92 ; 4-byte Folded Spill
	ds_read2_b64 v[99:102], v125 offset0:82 offset1:83
	buffer_load_dword v57, off, s[20:23], 0 offset:64 ; 4-byte Folded Reload
	buffer_load_dword v58, off, s[20:23], 0 offset:68 ; 4-byte Folded Reload
	buffer_load_dword v59, off, s[20:23], 0 offset:72 ; 4-byte Folded Reload
	buffer_load_dword v60, off, s[20:23], 0 offset:76 ; 4-byte Folded Reload
	s_waitcnt lgkmcnt(0)
	v_mul_f64 v[85:86], v[101:102], v[103:104]
	v_fma_f64 v[85:86], v[99:100], v[97:98], -v[85:86]
	v_mul_f64 v[99:100], v[99:100], v[103:104]
	v_fma_f64 v[99:100], v[101:102], v[97:98], v[99:100]
	s_waitcnt vmcnt(2)
	v_add_f64 v[57:58], v[57:58], -v[85:86]
	s_waitcnt vmcnt(0)
	v_add_f64 v[59:60], v[59:60], -v[99:100]
	buffer_store_dword v57, off, s[20:23], 0 offset:64 ; 4-byte Folded Spill
	s_nop 0
	buffer_store_dword v58, off, s[20:23], 0 offset:68 ; 4-byte Folded Spill
	buffer_store_dword v59, off, s[20:23], 0 offset:72 ; 4-byte Folded Spill
	buffer_store_dword v60, off, s[20:23], 0 offset:76 ; 4-byte Folded Spill
	ds_read2_b64 v[99:102], v125 offset0:84 offset1:85
	buffer_load_dword v53, off, s[20:23], 0 offset:48 ; 4-byte Folded Reload
	buffer_load_dword v54, off, s[20:23], 0 offset:52 ; 4-byte Folded Reload
	buffer_load_dword v55, off, s[20:23], 0 offset:56 ; 4-byte Folded Reload
	buffer_load_dword v56, off, s[20:23], 0 offset:60 ; 4-byte Folded Reload
	s_waitcnt lgkmcnt(0)
	v_mul_f64 v[85:86], v[101:102], v[103:104]
	v_fma_f64 v[85:86], v[99:100], v[97:98], -v[85:86]
	v_mul_f64 v[99:100], v[99:100], v[103:104]
	v_fma_f64 v[99:100], v[101:102], v[97:98], v[99:100]
	s_waitcnt vmcnt(2)
	v_add_f64 v[53:54], v[53:54], -v[85:86]
	s_waitcnt vmcnt(0)
	v_add_f64 v[55:56], v[55:56], -v[99:100]
	buffer_store_dword v53, off, s[20:23], 0 offset:48 ; 4-byte Folded Spill
	s_nop 0
	buffer_store_dword v54, off, s[20:23], 0 offset:52 ; 4-byte Folded Spill
	buffer_store_dword v55, off, s[20:23], 0 offset:56 ; 4-byte Folded Spill
	buffer_store_dword v56, off, s[20:23], 0 offset:60 ; 4-byte Folded Spill
	ds_read2_b64 v[99:102], v125 offset0:86 offset1:87
	buffer_load_dword v49, off, s[20:23], 0 offset:32 ; 4-byte Folded Reload
	buffer_load_dword v50, off, s[20:23], 0 offset:36 ; 4-byte Folded Reload
	buffer_load_dword v51, off, s[20:23], 0 offset:40 ; 4-byte Folded Reload
	buffer_load_dword v52, off, s[20:23], 0 offset:44 ; 4-byte Folded Reload
	s_waitcnt lgkmcnt(0)
	v_mul_f64 v[85:86], v[101:102], v[103:104]
	v_fma_f64 v[85:86], v[99:100], v[97:98], -v[85:86]
	v_mul_f64 v[99:100], v[99:100], v[103:104]
	v_fma_f64 v[99:100], v[101:102], v[97:98], v[99:100]
	s_waitcnt vmcnt(2)
	v_add_f64 v[49:50], v[49:50], -v[85:86]
	s_waitcnt vmcnt(0)
	v_add_f64 v[51:52], v[51:52], -v[99:100]
	buffer_store_dword v49, off, s[20:23], 0 offset:32 ; 4-byte Folded Spill
	s_nop 0
	buffer_store_dword v50, off, s[20:23], 0 offset:36 ; 4-byte Folded Spill
	buffer_store_dword v51, off, s[20:23], 0 offset:40 ; 4-byte Folded Spill
	buffer_store_dword v52, off, s[20:23], 0 offset:44 ; 4-byte Folded Spill
	ds_read2_b64 v[99:102], v125 offset0:88 offset1:89
	buffer_load_dword v45, off, s[20:23], 0 offset:16 ; 4-byte Folded Reload
	buffer_load_dword v46, off, s[20:23], 0 offset:20 ; 4-byte Folded Reload
	buffer_load_dword v47, off, s[20:23], 0 offset:24 ; 4-byte Folded Reload
	buffer_load_dword v48, off, s[20:23], 0 offset:28 ; 4-byte Folded Reload
	s_waitcnt lgkmcnt(0)
	v_mul_f64 v[85:86], v[101:102], v[103:104]
	v_fma_f64 v[85:86], v[99:100], v[97:98], -v[85:86]
	v_mul_f64 v[99:100], v[99:100], v[103:104]
	v_fma_f64 v[99:100], v[101:102], v[97:98], v[99:100]
	s_waitcnt vmcnt(2)
	v_add_f64 v[45:46], v[45:46], -v[85:86]
	s_waitcnt vmcnt(0)
	v_add_f64 v[47:48], v[47:48], -v[99:100]
	buffer_store_dword v45, off, s[20:23], 0 offset:16 ; 4-byte Folded Spill
	s_nop 0
	buffer_store_dword v46, off, s[20:23], 0 offset:20 ; 4-byte Folded Spill
	buffer_store_dword v47, off, s[20:23], 0 offset:24 ; 4-byte Folded Spill
	;; [unrolled: 1-line block ×3, first 2 shown]
	ds_read2_b64 v[99:102], v125 offset0:90 offset1:91
	buffer_load_dword v41, off, s[20:23], 0 ; 4-byte Folded Reload
	buffer_load_dword v42, off, s[20:23], 0 offset:4 ; 4-byte Folded Reload
	buffer_load_dword v43, off, s[20:23], 0 offset:8 ; 4-byte Folded Reload
	;; [unrolled: 1-line block ×3, first 2 shown]
	s_waitcnt lgkmcnt(0)
	v_mul_f64 v[85:86], v[101:102], v[103:104]
	v_fma_f64 v[85:86], v[99:100], v[97:98], -v[85:86]
	v_mul_f64 v[99:100], v[99:100], v[103:104]
	v_fma_f64 v[99:100], v[101:102], v[97:98], v[99:100]
	s_waitcnt vmcnt(2)
	v_add_f64 v[41:42], v[41:42], -v[85:86]
	s_waitcnt vmcnt(0)
	v_add_f64 v[43:44], v[43:44], -v[99:100]
	buffer_store_dword v41, off, s[20:23], 0 ; 4-byte Folded Spill
	s_nop 0
	buffer_store_dword v42, off, s[20:23], 0 offset:4 ; 4-byte Folded Spill
	buffer_store_dword v43, off, s[20:23], 0 offset:8 ; 4-byte Folded Spill
	;; [unrolled: 1-line block ×3, first 2 shown]
	ds_read2_b64 v[99:102], v125 offset0:92 offset1:93
	s_waitcnt lgkmcnt(0)
	v_mul_f64 v[85:86], v[101:102], v[103:104]
	v_fma_f64 v[85:86], v[99:100], v[97:98], -v[85:86]
	v_mul_f64 v[99:100], v[99:100], v[103:104]
	v_add_f64 v[37:38], v[37:38], -v[85:86]
	v_fma_f64 v[99:100], v[101:102], v[97:98], v[99:100]
	v_add_f64 v[39:40], v[39:40], -v[99:100]
	ds_read2_b64 v[99:102], v125 offset0:94 offset1:95
	s_waitcnt lgkmcnt(0)
	v_mul_f64 v[85:86], v[101:102], v[103:104]
	v_fma_f64 v[85:86], v[99:100], v[97:98], -v[85:86]
	v_mul_f64 v[99:100], v[99:100], v[103:104]
	v_add_f64 v[33:34], v[33:34], -v[85:86]
	v_fma_f64 v[99:100], v[101:102], v[97:98], v[99:100]
	v_add_f64 v[35:36], v[35:36], -v[99:100]
	;; [unrolled: 8-line block ×11, first 2 shown]
.LBB113_316:
	s_or_b64 exec, exec, s[2:3]
	v_cmp_eq_u32_e32 vcc, 35, v0
	s_waitcnt vmcnt(0)
	s_barrier
	s_and_saveexec_b64 s[4:5], vcc
	s_cbranch_execz .LBB113_323
; %bb.317:
	buffer_load_dword v77, off, s[20:23], 0 offset:160 ; 4-byte Folded Reload
	buffer_load_dword v78, off, s[20:23], 0 offset:164 ; 4-byte Folded Reload
	;; [unrolled: 1-line block ×4, first 2 shown]
	s_waitcnt vmcnt(0)
	ds_write2_b64 v127, v[77:78], v[79:80] offset1:1
	buffer_load_dword v77, off, s[20:23], 0 offset:144 ; 4-byte Folded Reload
	buffer_load_dword v78, off, s[20:23], 0 offset:148 ; 4-byte Folded Reload
	buffer_load_dword v79, off, s[20:23], 0 offset:152 ; 4-byte Folded Reload
	buffer_load_dword v80, off, s[20:23], 0 offset:156 ; 4-byte Folded Reload
	s_waitcnt vmcnt(0)
	ds_write2_b64 v125, v[77:78], v[79:80] offset0:72 offset1:73
	buffer_load_dword v73, off, s[20:23], 0 offset:128 ; 4-byte Folded Reload
	buffer_load_dword v74, off, s[20:23], 0 offset:132 ; 4-byte Folded Reload
	buffer_load_dword v75, off, s[20:23], 0 offset:136 ; 4-byte Folded Reload
	buffer_load_dword v76, off, s[20:23], 0 offset:140 ; 4-byte Folded Reload
	s_waitcnt vmcnt(0)
	ds_write2_b64 v125, v[73:74], v[75:76] offset0:74 offset1:75
	;; [unrolled: 6-line block ×9, first 2 shown]
	buffer_load_dword v41, off, s[20:23], 0 ; 4-byte Folded Reload
	buffer_load_dword v42, off, s[20:23], 0 offset:4 ; 4-byte Folded Reload
	buffer_load_dword v43, off, s[20:23], 0 offset:8 ; 4-byte Folded Reload
	;; [unrolled: 1-line block ×3, first 2 shown]
	s_waitcnt vmcnt(0)
	ds_write2_b64 v125, v[41:42], v[43:44] offset0:90 offset1:91
	ds_write2_b64 v125, v[37:38], v[39:40] offset0:92 offset1:93
	;; [unrolled: 1-line block ×12, first 2 shown]
	ds_read2_b64 v[97:100], v127 offset1:1
	s_waitcnt lgkmcnt(0)
	v_cmp_neq_f64_e32 vcc, 0, v[97:98]
	v_cmp_neq_f64_e64 s[2:3], 0, v[99:100]
	s_or_b64 s[2:3], vcc, s[2:3]
	s_and_b64 exec, exec, s[2:3]
	s_cbranch_execz .LBB113_323
; %bb.318:
	v_cmp_ngt_f64_e64 s[2:3], |v[97:98]|, |v[99:100]|
                                        ; implicit-def: $vgpr101_vgpr102
	s_and_saveexec_b64 s[6:7], s[2:3]
	s_xor_b64 s[2:3], exec, s[6:7]
                                        ; implicit-def: $vgpr103_vgpr104
	s_cbranch_execz .LBB113_320
; %bb.319:
	v_div_scale_f64 v[101:102], s[6:7], v[99:100], v[99:100], v[97:98]
	v_rcp_f64_e32 v[103:104], v[101:102]
	v_fma_f64 v[105:106], -v[101:102], v[103:104], 1.0
	v_fma_f64 v[103:104], v[103:104], v[105:106], v[103:104]
	v_div_scale_f64 v[105:106], vcc, v[97:98], v[99:100], v[97:98]
	v_fma_f64 v[107:108], -v[101:102], v[103:104], 1.0
	v_fma_f64 v[103:104], v[103:104], v[107:108], v[103:104]
	v_mul_f64 v[107:108], v[105:106], v[103:104]
	v_fma_f64 v[101:102], -v[101:102], v[107:108], v[105:106]
	v_div_fmas_f64 v[101:102], v[101:102], v[103:104], v[107:108]
	v_div_fixup_f64 v[101:102], v[101:102], v[99:100], v[97:98]
	v_fma_f64 v[97:98], v[97:98], v[101:102], v[99:100]
	v_div_scale_f64 v[99:100], s[6:7], v[97:98], v[97:98], 1.0
	v_div_scale_f64 v[107:108], vcc, 1.0, v[97:98], 1.0
	v_rcp_f64_e32 v[103:104], v[99:100]
	v_fma_f64 v[105:106], -v[99:100], v[103:104], 1.0
	v_fma_f64 v[103:104], v[103:104], v[105:106], v[103:104]
	v_fma_f64 v[105:106], -v[99:100], v[103:104], 1.0
	v_fma_f64 v[103:104], v[103:104], v[105:106], v[103:104]
	v_mul_f64 v[105:106], v[107:108], v[103:104]
	v_fma_f64 v[99:100], -v[99:100], v[105:106], v[107:108]
	v_div_fmas_f64 v[99:100], v[99:100], v[103:104], v[105:106]
	v_div_fixup_f64 v[103:104], v[99:100], v[97:98], 1.0
                                        ; implicit-def: $vgpr97_vgpr98
	v_mul_f64 v[101:102], v[101:102], v[103:104]
	v_xor_b32_e32 v104, 0x80000000, v104
.LBB113_320:
	s_andn2_saveexec_b64 s[2:3], s[2:3]
	s_cbranch_execz .LBB113_322
; %bb.321:
	v_div_scale_f64 v[101:102], s[6:7], v[97:98], v[97:98], v[99:100]
	v_rcp_f64_e32 v[103:104], v[101:102]
	v_fma_f64 v[105:106], -v[101:102], v[103:104], 1.0
	v_fma_f64 v[103:104], v[103:104], v[105:106], v[103:104]
	v_div_scale_f64 v[105:106], vcc, v[99:100], v[97:98], v[99:100]
	v_fma_f64 v[107:108], -v[101:102], v[103:104], 1.0
	v_fma_f64 v[103:104], v[103:104], v[107:108], v[103:104]
	v_mul_f64 v[107:108], v[105:106], v[103:104]
	v_fma_f64 v[101:102], -v[101:102], v[107:108], v[105:106]
	v_div_fmas_f64 v[101:102], v[101:102], v[103:104], v[107:108]
	v_div_fixup_f64 v[103:104], v[101:102], v[97:98], v[99:100]
	v_fma_f64 v[97:98], v[99:100], v[103:104], v[97:98]
	v_div_scale_f64 v[99:100], s[6:7], v[97:98], v[97:98], 1.0
	v_div_scale_f64 v[107:108], vcc, 1.0, v[97:98], 1.0
	v_rcp_f64_e32 v[101:102], v[99:100]
	v_fma_f64 v[105:106], -v[99:100], v[101:102], 1.0
	v_fma_f64 v[101:102], v[101:102], v[105:106], v[101:102]
	v_fma_f64 v[105:106], -v[99:100], v[101:102], 1.0
	v_fma_f64 v[101:102], v[101:102], v[105:106], v[101:102]
	v_mul_f64 v[105:106], v[107:108], v[101:102]
	v_fma_f64 v[99:100], -v[99:100], v[105:106], v[107:108]
	v_div_fmas_f64 v[99:100], v[99:100], v[101:102], v[105:106]
	v_div_fixup_f64 v[101:102], v[99:100], v[97:98], 1.0
	v_mul_f64 v[103:104], v[103:104], -v[101:102]
.LBB113_322:
	s_or_b64 exec, exec, s[2:3]
	ds_write2_b64 v127, v[101:102], v[103:104] offset1:1
.LBB113_323:
	s_or_b64 exec, exec, s[4:5]
	s_waitcnt lgkmcnt(0)
	s_barrier
	ds_read2_b64 v[85:88], v127 offset1:1
	v_cmp_lt_u32_e32 vcc, 35, v0
	s_waitcnt lgkmcnt(0)
	buffer_store_dword v85, off, s[20:23], 0 offset:1752 ; 4-byte Folded Spill
	s_nop 0
	buffer_store_dword v86, off, s[20:23], 0 offset:1756 ; 4-byte Folded Spill
	buffer_store_dword v87, off, s[20:23], 0 offset:1760 ; 4-byte Folded Spill
	;; [unrolled: 1-line block ×3, first 2 shown]
	s_and_saveexec_b64 s[2:3], vcc
	s_cbranch_execz .LBB113_325
; %bb.324:
	buffer_load_dword v85, off, s[20:23], 0 offset:1752 ; 4-byte Folded Reload
	buffer_load_dword v86, off, s[20:23], 0 offset:1756 ; 4-byte Folded Reload
	;; [unrolled: 1-line block ×8, first 2 shown]
	ds_read2_b64 v[99:102], v125 offset0:72 offset1:73
	buffer_load_dword v77, off, s[20:23], 0 offset:144 ; 4-byte Folded Reload
	buffer_load_dword v78, off, s[20:23], 0 offset:148 ; 4-byte Folded Reload
	;; [unrolled: 1-line block ×4, first 2 shown]
	s_waitcnt vmcnt(4)
	v_mul_f64 v[97:98], v[87:88], v[83:84]
	v_mul_f64 v[83:84], v[85:86], v[83:84]
	v_fma_f64 v[97:98], v[85:86], v[81:82], -v[97:98]
	v_fma_f64 v[83:84], v[87:88], v[81:82], v[83:84]
	s_waitcnt lgkmcnt(0)
	v_mul_f64 v[81:82], v[101:102], v[83:84]
	v_fma_f64 v[81:82], v[99:100], v[97:98], -v[81:82]
	v_mul_f64 v[99:100], v[99:100], v[83:84]
	s_waitcnt vmcnt(2)
	v_add_f64 v[77:78], v[77:78], -v[81:82]
	v_fma_f64 v[99:100], v[101:102], v[97:98], v[99:100]
	s_waitcnt vmcnt(0)
	v_add_f64 v[79:80], v[79:80], -v[99:100]
	buffer_store_dword v77, off, s[20:23], 0 offset:144 ; 4-byte Folded Spill
	s_nop 0
	buffer_store_dword v78, off, s[20:23], 0 offset:148 ; 4-byte Folded Spill
	buffer_store_dword v79, off, s[20:23], 0 offset:152 ; 4-byte Folded Spill
	buffer_store_dword v80, off, s[20:23], 0 offset:156 ; 4-byte Folded Spill
	ds_read2_b64 v[99:102], v125 offset0:74 offset1:75
	buffer_load_dword v73, off, s[20:23], 0 offset:128 ; 4-byte Folded Reload
	buffer_load_dword v74, off, s[20:23], 0 offset:132 ; 4-byte Folded Reload
	buffer_load_dword v75, off, s[20:23], 0 offset:136 ; 4-byte Folded Reload
	buffer_load_dword v76, off, s[20:23], 0 offset:140 ; 4-byte Folded Reload
	s_waitcnt lgkmcnt(0)
	v_mul_f64 v[81:82], v[101:102], v[83:84]
	v_fma_f64 v[81:82], v[99:100], v[97:98], -v[81:82]
	v_mul_f64 v[99:100], v[99:100], v[83:84]
	v_fma_f64 v[99:100], v[101:102], v[97:98], v[99:100]
	s_waitcnt vmcnt(2)
	v_add_f64 v[73:74], v[73:74], -v[81:82]
	s_waitcnt vmcnt(0)
	v_add_f64 v[75:76], v[75:76], -v[99:100]
	buffer_store_dword v73, off, s[20:23], 0 offset:128 ; 4-byte Folded Spill
	s_nop 0
	buffer_store_dword v74, off, s[20:23], 0 offset:132 ; 4-byte Folded Spill
	buffer_store_dword v75, off, s[20:23], 0 offset:136 ; 4-byte Folded Spill
	buffer_store_dword v76, off, s[20:23], 0 offset:140 ; 4-byte Folded Spill
	ds_read2_b64 v[99:102], v125 offset0:76 offset1:77
	buffer_load_dword v69, off, s[20:23], 0 offset:112 ; 4-byte Folded Reload
	buffer_load_dword v70, off, s[20:23], 0 offset:116 ; 4-byte Folded Reload
	buffer_load_dword v71, off, s[20:23], 0 offset:120 ; 4-byte Folded Reload
	buffer_load_dword v72, off, s[20:23], 0 offset:124 ; 4-byte Folded Reload
	s_waitcnt lgkmcnt(0)
	v_mul_f64 v[81:82], v[101:102], v[83:84]
	v_fma_f64 v[81:82], v[99:100], v[97:98], -v[81:82]
	v_mul_f64 v[99:100], v[99:100], v[83:84]
	v_fma_f64 v[99:100], v[101:102], v[97:98], v[99:100]
	s_waitcnt vmcnt(2)
	v_add_f64 v[69:70], v[69:70], -v[81:82]
	;; [unrolled: 19-line block ×8, first 2 shown]
	s_waitcnt vmcnt(0)
	v_add_f64 v[47:48], v[47:48], -v[99:100]
	buffer_store_dword v45, off, s[20:23], 0 offset:16 ; 4-byte Folded Spill
	s_nop 0
	buffer_store_dword v46, off, s[20:23], 0 offset:20 ; 4-byte Folded Spill
	buffer_store_dword v47, off, s[20:23], 0 offset:24 ; 4-byte Folded Spill
	;; [unrolled: 1-line block ×3, first 2 shown]
	ds_read2_b64 v[99:102], v125 offset0:90 offset1:91
	buffer_load_dword v41, off, s[20:23], 0 ; 4-byte Folded Reload
	buffer_load_dword v42, off, s[20:23], 0 offset:4 ; 4-byte Folded Reload
	buffer_load_dword v43, off, s[20:23], 0 offset:8 ; 4-byte Folded Reload
	;; [unrolled: 1-line block ×3, first 2 shown]
	s_waitcnt lgkmcnt(0)
	v_mul_f64 v[81:82], v[101:102], v[83:84]
	v_fma_f64 v[81:82], v[99:100], v[97:98], -v[81:82]
	v_mul_f64 v[99:100], v[99:100], v[83:84]
	v_fma_f64 v[99:100], v[101:102], v[97:98], v[99:100]
	s_waitcnt vmcnt(2)
	v_add_f64 v[41:42], v[41:42], -v[81:82]
	s_waitcnt vmcnt(0)
	v_add_f64 v[43:44], v[43:44], -v[99:100]
	buffer_store_dword v41, off, s[20:23], 0 ; 4-byte Folded Spill
	s_nop 0
	buffer_store_dword v42, off, s[20:23], 0 offset:4 ; 4-byte Folded Spill
	buffer_store_dword v43, off, s[20:23], 0 offset:8 ; 4-byte Folded Spill
	;; [unrolled: 1-line block ×3, first 2 shown]
	ds_read2_b64 v[99:102], v125 offset0:92 offset1:93
	s_waitcnt lgkmcnt(0)
	v_mul_f64 v[81:82], v[101:102], v[83:84]
	v_fma_f64 v[81:82], v[99:100], v[97:98], -v[81:82]
	v_mul_f64 v[99:100], v[99:100], v[83:84]
	v_add_f64 v[37:38], v[37:38], -v[81:82]
	v_fma_f64 v[99:100], v[101:102], v[97:98], v[99:100]
	v_add_f64 v[39:40], v[39:40], -v[99:100]
	ds_read2_b64 v[99:102], v125 offset0:94 offset1:95
	s_waitcnt lgkmcnt(0)
	v_mul_f64 v[81:82], v[101:102], v[83:84]
	v_fma_f64 v[81:82], v[99:100], v[97:98], -v[81:82]
	v_mul_f64 v[99:100], v[99:100], v[83:84]
	v_add_f64 v[33:34], v[33:34], -v[81:82]
	v_fma_f64 v[99:100], v[101:102], v[97:98], v[99:100]
	v_add_f64 v[35:36], v[35:36], -v[99:100]
	;; [unrolled: 8-line block ×10, first 2 shown]
	ds_read2_b64 v[99:102], v125 offset0:112 offset1:113
	s_waitcnt lgkmcnt(0)
	v_mul_f64 v[81:82], v[101:102], v[83:84]
	v_fma_f64 v[81:82], v[99:100], v[97:98], -v[81:82]
	v_mul_f64 v[99:100], v[99:100], v[83:84]
	v_add_f64 v[121:122], v[121:122], -v[81:82]
	v_fma_f64 v[99:100], v[101:102], v[97:98], v[99:100]
	v_mov_b32_e32 v81, v97
	v_mov_b32_e32 v82, v98
	buffer_store_dword v81, off, s[20:23], 0 offset:160 ; 4-byte Folded Spill
	s_nop 0
	buffer_store_dword v82, off, s[20:23], 0 offset:164 ; 4-byte Folded Spill
	buffer_store_dword v83, off, s[20:23], 0 offset:168 ; 4-byte Folded Spill
	;; [unrolled: 1-line block ×3, first 2 shown]
	v_add_f64 v[123:124], v[123:124], -v[99:100]
.LBB113_325:
	s_or_b64 exec, exec, s[2:3]
	v_cmp_eq_u32_e32 vcc, 36, v0
	s_waitcnt vmcnt(0)
	s_barrier
	s_and_saveexec_b64 s[4:5], vcc
	s_cbranch_execz .LBB113_332
; %bb.326:
	buffer_load_dword v77, off, s[20:23], 0 offset:144 ; 4-byte Folded Reload
	buffer_load_dword v78, off, s[20:23], 0 offset:148 ; 4-byte Folded Reload
	;; [unrolled: 1-line block ×4, first 2 shown]
	s_waitcnt vmcnt(0)
	ds_write2_b64 v127, v[77:78], v[79:80] offset1:1
	buffer_load_dword v73, off, s[20:23], 0 offset:128 ; 4-byte Folded Reload
	buffer_load_dword v74, off, s[20:23], 0 offset:132 ; 4-byte Folded Reload
	buffer_load_dword v75, off, s[20:23], 0 offset:136 ; 4-byte Folded Reload
	buffer_load_dword v76, off, s[20:23], 0 offset:140 ; 4-byte Folded Reload
	s_waitcnt vmcnt(0)
	ds_write2_b64 v125, v[73:74], v[75:76] offset0:74 offset1:75
	buffer_load_dword v69, off, s[20:23], 0 offset:112 ; 4-byte Folded Reload
	buffer_load_dword v70, off, s[20:23], 0 offset:116 ; 4-byte Folded Reload
	buffer_load_dword v71, off, s[20:23], 0 offset:120 ; 4-byte Folded Reload
	buffer_load_dword v72, off, s[20:23], 0 offset:124 ; 4-byte Folded Reload
	s_waitcnt vmcnt(0)
	ds_write2_b64 v125, v[69:70], v[71:72] offset0:76 offset1:77
	;; [unrolled: 6-line block ×8, first 2 shown]
	buffer_load_dword v41, off, s[20:23], 0 ; 4-byte Folded Reload
	buffer_load_dword v42, off, s[20:23], 0 offset:4 ; 4-byte Folded Reload
	buffer_load_dword v43, off, s[20:23], 0 offset:8 ; 4-byte Folded Reload
	;; [unrolled: 1-line block ×3, first 2 shown]
	s_waitcnt vmcnt(0)
	ds_write2_b64 v125, v[41:42], v[43:44] offset0:90 offset1:91
	ds_write2_b64 v125, v[37:38], v[39:40] offset0:92 offset1:93
	;; [unrolled: 1-line block ×12, first 2 shown]
	ds_read2_b64 v[97:100], v127 offset1:1
	s_waitcnt lgkmcnt(0)
	v_cmp_neq_f64_e32 vcc, 0, v[97:98]
	v_cmp_neq_f64_e64 s[2:3], 0, v[99:100]
	s_or_b64 s[2:3], vcc, s[2:3]
	s_and_b64 exec, exec, s[2:3]
	s_cbranch_execz .LBB113_332
; %bb.327:
	v_cmp_ngt_f64_e64 s[2:3], |v[97:98]|, |v[99:100]|
                                        ; implicit-def: $vgpr101_vgpr102
	s_and_saveexec_b64 s[6:7], s[2:3]
	s_xor_b64 s[2:3], exec, s[6:7]
                                        ; implicit-def: $vgpr103_vgpr104
	s_cbranch_execz .LBB113_329
; %bb.328:
	v_div_scale_f64 v[101:102], s[6:7], v[99:100], v[99:100], v[97:98]
	v_rcp_f64_e32 v[103:104], v[101:102]
	v_fma_f64 v[105:106], -v[101:102], v[103:104], 1.0
	v_fma_f64 v[103:104], v[103:104], v[105:106], v[103:104]
	v_div_scale_f64 v[105:106], vcc, v[97:98], v[99:100], v[97:98]
	v_fma_f64 v[107:108], -v[101:102], v[103:104], 1.0
	v_fma_f64 v[103:104], v[103:104], v[107:108], v[103:104]
	v_mul_f64 v[107:108], v[105:106], v[103:104]
	v_fma_f64 v[101:102], -v[101:102], v[107:108], v[105:106]
	v_div_fmas_f64 v[101:102], v[101:102], v[103:104], v[107:108]
	v_div_fixup_f64 v[101:102], v[101:102], v[99:100], v[97:98]
	v_fma_f64 v[97:98], v[97:98], v[101:102], v[99:100]
	v_div_scale_f64 v[99:100], s[6:7], v[97:98], v[97:98], 1.0
	v_div_scale_f64 v[107:108], vcc, 1.0, v[97:98], 1.0
	v_rcp_f64_e32 v[103:104], v[99:100]
	v_fma_f64 v[105:106], -v[99:100], v[103:104], 1.0
	v_fma_f64 v[103:104], v[103:104], v[105:106], v[103:104]
	v_fma_f64 v[105:106], -v[99:100], v[103:104], 1.0
	v_fma_f64 v[103:104], v[103:104], v[105:106], v[103:104]
	v_mul_f64 v[105:106], v[107:108], v[103:104]
	v_fma_f64 v[99:100], -v[99:100], v[105:106], v[107:108]
	v_div_fmas_f64 v[99:100], v[99:100], v[103:104], v[105:106]
	v_div_fixup_f64 v[103:104], v[99:100], v[97:98], 1.0
                                        ; implicit-def: $vgpr97_vgpr98
	v_mul_f64 v[101:102], v[101:102], v[103:104]
	v_xor_b32_e32 v104, 0x80000000, v104
.LBB113_329:
	s_andn2_saveexec_b64 s[2:3], s[2:3]
	s_cbranch_execz .LBB113_331
; %bb.330:
	v_div_scale_f64 v[101:102], s[6:7], v[97:98], v[97:98], v[99:100]
	v_rcp_f64_e32 v[103:104], v[101:102]
	v_fma_f64 v[105:106], -v[101:102], v[103:104], 1.0
	v_fma_f64 v[103:104], v[103:104], v[105:106], v[103:104]
	v_div_scale_f64 v[105:106], vcc, v[99:100], v[97:98], v[99:100]
	v_fma_f64 v[107:108], -v[101:102], v[103:104], 1.0
	v_fma_f64 v[103:104], v[103:104], v[107:108], v[103:104]
	v_mul_f64 v[107:108], v[105:106], v[103:104]
	v_fma_f64 v[101:102], -v[101:102], v[107:108], v[105:106]
	v_div_fmas_f64 v[101:102], v[101:102], v[103:104], v[107:108]
	v_div_fixup_f64 v[103:104], v[101:102], v[97:98], v[99:100]
	v_fma_f64 v[97:98], v[99:100], v[103:104], v[97:98]
	v_div_scale_f64 v[99:100], s[6:7], v[97:98], v[97:98], 1.0
	v_div_scale_f64 v[107:108], vcc, 1.0, v[97:98], 1.0
	v_rcp_f64_e32 v[101:102], v[99:100]
	v_fma_f64 v[105:106], -v[99:100], v[101:102], 1.0
	v_fma_f64 v[101:102], v[101:102], v[105:106], v[101:102]
	v_fma_f64 v[105:106], -v[99:100], v[101:102], 1.0
	v_fma_f64 v[101:102], v[101:102], v[105:106], v[101:102]
	v_mul_f64 v[105:106], v[107:108], v[101:102]
	v_fma_f64 v[99:100], -v[99:100], v[105:106], v[107:108]
	v_div_fmas_f64 v[99:100], v[99:100], v[101:102], v[105:106]
	v_div_fixup_f64 v[101:102], v[99:100], v[97:98], 1.0
	v_mul_f64 v[103:104], v[103:104], -v[101:102]
.LBB113_331:
	s_or_b64 exec, exec, s[2:3]
	ds_write2_b64 v127, v[101:102], v[103:104] offset1:1
.LBB113_332:
	s_or_b64 exec, exec, s[4:5]
	s_waitcnt lgkmcnt(0)
	s_barrier
	ds_read2_b64 v[117:120], v127 offset1:1
	v_cmp_lt_u32_e32 vcc, 36, v0
	s_and_saveexec_b64 s[2:3], vcc
	s_cbranch_execz .LBB113_334
; %bb.333:
	buffer_load_dword v77, off, s[20:23], 0 offset:144 ; 4-byte Folded Reload
	buffer_load_dword v78, off, s[20:23], 0 offset:148 ; 4-byte Folded Reload
	buffer_load_dword v79, off, s[20:23], 0 offset:152 ; 4-byte Folded Reload
	buffer_load_dword v80, off, s[20:23], 0 offset:156 ; 4-byte Folded Reload
	ds_read2_b64 v[99:102], v125 offset0:74 offset1:75
	buffer_load_dword v73, off, s[20:23], 0 offset:128 ; 4-byte Folded Reload
	buffer_load_dword v74, off, s[20:23], 0 offset:132 ; 4-byte Folded Reload
	;; [unrolled: 1-line block ×4, first 2 shown]
	s_waitcnt vmcnt(4) lgkmcnt(1)
	v_mul_f64 v[97:98], v[119:120], v[79:80]
	v_mul_f64 v[79:80], v[117:118], v[79:80]
	v_fma_f64 v[97:98], v[117:118], v[77:78], -v[97:98]
	v_fma_f64 v[79:80], v[119:120], v[77:78], v[79:80]
	s_waitcnt lgkmcnt(0)
	v_mul_f64 v[77:78], v[101:102], v[79:80]
	v_fma_f64 v[77:78], v[99:100], v[97:98], -v[77:78]
	v_mul_f64 v[99:100], v[99:100], v[79:80]
	s_waitcnt vmcnt(2)
	v_add_f64 v[73:74], v[73:74], -v[77:78]
	v_fma_f64 v[99:100], v[101:102], v[97:98], v[99:100]
	s_waitcnt vmcnt(0)
	v_add_f64 v[75:76], v[75:76], -v[99:100]
	buffer_store_dword v73, off, s[20:23], 0 offset:128 ; 4-byte Folded Spill
	s_nop 0
	buffer_store_dword v74, off, s[20:23], 0 offset:132 ; 4-byte Folded Spill
	buffer_store_dword v75, off, s[20:23], 0 offset:136 ; 4-byte Folded Spill
	buffer_store_dword v76, off, s[20:23], 0 offset:140 ; 4-byte Folded Spill
	ds_read2_b64 v[99:102], v125 offset0:76 offset1:77
	buffer_load_dword v69, off, s[20:23], 0 offset:112 ; 4-byte Folded Reload
	buffer_load_dword v70, off, s[20:23], 0 offset:116 ; 4-byte Folded Reload
	buffer_load_dword v71, off, s[20:23], 0 offset:120 ; 4-byte Folded Reload
	buffer_load_dword v72, off, s[20:23], 0 offset:124 ; 4-byte Folded Reload
	s_waitcnt lgkmcnt(0)
	v_mul_f64 v[77:78], v[101:102], v[79:80]
	v_fma_f64 v[77:78], v[99:100], v[97:98], -v[77:78]
	v_mul_f64 v[99:100], v[99:100], v[79:80]
	v_fma_f64 v[99:100], v[101:102], v[97:98], v[99:100]
	s_waitcnt vmcnt(2)
	v_add_f64 v[69:70], v[69:70], -v[77:78]
	s_waitcnt vmcnt(0)
	v_add_f64 v[71:72], v[71:72], -v[99:100]
	buffer_store_dword v69, off, s[20:23], 0 offset:112 ; 4-byte Folded Spill
	s_nop 0
	buffer_store_dword v70, off, s[20:23], 0 offset:116 ; 4-byte Folded Spill
	buffer_store_dword v71, off, s[20:23], 0 offset:120 ; 4-byte Folded Spill
	buffer_store_dword v72, off, s[20:23], 0 offset:124 ; 4-byte Folded Spill
	ds_read2_b64 v[99:102], v125 offset0:78 offset1:79
	buffer_load_dword v65, off, s[20:23], 0 offset:96 ; 4-byte Folded Reload
	buffer_load_dword v66, off, s[20:23], 0 offset:100 ; 4-byte Folded Reload
	buffer_load_dword v67, off, s[20:23], 0 offset:104 ; 4-byte Folded Reload
	buffer_load_dword v68, off, s[20:23], 0 offset:108 ; 4-byte Folded Reload
	s_waitcnt lgkmcnt(0)
	v_mul_f64 v[77:78], v[101:102], v[79:80]
	v_fma_f64 v[77:78], v[99:100], v[97:98], -v[77:78]
	v_mul_f64 v[99:100], v[99:100], v[79:80]
	v_fma_f64 v[99:100], v[101:102], v[97:98], v[99:100]
	s_waitcnt vmcnt(2)
	v_add_f64 v[65:66], v[65:66], -v[77:78]
	;; [unrolled: 19-line block ×7, first 2 shown]
	s_waitcnt vmcnt(0)
	v_add_f64 v[47:48], v[47:48], -v[99:100]
	buffer_store_dword v45, off, s[20:23], 0 offset:16 ; 4-byte Folded Spill
	s_nop 0
	buffer_store_dword v46, off, s[20:23], 0 offset:20 ; 4-byte Folded Spill
	buffer_store_dword v47, off, s[20:23], 0 offset:24 ; 4-byte Folded Spill
	;; [unrolled: 1-line block ×3, first 2 shown]
	ds_read2_b64 v[99:102], v125 offset0:90 offset1:91
	buffer_load_dword v41, off, s[20:23], 0 ; 4-byte Folded Reload
	buffer_load_dword v42, off, s[20:23], 0 offset:4 ; 4-byte Folded Reload
	buffer_load_dword v43, off, s[20:23], 0 offset:8 ; 4-byte Folded Reload
	;; [unrolled: 1-line block ×3, first 2 shown]
	s_waitcnt lgkmcnt(0)
	v_mul_f64 v[77:78], v[101:102], v[79:80]
	v_fma_f64 v[77:78], v[99:100], v[97:98], -v[77:78]
	v_mul_f64 v[99:100], v[99:100], v[79:80]
	v_fma_f64 v[99:100], v[101:102], v[97:98], v[99:100]
	s_waitcnt vmcnt(2)
	v_add_f64 v[41:42], v[41:42], -v[77:78]
	s_waitcnt vmcnt(0)
	v_add_f64 v[43:44], v[43:44], -v[99:100]
	buffer_store_dword v41, off, s[20:23], 0 ; 4-byte Folded Spill
	s_nop 0
	buffer_store_dword v42, off, s[20:23], 0 offset:4 ; 4-byte Folded Spill
	buffer_store_dword v43, off, s[20:23], 0 offset:8 ; 4-byte Folded Spill
	;; [unrolled: 1-line block ×3, first 2 shown]
	ds_read2_b64 v[99:102], v125 offset0:92 offset1:93
	s_waitcnt lgkmcnt(0)
	v_mul_f64 v[77:78], v[101:102], v[79:80]
	v_fma_f64 v[77:78], v[99:100], v[97:98], -v[77:78]
	v_mul_f64 v[99:100], v[99:100], v[79:80]
	v_add_f64 v[37:38], v[37:38], -v[77:78]
	v_fma_f64 v[99:100], v[101:102], v[97:98], v[99:100]
	v_add_f64 v[39:40], v[39:40], -v[99:100]
	ds_read2_b64 v[99:102], v125 offset0:94 offset1:95
	s_waitcnt lgkmcnt(0)
	v_mul_f64 v[77:78], v[101:102], v[79:80]
	v_fma_f64 v[77:78], v[99:100], v[97:98], -v[77:78]
	v_mul_f64 v[99:100], v[99:100], v[79:80]
	v_add_f64 v[33:34], v[33:34], -v[77:78]
	v_fma_f64 v[99:100], v[101:102], v[97:98], v[99:100]
	v_add_f64 v[35:36], v[35:36], -v[99:100]
	;; [unrolled: 8-line block ×10, first 2 shown]
	ds_read2_b64 v[99:102], v125 offset0:112 offset1:113
	s_waitcnt lgkmcnt(0)
	v_mul_f64 v[77:78], v[101:102], v[79:80]
	v_fma_f64 v[77:78], v[99:100], v[97:98], -v[77:78]
	v_mul_f64 v[99:100], v[99:100], v[79:80]
	v_add_f64 v[121:122], v[121:122], -v[77:78]
	v_fma_f64 v[99:100], v[101:102], v[97:98], v[99:100]
	v_mov_b32_e32 v77, v97
	v_mov_b32_e32 v78, v98
	buffer_store_dword v77, off, s[20:23], 0 offset:144 ; 4-byte Folded Spill
	s_nop 0
	buffer_store_dword v78, off, s[20:23], 0 offset:148 ; 4-byte Folded Spill
	buffer_store_dword v79, off, s[20:23], 0 offset:152 ; 4-byte Folded Spill
	;; [unrolled: 1-line block ×3, first 2 shown]
	v_add_f64 v[123:124], v[123:124], -v[99:100]
.LBB113_334:
	s_or_b64 exec, exec, s[2:3]
	v_cmp_eq_u32_e32 vcc, 37, v0
	s_waitcnt vmcnt(0) lgkmcnt(0)
	s_barrier
	s_and_saveexec_b64 s[4:5], vcc
	s_cbranch_execz .LBB113_341
; %bb.335:
	buffer_load_dword v73, off, s[20:23], 0 offset:128 ; 4-byte Folded Reload
	buffer_load_dword v74, off, s[20:23], 0 offset:132 ; 4-byte Folded Reload
	;; [unrolled: 1-line block ×4, first 2 shown]
	s_waitcnt vmcnt(0)
	ds_write2_b64 v127, v[73:74], v[75:76] offset1:1
	buffer_load_dword v69, off, s[20:23], 0 offset:112 ; 4-byte Folded Reload
	buffer_load_dword v70, off, s[20:23], 0 offset:116 ; 4-byte Folded Reload
	buffer_load_dword v71, off, s[20:23], 0 offset:120 ; 4-byte Folded Reload
	buffer_load_dword v72, off, s[20:23], 0 offset:124 ; 4-byte Folded Reload
	s_waitcnt vmcnt(0)
	ds_write2_b64 v125, v[69:70], v[71:72] offset0:76 offset1:77
	buffer_load_dword v65, off, s[20:23], 0 offset:96 ; 4-byte Folded Reload
	buffer_load_dword v66, off, s[20:23], 0 offset:100 ; 4-byte Folded Reload
	buffer_load_dword v67, off, s[20:23], 0 offset:104 ; 4-byte Folded Reload
	buffer_load_dword v68, off, s[20:23], 0 offset:108 ; 4-byte Folded Reload
	s_waitcnt vmcnt(0)
	ds_write2_b64 v125, v[65:66], v[67:68] offset0:78 offset1:79
	buffer_load_dword v61, off, s[20:23], 0 offset:80 ; 4-byte Folded Reload
	buffer_load_dword v62, off, s[20:23], 0 offset:84 ; 4-byte Folded Reload
	buffer_load_dword v63, off, s[20:23], 0 offset:88 ; 4-byte Folded Reload
	buffer_load_dword v64, off, s[20:23], 0 offset:92 ; 4-byte Folded Reload
	s_waitcnt vmcnt(0)
	ds_write2_b64 v125, v[61:62], v[63:64] offset0:80 offset1:81
	buffer_load_dword v57, off, s[20:23], 0 offset:64 ; 4-byte Folded Reload
	buffer_load_dword v58, off, s[20:23], 0 offset:68 ; 4-byte Folded Reload
	buffer_load_dword v59, off, s[20:23], 0 offset:72 ; 4-byte Folded Reload
	buffer_load_dword v60, off, s[20:23], 0 offset:76 ; 4-byte Folded Reload
	s_waitcnt vmcnt(0)
	ds_write2_b64 v125, v[57:58], v[59:60] offset0:82 offset1:83
	buffer_load_dword v53, off, s[20:23], 0 offset:48 ; 4-byte Folded Reload
	buffer_load_dword v54, off, s[20:23], 0 offset:52 ; 4-byte Folded Reload
	buffer_load_dword v55, off, s[20:23], 0 offset:56 ; 4-byte Folded Reload
	buffer_load_dword v56, off, s[20:23], 0 offset:60 ; 4-byte Folded Reload
	s_waitcnt vmcnt(0)
	ds_write2_b64 v125, v[53:54], v[55:56] offset0:84 offset1:85
	buffer_load_dword v49, off, s[20:23], 0 offset:32 ; 4-byte Folded Reload
	buffer_load_dword v50, off, s[20:23], 0 offset:36 ; 4-byte Folded Reload
	buffer_load_dword v51, off, s[20:23], 0 offset:40 ; 4-byte Folded Reload
	buffer_load_dword v52, off, s[20:23], 0 offset:44 ; 4-byte Folded Reload
	s_waitcnt vmcnt(0)
	ds_write2_b64 v125, v[49:50], v[51:52] offset0:86 offset1:87
	buffer_load_dword v45, off, s[20:23], 0 offset:16 ; 4-byte Folded Reload
	buffer_load_dword v46, off, s[20:23], 0 offset:20 ; 4-byte Folded Reload
	buffer_load_dword v47, off, s[20:23], 0 offset:24 ; 4-byte Folded Reload
	buffer_load_dword v48, off, s[20:23], 0 offset:28 ; 4-byte Folded Reload
	s_waitcnt vmcnt(0)
	ds_write2_b64 v125, v[45:46], v[47:48] offset0:88 offset1:89
	buffer_load_dword v41, off, s[20:23], 0 ; 4-byte Folded Reload
	buffer_load_dword v42, off, s[20:23], 0 offset:4 ; 4-byte Folded Reload
	buffer_load_dword v43, off, s[20:23], 0 offset:8 ; 4-byte Folded Reload
	buffer_load_dword v44, off, s[20:23], 0 offset:12 ; 4-byte Folded Reload
	s_waitcnt vmcnt(0)
	ds_write2_b64 v125, v[41:42], v[43:44] offset0:90 offset1:91
	ds_write2_b64 v125, v[37:38], v[39:40] offset0:92 offset1:93
	;; [unrolled: 1-line block ×12, first 2 shown]
	ds_read2_b64 v[97:100], v127 offset1:1
	s_waitcnt lgkmcnt(0)
	v_cmp_neq_f64_e32 vcc, 0, v[97:98]
	v_cmp_neq_f64_e64 s[2:3], 0, v[99:100]
	s_or_b64 s[2:3], vcc, s[2:3]
	s_and_b64 exec, exec, s[2:3]
	s_cbranch_execz .LBB113_341
; %bb.336:
	v_cmp_ngt_f64_e64 s[2:3], |v[97:98]|, |v[99:100]|
                                        ; implicit-def: $vgpr101_vgpr102
	s_and_saveexec_b64 s[6:7], s[2:3]
	s_xor_b64 s[2:3], exec, s[6:7]
                                        ; implicit-def: $vgpr103_vgpr104
	s_cbranch_execz .LBB113_338
; %bb.337:
	v_div_scale_f64 v[101:102], s[6:7], v[99:100], v[99:100], v[97:98]
	v_rcp_f64_e32 v[103:104], v[101:102]
	v_fma_f64 v[105:106], -v[101:102], v[103:104], 1.0
	v_fma_f64 v[103:104], v[103:104], v[105:106], v[103:104]
	v_div_scale_f64 v[105:106], vcc, v[97:98], v[99:100], v[97:98]
	v_fma_f64 v[107:108], -v[101:102], v[103:104], 1.0
	v_fma_f64 v[103:104], v[103:104], v[107:108], v[103:104]
	v_mul_f64 v[107:108], v[105:106], v[103:104]
	v_fma_f64 v[101:102], -v[101:102], v[107:108], v[105:106]
	v_div_fmas_f64 v[101:102], v[101:102], v[103:104], v[107:108]
	v_div_fixup_f64 v[101:102], v[101:102], v[99:100], v[97:98]
	v_fma_f64 v[97:98], v[97:98], v[101:102], v[99:100]
	v_div_scale_f64 v[99:100], s[6:7], v[97:98], v[97:98], 1.0
	v_div_scale_f64 v[107:108], vcc, 1.0, v[97:98], 1.0
	v_rcp_f64_e32 v[103:104], v[99:100]
	v_fma_f64 v[105:106], -v[99:100], v[103:104], 1.0
	v_fma_f64 v[103:104], v[103:104], v[105:106], v[103:104]
	v_fma_f64 v[105:106], -v[99:100], v[103:104], 1.0
	v_fma_f64 v[103:104], v[103:104], v[105:106], v[103:104]
	v_mul_f64 v[105:106], v[107:108], v[103:104]
	v_fma_f64 v[99:100], -v[99:100], v[105:106], v[107:108]
	v_div_fmas_f64 v[99:100], v[99:100], v[103:104], v[105:106]
	v_div_fixup_f64 v[103:104], v[99:100], v[97:98], 1.0
                                        ; implicit-def: $vgpr97_vgpr98
	v_mul_f64 v[101:102], v[101:102], v[103:104]
	v_xor_b32_e32 v104, 0x80000000, v104
.LBB113_338:
	s_andn2_saveexec_b64 s[2:3], s[2:3]
	s_cbranch_execz .LBB113_340
; %bb.339:
	v_div_scale_f64 v[101:102], s[6:7], v[97:98], v[97:98], v[99:100]
	v_rcp_f64_e32 v[103:104], v[101:102]
	v_fma_f64 v[105:106], -v[101:102], v[103:104], 1.0
	v_fma_f64 v[103:104], v[103:104], v[105:106], v[103:104]
	v_div_scale_f64 v[105:106], vcc, v[99:100], v[97:98], v[99:100]
	v_fma_f64 v[107:108], -v[101:102], v[103:104], 1.0
	v_fma_f64 v[103:104], v[103:104], v[107:108], v[103:104]
	v_mul_f64 v[107:108], v[105:106], v[103:104]
	v_fma_f64 v[101:102], -v[101:102], v[107:108], v[105:106]
	v_div_fmas_f64 v[101:102], v[101:102], v[103:104], v[107:108]
	v_div_fixup_f64 v[103:104], v[101:102], v[97:98], v[99:100]
	v_fma_f64 v[97:98], v[99:100], v[103:104], v[97:98]
	v_div_scale_f64 v[99:100], s[6:7], v[97:98], v[97:98], 1.0
	v_div_scale_f64 v[107:108], vcc, 1.0, v[97:98], 1.0
	v_rcp_f64_e32 v[101:102], v[99:100]
	v_fma_f64 v[105:106], -v[99:100], v[101:102], 1.0
	v_fma_f64 v[101:102], v[101:102], v[105:106], v[101:102]
	v_fma_f64 v[105:106], -v[99:100], v[101:102], 1.0
	v_fma_f64 v[101:102], v[101:102], v[105:106], v[101:102]
	v_mul_f64 v[105:106], v[107:108], v[101:102]
	v_fma_f64 v[99:100], -v[99:100], v[105:106], v[107:108]
	v_div_fmas_f64 v[99:100], v[99:100], v[101:102], v[105:106]
	v_div_fixup_f64 v[101:102], v[99:100], v[97:98], 1.0
	v_mul_f64 v[103:104], v[103:104], -v[101:102]
.LBB113_340:
	s_or_b64 exec, exec, s[2:3]
	ds_write2_b64 v127, v[101:102], v[103:104] offset1:1
.LBB113_341:
	s_or_b64 exec, exec, s[4:5]
	s_waitcnt lgkmcnt(0)
	s_barrier
	ds_read2_b64 v[85:88], v127 offset1:1
	v_cmp_lt_u32_e32 vcc, 37, v0
	s_and_saveexec_b64 s[2:3], vcc
	s_cbranch_execz .LBB113_343
; %bb.342:
	buffer_load_dword v73, off, s[20:23], 0 offset:128 ; 4-byte Folded Reload
	buffer_load_dword v74, off, s[20:23], 0 offset:132 ; 4-byte Folded Reload
	;; [unrolled: 1-line block ×4, first 2 shown]
	ds_read2_b64 v[99:102], v125 offset0:76 offset1:77
	buffer_load_dword v69, off, s[20:23], 0 offset:112 ; 4-byte Folded Reload
	buffer_load_dword v70, off, s[20:23], 0 offset:116 ; 4-byte Folded Reload
	;; [unrolled: 1-line block ×4, first 2 shown]
	s_waitcnt vmcnt(4) lgkmcnt(1)
	v_mul_f64 v[97:98], v[87:88], v[75:76]
	v_mul_f64 v[75:76], v[85:86], v[75:76]
	v_fma_f64 v[97:98], v[85:86], v[73:74], -v[97:98]
	v_fma_f64 v[75:76], v[87:88], v[73:74], v[75:76]
	s_waitcnt lgkmcnt(0)
	v_mul_f64 v[73:74], v[101:102], v[75:76]
	v_fma_f64 v[73:74], v[99:100], v[97:98], -v[73:74]
	v_mul_f64 v[99:100], v[99:100], v[75:76]
	s_waitcnt vmcnt(2)
	v_add_f64 v[69:70], v[69:70], -v[73:74]
	v_fma_f64 v[99:100], v[101:102], v[97:98], v[99:100]
	s_waitcnt vmcnt(0)
	v_add_f64 v[71:72], v[71:72], -v[99:100]
	buffer_store_dword v69, off, s[20:23], 0 offset:112 ; 4-byte Folded Spill
	s_nop 0
	buffer_store_dword v70, off, s[20:23], 0 offset:116 ; 4-byte Folded Spill
	buffer_store_dword v71, off, s[20:23], 0 offset:120 ; 4-byte Folded Spill
	buffer_store_dword v72, off, s[20:23], 0 offset:124 ; 4-byte Folded Spill
	ds_read2_b64 v[99:102], v125 offset0:78 offset1:79
	buffer_load_dword v65, off, s[20:23], 0 offset:96 ; 4-byte Folded Reload
	buffer_load_dword v66, off, s[20:23], 0 offset:100 ; 4-byte Folded Reload
	buffer_load_dword v67, off, s[20:23], 0 offset:104 ; 4-byte Folded Reload
	buffer_load_dword v68, off, s[20:23], 0 offset:108 ; 4-byte Folded Reload
	s_waitcnt lgkmcnt(0)
	v_mul_f64 v[73:74], v[101:102], v[75:76]
	v_fma_f64 v[73:74], v[99:100], v[97:98], -v[73:74]
	v_mul_f64 v[99:100], v[99:100], v[75:76]
	v_fma_f64 v[99:100], v[101:102], v[97:98], v[99:100]
	s_waitcnt vmcnt(2)
	v_add_f64 v[65:66], v[65:66], -v[73:74]
	s_waitcnt vmcnt(0)
	v_add_f64 v[67:68], v[67:68], -v[99:100]
	buffer_store_dword v65, off, s[20:23], 0 offset:96 ; 4-byte Folded Spill
	s_nop 0
	buffer_store_dword v66, off, s[20:23], 0 offset:100 ; 4-byte Folded Spill
	buffer_store_dword v67, off, s[20:23], 0 offset:104 ; 4-byte Folded Spill
	buffer_store_dword v68, off, s[20:23], 0 offset:108 ; 4-byte Folded Spill
	ds_read2_b64 v[99:102], v125 offset0:80 offset1:81
	buffer_load_dword v61, off, s[20:23], 0 offset:80 ; 4-byte Folded Reload
	buffer_load_dword v62, off, s[20:23], 0 offset:84 ; 4-byte Folded Reload
	buffer_load_dword v63, off, s[20:23], 0 offset:88 ; 4-byte Folded Reload
	buffer_load_dword v64, off, s[20:23], 0 offset:92 ; 4-byte Folded Reload
	s_waitcnt lgkmcnt(0)
	v_mul_f64 v[73:74], v[101:102], v[75:76]
	v_fma_f64 v[73:74], v[99:100], v[97:98], -v[73:74]
	v_mul_f64 v[99:100], v[99:100], v[75:76]
	v_fma_f64 v[99:100], v[101:102], v[97:98], v[99:100]
	s_waitcnt vmcnt(2)
	v_add_f64 v[61:62], v[61:62], -v[73:74]
	s_waitcnt vmcnt(0)
	v_add_f64 v[63:64], v[63:64], -v[99:100]
	buffer_store_dword v61, off, s[20:23], 0 offset:80 ; 4-byte Folded Spill
	s_nop 0
	buffer_store_dword v62, off, s[20:23], 0 offset:84 ; 4-byte Folded Spill
	buffer_store_dword v63, off, s[20:23], 0 offset:88 ; 4-byte Folded Spill
	buffer_store_dword v64, off, s[20:23], 0 offset:92 ; 4-byte Folded Spill
	ds_read2_b64 v[99:102], v125 offset0:82 offset1:83
	buffer_load_dword v57, off, s[20:23], 0 offset:64 ; 4-byte Folded Reload
	buffer_load_dword v58, off, s[20:23], 0 offset:68 ; 4-byte Folded Reload
	buffer_load_dword v59, off, s[20:23], 0 offset:72 ; 4-byte Folded Reload
	buffer_load_dword v60, off, s[20:23], 0 offset:76 ; 4-byte Folded Reload
	s_waitcnt lgkmcnt(0)
	v_mul_f64 v[73:74], v[101:102], v[75:76]
	v_fma_f64 v[73:74], v[99:100], v[97:98], -v[73:74]
	v_mul_f64 v[99:100], v[99:100], v[75:76]
	v_fma_f64 v[99:100], v[101:102], v[97:98], v[99:100]
	s_waitcnt vmcnt(2)
	v_add_f64 v[57:58], v[57:58], -v[73:74]
	s_waitcnt vmcnt(0)
	v_add_f64 v[59:60], v[59:60], -v[99:100]
	buffer_store_dword v57, off, s[20:23], 0 offset:64 ; 4-byte Folded Spill
	s_nop 0
	buffer_store_dword v58, off, s[20:23], 0 offset:68 ; 4-byte Folded Spill
	buffer_store_dword v59, off, s[20:23], 0 offset:72 ; 4-byte Folded Spill
	buffer_store_dword v60, off, s[20:23], 0 offset:76 ; 4-byte Folded Spill
	ds_read2_b64 v[99:102], v125 offset0:84 offset1:85
	buffer_load_dword v53, off, s[20:23], 0 offset:48 ; 4-byte Folded Reload
	buffer_load_dword v54, off, s[20:23], 0 offset:52 ; 4-byte Folded Reload
	buffer_load_dword v55, off, s[20:23], 0 offset:56 ; 4-byte Folded Reload
	buffer_load_dword v56, off, s[20:23], 0 offset:60 ; 4-byte Folded Reload
	s_waitcnt lgkmcnt(0)
	v_mul_f64 v[73:74], v[101:102], v[75:76]
	v_fma_f64 v[73:74], v[99:100], v[97:98], -v[73:74]
	v_mul_f64 v[99:100], v[99:100], v[75:76]
	v_fma_f64 v[99:100], v[101:102], v[97:98], v[99:100]
	s_waitcnt vmcnt(2)
	v_add_f64 v[53:54], v[53:54], -v[73:74]
	s_waitcnt vmcnt(0)
	v_add_f64 v[55:56], v[55:56], -v[99:100]
	buffer_store_dword v53, off, s[20:23], 0 offset:48 ; 4-byte Folded Spill
	s_nop 0
	buffer_store_dword v54, off, s[20:23], 0 offset:52 ; 4-byte Folded Spill
	buffer_store_dword v55, off, s[20:23], 0 offset:56 ; 4-byte Folded Spill
	buffer_store_dword v56, off, s[20:23], 0 offset:60 ; 4-byte Folded Spill
	ds_read2_b64 v[99:102], v125 offset0:86 offset1:87
	buffer_load_dword v49, off, s[20:23], 0 offset:32 ; 4-byte Folded Reload
	buffer_load_dword v50, off, s[20:23], 0 offset:36 ; 4-byte Folded Reload
	buffer_load_dword v51, off, s[20:23], 0 offset:40 ; 4-byte Folded Reload
	buffer_load_dword v52, off, s[20:23], 0 offset:44 ; 4-byte Folded Reload
	s_waitcnt lgkmcnt(0)
	v_mul_f64 v[73:74], v[101:102], v[75:76]
	v_fma_f64 v[73:74], v[99:100], v[97:98], -v[73:74]
	v_mul_f64 v[99:100], v[99:100], v[75:76]
	v_fma_f64 v[99:100], v[101:102], v[97:98], v[99:100]
	s_waitcnt vmcnt(2)
	v_add_f64 v[49:50], v[49:50], -v[73:74]
	s_waitcnt vmcnt(0)
	v_add_f64 v[51:52], v[51:52], -v[99:100]
	buffer_store_dword v49, off, s[20:23], 0 offset:32 ; 4-byte Folded Spill
	s_nop 0
	buffer_store_dword v50, off, s[20:23], 0 offset:36 ; 4-byte Folded Spill
	buffer_store_dword v51, off, s[20:23], 0 offset:40 ; 4-byte Folded Spill
	buffer_store_dword v52, off, s[20:23], 0 offset:44 ; 4-byte Folded Spill
	ds_read2_b64 v[99:102], v125 offset0:88 offset1:89
	buffer_load_dword v45, off, s[20:23], 0 offset:16 ; 4-byte Folded Reload
	buffer_load_dword v46, off, s[20:23], 0 offset:20 ; 4-byte Folded Reload
	buffer_load_dword v47, off, s[20:23], 0 offset:24 ; 4-byte Folded Reload
	buffer_load_dword v48, off, s[20:23], 0 offset:28 ; 4-byte Folded Reload
	s_waitcnt lgkmcnt(0)
	v_mul_f64 v[73:74], v[101:102], v[75:76]
	v_fma_f64 v[73:74], v[99:100], v[97:98], -v[73:74]
	v_mul_f64 v[99:100], v[99:100], v[75:76]
	v_fma_f64 v[99:100], v[101:102], v[97:98], v[99:100]
	s_waitcnt vmcnt(2)
	v_add_f64 v[45:46], v[45:46], -v[73:74]
	s_waitcnt vmcnt(0)
	v_add_f64 v[47:48], v[47:48], -v[99:100]
	buffer_store_dword v45, off, s[20:23], 0 offset:16 ; 4-byte Folded Spill
	s_nop 0
	buffer_store_dword v46, off, s[20:23], 0 offset:20 ; 4-byte Folded Spill
	buffer_store_dword v47, off, s[20:23], 0 offset:24 ; 4-byte Folded Spill
	;; [unrolled: 1-line block ×3, first 2 shown]
	ds_read2_b64 v[99:102], v125 offset0:90 offset1:91
	buffer_load_dword v41, off, s[20:23], 0 ; 4-byte Folded Reload
	buffer_load_dword v42, off, s[20:23], 0 offset:4 ; 4-byte Folded Reload
	buffer_load_dword v43, off, s[20:23], 0 offset:8 ; 4-byte Folded Reload
	;; [unrolled: 1-line block ×3, first 2 shown]
	s_waitcnt lgkmcnt(0)
	v_mul_f64 v[73:74], v[101:102], v[75:76]
	v_fma_f64 v[73:74], v[99:100], v[97:98], -v[73:74]
	v_mul_f64 v[99:100], v[99:100], v[75:76]
	v_fma_f64 v[99:100], v[101:102], v[97:98], v[99:100]
	s_waitcnt vmcnt(2)
	v_add_f64 v[41:42], v[41:42], -v[73:74]
	s_waitcnt vmcnt(0)
	v_add_f64 v[43:44], v[43:44], -v[99:100]
	buffer_store_dword v41, off, s[20:23], 0 ; 4-byte Folded Spill
	s_nop 0
	buffer_store_dword v42, off, s[20:23], 0 offset:4 ; 4-byte Folded Spill
	buffer_store_dword v43, off, s[20:23], 0 offset:8 ; 4-byte Folded Spill
	;; [unrolled: 1-line block ×3, first 2 shown]
	ds_read2_b64 v[99:102], v125 offset0:92 offset1:93
	s_waitcnt lgkmcnt(0)
	v_mul_f64 v[73:74], v[101:102], v[75:76]
	v_fma_f64 v[73:74], v[99:100], v[97:98], -v[73:74]
	v_mul_f64 v[99:100], v[99:100], v[75:76]
	v_add_f64 v[37:38], v[37:38], -v[73:74]
	v_fma_f64 v[99:100], v[101:102], v[97:98], v[99:100]
	v_add_f64 v[39:40], v[39:40], -v[99:100]
	ds_read2_b64 v[99:102], v125 offset0:94 offset1:95
	s_waitcnt lgkmcnt(0)
	v_mul_f64 v[73:74], v[101:102], v[75:76]
	v_fma_f64 v[73:74], v[99:100], v[97:98], -v[73:74]
	v_mul_f64 v[99:100], v[99:100], v[75:76]
	v_add_f64 v[33:34], v[33:34], -v[73:74]
	v_fma_f64 v[99:100], v[101:102], v[97:98], v[99:100]
	v_add_f64 v[35:36], v[35:36], -v[99:100]
	;; [unrolled: 8-line block ×10, first 2 shown]
	ds_read2_b64 v[99:102], v125 offset0:112 offset1:113
	s_waitcnt lgkmcnt(0)
	v_mul_f64 v[73:74], v[101:102], v[75:76]
	v_fma_f64 v[73:74], v[99:100], v[97:98], -v[73:74]
	v_mul_f64 v[99:100], v[99:100], v[75:76]
	v_add_f64 v[121:122], v[121:122], -v[73:74]
	v_fma_f64 v[99:100], v[101:102], v[97:98], v[99:100]
	v_mov_b32_e32 v73, v97
	v_mov_b32_e32 v74, v98
	buffer_store_dword v73, off, s[20:23], 0 offset:128 ; 4-byte Folded Spill
	s_nop 0
	buffer_store_dword v74, off, s[20:23], 0 offset:132 ; 4-byte Folded Spill
	buffer_store_dword v75, off, s[20:23], 0 offset:136 ; 4-byte Folded Spill
	;; [unrolled: 1-line block ×3, first 2 shown]
	v_add_f64 v[123:124], v[123:124], -v[99:100]
.LBB113_343:
	s_or_b64 exec, exec, s[2:3]
	v_cmp_eq_u32_e32 vcc, 38, v0
	s_waitcnt vmcnt(0) lgkmcnt(0)
	s_barrier
	s_and_saveexec_b64 s[4:5], vcc
	s_cbranch_execz .LBB113_350
; %bb.344:
	buffer_load_dword v69, off, s[20:23], 0 offset:112 ; 4-byte Folded Reload
	buffer_load_dword v70, off, s[20:23], 0 offset:116 ; 4-byte Folded Reload
	;; [unrolled: 1-line block ×4, first 2 shown]
	s_waitcnt vmcnt(0)
	ds_write2_b64 v127, v[69:70], v[71:72] offset1:1
	buffer_load_dword v65, off, s[20:23], 0 offset:96 ; 4-byte Folded Reload
	buffer_load_dword v66, off, s[20:23], 0 offset:100 ; 4-byte Folded Reload
	buffer_load_dword v67, off, s[20:23], 0 offset:104 ; 4-byte Folded Reload
	buffer_load_dword v68, off, s[20:23], 0 offset:108 ; 4-byte Folded Reload
	s_waitcnt vmcnt(0)
	ds_write2_b64 v125, v[65:66], v[67:68] offset0:78 offset1:79
	buffer_load_dword v61, off, s[20:23], 0 offset:80 ; 4-byte Folded Reload
	buffer_load_dword v62, off, s[20:23], 0 offset:84 ; 4-byte Folded Reload
	buffer_load_dword v63, off, s[20:23], 0 offset:88 ; 4-byte Folded Reload
	buffer_load_dword v64, off, s[20:23], 0 offset:92 ; 4-byte Folded Reload
	s_waitcnt vmcnt(0)
	ds_write2_b64 v125, v[61:62], v[63:64] offset0:80 offset1:81
	;; [unrolled: 6-line block ×6, first 2 shown]
	buffer_load_dword v41, off, s[20:23], 0 ; 4-byte Folded Reload
	buffer_load_dword v42, off, s[20:23], 0 offset:4 ; 4-byte Folded Reload
	buffer_load_dword v43, off, s[20:23], 0 offset:8 ; 4-byte Folded Reload
	;; [unrolled: 1-line block ×3, first 2 shown]
	s_waitcnt vmcnt(0)
	ds_write2_b64 v125, v[41:42], v[43:44] offset0:90 offset1:91
	ds_write2_b64 v125, v[37:38], v[39:40] offset0:92 offset1:93
	;; [unrolled: 1-line block ×12, first 2 shown]
	ds_read2_b64 v[97:100], v127 offset1:1
	s_waitcnt lgkmcnt(0)
	v_cmp_neq_f64_e32 vcc, 0, v[97:98]
	v_cmp_neq_f64_e64 s[2:3], 0, v[99:100]
	s_or_b64 s[2:3], vcc, s[2:3]
	s_and_b64 exec, exec, s[2:3]
	s_cbranch_execz .LBB113_350
; %bb.345:
	v_cmp_ngt_f64_e64 s[2:3], |v[97:98]|, |v[99:100]|
                                        ; implicit-def: $vgpr101_vgpr102
	s_and_saveexec_b64 s[6:7], s[2:3]
	s_xor_b64 s[2:3], exec, s[6:7]
                                        ; implicit-def: $vgpr103_vgpr104
	s_cbranch_execz .LBB113_347
; %bb.346:
	v_div_scale_f64 v[101:102], s[6:7], v[99:100], v[99:100], v[97:98]
	v_rcp_f64_e32 v[103:104], v[101:102]
	v_fma_f64 v[105:106], -v[101:102], v[103:104], 1.0
	v_fma_f64 v[103:104], v[103:104], v[105:106], v[103:104]
	v_div_scale_f64 v[105:106], vcc, v[97:98], v[99:100], v[97:98]
	v_fma_f64 v[107:108], -v[101:102], v[103:104], 1.0
	v_fma_f64 v[103:104], v[103:104], v[107:108], v[103:104]
	v_mul_f64 v[107:108], v[105:106], v[103:104]
	v_fma_f64 v[101:102], -v[101:102], v[107:108], v[105:106]
	v_div_fmas_f64 v[101:102], v[101:102], v[103:104], v[107:108]
	v_div_fixup_f64 v[101:102], v[101:102], v[99:100], v[97:98]
	v_fma_f64 v[97:98], v[97:98], v[101:102], v[99:100]
	v_div_scale_f64 v[99:100], s[6:7], v[97:98], v[97:98], 1.0
	v_div_scale_f64 v[107:108], vcc, 1.0, v[97:98], 1.0
	v_rcp_f64_e32 v[103:104], v[99:100]
	v_fma_f64 v[105:106], -v[99:100], v[103:104], 1.0
	v_fma_f64 v[103:104], v[103:104], v[105:106], v[103:104]
	v_fma_f64 v[105:106], -v[99:100], v[103:104], 1.0
	v_fma_f64 v[103:104], v[103:104], v[105:106], v[103:104]
	v_mul_f64 v[105:106], v[107:108], v[103:104]
	v_fma_f64 v[99:100], -v[99:100], v[105:106], v[107:108]
	v_div_fmas_f64 v[99:100], v[99:100], v[103:104], v[105:106]
	v_div_fixup_f64 v[103:104], v[99:100], v[97:98], 1.0
                                        ; implicit-def: $vgpr97_vgpr98
	v_mul_f64 v[101:102], v[101:102], v[103:104]
	v_xor_b32_e32 v104, 0x80000000, v104
.LBB113_347:
	s_andn2_saveexec_b64 s[2:3], s[2:3]
	s_cbranch_execz .LBB113_349
; %bb.348:
	v_div_scale_f64 v[101:102], s[6:7], v[97:98], v[97:98], v[99:100]
	v_rcp_f64_e32 v[103:104], v[101:102]
	v_fma_f64 v[105:106], -v[101:102], v[103:104], 1.0
	v_fma_f64 v[103:104], v[103:104], v[105:106], v[103:104]
	v_div_scale_f64 v[105:106], vcc, v[99:100], v[97:98], v[99:100]
	v_fma_f64 v[107:108], -v[101:102], v[103:104], 1.0
	v_fma_f64 v[103:104], v[103:104], v[107:108], v[103:104]
	v_mul_f64 v[107:108], v[105:106], v[103:104]
	v_fma_f64 v[101:102], -v[101:102], v[107:108], v[105:106]
	v_div_fmas_f64 v[101:102], v[101:102], v[103:104], v[107:108]
	v_div_fixup_f64 v[103:104], v[101:102], v[97:98], v[99:100]
	v_fma_f64 v[97:98], v[99:100], v[103:104], v[97:98]
	v_div_scale_f64 v[99:100], s[6:7], v[97:98], v[97:98], 1.0
	v_div_scale_f64 v[107:108], vcc, 1.0, v[97:98], 1.0
	v_rcp_f64_e32 v[101:102], v[99:100]
	v_fma_f64 v[105:106], -v[99:100], v[101:102], 1.0
	v_fma_f64 v[101:102], v[101:102], v[105:106], v[101:102]
	v_fma_f64 v[105:106], -v[99:100], v[101:102], 1.0
	v_fma_f64 v[101:102], v[101:102], v[105:106], v[101:102]
	v_mul_f64 v[105:106], v[107:108], v[101:102]
	v_fma_f64 v[99:100], -v[99:100], v[105:106], v[107:108]
	v_div_fmas_f64 v[99:100], v[99:100], v[101:102], v[105:106]
	v_div_fixup_f64 v[101:102], v[99:100], v[97:98], 1.0
	v_mul_f64 v[103:104], v[103:104], -v[101:102]
.LBB113_349:
	s_or_b64 exec, exec, s[2:3]
	ds_write2_b64 v127, v[101:102], v[103:104] offset1:1
.LBB113_350:
	s_or_b64 exec, exec, s[4:5]
	s_waitcnt lgkmcnt(0)
	s_barrier
	ds_read2_b64 v[73:76], v127 offset1:1
	v_cmp_lt_u32_e32 vcc, 38, v0
	s_waitcnt lgkmcnt(0)
	buffer_store_dword v73, off, s[20:23], 0 offset:1768 ; 4-byte Folded Spill
	s_nop 0
	buffer_store_dword v74, off, s[20:23], 0 offset:1772 ; 4-byte Folded Spill
	buffer_store_dword v75, off, s[20:23], 0 offset:1776 ; 4-byte Folded Spill
	;; [unrolled: 1-line block ×3, first 2 shown]
	s_and_saveexec_b64 s[2:3], vcc
	s_cbranch_execz .LBB113_352
; %bb.351:
	buffer_load_dword v73, off, s[20:23], 0 offset:1768 ; 4-byte Folded Reload
	buffer_load_dword v74, off, s[20:23], 0 offset:1772 ; 4-byte Folded Reload
	buffer_load_dword v75, off, s[20:23], 0 offset:1776 ; 4-byte Folded Reload
	buffer_load_dword v76, off, s[20:23], 0 offset:1780 ; 4-byte Folded Reload
	buffer_load_dword v69, off, s[20:23], 0 offset:112 ; 4-byte Folded Reload
	buffer_load_dword v70, off, s[20:23], 0 offset:116 ; 4-byte Folded Reload
	buffer_load_dword v71, off, s[20:23], 0 offset:120 ; 4-byte Folded Reload
	buffer_load_dword v72, off, s[20:23], 0 offset:124 ; 4-byte Folded Reload
	ds_read2_b64 v[99:102], v125 offset0:78 offset1:79
	buffer_load_dword v65, off, s[20:23], 0 offset:96 ; 4-byte Folded Reload
	buffer_load_dword v66, off, s[20:23], 0 offset:100 ; 4-byte Folded Reload
	;; [unrolled: 1-line block ×4, first 2 shown]
	s_waitcnt vmcnt(4)
	v_mul_f64 v[97:98], v[75:76], v[71:72]
	v_mul_f64 v[71:72], v[73:74], v[71:72]
	v_fma_f64 v[97:98], v[73:74], v[69:70], -v[97:98]
	v_fma_f64 v[71:72], v[75:76], v[69:70], v[71:72]
	s_waitcnt lgkmcnt(0)
	v_mul_f64 v[69:70], v[101:102], v[71:72]
	v_fma_f64 v[69:70], v[99:100], v[97:98], -v[69:70]
	v_mul_f64 v[99:100], v[99:100], v[71:72]
	s_waitcnt vmcnt(2)
	v_add_f64 v[65:66], v[65:66], -v[69:70]
	v_fma_f64 v[99:100], v[101:102], v[97:98], v[99:100]
	s_waitcnt vmcnt(0)
	v_add_f64 v[67:68], v[67:68], -v[99:100]
	buffer_store_dword v65, off, s[20:23], 0 offset:96 ; 4-byte Folded Spill
	s_nop 0
	buffer_store_dword v66, off, s[20:23], 0 offset:100 ; 4-byte Folded Spill
	buffer_store_dword v67, off, s[20:23], 0 offset:104 ; 4-byte Folded Spill
	buffer_store_dword v68, off, s[20:23], 0 offset:108 ; 4-byte Folded Spill
	ds_read2_b64 v[99:102], v125 offset0:80 offset1:81
	buffer_load_dword v61, off, s[20:23], 0 offset:80 ; 4-byte Folded Reload
	buffer_load_dword v62, off, s[20:23], 0 offset:84 ; 4-byte Folded Reload
	buffer_load_dword v63, off, s[20:23], 0 offset:88 ; 4-byte Folded Reload
	buffer_load_dword v64, off, s[20:23], 0 offset:92 ; 4-byte Folded Reload
	s_waitcnt lgkmcnt(0)
	v_mul_f64 v[69:70], v[101:102], v[71:72]
	v_fma_f64 v[69:70], v[99:100], v[97:98], -v[69:70]
	v_mul_f64 v[99:100], v[99:100], v[71:72]
	v_fma_f64 v[99:100], v[101:102], v[97:98], v[99:100]
	s_waitcnt vmcnt(2)
	v_add_f64 v[61:62], v[61:62], -v[69:70]
	s_waitcnt vmcnt(0)
	v_add_f64 v[63:64], v[63:64], -v[99:100]
	buffer_store_dword v61, off, s[20:23], 0 offset:80 ; 4-byte Folded Spill
	s_nop 0
	buffer_store_dword v62, off, s[20:23], 0 offset:84 ; 4-byte Folded Spill
	buffer_store_dword v63, off, s[20:23], 0 offset:88 ; 4-byte Folded Spill
	buffer_store_dword v64, off, s[20:23], 0 offset:92 ; 4-byte Folded Spill
	ds_read2_b64 v[99:102], v125 offset0:82 offset1:83
	buffer_load_dword v57, off, s[20:23], 0 offset:64 ; 4-byte Folded Reload
	buffer_load_dword v58, off, s[20:23], 0 offset:68 ; 4-byte Folded Reload
	buffer_load_dword v59, off, s[20:23], 0 offset:72 ; 4-byte Folded Reload
	buffer_load_dword v60, off, s[20:23], 0 offset:76 ; 4-byte Folded Reload
	s_waitcnt lgkmcnt(0)
	v_mul_f64 v[69:70], v[101:102], v[71:72]
	v_fma_f64 v[69:70], v[99:100], v[97:98], -v[69:70]
	v_mul_f64 v[99:100], v[99:100], v[71:72]
	v_fma_f64 v[99:100], v[101:102], v[97:98], v[99:100]
	s_waitcnt vmcnt(2)
	v_add_f64 v[57:58], v[57:58], -v[69:70]
	;; [unrolled: 19-line block ×5, first 2 shown]
	s_waitcnt vmcnt(0)
	v_add_f64 v[47:48], v[47:48], -v[99:100]
	buffer_store_dword v45, off, s[20:23], 0 offset:16 ; 4-byte Folded Spill
	s_nop 0
	buffer_store_dword v46, off, s[20:23], 0 offset:20 ; 4-byte Folded Spill
	buffer_store_dword v47, off, s[20:23], 0 offset:24 ; 4-byte Folded Spill
	;; [unrolled: 1-line block ×3, first 2 shown]
	ds_read2_b64 v[99:102], v125 offset0:90 offset1:91
	buffer_load_dword v41, off, s[20:23], 0 ; 4-byte Folded Reload
	buffer_load_dword v42, off, s[20:23], 0 offset:4 ; 4-byte Folded Reload
	buffer_load_dword v43, off, s[20:23], 0 offset:8 ; 4-byte Folded Reload
	;; [unrolled: 1-line block ×3, first 2 shown]
	s_waitcnt lgkmcnt(0)
	v_mul_f64 v[69:70], v[101:102], v[71:72]
	v_fma_f64 v[69:70], v[99:100], v[97:98], -v[69:70]
	v_mul_f64 v[99:100], v[99:100], v[71:72]
	v_fma_f64 v[99:100], v[101:102], v[97:98], v[99:100]
	s_waitcnt vmcnt(2)
	v_add_f64 v[41:42], v[41:42], -v[69:70]
	s_waitcnt vmcnt(0)
	v_add_f64 v[43:44], v[43:44], -v[99:100]
	buffer_store_dword v41, off, s[20:23], 0 ; 4-byte Folded Spill
	s_nop 0
	buffer_store_dword v42, off, s[20:23], 0 offset:4 ; 4-byte Folded Spill
	buffer_store_dword v43, off, s[20:23], 0 offset:8 ; 4-byte Folded Spill
	;; [unrolled: 1-line block ×3, first 2 shown]
	ds_read2_b64 v[99:102], v125 offset0:92 offset1:93
	s_waitcnt lgkmcnt(0)
	v_mul_f64 v[69:70], v[101:102], v[71:72]
	v_fma_f64 v[69:70], v[99:100], v[97:98], -v[69:70]
	v_mul_f64 v[99:100], v[99:100], v[71:72]
	v_add_f64 v[37:38], v[37:38], -v[69:70]
	v_fma_f64 v[99:100], v[101:102], v[97:98], v[99:100]
	v_add_f64 v[39:40], v[39:40], -v[99:100]
	ds_read2_b64 v[99:102], v125 offset0:94 offset1:95
	s_waitcnt lgkmcnt(0)
	v_mul_f64 v[69:70], v[101:102], v[71:72]
	v_fma_f64 v[69:70], v[99:100], v[97:98], -v[69:70]
	v_mul_f64 v[99:100], v[99:100], v[71:72]
	v_add_f64 v[33:34], v[33:34], -v[69:70]
	v_fma_f64 v[99:100], v[101:102], v[97:98], v[99:100]
	v_add_f64 v[35:36], v[35:36], -v[99:100]
	;; [unrolled: 8-line block ×10, first 2 shown]
	ds_read2_b64 v[99:102], v125 offset0:112 offset1:113
	s_waitcnt lgkmcnt(0)
	v_mul_f64 v[69:70], v[101:102], v[71:72]
	v_fma_f64 v[69:70], v[99:100], v[97:98], -v[69:70]
	v_mul_f64 v[99:100], v[99:100], v[71:72]
	v_add_f64 v[121:122], v[121:122], -v[69:70]
	v_fma_f64 v[99:100], v[101:102], v[97:98], v[99:100]
	v_mov_b32_e32 v69, v97
	v_mov_b32_e32 v70, v98
	buffer_store_dword v69, off, s[20:23], 0 offset:112 ; 4-byte Folded Spill
	s_nop 0
	buffer_store_dword v70, off, s[20:23], 0 offset:116 ; 4-byte Folded Spill
	buffer_store_dword v71, off, s[20:23], 0 offset:120 ; 4-byte Folded Spill
	;; [unrolled: 1-line block ×3, first 2 shown]
	v_add_f64 v[123:124], v[123:124], -v[99:100]
.LBB113_352:
	s_or_b64 exec, exec, s[2:3]
	v_cmp_eq_u32_e32 vcc, 39, v0
	s_waitcnt vmcnt(0)
	s_barrier
	s_and_saveexec_b64 s[4:5], vcc
	s_cbranch_execz .LBB113_359
; %bb.353:
	buffer_load_dword v65, off, s[20:23], 0 offset:96 ; 4-byte Folded Reload
	buffer_load_dword v66, off, s[20:23], 0 offset:100 ; 4-byte Folded Reload
	buffer_load_dword v67, off, s[20:23], 0 offset:104 ; 4-byte Folded Reload
	buffer_load_dword v68, off, s[20:23], 0 offset:108 ; 4-byte Folded Reload
	s_waitcnt vmcnt(0)
	ds_write2_b64 v127, v[65:66], v[67:68] offset1:1
	buffer_load_dword v61, off, s[20:23], 0 offset:80 ; 4-byte Folded Reload
	buffer_load_dword v62, off, s[20:23], 0 offset:84 ; 4-byte Folded Reload
	buffer_load_dword v63, off, s[20:23], 0 offset:88 ; 4-byte Folded Reload
	buffer_load_dword v64, off, s[20:23], 0 offset:92 ; 4-byte Folded Reload
	s_waitcnt vmcnt(0)
	ds_write2_b64 v125, v[61:62], v[63:64] offset0:80 offset1:81
	buffer_load_dword v57, off, s[20:23], 0 offset:64 ; 4-byte Folded Reload
	buffer_load_dword v58, off, s[20:23], 0 offset:68 ; 4-byte Folded Reload
	buffer_load_dword v59, off, s[20:23], 0 offset:72 ; 4-byte Folded Reload
	buffer_load_dword v60, off, s[20:23], 0 offset:76 ; 4-byte Folded Reload
	s_waitcnt vmcnt(0)
	ds_write2_b64 v125, v[57:58], v[59:60] offset0:82 offset1:83
	buffer_load_dword v53, off, s[20:23], 0 offset:48 ; 4-byte Folded Reload
	buffer_load_dword v54, off, s[20:23], 0 offset:52 ; 4-byte Folded Reload
	buffer_load_dword v55, off, s[20:23], 0 offset:56 ; 4-byte Folded Reload
	buffer_load_dword v56, off, s[20:23], 0 offset:60 ; 4-byte Folded Reload
	s_waitcnt vmcnt(0)
	ds_write2_b64 v125, v[53:54], v[55:56] offset0:84 offset1:85
	buffer_load_dword v49, off, s[20:23], 0 offset:32 ; 4-byte Folded Reload
	buffer_load_dword v50, off, s[20:23], 0 offset:36 ; 4-byte Folded Reload
	buffer_load_dword v51, off, s[20:23], 0 offset:40 ; 4-byte Folded Reload
	buffer_load_dword v52, off, s[20:23], 0 offset:44 ; 4-byte Folded Reload
	s_waitcnt vmcnt(0)
	ds_write2_b64 v125, v[49:50], v[51:52] offset0:86 offset1:87
	buffer_load_dword v45, off, s[20:23], 0 offset:16 ; 4-byte Folded Reload
	buffer_load_dword v46, off, s[20:23], 0 offset:20 ; 4-byte Folded Reload
	buffer_load_dword v47, off, s[20:23], 0 offset:24 ; 4-byte Folded Reload
	buffer_load_dword v48, off, s[20:23], 0 offset:28 ; 4-byte Folded Reload
	s_waitcnt vmcnt(0)
	ds_write2_b64 v125, v[45:46], v[47:48] offset0:88 offset1:89
	buffer_load_dword v41, off, s[20:23], 0 ; 4-byte Folded Reload
	buffer_load_dword v42, off, s[20:23], 0 offset:4 ; 4-byte Folded Reload
	buffer_load_dword v43, off, s[20:23], 0 offset:8 ; 4-byte Folded Reload
	;; [unrolled: 1-line block ×3, first 2 shown]
	s_waitcnt vmcnt(0)
	ds_write2_b64 v125, v[41:42], v[43:44] offset0:90 offset1:91
	ds_write2_b64 v125, v[37:38], v[39:40] offset0:92 offset1:93
	;; [unrolled: 1-line block ×12, first 2 shown]
	ds_read2_b64 v[97:100], v127 offset1:1
	s_waitcnt lgkmcnt(0)
	v_cmp_neq_f64_e32 vcc, 0, v[97:98]
	v_cmp_neq_f64_e64 s[2:3], 0, v[99:100]
	s_or_b64 s[2:3], vcc, s[2:3]
	s_and_b64 exec, exec, s[2:3]
	s_cbranch_execz .LBB113_359
; %bb.354:
	v_cmp_ngt_f64_e64 s[2:3], |v[97:98]|, |v[99:100]|
                                        ; implicit-def: $vgpr101_vgpr102
	s_and_saveexec_b64 s[6:7], s[2:3]
	s_xor_b64 s[2:3], exec, s[6:7]
                                        ; implicit-def: $vgpr103_vgpr104
	s_cbranch_execz .LBB113_356
; %bb.355:
	v_div_scale_f64 v[101:102], s[6:7], v[99:100], v[99:100], v[97:98]
	v_rcp_f64_e32 v[103:104], v[101:102]
	v_fma_f64 v[105:106], -v[101:102], v[103:104], 1.0
	v_fma_f64 v[103:104], v[103:104], v[105:106], v[103:104]
	v_div_scale_f64 v[105:106], vcc, v[97:98], v[99:100], v[97:98]
	v_fma_f64 v[107:108], -v[101:102], v[103:104], 1.0
	v_fma_f64 v[103:104], v[103:104], v[107:108], v[103:104]
	v_mul_f64 v[107:108], v[105:106], v[103:104]
	v_fma_f64 v[101:102], -v[101:102], v[107:108], v[105:106]
	v_div_fmas_f64 v[101:102], v[101:102], v[103:104], v[107:108]
	v_div_fixup_f64 v[101:102], v[101:102], v[99:100], v[97:98]
	v_fma_f64 v[97:98], v[97:98], v[101:102], v[99:100]
	v_div_scale_f64 v[99:100], s[6:7], v[97:98], v[97:98], 1.0
	v_div_scale_f64 v[107:108], vcc, 1.0, v[97:98], 1.0
	v_rcp_f64_e32 v[103:104], v[99:100]
	v_fma_f64 v[105:106], -v[99:100], v[103:104], 1.0
	v_fma_f64 v[103:104], v[103:104], v[105:106], v[103:104]
	v_fma_f64 v[105:106], -v[99:100], v[103:104], 1.0
	v_fma_f64 v[103:104], v[103:104], v[105:106], v[103:104]
	v_mul_f64 v[105:106], v[107:108], v[103:104]
	v_fma_f64 v[99:100], -v[99:100], v[105:106], v[107:108]
	v_div_fmas_f64 v[99:100], v[99:100], v[103:104], v[105:106]
	v_div_fixup_f64 v[103:104], v[99:100], v[97:98], 1.0
                                        ; implicit-def: $vgpr97_vgpr98
	v_mul_f64 v[101:102], v[101:102], v[103:104]
	v_xor_b32_e32 v104, 0x80000000, v104
.LBB113_356:
	s_andn2_saveexec_b64 s[2:3], s[2:3]
	s_cbranch_execz .LBB113_358
; %bb.357:
	v_div_scale_f64 v[101:102], s[6:7], v[97:98], v[97:98], v[99:100]
	v_rcp_f64_e32 v[103:104], v[101:102]
	v_fma_f64 v[105:106], -v[101:102], v[103:104], 1.0
	v_fma_f64 v[103:104], v[103:104], v[105:106], v[103:104]
	v_div_scale_f64 v[105:106], vcc, v[99:100], v[97:98], v[99:100]
	v_fma_f64 v[107:108], -v[101:102], v[103:104], 1.0
	v_fma_f64 v[103:104], v[103:104], v[107:108], v[103:104]
	v_mul_f64 v[107:108], v[105:106], v[103:104]
	v_fma_f64 v[101:102], -v[101:102], v[107:108], v[105:106]
	v_div_fmas_f64 v[101:102], v[101:102], v[103:104], v[107:108]
	v_div_fixup_f64 v[103:104], v[101:102], v[97:98], v[99:100]
	v_fma_f64 v[97:98], v[99:100], v[103:104], v[97:98]
	v_div_scale_f64 v[99:100], s[6:7], v[97:98], v[97:98], 1.0
	v_div_scale_f64 v[107:108], vcc, 1.0, v[97:98], 1.0
	v_rcp_f64_e32 v[101:102], v[99:100]
	v_fma_f64 v[105:106], -v[99:100], v[101:102], 1.0
	v_fma_f64 v[101:102], v[101:102], v[105:106], v[101:102]
	v_fma_f64 v[105:106], -v[99:100], v[101:102], 1.0
	v_fma_f64 v[101:102], v[101:102], v[105:106], v[101:102]
	v_mul_f64 v[105:106], v[107:108], v[101:102]
	v_fma_f64 v[99:100], -v[99:100], v[105:106], v[107:108]
	v_div_fmas_f64 v[99:100], v[99:100], v[101:102], v[105:106]
	v_div_fixup_f64 v[101:102], v[99:100], v[97:98], 1.0
	v_mul_f64 v[103:104], v[103:104], -v[101:102]
.LBB113_358:
	s_or_b64 exec, exec, s[2:3]
	ds_write2_b64 v127, v[101:102], v[103:104] offset1:1
.LBB113_359:
	s_or_b64 exec, exec, s[4:5]
	s_waitcnt lgkmcnt(0)
	s_barrier
	ds_read2_b64 v[113:116], v127 offset1:1
	v_cmp_lt_u32_e32 vcc, 39, v0
	s_and_saveexec_b64 s[2:3], vcc
	s_cbranch_execz .LBB113_361
; %bb.360:
	buffer_load_dword v65, off, s[20:23], 0 offset:96 ; 4-byte Folded Reload
	buffer_load_dword v66, off, s[20:23], 0 offset:100 ; 4-byte Folded Reload
	;; [unrolled: 1-line block ×4, first 2 shown]
	ds_read2_b64 v[99:102], v125 offset0:80 offset1:81
	buffer_load_dword v61, off, s[20:23], 0 offset:80 ; 4-byte Folded Reload
	buffer_load_dword v62, off, s[20:23], 0 offset:84 ; 4-byte Folded Reload
	;; [unrolled: 1-line block ×4, first 2 shown]
	s_waitcnt vmcnt(4) lgkmcnt(1)
	v_mul_f64 v[97:98], v[115:116], v[67:68]
	v_mul_f64 v[67:68], v[113:114], v[67:68]
	v_fma_f64 v[97:98], v[113:114], v[65:66], -v[97:98]
	v_fma_f64 v[67:68], v[115:116], v[65:66], v[67:68]
	s_waitcnt lgkmcnt(0)
	v_mul_f64 v[65:66], v[101:102], v[67:68]
	v_fma_f64 v[65:66], v[99:100], v[97:98], -v[65:66]
	v_mul_f64 v[99:100], v[99:100], v[67:68]
	s_waitcnt vmcnt(2)
	v_add_f64 v[61:62], v[61:62], -v[65:66]
	v_fma_f64 v[99:100], v[101:102], v[97:98], v[99:100]
	s_waitcnt vmcnt(0)
	v_add_f64 v[63:64], v[63:64], -v[99:100]
	buffer_store_dword v61, off, s[20:23], 0 offset:80 ; 4-byte Folded Spill
	s_nop 0
	buffer_store_dword v62, off, s[20:23], 0 offset:84 ; 4-byte Folded Spill
	buffer_store_dword v63, off, s[20:23], 0 offset:88 ; 4-byte Folded Spill
	buffer_store_dword v64, off, s[20:23], 0 offset:92 ; 4-byte Folded Spill
	ds_read2_b64 v[99:102], v125 offset0:82 offset1:83
	buffer_load_dword v57, off, s[20:23], 0 offset:64 ; 4-byte Folded Reload
	buffer_load_dword v58, off, s[20:23], 0 offset:68 ; 4-byte Folded Reload
	buffer_load_dword v59, off, s[20:23], 0 offset:72 ; 4-byte Folded Reload
	buffer_load_dword v60, off, s[20:23], 0 offset:76 ; 4-byte Folded Reload
	s_waitcnt lgkmcnt(0)
	v_mul_f64 v[65:66], v[101:102], v[67:68]
	v_fma_f64 v[65:66], v[99:100], v[97:98], -v[65:66]
	v_mul_f64 v[99:100], v[99:100], v[67:68]
	v_fma_f64 v[99:100], v[101:102], v[97:98], v[99:100]
	s_waitcnt vmcnt(2)
	v_add_f64 v[57:58], v[57:58], -v[65:66]
	s_waitcnt vmcnt(0)
	v_add_f64 v[59:60], v[59:60], -v[99:100]
	buffer_store_dword v57, off, s[20:23], 0 offset:64 ; 4-byte Folded Spill
	s_nop 0
	buffer_store_dword v58, off, s[20:23], 0 offset:68 ; 4-byte Folded Spill
	buffer_store_dword v59, off, s[20:23], 0 offset:72 ; 4-byte Folded Spill
	buffer_store_dword v60, off, s[20:23], 0 offset:76 ; 4-byte Folded Spill
	ds_read2_b64 v[99:102], v125 offset0:84 offset1:85
	buffer_load_dword v53, off, s[20:23], 0 offset:48 ; 4-byte Folded Reload
	buffer_load_dword v54, off, s[20:23], 0 offset:52 ; 4-byte Folded Reload
	buffer_load_dword v55, off, s[20:23], 0 offset:56 ; 4-byte Folded Reload
	buffer_load_dword v56, off, s[20:23], 0 offset:60 ; 4-byte Folded Reload
	s_waitcnt lgkmcnt(0)
	v_mul_f64 v[65:66], v[101:102], v[67:68]
	v_fma_f64 v[65:66], v[99:100], v[97:98], -v[65:66]
	v_mul_f64 v[99:100], v[99:100], v[67:68]
	v_fma_f64 v[99:100], v[101:102], v[97:98], v[99:100]
	s_waitcnt vmcnt(2)
	v_add_f64 v[53:54], v[53:54], -v[65:66]
	;; [unrolled: 19-line block ×4, first 2 shown]
	s_waitcnt vmcnt(0)
	v_add_f64 v[47:48], v[47:48], -v[99:100]
	buffer_store_dword v45, off, s[20:23], 0 offset:16 ; 4-byte Folded Spill
	s_nop 0
	buffer_store_dword v46, off, s[20:23], 0 offset:20 ; 4-byte Folded Spill
	buffer_store_dword v47, off, s[20:23], 0 offset:24 ; 4-byte Folded Spill
	;; [unrolled: 1-line block ×3, first 2 shown]
	ds_read2_b64 v[99:102], v125 offset0:90 offset1:91
	buffer_load_dword v41, off, s[20:23], 0 ; 4-byte Folded Reload
	buffer_load_dword v42, off, s[20:23], 0 offset:4 ; 4-byte Folded Reload
	buffer_load_dword v43, off, s[20:23], 0 offset:8 ; 4-byte Folded Reload
	;; [unrolled: 1-line block ×3, first 2 shown]
	s_waitcnt lgkmcnt(0)
	v_mul_f64 v[65:66], v[101:102], v[67:68]
	v_fma_f64 v[65:66], v[99:100], v[97:98], -v[65:66]
	v_mul_f64 v[99:100], v[99:100], v[67:68]
	v_fma_f64 v[99:100], v[101:102], v[97:98], v[99:100]
	s_waitcnt vmcnt(2)
	v_add_f64 v[41:42], v[41:42], -v[65:66]
	s_waitcnt vmcnt(0)
	v_add_f64 v[43:44], v[43:44], -v[99:100]
	buffer_store_dword v41, off, s[20:23], 0 ; 4-byte Folded Spill
	s_nop 0
	buffer_store_dword v42, off, s[20:23], 0 offset:4 ; 4-byte Folded Spill
	buffer_store_dword v43, off, s[20:23], 0 offset:8 ; 4-byte Folded Spill
	;; [unrolled: 1-line block ×3, first 2 shown]
	ds_read2_b64 v[99:102], v125 offset0:92 offset1:93
	s_waitcnt lgkmcnt(0)
	v_mul_f64 v[65:66], v[101:102], v[67:68]
	v_fma_f64 v[65:66], v[99:100], v[97:98], -v[65:66]
	v_mul_f64 v[99:100], v[99:100], v[67:68]
	v_add_f64 v[37:38], v[37:38], -v[65:66]
	v_fma_f64 v[99:100], v[101:102], v[97:98], v[99:100]
	v_add_f64 v[39:40], v[39:40], -v[99:100]
	ds_read2_b64 v[99:102], v125 offset0:94 offset1:95
	s_waitcnt lgkmcnt(0)
	v_mul_f64 v[65:66], v[101:102], v[67:68]
	v_fma_f64 v[65:66], v[99:100], v[97:98], -v[65:66]
	v_mul_f64 v[99:100], v[99:100], v[67:68]
	v_add_f64 v[33:34], v[33:34], -v[65:66]
	v_fma_f64 v[99:100], v[101:102], v[97:98], v[99:100]
	v_add_f64 v[35:36], v[35:36], -v[99:100]
	ds_read2_b64 v[99:102], v125 offset0:96 offset1:97
	s_waitcnt lgkmcnt(0)
	v_mul_f64 v[65:66], v[101:102], v[67:68]
	v_fma_f64 v[65:66], v[99:100], v[97:98], -v[65:66]
	v_mul_f64 v[99:100], v[99:100], v[67:68]
	v_add_f64 v[29:30], v[29:30], -v[65:66]
	v_fma_f64 v[99:100], v[101:102], v[97:98], v[99:100]
	v_add_f64 v[31:32], v[31:32], -v[99:100]
	ds_read2_b64 v[99:102], v125 offset0:98 offset1:99
	s_waitcnt lgkmcnt(0)
	v_mul_f64 v[65:66], v[101:102], v[67:68]
	v_fma_f64 v[65:66], v[99:100], v[97:98], -v[65:66]
	v_mul_f64 v[99:100], v[99:100], v[67:68]
	v_add_f64 v[25:26], v[25:26], -v[65:66]
	v_fma_f64 v[99:100], v[101:102], v[97:98], v[99:100]
	v_add_f64 v[27:28], v[27:28], -v[99:100]
	ds_read2_b64 v[99:102], v125 offset0:100 offset1:101
	s_waitcnt lgkmcnt(0)
	v_mul_f64 v[65:66], v[101:102], v[67:68]
	v_fma_f64 v[65:66], v[99:100], v[97:98], -v[65:66]
	v_mul_f64 v[99:100], v[99:100], v[67:68]
	v_add_f64 v[21:22], v[21:22], -v[65:66]
	v_fma_f64 v[99:100], v[101:102], v[97:98], v[99:100]
	v_add_f64 v[23:24], v[23:24], -v[99:100]
	ds_read2_b64 v[99:102], v125 offset0:102 offset1:103
	s_waitcnt lgkmcnt(0)
	v_mul_f64 v[65:66], v[101:102], v[67:68]
	v_fma_f64 v[65:66], v[99:100], v[97:98], -v[65:66]
	v_mul_f64 v[99:100], v[99:100], v[67:68]
	v_add_f64 v[17:18], v[17:18], -v[65:66]
	v_fma_f64 v[99:100], v[101:102], v[97:98], v[99:100]
	v_add_f64 v[19:20], v[19:20], -v[99:100]
	ds_read2_b64 v[99:102], v125 offset0:104 offset1:105
	s_waitcnt lgkmcnt(0)
	v_mul_f64 v[65:66], v[101:102], v[67:68]
	v_fma_f64 v[65:66], v[99:100], v[97:98], -v[65:66]
	v_mul_f64 v[99:100], v[99:100], v[67:68]
	v_add_f64 v[13:14], v[13:14], -v[65:66]
	v_fma_f64 v[99:100], v[101:102], v[97:98], v[99:100]
	v_add_f64 v[15:16], v[15:16], -v[99:100]
	ds_read2_b64 v[99:102], v125 offset0:106 offset1:107
	s_waitcnt lgkmcnt(0)
	v_mul_f64 v[65:66], v[101:102], v[67:68]
	v_fma_f64 v[65:66], v[99:100], v[97:98], -v[65:66]
	v_mul_f64 v[99:100], v[99:100], v[67:68]
	v_add_f64 v[9:10], v[9:10], -v[65:66]
	v_fma_f64 v[99:100], v[101:102], v[97:98], v[99:100]
	v_add_f64 v[11:12], v[11:12], -v[99:100]
	ds_read2_b64 v[99:102], v125 offset0:108 offset1:109
	s_waitcnt lgkmcnt(0)
	v_mul_f64 v[65:66], v[101:102], v[67:68]
	v_fma_f64 v[65:66], v[99:100], v[97:98], -v[65:66]
	v_mul_f64 v[99:100], v[99:100], v[67:68]
	v_add_f64 v[5:6], v[5:6], -v[65:66]
	v_fma_f64 v[99:100], v[101:102], v[97:98], v[99:100]
	v_add_f64 v[7:8], v[7:8], -v[99:100]
	ds_read2_b64 v[99:102], v125 offset0:110 offset1:111
	s_waitcnt lgkmcnt(0)
	v_mul_f64 v[65:66], v[101:102], v[67:68]
	v_fma_f64 v[65:66], v[99:100], v[97:98], -v[65:66]
	v_mul_f64 v[99:100], v[99:100], v[67:68]
	v_add_f64 v[1:2], v[1:2], -v[65:66]
	v_fma_f64 v[99:100], v[101:102], v[97:98], v[99:100]
	v_add_f64 v[3:4], v[3:4], -v[99:100]
	ds_read2_b64 v[99:102], v125 offset0:112 offset1:113
	s_waitcnt lgkmcnt(0)
	v_mul_f64 v[65:66], v[101:102], v[67:68]
	v_fma_f64 v[65:66], v[99:100], v[97:98], -v[65:66]
	v_mul_f64 v[99:100], v[99:100], v[67:68]
	v_add_f64 v[121:122], v[121:122], -v[65:66]
	v_fma_f64 v[99:100], v[101:102], v[97:98], v[99:100]
	v_mov_b32_e32 v65, v97
	v_mov_b32_e32 v66, v98
	buffer_store_dword v65, off, s[20:23], 0 offset:96 ; 4-byte Folded Spill
	s_nop 0
	buffer_store_dword v66, off, s[20:23], 0 offset:100 ; 4-byte Folded Spill
	buffer_store_dword v67, off, s[20:23], 0 offset:104 ; 4-byte Folded Spill
	;; [unrolled: 1-line block ×3, first 2 shown]
	v_add_f64 v[123:124], v[123:124], -v[99:100]
.LBB113_361:
	s_or_b64 exec, exec, s[2:3]
	v_cmp_eq_u32_e32 vcc, 40, v0
	s_waitcnt vmcnt(0) lgkmcnt(0)
	s_barrier
	s_and_saveexec_b64 s[4:5], vcc
	s_cbranch_execz .LBB113_368
; %bb.362:
	buffer_load_dword v61, off, s[20:23], 0 offset:80 ; 4-byte Folded Reload
	buffer_load_dword v62, off, s[20:23], 0 offset:84 ; 4-byte Folded Reload
	;; [unrolled: 1-line block ×4, first 2 shown]
	s_waitcnt vmcnt(0)
	ds_write2_b64 v127, v[61:62], v[63:64] offset1:1
	buffer_load_dword v57, off, s[20:23], 0 offset:64 ; 4-byte Folded Reload
	buffer_load_dword v58, off, s[20:23], 0 offset:68 ; 4-byte Folded Reload
	buffer_load_dword v59, off, s[20:23], 0 offset:72 ; 4-byte Folded Reload
	buffer_load_dword v60, off, s[20:23], 0 offset:76 ; 4-byte Folded Reload
	s_waitcnt vmcnt(0)
	ds_write2_b64 v125, v[57:58], v[59:60] offset0:82 offset1:83
	buffer_load_dword v53, off, s[20:23], 0 offset:48 ; 4-byte Folded Reload
	buffer_load_dword v54, off, s[20:23], 0 offset:52 ; 4-byte Folded Reload
	buffer_load_dword v55, off, s[20:23], 0 offset:56 ; 4-byte Folded Reload
	buffer_load_dword v56, off, s[20:23], 0 offset:60 ; 4-byte Folded Reload
	s_waitcnt vmcnt(0)
	ds_write2_b64 v125, v[53:54], v[55:56] offset0:84 offset1:85
	;; [unrolled: 6-line block ×4, first 2 shown]
	buffer_load_dword v41, off, s[20:23], 0 ; 4-byte Folded Reload
	buffer_load_dword v42, off, s[20:23], 0 offset:4 ; 4-byte Folded Reload
	buffer_load_dword v43, off, s[20:23], 0 offset:8 ; 4-byte Folded Reload
	;; [unrolled: 1-line block ×3, first 2 shown]
	s_waitcnt vmcnt(0)
	ds_write2_b64 v125, v[41:42], v[43:44] offset0:90 offset1:91
	ds_write2_b64 v125, v[37:38], v[39:40] offset0:92 offset1:93
	;; [unrolled: 1-line block ×12, first 2 shown]
	ds_read2_b64 v[97:100], v127 offset1:1
	s_waitcnt lgkmcnt(0)
	v_cmp_neq_f64_e32 vcc, 0, v[97:98]
	v_cmp_neq_f64_e64 s[2:3], 0, v[99:100]
	s_or_b64 s[2:3], vcc, s[2:3]
	s_and_b64 exec, exec, s[2:3]
	s_cbranch_execz .LBB113_368
; %bb.363:
	v_cmp_ngt_f64_e64 s[2:3], |v[97:98]|, |v[99:100]|
                                        ; implicit-def: $vgpr101_vgpr102
	s_and_saveexec_b64 s[6:7], s[2:3]
	s_xor_b64 s[2:3], exec, s[6:7]
                                        ; implicit-def: $vgpr103_vgpr104
	s_cbranch_execz .LBB113_365
; %bb.364:
	v_div_scale_f64 v[101:102], s[6:7], v[99:100], v[99:100], v[97:98]
	v_rcp_f64_e32 v[103:104], v[101:102]
	v_fma_f64 v[105:106], -v[101:102], v[103:104], 1.0
	v_fma_f64 v[103:104], v[103:104], v[105:106], v[103:104]
	v_div_scale_f64 v[105:106], vcc, v[97:98], v[99:100], v[97:98]
	v_fma_f64 v[107:108], -v[101:102], v[103:104], 1.0
	v_fma_f64 v[103:104], v[103:104], v[107:108], v[103:104]
	v_mul_f64 v[107:108], v[105:106], v[103:104]
	v_fma_f64 v[101:102], -v[101:102], v[107:108], v[105:106]
	v_div_fmas_f64 v[101:102], v[101:102], v[103:104], v[107:108]
	v_div_fixup_f64 v[101:102], v[101:102], v[99:100], v[97:98]
	v_fma_f64 v[97:98], v[97:98], v[101:102], v[99:100]
	v_div_scale_f64 v[99:100], s[6:7], v[97:98], v[97:98], 1.0
	v_div_scale_f64 v[107:108], vcc, 1.0, v[97:98], 1.0
	v_rcp_f64_e32 v[103:104], v[99:100]
	v_fma_f64 v[105:106], -v[99:100], v[103:104], 1.0
	v_fma_f64 v[103:104], v[103:104], v[105:106], v[103:104]
	v_fma_f64 v[105:106], -v[99:100], v[103:104], 1.0
	v_fma_f64 v[103:104], v[103:104], v[105:106], v[103:104]
	v_mul_f64 v[105:106], v[107:108], v[103:104]
	v_fma_f64 v[99:100], -v[99:100], v[105:106], v[107:108]
	v_div_fmas_f64 v[99:100], v[99:100], v[103:104], v[105:106]
	v_div_fixup_f64 v[103:104], v[99:100], v[97:98], 1.0
                                        ; implicit-def: $vgpr97_vgpr98
	v_mul_f64 v[101:102], v[101:102], v[103:104]
	v_xor_b32_e32 v104, 0x80000000, v104
.LBB113_365:
	s_andn2_saveexec_b64 s[2:3], s[2:3]
	s_cbranch_execz .LBB113_367
; %bb.366:
	v_div_scale_f64 v[101:102], s[6:7], v[97:98], v[97:98], v[99:100]
	v_rcp_f64_e32 v[103:104], v[101:102]
	v_fma_f64 v[105:106], -v[101:102], v[103:104], 1.0
	v_fma_f64 v[103:104], v[103:104], v[105:106], v[103:104]
	v_div_scale_f64 v[105:106], vcc, v[99:100], v[97:98], v[99:100]
	v_fma_f64 v[107:108], -v[101:102], v[103:104], 1.0
	v_fma_f64 v[103:104], v[103:104], v[107:108], v[103:104]
	v_mul_f64 v[107:108], v[105:106], v[103:104]
	v_fma_f64 v[101:102], -v[101:102], v[107:108], v[105:106]
	v_div_fmas_f64 v[101:102], v[101:102], v[103:104], v[107:108]
	v_div_fixup_f64 v[103:104], v[101:102], v[97:98], v[99:100]
	v_fma_f64 v[97:98], v[99:100], v[103:104], v[97:98]
	v_div_scale_f64 v[99:100], s[6:7], v[97:98], v[97:98], 1.0
	v_div_scale_f64 v[107:108], vcc, 1.0, v[97:98], 1.0
	v_rcp_f64_e32 v[101:102], v[99:100]
	v_fma_f64 v[105:106], -v[99:100], v[101:102], 1.0
	v_fma_f64 v[101:102], v[101:102], v[105:106], v[101:102]
	v_fma_f64 v[105:106], -v[99:100], v[101:102], 1.0
	v_fma_f64 v[101:102], v[101:102], v[105:106], v[101:102]
	v_mul_f64 v[105:106], v[107:108], v[101:102]
	v_fma_f64 v[99:100], -v[99:100], v[105:106], v[107:108]
	v_div_fmas_f64 v[99:100], v[99:100], v[101:102], v[105:106]
	v_div_fixup_f64 v[101:102], v[99:100], v[97:98], 1.0
	v_mul_f64 v[103:104], v[103:104], -v[101:102]
.LBB113_367:
	s_or_b64 exec, exec, s[2:3]
	ds_write2_b64 v127, v[101:102], v[103:104] offset1:1
.LBB113_368:
	s_or_b64 exec, exec, s[4:5]
	s_waitcnt lgkmcnt(0)
	s_barrier
	ds_read2_b64 v[69:72], v127 offset1:1
	v_cmp_lt_u32_e32 vcc, 40, v0
	s_waitcnt lgkmcnt(0)
	buffer_store_dword v69, off, s[20:23], 0 offset:1784 ; 4-byte Folded Spill
	s_nop 0
	buffer_store_dword v70, off, s[20:23], 0 offset:1788 ; 4-byte Folded Spill
	buffer_store_dword v71, off, s[20:23], 0 offset:1792 ; 4-byte Folded Spill
	;; [unrolled: 1-line block ×3, first 2 shown]
	s_and_saveexec_b64 s[2:3], vcc
	s_cbranch_execz .LBB113_370
; %bb.369:
	buffer_load_dword v69, off, s[20:23], 0 offset:1784 ; 4-byte Folded Reload
	buffer_load_dword v70, off, s[20:23], 0 offset:1788 ; 4-byte Folded Reload
	;; [unrolled: 1-line block ×8, first 2 shown]
	ds_read2_b64 v[99:102], v125 offset0:82 offset1:83
	buffer_load_dword v57, off, s[20:23], 0 offset:64 ; 4-byte Folded Reload
	buffer_load_dword v58, off, s[20:23], 0 offset:68 ; 4-byte Folded Reload
	;; [unrolled: 1-line block ×4, first 2 shown]
	s_waitcnt vmcnt(4)
	v_mul_f64 v[97:98], v[69:70], v[63:64]
	v_mul_f64 v[63:64], v[71:72], v[63:64]
	v_fma_f64 v[97:98], v[71:72], v[61:62], v[97:98]
	v_fma_f64 v[61:62], v[69:70], v[61:62], -v[63:64]
	s_waitcnt lgkmcnt(0)
	v_mul_f64 v[63:64], v[101:102], v[97:98]
	v_fma_f64 v[63:64], v[99:100], v[61:62], -v[63:64]
	v_mul_f64 v[99:100], v[99:100], v[97:98]
	s_waitcnt vmcnt(2)
	v_add_f64 v[57:58], v[57:58], -v[63:64]
	v_fma_f64 v[99:100], v[101:102], v[61:62], v[99:100]
	s_waitcnt vmcnt(0)
	v_add_f64 v[59:60], v[59:60], -v[99:100]
	buffer_store_dword v57, off, s[20:23], 0 offset:64 ; 4-byte Folded Spill
	s_nop 0
	buffer_store_dword v58, off, s[20:23], 0 offset:68 ; 4-byte Folded Spill
	buffer_store_dword v59, off, s[20:23], 0 offset:72 ; 4-byte Folded Spill
	buffer_store_dword v60, off, s[20:23], 0 offset:76 ; 4-byte Folded Spill
	ds_read2_b64 v[99:102], v125 offset0:84 offset1:85
	buffer_load_dword v53, off, s[20:23], 0 offset:48 ; 4-byte Folded Reload
	buffer_load_dword v54, off, s[20:23], 0 offset:52 ; 4-byte Folded Reload
	buffer_load_dword v55, off, s[20:23], 0 offset:56 ; 4-byte Folded Reload
	buffer_load_dword v56, off, s[20:23], 0 offset:60 ; 4-byte Folded Reload
	s_waitcnt lgkmcnt(0)
	v_mul_f64 v[63:64], v[101:102], v[97:98]
	v_fma_f64 v[63:64], v[99:100], v[61:62], -v[63:64]
	v_mul_f64 v[99:100], v[99:100], v[97:98]
	v_fma_f64 v[99:100], v[101:102], v[61:62], v[99:100]
	s_waitcnt vmcnt(2)
	v_add_f64 v[53:54], v[53:54], -v[63:64]
	s_waitcnt vmcnt(0)
	v_add_f64 v[55:56], v[55:56], -v[99:100]
	buffer_store_dword v53, off, s[20:23], 0 offset:48 ; 4-byte Folded Spill
	s_nop 0
	buffer_store_dword v54, off, s[20:23], 0 offset:52 ; 4-byte Folded Spill
	buffer_store_dword v55, off, s[20:23], 0 offset:56 ; 4-byte Folded Spill
	buffer_store_dword v56, off, s[20:23], 0 offset:60 ; 4-byte Folded Spill
	ds_read2_b64 v[99:102], v125 offset0:86 offset1:87
	buffer_load_dword v49, off, s[20:23], 0 offset:32 ; 4-byte Folded Reload
	buffer_load_dword v50, off, s[20:23], 0 offset:36 ; 4-byte Folded Reload
	buffer_load_dword v51, off, s[20:23], 0 offset:40 ; 4-byte Folded Reload
	buffer_load_dword v52, off, s[20:23], 0 offset:44 ; 4-byte Folded Reload
	s_waitcnt lgkmcnt(0)
	v_mul_f64 v[63:64], v[101:102], v[97:98]
	v_fma_f64 v[63:64], v[99:100], v[61:62], -v[63:64]
	v_mul_f64 v[99:100], v[99:100], v[97:98]
	v_fma_f64 v[99:100], v[101:102], v[61:62], v[99:100]
	s_waitcnt vmcnt(2)
	v_add_f64 v[49:50], v[49:50], -v[63:64]
	;; [unrolled: 19-line block ×3, first 2 shown]
	s_waitcnt vmcnt(0)
	v_add_f64 v[47:48], v[47:48], -v[99:100]
	buffer_store_dword v45, off, s[20:23], 0 offset:16 ; 4-byte Folded Spill
	s_nop 0
	buffer_store_dword v46, off, s[20:23], 0 offset:20 ; 4-byte Folded Spill
	buffer_store_dword v47, off, s[20:23], 0 offset:24 ; 4-byte Folded Spill
	buffer_store_dword v48, off, s[20:23], 0 offset:28 ; 4-byte Folded Spill
	ds_read2_b64 v[99:102], v125 offset0:90 offset1:91
	buffer_load_dword v41, off, s[20:23], 0 ; 4-byte Folded Reload
	buffer_load_dword v42, off, s[20:23], 0 offset:4 ; 4-byte Folded Reload
	buffer_load_dword v43, off, s[20:23], 0 offset:8 ; 4-byte Folded Reload
	;; [unrolled: 1-line block ×3, first 2 shown]
	s_waitcnt lgkmcnt(0)
	v_mul_f64 v[63:64], v[101:102], v[97:98]
	v_fma_f64 v[63:64], v[99:100], v[61:62], -v[63:64]
	v_mul_f64 v[99:100], v[99:100], v[97:98]
	v_fma_f64 v[99:100], v[101:102], v[61:62], v[99:100]
	s_waitcnt vmcnt(2)
	v_add_f64 v[41:42], v[41:42], -v[63:64]
	s_waitcnt vmcnt(0)
	v_add_f64 v[43:44], v[43:44], -v[99:100]
	buffer_store_dword v41, off, s[20:23], 0 ; 4-byte Folded Spill
	s_nop 0
	buffer_store_dword v42, off, s[20:23], 0 offset:4 ; 4-byte Folded Spill
	buffer_store_dword v43, off, s[20:23], 0 offset:8 ; 4-byte Folded Spill
	;; [unrolled: 1-line block ×3, first 2 shown]
	ds_read2_b64 v[99:102], v125 offset0:92 offset1:93
	s_waitcnt lgkmcnt(0)
	v_mul_f64 v[63:64], v[101:102], v[97:98]
	v_fma_f64 v[63:64], v[99:100], v[61:62], -v[63:64]
	v_mul_f64 v[99:100], v[99:100], v[97:98]
	v_add_f64 v[37:38], v[37:38], -v[63:64]
	v_fma_f64 v[99:100], v[101:102], v[61:62], v[99:100]
	v_add_f64 v[39:40], v[39:40], -v[99:100]
	ds_read2_b64 v[99:102], v125 offset0:94 offset1:95
	s_waitcnt lgkmcnt(0)
	v_mul_f64 v[63:64], v[101:102], v[97:98]
	v_fma_f64 v[63:64], v[99:100], v[61:62], -v[63:64]
	v_mul_f64 v[99:100], v[99:100], v[97:98]
	v_add_f64 v[33:34], v[33:34], -v[63:64]
	v_fma_f64 v[99:100], v[101:102], v[61:62], v[99:100]
	v_add_f64 v[35:36], v[35:36], -v[99:100]
	;; [unrolled: 8-line block ×10, first 2 shown]
	ds_read2_b64 v[99:102], v125 offset0:112 offset1:113
	s_waitcnt lgkmcnt(0)
	v_mul_f64 v[63:64], v[101:102], v[97:98]
	v_fma_f64 v[63:64], v[99:100], v[61:62], -v[63:64]
	v_mul_f64 v[99:100], v[99:100], v[97:98]
	v_add_f64 v[121:122], v[121:122], -v[63:64]
	v_fma_f64 v[99:100], v[101:102], v[61:62], v[99:100]
	v_mov_b32_e32 v63, v97
	v_mov_b32_e32 v64, v98
	buffer_store_dword v61, off, s[20:23], 0 offset:80 ; 4-byte Folded Spill
	s_nop 0
	buffer_store_dword v62, off, s[20:23], 0 offset:84 ; 4-byte Folded Spill
	buffer_store_dword v63, off, s[20:23], 0 offset:88 ; 4-byte Folded Spill
	;; [unrolled: 1-line block ×3, first 2 shown]
	v_add_f64 v[123:124], v[123:124], -v[99:100]
.LBB113_370:
	s_or_b64 exec, exec, s[2:3]
	v_cmp_eq_u32_e32 vcc, 41, v0
	s_waitcnt vmcnt(0)
	s_barrier
	s_and_saveexec_b64 s[4:5], vcc
	s_cbranch_execz .LBB113_377
; %bb.371:
	buffer_load_dword v57, off, s[20:23], 0 offset:64 ; 4-byte Folded Reload
	buffer_load_dword v58, off, s[20:23], 0 offset:68 ; 4-byte Folded Reload
	;; [unrolled: 1-line block ×4, first 2 shown]
	s_waitcnt vmcnt(0)
	ds_write2_b64 v127, v[57:58], v[59:60] offset1:1
	buffer_load_dword v53, off, s[20:23], 0 offset:48 ; 4-byte Folded Reload
	buffer_load_dword v54, off, s[20:23], 0 offset:52 ; 4-byte Folded Reload
	buffer_load_dword v55, off, s[20:23], 0 offset:56 ; 4-byte Folded Reload
	buffer_load_dword v56, off, s[20:23], 0 offset:60 ; 4-byte Folded Reload
	s_waitcnt vmcnt(0)
	ds_write2_b64 v125, v[53:54], v[55:56] offset0:84 offset1:85
	buffer_load_dword v49, off, s[20:23], 0 offset:32 ; 4-byte Folded Reload
	buffer_load_dword v50, off, s[20:23], 0 offset:36 ; 4-byte Folded Reload
	buffer_load_dword v51, off, s[20:23], 0 offset:40 ; 4-byte Folded Reload
	buffer_load_dword v52, off, s[20:23], 0 offset:44 ; 4-byte Folded Reload
	s_waitcnt vmcnt(0)
	ds_write2_b64 v125, v[49:50], v[51:52] offset0:86 offset1:87
	;; [unrolled: 6-line block ×3, first 2 shown]
	buffer_load_dword v41, off, s[20:23], 0 ; 4-byte Folded Reload
	buffer_load_dword v42, off, s[20:23], 0 offset:4 ; 4-byte Folded Reload
	buffer_load_dword v43, off, s[20:23], 0 offset:8 ; 4-byte Folded Reload
	;; [unrolled: 1-line block ×3, first 2 shown]
	s_waitcnt vmcnt(0)
	ds_write2_b64 v125, v[41:42], v[43:44] offset0:90 offset1:91
	ds_write2_b64 v125, v[37:38], v[39:40] offset0:92 offset1:93
	;; [unrolled: 1-line block ×12, first 2 shown]
	ds_read2_b64 v[97:100], v127 offset1:1
	s_waitcnt lgkmcnt(0)
	v_cmp_neq_f64_e32 vcc, 0, v[97:98]
	v_cmp_neq_f64_e64 s[2:3], 0, v[99:100]
	s_or_b64 s[2:3], vcc, s[2:3]
	s_and_b64 exec, exec, s[2:3]
	s_cbranch_execz .LBB113_377
; %bb.372:
	v_cmp_ngt_f64_e64 s[2:3], |v[97:98]|, |v[99:100]|
                                        ; implicit-def: $vgpr101_vgpr102
	s_and_saveexec_b64 s[6:7], s[2:3]
	s_xor_b64 s[2:3], exec, s[6:7]
                                        ; implicit-def: $vgpr103_vgpr104
	s_cbranch_execz .LBB113_374
; %bb.373:
	v_div_scale_f64 v[101:102], s[6:7], v[99:100], v[99:100], v[97:98]
	v_rcp_f64_e32 v[103:104], v[101:102]
	v_fma_f64 v[105:106], -v[101:102], v[103:104], 1.0
	v_fma_f64 v[103:104], v[103:104], v[105:106], v[103:104]
	v_div_scale_f64 v[105:106], vcc, v[97:98], v[99:100], v[97:98]
	v_fma_f64 v[107:108], -v[101:102], v[103:104], 1.0
	v_fma_f64 v[103:104], v[103:104], v[107:108], v[103:104]
	v_mul_f64 v[107:108], v[105:106], v[103:104]
	v_fma_f64 v[101:102], -v[101:102], v[107:108], v[105:106]
	v_div_fmas_f64 v[101:102], v[101:102], v[103:104], v[107:108]
	v_div_fixup_f64 v[101:102], v[101:102], v[99:100], v[97:98]
	v_fma_f64 v[97:98], v[97:98], v[101:102], v[99:100]
	v_div_scale_f64 v[99:100], s[6:7], v[97:98], v[97:98], 1.0
	v_div_scale_f64 v[107:108], vcc, 1.0, v[97:98], 1.0
	v_rcp_f64_e32 v[103:104], v[99:100]
	v_fma_f64 v[105:106], -v[99:100], v[103:104], 1.0
	v_fma_f64 v[103:104], v[103:104], v[105:106], v[103:104]
	v_fma_f64 v[105:106], -v[99:100], v[103:104], 1.0
	v_fma_f64 v[103:104], v[103:104], v[105:106], v[103:104]
	v_mul_f64 v[105:106], v[107:108], v[103:104]
	v_fma_f64 v[99:100], -v[99:100], v[105:106], v[107:108]
	v_div_fmas_f64 v[99:100], v[99:100], v[103:104], v[105:106]
	v_div_fixup_f64 v[103:104], v[99:100], v[97:98], 1.0
                                        ; implicit-def: $vgpr97_vgpr98
	v_mul_f64 v[101:102], v[101:102], v[103:104]
	v_xor_b32_e32 v104, 0x80000000, v104
.LBB113_374:
	s_andn2_saveexec_b64 s[2:3], s[2:3]
	s_cbranch_execz .LBB113_376
; %bb.375:
	v_div_scale_f64 v[101:102], s[6:7], v[97:98], v[97:98], v[99:100]
	v_rcp_f64_e32 v[103:104], v[101:102]
	v_fma_f64 v[105:106], -v[101:102], v[103:104], 1.0
	v_fma_f64 v[103:104], v[103:104], v[105:106], v[103:104]
	v_div_scale_f64 v[105:106], vcc, v[99:100], v[97:98], v[99:100]
	v_fma_f64 v[107:108], -v[101:102], v[103:104], 1.0
	v_fma_f64 v[103:104], v[103:104], v[107:108], v[103:104]
	v_mul_f64 v[107:108], v[105:106], v[103:104]
	v_fma_f64 v[101:102], -v[101:102], v[107:108], v[105:106]
	v_div_fmas_f64 v[101:102], v[101:102], v[103:104], v[107:108]
	v_div_fixup_f64 v[103:104], v[101:102], v[97:98], v[99:100]
	v_fma_f64 v[97:98], v[99:100], v[103:104], v[97:98]
	v_div_scale_f64 v[99:100], s[6:7], v[97:98], v[97:98], 1.0
	v_div_scale_f64 v[107:108], vcc, 1.0, v[97:98], 1.0
	v_rcp_f64_e32 v[101:102], v[99:100]
	v_fma_f64 v[105:106], -v[99:100], v[101:102], 1.0
	v_fma_f64 v[101:102], v[101:102], v[105:106], v[101:102]
	v_fma_f64 v[105:106], -v[99:100], v[101:102], 1.0
	v_fma_f64 v[101:102], v[101:102], v[105:106], v[101:102]
	v_mul_f64 v[105:106], v[107:108], v[101:102]
	v_fma_f64 v[99:100], -v[99:100], v[105:106], v[107:108]
	v_div_fmas_f64 v[99:100], v[99:100], v[101:102], v[105:106]
	v_div_fixup_f64 v[101:102], v[99:100], v[97:98], 1.0
	v_mul_f64 v[103:104], v[103:104], -v[101:102]
.LBB113_376:
	s_or_b64 exec, exec, s[2:3]
	ds_write2_b64 v127, v[101:102], v[103:104] offset1:1
.LBB113_377:
	s_or_b64 exec, exec, s[4:5]
	s_waitcnt lgkmcnt(0)
	s_barrier
	ds_read2_b64 v[69:72], v127 offset1:1
	v_cmp_lt_u32_e32 vcc, 41, v0
	s_waitcnt lgkmcnt(0)
	buffer_store_dword v69, off, s[20:23], 0 offset:1800 ; 4-byte Folded Spill
	s_nop 0
	buffer_store_dword v70, off, s[20:23], 0 offset:1804 ; 4-byte Folded Spill
	buffer_store_dword v71, off, s[20:23], 0 offset:1808 ; 4-byte Folded Spill
	;; [unrolled: 1-line block ×3, first 2 shown]
	s_and_saveexec_b64 s[2:3], vcc
	s_cbranch_execz .LBB113_379
; %bb.378:
	buffer_load_dword v69, off, s[20:23], 0 offset:1800 ; 4-byte Folded Reload
	buffer_load_dword v70, off, s[20:23], 0 offset:1804 ; 4-byte Folded Reload
	;; [unrolled: 1-line block ×8, first 2 shown]
	ds_read2_b64 v[99:102], v125 offset0:84 offset1:85
	buffer_load_dword v53, off, s[20:23], 0 offset:48 ; 4-byte Folded Reload
	buffer_load_dword v54, off, s[20:23], 0 offset:52 ; 4-byte Folded Reload
	;; [unrolled: 1-line block ×4, first 2 shown]
	s_waitcnt vmcnt(4)
	v_mul_f64 v[97:98], v[69:70], v[59:60]
	v_mul_f64 v[59:60], v[71:72], v[59:60]
	v_fma_f64 v[97:98], v[71:72], v[57:58], v[97:98]
	v_fma_f64 v[57:58], v[69:70], v[57:58], -v[59:60]
	s_waitcnt lgkmcnt(0)
	v_mul_f64 v[59:60], v[101:102], v[97:98]
	v_fma_f64 v[59:60], v[99:100], v[57:58], -v[59:60]
	v_mul_f64 v[99:100], v[99:100], v[97:98]
	s_waitcnt vmcnt(2)
	v_add_f64 v[53:54], v[53:54], -v[59:60]
	v_fma_f64 v[99:100], v[101:102], v[57:58], v[99:100]
	s_waitcnt vmcnt(0)
	v_add_f64 v[55:56], v[55:56], -v[99:100]
	buffer_store_dword v53, off, s[20:23], 0 offset:48 ; 4-byte Folded Spill
	s_nop 0
	buffer_store_dword v54, off, s[20:23], 0 offset:52 ; 4-byte Folded Spill
	buffer_store_dword v55, off, s[20:23], 0 offset:56 ; 4-byte Folded Spill
	buffer_store_dword v56, off, s[20:23], 0 offset:60 ; 4-byte Folded Spill
	ds_read2_b64 v[99:102], v125 offset0:86 offset1:87
	buffer_load_dword v49, off, s[20:23], 0 offset:32 ; 4-byte Folded Reload
	buffer_load_dword v50, off, s[20:23], 0 offset:36 ; 4-byte Folded Reload
	;; [unrolled: 1-line block ×4, first 2 shown]
	s_waitcnt lgkmcnt(0)
	v_mul_f64 v[59:60], v[101:102], v[97:98]
	v_fma_f64 v[59:60], v[99:100], v[57:58], -v[59:60]
	v_mul_f64 v[99:100], v[99:100], v[97:98]
	v_fma_f64 v[99:100], v[101:102], v[57:58], v[99:100]
	s_waitcnt vmcnt(2)
	v_add_f64 v[49:50], v[49:50], -v[59:60]
	s_waitcnt vmcnt(0)
	v_add_f64 v[51:52], v[51:52], -v[99:100]
	buffer_store_dword v49, off, s[20:23], 0 offset:32 ; 4-byte Folded Spill
	s_nop 0
	buffer_store_dword v50, off, s[20:23], 0 offset:36 ; 4-byte Folded Spill
	buffer_store_dword v51, off, s[20:23], 0 offset:40 ; 4-byte Folded Spill
	;; [unrolled: 1-line block ×3, first 2 shown]
	ds_read2_b64 v[99:102], v125 offset0:88 offset1:89
	buffer_load_dword v45, off, s[20:23], 0 offset:16 ; 4-byte Folded Reload
	buffer_load_dword v46, off, s[20:23], 0 offset:20 ; 4-byte Folded Reload
	;; [unrolled: 1-line block ×4, first 2 shown]
	s_waitcnt lgkmcnt(0)
	v_mul_f64 v[59:60], v[101:102], v[97:98]
	v_fma_f64 v[59:60], v[99:100], v[57:58], -v[59:60]
	v_mul_f64 v[99:100], v[99:100], v[97:98]
	v_fma_f64 v[99:100], v[101:102], v[57:58], v[99:100]
	s_waitcnt vmcnt(2)
	v_add_f64 v[45:46], v[45:46], -v[59:60]
	s_waitcnt vmcnt(0)
	v_add_f64 v[47:48], v[47:48], -v[99:100]
	buffer_store_dword v45, off, s[20:23], 0 offset:16 ; 4-byte Folded Spill
	s_nop 0
	buffer_store_dword v46, off, s[20:23], 0 offset:20 ; 4-byte Folded Spill
	buffer_store_dword v47, off, s[20:23], 0 offset:24 ; 4-byte Folded Spill
	;; [unrolled: 1-line block ×3, first 2 shown]
	ds_read2_b64 v[99:102], v125 offset0:90 offset1:91
	buffer_load_dword v41, off, s[20:23], 0 ; 4-byte Folded Reload
	buffer_load_dword v42, off, s[20:23], 0 offset:4 ; 4-byte Folded Reload
	buffer_load_dword v43, off, s[20:23], 0 offset:8 ; 4-byte Folded Reload
	;; [unrolled: 1-line block ×3, first 2 shown]
	s_waitcnt lgkmcnt(0)
	v_mul_f64 v[59:60], v[101:102], v[97:98]
	v_fma_f64 v[59:60], v[99:100], v[57:58], -v[59:60]
	v_mul_f64 v[99:100], v[99:100], v[97:98]
	v_fma_f64 v[99:100], v[101:102], v[57:58], v[99:100]
	s_waitcnt vmcnt(2)
	v_add_f64 v[41:42], v[41:42], -v[59:60]
	s_waitcnt vmcnt(0)
	v_add_f64 v[43:44], v[43:44], -v[99:100]
	buffer_store_dword v41, off, s[20:23], 0 ; 4-byte Folded Spill
	s_nop 0
	buffer_store_dword v42, off, s[20:23], 0 offset:4 ; 4-byte Folded Spill
	buffer_store_dword v43, off, s[20:23], 0 offset:8 ; 4-byte Folded Spill
	buffer_store_dword v44, off, s[20:23], 0 offset:12 ; 4-byte Folded Spill
	ds_read2_b64 v[99:102], v125 offset0:92 offset1:93
	s_waitcnt lgkmcnt(0)
	v_mul_f64 v[59:60], v[101:102], v[97:98]
	v_fma_f64 v[59:60], v[99:100], v[57:58], -v[59:60]
	v_mul_f64 v[99:100], v[99:100], v[97:98]
	v_add_f64 v[37:38], v[37:38], -v[59:60]
	v_fma_f64 v[99:100], v[101:102], v[57:58], v[99:100]
	v_add_f64 v[39:40], v[39:40], -v[99:100]
	ds_read2_b64 v[99:102], v125 offset0:94 offset1:95
	s_waitcnt lgkmcnt(0)
	v_mul_f64 v[59:60], v[101:102], v[97:98]
	v_fma_f64 v[59:60], v[99:100], v[57:58], -v[59:60]
	v_mul_f64 v[99:100], v[99:100], v[97:98]
	v_add_f64 v[33:34], v[33:34], -v[59:60]
	v_fma_f64 v[99:100], v[101:102], v[57:58], v[99:100]
	v_add_f64 v[35:36], v[35:36], -v[99:100]
	;; [unrolled: 8-line block ×10, first 2 shown]
	ds_read2_b64 v[99:102], v125 offset0:112 offset1:113
	s_waitcnt lgkmcnt(0)
	v_mul_f64 v[59:60], v[101:102], v[97:98]
	v_fma_f64 v[59:60], v[99:100], v[57:58], -v[59:60]
	v_mul_f64 v[99:100], v[99:100], v[97:98]
	v_add_f64 v[121:122], v[121:122], -v[59:60]
	v_fma_f64 v[99:100], v[101:102], v[57:58], v[99:100]
	v_mov_b32_e32 v59, v97
	v_mov_b32_e32 v60, v98
	buffer_store_dword v57, off, s[20:23], 0 offset:64 ; 4-byte Folded Spill
	s_nop 0
	buffer_store_dword v58, off, s[20:23], 0 offset:68 ; 4-byte Folded Spill
	buffer_store_dword v59, off, s[20:23], 0 offset:72 ; 4-byte Folded Spill
	;; [unrolled: 1-line block ×3, first 2 shown]
	v_add_f64 v[123:124], v[123:124], -v[99:100]
.LBB113_379:
	s_or_b64 exec, exec, s[2:3]
	v_cmp_eq_u32_e32 vcc, 42, v0
	s_waitcnt vmcnt(0)
	s_barrier
	s_and_saveexec_b64 s[4:5], vcc
	s_cbranch_execz .LBB113_386
; %bb.380:
	buffer_load_dword v53, off, s[20:23], 0 offset:48 ; 4-byte Folded Reload
	buffer_load_dword v54, off, s[20:23], 0 offset:52 ; 4-byte Folded Reload
	;; [unrolled: 1-line block ×4, first 2 shown]
	s_waitcnt vmcnt(0)
	ds_write2_b64 v127, v[53:54], v[55:56] offset1:1
	buffer_load_dword v49, off, s[20:23], 0 offset:32 ; 4-byte Folded Reload
	buffer_load_dword v50, off, s[20:23], 0 offset:36 ; 4-byte Folded Reload
	;; [unrolled: 1-line block ×4, first 2 shown]
	s_waitcnt vmcnt(0)
	ds_write2_b64 v125, v[49:50], v[51:52] offset0:86 offset1:87
	buffer_load_dword v45, off, s[20:23], 0 offset:16 ; 4-byte Folded Reload
	buffer_load_dword v46, off, s[20:23], 0 offset:20 ; 4-byte Folded Reload
	;; [unrolled: 1-line block ×4, first 2 shown]
	s_waitcnt vmcnt(0)
	ds_write2_b64 v125, v[45:46], v[47:48] offset0:88 offset1:89
	buffer_load_dword v41, off, s[20:23], 0 ; 4-byte Folded Reload
	buffer_load_dword v42, off, s[20:23], 0 offset:4 ; 4-byte Folded Reload
	buffer_load_dword v43, off, s[20:23], 0 offset:8 ; 4-byte Folded Reload
	;; [unrolled: 1-line block ×3, first 2 shown]
	s_waitcnt vmcnt(0)
	ds_write2_b64 v125, v[41:42], v[43:44] offset0:90 offset1:91
	ds_write2_b64 v125, v[37:38], v[39:40] offset0:92 offset1:93
	;; [unrolled: 1-line block ×12, first 2 shown]
	ds_read2_b64 v[97:100], v127 offset1:1
	s_waitcnt lgkmcnt(0)
	v_cmp_neq_f64_e32 vcc, 0, v[97:98]
	v_cmp_neq_f64_e64 s[2:3], 0, v[99:100]
	s_or_b64 s[2:3], vcc, s[2:3]
	s_and_b64 exec, exec, s[2:3]
	s_cbranch_execz .LBB113_386
; %bb.381:
	v_cmp_ngt_f64_e64 s[2:3], |v[97:98]|, |v[99:100]|
                                        ; implicit-def: $vgpr101_vgpr102
	s_and_saveexec_b64 s[6:7], s[2:3]
	s_xor_b64 s[2:3], exec, s[6:7]
                                        ; implicit-def: $vgpr103_vgpr104
	s_cbranch_execz .LBB113_383
; %bb.382:
	v_div_scale_f64 v[101:102], s[6:7], v[99:100], v[99:100], v[97:98]
	v_rcp_f64_e32 v[103:104], v[101:102]
	v_fma_f64 v[105:106], -v[101:102], v[103:104], 1.0
	v_fma_f64 v[103:104], v[103:104], v[105:106], v[103:104]
	v_div_scale_f64 v[105:106], vcc, v[97:98], v[99:100], v[97:98]
	v_fma_f64 v[107:108], -v[101:102], v[103:104], 1.0
	v_fma_f64 v[103:104], v[103:104], v[107:108], v[103:104]
	v_mul_f64 v[107:108], v[105:106], v[103:104]
	v_fma_f64 v[101:102], -v[101:102], v[107:108], v[105:106]
	v_div_fmas_f64 v[101:102], v[101:102], v[103:104], v[107:108]
	v_div_fixup_f64 v[101:102], v[101:102], v[99:100], v[97:98]
	v_fma_f64 v[97:98], v[97:98], v[101:102], v[99:100]
	v_div_scale_f64 v[99:100], s[6:7], v[97:98], v[97:98], 1.0
	v_div_scale_f64 v[107:108], vcc, 1.0, v[97:98], 1.0
	v_rcp_f64_e32 v[103:104], v[99:100]
	v_fma_f64 v[105:106], -v[99:100], v[103:104], 1.0
	v_fma_f64 v[103:104], v[103:104], v[105:106], v[103:104]
	v_fma_f64 v[105:106], -v[99:100], v[103:104], 1.0
	v_fma_f64 v[103:104], v[103:104], v[105:106], v[103:104]
	v_mul_f64 v[105:106], v[107:108], v[103:104]
	v_fma_f64 v[99:100], -v[99:100], v[105:106], v[107:108]
	v_div_fmas_f64 v[99:100], v[99:100], v[103:104], v[105:106]
	v_div_fixup_f64 v[103:104], v[99:100], v[97:98], 1.0
                                        ; implicit-def: $vgpr97_vgpr98
	v_mul_f64 v[101:102], v[101:102], v[103:104]
	v_xor_b32_e32 v104, 0x80000000, v104
.LBB113_383:
	s_andn2_saveexec_b64 s[2:3], s[2:3]
	s_cbranch_execz .LBB113_385
; %bb.384:
	v_div_scale_f64 v[101:102], s[6:7], v[97:98], v[97:98], v[99:100]
	v_rcp_f64_e32 v[103:104], v[101:102]
	v_fma_f64 v[105:106], -v[101:102], v[103:104], 1.0
	v_fma_f64 v[103:104], v[103:104], v[105:106], v[103:104]
	v_div_scale_f64 v[105:106], vcc, v[99:100], v[97:98], v[99:100]
	v_fma_f64 v[107:108], -v[101:102], v[103:104], 1.0
	v_fma_f64 v[103:104], v[103:104], v[107:108], v[103:104]
	v_mul_f64 v[107:108], v[105:106], v[103:104]
	v_fma_f64 v[101:102], -v[101:102], v[107:108], v[105:106]
	v_div_fmas_f64 v[101:102], v[101:102], v[103:104], v[107:108]
	v_div_fixup_f64 v[103:104], v[101:102], v[97:98], v[99:100]
	v_fma_f64 v[97:98], v[99:100], v[103:104], v[97:98]
	v_div_scale_f64 v[99:100], s[6:7], v[97:98], v[97:98], 1.0
	v_div_scale_f64 v[107:108], vcc, 1.0, v[97:98], 1.0
	v_rcp_f64_e32 v[101:102], v[99:100]
	v_fma_f64 v[105:106], -v[99:100], v[101:102], 1.0
	v_fma_f64 v[101:102], v[101:102], v[105:106], v[101:102]
	v_fma_f64 v[105:106], -v[99:100], v[101:102], 1.0
	v_fma_f64 v[101:102], v[101:102], v[105:106], v[101:102]
	v_mul_f64 v[105:106], v[107:108], v[101:102]
	v_fma_f64 v[99:100], -v[99:100], v[105:106], v[107:108]
	v_div_fmas_f64 v[99:100], v[99:100], v[101:102], v[105:106]
	v_div_fixup_f64 v[101:102], v[99:100], v[97:98], 1.0
	v_mul_f64 v[103:104], v[103:104], -v[101:102]
.LBB113_385:
	s_or_b64 exec, exec, s[2:3]
	ds_write2_b64 v127, v[101:102], v[103:104] offset1:1
.LBB113_386:
	s_or_b64 exec, exec, s[4:5]
	s_waitcnt lgkmcnt(0)
	s_barrier
	ds_read2_b64 v[69:72], v127 offset1:1
	v_cmp_lt_u32_e32 vcc, 42, v0
	s_waitcnt lgkmcnt(0)
	buffer_store_dword v69, off, s[20:23], 0 offset:1816 ; 4-byte Folded Spill
	s_nop 0
	buffer_store_dword v70, off, s[20:23], 0 offset:1820 ; 4-byte Folded Spill
	buffer_store_dword v71, off, s[20:23], 0 offset:1824 ; 4-byte Folded Spill
	;; [unrolled: 1-line block ×3, first 2 shown]
	s_and_saveexec_b64 s[2:3], vcc
	s_cbranch_execz .LBB113_388
; %bb.387:
	buffer_load_dword v69, off, s[20:23], 0 offset:1816 ; 4-byte Folded Reload
	buffer_load_dword v70, off, s[20:23], 0 offset:1820 ; 4-byte Folded Reload
	;; [unrolled: 1-line block ×8, first 2 shown]
	ds_read2_b64 v[99:102], v125 offset0:86 offset1:87
	buffer_load_dword v49, off, s[20:23], 0 offset:32 ; 4-byte Folded Reload
	buffer_load_dword v50, off, s[20:23], 0 offset:36 ; 4-byte Folded Reload
	;; [unrolled: 1-line block ×4, first 2 shown]
	s_waitcnt vmcnt(4)
	v_mul_f64 v[97:98], v[69:70], v[55:56]
	v_mul_f64 v[55:56], v[71:72], v[55:56]
	v_fma_f64 v[97:98], v[71:72], v[53:54], v[97:98]
	v_fma_f64 v[53:54], v[69:70], v[53:54], -v[55:56]
	s_waitcnt lgkmcnt(0)
	v_mul_f64 v[55:56], v[101:102], v[97:98]
	v_fma_f64 v[55:56], v[99:100], v[53:54], -v[55:56]
	v_mul_f64 v[99:100], v[99:100], v[97:98]
	s_waitcnt vmcnt(2)
	v_add_f64 v[49:50], v[49:50], -v[55:56]
	v_fma_f64 v[99:100], v[101:102], v[53:54], v[99:100]
	s_waitcnt vmcnt(0)
	v_add_f64 v[51:52], v[51:52], -v[99:100]
	buffer_store_dword v49, off, s[20:23], 0 offset:32 ; 4-byte Folded Spill
	s_nop 0
	buffer_store_dword v50, off, s[20:23], 0 offset:36 ; 4-byte Folded Spill
	buffer_store_dword v51, off, s[20:23], 0 offset:40 ; 4-byte Folded Spill
	;; [unrolled: 1-line block ×3, first 2 shown]
	ds_read2_b64 v[99:102], v125 offset0:88 offset1:89
	buffer_load_dword v45, off, s[20:23], 0 offset:16 ; 4-byte Folded Reload
	buffer_load_dword v46, off, s[20:23], 0 offset:20 ; 4-byte Folded Reload
	;; [unrolled: 1-line block ×4, first 2 shown]
	s_waitcnt lgkmcnt(0)
	v_mul_f64 v[55:56], v[101:102], v[97:98]
	v_fma_f64 v[55:56], v[99:100], v[53:54], -v[55:56]
	v_mul_f64 v[99:100], v[99:100], v[97:98]
	v_fma_f64 v[99:100], v[101:102], v[53:54], v[99:100]
	s_waitcnt vmcnt(2)
	v_add_f64 v[45:46], v[45:46], -v[55:56]
	s_waitcnt vmcnt(0)
	v_add_f64 v[47:48], v[47:48], -v[99:100]
	buffer_store_dword v45, off, s[20:23], 0 offset:16 ; 4-byte Folded Spill
	s_nop 0
	buffer_store_dword v46, off, s[20:23], 0 offset:20 ; 4-byte Folded Spill
	buffer_store_dword v47, off, s[20:23], 0 offset:24 ; 4-byte Folded Spill
	;; [unrolled: 1-line block ×3, first 2 shown]
	ds_read2_b64 v[99:102], v125 offset0:90 offset1:91
	buffer_load_dword v41, off, s[20:23], 0 ; 4-byte Folded Reload
	buffer_load_dword v42, off, s[20:23], 0 offset:4 ; 4-byte Folded Reload
	buffer_load_dword v43, off, s[20:23], 0 offset:8 ; 4-byte Folded Reload
	;; [unrolled: 1-line block ×3, first 2 shown]
	s_waitcnt lgkmcnt(0)
	v_mul_f64 v[55:56], v[101:102], v[97:98]
	v_fma_f64 v[55:56], v[99:100], v[53:54], -v[55:56]
	v_mul_f64 v[99:100], v[99:100], v[97:98]
	v_fma_f64 v[99:100], v[101:102], v[53:54], v[99:100]
	s_waitcnt vmcnt(2)
	v_add_f64 v[41:42], v[41:42], -v[55:56]
	s_waitcnt vmcnt(0)
	v_add_f64 v[43:44], v[43:44], -v[99:100]
	buffer_store_dword v41, off, s[20:23], 0 ; 4-byte Folded Spill
	s_nop 0
	buffer_store_dword v42, off, s[20:23], 0 offset:4 ; 4-byte Folded Spill
	buffer_store_dword v43, off, s[20:23], 0 offset:8 ; 4-byte Folded Spill
	;; [unrolled: 1-line block ×3, first 2 shown]
	ds_read2_b64 v[99:102], v125 offset0:92 offset1:93
	s_waitcnt lgkmcnt(0)
	v_mul_f64 v[55:56], v[101:102], v[97:98]
	v_fma_f64 v[55:56], v[99:100], v[53:54], -v[55:56]
	v_mul_f64 v[99:100], v[99:100], v[97:98]
	v_add_f64 v[37:38], v[37:38], -v[55:56]
	v_fma_f64 v[99:100], v[101:102], v[53:54], v[99:100]
	v_add_f64 v[39:40], v[39:40], -v[99:100]
	ds_read2_b64 v[99:102], v125 offset0:94 offset1:95
	s_waitcnt lgkmcnt(0)
	v_mul_f64 v[55:56], v[101:102], v[97:98]
	v_fma_f64 v[55:56], v[99:100], v[53:54], -v[55:56]
	v_mul_f64 v[99:100], v[99:100], v[97:98]
	v_add_f64 v[33:34], v[33:34], -v[55:56]
	v_fma_f64 v[99:100], v[101:102], v[53:54], v[99:100]
	v_add_f64 v[35:36], v[35:36], -v[99:100]
	;; [unrolled: 8-line block ×10, first 2 shown]
	ds_read2_b64 v[99:102], v125 offset0:112 offset1:113
	s_waitcnt lgkmcnt(0)
	v_mul_f64 v[55:56], v[101:102], v[97:98]
	v_fma_f64 v[55:56], v[99:100], v[53:54], -v[55:56]
	v_mul_f64 v[99:100], v[99:100], v[97:98]
	v_add_f64 v[121:122], v[121:122], -v[55:56]
	v_fma_f64 v[99:100], v[101:102], v[53:54], v[99:100]
	v_mov_b32_e32 v55, v97
	v_mov_b32_e32 v56, v98
	buffer_store_dword v53, off, s[20:23], 0 offset:48 ; 4-byte Folded Spill
	s_nop 0
	buffer_store_dword v54, off, s[20:23], 0 offset:52 ; 4-byte Folded Spill
	buffer_store_dword v55, off, s[20:23], 0 offset:56 ; 4-byte Folded Spill
	;; [unrolled: 1-line block ×3, first 2 shown]
	v_add_f64 v[123:124], v[123:124], -v[99:100]
.LBB113_388:
	s_or_b64 exec, exec, s[2:3]
	v_cmp_eq_u32_e32 vcc, 43, v0
	s_waitcnt vmcnt(0)
	s_barrier
	s_and_saveexec_b64 s[4:5], vcc
	s_cbranch_execz .LBB113_395
; %bb.389:
	buffer_load_dword v49, off, s[20:23], 0 offset:32 ; 4-byte Folded Reload
	buffer_load_dword v50, off, s[20:23], 0 offset:36 ; 4-byte Folded Reload
	;; [unrolled: 1-line block ×4, first 2 shown]
	s_waitcnt vmcnt(0)
	ds_write2_b64 v127, v[49:50], v[51:52] offset1:1
	buffer_load_dword v45, off, s[20:23], 0 offset:16 ; 4-byte Folded Reload
	buffer_load_dword v46, off, s[20:23], 0 offset:20 ; 4-byte Folded Reload
	;; [unrolled: 1-line block ×4, first 2 shown]
	s_waitcnt vmcnt(0)
	ds_write2_b64 v125, v[45:46], v[47:48] offset0:88 offset1:89
	buffer_load_dword v41, off, s[20:23], 0 ; 4-byte Folded Reload
	buffer_load_dword v42, off, s[20:23], 0 offset:4 ; 4-byte Folded Reload
	buffer_load_dword v43, off, s[20:23], 0 offset:8 ; 4-byte Folded Reload
	;; [unrolled: 1-line block ×3, first 2 shown]
	s_waitcnt vmcnt(0)
	ds_write2_b64 v125, v[41:42], v[43:44] offset0:90 offset1:91
	ds_write2_b64 v125, v[37:38], v[39:40] offset0:92 offset1:93
	;; [unrolled: 1-line block ×12, first 2 shown]
	ds_read2_b64 v[97:100], v127 offset1:1
	s_waitcnt lgkmcnt(0)
	v_cmp_neq_f64_e32 vcc, 0, v[97:98]
	v_cmp_neq_f64_e64 s[2:3], 0, v[99:100]
	s_or_b64 s[2:3], vcc, s[2:3]
	s_and_b64 exec, exec, s[2:3]
	s_cbranch_execz .LBB113_395
; %bb.390:
	v_cmp_ngt_f64_e64 s[2:3], |v[97:98]|, |v[99:100]|
                                        ; implicit-def: $vgpr101_vgpr102
	s_and_saveexec_b64 s[6:7], s[2:3]
	s_xor_b64 s[2:3], exec, s[6:7]
                                        ; implicit-def: $vgpr103_vgpr104
	s_cbranch_execz .LBB113_392
; %bb.391:
	v_div_scale_f64 v[101:102], s[6:7], v[99:100], v[99:100], v[97:98]
	v_rcp_f64_e32 v[103:104], v[101:102]
	v_fma_f64 v[105:106], -v[101:102], v[103:104], 1.0
	v_fma_f64 v[103:104], v[103:104], v[105:106], v[103:104]
	v_div_scale_f64 v[105:106], vcc, v[97:98], v[99:100], v[97:98]
	v_fma_f64 v[107:108], -v[101:102], v[103:104], 1.0
	v_fma_f64 v[103:104], v[103:104], v[107:108], v[103:104]
	v_mul_f64 v[107:108], v[105:106], v[103:104]
	v_fma_f64 v[101:102], -v[101:102], v[107:108], v[105:106]
	v_div_fmas_f64 v[101:102], v[101:102], v[103:104], v[107:108]
	v_div_fixup_f64 v[101:102], v[101:102], v[99:100], v[97:98]
	v_fma_f64 v[97:98], v[97:98], v[101:102], v[99:100]
	v_div_scale_f64 v[99:100], s[6:7], v[97:98], v[97:98], 1.0
	v_div_scale_f64 v[107:108], vcc, 1.0, v[97:98], 1.0
	v_rcp_f64_e32 v[103:104], v[99:100]
	v_fma_f64 v[105:106], -v[99:100], v[103:104], 1.0
	v_fma_f64 v[103:104], v[103:104], v[105:106], v[103:104]
	v_fma_f64 v[105:106], -v[99:100], v[103:104], 1.0
	v_fma_f64 v[103:104], v[103:104], v[105:106], v[103:104]
	v_mul_f64 v[105:106], v[107:108], v[103:104]
	v_fma_f64 v[99:100], -v[99:100], v[105:106], v[107:108]
	v_div_fmas_f64 v[99:100], v[99:100], v[103:104], v[105:106]
	v_div_fixup_f64 v[103:104], v[99:100], v[97:98], 1.0
                                        ; implicit-def: $vgpr97_vgpr98
	v_mul_f64 v[101:102], v[101:102], v[103:104]
	v_xor_b32_e32 v104, 0x80000000, v104
.LBB113_392:
	s_andn2_saveexec_b64 s[2:3], s[2:3]
	s_cbranch_execz .LBB113_394
; %bb.393:
	v_div_scale_f64 v[101:102], s[6:7], v[97:98], v[97:98], v[99:100]
	v_rcp_f64_e32 v[103:104], v[101:102]
	v_fma_f64 v[105:106], -v[101:102], v[103:104], 1.0
	v_fma_f64 v[103:104], v[103:104], v[105:106], v[103:104]
	v_div_scale_f64 v[105:106], vcc, v[99:100], v[97:98], v[99:100]
	v_fma_f64 v[107:108], -v[101:102], v[103:104], 1.0
	v_fma_f64 v[103:104], v[103:104], v[107:108], v[103:104]
	v_mul_f64 v[107:108], v[105:106], v[103:104]
	v_fma_f64 v[101:102], -v[101:102], v[107:108], v[105:106]
	v_div_fmas_f64 v[101:102], v[101:102], v[103:104], v[107:108]
	v_div_fixup_f64 v[103:104], v[101:102], v[97:98], v[99:100]
	v_fma_f64 v[97:98], v[99:100], v[103:104], v[97:98]
	v_div_scale_f64 v[99:100], s[6:7], v[97:98], v[97:98], 1.0
	v_div_scale_f64 v[107:108], vcc, 1.0, v[97:98], 1.0
	v_rcp_f64_e32 v[101:102], v[99:100]
	v_fma_f64 v[105:106], -v[99:100], v[101:102], 1.0
	v_fma_f64 v[101:102], v[101:102], v[105:106], v[101:102]
	v_fma_f64 v[105:106], -v[99:100], v[101:102], 1.0
	v_fma_f64 v[101:102], v[101:102], v[105:106], v[101:102]
	v_mul_f64 v[105:106], v[107:108], v[101:102]
	v_fma_f64 v[99:100], -v[99:100], v[105:106], v[107:108]
	v_div_fmas_f64 v[99:100], v[99:100], v[101:102], v[105:106]
	v_div_fixup_f64 v[101:102], v[99:100], v[97:98], 1.0
	v_mul_f64 v[103:104], v[103:104], -v[101:102]
.LBB113_394:
	s_or_b64 exec, exec, s[2:3]
	ds_write2_b64 v127, v[101:102], v[103:104] offset1:1
.LBB113_395:
	s_or_b64 exec, exec, s[4:5]
	s_waitcnt lgkmcnt(0)
	s_barrier
	ds_read2_b64 v[69:72], v127 offset1:1
	v_cmp_lt_u32_e32 vcc, 43, v0
	s_and_saveexec_b64 s[2:3], vcc
	s_cbranch_execz .LBB113_397
; %bb.396:
	buffer_load_dword v49, off, s[20:23], 0 offset:32 ; 4-byte Folded Reload
	buffer_load_dword v50, off, s[20:23], 0 offset:36 ; 4-byte Folded Reload
	;; [unrolled: 1-line block ×4, first 2 shown]
	ds_read2_b64 v[99:102], v125 offset0:88 offset1:89
	buffer_load_dword v45, off, s[20:23], 0 offset:16 ; 4-byte Folded Reload
	buffer_load_dword v46, off, s[20:23], 0 offset:20 ; 4-byte Folded Reload
	;; [unrolled: 1-line block ×4, first 2 shown]
	s_waitcnt vmcnt(4) lgkmcnt(1)
	v_mul_f64 v[97:98], v[69:70], v[51:52]
	v_mul_f64 v[51:52], v[71:72], v[51:52]
	v_fma_f64 v[97:98], v[71:72], v[49:50], v[97:98]
	v_fma_f64 v[49:50], v[69:70], v[49:50], -v[51:52]
	s_waitcnt lgkmcnt(0)
	v_mul_f64 v[51:52], v[101:102], v[97:98]
	v_fma_f64 v[51:52], v[99:100], v[49:50], -v[51:52]
	v_mul_f64 v[99:100], v[99:100], v[97:98]
	s_waitcnt vmcnt(2)
	v_add_f64 v[45:46], v[45:46], -v[51:52]
	v_fma_f64 v[99:100], v[101:102], v[49:50], v[99:100]
	s_waitcnt vmcnt(0)
	v_add_f64 v[47:48], v[47:48], -v[99:100]
	buffer_store_dword v45, off, s[20:23], 0 offset:16 ; 4-byte Folded Spill
	s_nop 0
	buffer_store_dword v46, off, s[20:23], 0 offset:20 ; 4-byte Folded Spill
	buffer_store_dword v47, off, s[20:23], 0 offset:24 ; 4-byte Folded Spill
	;; [unrolled: 1-line block ×3, first 2 shown]
	ds_read2_b64 v[99:102], v125 offset0:90 offset1:91
	buffer_load_dword v41, off, s[20:23], 0 ; 4-byte Folded Reload
	buffer_load_dword v42, off, s[20:23], 0 offset:4 ; 4-byte Folded Reload
	buffer_load_dword v43, off, s[20:23], 0 offset:8 ; 4-byte Folded Reload
	;; [unrolled: 1-line block ×3, first 2 shown]
	s_waitcnt lgkmcnt(0)
	v_mul_f64 v[51:52], v[101:102], v[97:98]
	v_fma_f64 v[51:52], v[99:100], v[49:50], -v[51:52]
	v_mul_f64 v[99:100], v[99:100], v[97:98]
	v_fma_f64 v[99:100], v[101:102], v[49:50], v[99:100]
	s_waitcnt vmcnt(2)
	v_add_f64 v[41:42], v[41:42], -v[51:52]
	s_waitcnt vmcnt(0)
	v_add_f64 v[43:44], v[43:44], -v[99:100]
	buffer_store_dword v41, off, s[20:23], 0 ; 4-byte Folded Spill
	s_nop 0
	buffer_store_dword v42, off, s[20:23], 0 offset:4 ; 4-byte Folded Spill
	buffer_store_dword v43, off, s[20:23], 0 offset:8 ; 4-byte Folded Spill
	;; [unrolled: 1-line block ×3, first 2 shown]
	ds_read2_b64 v[99:102], v125 offset0:92 offset1:93
	s_waitcnt lgkmcnt(0)
	v_mul_f64 v[51:52], v[101:102], v[97:98]
	v_fma_f64 v[51:52], v[99:100], v[49:50], -v[51:52]
	v_mul_f64 v[99:100], v[99:100], v[97:98]
	v_add_f64 v[37:38], v[37:38], -v[51:52]
	v_fma_f64 v[99:100], v[101:102], v[49:50], v[99:100]
	v_add_f64 v[39:40], v[39:40], -v[99:100]
	ds_read2_b64 v[99:102], v125 offset0:94 offset1:95
	s_waitcnt lgkmcnt(0)
	v_mul_f64 v[51:52], v[101:102], v[97:98]
	v_fma_f64 v[51:52], v[99:100], v[49:50], -v[51:52]
	v_mul_f64 v[99:100], v[99:100], v[97:98]
	v_add_f64 v[33:34], v[33:34], -v[51:52]
	v_fma_f64 v[99:100], v[101:102], v[49:50], v[99:100]
	v_add_f64 v[35:36], v[35:36], -v[99:100]
	;; [unrolled: 8-line block ×10, first 2 shown]
	ds_read2_b64 v[99:102], v125 offset0:112 offset1:113
	s_waitcnt lgkmcnt(0)
	v_mul_f64 v[51:52], v[101:102], v[97:98]
	v_fma_f64 v[51:52], v[99:100], v[49:50], -v[51:52]
	v_mul_f64 v[99:100], v[99:100], v[97:98]
	v_add_f64 v[121:122], v[121:122], -v[51:52]
	v_fma_f64 v[99:100], v[101:102], v[49:50], v[99:100]
	v_mov_b32_e32 v51, v97
	v_mov_b32_e32 v52, v98
	buffer_store_dword v49, off, s[20:23], 0 offset:32 ; 4-byte Folded Spill
	s_nop 0
	buffer_store_dword v50, off, s[20:23], 0 offset:36 ; 4-byte Folded Spill
	buffer_store_dword v51, off, s[20:23], 0 offset:40 ; 4-byte Folded Spill
	;; [unrolled: 1-line block ×3, first 2 shown]
	v_add_f64 v[123:124], v[123:124], -v[99:100]
.LBB113_397:
	s_or_b64 exec, exec, s[2:3]
	v_cmp_eq_u32_e32 vcc, 44, v0
	s_waitcnt vmcnt(0) lgkmcnt(0)
	s_barrier
	s_and_saveexec_b64 s[4:5], vcc
	s_cbranch_execz .LBB113_404
; %bb.398:
	buffer_load_dword v45, off, s[20:23], 0 offset:16 ; 4-byte Folded Reload
	buffer_load_dword v46, off, s[20:23], 0 offset:20 ; 4-byte Folded Reload
	;; [unrolled: 1-line block ×4, first 2 shown]
	s_waitcnt vmcnt(0)
	ds_write2_b64 v127, v[45:46], v[47:48] offset1:1
	buffer_load_dword v41, off, s[20:23], 0 ; 4-byte Folded Reload
	buffer_load_dword v42, off, s[20:23], 0 offset:4 ; 4-byte Folded Reload
	buffer_load_dword v43, off, s[20:23], 0 offset:8 ; 4-byte Folded Reload
	;; [unrolled: 1-line block ×3, first 2 shown]
	s_waitcnt vmcnt(0)
	ds_write2_b64 v125, v[41:42], v[43:44] offset0:90 offset1:91
	ds_write2_b64 v125, v[37:38], v[39:40] offset0:92 offset1:93
	;; [unrolled: 1-line block ×12, first 2 shown]
	ds_read2_b64 v[97:100], v127 offset1:1
	s_waitcnt lgkmcnt(0)
	v_cmp_neq_f64_e32 vcc, 0, v[97:98]
	v_cmp_neq_f64_e64 s[2:3], 0, v[99:100]
	s_or_b64 s[2:3], vcc, s[2:3]
	s_and_b64 exec, exec, s[2:3]
	s_cbranch_execz .LBB113_404
; %bb.399:
	v_cmp_ngt_f64_e64 s[2:3], |v[97:98]|, |v[99:100]|
                                        ; implicit-def: $vgpr101_vgpr102
	s_and_saveexec_b64 s[6:7], s[2:3]
	s_xor_b64 s[2:3], exec, s[6:7]
                                        ; implicit-def: $vgpr103_vgpr104
	s_cbranch_execz .LBB113_401
; %bb.400:
	v_div_scale_f64 v[101:102], s[6:7], v[99:100], v[99:100], v[97:98]
	v_rcp_f64_e32 v[103:104], v[101:102]
	v_fma_f64 v[105:106], -v[101:102], v[103:104], 1.0
	v_fma_f64 v[103:104], v[103:104], v[105:106], v[103:104]
	v_div_scale_f64 v[105:106], vcc, v[97:98], v[99:100], v[97:98]
	v_fma_f64 v[107:108], -v[101:102], v[103:104], 1.0
	v_fma_f64 v[103:104], v[103:104], v[107:108], v[103:104]
	v_mul_f64 v[107:108], v[105:106], v[103:104]
	v_fma_f64 v[101:102], -v[101:102], v[107:108], v[105:106]
	v_div_fmas_f64 v[101:102], v[101:102], v[103:104], v[107:108]
	v_div_fixup_f64 v[101:102], v[101:102], v[99:100], v[97:98]
	v_fma_f64 v[97:98], v[97:98], v[101:102], v[99:100]
	v_div_scale_f64 v[99:100], s[6:7], v[97:98], v[97:98], 1.0
	v_div_scale_f64 v[107:108], vcc, 1.0, v[97:98], 1.0
	v_rcp_f64_e32 v[103:104], v[99:100]
	v_fma_f64 v[105:106], -v[99:100], v[103:104], 1.0
	v_fma_f64 v[103:104], v[103:104], v[105:106], v[103:104]
	v_fma_f64 v[105:106], -v[99:100], v[103:104], 1.0
	v_fma_f64 v[103:104], v[103:104], v[105:106], v[103:104]
	v_mul_f64 v[105:106], v[107:108], v[103:104]
	v_fma_f64 v[99:100], -v[99:100], v[105:106], v[107:108]
	v_div_fmas_f64 v[99:100], v[99:100], v[103:104], v[105:106]
	v_div_fixup_f64 v[103:104], v[99:100], v[97:98], 1.0
                                        ; implicit-def: $vgpr97_vgpr98
	v_mul_f64 v[101:102], v[101:102], v[103:104]
	v_xor_b32_e32 v104, 0x80000000, v104
.LBB113_401:
	s_andn2_saveexec_b64 s[2:3], s[2:3]
	s_cbranch_execz .LBB113_403
; %bb.402:
	v_div_scale_f64 v[101:102], s[6:7], v[97:98], v[97:98], v[99:100]
	v_rcp_f64_e32 v[103:104], v[101:102]
	v_fma_f64 v[105:106], -v[101:102], v[103:104], 1.0
	v_fma_f64 v[103:104], v[103:104], v[105:106], v[103:104]
	v_div_scale_f64 v[105:106], vcc, v[99:100], v[97:98], v[99:100]
	v_fma_f64 v[107:108], -v[101:102], v[103:104], 1.0
	v_fma_f64 v[103:104], v[103:104], v[107:108], v[103:104]
	v_mul_f64 v[107:108], v[105:106], v[103:104]
	v_fma_f64 v[101:102], -v[101:102], v[107:108], v[105:106]
	v_div_fmas_f64 v[101:102], v[101:102], v[103:104], v[107:108]
	v_div_fixup_f64 v[103:104], v[101:102], v[97:98], v[99:100]
	v_fma_f64 v[97:98], v[99:100], v[103:104], v[97:98]
	v_div_scale_f64 v[99:100], s[6:7], v[97:98], v[97:98], 1.0
	v_div_scale_f64 v[107:108], vcc, 1.0, v[97:98], 1.0
	v_rcp_f64_e32 v[101:102], v[99:100]
	v_fma_f64 v[105:106], -v[99:100], v[101:102], 1.0
	v_fma_f64 v[101:102], v[101:102], v[105:106], v[101:102]
	v_fma_f64 v[105:106], -v[99:100], v[101:102], 1.0
	v_fma_f64 v[101:102], v[101:102], v[105:106], v[101:102]
	v_mul_f64 v[105:106], v[107:108], v[101:102]
	v_fma_f64 v[99:100], -v[99:100], v[105:106], v[107:108]
	v_div_fmas_f64 v[99:100], v[99:100], v[101:102], v[105:106]
	v_div_fixup_f64 v[101:102], v[99:100], v[97:98], 1.0
	v_mul_f64 v[103:104], v[103:104], -v[101:102]
.LBB113_403:
	s_or_b64 exec, exec, s[2:3]
	ds_write2_b64 v127, v[101:102], v[103:104] offset1:1
.LBB113_404:
	s_or_b64 exec, exec, s[4:5]
	s_waitcnt lgkmcnt(0)
	s_barrier
	ds_read2_b64 v[73:76], v127 offset1:1
	v_cmp_lt_u32_e32 vcc, 44, v0
	s_and_saveexec_b64 s[2:3], vcc
	s_cbranch_execz .LBB113_406
; %bb.405:
	buffer_load_dword v45, off, s[20:23], 0 offset:16 ; 4-byte Folded Reload
	buffer_load_dword v46, off, s[20:23], 0 offset:20 ; 4-byte Folded Reload
	;; [unrolled: 1-line block ×4, first 2 shown]
	ds_read2_b64 v[99:102], v125 offset0:90 offset1:91
	buffer_load_dword v41, off, s[20:23], 0 ; 4-byte Folded Reload
	buffer_load_dword v42, off, s[20:23], 0 offset:4 ; 4-byte Folded Reload
	buffer_load_dword v43, off, s[20:23], 0 offset:8 ; 4-byte Folded Reload
	;; [unrolled: 1-line block ×3, first 2 shown]
	s_waitcnt vmcnt(4) lgkmcnt(1)
	v_mul_f64 v[97:98], v[73:74], v[47:48]
	v_mul_f64 v[47:48], v[75:76], v[47:48]
	v_fma_f64 v[97:98], v[75:76], v[45:46], v[97:98]
	v_fma_f64 v[45:46], v[73:74], v[45:46], -v[47:48]
	s_waitcnt lgkmcnt(0)
	v_mul_f64 v[47:48], v[101:102], v[97:98]
	v_fma_f64 v[47:48], v[99:100], v[45:46], -v[47:48]
	v_mul_f64 v[99:100], v[99:100], v[97:98]
	s_waitcnt vmcnt(2)
	v_add_f64 v[41:42], v[41:42], -v[47:48]
	v_fma_f64 v[99:100], v[101:102], v[45:46], v[99:100]
	s_waitcnt vmcnt(0)
	v_add_f64 v[43:44], v[43:44], -v[99:100]
	buffer_store_dword v41, off, s[20:23], 0 ; 4-byte Folded Spill
	s_nop 0
	buffer_store_dword v42, off, s[20:23], 0 offset:4 ; 4-byte Folded Spill
	buffer_store_dword v43, off, s[20:23], 0 offset:8 ; 4-byte Folded Spill
	buffer_store_dword v44, off, s[20:23], 0 offset:12 ; 4-byte Folded Spill
	ds_read2_b64 v[99:102], v125 offset0:92 offset1:93
	s_waitcnt lgkmcnt(0)
	v_mul_f64 v[47:48], v[101:102], v[97:98]
	v_fma_f64 v[47:48], v[99:100], v[45:46], -v[47:48]
	v_mul_f64 v[99:100], v[99:100], v[97:98]
	v_add_f64 v[37:38], v[37:38], -v[47:48]
	v_fma_f64 v[99:100], v[101:102], v[45:46], v[99:100]
	v_add_f64 v[39:40], v[39:40], -v[99:100]
	ds_read2_b64 v[99:102], v125 offset0:94 offset1:95
	s_waitcnt lgkmcnt(0)
	v_mul_f64 v[47:48], v[101:102], v[97:98]
	v_fma_f64 v[47:48], v[99:100], v[45:46], -v[47:48]
	v_mul_f64 v[99:100], v[99:100], v[97:98]
	v_add_f64 v[33:34], v[33:34], -v[47:48]
	v_fma_f64 v[99:100], v[101:102], v[45:46], v[99:100]
	v_add_f64 v[35:36], v[35:36], -v[99:100]
	;; [unrolled: 8-line block ×10, first 2 shown]
	ds_read2_b64 v[99:102], v125 offset0:112 offset1:113
	s_waitcnt lgkmcnt(0)
	v_mul_f64 v[47:48], v[101:102], v[97:98]
	v_fma_f64 v[47:48], v[99:100], v[45:46], -v[47:48]
	v_mul_f64 v[99:100], v[99:100], v[97:98]
	v_add_f64 v[121:122], v[121:122], -v[47:48]
	v_fma_f64 v[99:100], v[101:102], v[45:46], v[99:100]
	v_mov_b32_e32 v47, v97
	v_mov_b32_e32 v48, v98
	buffer_store_dword v45, off, s[20:23], 0 offset:16 ; 4-byte Folded Spill
	s_nop 0
	buffer_store_dword v46, off, s[20:23], 0 offset:20 ; 4-byte Folded Spill
	buffer_store_dword v47, off, s[20:23], 0 offset:24 ; 4-byte Folded Spill
	;; [unrolled: 1-line block ×3, first 2 shown]
	v_add_f64 v[123:124], v[123:124], -v[99:100]
.LBB113_406:
	s_or_b64 exec, exec, s[2:3]
	v_cmp_eq_u32_e32 vcc, 45, v0
	s_waitcnt vmcnt(0) lgkmcnt(0)
	s_barrier
	s_and_saveexec_b64 s[4:5], vcc
	s_cbranch_execz .LBB113_413
; %bb.407:
	buffer_load_dword v41, off, s[20:23], 0 ; 4-byte Folded Reload
	buffer_load_dword v42, off, s[20:23], 0 offset:4 ; 4-byte Folded Reload
	buffer_load_dword v43, off, s[20:23], 0 offset:8 ; 4-byte Folded Reload
	;; [unrolled: 1-line block ×3, first 2 shown]
	s_waitcnt vmcnt(0)
	ds_write2_b64 v127, v[41:42], v[43:44] offset1:1
	ds_write2_b64 v125, v[37:38], v[39:40] offset0:92 offset1:93
	ds_write2_b64 v125, v[33:34], v[35:36] offset0:94 offset1:95
	;; [unrolled: 1-line block ×11, first 2 shown]
	ds_read2_b64 v[97:100], v127 offset1:1
	s_waitcnt lgkmcnt(0)
	v_cmp_neq_f64_e32 vcc, 0, v[97:98]
	v_cmp_neq_f64_e64 s[2:3], 0, v[99:100]
	s_or_b64 s[2:3], vcc, s[2:3]
	s_and_b64 exec, exec, s[2:3]
	s_cbranch_execz .LBB113_413
; %bb.408:
	v_cmp_ngt_f64_e64 s[2:3], |v[97:98]|, |v[99:100]|
                                        ; implicit-def: $vgpr101_vgpr102
	s_and_saveexec_b64 s[6:7], s[2:3]
	s_xor_b64 s[2:3], exec, s[6:7]
                                        ; implicit-def: $vgpr103_vgpr104
	s_cbranch_execz .LBB113_410
; %bb.409:
	v_div_scale_f64 v[101:102], s[6:7], v[99:100], v[99:100], v[97:98]
	v_rcp_f64_e32 v[103:104], v[101:102]
	v_fma_f64 v[105:106], -v[101:102], v[103:104], 1.0
	v_fma_f64 v[103:104], v[103:104], v[105:106], v[103:104]
	v_div_scale_f64 v[105:106], vcc, v[97:98], v[99:100], v[97:98]
	v_fma_f64 v[107:108], -v[101:102], v[103:104], 1.0
	v_fma_f64 v[103:104], v[103:104], v[107:108], v[103:104]
	v_mul_f64 v[107:108], v[105:106], v[103:104]
	v_fma_f64 v[101:102], -v[101:102], v[107:108], v[105:106]
	v_div_fmas_f64 v[101:102], v[101:102], v[103:104], v[107:108]
	v_div_fixup_f64 v[101:102], v[101:102], v[99:100], v[97:98]
	v_fma_f64 v[97:98], v[97:98], v[101:102], v[99:100]
	v_div_scale_f64 v[99:100], s[6:7], v[97:98], v[97:98], 1.0
	v_div_scale_f64 v[107:108], vcc, 1.0, v[97:98], 1.0
	v_rcp_f64_e32 v[103:104], v[99:100]
	v_fma_f64 v[105:106], -v[99:100], v[103:104], 1.0
	v_fma_f64 v[103:104], v[103:104], v[105:106], v[103:104]
	v_fma_f64 v[105:106], -v[99:100], v[103:104], 1.0
	v_fma_f64 v[103:104], v[103:104], v[105:106], v[103:104]
	v_mul_f64 v[105:106], v[107:108], v[103:104]
	v_fma_f64 v[99:100], -v[99:100], v[105:106], v[107:108]
	v_div_fmas_f64 v[99:100], v[99:100], v[103:104], v[105:106]
	v_div_fixup_f64 v[103:104], v[99:100], v[97:98], 1.0
                                        ; implicit-def: $vgpr97_vgpr98
	v_mul_f64 v[101:102], v[101:102], v[103:104]
	v_xor_b32_e32 v104, 0x80000000, v104
.LBB113_410:
	s_andn2_saveexec_b64 s[2:3], s[2:3]
	s_cbranch_execz .LBB113_412
; %bb.411:
	v_div_scale_f64 v[101:102], s[6:7], v[97:98], v[97:98], v[99:100]
	v_rcp_f64_e32 v[103:104], v[101:102]
	v_fma_f64 v[105:106], -v[101:102], v[103:104], 1.0
	v_fma_f64 v[103:104], v[103:104], v[105:106], v[103:104]
	v_div_scale_f64 v[105:106], vcc, v[99:100], v[97:98], v[99:100]
	v_fma_f64 v[107:108], -v[101:102], v[103:104], 1.0
	v_fma_f64 v[103:104], v[103:104], v[107:108], v[103:104]
	v_mul_f64 v[107:108], v[105:106], v[103:104]
	v_fma_f64 v[101:102], -v[101:102], v[107:108], v[105:106]
	v_div_fmas_f64 v[101:102], v[101:102], v[103:104], v[107:108]
	v_div_fixup_f64 v[103:104], v[101:102], v[97:98], v[99:100]
	v_fma_f64 v[97:98], v[99:100], v[103:104], v[97:98]
	v_div_scale_f64 v[99:100], s[6:7], v[97:98], v[97:98], 1.0
	v_div_scale_f64 v[107:108], vcc, 1.0, v[97:98], 1.0
	v_rcp_f64_e32 v[101:102], v[99:100]
	v_fma_f64 v[105:106], -v[99:100], v[101:102], 1.0
	v_fma_f64 v[101:102], v[101:102], v[105:106], v[101:102]
	v_fma_f64 v[105:106], -v[99:100], v[101:102], 1.0
	v_fma_f64 v[101:102], v[101:102], v[105:106], v[101:102]
	v_mul_f64 v[105:106], v[107:108], v[101:102]
	v_fma_f64 v[99:100], -v[99:100], v[105:106], v[107:108]
	v_div_fmas_f64 v[99:100], v[99:100], v[101:102], v[105:106]
	v_div_fixup_f64 v[101:102], v[99:100], v[97:98], 1.0
	v_mul_f64 v[103:104], v[103:104], -v[101:102]
.LBB113_412:
	s_or_b64 exec, exec, s[2:3]
	ds_write2_b64 v127, v[101:102], v[103:104] offset1:1
.LBB113_413:
	s_or_b64 exec, exec, s[4:5]
	s_waitcnt lgkmcnt(0)
	s_barrier
	ds_read2_b64 v[77:80], v127 offset1:1
	v_cmp_lt_u32_e32 vcc, 45, v0
	s_and_saveexec_b64 s[2:3], vcc
	s_cbranch_execz .LBB113_415
; %bb.414:
	buffer_load_dword v41, off, s[20:23], 0 ; 4-byte Folded Reload
	buffer_load_dword v42, off, s[20:23], 0 offset:4 ; 4-byte Folded Reload
	buffer_load_dword v43, off, s[20:23], 0 offset:8 ; 4-byte Folded Reload
	;; [unrolled: 1-line block ×3, first 2 shown]
	ds_read2_b64 v[99:102], v125 offset0:92 offset1:93
	s_waitcnt vmcnt(0) lgkmcnt(1)
	v_mul_f64 v[97:98], v[77:78], v[43:44]
	v_mul_f64 v[43:44], v[79:80], v[43:44]
	v_fma_f64 v[97:98], v[79:80], v[41:42], v[97:98]
	v_fma_f64 v[41:42], v[77:78], v[41:42], -v[43:44]
	s_waitcnt lgkmcnt(0)
	v_mul_f64 v[43:44], v[101:102], v[97:98]
	v_fma_f64 v[43:44], v[99:100], v[41:42], -v[43:44]
	v_mul_f64 v[99:100], v[99:100], v[97:98]
	v_add_f64 v[37:38], v[37:38], -v[43:44]
	v_fma_f64 v[99:100], v[101:102], v[41:42], v[99:100]
	v_add_f64 v[39:40], v[39:40], -v[99:100]
	ds_read2_b64 v[99:102], v125 offset0:94 offset1:95
	s_waitcnt lgkmcnt(0)
	v_mul_f64 v[43:44], v[101:102], v[97:98]
	v_fma_f64 v[43:44], v[99:100], v[41:42], -v[43:44]
	v_mul_f64 v[99:100], v[99:100], v[97:98]
	v_add_f64 v[33:34], v[33:34], -v[43:44]
	v_fma_f64 v[99:100], v[101:102], v[41:42], v[99:100]
	v_add_f64 v[35:36], v[35:36], -v[99:100]
	ds_read2_b64 v[99:102], v125 offset0:96 offset1:97
	;; [unrolled: 8-line block ×10, first 2 shown]
	s_waitcnt lgkmcnt(0)
	v_mul_f64 v[43:44], v[101:102], v[97:98]
	v_fma_f64 v[43:44], v[99:100], v[41:42], -v[43:44]
	v_mul_f64 v[99:100], v[99:100], v[97:98]
	v_add_f64 v[121:122], v[121:122], -v[43:44]
	v_fma_f64 v[99:100], v[101:102], v[41:42], v[99:100]
	v_mov_b32_e32 v43, v97
	v_mov_b32_e32 v44, v98
	buffer_store_dword v41, off, s[20:23], 0 ; 4-byte Folded Spill
	s_nop 0
	buffer_store_dword v42, off, s[20:23], 0 offset:4 ; 4-byte Folded Spill
	buffer_store_dword v43, off, s[20:23], 0 offset:8 ; 4-byte Folded Spill
	;; [unrolled: 1-line block ×3, first 2 shown]
	v_add_f64 v[123:124], v[123:124], -v[99:100]
.LBB113_415:
	s_or_b64 exec, exec, s[2:3]
	v_cmp_eq_u32_e32 vcc, 46, v0
	s_waitcnt vmcnt(0) lgkmcnt(0)
	s_barrier
	s_and_saveexec_b64 s[4:5], vcc
	s_cbranch_execz .LBB113_422
; %bb.416:
	ds_write2_b64 v127, v[37:38], v[39:40] offset1:1
	ds_write2_b64 v125, v[33:34], v[35:36] offset0:94 offset1:95
	ds_write2_b64 v125, v[29:30], v[31:32] offset0:96 offset1:97
	;; [unrolled: 1-line block ×10, first 2 shown]
	ds_read2_b64 v[97:100], v127 offset1:1
	s_waitcnt lgkmcnt(0)
	v_cmp_neq_f64_e32 vcc, 0, v[97:98]
	v_cmp_neq_f64_e64 s[2:3], 0, v[99:100]
	s_or_b64 s[2:3], vcc, s[2:3]
	s_and_b64 exec, exec, s[2:3]
	s_cbranch_execz .LBB113_422
; %bb.417:
	v_cmp_ngt_f64_e64 s[2:3], |v[97:98]|, |v[99:100]|
                                        ; implicit-def: $vgpr101_vgpr102
	s_and_saveexec_b64 s[6:7], s[2:3]
	s_xor_b64 s[2:3], exec, s[6:7]
                                        ; implicit-def: $vgpr103_vgpr104
	s_cbranch_execz .LBB113_419
; %bb.418:
	v_div_scale_f64 v[101:102], s[6:7], v[99:100], v[99:100], v[97:98]
	v_rcp_f64_e32 v[103:104], v[101:102]
	v_fma_f64 v[105:106], -v[101:102], v[103:104], 1.0
	v_fma_f64 v[103:104], v[103:104], v[105:106], v[103:104]
	v_div_scale_f64 v[105:106], vcc, v[97:98], v[99:100], v[97:98]
	v_fma_f64 v[107:108], -v[101:102], v[103:104], 1.0
	v_fma_f64 v[103:104], v[103:104], v[107:108], v[103:104]
	v_mul_f64 v[107:108], v[105:106], v[103:104]
	v_fma_f64 v[101:102], -v[101:102], v[107:108], v[105:106]
	v_div_fmas_f64 v[101:102], v[101:102], v[103:104], v[107:108]
	v_div_fixup_f64 v[101:102], v[101:102], v[99:100], v[97:98]
	v_fma_f64 v[97:98], v[97:98], v[101:102], v[99:100]
	v_div_scale_f64 v[99:100], s[6:7], v[97:98], v[97:98], 1.0
	v_div_scale_f64 v[107:108], vcc, 1.0, v[97:98], 1.0
	v_rcp_f64_e32 v[103:104], v[99:100]
	v_fma_f64 v[105:106], -v[99:100], v[103:104], 1.0
	v_fma_f64 v[103:104], v[103:104], v[105:106], v[103:104]
	v_fma_f64 v[105:106], -v[99:100], v[103:104], 1.0
	v_fma_f64 v[103:104], v[103:104], v[105:106], v[103:104]
	v_mul_f64 v[105:106], v[107:108], v[103:104]
	v_fma_f64 v[99:100], -v[99:100], v[105:106], v[107:108]
	v_div_fmas_f64 v[99:100], v[99:100], v[103:104], v[105:106]
	v_div_fixup_f64 v[103:104], v[99:100], v[97:98], 1.0
                                        ; implicit-def: $vgpr97_vgpr98
	v_mul_f64 v[101:102], v[101:102], v[103:104]
	v_xor_b32_e32 v104, 0x80000000, v104
.LBB113_419:
	s_andn2_saveexec_b64 s[2:3], s[2:3]
	s_cbranch_execz .LBB113_421
; %bb.420:
	v_div_scale_f64 v[101:102], s[6:7], v[97:98], v[97:98], v[99:100]
	v_rcp_f64_e32 v[103:104], v[101:102]
	v_fma_f64 v[105:106], -v[101:102], v[103:104], 1.0
	v_fma_f64 v[103:104], v[103:104], v[105:106], v[103:104]
	v_div_scale_f64 v[105:106], vcc, v[99:100], v[97:98], v[99:100]
	v_fma_f64 v[107:108], -v[101:102], v[103:104], 1.0
	v_fma_f64 v[103:104], v[103:104], v[107:108], v[103:104]
	v_mul_f64 v[107:108], v[105:106], v[103:104]
	v_fma_f64 v[101:102], -v[101:102], v[107:108], v[105:106]
	v_div_fmas_f64 v[101:102], v[101:102], v[103:104], v[107:108]
	v_div_fixup_f64 v[103:104], v[101:102], v[97:98], v[99:100]
	v_fma_f64 v[97:98], v[99:100], v[103:104], v[97:98]
	v_div_scale_f64 v[99:100], s[6:7], v[97:98], v[97:98], 1.0
	v_div_scale_f64 v[107:108], vcc, 1.0, v[97:98], 1.0
	v_rcp_f64_e32 v[101:102], v[99:100]
	v_fma_f64 v[105:106], -v[99:100], v[101:102], 1.0
	v_fma_f64 v[101:102], v[101:102], v[105:106], v[101:102]
	v_fma_f64 v[105:106], -v[99:100], v[101:102], 1.0
	v_fma_f64 v[101:102], v[101:102], v[105:106], v[101:102]
	v_mul_f64 v[105:106], v[107:108], v[101:102]
	v_fma_f64 v[99:100], -v[99:100], v[105:106], v[107:108]
	v_div_fmas_f64 v[99:100], v[99:100], v[101:102], v[105:106]
	v_div_fixup_f64 v[101:102], v[99:100], v[97:98], 1.0
	v_mul_f64 v[103:104], v[103:104], -v[101:102]
.LBB113_421:
	s_or_b64 exec, exec, s[2:3]
	ds_write2_b64 v127, v[101:102], v[103:104] offset1:1
.LBB113_422:
	s_or_b64 exec, exec, s[4:5]
	s_waitcnt lgkmcnt(0)
	s_barrier
	ds_read2_b64 v[41:44], v127 offset1:1
	v_cmp_lt_u32_e32 vcc, 46, v0
	s_waitcnt lgkmcnt(0)
	buffer_store_dword v41, off, s[20:23], 0 offset:1832 ; 4-byte Folded Spill
	s_nop 0
	buffer_store_dword v42, off, s[20:23], 0 offset:1836 ; 4-byte Folded Spill
	buffer_store_dword v43, off, s[20:23], 0 offset:1840 ; 4-byte Folded Spill
	;; [unrolled: 1-line block ×3, first 2 shown]
	s_and_saveexec_b64 s[2:3], vcc
	s_cbranch_execz .LBB113_424
; %bb.423:
	buffer_load_dword v41, off, s[20:23], 0 offset:1832 ; 4-byte Folded Reload
	buffer_load_dword v42, off, s[20:23], 0 offset:1836 ; 4-byte Folded Reload
	;; [unrolled: 1-line block ×4, first 2 shown]
	ds_read2_b64 v[99:102], v125 offset0:94 offset1:95
	s_waitcnt vmcnt(2)
	v_mul_f64 v[97:98], v[41:42], v[39:40]
	s_waitcnt vmcnt(0)
	v_mul_f64 v[39:40], v[43:44], v[39:40]
	v_fma_f64 v[97:98], v[43:44], v[37:38], v[97:98]
	v_fma_f64 v[37:38], v[41:42], v[37:38], -v[39:40]
	s_waitcnt lgkmcnt(0)
	v_mul_f64 v[39:40], v[101:102], v[97:98]
	v_fma_f64 v[39:40], v[99:100], v[37:38], -v[39:40]
	v_mul_f64 v[99:100], v[99:100], v[97:98]
	v_add_f64 v[33:34], v[33:34], -v[39:40]
	v_fma_f64 v[99:100], v[101:102], v[37:38], v[99:100]
	v_add_f64 v[35:36], v[35:36], -v[99:100]
	ds_read2_b64 v[99:102], v125 offset0:96 offset1:97
	s_waitcnt lgkmcnt(0)
	v_mul_f64 v[39:40], v[101:102], v[97:98]
	v_fma_f64 v[39:40], v[99:100], v[37:38], -v[39:40]
	v_mul_f64 v[99:100], v[99:100], v[97:98]
	v_add_f64 v[29:30], v[29:30], -v[39:40]
	v_fma_f64 v[99:100], v[101:102], v[37:38], v[99:100]
	v_add_f64 v[31:32], v[31:32], -v[99:100]
	ds_read2_b64 v[99:102], v125 offset0:98 offset1:99
	;; [unrolled: 8-line block ×9, first 2 shown]
	s_waitcnt lgkmcnt(0)
	v_mul_f64 v[39:40], v[101:102], v[97:98]
	v_fma_f64 v[39:40], v[99:100], v[37:38], -v[39:40]
	v_mul_f64 v[99:100], v[99:100], v[97:98]
	v_add_f64 v[121:122], v[121:122], -v[39:40]
	v_fma_f64 v[99:100], v[101:102], v[37:38], v[99:100]
	v_mov_b32_e32 v39, v97
	v_mov_b32_e32 v40, v98
	v_add_f64 v[123:124], v[123:124], -v[99:100]
.LBB113_424:
	s_or_b64 exec, exec, s[2:3]
	v_cmp_eq_u32_e32 vcc, 47, v0
	s_waitcnt vmcnt(0)
	s_barrier
	s_and_saveexec_b64 s[4:5], vcc
	s_cbranch_execz .LBB113_431
; %bb.425:
	ds_write2_b64 v127, v[33:34], v[35:36] offset1:1
	ds_write2_b64 v125, v[29:30], v[31:32] offset0:96 offset1:97
	ds_write2_b64 v125, v[25:26], v[27:28] offset0:98 offset1:99
	ds_write2_b64 v125, v[21:22], v[23:24] offset0:100 offset1:101
	ds_write2_b64 v125, v[17:18], v[19:20] offset0:102 offset1:103
	ds_write2_b64 v125, v[13:14], v[15:16] offset0:104 offset1:105
	ds_write2_b64 v125, v[9:10], v[11:12] offset0:106 offset1:107
	ds_write2_b64 v125, v[5:6], v[7:8] offset0:108 offset1:109
	ds_write2_b64 v125, v[1:2], v[3:4] offset0:110 offset1:111
	ds_write2_b64 v125, v[121:122], v[123:124] offset0:112 offset1:113
	ds_read2_b64 v[97:100], v127 offset1:1
	s_waitcnt lgkmcnt(0)
	v_cmp_neq_f64_e32 vcc, 0, v[97:98]
	v_cmp_neq_f64_e64 s[2:3], 0, v[99:100]
	s_or_b64 s[2:3], vcc, s[2:3]
	s_and_b64 exec, exec, s[2:3]
	s_cbranch_execz .LBB113_431
; %bb.426:
	v_cmp_ngt_f64_e64 s[2:3], |v[97:98]|, |v[99:100]|
                                        ; implicit-def: $vgpr101_vgpr102
	s_and_saveexec_b64 s[6:7], s[2:3]
	s_xor_b64 s[2:3], exec, s[6:7]
                                        ; implicit-def: $vgpr103_vgpr104
	s_cbranch_execz .LBB113_428
; %bb.427:
	v_div_scale_f64 v[101:102], s[6:7], v[99:100], v[99:100], v[97:98]
	v_rcp_f64_e32 v[103:104], v[101:102]
	v_fma_f64 v[105:106], -v[101:102], v[103:104], 1.0
	v_fma_f64 v[103:104], v[103:104], v[105:106], v[103:104]
	v_div_scale_f64 v[105:106], vcc, v[97:98], v[99:100], v[97:98]
	v_fma_f64 v[107:108], -v[101:102], v[103:104], 1.0
	v_fma_f64 v[103:104], v[103:104], v[107:108], v[103:104]
	v_mul_f64 v[107:108], v[105:106], v[103:104]
	v_fma_f64 v[101:102], -v[101:102], v[107:108], v[105:106]
	v_div_fmas_f64 v[101:102], v[101:102], v[103:104], v[107:108]
	v_div_fixup_f64 v[101:102], v[101:102], v[99:100], v[97:98]
	v_fma_f64 v[97:98], v[97:98], v[101:102], v[99:100]
	v_div_scale_f64 v[99:100], s[6:7], v[97:98], v[97:98], 1.0
	v_div_scale_f64 v[107:108], vcc, 1.0, v[97:98], 1.0
	v_rcp_f64_e32 v[103:104], v[99:100]
	v_fma_f64 v[105:106], -v[99:100], v[103:104], 1.0
	v_fma_f64 v[103:104], v[103:104], v[105:106], v[103:104]
	v_fma_f64 v[105:106], -v[99:100], v[103:104], 1.0
	v_fma_f64 v[103:104], v[103:104], v[105:106], v[103:104]
	v_mul_f64 v[105:106], v[107:108], v[103:104]
	v_fma_f64 v[99:100], -v[99:100], v[105:106], v[107:108]
	v_div_fmas_f64 v[99:100], v[99:100], v[103:104], v[105:106]
	v_div_fixup_f64 v[103:104], v[99:100], v[97:98], 1.0
                                        ; implicit-def: $vgpr97_vgpr98
	v_mul_f64 v[101:102], v[101:102], v[103:104]
	v_xor_b32_e32 v104, 0x80000000, v104
.LBB113_428:
	s_andn2_saveexec_b64 s[2:3], s[2:3]
	s_cbranch_execz .LBB113_430
; %bb.429:
	v_div_scale_f64 v[101:102], s[6:7], v[97:98], v[97:98], v[99:100]
	v_rcp_f64_e32 v[103:104], v[101:102]
	v_fma_f64 v[105:106], -v[101:102], v[103:104], 1.0
	v_fma_f64 v[103:104], v[103:104], v[105:106], v[103:104]
	v_div_scale_f64 v[105:106], vcc, v[99:100], v[97:98], v[99:100]
	v_fma_f64 v[107:108], -v[101:102], v[103:104], 1.0
	v_fma_f64 v[103:104], v[103:104], v[107:108], v[103:104]
	v_mul_f64 v[107:108], v[105:106], v[103:104]
	v_fma_f64 v[101:102], -v[101:102], v[107:108], v[105:106]
	v_div_fmas_f64 v[101:102], v[101:102], v[103:104], v[107:108]
	v_div_fixup_f64 v[103:104], v[101:102], v[97:98], v[99:100]
	v_fma_f64 v[97:98], v[99:100], v[103:104], v[97:98]
	v_div_scale_f64 v[99:100], s[6:7], v[97:98], v[97:98], 1.0
	v_div_scale_f64 v[107:108], vcc, 1.0, v[97:98], 1.0
	v_rcp_f64_e32 v[101:102], v[99:100]
	v_fma_f64 v[105:106], -v[99:100], v[101:102], 1.0
	v_fma_f64 v[101:102], v[101:102], v[105:106], v[101:102]
	v_fma_f64 v[105:106], -v[99:100], v[101:102], 1.0
	v_fma_f64 v[101:102], v[101:102], v[105:106], v[101:102]
	v_mul_f64 v[105:106], v[107:108], v[101:102]
	v_fma_f64 v[99:100], -v[99:100], v[105:106], v[107:108]
	v_div_fmas_f64 v[99:100], v[99:100], v[101:102], v[105:106]
	v_div_fixup_f64 v[101:102], v[99:100], v[97:98], 1.0
	v_mul_f64 v[103:104], v[103:104], -v[101:102]
.LBB113_430:
	s_or_b64 exec, exec, s[2:3]
	ds_write2_b64 v127, v[101:102], v[103:104] offset1:1
.LBB113_431:
	s_or_b64 exec, exec, s[4:5]
	s_waitcnt lgkmcnt(0)
	s_barrier
	ds_read2_b64 v[41:44], v127 offset1:1
	v_cmp_lt_u32_e32 vcc, 47, v0
	s_waitcnt lgkmcnt(0)
	buffer_store_dword v41, off, s[20:23], 0 offset:1848 ; 4-byte Folded Spill
	s_nop 0
	buffer_store_dword v42, off, s[20:23], 0 offset:1852 ; 4-byte Folded Spill
	buffer_store_dword v43, off, s[20:23], 0 offset:1856 ; 4-byte Folded Spill
	;; [unrolled: 1-line block ×3, first 2 shown]
	s_and_saveexec_b64 s[2:3], vcc
	s_cbranch_execz .LBB113_433
; %bb.432:
	buffer_load_dword v41, off, s[20:23], 0 offset:1848 ; 4-byte Folded Reload
	buffer_load_dword v42, off, s[20:23], 0 offset:1852 ; 4-byte Folded Reload
	;; [unrolled: 1-line block ×4, first 2 shown]
	ds_read2_b64 v[99:102], v125 offset0:96 offset1:97
	s_waitcnt vmcnt(2)
	v_mul_f64 v[97:98], v[41:42], v[35:36]
	s_waitcnt vmcnt(0)
	v_mul_f64 v[35:36], v[43:44], v[35:36]
	v_fma_f64 v[97:98], v[43:44], v[33:34], v[97:98]
	v_fma_f64 v[33:34], v[41:42], v[33:34], -v[35:36]
	s_waitcnt lgkmcnt(0)
	v_mul_f64 v[35:36], v[101:102], v[97:98]
	v_fma_f64 v[35:36], v[99:100], v[33:34], -v[35:36]
	v_mul_f64 v[99:100], v[99:100], v[97:98]
	v_add_f64 v[29:30], v[29:30], -v[35:36]
	v_fma_f64 v[99:100], v[101:102], v[33:34], v[99:100]
	v_add_f64 v[31:32], v[31:32], -v[99:100]
	ds_read2_b64 v[99:102], v125 offset0:98 offset1:99
	s_waitcnt lgkmcnt(0)
	v_mul_f64 v[35:36], v[101:102], v[97:98]
	v_fma_f64 v[35:36], v[99:100], v[33:34], -v[35:36]
	v_mul_f64 v[99:100], v[99:100], v[97:98]
	v_add_f64 v[25:26], v[25:26], -v[35:36]
	v_fma_f64 v[99:100], v[101:102], v[33:34], v[99:100]
	v_add_f64 v[27:28], v[27:28], -v[99:100]
	ds_read2_b64 v[99:102], v125 offset0:100 offset1:101
	;; [unrolled: 8-line block ×8, first 2 shown]
	s_waitcnt lgkmcnt(0)
	v_mul_f64 v[35:36], v[101:102], v[97:98]
	v_fma_f64 v[35:36], v[99:100], v[33:34], -v[35:36]
	v_mul_f64 v[99:100], v[99:100], v[97:98]
	v_add_f64 v[121:122], v[121:122], -v[35:36]
	v_fma_f64 v[99:100], v[101:102], v[33:34], v[99:100]
	v_mov_b32_e32 v35, v97
	v_mov_b32_e32 v36, v98
	v_add_f64 v[123:124], v[123:124], -v[99:100]
.LBB113_433:
	s_or_b64 exec, exec, s[2:3]
	v_cmp_eq_u32_e32 vcc, 48, v0
	s_waitcnt vmcnt(0)
	s_barrier
	s_and_saveexec_b64 s[4:5], vcc
	s_cbranch_execz .LBB113_440
; %bb.434:
	ds_write2_b64 v127, v[29:30], v[31:32] offset1:1
	ds_write2_b64 v125, v[25:26], v[27:28] offset0:98 offset1:99
	ds_write2_b64 v125, v[21:22], v[23:24] offset0:100 offset1:101
	ds_write2_b64 v125, v[17:18], v[19:20] offset0:102 offset1:103
	ds_write2_b64 v125, v[13:14], v[15:16] offset0:104 offset1:105
	ds_write2_b64 v125, v[9:10], v[11:12] offset0:106 offset1:107
	ds_write2_b64 v125, v[5:6], v[7:8] offset0:108 offset1:109
	ds_write2_b64 v125, v[1:2], v[3:4] offset0:110 offset1:111
	ds_write2_b64 v125, v[121:122], v[123:124] offset0:112 offset1:113
	ds_read2_b64 v[97:100], v127 offset1:1
	s_waitcnt lgkmcnt(0)
	v_cmp_neq_f64_e32 vcc, 0, v[97:98]
	v_cmp_neq_f64_e64 s[2:3], 0, v[99:100]
	s_or_b64 s[2:3], vcc, s[2:3]
	s_and_b64 exec, exec, s[2:3]
	s_cbranch_execz .LBB113_440
; %bb.435:
	v_cmp_ngt_f64_e64 s[2:3], |v[97:98]|, |v[99:100]|
                                        ; implicit-def: $vgpr101_vgpr102
	s_and_saveexec_b64 s[6:7], s[2:3]
	s_xor_b64 s[2:3], exec, s[6:7]
                                        ; implicit-def: $vgpr103_vgpr104
	s_cbranch_execz .LBB113_437
; %bb.436:
	v_div_scale_f64 v[101:102], s[6:7], v[99:100], v[99:100], v[97:98]
	v_rcp_f64_e32 v[103:104], v[101:102]
	v_fma_f64 v[105:106], -v[101:102], v[103:104], 1.0
	v_fma_f64 v[103:104], v[103:104], v[105:106], v[103:104]
	v_div_scale_f64 v[105:106], vcc, v[97:98], v[99:100], v[97:98]
	v_fma_f64 v[107:108], -v[101:102], v[103:104], 1.0
	v_fma_f64 v[103:104], v[103:104], v[107:108], v[103:104]
	v_mul_f64 v[107:108], v[105:106], v[103:104]
	v_fma_f64 v[101:102], -v[101:102], v[107:108], v[105:106]
	v_div_fmas_f64 v[101:102], v[101:102], v[103:104], v[107:108]
	v_div_fixup_f64 v[101:102], v[101:102], v[99:100], v[97:98]
	v_fma_f64 v[97:98], v[97:98], v[101:102], v[99:100]
	v_div_scale_f64 v[99:100], s[6:7], v[97:98], v[97:98], 1.0
	v_div_scale_f64 v[107:108], vcc, 1.0, v[97:98], 1.0
	v_rcp_f64_e32 v[103:104], v[99:100]
	v_fma_f64 v[105:106], -v[99:100], v[103:104], 1.0
	v_fma_f64 v[103:104], v[103:104], v[105:106], v[103:104]
	v_fma_f64 v[105:106], -v[99:100], v[103:104], 1.0
	v_fma_f64 v[103:104], v[103:104], v[105:106], v[103:104]
	v_mul_f64 v[105:106], v[107:108], v[103:104]
	v_fma_f64 v[99:100], -v[99:100], v[105:106], v[107:108]
	v_div_fmas_f64 v[99:100], v[99:100], v[103:104], v[105:106]
	v_div_fixup_f64 v[103:104], v[99:100], v[97:98], 1.0
                                        ; implicit-def: $vgpr97_vgpr98
	v_mul_f64 v[101:102], v[101:102], v[103:104]
	v_xor_b32_e32 v104, 0x80000000, v104
.LBB113_437:
	s_andn2_saveexec_b64 s[2:3], s[2:3]
	s_cbranch_execz .LBB113_439
; %bb.438:
	v_div_scale_f64 v[101:102], s[6:7], v[97:98], v[97:98], v[99:100]
	v_rcp_f64_e32 v[103:104], v[101:102]
	v_fma_f64 v[105:106], -v[101:102], v[103:104], 1.0
	v_fma_f64 v[103:104], v[103:104], v[105:106], v[103:104]
	v_div_scale_f64 v[105:106], vcc, v[99:100], v[97:98], v[99:100]
	v_fma_f64 v[107:108], -v[101:102], v[103:104], 1.0
	v_fma_f64 v[103:104], v[103:104], v[107:108], v[103:104]
	v_mul_f64 v[107:108], v[105:106], v[103:104]
	v_fma_f64 v[101:102], -v[101:102], v[107:108], v[105:106]
	v_div_fmas_f64 v[101:102], v[101:102], v[103:104], v[107:108]
	v_div_fixup_f64 v[103:104], v[101:102], v[97:98], v[99:100]
	v_fma_f64 v[97:98], v[99:100], v[103:104], v[97:98]
	v_div_scale_f64 v[99:100], s[6:7], v[97:98], v[97:98], 1.0
	v_div_scale_f64 v[107:108], vcc, 1.0, v[97:98], 1.0
	v_rcp_f64_e32 v[101:102], v[99:100]
	v_fma_f64 v[105:106], -v[99:100], v[101:102], 1.0
	v_fma_f64 v[101:102], v[101:102], v[105:106], v[101:102]
	v_fma_f64 v[105:106], -v[99:100], v[101:102], 1.0
	v_fma_f64 v[101:102], v[101:102], v[105:106], v[101:102]
	v_mul_f64 v[105:106], v[107:108], v[101:102]
	v_fma_f64 v[99:100], -v[99:100], v[105:106], v[107:108]
	v_div_fmas_f64 v[99:100], v[99:100], v[101:102], v[105:106]
	v_div_fixup_f64 v[101:102], v[99:100], v[97:98], 1.0
	v_mul_f64 v[103:104], v[103:104], -v[101:102]
.LBB113_439:
	s_or_b64 exec, exec, s[2:3]
	ds_write2_b64 v127, v[101:102], v[103:104] offset1:1
.LBB113_440:
	s_or_b64 exec, exec, s[4:5]
	s_waitcnt lgkmcnt(0)
	s_barrier
	ds_read2_b64 v[61:64], v127 offset1:1
	v_cmp_lt_u32_e32 vcc, 48, v0
	s_and_saveexec_b64 s[2:3], vcc
	s_cbranch_execz .LBB113_442
; %bb.441:
	s_waitcnt lgkmcnt(0)
	v_mul_f64 v[97:98], v[61:62], v[31:32]
	v_mul_f64 v[31:32], v[63:64], v[31:32]
	ds_read2_b64 v[99:102], v125 offset0:98 offset1:99
	v_fma_f64 v[97:98], v[63:64], v[29:30], v[97:98]
	v_fma_f64 v[29:30], v[61:62], v[29:30], -v[31:32]
	s_waitcnt lgkmcnt(0)
	v_mul_f64 v[31:32], v[101:102], v[97:98]
	v_fma_f64 v[31:32], v[99:100], v[29:30], -v[31:32]
	v_mul_f64 v[99:100], v[99:100], v[97:98]
	v_add_f64 v[25:26], v[25:26], -v[31:32]
	v_fma_f64 v[99:100], v[101:102], v[29:30], v[99:100]
	v_add_f64 v[27:28], v[27:28], -v[99:100]
	ds_read2_b64 v[99:102], v125 offset0:100 offset1:101
	s_waitcnt lgkmcnt(0)
	v_mul_f64 v[31:32], v[101:102], v[97:98]
	v_fma_f64 v[31:32], v[99:100], v[29:30], -v[31:32]
	v_mul_f64 v[99:100], v[99:100], v[97:98]
	v_add_f64 v[21:22], v[21:22], -v[31:32]
	v_fma_f64 v[99:100], v[101:102], v[29:30], v[99:100]
	v_add_f64 v[23:24], v[23:24], -v[99:100]
	ds_read2_b64 v[99:102], v125 offset0:102 offset1:103
	s_waitcnt lgkmcnt(0)
	v_mul_f64 v[31:32], v[101:102], v[97:98]
	v_fma_f64 v[31:32], v[99:100], v[29:30], -v[31:32]
	v_mul_f64 v[99:100], v[99:100], v[97:98]
	v_add_f64 v[17:18], v[17:18], -v[31:32]
	v_fma_f64 v[99:100], v[101:102], v[29:30], v[99:100]
	v_add_f64 v[19:20], v[19:20], -v[99:100]
	ds_read2_b64 v[99:102], v125 offset0:104 offset1:105
	s_waitcnt lgkmcnt(0)
	v_mul_f64 v[31:32], v[101:102], v[97:98]
	v_fma_f64 v[31:32], v[99:100], v[29:30], -v[31:32]
	v_mul_f64 v[99:100], v[99:100], v[97:98]
	v_add_f64 v[13:14], v[13:14], -v[31:32]
	v_fma_f64 v[99:100], v[101:102], v[29:30], v[99:100]
	v_add_f64 v[15:16], v[15:16], -v[99:100]
	ds_read2_b64 v[99:102], v125 offset0:106 offset1:107
	s_waitcnt lgkmcnt(0)
	v_mul_f64 v[31:32], v[101:102], v[97:98]
	v_fma_f64 v[31:32], v[99:100], v[29:30], -v[31:32]
	v_mul_f64 v[99:100], v[99:100], v[97:98]
	v_add_f64 v[9:10], v[9:10], -v[31:32]
	v_fma_f64 v[99:100], v[101:102], v[29:30], v[99:100]
	v_add_f64 v[11:12], v[11:12], -v[99:100]
	ds_read2_b64 v[99:102], v125 offset0:108 offset1:109
	s_waitcnt lgkmcnt(0)
	v_mul_f64 v[31:32], v[101:102], v[97:98]
	v_fma_f64 v[31:32], v[99:100], v[29:30], -v[31:32]
	v_mul_f64 v[99:100], v[99:100], v[97:98]
	v_add_f64 v[5:6], v[5:6], -v[31:32]
	v_fma_f64 v[99:100], v[101:102], v[29:30], v[99:100]
	v_add_f64 v[7:8], v[7:8], -v[99:100]
	ds_read2_b64 v[99:102], v125 offset0:110 offset1:111
	s_waitcnt lgkmcnt(0)
	v_mul_f64 v[31:32], v[101:102], v[97:98]
	v_fma_f64 v[31:32], v[99:100], v[29:30], -v[31:32]
	v_mul_f64 v[99:100], v[99:100], v[97:98]
	v_add_f64 v[1:2], v[1:2], -v[31:32]
	v_fma_f64 v[99:100], v[101:102], v[29:30], v[99:100]
	v_add_f64 v[3:4], v[3:4], -v[99:100]
	ds_read2_b64 v[99:102], v125 offset0:112 offset1:113
	s_waitcnt lgkmcnt(0)
	v_mul_f64 v[31:32], v[101:102], v[97:98]
	v_fma_f64 v[31:32], v[99:100], v[29:30], -v[31:32]
	v_mul_f64 v[99:100], v[99:100], v[97:98]
	v_add_f64 v[121:122], v[121:122], -v[31:32]
	v_fma_f64 v[99:100], v[101:102], v[29:30], v[99:100]
	v_mov_b32_e32 v31, v97
	v_mov_b32_e32 v32, v98
	v_add_f64 v[123:124], v[123:124], -v[99:100]
.LBB113_442:
	s_or_b64 exec, exec, s[2:3]
	v_cmp_eq_u32_e32 vcc, 49, v0
	s_waitcnt lgkmcnt(0)
	s_barrier
	s_and_saveexec_b64 s[4:5], vcc
	s_cbranch_execz .LBB113_449
; %bb.443:
	ds_write2_b64 v127, v[25:26], v[27:28] offset1:1
	ds_write2_b64 v125, v[21:22], v[23:24] offset0:100 offset1:101
	ds_write2_b64 v125, v[17:18], v[19:20] offset0:102 offset1:103
	;; [unrolled: 1-line block ×7, first 2 shown]
	ds_read2_b64 v[97:100], v127 offset1:1
	s_waitcnt lgkmcnt(0)
	v_cmp_neq_f64_e32 vcc, 0, v[97:98]
	v_cmp_neq_f64_e64 s[2:3], 0, v[99:100]
	s_or_b64 s[2:3], vcc, s[2:3]
	s_and_b64 exec, exec, s[2:3]
	s_cbranch_execz .LBB113_449
; %bb.444:
	v_cmp_ngt_f64_e64 s[2:3], |v[97:98]|, |v[99:100]|
                                        ; implicit-def: $vgpr101_vgpr102
	s_and_saveexec_b64 s[6:7], s[2:3]
	s_xor_b64 s[2:3], exec, s[6:7]
                                        ; implicit-def: $vgpr103_vgpr104
	s_cbranch_execz .LBB113_446
; %bb.445:
	v_div_scale_f64 v[101:102], s[6:7], v[99:100], v[99:100], v[97:98]
	v_rcp_f64_e32 v[103:104], v[101:102]
	v_fma_f64 v[105:106], -v[101:102], v[103:104], 1.0
	v_fma_f64 v[103:104], v[103:104], v[105:106], v[103:104]
	v_div_scale_f64 v[105:106], vcc, v[97:98], v[99:100], v[97:98]
	v_fma_f64 v[107:108], -v[101:102], v[103:104], 1.0
	v_fma_f64 v[103:104], v[103:104], v[107:108], v[103:104]
	v_mul_f64 v[107:108], v[105:106], v[103:104]
	v_fma_f64 v[101:102], -v[101:102], v[107:108], v[105:106]
	v_div_fmas_f64 v[101:102], v[101:102], v[103:104], v[107:108]
	v_div_fixup_f64 v[101:102], v[101:102], v[99:100], v[97:98]
	v_fma_f64 v[97:98], v[97:98], v[101:102], v[99:100]
	v_div_scale_f64 v[99:100], s[6:7], v[97:98], v[97:98], 1.0
	v_div_scale_f64 v[107:108], vcc, 1.0, v[97:98], 1.0
	v_rcp_f64_e32 v[103:104], v[99:100]
	v_fma_f64 v[105:106], -v[99:100], v[103:104], 1.0
	v_fma_f64 v[103:104], v[103:104], v[105:106], v[103:104]
	v_fma_f64 v[105:106], -v[99:100], v[103:104], 1.0
	v_fma_f64 v[103:104], v[103:104], v[105:106], v[103:104]
	v_mul_f64 v[105:106], v[107:108], v[103:104]
	v_fma_f64 v[99:100], -v[99:100], v[105:106], v[107:108]
	v_div_fmas_f64 v[99:100], v[99:100], v[103:104], v[105:106]
	v_div_fixup_f64 v[103:104], v[99:100], v[97:98], 1.0
                                        ; implicit-def: $vgpr97_vgpr98
	v_mul_f64 v[101:102], v[101:102], v[103:104]
	v_xor_b32_e32 v104, 0x80000000, v104
.LBB113_446:
	s_andn2_saveexec_b64 s[2:3], s[2:3]
	s_cbranch_execz .LBB113_448
; %bb.447:
	v_div_scale_f64 v[101:102], s[6:7], v[97:98], v[97:98], v[99:100]
	v_rcp_f64_e32 v[103:104], v[101:102]
	v_fma_f64 v[105:106], -v[101:102], v[103:104], 1.0
	v_fma_f64 v[103:104], v[103:104], v[105:106], v[103:104]
	v_div_scale_f64 v[105:106], vcc, v[99:100], v[97:98], v[99:100]
	v_fma_f64 v[107:108], -v[101:102], v[103:104], 1.0
	v_fma_f64 v[103:104], v[103:104], v[107:108], v[103:104]
	v_mul_f64 v[107:108], v[105:106], v[103:104]
	v_fma_f64 v[101:102], -v[101:102], v[107:108], v[105:106]
	v_div_fmas_f64 v[101:102], v[101:102], v[103:104], v[107:108]
	v_div_fixup_f64 v[103:104], v[101:102], v[97:98], v[99:100]
	v_fma_f64 v[97:98], v[99:100], v[103:104], v[97:98]
	v_div_scale_f64 v[99:100], s[6:7], v[97:98], v[97:98], 1.0
	v_div_scale_f64 v[107:108], vcc, 1.0, v[97:98], 1.0
	v_rcp_f64_e32 v[101:102], v[99:100]
	v_fma_f64 v[105:106], -v[99:100], v[101:102], 1.0
	v_fma_f64 v[101:102], v[101:102], v[105:106], v[101:102]
	v_fma_f64 v[105:106], -v[99:100], v[101:102], 1.0
	v_fma_f64 v[101:102], v[101:102], v[105:106], v[101:102]
	v_mul_f64 v[105:106], v[107:108], v[101:102]
	v_fma_f64 v[99:100], -v[99:100], v[105:106], v[107:108]
	v_div_fmas_f64 v[99:100], v[99:100], v[101:102], v[105:106]
	v_div_fixup_f64 v[101:102], v[99:100], v[97:98], 1.0
	v_mul_f64 v[103:104], v[103:104], -v[101:102]
.LBB113_448:
	s_or_b64 exec, exec, s[2:3]
	ds_write2_b64 v127, v[101:102], v[103:104] offset1:1
.LBB113_449:
	s_or_b64 exec, exec, s[4:5]
	s_waitcnt lgkmcnt(0)
	s_barrier
	ds_read2_b64 v[57:60], v127 offset1:1
	v_cmp_lt_u32_e32 vcc, 49, v0
	s_and_saveexec_b64 s[2:3], vcc
	s_cbranch_execz .LBB113_451
; %bb.450:
	s_waitcnt lgkmcnt(0)
	v_mul_f64 v[97:98], v[57:58], v[27:28]
	v_mul_f64 v[27:28], v[59:60], v[27:28]
	ds_read2_b64 v[99:102], v125 offset0:100 offset1:101
	v_fma_f64 v[97:98], v[59:60], v[25:26], v[97:98]
	v_fma_f64 v[25:26], v[57:58], v[25:26], -v[27:28]
	s_waitcnt lgkmcnt(0)
	v_mul_f64 v[27:28], v[101:102], v[97:98]
	v_fma_f64 v[27:28], v[99:100], v[25:26], -v[27:28]
	v_mul_f64 v[99:100], v[99:100], v[97:98]
	v_add_f64 v[21:22], v[21:22], -v[27:28]
	v_fma_f64 v[99:100], v[101:102], v[25:26], v[99:100]
	v_add_f64 v[23:24], v[23:24], -v[99:100]
	ds_read2_b64 v[99:102], v125 offset0:102 offset1:103
	s_waitcnt lgkmcnt(0)
	v_mul_f64 v[27:28], v[101:102], v[97:98]
	v_fma_f64 v[27:28], v[99:100], v[25:26], -v[27:28]
	v_mul_f64 v[99:100], v[99:100], v[97:98]
	v_add_f64 v[17:18], v[17:18], -v[27:28]
	v_fma_f64 v[99:100], v[101:102], v[25:26], v[99:100]
	v_add_f64 v[19:20], v[19:20], -v[99:100]
	ds_read2_b64 v[99:102], v125 offset0:104 offset1:105
	;; [unrolled: 8-line block ×6, first 2 shown]
	s_waitcnt lgkmcnt(0)
	v_mul_f64 v[27:28], v[101:102], v[97:98]
	v_fma_f64 v[27:28], v[99:100], v[25:26], -v[27:28]
	v_mul_f64 v[99:100], v[99:100], v[97:98]
	v_add_f64 v[121:122], v[121:122], -v[27:28]
	v_fma_f64 v[99:100], v[101:102], v[25:26], v[99:100]
	v_mov_b32_e32 v27, v97
	v_mov_b32_e32 v28, v98
	v_add_f64 v[123:124], v[123:124], -v[99:100]
.LBB113_451:
	s_or_b64 exec, exec, s[2:3]
	v_cmp_eq_u32_e32 vcc, 50, v0
	s_waitcnt lgkmcnt(0)
	s_barrier
	s_and_saveexec_b64 s[4:5], vcc
	s_cbranch_execz .LBB113_458
; %bb.452:
	ds_write2_b64 v127, v[21:22], v[23:24] offset1:1
	ds_write2_b64 v125, v[17:18], v[19:20] offset0:102 offset1:103
	ds_write2_b64 v125, v[13:14], v[15:16] offset0:104 offset1:105
	;; [unrolled: 1-line block ×6, first 2 shown]
	ds_read2_b64 v[97:100], v127 offset1:1
	s_waitcnt lgkmcnt(0)
	v_cmp_neq_f64_e32 vcc, 0, v[97:98]
	v_cmp_neq_f64_e64 s[2:3], 0, v[99:100]
	s_or_b64 s[2:3], vcc, s[2:3]
	s_and_b64 exec, exec, s[2:3]
	s_cbranch_execz .LBB113_458
; %bb.453:
	v_cmp_ngt_f64_e64 s[2:3], |v[97:98]|, |v[99:100]|
                                        ; implicit-def: $vgpr101_vgpr102
	s_and_saveexec_b64 s[6:7], s[2:3]
	s_xor_b64 s[2:3], exec, s[6:7]
                                        ; implicit-def: $vgpr103_vgpr104
	s_cbranch_execz .LBB113_455
; %bb.454:
	v_div_scale_f64 v[101:102], s[6:7], v[99:100], v[99:100], v[97:98]
	v_rcp_f64_e32 v[103:104], v[101:102]
	v_fma_f64 v[105:106], -v[101:102], v[103:104], 1.0
	v_fma_f64 v[103:104], v[103:104], v[105:106], v[103:104]
	v_div_scale_f64 v[105:106], vcc, v[97:98], v[99:100], v[97:98]
	v_fma_f64 v[107:108], -v[101:102], v[103:104], 1.0
	v_fma_f64 v[103:104], v[103:104], v[107:108], v[103:104]
	v_mul_f64 v[107:108], v[105:106], v[103:104]
	v_fma_f64 v[101:102], -v[101:102], v[107:108], v[105:106]
	v_div_fmas_f64 v[101:102], v[101:102], v[103:104], v[107:108]
	v_div_fixup_f64 v[101:102], v[101:102], v[99:100], v[97:98]
	v_fma_f64 v[97:98], v[97:98], v[101:102], v[99:100]
	v_div_scale_f64 v[99:100], s[6:7], v[97:98], v[97:98], 1.0
	v_div_scale_f64 v[107:108], vcc, 1.0, v[97:98], 1.0
	v_rcp_f64_e32 v[103:104], v[99:100]
	v_fma_f64 v[105:106], -v[99:100], v[103:104], 1.0
	v_fma_f64 v[103:104], v[103:104], v[105:106], v[103:104]
	v_fma_f64 v[105:106], -v[99:100], v[103:104], 1.0
	v_fma_f64 v[103:104], v[103:104], v[105:106], v[103:104]
	v_mul_f64 v[105:106], v[107:108], v[103:104]
	v_fma_f64 v[99:100], -v[99:100], v[105:106], v[107:108]
	v_div_fmas_f64 v[99:100], v[99:100], v[103:104], v[105:106]
	v_div_fixup_f64 v[103:104], v[99:100], v[97:98], 1.0
                                        ; implicit-def: $vgpr97_vgpr98
	v_mul_f64 v[101:102], v[101:102], v[103:104]
	v_xor_b32_e32 v104, 0x80000000, v104
.LBB113_455:
	s_andn2_saveexec_b64 s[2:3], s[2:3]
	s_cbranch_execz .LBB113_457
; %bb.456:
	v_div_scale_f64 v[101:102], s[6:7], v[97:98], v[97:98], v[99:100]
	v_rcp_f64_e32 v[103:104], v[101:102]
	v_fma_f64 v[105:106], -v[101:102], v[103:104], 1.0
	v_fma_f64 v[103:104], v[103:104], v[105:106], v[103:104]
	v_div_scale_f64 v[105:106], vcc, v[99:100], v[97:98], v[99:100]
	v_fma_f64 v[107:108], -v[101:102], v[103:104], 1.0
	v_fma_f64 v[103:104], v[103:104], v[107:108], v[103:104]
	v_mul_f64 v[107:108], v[105:106], v[103:104]
	v_fma_f64 v[101:102], -v[101:102], v[107:108], v[105:106]
	v_div_fmas_f64 v[101:102], v[101:102], v[103:104], v[107:108]
	v_div_fixup_f64 v[103:104], v[101:102], v[97:98], v[99:100]
	v_fma_f64 v[97:98], v[99:100], v[103:104], v[97:98]
	v_div_scale_f64 v[99:100], s[6:7], v[97:98], v[97:98], 1.0
	v_div_scale_f64 v[107:108], vcc, 1.0, v[97:98], 1.0
	v_rcp_f64_e32 v[101:102], v[99:100]
	v_fma_f64 v[105:106], -v[99:100], v[101:102], 1.0
	v_fma_f64 v[101:102], v[101:102], v[105:106], v[101:102]
	v_fma_f64 v[105:106], -v[99:100], v[101:102], 1.0
	v_fma_f64 v[101:102], v[101:102], v[105:106], v[101:102]
	v_mul_f64 v[105:106], v[107:108], v[101:102]
	v_fma_f64 v[99:100], -v[99:100], v[105:106], v[107:108]
	v_div_fmas_f64 v[99:100], v[99:100], v[101:102], v[105:106]
	v_div_fixup_f64 v[101:102], v[99:100], v[97:98], 1.0
	v_mul_f64 v[103:104], v[103:104], -v[101:102]
.LBB113_457:
	s_or_b64 exec, exec, s[2:3]
	ds_write2_b64 v127, v[101:102], v[103:104] offset1:1
.LBB113_458:
	s_or_b64 exec, exec, s[4:5]
	s_waitcnt lgkmcnt(0)
	s_barrier
	ds_read2_b64 v[53:56], v127 offset1:1
	v_cmp_lt_u32_e32 vcc, 50, v0
	s_and_saveexec_b64 s[2:3], vcc
	s_cbranch_execz .LBB113_460
; %bb.459:
	s_waitcnt lgkmcnt(0)
	v_mul_f64 v[97:98], v[53:54], v[23:24]
	v_mul_f64 v[23:24], v[55:56], v[23:24]
	ds_read2_b64 v[99:102], v125 offset0:102 offset1:103
	v_fma_f64 v[97:98], v[55:56], v[21:22], v[97:98]
	v_fma_f64 v[21:22], v[53:54], v[21:22], -v[23:24]
	s_waitcnt lgkmcnt(0)
	v_mul_f64 v[23:24], v[101:102], v[97:98]
	v_fma_f64 v[23:24], v[99:100], v[21:22], -v[23:24]
	v_mul_f64 v[99:100], v[99:100], v[97:98]
	v_add_f64 v[17:18], v[17:18], -v[23:24]
	v_fma_f64 v[99:100], v[101:102], v[21:22], v[99:100]
	v_add_f64 v[19:20], v[19:20], -v[99:100]
	ds_read2_b64 v[99:102], v125 offset0:104 offset1:105
	s_waitcnt lgkmcnt(0)
	v_mul_f64 v[23:24], v[101:102], v[97:98]
	v_fma_f64 v[23:24], v[99:100], v[21:22], -v[23:24]
	v_mul_f64 v[99:100], v[99:100], v[97:98]
	v_add_f64 v[13:14], v[13:14], -v[23:24]
	v_fma_f64 v[99:100], v[101:102], v[21:22], v[99:100]
	v_add_f64 v[15:16], v[15:16], -v[99:100]
	ds_read2_b64 v[99:102], v125 offset0:106 offset1:107
	;; [unrolled: 8-line block ×5, first 2 shown]
	s_waitcnt lgkmcnt(0)
	v_mul_f64 v[23:24], v[101:102], v[97:98]
	v_fma_f64 v[23:24], v[99:100], v[21:22], -v[23:24]
	v_mul_f64 v[99:100], v[99:100], v[97:98]
	v_add_f64 v[121:122], v[121:122], -v[23:24]
	v_fma_f64 v[99:100], v[101:102], v[21:22], v[99:100]
	v_mov_b32_e32 v23, v97
	v_mov_b32_e32 v24, v98
	v_add_f64 v[123:124], v[123:124], -v[99:100]
.LBB113_460:
	s_or_b64 exec, exec, s[2:3]
	v_cmp_eq_u32_e32 vcc, 51, v0
	s_waitcnt lgkmcnt(0)
	s_barrier
	s_and_saveexec_b64 s[4:5], vcc
	s_cbranch_execz .LBB113_467
; %bb.461:
	ds_write2_b64 v127, v[17:18], v[19:20] offset1:1
	ds_write2_b64 v125, v[13:14], v[15:16] offset0:104 offset1:105
	ds_write2_b64 v125, v[9:10], v[11:12] offset0:106 offset1:107
	;; [unrolled: 1-line block ×5, first 2 shown]
	ds_read2_b64 v[97:100], v127 offset1:1
	s_waitcnt lgkmcnt(0)
	v_cmp_neq_f64_e32 vcc, 0, v[97:98]
	v_cmp_neq_f64_e64 s[2:3], 0, v[99:100]
	s_or_b64 s[2:3], vcc, s[2:3]
	s_and_b64 exec, exec, s[2:3]
	s_cbranch_execz .LBB113_467
; %bb.462:
	v_cmp_ngt_f64_e64 s[2:3], |v[97:98]|, |v[99:100]|
                                        ; implicit-def: $vgpr101_vgpr102
	s_and_saveexec_b64 s[6:7], s[2:3]
	s_xor_b64 s[2:3], exec, s[6:7]
                                        ; implicit-def: $vgpr103_vgpr104
	s_cbranch_execz .LBB113_464
; %bb.463:
	v_div_scale_f64 v[101:102], s[6:7], v[99:100], v[99:100], v[97:98]
	v_rcp_f64_e32 v[103:104], v[101:102]
	v_fma_f64 v[105:106], -v[101:102], v[103:104], 1.0
	v_fma_f64 v[103:104], v[103:104], v[105:106], v[103:104]
	v_div_scale_f64 v[105:106], vcc, v[97:98], v[99:100], v[97:98]
	v_fma_f64 v[107:108], -v[101:102], v[103:104], 1.0
	v_fma_f64 v[103:104], v[103:104], v[107:108], v[103:104]
	v_mul_f64 v[107:108], v[105:106], v[103:104]
	v_fma_f64 v[101:102], -v[101:102], v[107:108], v[105:106]
	v_div_fmas_f64 v[101:102], v[101:102], v[103:104], v[107:108]
	v_div_fixup_f64 v[101:102], v[101:102], v[99:100], v[97:98]
	v_fma_f64 v[97:98], v[97:98], v[101:102], v[99:100]
	v_div_scale_f64 v[99:100], s[6:7], v[97:98], v[97:98], 1.0
	v_div_scale_f64 v[107:108], vcc, 1.0, v[97:98], 1.0
	v_rcp_f64_e32 v[103:104], v[99:100]
	v_fma_f64 v[105:106], -v[99:100], v[103:104], 1.0
	v_fma_f64 v[103:104], v[103:104], v[105:106], v[103:104]
	v_fma_f64 v[105:106], -v[99:100], v[103:104], 1.0
	v_fma_f64 v[103:104], v[103:104], v[105:106], v[103:104]
	v_mul_f64 v[105:106], v[107:108], v[103:104]
	v_fma_f64 v[99:100], -v[99:100], v[105:106], v[107:108]
	v_div_fmas_f64 v[99:100], v[99:100], v[103:104], v[105:106]
	v_div_fixup_f64 v[103:104], v[99:100], v[97:98], 1.0
                                        ; implicit-def: $vgpr97_vgpr98
	v_mul_f64 v[101:102], v[101:102], v[103:104]
	v_xor_b32_e32 v104, 0x80000000, v104
.LBB113_464:
	s_andn2_saveexec_b64 s[2:3], s[2:3]
	s_cbranch_execz .LBB113_466
; %bb.465:
	v_div_scale_f64 v[101:102], s[6:7], v[97:98], v[97:98], v[99:100]
	v_rcp_f64_e32 v[103:104], v[101:102]
	v_fma_f64 v[105:106], -v[101:102], v[103:104], 1.0
	v_fma_f64 v[103:104], v[103:104], v[105:106], v[103:104]
	v_div_scale_f64 v[105:106], vcc, v[99:100], v[97:98], v[99:100]
	v_fma_f64 v[107:108], -v[101:102], v[103:104], 1.0
	v_fma_f64 v[103:104], v[103:104], v[107:108], v[103:104]
	v_mul_f64 v[107:108], v[105:106], v[103:104]
	v_fma_f64 v[101:102], -v[101:102], v[107:108], v[105:106]
	v_div_fmas_f64 v[101:102], v[101:102], v[103:104], v[107:108]
	v_div_fixup_f64 v[103:104], v[101:102], v[97:98], v[99:100]
	v_fma_f64 v[97:98], v[99:100], v[103:104], v[97:98]
	v_div_scale_f64 v[99:100], s[6:7], v[97:98], v[97:98], 1.0
	v_div_scale_f64 v[107:108], vcc, 1.0, v[97:98], 1.0
	v_rcp_f64_e32 v[101:102], v[99:100]
	v_fma_f64 v[105:106], -v[99:100], v[101:102], 1.0
	v_fma_f64 v[101:102], v[101:102], v[105:106], v[101:102]
	v_fma_f64 v[105:106], -v[99:100], v[101:102], 1.0
	v_fma_f64 v[101:102], v[101:102], v[105:106], v[101:102]
	v_mul_f64 v[105:106], v[107:108], v[101:102]
	v_fma_f64 v[99:100], -v[99:100], v[105:106], v[107:108]
	v_div_fmas_f64 v[99:100], v[99:100], v[101:102], v[105:106]
	v_div_fixup_f64 v[101:102], v[99:100], v[97:98], 1.0
	v_mul_f64 v[103:104], v[103:104], -v[101:102]
.LBB113_466:
	s_or_b64 exec, exec, s[2:3]
	ds_write2_b64 v127, v[101:102], v[103:104] offset1:1
.LBB113_467:
	s_or_b64 exec, exec, s[4:5]
	s_waitcnt lgkmcnt(0)
	s_barrier
	ds_read2_b64 v[49:52], v127 offset1:1
	v_cmp_lt_u32_e32 vcc, 51, v0
	s_and_saveexec_b64 s[2:3], vcc
	s_cbranch_execz .LBB113_469
; %bb.468:
	s_waitcnt lgkmcnt(0)
	v_mul_f64 v[97:98], v[49:50], v[19:20]
	v_mul_f64 v[19:20], v[51:52], v[19:20]
	v_fma_f64 v[101:102], v[51:52], v[17:18], v[97:98]
	ds_read2_b64 v[97:100], v125 offset0:104 offset1:105
	v_fma_f64 v[17:18], v[49:50], v[17:18], -v[19:20]
	s_waitcnt lgkmcnt(0)
	v_mul_f64 v[19:20], v[99:100], v[101:102]
	v_fma_f64 v[19:20], v[97:98], v[17:18], -v[19:20]
	v_mul_f64 v[97:98], v[97:98], v[101:102]
	v_add_f64 v[13:14], v[13:14], -v[19:20]
	v_fma_f64 v[97:98], v[99:100], v[17:18], v[97:98]
	v_add_f64 v[15:16], v[15:16], -v[97:98]
	ds_read2_b64 v[97:100], v125 offset0:106 offset1:107
	s_waitcnt lgkmcnt(0)
	v_mul_f64 v[19:20], v[99:100], v[101:102]
	v_fma_f64 v[19:20], v[97:98], v[17:18], -v[19:20]
	v_mul_f64 v[97:98], v[97:98], v[101:102]
	v_add_f64 v[9:10], v[9:10], -v[19:20]
	v_fma_f64 v[97:98], v[99:100], v[17:18], v[97:98]
	v_add_f64 v[11:12], v[11:12], -v[97:98]
	ds_read2_b64 v[97:100], v125 offset0:108 offset1:109
	;; [unrolled: 8-line block ×4, first 2 shown]
	s_waitcnt lgkmcnt(0)
	v_mul_f64 v[19:20], v[99:100], v[101:102]
	v_fma_f64 v[19:20], v[97:98], v[17:18], -v[19:20]
	v_mul_f64 v[97:98], v[97:98], v[101:102]
	v_add_f64 v[121:122], v[121:122], -v[19:20]
	v_fma_f64 v[97:98], v[99:100], v[17:18], v[97:98]
	v_mov_b32_e32 v19, v101
	v_mov_b32_e32 v20, v102
	v_add_f64 v[123:124], v[123:124], -v[97:98]
.LBB113_469:
	s_or_b64 exec, exec, s[2:3]
	v_cmp_eq_u32_e32 vcc, 52, v0
	s_waitcnt lgkmcnt(0)
	s_barrier
	s_and_saveexec_b64 s[4:5], vcc
	s_cbranch_execz .LBB113_476
; %bb.470:
	ds_write2_b64 v127, v[13:14], v[15:16] offset1:1
	ds_write2_b64 v125, v[9:10], v[11:12] offset0:106 offset1:107
	ds_write2_b64 v125, v[5:6], v[7:8] offset0:108 offset1:109
	;; [unrolled: 1-line block ×4, first 2 shown]
	ds_read2_b64 v[97:100], v127 offset1:1
	s_waitcnt lgkmcnt(0)
	v_cmp_neq_f64_e32 vcc, 0, v[97:98]
	v_cmp_neq_f64_e64 s[2:3], 0, v[99:100]
	s_or_b64 s[2:3], vcc, s[2:3]
	s_and_b64 exec, exec, s[2:3]
	s_cbranch_execz .LBB113_476
; %bb.471:
	v_cmp_ngt_f64_e64 s[2:3], |v[97:98]|, |v[99:100]|
                                        ; implicit-def: $vgpr101_vgpr102
	s_and_saveexec_b64 s[6:7], s[2:3]
	s_xor_b64 s[2:3], exec, s[6:7]
                                        ; implicit-def: $vgpr103_vgpr104
	s_cbranch_execz .LBB113_473
; %bb.472:
	v_div_scale_f64 v[101:102], s[6:7], v[99:100], v[99:100], v[97:98]
	v_rcp_f64_e32 v[103:104], v[101:102]
	v_fma_f64 v[105:106], -v[101:102], v[103:104], 1.0
	v_fma_f64 v[103:104], v[103:104], v[105:106], v[103:104]
	v_div_scale_f64 v[105:106], vcc, v[97:98], v[99:100], v[97:98]
	v_fma_f64 v[107:108], -v[101:102], v[103:104], 1.0
	v_fma_f64 v[103:104], v[103:104], v[107:108], v[103:104]
	v_mul_f64 v[107:108], v[105:106], v[103:104]
	v_fma_f64 v[101:102], -v[101:102], v[107:108], v[105:106]
	v_div_fmas_f64 v[101:102], v[101:102], v[103:104], v[107:108]
	v_div_fixup_f64 v[101:102], v[101:102], v[99:100], v[97:98]
	v_fma_f64 v[97:98], v[97:98], v[101:102], v[99:100]
	v_div_scale_f64 v[99:100], s[6:7], v[97:98], v[97:98], 1.0
	v_div_scale_f64 v[107:108], vcc, 1.0, v[97:98], 1.0
	v_rcp_f64_e32 v[103:104], v[99:100]
	v_fma_f64 v[105:106], -v[99:100], v[103:104], 1.0
	v_fma_f64 v[103:104], v[103:104], v[105:106], v[103:104]
	v_fma_f64 v[105:106], -v[99:100], v[103:104], 1.0
	v_fma_f64 v[103:104], v[103:104], v[105:106], v[103:104]
	v_mul_f64 v[105:106], v[107:108], v[103:104]
	v_fma_f64 v[99:100], -v[99:100], v[105:106], v[107:108]
	v_div_fmas_f64 v[99:100], v[99:100], v[103:104], v[105:106]
	v_div_fixup_f64 v[103:104], v[99:100], v[97:98], 1.0
                                        ; implicit-def: $vgpr97_vgpr98
	v_mul_f64 v[101:102], v[101:102], v[103:104]
	v_xor_b32_e32 v104, 0x80000000, v104
.LBB113_473:
	s_andn2_saveexec_b64 s[2:3], s[2:3]
	s_cbranch_execz .LBB113_475
; %bb.474:
	v_div_scale_f64 v[101:102], s[6:7], v[97:98], v[97:98], v[99:100]
	v_rcp_f64_e32 v[103:104], v[101:102]
	v_fma_f64 v[105:106], -v[101:102], v[103:104], 1.0
	v_fma_f64 v[103:104], v[103:104], v[105:106], v[103:104]
	v_div_scale_f64 v[105:106], vcc, v[99:100], v[97:98], v[99:100]
	v_fma_f64 v[107:108], -v[101:102], v[103:104], 1.0
	v_fma_f64 v[103:104], v[103:104], v[107:108], v[103:104]
	v_mul_f64 v[107:108], v[105:106], v[103:104]
	v_fma_f64 v[101:102], -v[101:102], v[107:108], v[105:106]
	v_div_fmas_f64 v[101:102], v[101:102], v[103:104], v[107:108]
	v_div_fixup_f64 v[103:104], v[101:102], v[97:98], v[99:100]
	v_fma_f64 v[97:98], v[99:100], v[103:104], v[97:98]
	v_div_scale_f64 v[99:100], s[6:7], v[97:98], v[97:98], 1.0
	v_div_scale_f64 v[107:108], vcc, 1.0, v[97:98], 1.0
	v_rcp_f64_e32 v[101:102], v[99:100]
	v_fma_f64 v[105:106], -v[99:100], v[101:102], 1.0
	v_fma_f64 v[101:102], v[101:102], v[105:106], v[101:102]
	v_fma_f64 v[105:106], -v[99:100], v[101:102], 1.0
	v_fma_f64 v[101:102], v[101:102], v[105:106], v[101:102]
	v_mul_f64 v[105:106], v[107:108], v[101:102]
	v_fma_f64 v[99:100], -v[99:100], v[105:106], v[107:108]
	v_div_fmas_f64 v[99:100], v[99:100], v[101:102], v[105:106]
	v_div_fixup_f64 v[101:102], v[99:100], v[97:98], 1.0
	v_mul_f64 v[103:104], v[103:104], -v[101:102]
.LBB113_475:
	s_or_b64 exec, exec, s[2:3]
	ds_write2_b64 v127, v[101:102], v[103:104] offset1:1
.LBB113_476:
	s_or_b64 exec, exec, s[4:5]
	s_waitcnt lgkmcnt(0)
	s_barrier
	ds_read2_b64 v[41:44], v127 offset1:1
	v_cmp_lt_u32_e32 vcc, 52, v0
	s_and_saveexec_b64 s[2:3], vcc
	s_cbranch_execz .LBB113_478
; %bb.477:
	s_waitcnt lgkmcnt(0)
	v_mul_f64 v[97:98], v[41:42], v[15:16]
	v_mul_f64 v[15:16], v[43:44], v[15:16]
	v_fma_f64 v[101:102], v[43:44], v[13:14], v[97:98]
	ds_read2_b64 v[97:100], v125 offset0:106 offset1:107
	v_fma_f64 v[13:14], v[41:42], v[13:14], -v[15:16]
	s_waitcnt lgkmcnt(0)
	v_mul_f64 v[15:16], v[99:100], v[101:102]
	v_fma_f64 v[15:16], v[97:98], v[13:14], -v[15:16]
	v_mul_f64 v[97:98], v[97:98], v[101:102]
	v_add_f64 v[9:10], v[9:10], -v[15:16]
	v_fma_f64 v[97:98], v[99:100], v[13:14], v[97:98]
	v_add_f64 v[11:12], v[11:12], -v[97:98]
	ds_read2_b64 v[97:100], v125 offset0:108 offset1:109
	s_waitcnt lgkmcnt(0)
	v_mul_f64 v[15:16], v[99:100], v[101:102]
	v_fma_f64 v[15:16], v[97:98], v[13:14], -v[15:16]
	v_mul_f64 v[97:98], v[97:98], v[101:102]
	v_add_f64 v[5:6], v[5:6], -v[15:16]
	v_fma_f64 v[97:98], v[99:100], v[13:14], v[97:98]
	v_add_f64 v[7:8], v[7:8], -v[97:98]
	ds_read2_b64 v[97:100], v125 offset0:110 offset1:111
	s_waitcnt lgkmcnt(0)
	v_mul_f64 v[15:16], v[99:100], v[101:102]
	v_fma_f64 v[15:16], v[97:98], v[13:14], -v[15:16]
	v_mul_f64 v[97:98], v[97:98], v[101:102]
	v_add_f64 v[1:2], v[1:2], -v[15:16]
	v_fma_f64 v[97:98], v[99:100], v[13:14], v[97:98]
	v_add_f64 v[3:4], v[3:4], -v[97:98]
	ds_read2_b64 v[97:100], v125 offset0:112 offset1:113
	s_waitcnt lgkmcnt(0)
	v_mul_f64 v[15:16], v[99:100], v[101:102]
	v_fma_f64 v[15:16], v[97:98], v[13:14], -v[15:16]
	v_mul_f64 v[97:98], v[97:98], v[101:102]
	v_add_f64 v[121:122], v[121:122], -v[15:16]
	v_fma_f64 v[97:98], v[99:100], v[13:14], v[97:98]
	v_mov_b32_e32 v15, v101
	v_mov_b32_e32 v16, v102
	v_add_f64 v[123:124], v[123:124], -v[97:98]
.LBB113_478:
	s_or_b64 exec, exec, s[2:3]
	v_cmp_eq_u32_e32 vcc, 53, v0
	s_waitcnt lgkmcnt(0)
	s_barrier
	s_and_saveexec_b64 s[4:5], vcc
	s_cbranch_execz .LBB113_485
; %bb.479:
	ds_write2_b64 v127, v[9:10], v[11:12] offset1:1
	ds_write2_b64 v125, v[5:6], v[7:8] offset0:108 offset1:109
	ds_write2_b64 v125, v[1:2], v[3:4] offset0:110 offset1:111
	;; [unrolled: 1-line block ×3, first 2 shown]
	ds_read2_b64 v[97:100], v127 offset1:1
	s_waitcnt lgkmcnt(0)
	v_cmp_neq_f64_e32 vcc, 0, v[97:98]
	v_cmp_neq_f64_e64 s[2:3], 0, v[99:100]
	s_or_b64 s[2:3], vcc, s[2:3]
	s_and_b64 exec, exec, s[2:3]
	s_cbranch_execz .LBB113_485
; %bb.480:
	v_cmp_ngt_f64_e64 s[2:3], |v[97:98]|, |v[99:100]|
                                        ; implicit-def: $vgpr101_vgpr102
	s_and_saveexec_b64 s[6:7], s[2:3]
	s_xor_b64 s[2:3], exec, s[6:7]
                                        ; implicit-def: $vgpr103_vgpr104
	s_cbranch_execz .LBB113_482
; %bb.481:
	v_div_scale_f64 v[101:102], s[6:7], v[99:100], v[99:100], v[97:98]
	v_rcp_f64_e32 v[103:104], v[101:102]
	v_fma_f64 v[105:106], -v[101:102], v[103:104], 1.0
	v_fma_f64 v[103:104], v[103:104], v[105:106], v[103:104]
	v_div_scale_f64 v[105:106], vcc, v[97:98], v[99:100], v[97:98]
	v_fma_f64 v[107:108], -v[101:102], v[103:104], 1.0
	v_fma_f64 v[103:104], v[103:104], v[107:108], v[103:104]
	v_mul_f64 v[107:108], v[105:106], v[103:104]
	v_fma_f64 v[101:102], -v[101:102], v[107:108], v[105:106]
	v_div_fmas_f64 v[101:102], v[101:102], v[103:104], v[107:108]
	v_div_fixup_f64 v[101:102], v[101:102], v[99:100], v[97:98]
	v_fma_f64 v[97:98], v[97:98], v[101:102], v[99:100]
	v_div_scale_f64 v[99:100], s[6:7], v[97:98], v[97:98], 1.0
	v_div_scale_f64 v[107:108], vcc, 1.0, v[97:98], 1.0
	v_rcp_f64_e32 v[103:104], v[99:100]
	v_fma_f64 v[105:106], -v[99:100], v[103:104], 1.0
	v_fma_f64 v[103:104], v[103:104], v[105:106], v[103:104]
	v_fma_f64 v[105:106], -v[99:100], v[103:104], 1.0
	v_fma_f64 v[103:104], v[103:104], v[105:106], v[103:104]
	v_mul_f64 v[105:106], v[107:108], v[103:104]
	v_fma_f64 v[99:100], -v[99:100], v[105:106], v[107:108]
	v_div_fmas_f64 v[99:100], v[99:100], v[103:104], v[105:106]
	v_div_fixup_f64 v[103:104], v[99:100], v[97:98], 1.0
                                        ; implicit-def: $vgpr97_vgpr98
	v_mul_f64 v[101:102], v[101:102], v[103:104]
	v_xor_b32_e32 v104, 0x80000000, v104
.LBB113_482:
	s_andn2_saveexec_b64 s[2:3], s[2:3]
	s_cbranch_execz .LBB113_484
; %bb.483:
	v_div_scale_f64 v[101:102], s[6:7], v[97:98], v[97:98], v[99:100]
	v_rcp_f64_e32 v[103:104], v[101:102]
	v_fma_f64 v[105:106], -v[101:102], v[103:104], 1.0
	v_fma_f64 v[103:104], v[103:104], v[105:106], v[103:104]
	v_div_scale_f64 v[105:106], vcc, v[99:100], v[97:98], v[99:100]
	v_fma_f64 v[107:108], -v[101:102], v[103:104], 1.0
	v_fma_f64 v[103:104], v[103:104], v[107:108], v[103:104]
	v_mul_f64 v[107:108], v[105:106], v[103:104]
	v_fma_f64 v[101:102], -v[101:102], v[107:108], v[105:106]
	v_div_fmas_f64 v[101:102], v[101:102], v[103:104], v[107:108]
	v_div_fixup_f64 v[103:104], v[101:102], v[97:98], v[99:100]
	v_fma_f64 v[97:98], v[99:100], v[103:104], v[97:98]
	v_div_scale_f64 v[99:100], s[6:7], v[97:98], v[97:98], 1.0
	v_div_scale_f64 v[107:108], vcc, 1.0, v[97:98], 1.0
	v_rcp_f64_e32 v[101:102], v[99:100]
	v_fma_f64 v[105:106], -v[99:100], v[101:102], 1.0
	v_fma_f64 v[101:102], v[101:102], v[105:106], v[101:102]
	v_fma_f64 v[105:106], -v[99:100], v[101:102], 1.0
	v_fma_f64 v[101:102], v[101:102], v[105:106], v[101:102]
	v_mul_f64 v[105:106], v[107:108], v[101:102]
	v_fma_f64 v[99:100], -v[99:100], v[105:106], v[107:108]
	v_div_fmas_f64 v[99:100], v[99:100], v[101:102], v[105:106]
	v_div_fixup_f64 v[101:102], v[99:100], v[97:98], 1.0
	v_mul_f64 v[103:104], v[103:104], -v[101:102]
.LBB113_484:
	s_or_b64 exec, exec, s[2:3]
	ds_write2_b64 v127, v[101:102], v[103:104] offset1:1
.LBB113_485:
	s_or_b64 exec, exec, s[4:5]
	s_waitcnt lgkmcnt(0)
	s_barrier
	ds_read2_b64 v[109:112], v127 offset1:1
	v_cmp_lt_u32_e32 vcc, 53, v0
	s_and_saveexec_b64 s[2:3], vcc
	s_cbranch_execz .LBB113_487
; %bb.486:
	s_waitcnt lgkmcnt(0)
	v_mul_f64 v[97:98], v[109:110], v[11:12]
	v_mul_f64 v[11:12], v[111:112], v[11:12]
	v_fma_f64 v[101:102], v[111:112], v[9:10], v[97:98]
	ds_read2_b64 v[97:100], v125 offset0:108 offset1:109
	v_fma_f64 v[9:10], v[109:110], v[9:10], -v[11:12]
	s_waitcnt lgkmcnt(0)
	v_mul_f64 v[11:12], v[99:100], v[101:102]
	v_fma_f64 v[11:12], v[97:98], v[9:10], -v[11:12]
	v_mul_f64 v[97:98], v[97:98], v[101:102]
	v_add_f64 v[5:6], v[5:6], -v[11:12]
	v_fma_f64 v[97:98], v[99:100], v[9:10], v[97:98]
	v_add_f64 v[7:8], v[7:8], -v[97:98]
	ds_read2_b64 v[97:100], v125 offset0:110 offset1:111
	s_waitcnt lgkmcnt(0)
	v_mul_f64 v[11:12], v[99:100], v[101:102]
	v_fma_f64 v[11:12], v[97:98], v[9:10], -v[11:12]
	v_mul_f64 v[97:98], v[97:98], v[101:102]
	v_add_f64 v[1:2], v[1:2], -v[11:12]
	v_fma_f64 v[97:98], v[99:100], v[9:10], v[97:98]
	v_add_f64 v[3:4], v[3:4], -v[97:98]
	ds_read2_b64 v[97:100], v125 offset0:112 offset1:113
	s_waitcnt lgkmcnt(0)
	v_mul_f64 v[11:12], v[99:100], v[101:102]
	v_fma_f64 v[11:12], v[97:98], v[9:10], -v[11:12]
	v_mul_f64 v[97:98], v[97:98], v[101:102]
	v_add_f64 v[121:122], v[121:122], -v[11:12]
	v_fma_f64 v[97:98], v[99:100], v[9:10], v[97:98]
	v_mov_b32_e32 v11, v101
	v_mov_b32_e32 v12, v102
	v_add_f64 v[123:124], v[123:124], -v[97:98]
.LBB113_487:
	s_or_b64 exec, exec, s[2:3]
	v_cmp_eq_u32_e32 vcc, 54, v0
	s_waitcnt lgkmcnt(0)
	s_barrier
	s_and_saveexec_b64 s[4:5], vcc
	s_cbranch_execz .LBB113_494
; %bb.488:
	ds_write2_b64 v127, v[5:6], v[7:8] offset1:1
	ds_write2_b64 v125, v[1:2], v[3:4] offset0:110 offset1:111
	ds_write2_b64 v125, v[121:122], v[123:124] offset0:112 offset1:113
	ds_read2_b64 v[97:100], v127 offset1:1
	s_waitcnt lgkmcnt(0)
	v_cmp_neq_f64_e32 vcc, 0, v[97:98]
	v_cmp_neq_f64_e64 s[2:3], 0, v[99:100]
	s_or_b64 s[2:3], vcc, s[2:3]
	s_and_b64 exec, exec, s[2:3]
	s_cbranch_execz .LBB113_494
; %bb.489:
	v_cmp_ngt_f64_e64 s[2:3], |v[97:98]|, |v[99:100]|
                                        ; implicit-def: $vgpr101_vgpr102
	s_and_saveexec_b64 s[6:7], s[2:3]
	s_xor_b64 s[2:3], exec, s[6:7]
                                        ; implicit-def: $vgpr103_vgpr104
	s_cbranch_execz .LBB113_491
; %bb.490:
	v_div_scale_f64 v[101:102], s[6:7], v[99:100], v[99:100], v[97:98]
	v_rcp_f64_e32 v[103:104], v[101:102]
	v_fma_f64 v[105:106], -v[101:102], v[103:104], 1.0
	v_fma_f64 v[103:104], v[103:104], v[105:106], v[103:104]
	v_div_scale_f64 v[105:106], vcc, v[97:98], v[99:100], v[97:98]
	v_fma_f64 v[107:108], -v[101:102], v[103:104], 1.0
	v_fma_f64 v[103:104], v[103:104], v[107:108], v[103:104]
	v_mul_f64 v[107:108], v[105:106], v[103:104]
	v_fma_f64 v[101:102], -v[101:102], v[107:108], v[105:106]
	v_div_fmas_f64 v[101:102], v[101:102], v[103:104], v[107:108]
	v_div_fixup_f64 v[101:102], v[101:102], v[99:100], v[97:98]
	v_fma_f64 v[97:98], v[97:98], v[101:102], v[99:100]
	v_div_scale_f64 v[99:100], s[6:7], v[97:98], v[97:98], 1.0
	v_div_scale_f64 v[107:108], vcc, 1.0, v[97:98], 1.0
	v_rcp_f64_e32 v[103:104], v[99:100]
	v_fma_f64 v[105:106], -v[99:100], v[103:104], 1.0
	v_fma_f64 v[103:104], v[103:104], v[105:106], v[103:104]
	v_fma_f64 v[105:106], -v[99:100], v[103:104], 1.0
	v_fma_f64 v[103:104], v[103:104], v[105:106], v[103:104]
	v_mul_f64 v[105:106], v[107:108], v[103:104]
	v_fma_f64 v[99:100], -v[99:100], v[105:106], v[107:108]
	v_div_fmas_f64 v[99:100], v[99:100], v[103:104], v[105:106]
	v_div_fixup_f64 v[103:104], v[99:100], v[97:98], 1.0
                                        ; implicit-def: $vgpr97_vgpr98
	v_mul_f64 v[101:102], v[101:102], v[103:104]
	v_xor_b32_e32 v104, 0x80000000, v104
.LBB113_491:
	s_andn2_saveexec_b64 s[2:3], s[2:3]
	s_cbranch_execz .LBB113_493
; %bb.492:
	v_div_scale_f64 v[101:102], s[6:7], v[97:98], v[97:98], v[99:100]
	v_rcp_f64_e32 v[103:104], v[101:102]
	v_fma_f64 v[105:106], -v[101:102], v[103:104], 1.0
	v_fma_f64 v[103:104], v[103:104], v[105:106], v[103:104]
	v_div_scale_f64 v[105:106], vcc, v[99:100], v[97:98], v[99:100]
	v_fma_f64 v[107:108], -v[101:102], v[103:104], 1.0
	v_fma_f64 v[103:104], v[103:104], v[107:108], v[103:104]
	v_mul_f64 v[107:108], v[105:106], v[103:104]
	v_fma_f64 v[101:102], -v[101:102], v[107:108], v[105:106]
	v_div_fmas_f64 v[101:102], v[101:102], v[103:104], v[107:108]
	v_div_fixup_f64 v[103:104], v[101:102], v[97:98], v[99:100]
	v_fma_f64 v[97:98], v[99:100], v[103:104], v[97:98]
	v_div_scale_f64 v[99:100], s[6:7], v[97:98], v[97:98], 1.0
	v_div_scale_f64 v[107:108], vcc, 1.0, v[97:98], 1.0
	v_rcp_f64_e32 v[101:102], v[99:100]
	v_fma_f64 v[105:106], -v[99:100], v[101:102], 1.0
	v_fma_f64 v[101:102], v[101:102], v[105:106], v[101:102]
	v_fma_f64 v[105:106], -v[99:100], v[101:102], 1.0
	v_fma_f64 v[101:102], v[101:102], v[105:106], v[101:102]
	v_mul_f64 v[105:106], v[107:108], v[101:102]
	v_fma_f64 v[99:100], -v[99:100], v[105:106], v[107:108]
	v_div_fmas_f64 v[99:100], v[99:100], v[101:102], v[105:106]
	v_div_fixup_f64 v[101:102], v[99:100], v[97:98], 1.0
	v_mul_f64 v[103:104], v[103:104], -v[101:102]
.LBB113_493:
	s_or_b64 exec, exec, s[2:3]
	ds_write2_b64 v127, v[101:102], v[103:104] offset1:1
.LBB113_494:
	s_or_b64 exec, exec, s[4:5]
	s_waitcnt lgkmcnt(0)
	s_barrier
	ds_read2_b64 v[101:104], v127 offset1:1
	v_cmp_lt_u32_e32 vcc, 54, v0
	s_and_saveexec_b64 s[2:3], vcc
	s_cbranch_execz .LBB113_496
; %bb.495:
	s_waitcnt lgkmcnt(0)
	v_mul_f64 v[97:98], v[101:102], v[7:8]
	v_mul_f64 v[7:8], v[103:104], v[7:8]
	v_fma_f64 v[105:106], v[103:104], v[5:6], v[97:98]
	ds_read2_b64 v[97:100], v125 offset0:110 offset1:111
	v_fma_f64 v[5:6], v[101:102], v[5:6], -v[7:8]
	s_waitcnt lgkmcnt(0)
	v_mul_f64 v[7:8], v[99:100], v[105:106]
	v_fma_f64 v[7:8], v[97:98], v[5:6], -v[7:8]
	v_mul_f64 v[97:98], v[97:98], v[105:106]
	v_add_f64 v[1:2], v[1:2], -v[7:8]
	v_fma_f64 v[97:98], v[99:100], v[5:6], v[97:98]
	v_add_f64 v[3:4], v[3:4], -v[97:98]
	ds_read2_b64 v[97:100], v125 offset0:112 offset1:113
	s_waitcnt lgkmcnt(0)
	v_mul_f64 v[7:8], v[99:100], v[105:106]
	v_fma_f64 v[7:8], v[97:98], v[5:6], -v[7:8]
	v_mul_f64 v[97:98], v[97:98], v[105:106]
	v_add_f64 v[121:122], v[121:122], -v[7:8]
	v_fma_f64 v[97:98], v[99:100], v[5:6], v[97:98]
	v_mov_b32_e32 v7, v105
	v_mov_b32_e32 v8, v106
	v_add_f64 v[123:124], v[123:124], -v[97:98]
.LBB113_496:
	s_or_b64 exec, exec, s[2:3]
	s_waitcnt lgkmcnt(0)
	s_barrier
	v_cmp_eq_u32_e32 vcc, 55, v0
	s_mov_b64 s[4:5], exec
	s_and_b64 s[2:3], s[4:5], vcc
	buffer_store_dword v91, off, s[20:23], 0 offset:1128 ; 4-byte Folded Spill
	s_nop 0
	buffer_store_dword v92, off, s[20:23], 0 offset:1132 ; 4-byte Folded Spill
	buffer_store_dword v93, off, s[20:23], 0 offset:1136 ; 4-byte Folded Spill
	;; [unrolled: 1-line block ×3, first 2 shown]
	s_mov_b64 exec, s[2:3]
	s_cbranch_execz .LBB113_503
; %bb.497:
	ds_write2_b64 v127, v[1:2], v[3:4] offset1:1
	ds_write2_b64 v125, v[121:122], v[123:124] offset0:112 offset1:113
	ds_read2_b64 v[97:100], v127 offset1:1
	s_waitcnt lgkmcnt(0)
	v_cmp_neq_f64_e32 vcc, 0, v[97:98]
	v_cmp_neq_f64_e64 s[2:3], 0, v[99:100]
	s_or_b64 s[2:3], vcc, s[2:3]
	s_and_b64 exec, exec, s[2:3]
	s_cbranch_execz .LBB113_503
; %bb.498:
	v_cmp_ngt_f64_e64 s[2:3], |v[97:98]|, |v[99:100]|
                                        ; implicit-def: $vgpr105_vgpr106
	s_and_saveexec_b64 s[6:7], s[2:3]
	s_xor_b64 s[2:3], exec, s[6:7]
                                        ; implicit-def: $vgpr107_vgpr108
	s_cbranch_execz .LBB113_500
; %bb.499:
	v_div_scale_f64 v[105:106], s[6:7], v[99:100], v[99:100], v[97:98]
	v_div_scale_f64 v[95:96], vcc, v[97:98], v[99:100], v[97:98]
	v_rcp_f64_e32 v[107:108], v[105:106]
	v_fma_f64 v[93:94], -v[105:106], v[107:108], 1.0
	v_fma_f64 v[93:94], v[107:108], v[93:94], v[107:108]
	v_fma_f64 v[107:108], -v[105:106], v[93:94], 1.0
	v_fma_f64 v[93:94], v[93:94], v[107:108], v[93:94]
	v_mul_f64 v[107:108], v[95:96], v[93:94]
	v_fma_f64 v[95:96], -v[105:106], v[107:108], v[95:96]
	v_div_fmas_f64 v[93:94], v[95:96], v[93:94], v[107:108]
	v_div_fixup_f64 v[93:94], v[93:94], v[99:100], v[97:98]
	v_fma_f64 v[95:96], v[97:98], v[93:94], v[99:100]
	v_div_scale_f64 v[97:98], s[6:7], v[95:96], v[95:96], 1.0
	v_div_scale_f64 v[107:108], vcc, 1.0, v[95:96], 1.0
	v_rcp_f64_e32 v[99:100], v[97:98]
	v_fma_f64 v[105:106], -v[97:98], v[99:100], 1.0
	v_fma_f64 v[99:100], v[99:100], v[105:106], v[99:100]
	v_fma_f64 v[105:106], -v[97:98], v[99:100], 1.0
	v_fma_f64 v[99:100], v[99:100], v[105:106], v[99:100]
	v_mul_f64 v[105:106], v[107:108], v[99:100]
	v_fma_f64 v[97:98], -v[97:98], v[105:106], v[107:108]
	v_div_fmas_f64 v[97:98], v[97:98], v[99:100], v[105:106]
	v_div_fixup_f64 v[107:108], v[97:98], v[95:96], 1.0
                                        ; implicit-def: $vgpr97_vgpr98
	v_mul_f64 v[105:106], v[93:94], v[107:108]
	v_xor_b32_e32 v108, 0x80000000, v108
.LBB113_500:
	s_andn2_saveexec_b64 s[2:3], s[2:3]
	s_cbranch_execz .LBB113_502
; %bb.501:
	v_div_scale_f64 v[93:94], s[6:7], v[97:98], v[97:98], v[99:100]
	v_rcp_f64_e32 v[95:96], v[93:94]
	v_fma_f64 v[105:106], -v[93:94], v[95:96], 1.0
	v_fma_f64 v[95:96], v[95:96], v[105:106], v[95:96]
	v_div_scale_f64 v[105:106], vcc, v[99:100], v[97:98], v[99:100]
	v_fma_f64 v[107:108], -v[93:94], v[95:96], 1.0
	v_fma_f64 v[95:96], v[95:96], v[107:108], v[95:96]
	v_mul_f64 v[107:108], v[105:106], v[95:96]
	v_fma_f64 v[93:94], -v[93:94], v[107:108], v[105:106]
	v_div_fmas_f64 v[93:94], v[93:94], v[95:96], v[107:108]
	v_div_fixup_f64 v[93:94], v[93:94], v[97:98], v[99:100]
	v_fma_f64 v[95:96], v[99:100], v[93:94], v[97:98]
	v_div_scale_f64 v[97:98], s[6:7], v[95:96], v[95:96], 1.0
	v_div_scale_f64 v[107:108], vcc, 1.0, v[95:96], 1.0
	v_rcp_f64_e32 v[99:100], v[97:98]
	v_fma_f64 v[105:106], -v[97:98], v[99:100], 1.0
	v_fma_f64 v[99:100], v[99:100], v[105:106], v[99:100]
	v_fma_f64 v[105:106], -v[97:98], v[99:100], 1.0
	v_fma_f64 v[99:100], v[99:100], v[105:106], v[99:100]
	v_mul_f64 v[105:106], v[107:108], v[99:100]
	v_fma_f64 v[97:98], -v[97:98], v[105:106], v[107:108]
	v_div_fmas_f64 v[97:98], v[97:98], v[99:100], v[105:106]
	v_div_fixup_f64 v[105:106], v[97:98], v[95:96], 1.0
	v_mul_f64 v[107:108], v[93:94], -v[105:106]
.LBB113_502:
	s_or_b64 exec, exec, s[2:3]
	ds_write2_b64 v127, v[105:106], v[107:108] offset1:1
.LBB113_503:
	s_or_b64 exec, exec, s[4:5]
	s_waitcnt vmcnt(0) lgkmcnt(0)
	s_barrier
	ds_read2_b64 v[97:100], v127 offset1:1
	v_cmp_lt_u32_e32 vcc, 55, v0
	s_and_saveexec_b64 s[2:3], vcc
	s_cbranch_execz .LBB113_505
; %bb.504:
	s_waitcnt lgkmcnt(0)
	v_mul_f64 v[93:94], v[97:98], v[3:4]
	v_mul_f64 v[3:4], v[99:100], v[3:4]
	ds_read2_b64 v[105:108], v125 offset0:112 offset1:113
	v_fma_f64 v[93:94], v[99:100], v[1:2], v[93:94]
	v_fma_f64 v[1:2], v[97:98], v[1:2], -v[3:4]
	s_waitcnt lgkmcnt(0)
	v_mul_f64 v[3:4], v[107:108], v[93:94]
	v_mul_f64 v[95:96], v[105:106], v[93:94]
	v_fma_f64 v[3:4], v[105:106], v[1:2], -v[3:4]
	v_fma_f64 v[95:96], v[107:108], v[1:2], v[95:96]
	v_add_f64 v[121:122], v[121:122], -v[3:4]
	v_add_f64 v[123:124], v[123:124], -v[95:96]
	v_mov_b32_e32 v3, v93
	v_mov_b32_e32 v4, v94
.LBB113_505:
	s_or_b64 exec, exec, s[2:3]
	v_cmp_eq_u32_e32 vcc, 56, v0
	s_waitcnt lgkmcnt(0)
	s_barrier
	s_and_saveexec_b64 s[4:5], vcc
	s_cbranch_execz .LBB113_512
; %bb.506:
	v_cmp_neq_f64_e32 vcc, 0, v[121:122]
	v_cmp_neq_f64_e64 s[2:3], 0, v[123:124]
	ds_write2_b64 v127, v[121:122], v[123:124] offset1:1
	s_or_b64 s[2:3], vcc, s[2:3]
	s_and_b64 exec, exec, s[2:3]
	s_cbranch_execz .LBB113_512
; %bb.507:
	v_cmp_ngt_f64_e64 s[2:3], |v[121:122]|, |v[123:124]|
                                        ; implicit-def: $vgpr105_vgpr106
	s_and_saveexec_b64 s[6:7], s[2:3]
	s_xor_b64 s[2:3], exec, s[6:7]
                                        ; implicit-def: $vgpr107_vgpr108
	s_cbranch_execz .LBB113_509
; %bb.508:
	v_div_scale_f64 v[93:94], s[6:7], v[123:124], v[123:124], v[121:122]
	v_mov_b32_e32 v92, v88
	v_mov_b32_e32 v91, v87
	;; [unrolled: 1-line block ×14, first 2 shown]
	v_rcp_f64_e32 v[95:96], v[93:94]
	v_mov_b32_e32 v50, v54
	v_mov_b32_e32 v51, v55
	v_mov_b32_e32 v56, v52
	v_mov_b32_e32 v55, v51
	v_mov_b32_e32 v54, v50
	v_mov_b32_e32 v53, v49
	v_mov_b32_e32 v52, v48
	v_mov_b32_e32 v51, v47
	v_mov_b32_e32 v50, v46
	v_mov_b32_e32 v49, v45
	v_fma_f64 v[105:106], -v[93:94], v[95:96], 1.0
	v_fma_f64 v[95:96], v[95:96], v[105:106], v[95:96]
	v_div_scale_f64 v[105:106], vcc, v[121:122], v[123:124], v[121:122]
	v_fma_f64 v[107:108], -v[93:94], v[95:96], 1.0
	v_fma_f64 v[95:96], v[95:96], v[107:108], v[95:96]
	v_mul_f64 v[107:108], v[105:106], v[95:96]
	v_fma_f64 v[93:94], -v[93:94], v[107:108], v[105:106]
	v_div_fmas_f64 v[93:94], v[93:94], v[95:96], v[107:108]
	v_div_fixup_f64 v[93:94], v[93:94], v[123:124], v[121:122]
	v_fma_f64 v[95:96], v[121:122], v[93:94], v[123:124]
	v_div_scale_f64 v[105:106], s[6:7], v[95:96], v[95:96], 1.0
	v_div_scale_f64 v[117:118], vcc, 1.0, v[95:96], 1.0
	v_rcp_f64_e32 v[107:108], v[105:106]
	v_fma_f64 v[125:126], -v[105:106], v[107:108], 1.0
	v_fma_f64 v[107:108], v[107:108], v[125:126], v[107:108]
	v_fma_f64 v[125:126], -v[105:106], v[107:108], 1.0
	v_fma_f64 v[107:108], v[107:108], v[125:126], v[107:108]
	v_mul_f64 v[119:120], v[117:118], v[107:108]
	v_fma_f64 v[105:106], -v[105:106], v[119:120], v[117:118]
	v_div_fmas_f64 v[105:106], v[105:106], v[107:108], v[119:120]
	v_mov_b32_e32 v120, v88
	v_mov_b32_e32 v119, v87
	;; [unrolled: 1-line block ×8, first 2 shown]
	v_div_fixup_f64 v[107:108], v[105:106], v[95:96], 1.0
	v_mul_f64 v[105:106], v[93:94], v[107:108]
	v_xor_b32_e32 v108, 0x80000000, v108
.LBB113_509:
	s_andn2_saveexec_b64 s[2:3], s[2:3]
	s_cbranch_execz .LBB113_511
; %bb.510:
	v_div_scale_f64 v[93:94], s[6:7], v[121:122], v[121:122], v[123:124]
	v_mov_b32_e32 v92, v88
	v_mov_b32_e32 v91, v87
	;; [unrolled: 1-line block ×14, first 2 shown]
	v_rcp_f64_e32 v[95:96], v[93:94]
	v_mov_b32_e32 v83, v79
	v_mov_b32_e32 v82, v78
	v_mov_b32_e32 v81, v77
	v_mov_b32_e32 v80, v72
	v_mov_b32_e32 v52, v56
	v_mov_b32_e32 v77, v69
	v_mov_b32_e32 v50, v54
	v_mov_b32_e32 v51, v55
	v_mov_b32_e32 v79, v71
	v_mov_b32_e32 v78, v70
	v_mov_b32_e32 v69, v77
	v_mov_b32_e32 v56, v52
	v_mov_b32_e32 v70, v78
	v_mov_b32_e32 v71, v79
	v_mov_b32_e32 v72, v80
	v_fma_f64 v[105:106], -v[93:94], v[95:96], 1.0
	v_mov_b32_e32 v77, v81
	v_mov_b32_e32 v55, v51
	;; [unrolled: 1-line block ×7, first 2 shown]
	v_fma_f64 v[95:96], v[95:96], v[105:106], v[95:96]
	v_div_scale_f64 v[105:106], vcc, v[123:124], v[121:122], v[123:124]
	v_mov_b32_e32 v80, v84
	v_mov_b32_e32 v51, v47
	v_mov_b32_e32 v50, v46
	v_mov_b32_e32 v49, v45
	v_fma_f64 v[107:108], -v[93:94], v[95:96], 1.0
	v_fma_f64 v[95:96], v[95:96], v[107:108], v[95:96]
	v_mul_f64 v[107:108], v[105:106], v[95:96]
	v_fma_f64 v[93:94], -v[93:94], v[107:108], v[105:106]
	v_div_fmas_f64 v[93:94], v[93:94], v[95:96], v[107:108]
	v_div_fixup_f64 v[93:94], v[93:94], v[121:122], v[123:124]
	v_fma_f64 v[95:96], v[123:124], v[93:94], v[121:122]
	v_div_scale_f64 v[105:106], s[6:7], v[95:96], v[95:96], 1.0
	v_div_scale_f64 v[119:120], vcc, 1.0, v[95:96], 1.0
	v_rcp_f64_e32 v[107:108], v[105:106]
	v_fma_f64 v[117:118], -v[105:106], v[107:108], 1.0
	v_fma_f64 v[107:108], v[107:108], v[117:118], v[107:108]
	v_fma_f64 v[117:118], -v[105:106], v[107:108], 1.0
	v_fma_f64 v[107:108], v[107:108], v[117:118], v[107:108]
	v_mul_f64 v[117:118], v[119:120], v[107:108]
	v_fma_f64 v[105:106], -v[105:106], v[117:118], v[119:120]
	v_div_fmas_f64 v[105:106], v[105:106], v[107:108], v[117:118]
	v_mov_b32_e32 v120, v88
	v_mov_b32_e32 v119, v87
	;; [unrolled: 1-line block ×8, first 2 shown]
	v_div_fixup_f64 v[105:106], v[105:106], v[95:96], 1.0
	v_mul_f64 v[107:108], v[93:94], -v[105:106]
.LBB113_511:
	s_or_b64 exec, exec, s[2:3]
	ds_write2_b64 v127, v[105:106], v[107:108] offset1:1
.LBB113_512:
	s_or_b64 exec, exec, s[4:5]
	s_waitcnt lgkmcnt(0)
	s_barrier
	ds_read2_b64 v[105:108], v127 offset1:1
	s_waitcnt lgkmcnt(0)
	s_barrier
	s_and_saveexec_b64 s[2:3], s[0:1]
	s_cbranch_execz .LBB113_515
; %bb.513:
	buffer_load_dword v91, off, s[20:23], 0 offset:1160 ; 4-byte Folded Reload
	buffer_load_dword v92, off, s[20:23], 0 offset:1164 ; 4-byte Folded Reload
	buffer_load_dword v93, off, s[20:23], 0 offset:1168 ; 4-byte Folded Reload
	buffer_load_dword v94, off, s[20:23], 0 offset:1172 ; 4-byte Folded Reload
	v_mov_b32_e32 v45, v73
	buffer_load_dword v81, off, s[20:23], 0 offset:1800 ; 4-byte Folded Reload
	buffer_load_dword v82, off, s[20:23], 0 offset:1804 ; 4-byte Folded Reload
	;; [unrolled: 1-line block ×4, first 2 shown]
	s_nop 0
	buffer_store_dword v69, off, s[20:23], 0 offset:1872 ; 4-byte Folded Spill
	s_nop 0
	buffer_store_dword v70, off, s[20:23], 0 offset:1876 ; 4-byte Folded Spill
	buffer_store_dword v71, off, s[20:23], 0 offset:1880 ; 4-byte Folded Spill
	;; [unrolled: 1-line block ×3, first 2 shown]
	v_mov_b32_e32 v46, v74
	v_mov_b32_e32 v47, v75
	;; [unrolled: 1-line block ×4, first 2 shown]
	buffer_load_dword v69, off, s[20:23], 0 offset:1784 ; 4-byte Folded Reload
	buffer_load_dword v70, off, s[20:23], 0 offset:1788 ; 4-byte Folded Reload
	buffer_load_dword v71, off, s[20:23], 0 offset:1792 ; 4-byte Folded Reload
	buffer_load_dword v72, off, s[20:23], 0 offset:1796 ; 4-byte Folded Reload
	v_mov_b32_e32 v74, v114
	v_mov_b32_e32 v75, v115
	;; [unrolled: 1-line block ×3, first 2 shown]
	buffer_load_dword v113, off, s[20:23], 0 offset:1752 ; 4-byte Folded Reload
	buffer_load_dword v114, off, s[20:23], 0 offset:1756 ; 4-byte Folded Reload
	;; [unrolled: 1-line block ×8, first 2 shown]
	s_nop 0
	buffer_store_dword v77, off, s[20:23], 0 offset:1160 ; 4-byte Folded Spill
	s_nop 0
	buffer_store_dword v78, off, s[20:23], 0 offset:1164 ; 4-byte Folded Spill
	buffer_store_dword v79, off, s[20:23], 0 offset:1168 ; 4-byte Folded Spill
	;; [unrolled: 1-line block ×3, first 2 shown]
	v_mov_b32_e32 v77, v85
	v_mov_b32_e32 v78, v86
	;; [unrolled: 1-line block ×4, first 2 shown]
	buffer_load_dword v87, off, s[20:23], 0 offset:1176 ; 4-byte Folded Reload
	buffer_load_dword v88, off, s[20:23], 0 offset:1180 ; 4-byte Folded Reload
	;; [unrolled: 1-line block ×4, first 2 shown]
	s_waitcnt vmcnt(30)
	v_cmp_eq_f64_e32 vcc, 0, v[91:92]
	s_waitcnt vmcnt(28)
	v_cmp_eq_f64_e64 s[0:1], 0, v[93:94]
	s_and_b64 s[4:5], vcc, s[0:1]
	v_cndmask_b32_e64 v93, 0, 1, s[4:5]
	s_waitcnt vmcnt(2)
	v_cmp_neq_f64_e32 vcc, 0, v[87:88]
	s_waitcnt vmcnt(0)
	v_cmp_neq_f64_e64 s[0:1], 0, v[89:90]
	buffer_load_dword v87, off, s[20:23], 0 offset:1200 ; 4-byte Folded Reload
	buffer_load_dword v88, off, s[20:23], 0 offset:1204 ; 4-byte Folded Reload
	;; [unrolled: 1-line block ×4, first 2 shown]
	s_or_b64 s[0:1], vcc, s[0:1]
	s_or_b64 vcc, s[0:1], s[4:5]
	v_cndmask_b32_e32 v93, 2, v93, vcc
	s_waitcnt vmcnt(2)
	v_cmp_eq_f64_e32 vcc, 0, v[87:88]
	s_waitcnt vmcnt(0)
	v_cmp_eq_f64_e64 s[0:1], 0, v[89:90]
	buffer_load_dword v87, off, s[20:23], 0 offset:1216 ; 4-byte Folded Reload
	buffer_load_dword v88, off, s[20:23], 0 offset:1220 ; 4-byte Folded Reload
	buffer_load_dword v89, off, s[20:23], 0 offset:1224 ; 4-byte Folded Reload
	buffer_load_dword v90, off, s[20:23], 0 offset:1228 ; 4-byte Folded Reload
	s_and_b64 s[0:1], vcc, s[0:1]
	v_cmp_eq_u32_e32 vcc, 0, v93
	s_and_b64 s[0:1], s[0:1], vcc
	v_cndmask_b32_e64 v93, v93, 3, s[0:1]
	s_waitcnt vmcnt(2)
	v_cmp_eq_f64_e32 vcc, 0, v[87:88]
	s_waitcnt vmcnt(0)
	v_cmp_eq_f64_e64 s[0:1], 0, v[89:90]
	buffer_load_dword v87, off, s[20:23], 0 offset:1232 ; 4-byte Folded Reload
	buffer_load_dword v88, off, s[20:23], 0 offset:1236 ; 4-byte Folded Reload
	buffer_load_dword v89, off, s[20:23], 0 offset:1240 ; 4-byte Folded Reload
	buffer_load_dword v90, off, s[20:23], 0 offset:1244 ; 4-byte Folded Reload
	s_and_b64 s[0:1], vcc, s[0:1]
	v_cmp_eq_u32_e32 vcc, 0, v93
	s_and_b64 s[0:1], s[0:1], vcc
	v_cndmask_b32_e64 v93, v93, 4, s[0:1]
	;; [unrolled: 12-line block ×32, first 2 shown]
	s_waitcnt vmcnt(2)
	v_cmp_eq_f64_e32 vcc, 0, v[87:88]
	s_waitcnt vmcnt(0)
	v_cmp_eq_f64_e64 s[0:1], 0, v[89:90]
	s_and_b64 s[0:1], vcc, s[0:1]
	v_cmp_eq_u32_e32 vcc, 0, v93
	s_and_b64 s[0:1], s[0:1], vcc
	v_cndmask_b32_e64 v93, v93, 35, s[0:1]
	v_cmp_eq_f64_e32 vcc, 0, v[113:114]
	v_cmp_eq_f64_e64 s[0:1], 0, v[115:116]
	s_and_b64 s[0:1], vcc, s[0:1]
	v_cmp_eq_u32_e32 vcc, 0, v93
	s_and_b64 s[0:1], s[0:1], vcc
	v_cndmask_b32_e64 v93, v93, 36, s[0:1]
	v_cmp_eq_f64_e32 vcc, 0, v[117:118]
	;; [unrolled: 6-line block ×7, first 2 shown]
	v_cmp_eq_f64_e64 s[0:1], 0, v[83:84]
	buffer_load_dword v81, off, s[20:23], 0 offset:1816 ; 4-byte Folded Reload
	buffer_load_dword v82, off, s[20:23], 0 offset:1820 ; 4-byte Folded Reload
	;; [unrolled: 1-line block ×4, first 2 shown]
	s_and_b64 s[0:1], vcc, s[0:1]
	v_cmp_eq_u32_e32 vcc, 0, v93
	s_and_b64 s[0:1], s[0:1], vcc
	v_cndmask_b32_e64 v93, v93, 42, s[0:1]
	s_waitcnt vmcnt(2)
	v_cmp_eq_f64_e32 vcc, 0, v[81:82]
	s_waitcnt vmcnt(0)
	v_cmp_eq_f64_e64 s[0:1], 0, v[83:84]
	buffer_load_dword v81, off, s[20:23], 0 offset:1872 ; 4-byte Folded Reload
	buffer_load_dword v82, off, s[20:23], 0 offset:1876 ; 4-byte Folded Reload
	;; [unrolled: 1-line block ×4, first 2 shown]
	s_and_b64 s[0:1], vcc, s[0:1]
	v_cmp_eq_u32_e32 vcc, 0, v93
	s_and_b64 s[0:1], s[0:1], vcc
	v_cndmask_b32_e64 v93, v93, 43, s[0:1]
	s_waitcnt vmcnt(2)
	v_cmp_eq_f64_e32 vcc, 0, v[81:82]
	s_waitcnt vmcnt(0)
	v_cmp_eq_f64_e64 s[0:1], 0, v[83:84]
	buffer_load_dword v81, off, s[20:23], 0 offset:1160 ; 4-byte Folded Reload
	buffer_load_dword v82, off, s[20:23], 0 offset:1164 ; 4-byte Folded Reload
	buffer_load_dword v83, off, s[20:23], 0 offset:1168 ; 4-byte Folded Reload
	buffer_load_dword v84, off, s[20:23], 0 offset:1172 ; 4-byte Folded Reload
	s_and_b64 s[0:1], vcc, s[0:1]
	v_cmp_eq_u32_e32 vcc, 0, v93
	s_and_b64 s[0:1], s[0:1], vcc
	v_cndmask_b32_e64 v93, v93, 44, s[0:1]
	v_cmp_eq_f64_e32 vcc, 0, v[45:46]
	v_cmp_eq_f64_e64 s[0:1], 0, v[47:48]
	buffer_load_dword v45, off, s[20:23], 0 offset:1832 ; 4-byte Folded Reload
	buffer_load_dword v46, off, s[20:23], 0 offset:1836 ; 4-byte Folded Reload
	;; [unrolled: 1-line block ×4, first 2 shown]
	s_and_b64 s[0:1], vcc, s[0:1]
	v_cmp_eq_u32_e32 vcc, 0, v93
	s_and_b64 s[0:1], s[0:1], vcc
	v_cndmask_b32_e64 v93, v93, 45, s[0:1]
	s_waitcnt vmcnt(6)
	v_cmp_eq_f64_e32 vcc, 0, v[81:82]
	s_waitcnt vmcnt(4)
	v_cmp_eq_f64_e64 s[0:1], 0, v[83:84]
	s_and_b64 s[0:1], vcc, s[0:1]
	v_cmp_eq_u32_e32 vcc, 0, v93
	s_and_b64 s[0:1], s[0:1], vcc
	v_cndmask_b32_e64 v93, v93, 46, s[0:1]
	s_waitcnt vmcnt(2)
	v_cmp_eq_f64_e32 vcc, 0, v[45:46]
	s_waitcnt vmcnt(0)
	v_cmp_eq_f64_e64 s[0:1], 0, v[47:48]
	buffer_load_dword v45, off, s[20:23], 0 offset:1848 ; 4-byte Folded Reload
	buffer_load_dword v46, off, s[20:23], 0 offset:1852 ; 4-byte Folded Reload
	buffer_load_dword v47, off, s[20:23], 0 offset:1856 ; 4-byte Folded Reload
	buffer_load_dword v48, off, s[20:23], 0 offset:1860 ; 4-byte Folded Reload
	buffer_load_dword v87, off, s[20:23], 0 offset:1864 ; 4-byte Folded Reload
	buffer_load_dword v88, off, s[20:23], 0 offset:1868 ; 4-byte Folded Reload
	s_and_b64 s[0:1], vcc, s[0:1]
	v_cmp_eq_u32_e32 vcc, 0, v93
	s_and_b64 s[0:1], s[0:1], vcc
	v_cndmask_b32_e64 v93, v93, 47, s[0:1]
	s_waitcnt vmcnt(4)
	v_cmp_eq_f64_e32 vcc, 0, v[45:46]
	s_waitcnt vmcnt(2)
	v_cmp_eq_f64_e64 s[0:1], 0, v[47:48]
	s_and_b64 s[0:1], vcc, s[0:1]
	v_cmp_eq_u32_e32 vcc, 0, v93
	s_and_b64 s[0:1], s[0:1], vcc
	v_cndmask_b32_e64 v93, v93, 48, s[0:1]
	v_cmp_eq_f64_e32 vcc, 0, v[61:62]
	v_cmp_eq_f64_e64 s[0:1], 0, v[63:64]
	s_and_b64 s[0:1], vcc, s[0:1]
	v_cmp_eq_u32_e32 vcc, 0, v93
	s_and_b64 s[0:1], s[0:1], vcc
	v_cndmask_b32_e64 v93, v93, 49, s[0:1]
	v_cmp_eq_f64_e32 vcc, 0, v[57:58]
	;; [unrolled: 6-line block ×9, first 2 shown]
	v_cmp_eq_f64_e64 s[0:1], 0, v[107:108]
	s_and_b64 s[0:1], vcc, s[0:1]
	v_cmp_eq_u32_e32 vcc, 0, v93
	s_and_b64 s[0:1], s[0:1], vcc
	v_cndmask_b32_e64 v99, v93, 57, s[0:1]
	s_waitcnt vmcnt(0)
	v_lshlrev_b64 v[93:94], 2, v[87:88]
	v_cmp_ne_u32_e64 s[0:1], 0, v99
	v_add_co_u32_e32 v97, vcc, s10, v93
	v_mov_b32_e32 v93, s11
	v_addc_co_u32_e32 v98, vcc, v93, v94, vcc
	global_load_dword v93, v[97:98], off
	s_waitcnt vmcnt(0)
	v_cmp_eq_u32_e32 vcc, 0, v93
	s_and_b64 s[0:1], vcc, s[0:1]
	s_and_b64 exec, exec, s[0:1]
	s_cbranch_execz .LBB113_515
; %bb.514:
	v_add_u32_e32 v93, s13, v99
	global_store_dword v[97:98], v93, off
.LBB113_515:
	s_or_b64 exec, exec, s[2:3]
	buffer_load_dword v87, off, s[20:23], 0 offset:1144 ; 4-byte Folded Reload
	buffer_load_dword v88, off, s[20:23], 0 offset:1148 ; 4-byte Folded Reload
	;; [unrolled: 1-line block ×6, first 2 shown]
	v_cmp_lt_u32_e32 vcc, 56, v0
	v_mul_f64 v[95:96], v[107:108], v[123:124]
	v_fma_f64 v[95:96], v[105:106], v[121:122], -v[95:96]
	v_cndmask_b32_e32 v98, v122, v96, vcc
	v_cndmask_b32_e32 v97, v121, v95, vcc
	s_waitcnt vmcnt(0)
	global_store_dwordx4 v[87:88], v[91:94], off
	buffer_load_dword v87, off, s[20:23], 0 offset:1152 ; 4-byte Folded Reload
	s_nop 0
	buffer_load_dword v88, off, s[20:23], 0 offset:1156 ; 4-byte Folded Reload
	buffer_load_dword v91, off, s[20:23], 0 offset:688 ; 4-byte Folded Reload
	buffer_load_dword v92, off, s[20:23], 0 offset:692 ; 4-byte Folded Reload
	buffer_load_dword v93, off, s[20:23], 0 offset:696 ; 4-byte Folded Reload
	buffer_load_dword v94, off, s[20:23], 0 offset:700 ; 4-byte Folded Reload
	s_waitcnt vmcnt(0)
	global_store_dwordx4 v[87:88], v[91:94], off
	buffer_load_dword v87, off, s[20:23], 0 offset:1104 ; 4-byte Folded Reload
	s_nop 0
	buffer_load_dword v88, off, s[20:23], 0 offset:1108 ; 4-byte Folded Reload
	buffer_load_dword v91, off, s[20:23], 0 offset:672 ; 4-byte Folded Reload
	buffer_load_dword v92, off, s[20:23], 0 offset:676 ; 4-byte Folded Reload
	buffer_load_dword v93, off, s[20:23], 0 offset:680 ; 4-byte Folded Reload
	buffer_load_dword v94, off, s[20:23], 0 offset:684 ; 4-byte Folded Reload
	;; [unrolled: 9-line block ×6, first 2 shown]
	v_mul_f64 v[93:94], v[105:106], v[123:124]
	v_fma_f64 v[93:94], v[107:108], v[121:122], v[93:94]
	v_cndmask_b32_e32 v100, v124, v94, vcc
	v_cndmask_b32_e32 v99, v123, v93, vcc
	s_waitcnt vmcnt(0)
	global_store_dwordx4 v[87:88], v[89:92], off
	buffer_load_dword v87, off, s[20:23], 0 offset:592 ; 4-byte Folded Reload
	s_nop 0
	buffer_load_dword v88, off, s[20:23], 0 offset:596 ; 4-byte Folded Reload
	buffer_load_dword v89, off, s[20:23], 0 offset:600 ; 4-byte Folded Reload
	buffer_load_dword v90, off, s[20:23], 0 offset:604 ; 4-byte Folded Reload
	buffer_load_dword v85, off, s[20:23], 0 offset:1744 ; 4-byte Folded Reload
	buffer_load_dword v86, off, s[20:23], 0 offset:1748 ; 4-byte Folded Reload
	s_waitcnt vmcnt(0)
	global_store_dwordx4 v[85:86], v[87:90], off
	buffer_load_dword v85, off, s[20:23], 0 offset:728 ; 4-byte Folded Reload
	s_nop 0
	buffer_load_dword v86, off, s[20:23], 0 offset:732 ; 4-byte Folded Reload
	buffer_load_dword v87, off, s[20:23], 0 offset:576 ; 4-byte Folded Reload
	buffer_load_dword v88, off, s[20:23], 0 offset:580 ; 4-byte Folded Reload
	buffer_load_dword v89, off, s[20:23], 0 offset:584 ; 4-byte Folded Reload
	buffer_load_dword v90, off, s[20:23], 0 offset:588 ; 4-byte Folded Reload
	;; [unrolled: 9-line block ×29, first 2 shown]
	s_waitcnt vmcnt(0)
	global_store_dwordx4 v[85:86], v[77:80], off
	buffer_load_dword v81, off, s[20:23], 0 offset:952 ; 4-byte Folded Reload
	buffer_load_dword v82, off, s[20:23], 0 offset:956 ; 4-byte Folded Reload
	s_nop 0
	buffer_load_dword v77, off, s[20:23], 0 offset:144 ; 4-byte Folded Reload
	buffer_load_dword v78, off, s[20:23], 0 offset:148 ; 4-byte Folded Reload
	buffer_load_dword v79, off, s[20:23], 0 offset:152 ; 4-byte Folded Reload
	buffer_load_dword v80, off, s[20:23], 0 offset:156 ; 4-byte Folded Reload
	s_waitcnt vmcnt(0)
	global_store_dwordx4 v[81:82], v[77:80], off
	buffer_load_dword v77, off, s[20:23], 0 offset:960 ; 4-byte Folded Reload
	s_nop 0
	buffer_load_dword v78, off, s[20:23], 0 offset:964 ; 4-byte Folded Reload
	buffer_load_dword v73, off, s[20:23], 0 offset:128 ; 4-byte Folded Reload
	buffer_load_dword v74, off, s[20:23], 0 offset:132 ; 4-byte Folded Reload
	buffer_load_dword v75, off, s[20:23], 0 offset:136 ; 4-byte Folded Reload
	buffer_load_dword v76, off, s[20:23], 0 offset:140 ; 4-byte Folded Reload
	s_waitcnt vmcnt(0)
	global_store_dwordx4 v[77:78], v[73:76], off
	buffer_load_dword v73, off, s[20:23], 0 offset:968 ; 4-byte Folded Reload
	s_nop 0
	buffer_load_dword v74, off, s[20:23], 0 offset:972 ; 4-byte Folded Reload
	buffer_load_dword v69, off, s[20:23], 0 offset:112 ; 4-byte Folded Reload
	buffer_load_dword v70, off, s[20:23], 0 offset:116 ; 4-byte Folded Reload
	buffer_load_dword v71, off, s[20:23], 0 offset:120 ; 4-byte Folded Reload
	buffer_load_dword v72, off, s[20:23], 0 offset:124 ; 4-byte Folded Reload
	s_waitcnt vmcnt(0)
	global_store_dwordx4 v[73:74], v[69:72], off
	buffer_load_dword v69, off, s[20:23], 0 offset:976 ; 4-byte Folded Reload
	s_nop 0
	buffer_load_dword v70, off, s[20:23], 0 offset:980 ; 4-byte Folded Reload
	buffer_load_dword v65, off, s[20:23], 0 offset:96 ; 4-byte Folded Reload
	buffer_load_dword v66, off, s[20:23], 0 offset:100 ; 4-byte Folded Reload
	buffer_load_dword v67, off, s[20:23], 0 offset:104 ; 4-byte Folded Reload
	buffer_load_dword v68, off, s[20:23], 0 offset:108 ; 4-byte Folded Reload
	s_waitcnt vmcnt(0)
	global_store_dwordx4 v[69:70], v[65:68], off
	buffer_load_dword v65, off, s[20:23], 0 offset:984 ; 4-byte Folded Reload
	s_nop 0
	buffer_load_dword v66, off, s[20:23], 0 offset:988 ; 4-byte Folded Reload
	buffer_load_dword v61, off, s[20:23], 0 offset:80 ; 4-byte Folded Reload
	buffer_load_dword v62, off, s[20:23], 0 offset:84 ; 4-byte Folded Reload
	buffer_load_dword v63, off, s[20:23], 0 offset:88 ; 4-byte Folded Reload
	buffer_load_dword v64, off, s[20:23], 0 offset:92 ; 4-byte Folded Reload
	s_waitcnt vmcnt(0)
	global_store_dwordx4 v[65:66], v[61:64], off
	buffer_load_dword v61, off, s[20:23], 0 offset:992 ; 4-byte Folded Reload
	s_nop 0
	buffer_load_dword v62, off, s[20:23], 0 offset:996 ; 4-byte Folded Reload
	buffer_load_dword v57, off, s[20:23], 0 offset:64 ; 4-byte Folded Reload
	buffer_load_dword v58, off, s[20:23], 0 offset:68 ; 4-byte Folded Reload
	buffer_load_dword v59, off, s[20:23], 0 offset:72 ; 4-byte Folded Reload
	buffer_load_dword v60, off, s[20:23], 0 offset:76 ; 4-byte Folded Reload
	s_waitcnt vmcnt(0)
	global_store_dwordx4 v[61:62], v[57:60], off
	buffer_load_dword v57, off, s[20:23], 0 offset:1000 ; 4-byte Folded Reload
	s_nop 0
	buffer_load_dword v58, off, s[20:23], 0 offset:1004 ; 4-byte Folded Reload
	buffer_load_dword v53, off, s[20:23], 0 offset:48 ; 4-byte Folded Reload
	buffer_load_dword v54, off, s[20:23], 0 offset:52 ; 4-byte Folded Reload
	buffer_load_dword v55, off, s[20:23], 0 offset:56 ; 4-byte Folded Reload
	buffer_load_dword v56, off, s[20:23], 0 offset:60 ; 4-byte Folded Reload
	s_waitcnt vmcnt(0)
	global_store_dwordx4 v[57:58], v[53:56], off
	buffer_load_dword v53, off, s[20:23], 0 offset:1008 ; 4-byte Folded Reload
	s_nop 0
	buffer_load_dword v54, off, s[20:23], 0 offset:1012 ; 4-byte Folded Reload
	buffer_load_dword v49, off, s[20:23], 0 offset:32 ; 4-byte Folded Reload
	buffer_load_dword v50, off, s[20:23], 0 offset:36 ; 4-byte Folded Reload
	buffer_load_dword v51, off, s[20:23], 0 offset:40 ; 4-byte Folded Reload
	buffer_load_dword v52, off, s[20:23], 0 offset:44 ; 4-byte Folded Reload
	s_waitcnt vmcnt(0)
	global_store_dwordx4 v[53:54], v[49:52], off
	buffer_load_dword v49, off, s[20:23], 0 offset:1016 ; 4-byte Folded Reload
	s_nop 0
	buffer_load_dword v50, off, s[20:23], 0 offset:1020 ; 4-byte Folded Reload
	buffer_load_dword v45, off, s[20:23], 0 offset:16 ; 4-byte Folded Reload
	buffer_load_dword v46, off, s[20:23], 0 offset:20 ; 4-byte Folded Reload
	buffer_load_dword v47, off, s[20:23], 0 offset:24 ; 4-byte Folded Reload
	buffer_load_dword v48, off, s[20:23], 0 offset:28 ; 4-byte Folded Reload
	s_waitcnt vmcnt(0)
	global_store_dwordx4 v[49:50], v[45:48], off
	buffer_load_dword v45, off, s[20:23], 0 offset:1024 ; 4-byte Folded Reload
	s_nop 0
	buffer_load_dword v46, off, s[20:23], 0 offset:1028 ; 4-byte Folded Reload
	buffer_load_dword v41, off, s[20:23], 0 ; 4-byte Folded Reload
	buffer_load_dword v42, off, s[20:23], 0 offset:4 ; 4-byte Folded Reload
	buffer_load_dword v43, off, s[20:23], 0 offset:8 ; 4-byte Folded Reload
	;; [unrolled: 1-line block ×3, first 2 shown]
	s_waitcnt vmcnt(0)
	global_store_dwordx4 v[45:46], v[41:44], off
	buffer_load_dword v41, off, s[20:23], 0 offset:1032 ; 4-byte Folded Reload
	s_nop 0
	buffer_load_dword v42, off, s[20:23], 0 offset:1036 ; 4-byte Folded Reload
	s_waitcnt vmcnt(0)
	global_store_dwordx4 v[41:42], v[37:40], off
	buffer_load_dword v37, off, s[20:23], 0 offset:1040 ; 4-byte Folded Reload
	s_nop 0
	buffer_load_dword v38, off, s[20:23], 0 offset:1044 ; 4-byte Folded Reload
	;; [unrolled: 5-line block ×11, first 2 shown]
	s_waitcnt vmcnt(0)
	global_store_dwordx4 v[0:1], v[97:100], off
.LBB113_516:
	s_endpgm
	.section	.rodata,"a",@progbits
	.p2align	6, 0x0
	.amdhsa_kernel _ZN9rocsolver6v33100L23getf2_npvt_small_kernelILi57E19rocblas_complex_numIdEiiPS3_EEvT1_T3_lS5_lPT2_S5_S5_
		.amdhsa_group_segment_fixed_size 0
		.amdhsa_private_segment_fixed_size 1892
		.amdhsa_kernarg_size 312
		.amdhsa_user_sgpr_count 6
		.amdhsa_user_sgpr_private_segment_buffer 1
		.amdhsa_user_sgpr_dispatch_ptr 0
		.amdhsa_user_sgpr_queue_ptr 0
		.amdhsa_user_sgpr_kernarg_segment_ptr 1
		.amdhsa_user_sgpr_dispatch_id 0
		.amdhsa_user_sgpr_flat_scratch_init 0
		.amdhsa_user_sgpr_private_segment_size 0
		.amdhsa_uses_dynamic_stack 0
		.amdhsa_system_sgpr_private_segment_wavefront_offset 1
		.amdhsa_system_sgpr_workgroup_id_x 1
		.amdhsa_system_sgpr_workgroup_id_y 1
		.amdhsa_system_sgpr_workgroup_id_z 0
		.amdhsa_system_sgpr_workgroup_info 0
		.amdhsa_system_vgpr_workitem_id 1
		.amdhsa_next_free_vgpr 128
		.amdhsa_next_free_sgpr 24
		.amdhsa_reserve_vcc 1
		.amdhsa_reserve_flat_scratch 0
		.amdhsa_float_round_mode_32 0
		.amdhsa_float_round_mode_16_64 0
		.amdhsa_float_denorm_mode_32 3
		.amdhsa_float_denorm_mode_16_64 3
		.amdhsa_dx10_clamp 1
		.amdhsa_ieee_mode 1
		.amdhsa_fp16_overflow 0
		.amdhsa_exception_fp_ieee_invalid_op 0
		.amdhsa_exception_fp_denorm_src 0
		.amdhsa_exception_fp_ieee_div_zero 0
		.amdhsa_exception_fp_ieee_overflow 0
		.amdhsa_exception_fp_ieee_underflow 0
		.amdhsa_exception_fp_ieee_inexact 0
		.amdhsa_exception_int_div_zero 0
	.end_amdhsa_kernel
	.section	.text._ZN9rocsolver6v33100L23getf2_npvt_small_kernelILi57E19rocblas_complex_numIdEiiPS3_EEvT1_T3_lS5_lPT2_S5_S5_,"axG",@progbits,_ZN9rocsolver6v33100L23getf2_npvt_small_kernelILi57E19rocblas_complex_numIdEiiPS3_EEvT1_T3_lS5_lPT2_S5_S5_,comdat
.Lfunc_end113:
	.size	_ZN9rocsolver6v33100L23getf2_npvt_small_kernelILi57E19rocblas_complex_numIdEiiPS3_EEvT1_T3_lS5_lPT2_S5_S5_, .Lfunc_end113-_ZN9rocsolver6v33100L23getf2_npvt_small_kernelILi57E19rocblas_complex_numIdEiiPS3_EEvT1_T3_lS5_lPT2_S5_S5_
                                        ; -- End function
	.set _ZN9rocsolver6v33100L23getf2_npvt_small_kernelILi57E19rocblas_complex_numIdEiiPS3_EEvT1_T3_lS5_lPT2_S5_S5_.num_vgpr, 128
	.set _ZN9rocsolver6v33100L23getf2_npvt_small_kernelILi57E19rocblas_complex_numIdEiiPS3_EEvT1_T3_lS5_lPT2_S5_S5_.num_agpr, 0
	.set _ZN9rocsolver6v33100L23getf2_npvt_small_kernelILi57E19rocblas_complex_numIdEiiPS3_EEvT1_T3_lS5_lPT2_S5_S5_.numbered_sgpr, 24
	.set _ZN9rocsolver6v33100L23getf2_npvt_small_kernelILi57E19rocblas_complex_numIdEiiPS3_EEvT1_T3_lS5_lPT2_S5_S5_.num_named_barrier, 0
	.set _ZN9rocsolver6v33100L23getf2_npvt_small_kernelILi57E19rocblas_complex_numIdEiiPS3_EEvT1_T3_lS5_lPT2_S5_S5_.private_seg_size, 1892
	.set _ZN9rocsolver6v33100L23getf2_npvt_small_kernelILi57E19rocblas_complex_numIdEiiPS3_EEvT1_T3_lS5_lPT2_S5_S5_.uses_vcc, 1
	.set _ZN9rocsolver6v33100L23getf2_npvt_small_kernelILi57E19rocblas_complex_numIdEiiPS3_EEvT1_T3_lS5_lPT2_S5_S5_.uses_flat_scratch, 0
	.set _ZN9rocsolver6v33100L23getf2_npvt_small_kernelILi57E19rocblas_complex_numIdEiiPS3_EEvT1_T3_lS5_lPT2_S5_S5_.has_dyn_sized_stack, 0
	.set _ZN9rocsolver6v33100L23getf2_npvt_small_kernelILi57E19rocblas_complex_numIdEiiPS3_EEvT1_T3_lS5_lPT2_S5_S5_.has_recursion, 0
	.set _ZN9rocsolver6v33100L23getf2_npvt_small_kernelILi57E19rocblas_complex_numIdEiiPS3_EEvT1_T3_lS5_lPT2_S5_S5_.has_indirect_call, 0
	.section	.AMDGPU.csdata,"",@progbits
; Kernel info:
; codeLenInByte = 272956
; TotalNumSgprs: 28
; NumVgprs: 128
; ScratchSize: 1892
; MemoryBound: 1
; FloatMode: 240
; IeeeMode: 1
; LDSByteSize: 0 bytes/workgroup (compile time only)
; SGPRBlocks: 3
; VGPRBlocks: 31
; NumSGPRsForWavesPerEU: 28
; NumVGPRsForWavesPerEU: 128
; Occupancy: 2
; WaveLimiterHint : 0
; COMPUTE_PGM_RSRC2:SCRATCH_EN: 1
; COMPUTE_PGM_RSRC2:USER_SGPR: 6
; COMPUTE_PGM_RSRC2:TRAP_HANDLER: 0
; COMPUTE_PGM_RSRC2:TGID_X_EN: 1
; COMPUTE_PGM_RSRC2:TGID_Y_EN: 1
; COMPUTE_PGM_RSRC2:TGID_Z_EN: 0
; COMPUTE_PGM_RSRC2:TIDIG_COMP_CNT: 1
	.section	.text._ZN9rocsolver6v33100L18getf2_small_kernelILi58E19rocblas_complex_numIdEiiPS3_EEvT1_T3_lS5_lPS5_llPT2_S5_S5_S7_l,"axG",@progbits,_ZN9rocsolver6v33100L18getf2_small_kernelILi58E19rocblas_complex_numIdEiiPS3_EEvT1_T3_lS5_lPS5_llPT2_S5_S5_S7_l,comdat
	.globl	_ZN9rocsolver6v33100L18getf2_small_kernelILi58E19rocblas_complex_numIdEiiPS3_EEvT1_T3_lS5_lPS5_llPT2_S5_S5_S7_l ; -- Begin function _ZN9rocsolver6v33100L18getf2_small_kernelILi58E19rocblas_complex_numIdEiiPS3_EEvT1_T3_lS5_lPS5_llPT2_S5_S5_S7_l
	.p2align	8
	.type	_ZN9rocsolver6v33100L18getf2_small_kernelILi58E19rocblas_complex_numIdEiiPS3_EEvT1_T3_lS5_lPS5_llPT2_S5_S5_S7_l,@function
_ZN9rocsolver6v33100L18getf2_small_kernelILi58E19rocblas_complex_numIdEiiPS3_EEvT1_T3_lS5_lPS5_llPT2_S5_S5_S7_l: ; @_ZN9rocsolver6v33100L18getf2_small_kernelILi58E19rocblas_complex_numIdEiiPS3_EEvT1_T3_lS5_lPS5_llPT2_S5_S5_S7_l
; %bb.0:
	s_mov_b64 s[26:27], s[2:3]
	s_mov_b64 s[24:25], s[0:1]
	s_load_dword s0, s[4:5], 0x6c
	s_load_dwordx2 s[16:17], s[4:5], 0x48
	s_add_u32 s24, s24, s8
	s_addc_u32 s25, s25, 0
	s_waitcnt lgkmcnt(0)
	s_lshr_b32 s0, s0, 16
	s_mul_i32 s7, s7, s0
	v_add_u32_e32 v5, s7, v1
	v_cmp_gt_i32_e32 vcc, s16, v5
	s_and_saveexec_b64 s[0:1], vcc
	s_cbranch_execnz .LBB114_1
; %bb.1220:
	s_getpc_b64 s[28:29]
.Lpost_getpc28:
	s_add_u32 s28, s28, (.LBB114_1219-.Lpost_getpc28)&4294967295
	s_addc_u32 s29, s29, (.LBB114_1219-.Lpost_getpc28)>>32
	s_setpc_b64 s[28:29]
.LBB114_1:
	s_load_dwordx4 s[0:3], s[4:5], 0x50
	v_mov_b32_e32 v2, 0
	v_ashrrev_i32_e32 v6, 31, v5
	v_mov_b32_e32 v3, 0
	buffer_store_dword v2, off, s[24:27], 0 offset:480 ; 4-byte Folded Spill
	s_nop 0
	buffer_store_dword v3, off, s[24:27], 0 offset:484 ; 4-byte Folded Spill
	s_waitcnt lgkmcnt(0)
	s_cmp_eq_u64 s[0:1], 0
	s_cselect_b64 s[6:7], -1, 0
	s_and_b64 vcc, exec, s[6:7]
	s_cbranch_vccnz .LBB114_3
; %bb.2:
	v_mul_lo_u32 v7, s3, v5
	v_mul_lo_u32 v4, s2, v6
	v_mad_u64_u32 v[2:3], s[2:3], s2, v5, 0
	v_add3_u32 v3, v3, v4, v7
	v_lshlrev_b64 v[2:3], 2, v[2:3]
	v_mov_b32_e32 v4, s1
	v_add_co_u32_e32 v2, vcc, s0, v2
	v_addc_co_u32_e32 v3, vcc, v4, v3, vcc
	buffer_store_dword v2, off, s[24:27], 0 offset:480 ; 4-byte Folded Spill
	s_nop 0
	buffer_store_dword v3, off, s[24:27], 0 offset:484 ; 4-byte Folded Spill
.LBB114_3:
	s_load_dwordx8 s[8:15], s[4:5], 0x20
	s_load_dwordx4 s[20:23], s[4:5], 0x8
	s_load_dword s2, s[4:5], 0x18
	v_lshlrev_b32_e32 v80, 4, v0
	s_waitcnt lgkmcnt(0)
	v_mul_lo_u32 v7, s9, v5
	v_mul_lo_u32 v4, s8, v6
	buffer_store_dword v5, off, s[24:27], 0 offset:560 ; 4-byte Folded Spill
	s_nop 0
	buffer_store_dword v6, off, s[24:27], 0 offset:564 ; 4-byte Folded Spill
	s_add_i32 s16, s2, s2
	s_ashr_i32 s3, s2, 31
	buffer_store_dword v0, off, s[24:27], 0 offset:568 ; 4-byte Folded Spill
	v_mad_u64_u32 v[2:3], s[0:1], s8, v5, 0
	v_mov_b32_e32 v5, s21
	s_lshl_b64 s[0:1], s[22:23], 4
	v_add3_u32 v3, v3, v4, v7
	v_lshlrev_b64 v[2:3], 4, v[2:3]
	s_lshl_b64 s[8:9], s[2:3], 4
	v_add_co_u32_e32 v4, vcc, s20, v2
	v_addc_co_u32_e32 v2, vcc, v5, v3, vcc
	v_add_co_u32_e32 v109, vcc, s0, v4
	v_add_u32_e32 v4, s16, v0
	v_mov_b32_e32 v3, s1
	v_ashrrev_i32_e32 v5, 31, v4
	v_addc_co_u32_e32 v79, vcc, v2, v3, vcc
	v_lshlrev_b64 v[2:3], 4, v[4:5]
	v_add_u32_e32 v6, s2, v4
	v_ashrrev_i32_e32 v7, 31, v6
	v_add_co_u32_e32 v85, vcc, v109, v2
	v_lshlrev_b64 v[4:5], 4, v[6:7]
	v_add_u32_e32 v8, s2, v6
	v_addc_co_u32_e32 v86, vcc, v79, v3, vcc
	v_ashrrev_i32_e32 v9, 31, v8
	v_add_co_u32_e32 v87, vcc, v109, v4
	v_lshlrev_b64 v[6:7], 4, v[8:9]
	v_add_u32_e32 v10, s2, v8
	v_addc_co_u32_e32 v88, vcc, v79, v5, vcc
	;; [unrolled: 5-line block ×36, first 2 shown]
	v_ashrrev_i32_e32 v77, 31, v76
	v_add_co_u32_e32 v74, vcc, v109, v74
	v_lshlrev_b64 v[77:78], 4, v[76:77]
	v_addc_co_u32_e32 v75, vcc, v79, v75, vcc
	v_add_u32_e32 v76, s2, v76
	v_add_co_u32_e32 v117, vcc, v109, v77
	v_ashrrev_i32_e32 v77, 31, v76
	v_addc_co_u32_e32 v118, vcc, v79, v78, vcc
	v_lshlrev_b64 v[77:78], 4, v[76:77]
	v_add_u32_e32 v76, s2, v76
	v_add_co_u32_e32 v119, vcc, v109, v77
	v_ashrrev_i32_e32 v77, 31, v76
	v_addc_co_u32_e32 v120, vcc, v79, v78, vcc
	v_lshlrev_b64 v[77:78], 4, v[76:77]
	;; [unrolled: 5-line block ×17, first 2 shown]
	v_add_u32_e32 v76, s2, v76
	v_add_co_u32_e32 v89, vcc, v109, v77
	v_ashrrev_i32_e32 v77, 31, v76
	v_lshlrev_b64 v[76:77], 4, v[76:77]
	v_addc_co_u32_e32 v90, vcc, v79, v78, vcc
	v_add_co_u32_e32 v91, vcc, v109, v76
	v_addc_co_u32_e32 v92, vcc, v79, v77, vcc
	v_add_co_u32_e32 v76, vcc, v109, v80
	v_addc_co_u32_e32 v77, vcc, 0, v79, vcc
	v_mov_b32_e32 v0, s9
	v_add_co_u32_e32 v78, vcc, s8, v76
	buffer_store_dword v109, off, s[24:27], 0 offset:552 ; 4-byte Folded Spill
	buffer_store_dword v79, off, s[24:27], 0 offset:556 ; 4-byte Folded Spill
	v_addc_co_u32_e32 v79, vcc, v77, v0, vcc
	global_load_dwordx4 v[109:112], v[76:77], off
	s_nop 0
	global_load_dwordx4 v[76:79], v[78:79], off
	s_waitcnt vmcnt(0)
	buffer_store_dword v76, off, s[24:27], 0 offset:520 ; 4-byte Folded Spill
	s_nop 0
	buffer_store_dword v77, off, s[24:27], 0 offset:524 ; 4-byte Folded Spill
	buffer_store_dword v78, off, s[24:27], 0 offset:528 ; 4-byte Folded Spill
	;; [unrolled: 1-line block ×4, first 2 shown]
	s_nop 0
	buffer_store_dword v110, off, s[24:27], 0 offset:540 ; 4-byte Folded Spill
	buffer_store_dword v111, off, s[24:27], 0 offset:544 ; 4-byte Folded Spill
	;; [unrolled: 1-line block ×3, first 2 shown]
	global_load_dwordx4 v[76:79], v[85:86], off
	s_load_dword s3, s[4:5], 0x0
	s_waitcnt lgkmcnt(0)
	s_max_i32 s0, s3, 58
	v_mul_lo_u32 v127, s0, v1
	s_load_dwordx2 s[4:5], s[4:5], 0x40
	s_cmp_lt_i32 s3, 2
	v_lshl_add_u32 v0, v127, 4, 0
	v_add_u32_e32 v1, v0, v80
	ds_write2_b64 v1, v[109:110], v[111:112] offset1:1
	s_waitcnt vmcnt(0)
	buffer_store_dword v76, off, s[24:27], 0 offset:504 ; 4-byte Folded Spill
	s_nop 0
	buffer_store_dword v77, off, s[24:27], 0 offset:508 ; 4-byte Folded Spill
	buffer_store_dword v78, off, s[24:27], 0 offset:512 ; 4-byte Folded Spill
	buffer_store_dword v79, off, s[24:27], 0 offset:516 ; 4-byte Folded Spill
	global_load_dwordx4 v[76:79], v[87:88], off
	s_waitcnt vmcnt(0)
	buffer_store_dword v76, off, s[24:27], 0 offset:488 ; 4-byte Folded Spill
	s_nop 0
	buffer_store_dword v77, off, s[24:27], 0 offset:492 ; 4-byte Folded Spill
	buffer_store_dword v78, off, s[24:27], 0 offset:496 ; 4-byte Folded Spill
	buffer_store_dword v79, off, s[24:27], 0 offset:500 ; 4-byte Folded Spill
	global_load_dwordx4 v[76:79], v[6:7], off
	;; [unrolled: 7-line block ×31, first 2 shown]
	global_load_dwordx4 v[85:88], v[66:67], off
	global_load_dwordx4 v[109:112], v[68:69], off
	;; [unrolled: 1-line block ×3, first 2 shown]
	s_nop 0
	global_load_dwordx4 v[6:9], v[72:73], off
	s_waitcnt vmcnt(0)
	buffer_store_dword v6, off, s[24:27], 0 ; 4-byte Folded Spill
	s_nop 0
	buffer_store_dword v7, off, s[24:27], 0 offset:4 ; 4-byte Folded Spill
	buffer_store_dword v8, off, s[24:27], 0 offset:8 ; 4-byte Folded Spill
	;; [unrolled: 1-line block ×3, first 2 shown]
	global_load_dwordx4 v[73:76], v[74:75], off
	s_nop 0
	global_load_dwordx4 v[69:72], v[117:118], off
	global_load_dwordx4 v[65:68], v[119:120], off
	;; [unrolled: 1-line block ×19, first 2 shown]
	s_waitcnt vmcnt(0) lgkmcnt(0)
	s_barrier
	ds_read2_b64 v[117:120], v0 offset1:1
	v_lshlrev_b32_e32 v95, 4, v127
	v_mov_b32_e32 v89, 0
	s_cbranch_scc1 .LBB114_6
; %bb.4:
	v_add3_u32 v90, v95, 0, 16
	s_mov_b32 s0, 1
	v_mov_b32_e32 v89, 0
.LBB114_5:                              ; =>This Inner Loop Header: Depth=1
	s_waitcnt lgkmcnt(0)
	v_cmp_gt_f64_e32 vcc, 0, v[117:118]
	v_xor_b32_e32 v96, 0x80000000, v118
	ds_read2_b64 v[91:94], v90 offset1:1
	v_xor_b32_e32 v98, 0x80000000, v120
	v_add_u32_e32 v90, 16, v90
	s_waitcnt lgkmcnt(0)
	v_xor_b32_e32 v100, 0x80000000, v94
	v_cndmask_b32_e32 v97, v118, v96, vcc
	v_cmp_gt_f64_e32 vcc, 0, v[119:120]
	v_mov_b32_e32 v96, v117
	v_cndmask_b32_e32 v99, v120, v98, vcc
	v_cmp_gt_f64_e32 vcc, 0, v[91:92]
	v_mov_b32_e32 v98, v119
	v_add_f64 v[96:97], v[96:97], v[98:99]
	v_xor_b32_e32 v98, 0x80000000, v92
	v_cndmask_b32_e32 v99, v92, v98, vcc
	v_cmp_gt_f64_e32 vcc, 0, v[93:94]
	v_mov_b32_e32 v98, v91
	v_cndmask_b32_e32 v101, v94, v100, vcc
	v_mov_b32_e32 v100, v93
	v_add_f64 v[98:99], v[98:99], v[100:101]
	v_cmp_lt_f64_e32 vcc, v[96:97], v[98:99]
	v_cndmask_b32_e32 v117, v117, v91, vcc
	v_mov_b32_e32 v91, s0
	s_add_i32 s0, s0, 1
	v_cndmask_b32_e32 v118, v118, v92, vcc
	v_cndmask_b32_e32 v120, v120, v94, vcc
	;; [unrolled: 1-line block ×4, first 2 shown]
	s_cmp_eq_u32 s3, s0
	s_cbranch_scc0 .LBB114_5
.LBB114_6:
	buffer_load_dword v127, off, s[24:27], 0 offset:568 ; 4-byte Folded Reload
	s_waitcnt lgkmcnt(0)
	v_cmp_neq_f64_e32 vcc, 0, v[117:118]
	v_cmp_neq_f64_e64 s[0:1], 0, v[119:120]
	v_mov_b32_e32 v84, v80
	v_mov_b32_e32 v83, v79
	;; [unrolled: 1-line block ×6, first 2 shown]
	s_or_b64 s[18:19], vcc, s[0:1]
	s_and_saveexec_b64 s[0:1], s[18:19]
	s_cbranch_execz .LBB114_12
; %bb.7:
	v_cmp_ngt_f64_e64 s[18:19], |v[117:118]|, |v[119:120]|
	s_and_saveexec_b64 s[20:21], s[18:19]
	s_xor_b64 s[18:19], exec, s[20:21]
	s_cbranch_execz .LBB114_9
; %bb.8:
	v_div_scale_f64 v[90:91], s[20:21], v[119:120], v[119:120], v[117:118]
	v_rcp_f64_e32 v[92:93], v[90:91]
	v_fma_f64 v[96:97], -v[90:91], v[92:93], 1.0
	v_fma_f64 v[92:93], v[92:93], v[96:97], v[92:93]
	v_div_scale_f64 v[96:97], vcc, v[117:118], v[119:120], v[117:118]
	v_fma_f64 v[98:99], -v[90:91], v[92:93], 1.0
	v_fma_f64 v[92:93], v[92:93], v[98:99], v[92:93]
	v_mul_f64 v[98:99], v[96:97], v[92:93]
	v_fma_f64 v[90:91], -v[90:91], v[98:99], v[96:97]
	v_div_fmas_f64 v[90:91], v[90:91], v[92:93], v[98:99]
	v_div_fixup_f64 v[90:91], v[90:91], v[119:120], v[117:118]
	v_fma_f64 v[92:93], v[117:118], v[90:91], v[119:120]
	v_div_scale_f64 v[96:97], s[20:21], v[92:93], v[92:93], 1.0
	v_div_scale_f64 v[102:103], vcc, 1.0, v[92:93], 1.0
	v_rcp_f64_e32 v[98:99], v[96:97]
	v_fma_f64 v[100:101], -v[96:97], v[98:99], 1.0
	v_fma_f64 v[98:99], v[98:99], v[100:101], v[98:99]
	v_fma_f64 v[100:101], -v[96:97], v[98:99], 1.0
	v_fma_f64 v[98:99], v[98:99], v[100:101], v[98:99]
	v_mul_f64 v[100:101], v[102:103], v[98:99]
	v_fma_f64 v[96:97], -v[96:97], v[100:101], v[102:103]
	v_div_fmas_f64 v[96:97], v[96:97], v[98:99], v[100:101]
	v_div_fixup_f64 v[119:120], v[96:97], v[92:93], 1.0
	v_mul_f64 v[117:118], v[90:91], v[119:120]
	v_xor_b32_e32 v120, 0x80000000, v120
.LBB114_9:
	s_andn2_saveexec_b64 s[18:19], s[18:19]
	s_cbranch_execz .LBB114_11
; %bb.10:
	v_div_scale_f64 v[90:91], s[20:21], v[117:118], v[117:118], v[119:120]
	v_rcp_f64_e32 v[92:93], v[90:91]
	v_fma_f64 v[96:97], -v[90:91], v[92:93], 1.0
	v_fma_f64 v[92:93], v[92:93], v[96:97], v[92:93]
	v_div_scale_f64 v[96:97], vcc, v[119:120], v[117:118], v[119:120]
	v_fma_f64 v[98:99], -v[90:91], v[92:93], 1.0
	v_fma_f64 v[92:93], v[92:93], v[98:99], v[92:93]
	v_mul_f64 v[98:99], v[96:97], v[92:93]
	v_fma_f64 v[90:91], -v[90:91], v[98:99], v[96:97]
	v_div_fmas_f64 v[90:91], v[90:91], v[92:93], v[98:99]
	v_div_fixup_f64 v[90:91], v[90:91], v[117:118], v[119:120]
	v_fma_f64 v[92:93], v[119:120], v[90:91], v[117:118]
	v_div_scale_f64 v[96:97], s[20:21], v[92:93], v[92:93], 1.0
	v_div_scale_f64 v[102:103], vcc, 1.0, v[92:93], 1.0
	v_rcp_f64_e32 v[98:99], v[96:97]
	v_fma_f64 v[100:101], -v[96:97], v[98:99], 1.0
	v_fma_f64 v[98:99], v[98:99], v[100:101], v[98:99]
	v_fma_f64 v[100:101], -v[96:97], v[98:99], 1.0
	v_fma_f64 v[98:99], v[98:99], v[100:101], v[98:99]
	v_mul_f64 v[100:101], v[102:103], v[98:99]
	v_fma_f64 v[96:97], -v[96:97], v[100:101], v[102:103]
	v_div_fmas_f64 v[96:97], v[96:97], v[98:99], v[100:101]
	v_div_fixup_f64 v[117:118], v[96:97], v[92:93], 1.0
	v_mul_f64 v[119:120], v[90:91], -v[117:118]
.LBB114_11:
	s_or_b64 exec, exec, s[18:19]
	v_mov_b32_e32 v96, 0
	v_mov_b32_e32 v94, 2
.LBB114_12:
	s_or_b64 exec, exec, s[0:1]
	s_waitcnt vmcnt(0)
	v_cmp_ne_u32_e32 vcc, v127, v89
	s_and_saveexec_b64 s[0:1], vcc
	s_xor_b64 s[0:1], exec, s[0:1]
	s_cbranch_execz .LBB114_18
; %bb.13:
	v_cmp_eq_u32_e32 vcc, 0, v127
	s_and_saveexec_b64 s[18:19], vcc
	s_cbranch_execz .LBB114_17
; %bb.14:
	v_cmp_ne_u32_e32 vcc, 0, v89
	s_xor_b64 s[20:21], s[6:7], -1
	s_and_b64 s[22:23], s[20:21], vcc
	s_and_saveexec_b64 s[20:21], s[22:23]
	s_cbranch_execz .LBB114_16
; %bb.15:
	buffer_load_dword v81, off, s[24:27], 0 offset:480 ; 4-byte Folded Reload
	buffer_load_dword v82, off, s[24:27], 0 offset:484 ; 4-byte Folded Reload
	v_ashrrev_i32_e32 v90, 31, v89
	v_lshlrev_b64 v[90:91], 2, v[89:90]
	s_waitcnt vmcnt(1)
	v_add_co_u32_e32 v90, vcc, v81, v90
	s_waitcnt vmcnt(0)
	v_addc_co_u32_e32 v91, vcc, v82, v91, vcc
	global_load_dword v92, v[90:91], off
	global_load_dword v93, v[81:82], off
	s_waitcnt vmcnt(1)
	global_store_dword v[81:82], v92, off
	v_mov_b32_e32 v84, v80
	v_mov_b32_e32 v83, v79
	;; [unrolled: 1-line block ×4, first 2 shown]
	s_waitcnt vmcnt(1)
	global_store_dword v[90:91], v93, off
.LBB114_16:
	s_or_b64 exec, exec, s[20:21]
	v_mov_b32_e32 v127, v89
.LBB114_17:
	s_or_b64 exec, exec, s[18:19]
.LBB114_18:
	s_or_saveexec_b64 s[0:1], s[0:1]
	v_mov_b32_e32 v93, v127
	s_xor_b64 exec, exec, s[0:1]
	s_cbranch_execz .LBB114_20
; %bb.19:
	buffer_load_dword v77, off, s[24:27], 0 offset:520 ; 4-byte Folded Reload
	buffer_load_dword v78, off, s[24:27], 0 offset:524 ; 4-byte Folded Reload
	;; [unrolled: 1-line block ×4, first 2 shown]
	v_mov_b32_e32 v93, 0
	s_waitcnt vmcnt(0)
	ds_write2_b64 v0, v[77:78], v[79:80] offset0:2 offset1:3
	buffer_load_dword v77, off, s[24:27], 0 offset:504 ; 4-byte Folded Reload
	buffer_load_dword v78, off, s[24:27], 0 offset:508 ; 4-byte Folded Reload
	buffer_load_dword v79, off, s[24:27], 0 offset:512 ; 4-byte Folded Reload
	buffer_load_dword v80, off, s[24:27], 0 offset:516 ; 4-byte Folded Reload
	s_waitcnt vmcnt(0)
	ds_write2_b64 v0, v[77:78], v[79:80] offset0:4 offset1:5
	buffer_load_dword v77, off, s[24:27], 0 offset:488 ; 4-byte Folded Reload
	buffer_load_dword v78, off, s[24:27], 0 offset:492 ; 4-byte Folded Reload
	buffer_load_dword v79, off, s[24:27], 0 offset:496 ; 4-byte Folded Reload
	buffer_load_dword v80, off, s[24:27], 0 offset:500 ; 4-byte Folded Reload
	;; [unrolled: 6-line block ×31, first 2 shown]
	s_waitcnt vmcnt(0)
	ds_write2_b64 v0, v[77:78], v[79:80] offset0:64 offset1:65
	ds_write2_b64 v0, v[81:82], v[83:84] offset0:66 offset1:67
	;; [unrolled: 1-line block ×5, first 2 shown]
	buffer_load_dword v77, off, s[24:27], 0 ; 4-byte Folded Reload
	buffer_load_dword v78, off, s[24:27], 0 offset:4 ; 4-byte Folded Reload
	buffer_load_dword v79, off, s[24:27], 0 offset:8 ; 4-byte Folded Reload
	;; [unrolled: 1-line block ×3, first 2 shown]
	s_waitcnt vmcnt(0)
	ds_write2_b64 v0, v[77:78], v[79:80] offset0:74 offset1:75
	ds_write2_b64 v0, v[73:74], v[75:76] offset0:76 offset1:77
	;; [unrolled: 1-line block ×21, first 2 shown]
.LBB114_20:
	s_or_b64 exec, exec, s[0:1]
	v_cmp_lt_i32_e32 vcc, 0, v93
	s_waitcnt vmcnt(0) lgkmcnt(0)
	s_barrier
	s_and_saveexec_b64 s[0:1], vcc
	s_cbranch_execz .LBB114_22
; %bb.21:
	buffer_load_dword v99, off, s[24:27], 0 offset:536 ; 4-byte Folded Reload
	buffer_load_dword v100, off, s[24:27], 0 offset:540 ; 4-byte Folded Reload
	;; [unrolled: 1-line block ×4, first 2 shown]
	s_waitcnt vmcnt(0)
	v_mul_f64 v[89:90], v[119:120], v[101:102]
	v_fma_f64 v[125:126], v[117:118], v[99:100], -v[89:90]
	v_mul_f64 v[89:90], v[117:118], v[101:102]
	v_fma_f64 v[101:102], v[119:120], v[99:100], v[89:90]
	ds_read2_b64 v[89:92], v0 offset0:2 offset1:3
	buffer_load_dword v77, off, s[24:27], 0 offset:520 ; 4-byte Folded Reload
	buffer_load_dword v78, off, s[24:27], 0 offset:524 ; 4-byte Folded Reload
	buffer_load_dword v79, off, s[24:27], 0 offset:528 ; 4-byte Folded Reload
	buffer_load_dword v80, off, s[24:27], 0 offset:532 ; 4-byte Folded Reload
	s_waitcnt lgkmcnt(0)
	v_mul_f64 v[97:98], v[91:92], v[101:102]
	v_fma_f64 v[97:98], v[89:90], v[125:126], -v[97:98]
	v_mul_f64 v[89:90], v[89:90], v[101:102]
	v_fma_f64 v[89:90], v[91:92], v[125:126], v[89:90]
	s_waitcnt vmcnt(2)
	v_add_f64 v[77:78], v[77:78], -v[97:98]
	s_waitcnt vmcnt(0)
	v_add_f64 v[79:80], v[79:80], -v[89:90]
	buffer_store_dword v77, off, s[24:27], 0 offset:520 ; 4-byte Folded Spill
	s_nop 0
	buffer_store_dword v78, off, s[24:27], 0 offset:524 ; 4-byte Folded Spill
	buffer_store_dword v79, off, s[24:27], 0 offset:528 ; 4-byte Folded Spill
	buffer_store_dword v80, off, s[24:27], 0 offset:532 ; 4-byte Folded Spill
	ds_read2_b64 v[89:92], v0 offset0:4 offset1:5
	buffer_load_dword v77, off, s[24:27], 0 offset:504 ; 4-byte Folded Reload
	buffer_load_dword v78, off, s[24:27], 0 offset:508 ; 4-byte Folded Reload
	buffer_load_dword v79, off, s[24:27], 0 offset:512 ; 4-byte Folded Reload
	buffer_load_dword v80, off, s[24:27], 0 offset:516 ; 4-byte Folded Reload
	s_waitcnt lgkmcnt(0)
	v_mul_f64 v[97:98], v[91:92], v[101:102]
	v_fma_f64 v[97:98], v[89:90], v[125:126], -v[97:98]
	v_mul_f64 v[89:90], v[89:90], v[101:102]
	v_fma_f64 v[89:90], v[91:92], v[125:126], v[89:90]
	s_waitcnt vmcnt(2)
	v_add_f64 v[77:78], v[77:78], -v[97:98]
	s_waitcnt vmcnt(0)
	v_add_f64 v[79:80], v[79:80], -v[89:90]
	buffer_store_dword v77, off, s[24:27], 0 offset:504 ; 4-byte Folded Spill
	s_nop 0
	buffer_store_dword v78, off, s[24:27], 0 offset:508 ; 4-byte Folded Spill
	buffer_store_dword v79, off, s[24:27], 0 offset:512 ; 4-byte Folded Spill
	buffer_store_dword v80, off, s[24:27], 0 offset:516 ; 4-byte Folded Spill
	;; [unrolled: 19-line block ×32, first 2 shown]
	ds_read2_b64 v[89:92], v0 offset0:66 offset1:67
	s_waitcnt lgkmcnt(0)
	v_mul_f64 v[97:98], v[91:92], v[101:102]
	v_fma_f64 v[97:98], v[89:90], v[125:126], -v[97:98]
	v_mul_f64 v[89:90], v[89:90], v[101:102]
	v_add_f64 v[81:82], v[81:82], -v[97:98]
	v_fma_f64 v[89:90], v[91:92], v[125:126], v[89:90]
	v_add_f64 v[83:84], v[83:84], -v[89:90]
	ds_read2_b64 v[89:92], v0 offset0:68 offset1:69
	s_waitcnt lgkmcnt(0)
	v_mul_f64 v[97:98], v[91:92], v[101:102]
	v_fma_f64 v[97:98], v[89:90], v[125:126], -v[97:98]
	v_mul_f64 v[89:90], v[89:90], v[101:102]
	v_add_f64 v[85:86], v[85:86], -v[97:98]
	v_fma_f64 v[89:90], v[91:92], v[125:126], v[89:90]
	v_add_f64 v[87:88], v[87:88], -v[89:90]
	ds_read2_b64 v[89:92], v0 offset0:70 offset1:71
	s_waitcnt lgkmcnt(0)
	v_mul_f64 v[97:98], v[91:92], v[101:102]
	v_fma_f64 v[97:98], v[89:90], v[125:126], -v[97:98]
	v_mul_f64 v[89:90], v[89:90], v[101:102]
	v_add_f64 v[109:110], v[109:110], -v[97:98]
	v_fma_f64 v[89:90], v[91:92], v[125:126], v[89:90]
	v_add_f64 v[111:112], v[111:112], -v[89:90]
	ds_read2_b64 v[89:92], v0 offset0:72 offset1:73
	s_waitcnt lgkmcnt(0)
	v_mul_f64 v[97:98], v[91:92], v[101:102]
	v_fma_f64 v[97:98], v[89:90], v[125:126], -v[97:98]
	v_mul_f64 v[89:90], v[89:90], v[101:102]
	v_add_f64 v[113:114], v[113:114], -v[97:98]
	v_fma_f64 v[89:90], v[91:92], v[125:126], v[89:90]
	v_add_f64 v[115:116], v[115:116], -v[89:90]
	ds_read2_b64 v[89:92], v0 offset0:74 offset1:75
	buffer_load_dword v77, off, s[24:27], 0 ; 4-byte Folded Reload
	buffer_load_dword v78, off, s[24:27], 0 offset:4 ; 4-byte Folded Reload
	buffer_load_dword v79, off, s[24:27], 0 offset:8 ; 4-byte Folded Reload
	;; [unrolled: 1-line block ×3, first 2 shown]
	s_waitcnt lgkmcnt(0)
	v_mul_f64 v[97:98], v[91:92], v[101:102]
	v_fma_f64 v[97:98], v[89:90], v[125:126], -v[97:98]
	v_mul_f64 v[89:90], v[89:90], v[101:102]
	v_fma_f64 v[89:90], v[91:92], v[125:126], v[89:90]
	s_waitcnt vmcnt(2)
	v_add_f64 v[77:78], v[77:78], -v[97:98]
	s_waitcnt vmcnt(0)
	v_add_f64 v[79:80], v[79:80], -v[89:90]
	buffer_store_dword v77, off, s[24:27], 0 ; 4-byte Folded Spill
	s_nop 0
	buffer_store_dword v78, off, s[24:27], 0 offset:4 ; 4-byte Folded Spill
	buffer_store_dword v79, off, s[24:27], 0 offset:8 ; 4-byte Folded Spill
	;; [unrolled: 1-line block ×3, first 2 shown]
	ds_read2_b64 v[89:92], v0 offset0:76 offset1:77
	s_waitcnt lgkmcnt(0)
	v_mul_f64 v[97:98], v[91:92], v[101:102]
	v_fma_f64 v[97:98], v[89:90], v[125:126], -v[97:98]
	v_mul_f64 v[89:90], v[89:90], v[101:102]
	v_add_f64 v[73:74], v[73:74], -v[97:98]
	v_fma_f64 v[89:90], v[91:92], v[125:126], v[89:90]
	v_add_f64 v[75:76], v[75:76], -v[89:90]
	ds_read2_b64 v[89:92], v0 offset0:78 offset1:79
	s_waitcnt lgkmcnt(0)
	v_mul_f64 v[97:98], v[91:92], v[101:102]
	v_fma_f64 v[97:98], v[89:90], v[125:126], -v[97:98]
	v_mul_f64 v[89:90], v[89:90], v[101:102]
	v_add_f64 v[69:70], v[69:70], -v[97:98]
	v_fma_f64 v[89:90], v[91:92], v[125:126], v[89:90]
	v_add_f64 v[71:72], v[71:72], -v[89:90]
	ds_read2_b64 v[89:92], v0 offset0:80 offset1:81
	s_waitcnt lgkmcnt(0)
	v_mul_f64 v[97:98], v[91:92], v[101:102]
	v_fma_f64 v[97:98], v[89:90], v[125:126], -v[97:98]
	v_mul_f64 v[89:90], v[89:90], v[101:102]
	v_add_f64 v[65:66], v[65:66], -v[97:98]
	v_fma_f64 v[89:90], v[91:92], v[125:126], v[89:90]
	v_add_f64 v[67:68], v[67:68], -v[89:90]
	ds_read2_b64 v[89:92], v0 offset0:82 offset1:83
	s_waitcnt lgkmcnt(0)
	v_mul_f64 v[97:98], v[91:92], v[101:102]
	v_fma_f64 v[97:98], v[89:90], v[125:126], -v[97:98]
	v_mul_f64 v[89:90], v[89:90], v[101:102]
	v_add_f64 v[61:62], v[61:62], -v[97:98]
	v_fma_f64 v[89:90], v[91:92], v[125:126], v[89:90]
	v_add_f64 v[63:64], v[63:64], -v[89:90]
	ds_read2_b64 v[89:92], v0 offset0:84 offset1:85
	s_waitcnt lgkmcnt(0)
	v_mul_f64 v[97:98], v[91:92], v[101:102]
	v_fma_f64 v[97:98], v[89:90], v[125:126], -v[97:98]
	v_mul_f64 v[89:90], v[89:90], v[101:102]
	v_add_f64 v[57:58], v[57:58], -v[97:98]
	v_fma_f64 v[89:90], v[91:92], v[125:126], v[89:90]
	v_add_f64 v[59:60], v[59:60], -v[89:90]
	ds_read2_b64 v[89:92], v0 offset0:86 offset1:87
	s_waitcnt lgkmcnt(0)
	v_mul_f64 v[97:98], v[91:92], v[101:102]
	v_fma_f64 v[97:98], v[89:90], v[125:126], -v[97:98]
	v_mul_f64 v[89:90], v[89:90], v[101:102]
	v_add_f64 v[53:54], v[53:54], -v[97:98]
	v_fma_f64 v[89:90], v[91:92], v[125:126], v[89:90]
	v_add_f64 v[55:56], v[55:56], -v[89:90]
	ds_read2_b64 v[89:92], v0 offset0:88 offset1:89
	s_waitcnt lgkmcnt(0)
	v_mul_f64 v[97:98], v[91:92], v[101:102]
	v_fma_f64 v[97:98], v[89:90], v[125:126], -v[97:98]
	v_mul_f64 v[89:90], v[89:90], v[101:102]
	v_add_f64 v[49:50], v[49:50], -v[97:98]
	v_fma_f64 v[89:90], v[91:92], v[125:126], v[89:90]
	v_add_f64 v[51:52], v[51:52], -v[89:90]
	ds_read2_b64 v[89:92], v0 offset0:90 offset1:91
	s_waitcnt lgkmcnt(0)
	v_mul_f64 v[97:98], v[91:92], v[101:102]
	v_fma_f64 v[97:98], v[89:90], v[125:126], -v[97:98]
	v_mul_f64 v[89:90], v[89:90], v[101:102]
	v_add_f64 v[45:46], v[45:46], -v[97:98]
	v_fma_f64 v[89:90], v[91:92], v[125:126], v[89:90]
	v_add_f64 v[47:48], v[47:48], -v[89:90]
	ds_read2_b64 v[89:92], v0 offset0:92 offset1:93
	s_waitcnt lgkmcnt(0)
	v_mul_f64 v[97:98], v[91:92], v[101:102]
	v_fma_f64 v[97:98], v[89:90], v[125:126], -v[97:98]
	v_mul_f64 v[89:90], v[89:90], v[101:102]
	v_add_f64 v[41:42], v[41:42], -v[97:98]
	v_fma_f64 v[89:90], v[91:92], v[125:126], v[89:90]
	v_add_f64 v[43:44], v[43:44], -v[89:90]
	ds_read2_b64 v[89:92], v0 offset0:94 offset1:95
	s_waitcnt lgkmcnt(0)
	v_mul_f64 v[97:98], v[91:92], v[101:102]
	v_fma_f64 v[97:98], v[89:90], v[125:126], -v[97:98]
	v_mul_f64 v[89:90], v[89:90], v[101:102]
	v_add_f64 v[37:38], v[37:38], -v[97:98]
	v_fma_f64 v[89:90], v[91:92], v[125:126], v[89:90]
	v_add_f64 v[39:40], v[39:40], -v[89:90]
	ds_read2_b64 v[89:92], v0 offset0:96 offset1:97
	s_waitcnt lgkmcnt(0)
	v_mul_f64 v[97:98], v[91:92], v[101:102]
	v_fma_f64 v[97:98], v[89:90], v[125:126], -v[97:98]
	v_mul_f64 v[89:90], v[89:90], v[101:102]
	v_add_f64 v[33:34], v[33:34], -v[97:98]
	v_fma_f64 v[89:90], v[91:92], v[125:126], v[89:90]
	v_add_f64 v[35:36], v[35:36], -v[89:90]
	ds_read2_b64 v[89:92], v0 offset0:98 offset1:99
	s_waitcnt lgkmcnt(0)
	v_mul_f64 v[97:98], v[91:92], v[101:102]
	v_fma_f64 v[97:98], v[89:90], v[125:126], -v[97:98]
	v_mul_f64 v[89:90], v[89:90], v[101:102]
	v_add_f64 v[29:30], v[29:30], -v[97:98]
	v_fma_f64 v[89:90], v[91:92], v[125:126], v[89:90]
	v_add_f64 v[31:32], v[31:32], -v[89:90]
	ds_read2_b64 v[89:92], v0 offset0:100 offset1:101
	s_waitcnt lgkmcnt(0)
	v_mul_f64 v[97:98], v[91:92], v[101:102]
	v_fma_f64 v[97:98], v[89:90], v[125:126], -v[97:98]
	v_mul_f64 v[89:90], v[89:90], v[101:102]
	v_add_f64 v[25:26], v[25:26], -v[97:98]
	v_fma_f64 v[89:90], v[91:92], v[125:126], v[89:90]
	v_add_f64 v[27:28], v[27:28], -v[89:90]
	ds_read2_b64 v[89:92], v0 offset0:102 offset1:103
	s_waitcnt lgkmcnt(0)
	v_mul_f64 v[97:98], v[91:92], v[101:102]
	v_fma_f64 v[97:98], v[89:90], v[125:126], -v[97:98]
	v_mul_f64 v[89:90], v[89:90], v[101:102]
	v_add_f64 v[21:22], v[21:22], -v[97:98]
	v_fma_f64 v[89:90], v[91:92], v[125:126], v[89:90]
	v_add_f64 v[23:24], v[23:24], -v[89:90]
	ds_read2_b64 v[89:92], v0 offset0:104 offset1:105
	s_waitcnt lgkmcnt(0)
	v_mul_f64 v[97:98], v[91:92], v[101:102]
	v_fma_f64 v[97:98], v[89:90], v[125:126], -v[97:98]
	v_mul_f64 v[89:90], v[89:90], v[101:102]
	v_add_f64 v[17:18], v[17:18], -v[97:98]
	v_fma_f64 v[89:90], v[91:92], v[125:126], v[89:90]
	v_add_f64 v[19:20], v[19:20], -v[89:90]
	ds_read2_b64 v[89:92], v0 offset0:106 offset1:107
	s_waitcnt lgkmcnt(0)
	v_mul_f64 v[97:98], v[91:92], v[101:102]
	v_fma_f64 v[97:98], v[89:90], v[125:126], -v[97:98]
	v_mul_f64 v[89:90], v[89:90], v[101:102]
	v_add_f64 v[13:14], v[13:14], -v[97:98]
	v_fma_f64 v[89:90], v[91:92], v[125:126], v[89:90]
	v_add_f64 v[15:16], v[15:16], -v[89:90]
	ds_read2_b64 v[89:92], v0 offset0:108 offset1:109
	s_waitcnt lgkmcnt(0)
	v_mul_f64 v[97:98], v[91:92], v[101:102]
	v_fma_f64 v[97:98], v[89:90], v[125:126], -v[97:98]
	v_mul_f64 v[89:90], v[89:90], v[101:102]
	v_add_f64 v[9:10], v[9:10], -v[97:98]
	v_fma_f64 v[89:90], v[91:92], v[125:126], v[89:90]
	v_add_f64 v[11:12], v[11:12], -v[89:90]
	ds_read2_b64 v[89:92], v0 offset0:110 offset1:111
	s_waitcnt lgkmcnt(0)
	v_mul_f64 v[97:98], v[91:92], v[101:102]
	v_fma_f64 v[97:98], v[89:90], v[125:126], -v[97:98]
	v_mul_f64 v[89:90], v[89:90], v[101:102]
	v_add_f64 v[5:6], v[5:6], -v[97:98]
	v_fma_f64 v[89:90], v[91:92], v[125:126], v[89:90]
	v_add_f64 v[7:8], v[7:8], -v[89:90]
	ds_read2_b64 v[89:92], v0 offset0:112 offset1:113
	s_waitcnt lgkmcnt(0)
	v_mul_f64 v[97:98], v[91:92], v[101:102]
	v_fma_f64 v[97:98], v[89:90], v[125:126], -v[97:98]
	v_mul_f64 v[89:90], v[89:90], v[101:102]
	v_add_f64 v[1:2], v[1:2], -v[97:98]
	v_fma_f64 v[89:90], v[91:92], v[125:126], v[89:90]
	ds_read2_b64 v[97:100], v0 offset0:114 offset1:115
	s_waitcnt lgkmcnt(0)
	v_mul_f64 v[91:92], v[97:98], v[101:102]
	v_add_f64 v[3:4], v[3:4], -v[89:90]
	v_mul_f64 v[89:90], v[99:100], v[101:102]
	v_fma_f64 v[91:92], v[99:100], v[125:126], v[91:92]
	v_mov_b32_e32 v99, v125
	v_mov_b32_e32 v100, v126
	v_fma_f64 v[89:90], v[97:98], v[125:126], -v[89:90]
	buffer_store_dword v99, off, s[24:27], 0 offset:536 ; 4-byte Folded Spill
	s_nop 0
	buffer_store_dword v100, off, s[24:27], 0 offset:540 ; 4-byte Folded Spill
	buffer_store_dword v101, off, s[24:27], 0 offset:544 ; 4-byte Folded Spill
	;; [unrolled: 1-line block ×3, first 2 shown]
	v_add_f64 v[123:124], v[123:124], -v[91:92]
	v_add_f64 v[121:122], v[121:122], -v[89:90]
.LBB114_22:
	s_or_b64 exec, exec, s[0:1]
	s_waitcnt vmcnt(0)
	s_barrier
	buffer_load_dword v77, off, s[24:27], 0 offset:520 ; 4-byte Folded Reload
	buffer_load_dword v78, off, s[24:27], 0 offset:524 ; 4-byte Folded Reload
	;; [unrolled: 1-line block ×4, first 2 shown]
	v_lshl_add_u32 v89, v93, 4, v0
	s_cmp_lt_i32 s3, 3
	s_waitcnt vmcnt(0)
	ds_write2_b64 v89, v[77:78], v[79:80] offset1:1
	s_waitcnt lgkmcnt(0)
	s_barrier
	ds_read2_b64 v[117:120], v0 offset0:2 offset1:3
	v_mov_b32_e32 v89, 1
	s_cbranch_scc1 .LBB114_25
; %bb.23:
	v_add3_u32 v90, v95, 0, 32
	s_mov_b32 s0, 2
	v_mov_b32_e32 v89, 1
.LBB114_24:                             ; =>This Inner Loop Header: Depth=1
	s_waitcnt lgkmcnt(0)
	v_cmp_gt_f64_e32 vcc, 0, v[117:118]
	v_xor_b32_e32 v91, 0x80000000, v118
	ds_read2_b64 v[97:100], v90 offset1:1
	v_xor_b32_e32 v101, 0x80000000, v120
	v_add_u32_e32 v90, 16, v90
	s_waitcnt lgkmcnt(0)
	v_xor_b32_e32 v103, 0x80000000, v100
	v_cndmask_b32_e32 v92, v118, v91, vcc
	v_cmp_gt_f64_e32 vcc, 0, v[119:120]
	v_mov_b32_e32 v91, v117
	v_cndmask_b32_e32 v102, v120, v101, vcc
	v_cmp_gt_f64_e32 vcc, 0, v[97:98]
	v_mov_b32_e32 v101, v119
	v_add_f64 v[91:92], v[91:92], v[101:102]
	v_xor_b32_e32 v101, 0x80000000, v98
	v_cndmask_b32_e32 v102, v98, v101, vcc
	v_cmp_gt_f64_e32 vcc, 0, v[99:100]
	v_mov_b32_e32 v101, v97
	v_cndmask_b32_e32 v104, v100, v103, vcc
	v_mov_b32_e32 v103, v99
	v_add_f64 v[101:102], v[101:102], v[103:104]
	v_cmp_lt_f64_e32 vcc, v[91:92], v[101:102]
	v_mov_b32_e32 v91, s0
	s_add_i32 s0, s0, 1
	s_cmp_lg_u32 s3, s0
	v_cndmask_b32_e32 v118, v118, v98, vcc
	v_cndmask_b32_e32 v117, v117, v97, vcc
	;; [unrolled: 1-line block ×5, first 2 shown]
	s_cbranch_scc1 .LBB114_24
.LBB114_25:
	s_waitcnt lgkmcnt(0)
	v_cmp_neq_f64_e32 vcc, 0, v[117:118]
	v_cmp_neq_f64_e64 s[0:1], 0, v[119:120]
	s_or_b64 s[18:19], vcc, s[0:1]
	s_and_saveexec_b64 s[0:1], s[18:19]
	s_cbranch_execz .LBB114_31
; %bb.26:
	v_cmp_ngt_f64_e64 s[18:19], |v[117:118]|, |v[119:120]|
	s_and_saveexec_b64 s[20:21], s[18:19]
	s_xor_b64 s[18:19], exec, s[20:21]
	s_cbranch_execz .LBB114_28
; %bb.27:
	v_div_scale_f64 v[90:91], s[20:21], v[119:120], v[119:120], v[117:118]
	v_rcp_f64_e32 v[97:98], v[90:91]
	v_fma_f64 v[99:100], -v[90:91], v[97:98], 1.0
	v_fma_f64 v[97:98], v[97:98], v[99:100], v[97:98]
	v_div_scale_f64 v[99:100], vcc, v[117:118], v[119:120], v[117:118]
	v_fma_f64 v[101:102], -v[90:91], v[97:98], 1.0
	v_fma_f64 v[97:98], v[97:98], v[101:102], v[97:98]
	v_mul_f64 v[101:102], v[99:100], v[97:98]
	v_fma_f64 v[90:91], -v[90:91], v[101:102], v[99:100]
	v_div_fmas_f64 v[90:91], v[90:91], v[97:98], v[101:102]
	v_div_fixup_f64 v[90:91], v[90:91], v[119:120], v[117:118]
	v_fma_f64 v[97:98], v[117:118], v[90:91], v[119:120]
	v_div_scale_f64 v[99:100], s[20:21], v[97:98], v[97:98], 1.0
	v_div_scale_f64 v[105:106], vcc, 1.0, v[97:98], 1.0
	v_rcp_f64_e32 v[101:102], v[99:100]
	v_fma_f64 v[103:104], -v[99:100], v[101:102], 1.0
	v_fma_f64 v[101:102], v[101:102], v[103:104], v[101:102]
	v_fma_f64 v[103:104], -v[99:100], v[101:102], 1.0
	v_fma_f64 v[101:102], v[101:102], v[103:104], v[101:102]
	v_mul_f64 v[103:104], v[105:106], v[101:102]
	v_fma_f64 v[99:100], -v[99:100], v[103:104], v[105:106]
	v_div_fmas_f64 v[99:100], v[99:100], v[101:102], v[103:104]
	v_div_fixup_f64 v[119:120], v[99:100], v[97:98], 1.0
	v_mul_f64 v[117:118], v[90:91], v[119:120]
	v_xor_b32_e32 v120, 0x80000000, v120
.LBB114_28:
	s_andn2_saveexec_b64 s[18:19], s[18:19]
	s_cbranch_execz .LBB114_30
; %bb.29:
	v_div_scale_f64 v[90:91], s[20:21], v[117:118], v[117:118], v[119:120]
	v_rcp_f64_e32 v[97:98], v[90:91]
	v_fma_f64 v[99:100], -v[90:91], v[97:98], 1.0
	v_fma_f64 v[97:98], v[97:98], v[99:100], v[97:98]
	v_div_scale_f64 v[99:100], vcc, v[119:120], v[117:118], v[119:120]
	v_fma_f64 v[101:102], -v[90:91], v[97:98], 1.0
	v_fma_f64 v[97:98], v[97:98], v[101:102], v[97:98]
	v_mul_f64 v[101:102], v[99:100], v[97:98]
	v_fma_f64 v[90:91], -v[90:91], v[101:102], v[99:100]
	v_div_fmas_f64 v[90:91], v[90:91], v[97:98], v[101:102]
	v_div_fixup_f64 v[90:91], v[90:91], v[117:118], v[119:120]
	v_fma_f64 v[97:98], v[119:120], v[90:91], v[117:118]
	v_div_scale_f64 v[99:100], s[20:21], v[97:98], v[97:98], 1.0
	v_div_scale_f64 v[105:106], vcc, 1.0, v[97:98], 1.0
	v_rcp_f64_e32 v[101:102], v[99:100]
	v_fma_f64 v[103:104], -v[99:100], v[101:102], 1.0
	v_fma_f64 v[101:102], v[101:102], v[103:104], v[101:102]
	v_fma_f64 v[103:104], -v[99:100], v[101:102], 1.0
	v_fma_f64 v[101:102], v[101:102], v[103:104], v[101:102]
	v_mul_f64 v[103:104], v[105:106], v[101:102]
	v_fma_f64 v[99:100], -v[99:100], v[103:104], v[105:106]
	v_div_fmas_f64 v[99:100], v[99:100], v[101:102], v[103:104]
	v_div_fixup_f64 v[117:118], v[99:100], v[97:98], 1.0
	v_mul_f64 v[119:120], v[90:91], -v[117:118]
.LBB114_30:
	s_or_b64 exec, exec, s[18:19]
	v_mov_b32_e32 v94, v96
.LBB114_31:
	s_or_b64 exec, exec, s[0:1]
	v_cmp_ne_u32_e32 vcc, v93, v89
	s_and_saveexec_b64 s[0:1], vcc
	s_xor_b64 s[0:1], exec, s[0:1]
	s_cbranch_execz .LBB114_37
; %bb.32:
	v_cmp_eq_u32_e32 vcc, 1, v93
	s_and_saveexec_b64 s[18:19], vcc
	s_cbranch_execz .LBB114_36
; %bb.33:
	v_cmp_ne_u32_e32 vcc, 1, v89
	s_xor_b64 s[20:21], s[6:7], -1
	s_and_b64 s[22:23], s[20:21], vcc
	s_and_saveexec_b64 s[20:21], s[22:23]
	s_cbranch_execz .LBB114_35
; %bb.34:
	v_mov_b32_e32 v77, v81
	v_mov_b32_e32 v78, v82
	;; [unrolled: 1-line block ×4, first 2 shown]
	buffer_load_dword v81, off, s[24:27], 0 offset:480 ; 4-byte Folded Reload
	buffer_load_dword v82, off, s[24:27], 0 offset:484 ; 4-byte Folded Reload
	v_ashrrev_i32_e32 v90, 31, v89
	v_lshlrev_b64 v[90:91], 2, v[89:90]
	s_waitcnt vmcnt(1)
	v_add_co_u32_e32 v90, vcc, v81, v90
	s_waitcnt vmcnt(0)
	v_addc_co_u32_e32 v91, vcc, v82, v91, vcc
	global_load_dword v92, v[90:91], off
	global_load_dword v93, v[81:82], off offset:4
	s_waitcnt vmcnt(1)
	global_store_dword v[81:82], v92, off offset:4
	v_mov_b32_e32 v84, v80
	v_mov_b32_e32 v83, v79
	;; [unrolled: 1-line block ×4, first 2 shown]
	s_waitcnt vmcnt(1)
	global_store_dword v[90:91], v93, off
.LBB114_35:
	s_or_b64 exec, exec, s[20:21]
	v_mov_b32_e32 v93, v89
	v_mov_b32_e32 v127, v89
.LBB114_36:
	s_or_b64 exec, exec, s[18:19]
.LBB114_37:
	s_andn2_saveexec_b64 s[0:1], s[0:1]
	s_cbranch_execz .LBB114_39
; %bb.38:
	buffer_load_dword v77, off, s[24:27], 0 offset:504 ; 4-byte Folded Reload
	buffer_load_dword v78, off, s[24:27], 0 offset:508 ; 4-byte Folded Reload
	;; [unrolled: 1-line block ×4, first 2 shown]
	v_mov_b32_e32 v93, 1
	s_waitcnt vmcnt(0)
	ds_write2_b64 v0, v[77:78], v[79:80] offset0:4 offset1:5
	buffer_load_dword v77, off, s[24:27], 0 offset:488 ; 4-byte Folded Reload
	buffer_load_dword v78, off, s[24:27], 0 offset:492 ; 4-byte Folded Reload
	buffer_load_dword v79, off, s[24:27], 0 offset:496 ; 4-byte Folded Reload
	buffer_load_dword v80, off, s[24:27], 0 offset:500 ; 4-byte Folded Reload
	s_waitcnt vmcnt(0)
	ds_write2_b64 v0, v[77:78], v[79:80] offset0:6 offset1:7
	buffer_load_dword v77, off, s[24:27], 0 offset:464 ; 4-byte Folded Reload
	buffer_load_dword v78, off, s[24:27], 0 offset:468 ; 4-byte Folded Reload
	buffer_load_dword v79, off, s[24:27], 0 offset:472 ; 4-byte Folded Reload
	buffer_load_dword v80, off, s[24:27], 0 offset:476 ; 4-byte Folded Reload
	;; [unrolled: 6-line block ×30, first 2 shown]
	s_waitcnt vmcnt(0)
	ds_write2_b64 v0, v[77:78], v[79:80] offset0:64 offset1:65
	ds_write2_b64 v0, v[81:82], v[83:84] offset0:66 offset1:67
	;; [unrolled: 1-line block ×5, first 2 shown]
	buffer_load_dword v77, off, s[24:27], 0 ; 4-byte Folded Reload
	buffer_load_dword v78, off, s[24:27], 0 offset:4 ; 4-byte Folded Reload
	buffer_load_dword v79, off, s[24:27], 0 offset:8 ; 4-byte Folded Reload
	;; [unrolled: 1-line block ×3, first 2 shown]
	s_waitcnt vmcnt(0)
	ds_write2_b64 v0, v[77:78], v[79:80] offset0:74 offset1:75
	ds_write2_b64 v0, v[73:74], v[75:76] offset0:76 offset1:77
	;; [unrolled: 1-line block ×21, first 2 shown]
.LBB114_39:
	s_or_b64 exec, exec, s[0:1]
	v_cmp_lt_i32_e32 vcc, 1, v93
	s_waitcnt vmcnt(0) lgkmcnt(0)
	s_barrier
	s_and_saveexec_b64 s[0:1], vcc
	s_cbranch_execz .LBB114_41
; %bb.40:
	buffer_load_dword v98, off, s[24:27], 0 offset:520 ; 4-byte Folded Reload
	buffer_load_dword v99, off, s[24:27], 0 offset:524 ; 4-byte Folded Reload
	;; [unrolled: 1-line block ×4, first 2 shown]
	s_waitcnt vmcnt(0)
	v_mul_f64 v[89:90], v[119:120], v[100:101]
	v_fma_f64 v[125:126], v[117:118], v[98:99], -v[89:90]
	v_mul_f64 v[89:90], v[117:118], v[100:101]
	v_fma_f64 v[100:101], v[119:120], v[98:99], v[89:90]
	ds_read2_b64 v[89:92], v0 offset0:4 offset1:5
	buffer_load_dword v77, off, s[24:27], 0 offset:504 ; 4-byte Folded Reload
	buffer_load_dword v78, off, s[24:27], 0 offset:508 ; 4-byte Folded Reload
	buffer_load_dword v79, off, s[24:27], 0 offset:512 ; 4-byte Folded Reload
	buffer_load_dword v80, off, s[24:27], 0 offset:516 ; 4-byte Folded Reload
	s_waitcnt lgkmcnt(0)
	v_mul_f64 v[96:97], v[91:92], v[100:101]
	v_fma_f64 v[96:97], v[89:90], v[125:126], -v[96:97]
	v_mul_f64 v[89:90], v[89:90], v[100:101]
	v_fma_f64 v[89:90], v[91:92], v[125:126], v[89:90]
	s_waitcnt vmcnt(2)
	v_add_f64 v[77:78], v[77:78], -v[96:97]
	s_waitcnt vmcnt(0)
	v_add_f64 v[79:80], v[79:80], -v[89:90]
	buffer_store_dword v77, off, s[24:27], 0 offset:504 ; 4-byte Folded Spill
	s_nop 0
	buffer_store_dword v78, off, s[24:27], 0 offset:508 ; 4-byte Folded Spill
	buffer_store_dword v79, off, s[24:27], 0 offset:512 ; 4-byte Folded Spill
	buffer_store_dword v80, off, s[24:27], 0 offset:516 ; 4-byte Folded Spill
	ds_read2_b64 v[89:92], v0 offset0:6 offset1:7
	buffer_load_dword v77, off, s[24:27], 0 offset:488 ; 4-byte Folded Reload
	buffer_load_dword v78, off, s[24:27], 0 offset:492 ; 4-byte Folded Reload
	buffer_load_dword v79, off, s[24:27], 0 offset:496 ; 4-byte Folded Reload
	buffer_load_dword v80, off, s[24:27], 0 offset:500 ; 4-byte Folded Reload
	s_waitcnt lgkmcnt(0)
	v_mul_f64 v[96:97], v[91:92], v[100:101]
	v_fma_f64 v[96:97], v[89:90], v[125:126], -v[96:97]
	v_mul_f64 v[89:90], v[89:90], v[100:101]
	v_fma_f64 v[89:90], v[91:92], v[125:126], v[89:90]
	s_waitcnt vmcnt(2)
	v_add_f64 v[77:78], v[77:78], -v[96:97]
	s_waitcnt vmcnt(0)
	v_add_f64 v[79:80], v[79:80], -v[89:90]
	buffer_store_dword v77, off, s[24:27], 0 offset:488 ; 4-byte Folded Spill
	s_nop 0
	buffer_store_dword v78, off, s[24:27], 0 offset:492 ; 4-byte Folded Spill
	buffer_store_dword v79, off, s[24:27], 0 offset:496 ; 4-byte Folded Spill
	buffer_store_dword v80, off, s[24:27], 0 offset:500 ; 4-byte Folded Spill
	;; [unrolled: 19-line block ×31, first 2 shown]
	ds_read2_b64 v[89:92], v0 offset0:66 offset1:67
	s_waitcnt lgkmcnt(0)
	v_mul_f64 v[96:97], v[91:92], v[100:101]
	v_fma_f64 v[96:97], v[89:90], v[125:126], -v[96:97]
	v_mul_f64 v[89:90], v[89:90], v[100:101]
	v_add_f64 v[81:82], v[81:82], -v[96:97]
	v_fma_f64 v[89:90], v[91:92], v[125:126], v[89:90]
	v_add_f64 v[83:84], v[83:84], -v[89:90]
	ds_read2_b64 v[89:92], v0 offset0:68 offset1:69
	s_waitcnt lgkmcnt(0)
	v_mul_f64 v[96:97], v[91:92], v[100:101]
	v_fma_f64 v[96:97], v[89:90], v[125:126], -v[96:97]
	v_mul_f64 v[89:90], v[89:90], v[100:101]
	v_add_f64 v[85:86], v[85:86], -v[96:97]
	v_fma_f64 v[89:90], v[91:92], v[125:126], v[89:90]
	v_add_f64 v[87:88], v[87:88], -v[89:90]
	;; [unrolled: 8-line block ×4, first 2 shown]
	ds_read2_b64 v[89:92], v0 offset0:74 offset1:75
	buffer_load_dword v77, off, s[24:27], 0 ; 4-byte Folded Reload
	buffer_load_dword v78, off, s[24:27], 0 offset:4 ; 4-byte Folded Reload
	buffer_load_dword v79, off, s[24:27], 0 offset:8 ; 4-byte Folded Reload
	;; [unrolled: 1-line block ×3, first 2 shown]
	s_waitcnt lgkmcnt(0)
	v_mul_f64 v[96:97], v[91:92], v[100:101]
	v_fma_f64 v[96:97], v[89:90], v[125:126], -v[96:97]
	v_mul_f64 v[89:90], v[89:90], v[100:101]
	v_fma_f64 v[89:90], v[91:92], v[125:126], v[89:90]
	s_waitcnt vmcnt(2)
	v_add_f64 v[77:78], v[77:78], -v[96:97]
	s_waitcnt vmcnt(0)
	v_add_f64 v[79:80], v[79:80], -v[89:90]
	buffer_store_dword v77, off, s[24:27], 0 ; 4-byte Folded Spill
	s_nop 0
	buffer_store_dword v78, off, s[24:27], 0 offset:4 ; 4-byte Folded Spill
	buffer_store_dword v79, off, s[24:27], 0 offset:8 ; 4-byte Folded Spill
	;; [unrolled: 1-line block ×3, first 2 shown]
	ds_read2_b64 v[89:92], v0 offset0:76 offset1:77
	s_waitcnt lgkmcnt(0)
	v_mul_f64 v[96:97], v[91:92], v[100:101]
	v_fma_f64 v[96:97], v[89:90], v[125:126], -v[96:97]
	v_mul_f64 v[89:90], v[89:90], v[100:101]
	v_add_f64 v[73:74], v[73:74], -v[96:97]
	v_fma_f64 v[89:90], v[91:92], v[125:126], v[89:90]
	v_add_f64 v[75:76], v[75:76], -v[89:90]
	ds_read2_b64 v[89:92], v0 offset0:78 offset1:79
	s_waitcnt lgkmcnt(0)
	v_mul_f64 v[96:97], v[91:92], v[100:101]
	v_fma_f64 v[96:97], v[89:90], v[125:126], -v[96:97]
	v_mul_f64 v[89:90], v[89:90], v[100:101]
	v_add_f64 v[69:70], v[69:70], -v[96:97]
	v_fma_f64 v[89:90], v[91:92], v[125:126], v[89:90]
	v_add_f64 v[71:72], v[71:72], -v[89:90]
	;; [unrolled: 8-line block ×18, first 2 shown]
	ds_read2_b64 v[89:92], v0 offset0:112 offset1:113
	s_waitcnt lgkmcnt(0)
	v_mul_f64 v[96:97], v[91:92], v[100:101]
	v_fma_f64 v[96:97], v[89:90], v[125:126], -v[96:97]
	v_mul_f64 v[89:90], v[89:90], v[100:101]
	v_add_f64 v[1:2], v[1:2], -v[96:97]
	v_fma_f64 v[89:90], v[91:92], v[125:126], v[89:90]
	ds_read2_b64 v[96:99], v0 offset0:114 offset1:115
	s_waitcnt lgkmcnt(0)
	v_mul_f64 v[91:92], v[96:97], v[100:101]
	v_add_f64 v[3:4], v[3:4], -v[89:90]
	v_mul_f64 v[89:90], v[98:99], v[100:101]
	v_fma_f64 v[91:92], v[98:99], v[125:126], v[91:92]
	v_mov_b32_e32 v98, v125
	v_mov_b32_e32 v99, v126
	v_fma_f64 v[89:90], v[96:97], v[125:126], -v[89:90]
	buffer_store_dword v98, off, s[24:27], 0 offset:520 ; 4-byte Folded Spill
	s_nop 0
	buffer_store_dword v99, off, s[24:27], 0 offset:524 ; 4-byte Folded Spill
	buffer_store_dword v100, off, s[24:27], 0 offset:528 ; 4-byte Folded Spill
	;; [unrolled: 1-line block ×3, first 2 shown]
	v_add_f64 v[123:124], v[123:124], -v[91:92]
	v_add_f64 v[121:122], v[121:122], -v[89:90]
.LBB114_41:
	s_or_b64 exec, exec, s[0:1]
	s_waitcnt vmcnt(0)
	s_barrier
	buffer_load_dword v77, off, s[24:27], 0 offset:504 ; 4-byte Folded Reload
	buffer_load_dword v78, off, s[24:27], 0 offset:508 ; 4-byte Folded Reload
	;; [unrolled: 1-line block ×4, first 2 shown]
	v_lshl_add_u32 v89, v93, 4, v0
	s_cmp_lt_i32 s3, 4
	s_waitcnt vmcnt(0)
	ds_write2_b64 v89, v[77:78], v[79:80] offset1:1
	s_waitcnt lgkmcnt(0)
	s_barrier
	ds_read2_b64 v[117:120], v0 offset0:4 offset1:5
	v_mov_b32_e32 v89, 2
	s_cbranch_scc1 .LBB114_44
; %bb.42:
	v_add3_u32 v90, v95, 0, 48
	s_mov_b32 s0, 3
	v_mov_b32_e32 v89, 2
.LBB114_43:                             ; =>This Inner Loop Header: Depth=1
	s_waitcnt lgkmcnt(0)
	v_cmp_gt_f64_e32 vcc, 0, v[117:118]
	v_xor_b32_e32 v91, 0x80000000, v118
	ds_read2_b64 v[96:99], v90 offset1:1
	v_xor_b32_e32 v100, 0x80000000, v120
	v_add_u32_e32 v90, 16, v90
	s_waitcnt lgkmcnt(0)
	v_xor_b32_e32 v102, 0x80000000, v99
	v_cndmask_b32_e32 v92, v118, v91, vcc
	v_cmp_gt_f64_e32 vcc, 0, v[119:120]
	v_mov_b32_e32 v91, v117
	v_cndmask_b32_e32 v101, v120, v100, vcc
	v_cmp_gt_f64_e32 vcc, 0, v[96:97]
	v_mov_b32_e32 v100, v119
	v_add_f64 v[91:92], v[91:92], v[100:101]
	v_xor_b32_e32 v100, 0x80000000, v97
	v_cndmask_b32_e32 v101, v97, v100, vcc
	v_cmp_gt_f64_e32 vcc, 0, v[98:99]
	v_mov_b32_e32 v100, v96
	v_cndmask_b32_e32 v103, v99, v102, vcc
	v_mov_b32_e32 v102, v98
	v_add_f64 v[100:101], v[100:101], v[102:103]
	v_cmp_lt_f64_e32 vcc, v[91:92], v[100:101]
	v_mov_b32_e32 v91, s0
	s_add_i32 s0, s0, 1
	s_cmp_lg_u32 s3, s0
	v_cndmask_b32_e32 v118, v118, v97, vcc
	v_cndmask_b32_e32 v117, v117, v96, vcc
	v_cndmask_b32_e32 v120, v120, v99, vcc
	v_cndmask_b32_e32 v119, v119, v98, vcc
	v_cndmask_b32_e32 v89, v89, v91, vcc
	s_cbranch_scc1 .LBB114_43
.LBB114_44:
	s_waitcnt lgkmcnt(0)
	v_cmp_eq_f64_e32 vcc, 0, v[117:118]
	v_cmp_eq_f64_e64 s[0:1], 0, v[119:120]
	s_and_b64 s[0:1], vcc, s[0:1]
	s_and_saveexec_b64 s[18:19], s[0:1]
	s_xor_b64 s[0:1], exec, s[18:19]
; %bb.45:
	v_cmp_ne_u32_e32 vcc, 0, v94
	v_cndmask_b32_e32 v94, 3, v94, vcc
; %bb.46:
	s_andn2_saveexec_b64 s[0:1], s[0:1]
	s_cbranch_execz .LBB114_52
; %bb.47:
	v_cmp_ngt_f64_e64 s[18:19], |v[117:118]|, |v[119:120]|
	s_and_saveexec_b64 s[20:21], s[18:19]
	s_xor_b64 s[18:19], exec, s[20:21]
	s_cbranch_execz .LBB114_49
; %bb.48:
	v_div_scale_f64 v[90:91], s[20:21], v[119:120], v[119:120], v[117:118]
	v_rcp_f64_e32 v[96:97], v[90:91]
	v_fma_f64 v[98:99], -v[90:91], v[96:97], 1.0
	v_fma_f64 v[96:97], v[96:97], v[98:99], v[96:97]
	v_div_scale_f64 v[98:99], vcc, v[117:118], v[119:120], v[117:118]
	v_fma_f64 v[100:101], -v[90:91], v[96:97], 1.0
	v_fma_f64 v[96:97], v[96:97], v[100:101], v[96:97]
	v_mul_f64 v[100:101], v[98:99], v[96:97]
	v_fma_f64 v[90:91], -v[90:91], v[100:101], v[98:99]
	v_div_fmas_f64 v[90:91], v[90:91], v[96:97], v[100:101]
	v_div_fixup_f64 v[90:91], v[90:91], v[119:120], v[117:118]
	v_fma_f64 v[96:97], v[117:118], v[90:91], v[119:120]
	v_div_scale_f64 v[98:99], s[20:21], v[96:97], v[96:97], 1.0
	v_div_scale_f64 v[104:105], vcc, 1.0, v[96:97], 1.0
	v_rcp_f64_e32 v[100:101], v[98:99]
	v_fma_f64 v[102:103], -v[98:99], v[100:101], 1.0
	v_fma_f64 v[100:101], v[100:101], v[102:103], v[100:101]
	v_fma_f64 v[102:103], -v[98:99], v[100:101], 1.0
	v_fma_f64 v[100:101], v[100:101], v[102:103], v[100:101]
	v_mul_f64 v[102:103], v[104:105], v[100:101]
	v_fma_f64 v[98:99], -v[98:99], v[102:103], v[104:105]
	v_div_fmas_f64 v[98:99], v[98:99], v[100:101], v[102:103]
	v_div_fixup_f64 v[119:120], v[98:99], v[96:97], 1.0
	v_mul_f64 v[117:118], v[90:91], v[119:120]
	v_xor_b32_e32 v120, 0x80000000, v120
.LBB114_49:
	s_andn2_saveexec_b64 s[18:19], s[18:19]
	s_cbranch_execz .LBB114_51
; %bb.50:
	v_div_scale_f64 v[90:91], s[20:21], v[117:118], v[117:118], v[119:120]
	v_rcp_f64_e32 v[96:97], v[90:91]
	v_fma_f64 v[98:99], -v[90:91], v[96:97], 1.0
	v_fma_f64 v[96:97], v[96:97], v[98:99], v[96:97]
	v_div_scale_f64 v[98:99], vcc, v[119:120], v[117:118], v[119:120]
	v_fma_f64 v[100:101], -v[90:91], v[96:97], 1.0
	v_fma_f64 v[96:97], v[96:97], v[100:101], v[96:97]
	v_mul_f64 v[100:101], v[98:99], v[96:97]
	v_fma_f64 v[90:91], -v[90:91], v[100:101], v[98:99]
	v_div_fmas_f64 v[90:91], v[90:91], v[96:97], v[100:101]
	v_div_fixup_f64 v[90:91], v[90:91], v[117:118], v[119:120]
	v_fma_f64 v[96:97], v[119:120], v[90:91], v[117:118]
	v_div_scale_f64 v[98:99], s[20:21], v[96:97], v[96:97], 1.0
	v_div_scale_f64 v[104:105], vcc, 1.0, v[96:97], 1.0
	v_rcp_f64_e32 v[100:101], v[98:99]
	v_fma_f64 v[102:103], -v[98:99], v[100:101], 1.0
	v_fma_f64 v[100:101], v[100:101], v[102:103], v[100:101]
	v_fma_f64 v[102:103], -v[98:99], v[100:101], 1.0
	v_fma_f64 v[100:101], v[100:101], v[102:103], v[100:101]
	v_mul_f64 v[102:103], v[104:105], v[100:101]
	v_fma_f64 v[98:99], -v[98:99], v[102:103], v[104:105]
	v_div_fmas_f64 v[98:99], v[98:99], v[100:101], v[102:103]
	v_div_fixup_f64 v[117:118], v[98:99], v[96:97], 1.0
	v_mul_f64 v[119:120], v[90:91], -v[117:118]
.LBB114_51:
	s_or_b64 exec, exec, s[18:19]
.LBB114_52:
	s_or_b64 exec, exec, s[0:1]
	v_cmp_ne_u32_e32 vcc, v93, v89
	s_and_saveexec_b64 s[0:1], vcc
	s_xor_b64 s[0:1], exec, s[0:1]
	s_cbranch_execz .LBB114_58
; %bb.53:
	v_cmp_eq_u32_e32 vcc, 2, v93
	s_and_saveexec_b64 s[18:19], vcc
	s_cbranch_execz .LBB114_57
; %bb.54:
	v_cmp_ne_u32_e32 vcc, 2, v89
	s_xor_b64 s[20:21], s[6:7], -1
	s_and_b64 s[22:23], s[20:21], vcc
	s_and_saveexec_b64 s[20:21], s[22:23]
	s_cbranch_execz .LBB114_56
; %bb.55:
	v_mov_b32_e32 v77, v81
	v_mov_b32_e32 v78, v82
	;; [unrolled: 1-line block ×4, first 2 shown]
	buffer_load_dword v81, off, s[24:27], 0 offset:480 ; 4-byte Folded Reload
	buffer_load_dword v82, off, s[24:27], 0 offset:484 ; 4-byte Folded Reload
	v_ashrrev_i32_e32 v90, 31, v89
	v_lshlrev_b64 v[90:91], 2, v[89:90]
	s_waitcnt vmcnt(1)
	v_add_co_u32_e32 v90, vcc, v81, v90
	s_waitcnt vmcnt(0)
	v_addc_co_u32_e32 v91, vcc, v82, v91, vcc
	global_load_dword v92, v[90:91], off
	global_load_dword v93, v[81:82], off offset:8
	s_waitcnt vmcnt(1)
	global_store_dword v[81:82], v92, off offset:8
	v_mov_b32_e32 v84, v80
	v_mov_b32_e32 v83, v79
	;; [unrolled: 1-line block ×4, first 2 shown]
	s_waitcnt vmcnt(1)
	global_store_dword v[90:91], v93, off
.LBB114_56:
	s_or_b64 exec, exec, s[20:21]
	v_mov_b32_e32 v93, v89
	v_mov_b32_e32 v127, v89
.LBB114_57:
	s_or_b64 exec, exec, s[18:19]
.LBB114_58:
	s_andn2_saveexec_b64 s[0:1], s[0:1]
	s_cbranch_execz .LBB114_60
; %bb.59:
	buffer_load_dword v77, off, s[24:27], 0 offset:488 ; 4-byte Folded Reload
	buffer_load_dword v78, off, s[24:27], 0 offset:492 ; 4-byte Folded Reload
	;; [unrolled: 1-line block ×4, first 2 shown]
	v_mov_b32_e32 v93, 2
	s_waitcnt vmcnt(0)
	ds_write2_b64 v0, v[77:78], v[79:80] offset0:6 offset1:7
	buffer_load_dword v77, off, s[24:27], 0 offset:464 ; 4-byte Folded Reload
	buffer_load_dword v78, off, s[24:27], 0 offset:468 ; 4-byte Folded Reload
	buffer_load_dword v79, off, s[24:27], 0 offset:472 ; 4-byte Folded Reload
	buffer_load_dword v80, off, s[24:27], 0 offset:476 ; 4-byte Folded Reload
	s_waitcnt vmcnt(0)
	ds_write2_b64 v0, v[77:78], v[79:80] offset0:8 offset1:9
	buffer_load_dword v77, off, s[24:27], 0 offset:448 ; 4-byte Folded Reload
	buffer_load_dword v78, off, s[24:27], 0 offset:452 ; 4-byte Folded Reload
	buffer_load_dword v79, off, s[24:27], 0 offset:456 ; 4-byte Folded Reload
	buffer_load_dword v80, off, s[24:27], 0 offset:460 ; 4-byte Folded Reload
	;; [unrolled: 6-line block ×29, first 2 shown]
	s_waitcnt vmcnt(0)
	ds_write2_b64 v0, v[77:78], v[79:80] offset0:64 offset1:65
	ds_write2_b64 v0, v[81:82], v[83:84] offset0:66 offset1:67
	;; [unrolled: 1-line block ×5, first 2 shown]
	buffer_load_dword v77, off, s[24:27], 0 ; 4-byte Folded Reload
	buffer_load_dword v78, off, s[24:27], 0 offset:4 ; 4-byte Folded Reload
	buffer_load_dword v79, off, s[24:27], 0 offset:8 ; 4-byte Folded Reload
	;; [unrolled: 1-line block ×3, first 2 shown]
	s_waitcnt vmcnt(0)
	ds_write2_b64 v0, v[77:78], v[79:80] offset0:74 offset1:75
	ds_write2_b64 v0, v[73:74], v[75:76] offset0:76 offset1:77
	;; [unrolled: 1-line block ×21, first 2 shown]
.LBB114_60:
	s_or_b64 exec, exec, s[0:1]
	v_cmp_lt_i32_e32 vcc, 2, v93
	s_waitcnt vmcnt(0) lgkmcnt(0)
	s_barrier
	s_and_saveexec_b64 s[0:1], vcc
	s_cbranch_execz .LBB114_62
; %bb.61:
	buffer_load_dword v98, off, s[24:27], 0 offset:504 ; 4-byte Folded Reload
	buffer_load_dword v99, off, s[24:27], 0 offset:508 ; 4-byte Folded Reload
	;; [unrolled: 1-line block ×4, first 2 shown]
	s_waitcnt vmcnt(0)
	v_mul_f64 v[89:90], v[119:120], v[100:101]
	v_fma_f64 v[125:126], v[117:118], v[98:99], -v[89:90]
	v_mul_f64 v[89:90], v[117:118], v[100:101]
	v_fma_f64 v[100:101], v[119:120], v[98:99], v[89:90]
	ds_read2_b64 v[89:92], v0 offset0:6 offset1:7
	buffer_load_dword v77, off, s[24:27], 0 offset:488 ; 4-byte Folded Reload
	buffer_load_dword v78, off, s[24:27], 0 offset:492 ; 4-byte Folded Reload
	buffer_load_dword v79, off, s[24:27], 0 offset:496 ; 4-byte Folded Reload
	buffer_load_dword v80, off, s[24:27], 0 offset:500 ; 4-byte Folded Reload
	s_waitcnt lgkmcnt(0)
	v_mul_f64 v[96:97], v[91:92], v[100:101]
	v_fma_f64 v[96:97], v[89:90], v[125:126], -v[96:97]
	v_mul_f64 v[89:90], v[89:90], v[100:101]
	v_fma_f64 v[89:90], v[91:92], v[125:126], v[89:90]
	s_waitcnt vmcnt(2)
	v_add_f64 v[77:78], v[77:78], -v[96:97]
	s_waitcnt vmcnt(0)
	v_add_f64 v[79:80], v[79:80], -v[89:90]
	buffer_store_dword v77, off, s[24:27], 0 offset:488 ; 4-byte Folded Spill
	s_nop 0
	buffer_store_dword v78, off, s[24:27], 0 offset:492 ; 4-byte Folded Spill
	buffer_store_dword v79, off, s[24:27], 0 offset:496 ; 4-byte Folded Spill
	buffer_store_dword v80, off, s[24:27], 0 offset:500 ; 4-byte Folded Spill
	ds_read2_b64 v[89:92], v0 offset0:8 offset1:9
	buffer_load_dword v77, off, s[24:27], 0 offset:464 ; 4-byte Folded Reload
	buffer_load_dword v78, off, s[24:27], 0 offset:468 ; 4-byte Folded Reload
	buffer_load_dword v79, off, s[24:27], 0 offset:472 ; 4-byte Folded Reload
	buffer_load_dword v80, off, s[24:27], 0 offset:476 ; 4-byte Folded Reload
	s_waitcnt lgkmcnt(0)
	v_mul_f64 v[96:97], v[91:92], v[100:101]
	v_fma_f64 v[96:97], v[89:90], v[125:126], -v[96:97]
	v_mul_f64 v[89:90], v[89:90], v[100:101]
	v_fma_f64 v[89:90], v[91:92], v[125:126], v[89:90]
	s_waitcnt vmcnt(2)
	v_add_f64 v[77:78], v[77:78], -v[96:97]
	s_waitcnt vmcnt(0)
	v_add_f64 v[79:80], v[79:80], -v[89:90]
	buffer_store_dword v77, off, s[24:27], 0 offset:464 ; 4-byte Folded Spill
	s_nop 0
	buffer_store_dword v78, off, s[24:27], 0 offset:468 ; 4-byte Folded Spill
	buffer_store_dword v79, off, s[24:27], 0 offset:472 ; 4-byte Folded Spill
	buffer_store_dword v80, off, s[24:27], 0 offset:476 ; 4-byte Folded Spill
	;; [unrolled: 19-line block ×30, first 2 shown]
	ds_read2_b64 v[89:92], v0 offset0:66 offset1:67
	s_waitcnt lgkmcnt(0)
	v_mul_f64 v[96:97], v[91:92], v[100:101]
	v_fma_f64 v[96:97], v[89:90], v[125:126], -v[96:97]
	v_mul_f64 v[89:90], v[89:90], v[100:101]
	v_add_f64 v[81:82], v[81:82], -v[96:97]
	v_fma_f64 v[89:90], v[91:92], v[125:126], v[89:90]
	v_add_f64 v[83:84], v[83:84], -v[89:90]
	ds_read2_b64 v[89:92], v0 offset0:68 offset1:69
	s_waitcnt lgkmcnt(0)
	v_mul_f64 v[96:97], v[91:92], v[100:101]
	v_fma_f64 v[96:97], v[89:90], v[125:126], -v[96:97]
	v_mul_f64 v[89:90], v[89:90], v[100:101]
	v_add_f64 v[85:86], v[85:86], -v[96:97]
	v_fma_f64 v[89:90], v[91:92], v[125:126], v[89:90]
	v_add_f64 v[87:88], v[87:88], -v[89:90]
	;; [unrolled: 8-line block ×4, first 2 shown]
	ds_read2_b64 v[89:92], v0 offset0:74 offset1:75
	buffer_load_dword v77, off, s[24:27], 0 ; 4-byte Folded Reload
	buffer_load_dword v78, off, s[24:27], 0 offset:4 ; 4-byte Folded Reload
	buffer_load_dword v79, off, s[24:27], 0 offset:8 ; 4-byte Folded Reload
	;; [unrolled: 1-line block ×3, first 2 shown]
	s_waitcnt lgkmcnt(0)
	v_mul_f64 v[96:97], v[91:92], v[100:101]
	v_fma_f64 v[96:97], v[89:90], v[125:126], -v[96:97]
	v_mul_f64 v[89:90], v[89:90], v[100:101]
	v_fma_f64 v[89:90], v[91:92], v[125:126], v[89:90]
	s_waitcnt vmcnt(2)
	v_add_f64 v[77:78], v[77:78], -v[96:97]
	s_waitcnt vmcnt(0)
	v_add_f64 v[79:80], v[79:80], -v[89:90]
	buffer_store_dword v77, off, s[24:27], 0 ; 4-byte Folded Spill
	s_nop 0
	buffer_store_dword v78, off, s[24:27], 0 offset:4 ; 4-byte Folded Spill
	buffer_store_dword v79, off, s[24:27], 0 offset:8 ; 4-byte Folded Spill
	;; [unrolled: 1-line block ×3, first 2 shown]
	ds_read2_b64 v[89:92], v0 offset0:76 offset1:77
	s_waitcnt lgkmcnt(0)
	v_mul_f64 v[96:97], v[91:92], v[100:101]
	v_fma_f64 v[96:97], v[89:90], v[125:126], -v[96:97]
	v_mul_f64 v[89:90], v[89:90], v[100:101]
	v_add_f64 v[73:74], v[73:74], -v[96:97]
	v_fma_f64 v[89:90], v[91:92], v[125:126], v[89:90]
	v_add_f64 v[75:76], v[75:76], -v[89:90]
	ds_read2_b64 v[89:92], v0 offset0:78 offset1:79
	s_waitcnt lgkmcnt(0)
	v_mul_f64 v[96:97], v[91:92], v[100:101]
	v_fma_f64 v[96:97], v[89:90], v[125:126], -v[96:97]
	v_mul_f64 v[89:90], v[89:90], v[100:101]
	v_add_f64 v[69:70], v[69:70], -v[96:97]
	v_fma_f64 v[89:90], v[91:92], v[125:126], v[89:90]
	v_add_f64 v[71:72], v[71:72], -v[89:90]
	;; [unrolled: 8-line block ×18, first 2 shown]
	ds_read2_b64 v[89:92], v0 offset0:112 offset1:113
	s_waitcnt lgkmcnt(0)
	v_mul_f64 v[96:97], v[91:92], v[100:101]
	v_fma_f64 v[96:97], v[89:90], v[125:126], -v[96:97]
	v_mul_f64 v[89:90], v[89:90], v[100:101]
	v_add_f64 v[1:2], v[1:2], -v[96:97]
	v_fma_f64 v[89:90], v[91:92], v[125:126], v[89:90]
	ds_read2_b64 v[96:99], v0 offset0:114 offset1:115
	s_waitcnt lgkmcnt(0)
	v_mul_f64 v[91:92], v[96:97], v[100:101]
	v_add_f64 v[3:4], v[3:4], -v[89:90]
	v_mul_f64 v[89:90], v[98:99], v[100:101]
	v_fma_f64 v[91:92], v[98:99], v[125:126], v[91:92]
	v_mov_b32_e32 v98, v125
	v_mov_b32_e32 v99, v126
	v_fma_f64 v[89:90], v[96:97], v[125:126], -v[89:90]
	buffer_store_dword v98, off, s[24:27], 0 offset:504 ; 4-byte Folded Spill
	s_nop 0
	buffer_store_dword v99, off, s[24:27], 0 offset:508 ; 4-byte Folded Spill
	buffer_store_dword v100, off, s[24:27], 0 offset:512 ; 4-byte Folded Spill
	;; [unrolled: 1-line block ×3, first 2 shown]
	v_add_f64 v[123:124], v[123:124], -v[91:92]
	v_add_f64 v[121:122], v[121:122], -v[89:90]
.LBB114_62:
	s_or_b64 exec, exec, s[0:1]
	s_waitcnt vmcnt(0)
	s_barrier
	buffer_load_dword v77, off, s[24:27], 0 offset:488 ; 4-byte Folded Reload
	buffer_load_dword v78, off, s[24:27], 0 offset:492 ; 4-byte Folded Reload
	;; [unrolled: 1-line block ×4, first 2 shown]
	v_lshl_add_u32 v89, v93, 4, v0
	s_mov_b32 s0, 4
	s_cmp_lt_i32 s3, 5
	s_waitcnt vmcnt(0)
	ds_write2_b64 v89, v[77:78], v[79:80] offset1:1
	s_waitcnt lgkmcnt(0)
	s_barrier
	ds_read2_b64 v[117:120], v0 offset0:6 offset1:7
	v_mov_b32_e32 v89, 3
	s_cbranch_scc1 .LBB114_65
; %bb.63:
	v_add3_u32 v90, v95, 0, 64
	v_mov_b32_e32 v89, 3
.LBB114_64:                             ; =>This Inner Loop Header: Depth=1
	s_waitcnt lgkmcnt(0)
	v_cmp_gt_f64_e32 vcc, 0, v[117:118]
	v_xor_b32_e32 v91, 0x80000000, v118
	ds_read2_b64 v[95:98], v90 offset1:1
	v_xor_b32_e32 v99, 0x80000000, v120
	v_add_u32_e32 v90, 16, v90
	s_waitcnt lgkmcnt(0)
	v_xor_b32_e32 v101, 0x80000000, v98
	v_cndmask_b32_e32 v92, v118, v91, vcc
	v_cmp_gt_f64_e32 vcc, 0, v[119:120]
	v_mov_b32_e32 v91, v117
	v_cndmask_b32_e32 v100, v120, v99, vcc
	v_cmp_gt_f64_e32 vcc, 0, v[95:96]
	v_mov_b32_e32 v99, v119
	v_add_f64 v[91:92], v[91:92], v[99:100]
	v_xor_b32_e32 v99, 0x80000000, v96
	v_cndmask_b32_e32 v100, v96, v99, vcc
	v_cmp_gt_f64_e32 vcc, 0, v[97:98]
	v_mov_b32_e32 v99, v95
	v_cndmask_b32_e32 v102, v98, v101, vcc
	v_mov_b32_e32 v101, v97
	v_add_f64 v[99:100], v[99:100], v[101:102]
	v_cmp_lt_f64_e32 vcc, v[91:92], v[99:100]
	v_mov_b32_e32 v91, s0
	s_add_i32 s0, s0, 1
	s_cmp_lg_u32 s3, s0
	v_cndmask_b32_e32 v118, v118, v96, vcc
	v_cndmask_b32_e32 v117, v117, v95, vcc
	;; [unrolled: 1-line block ×5, first 2 shown]
	s_cbranch_scc1 .LBB114_64
.LBB114_65:
	s_waitcnt lgkmcnt(0)
	v_cmp_eq_f64_e32 vcc, 0, v[117:118]
	v_cmp_eq_f64_e64 s[0:1], 0, v[119:120]
	s_and_b64 s[0:1], vcc, s[0:1]
	s_and_saveexec_b64 s[18:19], s[0:1]
	s_xor_b64 s[0:1], exec, s[18:19]
; %bb.66:
	v_cmp_ne_u32_e32 vcc, 0, v94
	v_cndmask_b32_e32 v94, 4, v94, vcc
; %bb.67:
	s_andn2_saveexec_b64 s[0:1], s[0:1]
	s_cbranch_execz .LBB114_73
; %bb.68:
	v_cmp_ngt_f64_e64 s[18:19], |v[117:118]|, |v[119:120]|
	s_and_saveexec_b64 s[20:21], s[18:19]
	s_xor_b64 s[18:19], exec, s[20:21]
	s_cbranch_execz .LBB114_70
; %bb.69:
	v_div_scale_f64 v[90:91], s[20:21], v[119:120], v[119:120], v[117:118]
	v_rcp_f64_e32 v[95:96], v[90:91]
	v_fma_f64 v[97:98], -v[90:91], v[95:96], 1.0
	v_fma_f64 v[95:96], v[95:96], v[97:98], v[95:96]
	v_div_scale_f64 v[97:98], vcc, v[117:118], v[119:120], v[117:118]
	v_fma_f64 v[99:100], -v[90:91], v[95:96], 1.0
	v_fma_f64 v[95:96], v[95:96], v[99:100], v[95:96]
	v_mul_f64 v[99:100], v[97:98], v[95:96]
	v_fma_f64 v[90:91], -v[90:91], v[99:100], v[97:98]
	v_div_fmas_f64 v[90:91], v[90:91], v[95:96], v[99:100]
	v_div_fixup_f64 v[90:91], v[90:91], v[119:120], v[117:118]
	v_fma_f64 v[95:96], v[117:118], v[90:91], v[119:120]
	v_div_scale_f64 v[97:98], s[20:21], v[95:96], v[95:96], 1.0
	v_div_scale_f64 v[103:104], vcc, 1.0, v[95:96], 1.0
	v_rcp_f64_e32 v[99:100], v[97:98]
	v_fma_f64 v[101:102], -v[97:98], v[99:100], 1.0
	v_fma_f64 v[99:100], v[99:100], v[101:102], v[99:100]
	v_fma_f64 v[101:102], -v[97:98], v[99:100], 1.0
	v_fma_f64 v[99:100], v[99:100], v[101:102], v[99:100]
	v_mul_f64 v[101:102], v[103:104], v[99:100]
	v_fma_f64 v[97:98], -v[97:98], v[101:102], v[103:104]
	v_div_fmas_f64 v[97:98], v[97:98], v[99:100], v[101:102]
	v_div_fixup_f64 v[119:120], v[97:98], v[95:96], 1.0
	v_mul_f64 v[117:118], v[90:91], v[119:120]
	v_xor_b32_e32 v120, 0x80000000, v120
.LBB114_70:
	s_andn2_saveexec_b64 s[18:19], s[18:19]
	s_cbranch_execz .LBB114_72
; %bb.71:
	v_div_scale_f64 v[90:91], s[20:21], v[117:118], v[117:118], v[119:120]
	v_rcp_f64_e32 v[95:96], v[90:91]
	v_fma_f64 v[97:98], -v[90:91], v[95:96], 1.0
	v_fma_f64 v[95:96], v[95:96], v[97:98], v[95:96]
	v_div_scale_f64 v[97:98], vcc, v[119:120], v[117:118], v[119:120]
	v_fma_f64 v[99:100], -v[90:91], v[95:96], 1.0
	v_fma_f64 v[95:96], v[95:96], v[99:100], v[95:96]
	v_mul_f64 v[99:100], v[97:98], v[95:96]
	v_fma_f64 v[90:91], -v[90:91], v[99:100], v[97:98]
	v_div_fmas_f64 v[90:91], v[90:91], v[95:96], v[99:100]
	v_div_fixup_f64 v[90:91], v[90:91], v[117:118], v[119:120]
	v_fma_f64 v[95:96], v[119:120], v[90:91], v[117:118]
	v_div_scale_f64 v[97:98], s[20:21], v[95:96], v[95:96], 1.0
	v_div_scale_f64 v[103:104], vcc, 1.0, v[95:96], 1.0
	v_rcp_f64_e32 v[99:100], v[97:98]
	v_fma_f64 v[101:102], -v[97:98], v[99:100], 1.0
	v_fma_f64 v[99:100], v[99:100], v[101:102], v[99:100]
	v_fma_f64 v[101:102], -v[97:98], v[99:100], 1.0
	v_fma_f64 v[99:100], v[99:100], v[101:102], v[99:100]
	v_mul_f64 v[101:102], v[103:104], v[99:100]
	v_fma_f64 v[97:98], -v[97:98], v[101:102], v[103:104]
	v_div_fmas_f64 v[97:98], v[97:98], v[99:100], v[101:102]
	v_div_fixup_f64 v[117:118], v[97:98], v[95:96], 1.0
	v_mul_f64 v[119:120], v[90:91], -v[117:118]
.LBB114_72:
	s_or_b64 exec, exec, s[18:19]
.LBB114_73:
	s_or_b64 exec, exec, s[0:1]
	v_cmp_ne_u32_e32 vcc, v93, v89
	s_and_saveexec_b64 s[0:1], vcc
	s_xor_b64 s[0:1], exec, s[0:1]
	s_cbranch_execz .LBB114_79
; %bb.74:
	v_cmp_eq_u32_e32 vcc, 3, v93
	s_and_saveexec_b64 s[18:19], vcc
	s_cbranch_execz .LBB114_78
; %bb.75:
	v_cmp_ne_u32_e32 vcc, 3, v89
	s_xor_b64 s[20:21], s[6:7], -1
	s_and_b64 s[22:23], s[20:21], vcc
	s_and_saveexec_b64 s[20:21], s[22:23]
	s_cbranch_execz .LBB114_77
; %bb.76:
	v_mov_b32_e32 v77, v81
	v_mov_b32_e32 v78, v82
	;; [unrolled: 1-line block ×4, first 2 shown]
	buffer_load_dword v81, off, s[24:27], 0 offset:480 ; 4-byte Folded Reload
	buffer_load_dword v82, off, s[24:27], 0 offset:484 ; 4-byte Folded Reload
	v_ashrrev_i32_e32 v90, 31, v89
	v_lshlrev_b64 v[90:91], 2, v[89:90]
	s_waitcnt vmcnt(1)
	v_add_co_u32_e32 v90, vcc, v81, v90
	s_waitcnt vmcnt(0)
	v_addc_co_u32_e32 v91, vcc, v82, v91, vcc
	global_load_dword v92, v[90:91], off
	global_load_dword v93, v[81:82], off offset:12
	s_waitcnt vmcnt(1)
	global_store_dword v[81:82], v92, off offset:12
	v_mov_b32_e32 v84, v80
	v_mov_b32_e32 v83, v79
	;; [unrolled: 1-line block ×4, first 2 shown]
	s_waitcnt vmcnt(1)
	global_store_dword v[90:91], v93, off
.LBB114_77:
	s_or_b64 exec, exec, s[20:21]
	v_mov_b32_e32 v93, v89
	v_mov_b32_e32 v127, v89
.LBB114_78:
	s_or_b64 exec, exec, s[18:19]
.LBB114_79:
	s_andn2_saveexec_b64 s[0:1], s[0:1]
	s_cbranch_execz .LBB114_81
; %bb.80:
	buffer_load_dword v77, off, s[24:27], 0 offset:464 ; 4-byte Folded Reload
	buffer_load_dword v78, off, s[24:27], 0 offset:468 ; 4-byte Folded Reload
	;; [unrolled: 1-line block ×4, first 2 shown]
	v_mov_b32_e32 v93, 3
	s_waitcnt vmcnt(0)
	ds_write2_b64 v0, v[77:78], v[79:80] offset0:8 offset1:9
	buffer_load_dword v77, off, s[24:27], 0 offset:448 ; 4-byte Folded Reload
	buffer_load_dword v78, off, s[24:27], 0 offset:452 ; 4-byte Folded Reload
	buffer_load_dword v79, off, s[24:27], 0 offset:456 ; 4-byte Folded Reload
	buffer_load_dword v80, off, s[24:27], 0 offset:460 ; 4-byte Folded Reload
	s_waitcnt vmcnt(0)
	ds_write2_b64 v0, v[77:78], v[79:80] offset0:10 offset1:11
	buffer_load_dword v77, off, s[24:27], 0 offset:432 ; 4-byte Folded Reload
	buffer_load_dword v78, off, s[24:27], 0 offset:436 ; 4-byte Folded Reload
	buffer_load_dword v79, off, s[24:27], 0 offset:440 ; 4-byte Folded Reload
	buffer_load_dword v80, off, s[24:27], 0 offset:444 ; 4-byte Folded Reload
	;; [unrolled: 6-line block ×28, first 2 shown]
	s_waitcnt vmcnt(0)
	ds_write2_b64 v0, v[77:78], v[79:80] offset0:64 offset1:65
	ds_write2_b64 v0, v[81:82], v[83:84] offset0:66 offset1:67
	;; [unrolled: 1-line block ×5, first 2 shown]
	buffer_load_dword v77, off, s[24:27], 0 ; 4-byte Folded Reload
	buffer_load_dword v78, off, s[24:27], 0 offset:4 ; 4-byte Folded Reload
	buffer_load_dword v79, off, s[24:27], 0 offset:8 ; 4-byte Folded Reload
	;; [unrolled: 1-line block ×3, first 2 shown]
	s_waitcnt vmcnt(0)
	ds_write2_b64 v0, v[77:78], v[79:80] offset0:74 offset1:75
	ds_write2_b64 v0, v[73:74], v[75:76] offset0:76 offset1:77
	;; [unrolled: 1-line block ×21, first 2 shown]
.LBB114_81:
	s_or_b64 exec, exec, s[0:1]
	v_cmp_lt_i32_e32 vcc, 3, v93
	s_waitcnt vmcnt(0) lgkmcnt(0)
	s_barrier
	s_and_saveexec_b64 s[0:1], vcc
	s_cbranch_execz .LBB114_83
; %bb.82:
	buffer_load_dword v97, off, s[24:27], 0 offset:488 ; 4-byte Folded Reload
	buffer_load_dword v98, off, s[24:27], 0 offset:492 ; 4-byte Folded Reload
	;; [unrolled: 1-line block ×4, first 2 shown]
	s_waitcnt vmcnt(0)
	v_mul_f64 v[89:90], v[119:120], v[99:100]
	v_fma_f64 v[125:126], v[117:118], v[97:98], -v[89:90]
	v_mul_f64 v[89:90], v[117:118], v[99:100]
	v_fma_f64 v[99:100], v[119:120], v[97:98], v[89:90]
	ds_read2_b64 v[89:92], v0 offset0:8 offset1:9
	buffer_load_dword v77, off, s[24:27], 0 offset:464 ; 4-byte Folded Reload
	buffer_load_dword v78, off, s[24:27], 0 offset:468 ; 4-byte Folded Reload
	buffer_load_dword v79, off, s[24:27], 0 offset:472 ; 4-byte Folded Reload
	buffer_load_dword v80, off, s[24:27], 0 offset:476 ; 4-byte Folded Reload
	s_waitcnt lgkmcnt(0)
	v_mul_f64 v[95:96], v[91:92], v[99:100]
	v_fma_f64 v[95:96], v[89:90], v[125:126], -v[95:96]
	v_mul_f64 v[89:90], v[89:90], v[99:100]
	v_fma_f64 v[89:90], v[91:92], v[125:126], v[89:90]
	s_waitcnt vmcnt(2)
	v_add_f64 v[77:78], v[77:78], -v[95:96]
	s_waitcnt vmcnt(0)
	v_add_f64 v[79:80], v[79:80], -v[89:90]
	buffer_store_dword v77, off, s[24:27], 0 offset:464 ; 4-byte Folded Spill
	s_nop 0
	buffer_store_dword v78, off, s[24:27], 0 offset:468 ; 4-byte Folded Spill
	buffer_store_dword v79, off, s[24:27], 0 offset:472 ; 4-byte Folded Spill
	buffer_store_dword v80, off, s[24:27], 0 offset:476 ; 4-byte Folded Spill
	ds_read2_b64 v[89:92], v0 offset0:10 offset1:11
	buffer_load_dword v77, off, s[24:27], 0 offset:448 ; 4-byte Folded Reload
	buffer_load_dword v78, off, s[24:27], 0 offset:452 ; 4-byte Folded Reload
	buffer_load_dword v79, off, s[24:27], 0 offset:456 ; 4-byte Folded Reload
	buffer_load_dword v80, off, s[24:27], 0 offset:460 ; 4-byte Folded Reload
	s_waitcnt lgkmcnt(0)
	v_mul_f64 v[95:96], v[91:92], v[99:100]
	v_fma_f64 v[95:96], v[89:90], v[125:126], -v[95:96]
	v_mul_f64 v[89:90], v[89:90], v[99:100]
	v_fma_f64 v[89:90], v[91:92], v[125:126], v[89:90]
	s_waitcnt vmcnt(2)
	v_add_f64 v[77:78], v[77:78], -v[95:96]
	s_waitcnt vmcnt(0)
	v_add_f64 v[79:80], v[79:80], -v[89:90]
	buffer_store_dword v77, off, s[24:27], 0 offset:448 ; 4-byte Folded Spill
	s_nop 0
	buffer_store_dword v78, off, s[24:27], 0 offset:452 ; 4-byte Folded Spill
	buffer_store_dword v79, off, s[24:27], 0 offset:456 ; 4-byte Folded Spill
	buffer_store_dword v80, off, s[24:27], 0 offset:460 ; 4-byte Folded Spill
	;; [unrolled: 19-line block ×29, first 2 shown]
	ds_read2_b64 v[89:92], v0 offset0:66 offset1:67
	s_waitcnt lgkmcnt(0)
	v_mul_f64 v[95:96], v[91:92], v[99:100]
	v_fma_f64 v[95:96], v[89:90], v[125:126], -v[95:96]
	v_mul_f64 v[89:90], v[89:90], v[99:100]
	v_add_f64 v[81:82], v[81:82], -v[95:96]
	v_fma_f64 v[89:90], v[91:92], v[125:126], v[89:90]
	v_add_f64 v[83:84], v[83:84], -v[89:90]
	ds_read2_b64 v[89:92], v0 offset0:68 offset1:69
	s_waitcnt lgkmcnt(0)
	v_mul_f64 v[95:96], v[91:92], v[99:100]
	v_fma_f64 v[95:96], v[89:90], v[125:126], -v[95:96]
	v_mul_f64 v[89:90], v[89:90], v[99:100]
	v_add_f64 v[85:86], v[85:86], -v[95:96]
	v_fma_f64 v[89:90], v[91:92], v[125:126], v[89:90]
	v_add_f64 v[87:88], v[87:88], -v[89:90]
	;; [unrolled: 8-line block ×4, first 2 shown]
	ds_read2_b64 v[89:92], v0 offset0:74 offset1:75
	buffer_load_dword v77, off, s[24:27], 0 ; 4-byte Folded Reload
	buffer_load_dword v78, off, s[24:27], 0 offset:4 ; 4-byte Folded Reload
	buffer_load_dword v79, off, s[24:27], 0 offset:8 ; 4-byte Folded Reload
	;; [unrolled: 1-line block ×3, first 2 shown]
	s_waitcnt lgkmcnt(0)
	v_mul_f64 v[95:96], v[91:92], v[99:100]
	v_fma_f64 v[95:96], v[89:90], v[125:126], -v[95:96]
	v_mul_f64 v[89:90], v[89:90], v[99:100]
	v_fma_f64 v[89:90], v[91:92], v[125:126], v[89:90]
	s_waitcnt vmcnt(2)
	v_add_f64 v[77:78], v[77:78], -v[95:96]
	s_waitcnt vmcnt(0)
	v_add_f64 v[79:80], v[79:80], -v[89:90]
	buffer_store_dword v77, off, s[24:27], 0 ; 4-byte Folded Spill
	s_nop 0
	buffer_store_dword v78, off, s[24:27], 0 offset:4 ; 4-byte Folded Spill
	buffer_store_dword v79, off, s[24:27], 0 offset:8 ; 4-byte Folded Spill
	;; [unrolled: 1-line block ×3, first 2 shown]
	ds_read2_b64 v[89:92], v0 offset0:76 offset1:77
	s_waitcnt lgkmcnt(0)
	v_mul_f64 v[95:96], v[91:92], v[99:100]
	v_fma_f64 v[95:96], v[89:90], v[125:126], -v[95:96]
	v_mul_f64 v[89:90], v[89:90], v[99:100]
	v_add_f64 v[73:74], v[73:74], -v[95:96]
	v_fma_f64 v[89:90], v[91:92], v[125:126], v[89:90]
	v_add_f64 v[75:76], v[75:76], -v[89:90]
	ds_read2_b64 v[89:92], v0 offset0:78 offset1:79
	s_waitcnt lgkmcnt(0)
	v_mul_f64 v[95:96], v[91:92], v[99:100]
	v_fma_f64 v[95:96], v[89:90], v[125:126], -v[95:96]
	v_mul_f64 v[89:90], v[89:90], v[99:100]
	v_add_f64 v[69:70], v[69:70], -v[95:96]
	v_fma_f64 v[89:90], v[91:92], v[125:126], v[89:90]
	v_add_f64 v[71:72], v[71:72], -v[89:90]
	;; [unrolled: 8-line block ×18, first 2 shown]
	ds_read2_b64 v[89:92], v0 offset0:112 offset1:113
	s_waitcnt lgkmcnt(0)
	v_mul_f64 v[95:96], v[91:92], v[99:100]
	v_fma_f64 v[95:96], v[89:90], v[125:126], -v[95:96]
	v_mul_f64 v[89:90], v[89:90], v[99:100]
	v_add_f64 v[1:2], v[1:2], -v[95:96]
	v_fma_f64 v[89:90], v[91:92], v[125:126], v[89:90]
	ds_read2_b64 v[95:98], v0 offset0:114 offset1:115
	s_waitcnt lgkmcnt(0)
	v_mul_f64 v[91:92], v[95:96], v[99:100]
	v_add_f64 v[3:4], v[3:4], -v[89:90]
	v_mul_f64 v[89:90], v[97:98], v[99:100]
	v_fma_f64 v[91:92], v[97:98], v[125:126], v[91:92]
	v_mov_b32_e32 v97, v125
	v_mov_b32_e32 v98, v126
	v_fma_f64 v[89:90], v[95:96], v[125:126], -v[89:90]
	buffer_store_dword v97, off, s[24:27], 0 offset:488 ; 4-byte Folded Spill
	s_nop 0
	buffer_store_dword v98, off, s[24:27], 0 offset:492 ; 4-byte Folded Spill
	buffer_store_dword v99, off, s[24:27], 0 offset:496 ; 4-byte Folded Spill
	;; [unrolled: 1-line block ×3, first 2 shown]
	v_add_f64 v[123:124], v[123:124], -v[91:92]
	v_add_f64 v[121:122], v[121:122], -v[89:90]
.LBB114_83:
	s_or_b64 exec, exec, s[0:1]
	s_waitcnt vmcnt(0)
	s_barrier
	buffer_load_dword v77, off, s[24:27], 0 offset:464 ; 4-byte Folded Reload
	buffer_load_dword v78, off, s[24:27], 0 offset:468 ; 4-byte Folded Reload
	;; [unrolled: 1-line block ×4, first 2 shown]
	v_lshl_add_u32 v89, v93, 4, v0
	s_cmp_lt_i32 s3, 6
	s_waitcnt vmcnt(0)
	ds_write2_b64 v89, v[77:78], v[79:80] offset1:1
	s_waitcnt lgkmcnt(0)
	s_barrier
	ds_read2_b64 v[117:120], v0 offset0:8 offset1:9
	v_mov_b32_e32 v89, 4
	s_cbranch_scc1 .LBB114_86
; %bb.84:
	v_mov_b32_e32 v89, 4
	v_add_u32_e32 v90, 0x50, v0
	s_mov_b32 s0, 5
.LBB114_85:                             ; =>This Inner Loop Header: Depth=1
	s_waitcnt lgkmcnt(0)
	v_cmp_gt_f64_e32 vcc, 0, v[117:118]
	v_xor_b32_e32 v91, 0x80000000, v118
	ds_read2_b64 v[95:98], v90 offset1:1
	v_xor_b32_e32 v99, 0x80000000, v120
	v_add_u32_e32 v90, 16, v90
	s_waitcnt lgkmcnt(0)
	v_xor_b32_e32 v101, 0x80000000, v98
	v_cndmask_b32_e32 v92, v118, v91, vcc
	v_cmp_gt_f64_e32 vcc, 0, v[119:120]
	v_mov_b32_e32 v91, v117
	v_cndmask_b32_e32 v100, v120, v99, vcc
	v_cmp_gt_f64_e32 vcc, 0, v[95:96]
	v_mov_b32_e32 v99, v119
	v_add_f64 v[91:92], v[91:92], v[99:100]
	v_xor_b32_e32 v99, 0x80000000, v96
	v_cndmask_b32_e32 v100, v96, v99, vcc
	v_cmp_gt_f64_e32 vcc, 0, v[97:98]
	v_mov_b32_e32 v99, v95
	v_cndmask_b32_e32 v102, v98, v101, vcc
	v_mov_b32_e32 v101, v97
	v_add_f64 v[99:100], v[99:100], v[101:102]
	v_cmp_lt_f64_e32 vcc, v[91:92], v[99:100]
	v_mov_b32_e32 v91, s0
	s_add_i32 s0, s0, 1
	s_cmp_lg_u32 s3, s0
	v_cndmask_b32_e32 v118, v118, v96, vcc
	v_cndmask_b32_e32 v117, v117, v95, vcc
	v_cndmask_b32_e32 v120, v120, v98, vcc
	v_cndmask_b32_e32 v119, v119, v97, vcc
	v_cndmask_b32_e32 v89, v89, v91, vcc
	s_cbranch_scc1 .LBB114_85
.LBB114_86:
	s_waitcnt lgkmcnt(0)
	v_cmp_eq_f64_e32 vcc, 0, v[117:118]
	v_cmp_eq_f64_e64 s[0:1], 0, v[119:120]
	s_and_b64 s[0:1], vcc, s[0:1]
	s_and_saveexec_b64 s[18:19], s[0:1]
	s_xor_b64 s[0:1], exec, s[18:19]
; %bb.87:
	v_cmp_ne_u32_e32 vcc, 0, v94
	v_cndmask_b32_e32 v94, 5, v94, vcc
; %bb.88:
	s_andn2_saveexec_b64 s[0:1], s[0:1]
	s_cbranch_execz .LBB114_94
; %bb.89:
	v_cmp_ngt_f64_e64 s[18:19], |v[117:118]|, |v[119:120]|
	s_and_saveexec_b64 s[20:21], s[18:19]
	s_xor_b64 s[18:19], exec, s[20:21]
	s_cbranch_execz .LBB114_91
; %bb.90:
	v_div_scale_f64 v[90:91], s[20:21], v[119:120], v[119:120], v[117:118]
	v_rcp_f64_e32 v[95:96], v[90:91]
	v_fma_f64 v[97:98], -v[90:91], v[95:96], 1.0
	v_fma_f64 v[95:96], v[95:96], v[97:98], v[95:96]
	v_div_scale_f64 v[97:98], vcc, v[117:118], v[119:120], v[117:118]
	v_fma_f64 v[99:100], -v[90:91], v[95:96], 1.0
	v_fma_f64 v[95:96], v[95:96], v[99:100], v[95:96]
	v_mul_f64 v[99:100], v[97:98], v[95:96]
	v_fma_f64 v[90:91], -v[90:91], v[99:100], v[97:98]
	v_div_fmas_f64 v[90:91], v[90:91], v[95:96], v[99:100]
	v_div_fixup_f64 v[90:91], v[90:91], v[119:120], v[117:118]
	v_fma_f64 v[95:96], v[117:118], v[90:91], v[119:120]
	v_div_scale_f64 v[97:98], s[20:21], v[95:96], v[95:96], 1.0
	v_div_scale_f64 v[103:104], vcc, 1.0, v[95:96], 1.0
	v_rcp_f64_e32 v[99:100], v[97:98]
	v_fma_f64 v[101:102], -v[97:98], v[99:100], 1.0
	v_fma_f64 v[99:100], v[99:100], v[101:102], v[99:100]
	v_fma_f64 v[101:102], -v[97:98], v[99:100], 1.0
	v_fma_f64 v[99:100], v[99:100], v[101:102], v[99:100]
	v_mul_f64 v[101:102], v[103:104], v[99:100]
	v_fma_f64 v[97:98], -v[97:98], v[101:102], v[103:104]
	v_div_fmas_f64 v[97:98], v[97:98], v[99:100], v[101:102]
	v_div_fixup_f64 v[119:120], v[97:98], v[95:96], 1.0
	v_mul_f64 v[117:118], v[90:91], v[119:120]
	v_xor_b32_e32 v120, 0x80000000, v120
.LBB114_91:
	s_andn2_saveexec_b64 s[18:19], s[18:19]
	s_cbranch_execz .LBB114_93
; %bb.92:
	v_div_scale_f64 v[90:91], s[20:21], v[117:118], v[117:118], v[119:120]
	v_rcp_f64_e32 v[95:96], v[90:91]
	v_fma_f64 v[97:98], -v[90:91], v[95:96], 1.0
	v_fma_f64 v[95:96], v[95:96], v[97:98], v[95:96]
	v_div_scale_f64 v[97:98], vcc, v[119:120], v[117:118], v[119:120]
	v_fma_f64 v[99:100], -v[90:91], v[95:96], 1.0
	v_fma_f64 v[95:96], v[95:96], v[99:100], v[95:96]
	v_mul_f64 v[99:100], v[97:98], v[95:96]
	v_fma_f64 v[90:91], -v[90:91], v[99:100], v[97:98]
	v_div_fmas_f64 v[90:91], v[90:91], v[95:96], v[99:100]
	v_div_fixup_f64 v[90:91], v[90:91], v[117:118], v[119:120]
	v_fma_f64 v[95:96], v[119:120], v[90:91], v[117:118]
	v_div_scale_f64 v[97:98], s[20:21], v[95:96], v[95:96], 1.0
	v_div_scale_f64 v[103:104], vcc, 1.0, v[95:96], 1.0
	v_rcp_f64_e32 v[99:100], v[97:98]
	v_fma_f64 v[101:102], -v[97:98], v[99:100], 1.0
	v_fma_f64 v[99:100], v[99:100], v[101:102], v[99:100]
	v_fma_f64 v[101:102], -v[97:98], v[99:100], 1.0
	v_fma_f64 v[99:100], v[99:100], v[101:102], v[99:100]
	v_mul_f64 v[101:102], v[103:104], v[99:100]
	v_fma_f64 v[97:98], -v[97:98], v[101:102], v[103:104]
	v_div_fmas_f64 v[97:98], v[97:98], v[99:100], v[101:102]
	v_div_fixup_f64 v[117:118], v[97:98], v[95:96], 1.0
	v_mul_f64 v[119:120], v[90:91], -v[117:118]
.LBB114_93:
	s_or_b64 exec, exec, s[18:19]
.LBB114_94:
	s_or_b64 exec, exec, s[0:1]
	v_cmp_ne_u32_e32 vcc, v93, v89
	s_and_saveexec_b64 s[0:1], vcc
	s_xor_b64 s[0:1], exec, s[0:1]
	s_cbranch_execz .LBB114_100
; %bb.95:
	v_cmp_eq_u32_e32 vcc, 4, v93
	s_and_saveexec_b64 s[18:19], vcc
	s_cbranch_execz .LBB114_99
; %bb.96:
	v_cmp_ne_u32_e32 vcc, 4, v89
	s_xor_b64 s[20:21], s[6:7], -1
	s_and_b64 s[22:23], s[20:21], vcc
	s_and_saveexec_b64 s[20:21], s[22:23]
	s_cbranch_execz .LBB114_98
; %bb.97:
	v_mov_b32_e32 v77, v81
	v_mov_b32_e32 v78, v82
	;; [unrolled: 1-line block ×4, first 2 shown]
	buffer_load_dword v81, off, s[24:27], 0 offset:480 ; 4-byte Folded Reload
	buffer_load_dword v82, off, s[24:27], 0 offset:484 ; 4-byte Folded Reload
	v_ashrrev_i32_e32 v90, 31, v89
	v_lshlrev_b64 v[90:91], 2, v[89:90]
	s_waitcnt vmcnt(1)
	v_add_co_u32_e32 v90, vcc, v81, v90
	s_waitcnt vmcnt(0)
	v_addc_co_u32_e32 v91, vcc, v82, v91, vcc
	global_load_dword v92, v[90:91], off
	global_load_dword v93, v[81:82], off offset:16
	s_waitcnt vmcnt(1)
	global_store_dword v[81:82], v92, off offset:16
	v_mov_b32_e32 v84, v80
	v_mov_b32_e32 v83, v79
	v_mov_b32_e32 v82, v78
	v_mov_b32_e32 v81, v77
	s_waitcnt vmcnt(1)
	global_store_dword v[90:91], v93, off
.LBB114_98:
	s_or_b64 exec, exec, s[20:21]
	v_mov_b32_e32 v93, v89
	v_mov_b32_e32 v127, v89
.LBB114_99:
	s_or_b64 exec, exec, s[18:19]
.LBB114_100:
	s_andn2_saveexec_b64 s[0:1], s[0:1]
	s_cbranch_execz .LBB114_102
; %bb.101:
	buffer_load_dword v77, off, s[24:27], 0 offset:448 ; 4-byte Folded Reload
	buffer_load_dword v78, off, s[24:27], 0 offset:452 ; 4-byte Folded Reload
	;; [unrolled: 1-line block ×4, first 2 shown]
	v_mov_b32_e32 v93, 4
	s_waitcnt vmcnt(0)
	ds_write2_b64 v0, v[77:78], v[79:80] offset0:10 offset1:11
	buffer_load_dword v77, off, s[24:27], 0 offset:432 ; 4-byte Folded Reload
	buffer_load_dword v78, off, s[24:27], 0 offset:436 ; 4-byte Folded Reload
	buffer_load_dword v79, off, s[24:27], 0 offset:440 ; 4-byte Folded Reload
	buffer_load_dword v80, off, s[24:27], 0 offset:444 ; 4-byte Folded Reload
	s_waitcnt vmcnt(0)
	ds_write2_b64 v0, v[77:78], v[79:80] offset0:12 offset1:13
	buffer_load_dword v77, off, s[24:27], 0 offset:416 ; 4-byte Folded Reload
	buffer_load_dword v78, off, s[24:27], 0 offset:420 ; 4-byte Folded Reload
	buffer_load_dword v79, off, s[24:27], 0 offset:424 ; 4-byte Folded Reload
	buffer_load_dword v80, off, s[24:27], 0 offset:428 ; 4-byte Folded Reload
	;; [unrolled: 6-line block ×27, first 2 shown]
	s_waitcnt vmcnt(0)
	ds_write2_b64 v0, v[77:78], v[79:80] offset0:64 offset1:65
	ds_write2_b64 v0, v[81:82], v[83:84] offset0:66 offset1:67
	;; [unrolled: 1-line block ×5, first 2 shown]
	buffer_load_dword v77, off, s[24:27], 0 ; 4-byte Folded Reload
	buffer_load_dword v78, off, s[24:27], 0 offset:4 ; 4-byte Folded Reload
	buffer_load_dword v79, off, s[24:27], 0 offset:8 ; 4-byte Folded Reload
	;; [unrolled: 1-line block ×3, first 2 shown]
	s_waitcnt vmcnt(0)
	ds_write2_b64 v0, v[77:78], v[79:80] offset0:74 offset1:75
	ds_write2_b64 v0, v[73:74], v[75:76] offset0:76 offset1:77
	;; [unrolled: 1-line block ×21, first 2 shown]
.LBB114_102:
	s_or_b64 exec, exec, s[0:1]
	v_cmp_lt_i32_e32 vcc, 4, v93
	s_waitcnt vmcnt(0) lgkmcnt(0)
	s_barrier
	s_and_saveexec_b64 s[0:1], vcc
	s_cbranch_execz .LBB114_104
; %bb.103:
	buffer_load_dword v97, off, s[24:27], 0 offset:464 ; 4-byte Folded Reload
	buffer_load_dword v98, off, s[24:27], 0 offset:468 ; 4-byte Folded Reload
	buffer_load_dword v99, off, s[24:27], 0 offset:472 ; 4-byte Folded Reload
	buffer_load_dword v100, off, s[24:27], 0 offset:476 ; 4-byte Folded Reload
	s_waitcnt vmcnt(0)
	v_mul_f64 v[89:90], v[119:120], v[99:100]
	v_fma_f64 v[125:126], v[117:118], v[97:98], -v[89:90]
	v_mul_f64 v[89:90], v[117:118], v[99:100]
	v_fma_f64 v[99:100], v[119:120], v[97:98], v[89:90]
	ds_read2_b64 v[89:92], v0 offset0:10 offset1:11
	buffer_load_dword v77, off, s[24:27], 0 offset:448 ; 4-byte Folded Reload
	buffer_load_dword v78, off, s[24:27], 0 offset:452 ; 4-byte Folded Reload
	buffer_load_dword v79, off, s[24:27], 0 offset:456 ; 4-byte Folded Reload
	buffer_load_dword v80, off, s[24:27], 0 offset:460 ; 4-byte Folded Reload
	s_waitcnt lgkmcnt(0)
	v_mul_f64 v[95:96], v[91:92], v[99:100]
	v_fma_f64 v[95:96], v[89:90], v[125:126], -v[95:96]
	v_mul_f64 v[89:90], v[89:90], v[99:100]
	v_fma_f64 v[89:90], v[91:92], v[125:126], v[89:90]
	s_waitcnt vmcnt(2)
	v_add_f64 v[77:78], v[77:78], -v[95:96]
	s_waitcnt vmcnt(0)
	v_add_f64 v[79:80], v[79:80], -v[89:90]
	buffer_store_dword v77, off, s[24:27], 0 offset:448 ; 4-byte Folded Spill
	s_nop 0
	buffer_store_dword v78, off, s[24:27], 0 offset:452 ; 4-byte Folded Spill
	buffer_store_dword v79, off, s[24:27], 0 offset:456 ; 4-byte Folded Spill
	buffer_store_dword v80, off, s[24:27], 0 offset:460 ; 4-byte Folded Spill
	ds_read2_b64 v[89:92], v0 offset0:12 offset1:13
	buffer_load_dword v77, off, s[24:27], 0 offset:432 ; 4-byte Folded Reload
	buffer_load_dword v78, off, s[24:27], 0 offset:436 ; 4-byte Folded Reload
	buffer_load_dword v79, off, s[24:27], 0 offset:440 ; 4-byte Folded Reload
	buffer_load_dword v80, off, s[24:27], 0 offset:444 ; 4-byte Folded Reload
	s_waitcnt lgkmcnt(0)
	v_mul_f64 v[95:96], v[91:92], v[99:100]
	v_fma_f64 v[95:96], v[89:90], v[125:126], -v[95:96]
	v_mul_f64 v[89:90], v[89:90], v[99:100]
	v_fma_f64 v[89:90], v[91:92], v[125:126], v[89:90]
	s_waitcnt vmcnt(2)
	v_add_f64 v[77:78], v[77:78], -v[95:96]
	s_waitcnt vmcnt(0)
	v_add_f64 v[79:80], v[79:80], -v[89:90]
	buffer_store_dword v77, off, s[24:27], 0 offset:432 ; 4-byte Folded Spill
	s_nop 0
	buffer_store_dword v78, off, s[24:27], 0 offset:436 ; 4-byte Folded Spill
	buffer_store_dword v79, off, s[24:27], 0 offset:440 ; 4-byte Folded Spill
	buffer_store_dword v80, off, s[24:27], 0 offset:444 ; 4-byte Folded Spill
	;; [unrolled: 19-line block ×28, first 2 shown]
	ds_read2_b64 v[89:92], v0 offset0:66 offset1:67
	s_waitcnt lgkmcnt(0)
	v_mul_f64 v[95:96], v[91:92], v[99:100]
	v_fma_f64 v[95:96], v[89:90], v[125:126], -v[95:96]
	v_mul_f64 v[89:90], v[89:90], v[99:100]
	v_add_f64 v[81:82], v[81:82], -v[95:96]
	v_fma_f64 v[89:90], v[91:92], v[125:126], v[89:90]
	v_add_f64 v[83:84], v[83:84], -v[89:90]
	ds_read2_b64 v[89:92], v0 offset0:68 offset1:69
	s_waitcnt lgkmcnt(0)
	v_mul_f64 v[95:96], v[91:92], v[99:100]
	v_fma_f64 v[95:96], v[89:90], v[125:126], -v[95:96]
	v_mul_f64 v[89:90], v[89:90], v[99:100]
	v_add_f64 v[85:86], v[85:86], -v[95:96]
	v_fma_f64 v[89:90], v[91:92], v[125:126], v[89:90]
	v_add_f64 v[87:88], v[87:88], -v[89:90]
	;; [unrolled: 8-line block ×4, first 2 shown]
	ds_read2_b64 v[89:92], v0 offset0:74 offset1:75
	buffer_load_dword v77, off, s[24:27], 0 ; 4-byte Folded Reload
	buffer_load_dword v78, off, s[24:27], 0 offset:4 ; 4-byte Folded Reload
	buffer_load_dword v79, off, s[24:27], 0 offset:8 ; 4-byte Folded Reload
	;; [unrolled: 1-line block ×3, first 2 shown]
	s_waitcnt lgkmcnt(0)
	v_mul_f64 v[95:96], v[91:92], v[99:100]
	v_fma_f64 v[95:96], v[89:90], v[125:126], -v[95:96]
	v_mul_f64 v[89:90], v[89:90], v[99:100]
	v_fma_f64 v[89:90], v[91:92], v[125:126], v[89:90]
	s_waitcnt vmcnt(2)
	v_add_f64 v[77:78], v[77:78], -v[95:96]
	s_waitcnt vmcnt(0)
	v_add_f64 v[79:80], v[79:80], -v[89:90]
	buffer_store_dword v77, off, s[24:27], 0 ; 4-byte Folded Spill
	s_nop 0
	buffer_store_dword v78, off, s[24:27], 0 offset:4 ; 4-byte Folded Spill
	buffer_store_dword v79, off, s[24:27], 0 offset:8 ; 4-byte Folded Spill
	;; [unrolled: 1-line block ×3, first 2 shown]
	ds_read2_b64 v[89:92], v0 offset0:76 offset1:77
	s_waitcnt lgkmcnt(0)
	v_mul_f64 v[95:96], v[91:92], v[99:100]
	v_fma_f64 v[95:96], v[89:90], v[125:126], -v[95:96]
	v_mul_f64 v[89:90], v[89:90], v[99:100]
	v_add_f64 v[73:74], v[73:74], -v[95:96]
	v_fma_f64 v[89:90], v[91:92], v[125:126], v[89:90]
	v_add_f64 v[75:76], v[75:76], -v[89:90]
	ds_read2_b64 v[89:92], v0 offset0:78 offset1:79
	s_waitcnt lgkmcnt(0)
	v_mul_f64 v[95:96], v[91:92], v[99:100]
	v_fma_f64 v[95:96], v[89:90], v[125:126], -v[95:96]
	v_mul_f64 v[89:90], v[89:90], v[99:100]
	v_add_f64 v[69:70], v[69:70], -v[95:96]
	v_fma_f64 v[89:90], v[91:92], v[125:126], v[89:90]
	v_add_f64 v[71:72], v[71:72], -v[89:90]
	;; [unrolled: 8-line block ×18, first 2 shown]
	ds_read2_b64 v[89:92], v0 offset0:112 offset1:113
	s_waitcnt lgkmcnt(0)
	v_mul_f64 v[95:96], v[91:92], v[99:100]
	v_fma_f64 v[95:96], v[89:90], v[125:126], -v[95:96]
	v_mul_f64 v[89:90], v[89:90], v[99:100]
	v_add_f64 v[1:2], v[1:2], -v[95:96]
	v_fma_f64 v[89:90], v[91:92], v[125:126], v[89:90]
	ds_read2_b64 v[95:98], v0 offset0:114 offset1:115
	s_waitcnt lgkmcnt(0)
	v_mul_f64 v[91:92], v[95:96], v[99:100]
	v_add_f64 v[3:4], v[3:4], -v[89:90]
	v_mul_f64 v[89:90], v[97:98], v[99:100]
	v_fma_f64 v[91:92], v[97:98], v[125:126], v[91:92]
	v_mov_b32_e32 v97, v125
	v_mov_b32_e32 v98, v126
	v_fma_f64 v[89:90], v[95:96], v[125:126], -v[89:90]
	buffer_store_dword v97, off, s[24:27], 0 offset:464 ; 4-byte Folded Spill
	s_nop 0
	buffer_store_dword v98, off, s[24:27], 0 offset:468 ; 4-byte Folded Spill
	buffer_store_dword v99, off, s[24:27], 0 offset:472 ; 4-byte Folded Spill
	buffer_store_dword v100, off, s[24:27], 0 offset:476 ; 4-byte Folded Spill
	v_add_f64 v[123:124], v[123:124], -v[91:92]
	v_add_f64 v[121:122], v[121:122], -v[89:90]
.LBB114_104:
	s_or_b64 exec, exec, s[0:1]
	s_waitcnt vmcnt(0)
	s_barrier
	buffer_load_dword v77, off, s[24:27], 0 offset:448 ; 4-byte Folded Reload
	buffer_load_dword v78, off, s[24:27], 0 offset:452 ; 4-byte Folded Reload
	;; [unrolled: 1-line block ×4, first 2 shown]
	v_lshl_add_u32 v89, v93, 4, v0
	s_cmp_lt_i32 s3, 7
	s_waitcnt vmcnt(0)
	ds_write2_b64 v89, v[77:78], v[79:80] offset1:1
	s_waitcnt lgkmcnt(0)
	s_barrier
	ds_read2_b64 v[117:120], v0 offset0:10 offset1:11
	v_mov_b32_e32 v89, 5
	s_cbranch_scc1 .LBB114_107
; %bb.105:
	v_add_u32_e32 v90, 0x60, v0
	s_mov_b32 s0, 6
	v_mov_b32_e32 v89, 5
.LBB114_106:                            ; =>This Inner Loop Header: Depth=1
	s_waitcnt lgkmcnt(0)
	v_cmp_gt_f64_e32 vcc, 0, v[117:118]
	v_xor_b32_e32 v91, 0x80000000, v118
	ds_read2_b64 v[95:98], v90 offset1:1
	v_xor_b32_e32 v99, 0x80000000, v120
	v_add_u32_e32 v90, 16, v90
	s_waitcnt lgkmcnt(0)
	v_xor_b32_e32 v101, 0x80000000, v98
	v_cndmask_b32_e32 v92, v118, v91, vcc
	v_cmp_gt_f64_e32 vcc, 0, v[119:120]
	v_mov_b32_e32 v91, v117
	v_cndmask_b32_e32 v100, v120, v99, vcc
	v_cmp_gt_f64_e32 vcc, 0, v[95:96]
	v_mov_b32_e32 v99, v119
	v_add_f64 v[91:92], v[91:92], v[99:100]
	v_xor_b32_e32 v99, 0x80000000, v96
	v_cndmask_b32_e32 v100, v96, v99, vcc
	v_cmp_gt_f64_e32 vcc, 0, v[97:98]
	v_mov_b32_e32 v99, v95
	v_cndmask_b32_e32 v102, v98, v101, vcc
	v_mov_b32_e32 v101, v97
	v_add_f64 v[99:100], v[99:100], v[101:102]
	v_cmp_lt_f64_e32 vcc, v[91:92], v[99:100]
	v_mov_b32_e32 v91, s0
	s_add_i32 s0, s0, 1
	s_cmp_lg_u32 s3, s0
	v_cndmask_b32_e32 v118, v118, v96, vcc
	v_cndmask_b32_e32 v117, v117, v95, vcc
	;; [unrolled: 1-line block ×5, first 2 shown]
	s_cbranch_scc1 .LBB114_106
.LBB114_107:
	s_waitcnt lgkmcnt(0)
	v_cmp_eq_f64_e32 vcc, 0, v[117:118]
	v_cmp_eq_f64_e64 s[0:1], 0, v[119:120]
	s_and_b64 s[0:1], vcc, s[0:1]
	s_and_saveexec_b64 s[18:19], s[0:1]
	s_xor_b64 s[0:1], exec, s[18:19]
; %bb.108:
	v_cmp_ne_u32_e32 vcc, 0, v94
	v_cndmask_b32_e32 v94, 6, v94, vcc
; %bb.109:
	s_andn2_saveexec_b64 s[0:1], s[0:1]
	s_cbranch_execz .LBB114_115
; %bb.110:
	v_cmp_ngt_f64_e64 s[18:19], |v[117:118]|, |v[119:120]|
	s_and_saveexec_b64 s[20:21], s[18:19]
	s_xor_b64 s[18:19], exec, s[20:21]
	s_cbranch_execz .LBB114_112
; %bb.111:
	v_div_scale_f64 v[90:91], s[20:21], v[119:120], v[119:120], v[117:118]
	v_rcp_f64_e32 v[95:96], v[90:91]
	v_fma_f64 v[97:98], -v[90:91], v[95:96], 1.0
	v_fma_f64 v[95:96], v[95:96], v[97:98], v[95:96]
	v_div_scale_f64 v[97:98], vcc, v[117:118], v[119:120], v[117:118]
	v_fma_f64 v[99:100], -v[90:91], v[95:96], 1.0
	v_fma_f64 v[95:96], v[95:96], v[99:100], v[95:96]
	v_mul_f64 v[99:100], v[97:98], v[95:96]
	v_fma_f64 v[90:91], -v[90:91], v[99:100], v[97:98]
	v_div_fmas_f64 v[90:91], v[90:91], v[95:96], v[99:100]
	v_div_fixup_f64 v[90:91], v[90:91], v[119:120], v[117:118]
	v_fma_f64 v[95:96], v[117:118], v[90:91], v[119:120]
	v_div_scale_f64 v[97:98], s[20:21], v[95:96], v[95:96], 1.0
	v_div_scale_f64 v[103:104], vcc, 1.0, v[95:96], 1.0
	v_rcp_f64_e32 v[99:100], v[97:98]
	v_fma_f64 v[101:102], -v[97:98], v[99:100], 1.0
	v_fma_f64 v[99:100], v[99:100], v[101:102], v[99:100]
	v_fma_f64 v[101:102], -v[97:98], v[99:100], 1.0
	v_fma_f64 v[99:100], v[99:100], v[101:102], v[99:100]
	v_mul_f64 v[101:102], v[103:104], v[99:100]
	v_fma_f64 v[97:98], -v[97:98], v[101:102], v[103:104]
	v_div_fmas_f64 v[97:98], v[97:98], v[99:100], v[101:102]
	v_div_fixup_f64 v[119:120], v[97:98], v[95:96], 1.0
	v_mul_f64 v[117:118], v[90:91], v[119:120]
	v_xor_b32_e32 v120, 0x80000000, v120
.LBB114_112:
	s_andn2_saveexec_b64 s[18:19], s[18:19]
	s_cbranch_execz .LBB114_114
; %bb.113:
	v_div_scale_f64 v[90:91], s[20:21], v[117:118], v[117:118], v[119:120]
	v_rcp_f64_e32 v[95:96], v[90:91]
	v_fma_f64 v[97:98], -v[90:91], v[95:96], 1.0
	v_fma_f64 v[95:96], v[95:96], v[97:98], v[95:96]
	v_div_scale_f64 v[97:98], vcc, v[119:120], v[117:118], v[119:120]
	v_fma_f64 v[99:100], -v[90:91], v[95:96], 1.0
	v_fma_f64 v[95:96], v[95:96], v[99:100], v[95:96]
	v_mul_f64 v[99:100], v[97:98], v[95:96]
	v_fma_f64 v[90:91], -v[90:91], v[99:100], v[97:98]
	v_div_fmas_f64 v[90:91], v[90:91], v[95:96], v[99:100]
	v_div_fixup_f64 v[90:91], v[90:91], v[117:118], v[119:120]
	v_fma_f64 v[95:96], v[119:120], v[90:91], v[117:118]
	v_div_scale_f64 v[97:98], s[20:21], v[95:96], v[95:96], 1.0
	v_div_scale_f64 v[103:104], vcc, 1.0, v[95:96], 1.0
	v_rcp_f64_e32 v[99:100], v[97:98]
	v_fma_f64 v[101:102], -v[97:98], v[99:100], 1.0
	v_fma_f64 v[99:100], v[99:100], v[101:102], v[99:100]
	v_fma_f64 v[101:102], -v[97:98], v[99:100], 1.0
	v_fma_f64 v[99:100], v[99:100], v[101:102], v[99:100]
	v_mul_f64 v[101:102], v[103:104], v[99:100]
	v_fma_f64 v[97:98], -v[97:98], v[101:102], v[103:104]
	v_div_fmas_f64 v[97:98], v[97:98], v[99:100], v[101:102]
	v_div_fixup_f64 v[117:118], v[97:98], v[95:96], 1.0
	v_mul_f64 v[119:120], v[90:91], -v[117:118]
.LBB114_114:
	s_or_b64 exec, exec, s[18:19]
.LBB114_115:
	s_or_b64 exec, exec, s[0:1]
	v_cmp_ne_u32_e32 vcc, v93, v89
	s_and_saveexec_b64 s[0:1], vcc
	s_xor_b64 s[0:1], exec, s[0:1]
	s_cbranch_execz .LBB114_121
; %bb.116:
	v_cmp_eq_u32_e32 vcc, 5, v93
	s_and_saveexec_b64 s[18:19], vcc
	s_cbranch_execz .LBB114_120
; %bb.117:
	v_cmp_ne_u32_e32 vcc, 5, v89
	s_xor_b64 s[20:21], s[6:7], -1
	s_and_b64 s[22:23], s[20:21], vcc
	s_and_saveexec_b64 s[20:21], s[22:23]
	s_cbranch_execz .LBB114_119
; %bb.118:
	v_mov_b32_e32 v77, v81
	v_mov_b32_e32 v78, v82
	;; [unrolled: 1-line block ×4, first 2 shown]
	buffer_load_dword v81, off, s[24:27], 0 offset:480 ; 4-byte Folded Reload
	buffer_load_dword v82, off, s[24:27], 0 offset:484 ; 4-byte Folded Reload
	v_ashrrev_i32_e32 v90, 31, v89
	v_lshlrev_b64 v[90:91], 2, v[89:90]
	s_waitcnt vmcnt(1)
	v_add_co_u32_e32 v90, vcc, v81, v90
	s_waitcnt vmcnt(0)
	v_addc_co_u32_e32 v91, vcc, v82, v91, vcc
	global_load_dword v92, v[90:91], off
	global_load_dword v93, v[81:82], off offset:20
	s_waitcnt vmcnt(1)
	global_store_dword v[81:82], v92, off offset:20
	v_mov_b32_e32 v84, v80
	v_mov_b32_e32 v83, v79
	;; [unrolled: 1-line block ×4, first 2 shown]
	s_waitcnt vmcnt(1)
	global_store_dword v[90:91], v93, off
.LBB114_119:
	s_or_b64 exec, exec, s[20:21]
	v_mov_b32_e32 v93, v89
	v_mov_b32_e32 v127, v89
.LBB114_120:
	s_or_b64 exec, exec, s[18:19]
.LBB114_121:
	s_andn2_saveexec_b64 s[0:1], s[0:1]
	s_cbranch_execz .LBB114_123
; %bb.122:
	buffer_load_dword v77, off, s[24:27], 0 offset:432 ; 4-byte Folded Reload
	buffer_load_dword v78, off, s[24:27], 0 offset:436 ; 4-byte Folded Reload
	;; [unrolled: 1-line block ×4, first 2 shown]
	v_mov_b32_e32 v93, 5
	s_waitcnt vmcnt(0)
	ds_write2_b64 v0, v[77:78], v[79:80] offset0:12 offset1:13
	buffer_load_dword v77, off, s[24:27], 0 offset:416 ; 4-byte Folded Reload
	buffer_load_dword v78, off, s[24:27], 0 offset:420 ; 4-byte Folded Reload
	buffer_load_dword v79, off, s[24:27], 0 offset:424 ; 4-byte Folded Reload
	buffer_load_dword v80, off, s[24:27], 0 offset:428 ; 4-byte Folded Reload
	s_waitcnt vmcnt(0)
	ds_write2_b64 v0, v[77:78], v[79:80] offset0:14 offset1:15
	buffer_load_dword v77, off, s[24:27], 0 offset:400 ; 4-byte Folded Reload
	buffer_load_dword v78, off, s[24:27], 0 offset:404 ; 4-byte Folded Reload
	buffer_load_dword v79, off, s[24:27], 0 offset:408 ; 4-byte Folded Reload
	buffer_load_dword v80, off, s[24:27], 0 offset:412 ; 4-byte Folded Reload
	;; [unrolled: 6-line block ×26, first 2 shown]
	s_waitcnt vmcnt(0)
	ds_write2_b64 v0, v[77:78], v[79:80] offset0:64 offset1:65
	ds_write2_b64 v0, v[81:82], v[83:84] offset0:66 offset1:67
	;; [unrolled: 1-line block ×5, first 2 shown]
	buffer_load_dword v77, off, s[24:27], 0 ; 4-byte Folded Reload
	buffer_load_dword v78, off, s[24:27], 0 offset:4 ; 4-byte Folded Reload
	buffer_load_dword v79, off, s[24:27], 0 offset:8 ; 4-byte Folded Reload
	;; [unrolled: 1-line block ×3, first 2 shown]
	s_waitcnt vmcnt(0)
	ds_write2_b64 v0, v[77:78], v[79:80] offset0:74 offset1:75
	ds_write2_b64 v0, v[73:74], v[75:76] offset0:76 offset1:77
	;; [unrolled: 1-line block ×21, first 2 shown]
.LBB114_123:
	s_or_b64 exec, exec, s[0:1]
	v_cmp_lt_i32_e32 vcc, 5, v93
	s_waitcnt vmcnt(0) lgkmcnt(0)
	s_barrier
	s_and_saveexec_b64 s[0:1], vcc
	s_cbranch_execz .LBB114_125
; %bb.124:
	buffer_load_dword v97, off, s[24:27], 0 offset:448 ; 4-byte Folded Reload
	buffer_load_dword v98, off, s[24:27], 0 offset:452 ; 4-byte Folded Reload
	;; [unrolled: 1-line block ×4, first 2 shown]
	s_waitcnt vmcnt(0)
	v_mul_f64 v[89:90], v[119:120], v[99:100]
	v_fma_f64 v[125:126], v[117:118], v[97:98], -v[89:90]
	v_mul_f64 v[89:90], v[117:118], v[99:100]
	v_fma_f64 v[99:100], v[119:120], v[97:98], v[89:90]
	ds_read2_b64 v[89:92], v0 offset0:12 offset1:13
	buffer_load_dword v77, off, s[24:27], 0 offset:432 ; 4-byte Folded Reload
	buffer_load_dword v78, off, s[24:27], 0 offset:436 ; 4-byte Folded Reload
	buffer_load_dword v79, off, s[24:27], 0 offset:440 ; 4-byte Folded Reload
	buffer_load_dword v80, off, s[24:27], 0 offset:444 ; 4-byte Folded Reload
	s_waitcnt lgkmcnt(0)
	v_mul_f64 v[95:96], v[91:92], v[99:100]
	v_fma_f64 v[95:96], v[89:90], v[125:126], -v[95:96]
	v_mul_f64 v[89:90], v[89:90], v[99:100]
	v_fma_f64 v[89:90], v[91:92], v[125:126], v[89:90]
	s_waitcnt vmcnt(2)
	v_add_f64 v[77:78], v[77:78], -v[95:96]
	s_waitcnt vmcnt(0)
	v_add_f64 v[79:80], v[79:80], -v[89:90]
	buffer_store_dword v77, off, s[24:27], 0 offset:432 ; 4-byte Folded Spill
	s_nop 0
	buffer_store_dword v78, off, s[24:27], 0 offset:436 ; 4-byte Folded Spill
	buffer_store_dword v79, off, s[24:27], 0 offset:440 ; 4-byte Folded Spill
	buffer_store_dword v80, off, s[24:27], 0 offset:444 ; 4-byte Folded Spill
	ds_read2_b64 v[89:92], v0 offset0:14 offset1:15
	buffer_load_dword v77, off, s[24:27], 0 offset:416 ; 4-byte Folded Reload
	buffer_load_dword v78, off, s[24:27], 0 offset:420 ; 4-byte Folded Reload
	buffer_load_dword v79, off, s[24:27], 0 offset:424 ; 4-byte Folded Reload
	buffer_load_dword v80, off, s[24:27], 0 offset:428 ; 4-byte Folded Reload
	s_waitcnt lgkmcnt(0)
	v_mul_f64 v[95:96], v[91:92], v[99:100]
	v_fma_f64 v[95:96], v[89:90], v[125:126], -v[95:96]
	v_mul_f64 v[89:90], v[89:90], v[99:100]
	v_fma_f64 v[89:90], v[91:92], v[125:126], v[89:90]
	s_waitcnt vmcnt(2)
	v_add_f64 v[77:78], v[77:78], -v[95:96]
	s_waitcnt vmcnt(0)
	v_add_f64 v[79:80], v[79:80], -v[89:90]
	buffer_store_dword v77, off, s[24:27], 0 offset:416 ; 4-byte Folded Spill
	s_nop 0
	buffer_store_dword v78, off, s[24:27], 0 offset:420 ; 4-byte Folded Spill
	buffer_store_dword v79, off, s[24:27], 0 offset:424 ; 4-byte Folded Spill
	buffer_store_dword v80, off, s[24:27], 0 offset:428 ; 4-byte Folded Spill
	;; [unrolled: 19-line block ×27, first 2 shown]
	ds_read2_b64 v[89:92], v0 offset0:66 offset1:67
	s_waitcnt lgkmcnt(0)
	v_mul_f64 v[95:96], v[91:92], v[99:100]
	v_fma_f64 v[95:96], v[89:90], v[125:126], -v[95:96]
	v_mul_f64 v[89:90], v[89:90], v[99:100]
	v_add_f64 v[81:82], v[81:82], -v[95:96]
	v_fma_f64 v[89:90], v[91:92], v[125:126], v[89:90]
	v_add_f64 v[83:84], v[83:84], -v[89:90]
	ds_read2_b64 v[89:92], v0 offset0:68 offset1:69
	s_waitcnt lgkmcnt(0)
	v_mul_f64 v[95:96], v[91:92], v[99:100]
	v_fma_f64 v[95:96], v[89:90], v[125:126], -v[95:96]
	v_mul_f64 v[89:90], v[89:90], v[99:100]
	v_add_f64 v[85:86], v[85:86], -v[95:96]
	v_fma_f64 v[89:90], v[91:92], v[125:126], v[89:90]
	v_add_f64 v[87:88], v[87:88], -v[89:90]
	;; [unrolled: 8-line block ×4, first 2 shown]
	ds_read2_b64 v[89:92], v0 offset0:74 offset1:75
	buffer_load_dword v77, off, s[24:27], 0 ; 4-byte Folded Reload
	buffer_load_dword v78, off, s[24:27], 0 offset:4 ; 4-byte Folded Reload
	buffer_load_dword v79, off, s[24:27], 0 offset:8 ; 4-byte Folded Reload
	;; [unrolled: 1-line block ×3, first 2 shown]
	s_waitcnt lgkmcnt(0)
	v_mul_f64 v[95:96], v[91:92], v[99:100]
	v_fma_f64 v[95:96], v[89:90], v[125:126], -v[95:96]
	v_mul_f64 v[89:90], v[89:90], v[99:100]
	v_fma_f64 v[89:90], v[91:92], v[125:126], v[89:90]
	s_waitcnt vmcnt(2)
	v_add_f64 v[77:78], v[77:78], -v[95:96]
	s_waitcnt vmcnt(0)
	v_add_f64 v[79:80], v[79:80], -v[89:90]
	buffer_store_dword v77, off, s[24:27], 0 ; 4-byte Folded Spill
	s_nop 0
	buffer_store_dword v78, off, s[24:27], 0 offset:4 ; 4-byte Folded Spill
	buffer_store_dword v79, off, s[24:27], 0 offset:8 ; 4-byte Folded Spill
	;; [unrolled: 1-line block ×3, first 2 shown]
	ds_read2_b64 v[89:92], v0 offset0:76 offset1:77
	s_waitcnt lgkmcnt(0)
	v_mul_f64 v[95:96], v[91:92], v[99:100]
	v_fma_f64 v[95:96], v[89:90], v[125:126], -v[95:96]
	v_mul_f64 v[89:90], v[89:90], v[99:100]
	v_add_f64 v[73:74], v[73:74], -v[95:96]
	v_fma_f64 v[89:90], v[91:92], v[125:126], v[89:90]
	v_add_f64 v[75:76], v[75:76], -v[89:90]
	ds_read2_b64 v[89:92], v0 offset0:78 offset1:79
	s_waitcnt lgkmcnt(0)
	v_mul_f64 v[95:96], v[91:92], v[99:100]
	v_fma_f64 v[95:96], v[89:90], v[125:126], -v[95:96]
	v_mul_f64 v[89:90], v[89:90], v[99:100]
	v_add_f64 v[69:70], v[69:70], -v[95:96]
	v_fma_f64 v[89:90], v[91:92], v[125:126], v[89:90]
	v_add_f64 v[71:72], v[71:72], -v[89:90]
	ds_read2_b64 v[89:92], v0 offset0:80 offset1:81
	s_waitcnt lgkmcnt(0)
	v_mul_f64 v[95:96], v[91:92], v[99:100]
	v_fma_f64 v[95:96], v[89:90], v[125:126], -v[95:96]
	v_mul_f64 v[89:90], v[89:90], v[99:100]
	v_add_f64 v[65:66], v[65:66], -v[95:96]
	v_fma_f64 v[89:90], v[91:92], v[125:126], v[89:90]
	v_add_f64 v[67:68], v[67:68], -v[89:90]
	ds_read2_b64 v[89:92], v0 offset0:82 offset1:83
	s_waitcnt lgkmcnt(0)
	v_mul_f64 v[95:96], v[91:92], v[99:100]
	v_fma_f64 v[95:96], v[89:90], v[125:126], -v[95:96]
	v_mul_f64 v[89:90], v[89:90], v[99:100]
	v_add_f64 v[61:62], v[61:62], -v[95:96]
	v_fma_f64 v[89:90], v[91:92], v[125:126], v[89:90]
	v_add_f64 v[63:64], v[63:64], -v[89:90]
	ds_read2_b64 v[89:92], v0 offset0:84 offset1:85
	s_waitcnt lgkmcnt(0)
	v_mul_f64 v[95:96], v[91:92], v[99:100]
	v_fma_f64 v[95:96], v[89:90], v[125:126], -v[95:96]
	v_mul_f64 v[89:90], v[89:90], v[99:100]
	v_add_f64 v[57:58], v[57:58], -v[95:96]
	v_fma_f64 v[89:90], v[91:92], v[125:126], v[89:90]
	v_add_f64 v[59:60], v[59:60], -v[89:90]
	ds_read2_b64 v[89:92], v0 offset0:86 offset1:87
	s_waitcnt lgkmcnt(0)
	v_mul_f64 v[95:96], v[91:92], v[99:100]
	v_fma_f64 v[95:96], v[89:90], v[125:126], -v[95:96]
	v_mul_f64 v[89:90], v[89:90], v[99:100]
	v_add_f64 v[53:54], v[53:54], -v[95:96]
	v_fma_f64 v[89:90], v[91:92], v[125:126], v[89:90]
	v_add_f64 v[55:56], v[55:56], -v[89:90]
	ds_read2_b64 v[89:92], v0 offset0:88 offset1:89
	s_waitcnt lgkmcnt(0)
	v_mul_f64 v[95:96], v[91:92], v[99:100]
	v_fma_f64 v[95:96], v[89:90], v[125:126], -v[95:96]
	v_mul_f64 v[89:90], v[89:90], v[99:100]
	v_add_f64 v[49:50], v[49:50], -v[95:96]
	v_fma_f64 v[89:90], v[91:92], v[125:126], v[89:90]
	v_add_f64 v[51:52], v[51:52], -v[89:90]
	ds_read2_b64 v[89:92], v0 offset0:90 offset1:91
	s_waitcnt lgkmcnt(0)
	v_mul_f64 v[95:96], v[91:92], v[99:100]
	v_fma_f64 v[95:96], v[89:90], v[125:126], -v[95:96]
	v_mul_f64 v[89:90], v[89:90], v[99:100]
	v_add_f64 v[45:46], v[45:46], -v[95:96]
	v_fma_f64 v[89:90], v[91:92], v[125:126], v[89:90]
	v_add_f64 v[47:48], v[47:48], -v[89:90]
	ds_read2_b64 v[89:92], v0 offset0:92 offset1:93
	s_waitcnt lgkmcnt(0)
	v_mul_f64 v[95:96], v[91:92], v[99:100]
	v_fma_f64 v[95:96], v[89:90], v[125:126], -v[95:96]
	v_mul_f64 v[89:90], v[89:90], v[99:100]
	v_add_f64 v[41:42], v[41:42], -v[95:96]
	v_fma_f64 v[89:90], v[91:92], v[125:126], v[89:90]
	v_add_f64 v[43:44], v[43:44], -v[89:90]
	ds_read2_b64 v[89:92], v0 offset0:94 offset1:95
	s_waitcnt lgkmcnt(0)
	v_mul_f64 v[95:96], v[91:92], v[99:100]
	v_fma_f64 v[95:96], v[89:90], v[125:126], -v[95:96]
	v_mul_f64 v[89:90], v[89:90], v[99:100]
	v_add_f64 v[37:38], v[37:38], -v[95:96]
	v_fma_f64 v[89:90], v[91:92], v[125:126], v[89:90]
	v_add_f64 v[39:40], v[39:40], -v[89:90]
	ds_read2_b64 v[89:92], v0 offset0:96 offset1:97
	s_waitcnt lgkmcnt(0)
	v_mul_f64 v[95:96], v[91:92], v[99:100]
	v_fma_f64 v[95:96], v[89:90], v[125:126], -v[95:96]
	v_mul_f64 v[89:90], v[89:90], v[99:100]
	v_add_f64 v[33:34], v[33:34], -v[95:96]
	v_fma_f64 v[89:90], v[91:92], v[125:126], v[89:90]
	v_add_f64 v[35:36], v[35:36], -v[89:90]
	ds_read2_b64 v[89:92], v0 offset0:98 offset1:99
	s_waitcnt lgkmcnt(0)
	v_mul_f64 v[95:96], v[91:92], v[99:100]
	v_fma_f64 v[95:96], v[89:90], v[125:126], -v[95:96]
	v_mul_f64 v[89:90], v[89:90], v[99:100]
	v_add_f64 v[29:30], v[29:30], -v[95:96]
	v_fma_f64 v[89:90], v[91:92], v[125:126], v[89:90]
	v_add_f64 v[31:32], v[31:32], -v[89:90]
	ds_read2_b64 v[89:92], v0 offset0:100 offset1:101
	s_waitcnt lgkmcnt(0)
	v_mul_f64 v[95:96], v[91:92], v[99:100]
	v_fma_f64 v[95:96], v[89:90], v[125:126], -v[95:96]
	v_mul_f64 v[89:90], v[89:90], v[99:100]
	v_add_f64 v[25:26], v[25:26], -v[95:96]
	v_fma_f64 v[89:90], v[91:92], v[125:126], v[89:90]
	v_add_f64 v[27:28], v[27:28], -v[89:90]
	ds_read2_b64 v[89:92], v0 offset0:102 offset1:103
	s_waitcnt lgkmcnt(0)
	v_mul_f64 v[95:96], v[91:92], v[99:100]
	v_fma_f64 v[95:96], v[89:90], v[125:126], -v[95:96]
	v_mul_f64 v[89:90], v[89:90], v[99:100]
	v_add_f64 v[21:22], v[21:22], -v[95:96]
	v_fma_f64 v[89:90], v[91:92], v[125:126], v[89:90]
	v_add_f64 v[23:24], v[23:24], -v[89:90]
	ds_read2_b64 v[89:92], v0 offset0:104 offset1:105
	s_waitcnt lgkmcnt(0)
	v_mul_f64 v[95:96], v[91:92], v[99:100]
	v_fma_f64 v[95:96], v[89:90], v[125:126], -v[95:96]
	v_mul_f64 v[89:90], v[89:90], v[99:100]
	v_add_f64 v[17:18], v[17:18], -v[95:96]
	v_fma_f64 v[89:90], v[91:92], v[125:126], v[89:90]
	v_add_f64 v[19:20], v[19:20], -v[89:90]
	ds_read2_b64 v[89:92], v0 offset0:106 offset1:107
	s_waitcnt lgkmcnt(0)
	v_mul_f64 v[95:96], v[91:92], v[99:100]
	v_fma_f64 v[95:96], v[89:90], v[125:126], -v[95:96]
	v_mul_f64 v[89:90], v[89:90], v[99:100]
	v_add_f64 v[13:14], v[13:14], -v[95:96]
	v_fma_f64 v[89:90], v[91:92], v[125:126], v[89:90]
	v_add_f64 v[15:16], v[15:16], -v[89:90]
	ds_read2_b64 v[89:92], v0 offset0:108 offset1:109
	s_waitcnt lgkmcnt(0)
	v_mul_f64 v[95:96], v[91:92], v[99:100]
	v_fma_f64 v[95:96], v[89:90], v[125:126], -v[95:96]
	v_mul_f64 v[89:90], v[89:90], v[99:100]
	v_add_f64 v[9:10], v[9:10], -v[95:96]
	v_fma_f64 v[89:90], v[91:92], v[125:126], v[89:90]
	v_add_f64 v[11:12], v[11:12], -v[89:90]
	ds_read2_b64 v[89:92], v0 offset0:110 offset1:111
	s_waitcnt lgkmcnt(0)
	v_mul_f64 v[95:96], v[91:92], v[99:100]
	v_fma_f64 v[95:96], v[89:90], v[125:126], -v[95:96]
	v_mul_f64 v[89:90], v[89:90], v[99:100]
	v_add_f64 v[5:6], v[5:6], -v[95:96]
	v_fma_f64 v[89:90], v[91:92], v[125:126], v[89:90]
	v_add_f64 v[7:8], v[7:8], -v[89:90]
	ds_read2_b64 v[89:92], v0 offset0:112 offset1:113
	s_waitcnt lgkmcnt(0)
	v_mul_f64 v[95:96], v[91:92], v[99:100]
	v_fma_f64 v[95:96], v[89:90], v[125:126], -v[95:96]
	v_mul_f64 v[89:90], v[89:90], v[99:100]
	v_add_f64 v[1:2], v[1:2], -v[95:96]
	v_fma_f64 v[89:90], v[91:92], v[125:126], v[89:90]
	ds_read2_b64 v[95:98], v0 offset0:114 offset1:115
	s_waitcnt lgkmcnt(0)
	v_mul_f64 v[91:92], v[95:96], v[99:100]
	v_add_f64 v[3:4], v[3:4], -v[89:90]
	v_mul_f64 v[89:90], v[97:98], v[99:100]
	v_fma_f64 v[91:92], v[97:98], v[125:126], v[91:92]
	v_mov_b32_e32 v97, v125
	v_mov_b32_e32 v98, v126
	v_fma_f64 v[89:90], v[95:96], v[125:126], -v[89:90]
	buffer_store_dword v97, off, s[24:27], 0 offset:448 ; 4-byte Folded Spill
	s_nop 0
	buffer_store_dword v98, off, s[24:27], 0 offset:452 ; 4-byte Folded Spill
	buffer_store_dword v99, off, s[24:27], 0 offset:456 ; 4-byte Folded Spill
	;; [unrolled: 1-line block ×3, first 2 shown]
	v_add_f64 v[123:124], v[123:124], -v[91:92]
	v_add_f64 v[121:122], v[121:122], -v[89:90]
.LBB114_125:
	s_or_b64 exec, exec, s[0:1]
	s_waitcnt vmcnt(0)
	s_barrier
	buffer_load_dword v77, off, s[24:27], 0 offset:432 ; 4-byte Folded Reload
	buffer_load_dword v78, off, s[24:27], 0 offset:436 ; 4-byte Folded Reload
	;; [unrolled: 1-line block ×4, first 2 shown]
	v_lshl_add_u32 v89, v93, 4, v0
	s_cmp_lt_i32 s3, 8
	s_waitcnt vmcnt(0)
	ds_write2_b64 v89, v[77:78], v[79:80] offset1:1
	s_waitcnt lgkmcnt(0)
	s_barrier
	ds_read2_b64 v[117:120], v0 offset0:12 offset1:13
	v_mov_b32_e32 v89, 6
	s_cbranch_scc1 .LBB114_128
; %bb.126:
	v_add_u32_e32 v90, 0x70, v0
	s_mov_b32 s0, 7
	v_mov_b32_e32 v89, 6
.LBB114_127:                            ; =>This Inner Loop Header: Depth=1
	s_waitcnt lgkmcnt(0)
	v_cmp_gt_f64_e32 vcc, 0, v[117:118]
	v_xor_b32_e32 v91, 0x80000000, v118
	ds_read2_b64 v[95:98], v90 offset1:1
	v_xor_b32_e32 v99, 0x80000000, v120
	v_add_u32_e32 v90, 16, v90
	s_waitcnt lgkmcnt(0)
	v_xor_b32_e32 v101, 0x80000000, v98
	v_cndmask_b32_e32 v92, v118, v91, vcc
	v_cmp_gt_f64_e32 vcc, 0, v[119:120]
	v_mov_b32_e32 v91, v117
	v_cndmask_b32_e32 v100, v120, v99, vcc
	v_cmp_gt_f64_e32 vcc, 0, v[95:96]
	v_mov_b32_e32 v99, v119
	v_add_f64 v[91:92], v[91:92], v[99:100]
	v_xor_b32_e32 v99, 0x80000000, v96
	v_cndmask_b32_e32 v100, v96, v99, vcc
	v_cmp_gt_f64_e32 vcc, 0, v[97:98]
	v_mov_b32_e32 v99, v95
	v_cndmask_b32_e32 v102, v98, v101, vcc
	v_mov_b32_e32 v101, v97
	v_add_f64 v[99:100], v[99:100], v[101:102]
	v_cmp_lt_f64_e32 vcc, v[91:92], v[99:100]
	v_mov_b32_e32 v91, s0
	s_add_i32 s0, s0, 1
	s_cmp_lg_u32 s3, s0
	v_cndmask_b32_e32 v118, v118, v96, vcc
	v_cndmask_b32_e32 v117, v117, v95, vcc
	;; [unrolled: 1-line block ×5, first 2 shown]
	s_cbranch_scc1 .LBB114_127
.LBB114_128:
	s_waitcnt lgkmcnt(0)
	v_cmp_eq_f64_e32 vcc, 0, v[117:118]
	v_cmp_eq_f64_e64 s[0:1], 0, v[119:120]
	s_and_b64 s[0:1], vcc, s[0:1]
	s_and_saveexec_b64 s[18:19], s[0:1]
	s_xor_b64 s[0:1], exec, s[18:19]
; %bb.129:
	v_cmp_ne_u32_e32 vcc, 0, v94
	v_cndmask_b32_e32 v94, 7, v94, vcc
; %bb.130:
	s_andn2_saveexec_b64 s[0:1], s[0:1]
	s_cbranch_execz .LBB114_136
; %bb.131:
	v_cmp_ngt_f64_e64 s[18:19], |v[117:118]|, |v[119:120]|
	s_and_saveexec_b64 s[20:21], s[18:19]
	s_xor_b64 s[18:19], exec, s[20:21]
	s_cbranch_execz .LBB114_133
; %bb.132:
	v_div_scale_f64 v[90:91], s[20:21], v[119:120], v[119:120], v[117:118]
	v_rcp_f64_e32 v[95:96], v[90:91]
	v_fma_f64 v[97:98], -v[90:91], v[95:96], 1.0
	v_fma_f64 v[95:96], v[95:96], v[97:98], v[95:96]
	v_div_scale_f64 v[97:98], vcc, v[117:118], v[119:120], v[117:118]
	v_fma_f64 v[99:100], -v[90:91], v[95:96], 1.0
	v_fma_f64 v[95:96], v[95:96], v[99:100], v[95:96]
	v_mul_f64 v[99:100], v[97:98], v[95:96]
	v_fma_f64 v[90:91], -v[90:91], v[99:100], v[97:98]
	v_div_fmas_f64 v[90:91], v[90:91], v[95:96], v[99:100]
	v_div_fixup_f64 v[90:91], v[90:91], v[119:120], v[117:118]
	v_fma_f64 v[95:96], v[117:118], v[90:91], v[119:120]
	v_div_scale_f64 v[97:98], s[20:21], v[95:96], v[95:96], 1.0
	v_div_scale_f64 v[103:104], vcc, 1.0, v[95:96], 1.0
	v_rcp_f64_e32 v[99:100], v[97:98]
	v_fma_f64 v[101:102], -v[97:98], v[99:100], 1.0
	v_fma_f64 v[99:100], v[99:100], v[101:102], v[99:100]
	v_fma_f64 v[101:102], -v[97:98], v[99:100], 1.0
	v_fma_f64 v[99:100], v[99:100], v[101:102], v[99:100]
	v_mul_f64 v[101:102], v[103:104], v[99:100]
	v_fma_f64 v[97:98], -v[97:98], v[101:102], v[103:104]
	v_div_fmas_f64 v[97:98], v[97:98], v[99:100], v[101:102]
	v_div_fixup_f64 v[119:120], v[97:98], v[95:96], 1.0
	v_mul_f64 v[117:118], v[90:91], v[119:120]
	v_xor_b32_e32 v120, 0x80000000, v120
.LBB114_133:
	s_andn2_saveexec_b64 s[18:19], s[18:19]
	s_cbranch_execz .LBB114_135
; %bb.134:
	v_div_scale_f64 v[90:91], s[20:21], v[117:118], v[117:118], v[119:120]
	v_rcp_f64_e32 v[95:96], v[90:91]
	v_fma_f64 v[97:98], -v[90:91], v[95:96], 1.0
	v_fma_f64 v[95:96], v[95:96], v[97:98], v[95:96]
	v_div_scale_f64 v[97:98], vcc, v[119:120], v[117:118], v[119:120]
	v_fma_f64 v[99:100], -v[90:91], v[95:96], 1.0
	v_fma_f64 v[95:96], v[95:96], v[99:100], v[95:96]
	v_mul_f64 v[99:100], v[97:98], v[95:96]
	v_fma_f64 v[90:91], -v[90:91], v[99:100], v[97:98]
	v_div_fmas_f64 v[90:91], v[90:91], v[95:96], v[99:100]
	v_div_fixup_f64 v[90:91], v[90:91], v[117:118], v[119:120]
	v_fma_f64 v[95:96], v[119:120], v[90:91], v[117:118]
	v_div_scale_f64 v[97:98], s[20:21], v[95:96], v[95:96], 1.0
	v_div_scale_f64 v[103:104], vcc, 1.0, v[95:96], 1.0
	v_rcp_f64_e32 v[99:100], v[97:98]
	v_fma_f64 v[101:102], -v[97:98], v[99:100], 1.0
	v_fma_f64 v[99:100], v[99:100], v[101:102], v[99:100]
	v_fma_f64 v[101:102], -v[97:98], v[99:100], 1.0
	v_fma_f64 v[99:100], v[99:100], v[101:102], v[99:100]
	v_mul_f64 v[101:102], v[103:104], v[99:100]
	v_fma_f64 v[97:98], -v[97:98], v[101:102], v[103:104]
	v_div_fmas_f64 v[97:98], v[97:98], v[99:100], v[101:102]
	v_div_fixup_f64 v[117:118], v[97:98], v[95:96], 1.0
	v_mul_f64 v[119:120], v[90:91], -v[117:118]
.LBB114_135:
	s_or_b64 exec, exec, s[18:19]
.LBB114_136:
	s_or_b64 exec, exec, s[0:1]
	v_cmp_ne_u32_e32 vcc, v93, v89
	s_and_saveexec_b64 s[0:1], vcc
	s_xor_b64 s[0:1], exec, s[0:1]
	s_cbranch_execz .LBB114_142
; %bb.137:
	v_cmp_eq_u32_e32 vcc, 6, v93
	s_and_saveexec_b64 s[18:19], vcc
	s_cbranch_execz .LBB114_141
; %bb.138:
	v_cmp_ne_u32_e32 vcc, 6, v89
	s_xor_b64 s[20:21], s[6:7], -1
	s_and_b64 s[22:23], s[20:21], vcc
	s_and_saveexec_b64 s[20:21], s[22:23]
	s_cbranch_execz .LBB114_140
; %bb.139:
	v_mov_b32_e32 v77, v81
	v_mov_b32_e32 v78, v82
	;; [unrolled: 1-line block ×4, first 2 shown]
	buffer_load_dword v81, off, s[24:27], 0 offset:480 ; 4-byte Folded Reload
	buffer_load_dword v82, off, s[24:27], 0 offset:484 ; 4-byte Folded Reload
	v_ashrrev_i32_e32 v90, 31, v89
	v_lshlrev_b64 v[90:91], 2, v[89:90]
	s_waitcnt vmcnt(1)
	v_add_co_u32_e32 v90, vcc, v81, v90
	s_waitcnt vmcnt(0)
	v_addc_co_u32_e32 v91, vcc, v82, v91, vcc
	global_load_dword v92, v[90:91], off
	global_load_dword v93, v[81:82], off offset:24
	s_waitcnt vmcnt(1)
	global_store_dword v[81:82], v92, off offset:24
	v_mov_b32_e32 v84, v80
	v_mov_b32_e32 v83, v79
	v_mov_b32_e32 v82, v78
	v_mov_b32_e32 v81, v77
	s_waitcnt vmcnt(1)
	global_store_dword v[90:91], v93, off
.LBB114_140:
	s_or_b64 exec, exec, s[20:21]
	v_mov_b32_e32 v93, v89
	v_mov_b32_e32 v127, v89
.LBB114_141:
	s_or_b64 exec, exec, s[18:19]
.LBB114_142:
	s_andn2_saveexec_b64 s[0:1], s[0:1]
	s_cbranch_execz .LBB114_144
; %bb.143:
	buffer_load_dword v77, off, s[24:27], 0 offset:416 ; 4-byte Folded Reload
	buffer_load_dword v78, off, s[24:27], 0 offset:420 ; 4-byte Folded Reload
	;; [unrolled: 1-line block ×4, first 2 shown]
	v_mov_b32_e32 v93, 6
	s_waitcnt vmcnt(0)
	ds_write2_b64 v0, v[77:78], v[79:80] offset0:14 offset1:15
	buffer_load_dword v77, off, s[24:27], 0 offset:400 ; 4-byte Folded Reload
	buffer_load_dword v78, off, s[24:27], 0 offset:404 ; 4-byte Folded Reload
	buffer_load_dword v79, off, s[24:27], 0 offset:408 ; 4-byte Folded Reload
	buffer_load_dword v80, off, s[24:27], 0 offset:412 ; 4-byte Folded Reload
	s_waitcnt vmcnt(0)
	ds_write2_b64 v0, v[77:78], v[79:80] offset0:16 offset1:17
	buffer_load_dword v77, off, s[24:27], 0 offset:384 ; 4-byte Folded Reload
	buffer_load_dword v78, off, s[24:27], 0 offset:388 ; 4-byte Folded Reload
	buffer_load_dword v79, off, s[24:27], 0 offset:392 ; 4-byte Folded Reload
	buffer_load_dword v80, off, s[24:27], 0 offset:396 ; 4-byte Folded Reload
	;; [unrolled: 6-line block ×25, first 2 shown]
	s_waitcnt vmcnt(0)
	ds_write2_b64 v0, v[77:78], v[79:80] offset0:64 offset1:65
	ds_write2_b64 v0, v[81:82], v[83:84] offset0:66 offset1:67
	;; [unrolled: 1-line block ×5, first 2 shown]
	buffer_load_dword v77, off, s[24:27], 0 ; 4-byte Folded Reload
	buffer_load_dword v78, off, s[24:27], 0 offset:4 ; 4-byte Folded Reload
	buffer_load_dword v79, off, s[24:27], 0 offset:8 ; 4-byte Folded Reload
	;; [unrolled: 1-line block ×3, first 2 shown]
	s_waitcnt vmcnt(0)
	ds_write2_b64 v0, v[77:78], v[79:80] offset0:74 offset1:75
	ds_write2_b64 v0, v[73:74], v[75:76] offset0:76 offset1:77
	;; [unrolled: 1-line block ×21, first 2 shown]
.LBB114_144:
	s_or_b64 exec, exec, s[0:1]
	v_cmp_lt_i32_e32 vcc, 6, v93
	s_waitcnt vmcnt(0) lgkmcnt(0)
	s_barrier
	s_and_saveexec_b64 s[0:1], vcc
	s_cbranch_execz .LBB114_146
; %bb.145:
	buffer_load_dword v97, off, s[24:27], 0 offset:432 ; 4-byte Folded Reload
	buffer_load_dword v98, off, s[24:27], 0 offset:436 ; 4-byte Folded Reload
	;; [unrolled: 1-line block ×4, first 2 shown]
	s_waitcnt vmcnt(0)
	v_mul_f64 v[89:90], v[119:120], v[99:100]
	v_fma_f64 v[125:126], v[117:118], v[97:98], -v[89:90]
	v_mul_f64 v[89:90], v[117:118], v[99:100]
	v_fma_f64 v[99:100], v[119:120], v[97:98], v[89:90]
	ds_read2_b64 v[89:92], v0 offset0:14 offset1:15
	buffer_load_dword v77, off, s[24:27], 0 offset:416 ; 4-byte Folded Reload
	buffer_load_dword v78, off, s[24:27], 0 offset:420 ; 4-byte Folded Reload
	buffer_load_dword v79, off, s[24:27], 0 offset:424 ; 4-byte Folded Reload
	buffer_load_dword v80, off, s[24:27], 0 offset:428 ; 4-byte Folded Reload
	s_waitcnt lgkmcnt(0)
	v_mul_f64 v[95:96], v[91:92], v[99:100]
	v_fma_f64 v[95:96], v[89:90], v[125:126], -v[95:96]
	v_mul_f64 v[89:90], v[89:90], v[99:100]
	v_fma_f64 v[89:90], v[91:92], v[125:126], v[89:90]
	s_waitcnt vmcnt(2)
	v_add_f64 v[77:78], v[77:78], -v[95:96]
	s_waitcnt vmcnt(0)
	v_add_f64 v[79:80], v[79:80], -v[89:90]
	buffer_store_dword v77, off, s[24:27], 0 offset:416 ; 4-byte Folded Spill
	s_nop 0
	buffer_store_dword v78, off, s[24:27], 0 offset:420 ; 4-byte Folded Spill
	buffer_store_dword v79, off, s[24:27], 0 offset:424 ; 4-byte Folded Spill
	buffer_store_dword v80, off, s[24:27], 0 offset:428 ; 4-byte Folded Spill
	ds_read2_b64 v[89:92], v0 offset0:16 offset1:17
	buffer_load_dword v77, off, s[24:27], 0 offset:400 ; 4-byte Folded Reload
	buffer_load_dword v78, off, s[24:27], 0 offset:404 ; 4-byte Folded Reload
	buffer_load_dword v79, off, s[24:27], 0 offset:408 ; 4-byte Folded Reload
	buffer_load_dword v80, off, s[24:27], 0 offset:412 ; 4-byte Folded Reload
	s_waitcnt lgkmcnt(0)
	v_mul_f64 v[95:96], v[91:92], v[99:100]
	v_fma_f64 v[95:96], v[89:90], v[125:126], -v[95:96]
	v_mul_f64 v[89:90], v[89:90], v[99:100]
	v_fma_f64 v[89:90], v[91:92], v[125:126], v[89:90]
	s_waitcnt vmcnt(2)
	v_add_f64 v[77:78], v[77:78], -v[95:96]
	s_waitcnt vmcnt(0)
	v_add_f64 v[79:80], v[79:80], -v[89:90]
	buffer_store_dword v77, off, s[24:27], 0 offset:400 ; 4-byte Folded Spill
	s_nop 0
	buffer_store_dword v78, off, s[24:27], 0 offset:404 ; 4-byte Folded Spill
	buffer_store_dword v79, off, s[24:27], 0 offset:408 ; 4-byte Folded Spill
	buffer_store_dword v80, off, s[24:27], 0 offset:412 ; 4-byte Folded Spill
	;; [unrolled: 19-line block ×26, first 2 shown]
	ds_read2_b64 v[89:92], v0 offset0:66 offset1:67
	s_waitcnt lgkmcnt(0)
	v_mul_f64 v[95:96], v[91:92], v[99:100]
	v_fma_f64 v[95:96], v[89:90], v[125:126], -v[95:96]
	v_mul_f64 v[89:90], v[89:90], v[99:100]
	v_add_f64 v[81:82], v[81:82], -v[95:96]
	v_fma_f64 v[89:90], v[91:92], v[125:126], v[89:90]
	v_add_f64 v[83:84], v[83:84], -v[89:90]
	ds_read2_b64 v[89:92], v0 offset0:68 offset1:69
	s_waitcnt lgkmcnt(0)
	v_mul_f64 v[95:96], v[91:92], v[99:100]
	v_fma_f64 v[95:96], v[89:90], v[125:126], -v[95:96]
	v_mul_f64 v[89:90], v[89:90], v[99:100]
	v_add_f64 v[85:86], v[85:86], -v[95:96]
	v_fma_f64 v[89:90], v[91:92], v[125:126], v[89:90]
	v_add_f64 v[87:88], v[87:88], -v[89:90]
	;; [unrolled: 8-line block ×4, first 2 shown]
	ds_read2_b64 v[89:92], v0 offset0:74 offset1:75
	buffer_load_dword v77, off, s[24:27], 0 ; 4-byte Folded Reload
	buffer_load_dword v78, off, s[24:27], 0 offset:4 ; 4-byte Folded Reload
	buffer_load_dword v79, off, s[24:27], 0 offset:8 ; 4-byte Folded Reload
	buffer_load_dword v80, off, s[24:27], 0 offset:12 ; 4-byte Folded Reload
	s_waitcnt lgkmcnt(0)
	v_mul_f64 v[95:96], v[91:92], v[99:100]
	v_fma_f64 v[95:96], v[89:90], v[125:126], -v[95:96]
	v_mul_f64 v[89:90], v[89:90], v[99:100]
	v_fma_f64 v[89:90], v[91:92], v[125:126], v[89:90]
	s_waitcnt vmcnt(2)
	v_add_f64 v[77:78], v[77:78], -v[95:96]
	s_waitcnt vmcnt(0)
	v_add_f64 v[79:80], v[79:80], -v[89:90]
	buffer_store_dword v77, off, s[24:27], 0 ; 4-byte Folded Spill
	s_nop 0
	buffer_store_dword v78, off, s[24:27], 0 offset:4 ; 4-byte Folded Spill
	buffer_store_dword v79, off, s[24:27], 0 offset:8 ; 4-byte Folded Spill
	;; [unrolled: 1-line block ×3, first 2 shown]
	ds_read2_b64 v[89:92], v0 offset0:76 offset1:77
	s_waitcnt lgkmcnt(0)
	v_mul_f64 v[95:96], v[91:92], v[99:100]
	v_fma_f64 v[95:96], v[89:90], v[125:126], -v[95:96]
	v_mul_f64 v[89:90], v[89:90], v[99:100]
	v_add_f64 v[73:74], v[73:74], -v[95:96]
	v_fma_f64 v[89:90], v[91:92], v[125:126], v[89:90]
	v_add_f64 v[75:76], v[75:76], -v[89:90]
	ds_read2_b64 v[89:92], v0 offset0:78 offset1:79
	s_waitcnt lgkmcnt(0)
	v_mul_f64 v[95:96], v[91:92], v[99:100]
	v_fma_f64 v[95:96], v[89:90], v[125:126], -v[95:96]
	v_mul_f64 v[89:90], v[89:90], v[99:100]
	v_add_f64 v[69:70], v[69:70], -v[95:96]
	v_fma_f64 v[89:90], v[91:92], v[125:126], v[89:90]
	v_add_f64 v[71:72], v[71:72], -v[89:90]
	ds_read2_b64 v[89:92], v0 offset0:80 offset1:81
	s_waitcnt lgkmcnt(0)
	v_mul_f64 v[95:96], v[91:92], v[99:100]
	v_fma_f64 v[95:96], v[89:90], v[125:126], -v[95:96]
	v_mul_f64 v[89:90], v[89:90], v[99:100]
	v_add_f64 v[65:66], v[65:66], -v[95:96]
	v_fma_f64 v[89:90], v[91:92], v[125:126], v[89:90]
	v_add_f64 v[67:68], v[67:68], -v[89:90]
	ds_read2_b64 v[89:92], v0 offset0:82 offset1:83
	s_waitcnt lgkmcnt(0)
	v_mul_f64 v[95:96], v[91:92], v[99:100]
	v_fma_f64 v[95:96], v[89:90], v[125:126], -v[95:96]
	v_mul_f64 v[89:90], v[89:90], v[99:100]
	v_add_f64 v[61:62], v[61:62], -v[95:96]
	v_fma_f64 v[89:90], v[91:92], v[125:126], v[89:90]
	v_add_f64 v[63:64], v[63:64], -v[89:90]
	ds_read2_b64 v[89:92], v0 offset0:84 offset1:85
	s_waitcnt lgkmcnt(0)
	v_mul_f64 v[95:96], v[91:92], v[99:100]
	v_fma_f64 v[95:96], v[89:90], v[125:126], -v[95:96]
	v_mul_f64 v[89:90], v[89:90], v[99:100]
	v_add_f64 v[57:58], v[57:58], -v[95:96]
	v_fma_f64 v[89:90], v[91:92], v[125:126], v[89:90]
	v_add_f64 v[59:60], v[59:60], -v[89:90]
	ds_read2_b64 v[89:92], v0 offset0:86 offset1:87
	s_waitcnt lgkmcnt(0)
	v_mul_f64 v[95:96], v[91:92], v[99:100]
	v_fma_f64 v[95:96], v[89:90], v[125:126], -v[95:96]
	v_mul_f64 v[89:90], v[89:90], v[99:100]
	v_add_f64 v[53:54], v[53:54], -v[95:96]
	v_fma_f64 v[89:90], v[91:92], v[125:126], v[89:90]
	v_add_f64 v[55:56], v[55:56], -v[89:90]
	ds_read2_b64 v[89:92], v0 offset0:88 offset1:89
	s_waitcnt lgkmcnt(0)
	v_mul_f64 v[95:96], v[91:92], v[99:100]
	v_fma_f64 v[95:96], v[89:90], v[125:126], -v[95:96]
	v_mul_f64 v[89:90], v[89:90], v[99:100]
	v_add_f64 v[49:50], v[49:50], -v[95:96]
	v_fma_f64 v[89:90], v[91:92], v[125:126], v[89:90]
	v_add_f64 v[51:52], v[51:52], -v[89:90]
	ds_read2_b64 v[89:92], v0 offset0:90 offset1:91
	s_waitcnt lgkmcnt(0)
	v_mul_f64 v[95:96], v[91:92], v[99:100]
	v_fma_f64 v[95:96], v[89:90], v[125:126], -v[95:96]
	v_mul_f64 v[89:90], v[89:90], v[99:100]
	v_add_f64 v[45:46], v[45:46], -v[95:96]
	v_fma_f64 v[89:90], v[91:92], v[125:126], v[89:90]
	v_add_f64 v[47:48], v[47:48], -v[89:90]
	ds_read2_b64 v[89:92], v0 offset0:92 offset1:93
	s_waitcnt lgkmcnt(0)
	v_mul_f64 v[95:96], v[91:92], v[99:100]
	v_fma_f64 v[95:96], v[89:90], v[125:126], -v[95:96]
	v_mul_f64 v[89:90], v[89:90], v[99:100]
	v_add_f64 v[41:42], v[41:42], -v[95:96]
	v_fma_f64 v[89:90], v[91:92], v[125:126], v[89:90]
	v_add_f64 v[43:44], v[43:44], -v[89:90]
	ds_read2_b64 v[89:92], v0 offset0:94 offset1:95
	s_waitcnt lgkmcnt(0)
	v_mul_f64 v[95:96], v[91:92], v[99:100]
	v_fma_f64 v[95:96], v[89:90], v[125:126], -v[95:96]
	v_mul_f64 v[89:90], v[89:90], v[99:100]
	v_add_f64 v[37:38], v[37:38], -v[95:96]
	v_fma_f64 v[89:90], v[91:92], v[125:126], v[89:90]
	v_add_f64 v[39:40], v[39:40], -v[89:90]
	ds_read2_b64 v[89:92], v0 offset0:96 offset1:97
	s_waitcnt lgkmcnt(0)
	v_mul_f64 v[95:96], v[91:92], v[99:100]
	v_fma_f64 v[95:96], v[89:90], v[125:126], -v[95:96]
	v_mul_f64 v[89:90], v[89:90], v[99:100]
	v_add_f64 v[33:34], v[33:34], -v[95:96]
	v_fma_f64 v[89:90], v[91:92], v[125:126], v[89:90]
	v_add_f64 v[35:36], v[35:36], -v[89:90]
	ds_read2_b64 v[89:92], v0 offset0:98 offset1:99
	s_waitcnt lgkmcnt(0)
	v_mul_f64 v[95:96], v[91:92], v[99:100]
	v_fma_f64 v[95:96], v[89:90], v[125:126], -v[95:96]
	v_mul_f64 v[89:90], v[89:90], v[99:100]
	v_add_f64 v[29:30], v[29:30], -v[95:96]
	v_fma_f64 v[89:90], v[91:92], v[125:126], v[89:90]
	v_add_f64 v[31:32], v[31:32], -v[89:90]
	ds_read2_b64 v[89:92], v0 offset0:100 offset1:101
	s_waitcnt lgkmcnt(0)
	v_mul_f64 v[95:96], v[91:92], v[99:100]
	v_fma_f64 v[95:96], v[89:90], v[125:126], -v[95:96]
	v_mul_f64 v[89:90], v[89:90], v[99:100]
	v_add_f64 v[25:26], v[25:26], -v[95:96]
	v_fma_f64 v[89:90], v[91:92], v[125:126], v[89:90]
	v_add_f64 v[27:28], v[27:28], -v[89:90]
	ds_read2_b64 v[89:92], v0 offset0:102 offset1:103
	s_waitcnt lgkmcnt(0)
	v_mul_f64 v[95:96], v[91:92], v[99:100]
	v_fma_f64 v[95:96], v[89:90], v[125:126], -v[95:96]
	v_mul_f64 v[89:90], v[89:90], v[99:100]
	v_add_f64 v[21:22], v[21:22], -v[95:96]
	v_fma_f64 v[89:90], v[91:92], v[125:126], v[89:90]
	v_add_f64 v[23:24], v[23:24], -v[89:90]
	ds_read2_b64 v[89:92], v0 offset0:104 offset1:105
	s_waitcnt lgkmcnt(0)
	v_mul_f64 v[95:96], v[91:92], v[99:100]
	v_fma_f64 v[95:96], v[89:90], v[125:126], -v[95:96]
	v_mul_f64 v[89:90], v[89:90], v[99:100]
	v_add_f64 v[17:18], v[17:18], -v[95:96]
	v_fma_f64 v[89:90], v[91:92], v[125:126], v[89:90]
	v_add_f64 v[19:20], v[19:20], -v[89:90]
	ds_read2_b64 v[89:92], v0 offset0:106 offset1:107
	s_waitcnt lgkmcnt(0)
	v_mul_f64 v[95:96], v[91:92], v[99:100]
	v_fma_f64 v[95:96], v[89:90], v[125:126], -v[95:96]
	v_mul_f64 v[89:90], v[89:90], v[99:100]
	v_add_f64 v[13:14], v[13:14], -v[95:96]
	v_fma_f64 v[89:90], v[91:92], v[125:126], v[89:90]
	v_add_f64 v[15:16], v[15:16], -v[89:90]
	ds_read2_b64 v[89:92], v0 offset0:108 offset1:109
	s_waitcnt lgkmcnt(0)
	v_mul_f64 v[95:96], v[91:92], v[99:100]
	v_fma_f64 v[95:96], v[89:90], v[125:126], -v[95:96]
	v_mul_f64 v[89:90], v[89:90], v[99:100]
	v_add_f64 v[9:10], v[9:10], -v[95:96]
	v_fma_f64 v[89:90], v[91:92], v[125:126], v[89:90]
	v_add_f64 v[11:12], v[11:12], -v[89:90]
	ds_read2_b64 v[89:92], v0 offset0:110 offset1:111
	s_waitcnt lgkmcnt(0)
	v_mul_f64 v[95:96], v[91:92], v[99:100]
	v_fma_f64 v[95:96], v[89:90], v[125:126], -v[95:96]
	v_mul_f64 v[89:90], v[89:90], v[99:100]
	v_add_f64 v[5:6], v[5:6], -v[95:96]
	v_fma_f64 v[89:90], v[91:92], v[125:126], v[89:90]
	v_add_f64 v[7:8], v[7:8], -v[89:90]
	ds_read2_b64 v[89:92], v0 offset0:112 offset1:113
	s_waitcnt lgkmcnt(0)
	v_mul_f64 v[95:96], v[91:92], v[99:100]
	v_fma_f64 v[95:96], v[89:90], v[125:126], -v[95:96]
	v_mul_f64 v[89:90], v[89:90], v[99:100]
	v_add_f64 v[1:2], v[1:2], -v[95:96]
	v_fma_f64 v[89:90], v[91:92], v[125:126], v[89:90]
	ds_read2_b64 v[95:98], v0 offset0:114 offset1:115
	s_waitcnt lgkmcnt(0)
	v_mul_f64 v[91:92], v[95:96], v[99:100]
	v_add_f64 v[3:4], v[3:4], -v[89:90]
	v_mul_f64 v[89:90], v[97:98], v[99:100]
	v_fma_f64 v[91:92], v[97:98], v[125:126], v[91:92]
	v_mov_b32_e32 v97, v125
	v_mov_b32_e32 v98, v126
	v_fma_f64 v[89:90], v[95:96], v[125:126], -v[89:90]
	buffer_store_dword v97, off, s[24:27], 0 offset:432 ; 4-byte Folded Spill
	s_nop 0
	buffer_store_dword v98, off, s[24:27], 0 offset:436 ; 4-byte Folded Spill
	buffer_store_dword v99, off, s[24:27], 0 offset:440 ; 4-byte Folded Spill
	;; [unrolled: 1-line block ×3, first 2 shown]
	v_add_f64 v[123:124], v[123:124], -v[91:92]
	v_add_f64 v[121:122], v[121:122], -v[89:90]
.LBB114_146:
	s_or_b64 exec, exec, s[0:1]
	s_waitcnt vmcnt(0)
	s_barrier
	buffer_load_dword v77, off, s[24:27], 0 offset:416 ; 4-byte Folded Reload
	buffer_load_dword v78, off, s[24:27], 0 offset:420 ; 4-byte Folded Reload
	;; [unrolled: 1-line block ×4, first 2 shown]
	v_lshl_add_u32 v89, v93, 4, v0
	s_cmp_lt_i32 s3, 9
	s_waitcnt vmcnt(0)
	ds_write2_b64 v89, v[77:78], v[79:80] offset1:1
	s_waitcnt lgkmcnt(0)
	s_barrier
	ds_read2_b64 v[117:120], v0 offset0:14 offset1:15
	v_mov_b32_e32 v89, 7
	s_cbranch_scc1 .LBB114_149
; %bb.147:
	v_add_u32_e32 v90, 0x80, v0
	s_mov_b32 s0, 8
	v_mov_b32_e32 v89, 7
.LBB114_148:                            ; =>This Inner Loop Header: Depth=1
	s_waitcnt lgkmcnt(0)
	v_cmp_gt_f64_e32 vcc, 0, v[117:118]
	v_xor_b32_e32 v91, 0x80000000, v118
	ds_read2_b64 v[95:98], v90 offset1:1
	v_xor_b32_e32 v99, 0x80000000, v120
	v_add_u32_e32 v90, 16, v90
	s_waitcnt lgkmcnt(0)
	v_xor_b32_e32 v101, 0x80000000, v98
	v_cndmask_b32_e32 v92, v118, v91, vcc
	v_cmp_gt_f64_e32 vcc, 0, v[119:120]
	v_mov_b32_e32 v91, v117
	v_cndmask_b32_e32 v100, v120, v99, vcc
	v_cmp_gt_f64_e32 vcc, 0, v[95:96]
	v_mov_b32_e32 v99, v119
	v_add_f64 v[91:92], v[91:92], v[99:100]
	v_xor_b32_e32 v99, 0x80000000, v96
	v_cndmask_b32_e32 v100, v96, v99, vcc
	v_cmp_gt_f64_e32 vcc, 0, v[97:98]
	v_mov_b32_e32 v99, v95
	v_cndmask_b32_e32 v102, v98, v101, vcc
	v_mov_b32_e32 v101, v97
	v_add_f64 v[99:100], v[99:100], v[101:102]
	v_cmp_lt_f64_e32 vcc, v[91:92], v[99:100]
	v_mov_b32_e32 v91, s0
	s_add_i32 s0, s0, 1
	s_cmp_lg_u32 s3, s0
	v_cndmask_b32_e32 v118, v118, v96, vcc
	v_cndmask_b32_e32 v117, v117, v95, vcc
	;; [unrolled: 1-line block ×5, first 2 shown]
	s_cbranch_scc1 .LBB114_148
.LBB114_149:
	s_waitcnt lgkmcnt(0)
	v_cmp_eq_f64_e32 vcc, 0, v[117:118]
	v_cmp_eq_f64_e64 s[0:1], 0, v[119:120]
	s_and_b64 s[0:1], vcc, s[0:1]
	s_and_saveexec_b64 s[18:19], s[0:1]
	s_xor_b64 s[0:1], exec, s[18:19]
; %bb.150:
	v_cmp_ne_u32_e32 vcc, 0, v94
	v_cndmask_b32_e32 v94, 8, v94, vcc
; %bb.151:
	s_andn2_saveexec_b64 s[0:1], s[0:1]
	s_cbranch_execz .LBB114_157
; %bb.152:
	v_cmp_ngt_f64_e64 s[18:19], |v[117:118]|, |v[119:120]|
	s_and_saveexec_b64 s[20:21], s[18:19]
	s_xor_b64 s[18:19], exec, s[20:21]
	s_cbranch_execz .LBB114_154
; %bb.153:
	v_div_scale_f64 v[90:91], s[20:21], v[119:120], v[119:120], v[117:118]
	v_rcp_f64_e32 v[95:96], v[90:91]
	v_fma_f64 v[97:98], -v[90:91], v[95:96], 1.0
	v_fma_f64 v[95:96], v[95:96], v[97:98], v[95:96]
	v_div_scale_f64 v[97:98], vcc, v[117:118], v[119:120], v[117:118]
	v_fma_f64 v[99:100], -v[90:91], v[95:96], 1.0
	v_fma_f64 v[95:96], v[95:96], v[99:100], v[95:96]
	v_mul_f64 v[99:100], v[97:98], v[95:96]
	v_fma_f64 v[90:91], -v[90:91], v[99:100], v[97:98]
	v_div_fmas_f64 v[90:91], v[90:91], v[95:96], v[99:100]
	v_div_fixup_f64 v[90:91], v[90:91], v[119:120], v[117:118]
	v_fma_f64 v[95:96], v[117:118], v[90:91], v[119:120]
	v_div_scale_f64 v[97:98], s[20:21], v[95:96], v[95:96], 1.0
	v_div_scale_f64 v[103:104], vcc, 1.0, v[95:96], 1.0
	v_rcp_f64_e32 v[99:100], v[97:98]
	v_fma_f64 v[101:102], -v[97:98], v[99:100], 1.0
	v_fma_f64 v[99:100], v[99:100], v[101:102], v[99:100]
	v_fma_f64 v[101:102], -v[97:98], v[99:100], 1.0
	v_fma_f64 v[99:100], v[99:100], v[101:102], v[99:100]
	v_mul_f64 v[101:102], v[103:104], v[99:100]
	v_fma_f64 v[97:98], -v[97:98], v[101:102], v[103:104]
	v_div_fmas_f64 v[97:98], v[97:98], v[99:100], v[101:102]
	v_div_fixup_f64 v[119:120], v[97:98], v[95:96], 1.0
	v_mul_f64 v[117:118], v[90:91], v[119:120]
	v_xor_b32_e32 v120, 0x80000000, v120
.LBB114_154:
	s_andn2_saveexec_b64 s[18:19], s[18:19]
	s_cbranch_execz .LBB114_156
; %bb.155:
	v_div_scale_f64 v[90:91], s[20:21], v[117:118], v[117:118], v[119:120]
	v_rcp_f64_e32 v[95:96], v[90:91]
	v_fma_f64 v[97:98], -v[90:91], v[95:96], 1.0
	v_fma_f64 v[95:96], v[95:96], v[97:98], v[95:96]
	v_div_scale_f64 v[97:98], vcc, v[119:120], v[117:118], v[119:120]
	v_fma_f64 v[99:100], -v[90:91], v[95:96], 1.0
	v_fma_f64 v[95:96], v[95:96], v[99:100], v[95:96]
	v_mul_f64 v[99:100], v[97:98], v[95:96]
	v_fma_f64 v[90:91], -v[90:91], v[99:100], v[97:98]
	v_div_fmas_f64 v[90:91], v[90:91], v[95:96], v[99:100]
	v_div_fixup_f64 v[90:91], v[90:91], v[117:118], v[119:120]
	v_fma_f64 v[95:96], v[119:120], v[90:91], v[117:118]
	v_div_scale_f64 v[97:98], s[20:21], v[95:96], v[95:96], 1.0
	v_div_scale_f64 v[103:104], vcc, 1.0, v[95:96], 1.0
	v_rcp_f64_e32 v[99:100], v[97:98]
	v_fma_f64 v[101:102], -v[97:98], v[99:100], 1.0
	v_fma_f64 v[99:100], v[99:100], v[101:102], v[99:100]
	v_fma_f64 v[101:102], -v[97:98], v[99:100], 1.0
	v_fma_f64 v[99:100], v[99:100], v[101:102], v[99:100]
	v_mul_f64 v[101:102], v[103:104], v[99:100]
	v_fma_f64 v[97:98], -v[97:98], v[101:102], v[103:104]
	v_div_fmas_f64 v[97:98], v[97:98], v[99:100], v[101:102]
	v_div_fixup_f64 v[117:118], v[97:98], v[95:96], 1.0
	v_mul_f64 v[119:120], v[90:91], -v[117:118]
.LBB114_156:
	s_or_b64 exec, exec, s[18:19]
.LBB114_157:
	s_or_b64 exec, exec, s[0:1]
	v_cmp_ne_u32_e32 vcc, v93, v89
	s_and_saveexec_b64 s[0:1], vcc
	s_xor_b64 s[0:1], exec, s[0:1]
	s_cbranch_execz .LBB114_163
; %bb.158:
	v_cmp_eq_u32_e32 vcc, 7, v93
	s_and_saveexec_b64 s[18:19], vcc
	s_cbranch_execz .LBB114_162
; %bb.159:
	v_cmp_ne_u32_e32 vcc, 7, v89
	s_xor_b64 s[20:21], s[6:7], -1
	s_and_b64 s[22:23], s[20:21], vcc
	s_and_saveexec_b64 s[20:21], s[22:23]
	s_cbranch_execz .LBB114_161
; %bb.160:
	v_mov_b32_e32 v77, v81
	v_mov_b32_e32 v78, v82
	;; [unrolled: 1-line block ×4, first 2 shown]
	buffer_load_dword v81, off, s[24:27], 0 offset:480 ; 4-byte Folded Reload
	buffer_load_dword v82, off, s[24:27], 0 offset:484 ; 4-byte Folded Reload
	v_ashrrev_i32_e32 v90, 31, v89
	v_lshlrev_b64 v[90:91], 2, v[89:90]
	s_waitcnt vmcnt(1)
	v_add_co_u32_e32 v90, vcc, v81, v90
	s_waitcnt vmcnt(0)
	v_addc_co_u32_e32 v91, vcc, v82, v91, vcc
	global_load_dword v92, v[90:91], off
	global_load_dword v93, v[81:82], off offset:28
	s_waitcnt vmcnt(1)
	global_store_dword v[81:82], v92, off offset:28
	v_mov_b32_e32 v84, v80
	v_mov_b32_e32 v83, v79
	;; [unrolled: 1-line block ×4, first 2 shown]
	s_waitcnt vmcnt(1)
	global_store_dword v[90:91], v93, off
.LBB114_161:
	s_or_b64 exec, exec, s[20:21]
	v_mov_b32_e32 v93, v89
	v_mov_b32_e32 v127, v89
.LBB114_162:
	s_or_b64 exec, exec, s[18:19]
.LBB114_163:
	s_andn2_saveexec_b64 s[0:1], s[0:1]
	s_cbranch_execz .LBB114_165
; %bb.164:
	buffer_load_dword v77, off, s[24:27], 0 offset:400 ; 4-byte Folded Reload
	buffer_load_dword v78, off, s[24:27], 0 offset:404 ; 4-byte Folded Reload
	;; [unrolled: 1-line block ×4, first 2 shown]
	v_mov_b32_e32 v93, 7
	s_waitcnt vmcnt(0)
	ds_write2_b64 v0, v[77:78], v[79:80] offset0:16 offset1:17
	buffer_load_dword v77, off, s[24:27], 0 offset:384 ; 4-byte Folded Reload
	buffer_load_dword v78, off, s[24:27], 0 offset:388 ; 4-byte Folded Reload
	buffer_load_dword v79, off, s[24:27], 0 offset:392 ; 4-byte Folded Reload
	buffer_load_dword v80, off, s[24:27], 0 offset:396 ; 4-byte Folded Reload
	s_waitcnt vmcnt(0)
	ds_write2_b64 v0, v[77:78], v[79:80] offset0:18 offset1:19
	buffer_load_dword v77, off, s[24:27], 0 offset:368 ; 4-byte Folded Reload
	buffer_load_dword v78, off, s[24:27], 0 offset:372 ; 4-byte Folded Reload
	buffer_load_dword v79, off, s[24:27], 0 offset:376 ; 4-byte Folded Reload
	buffer_load_dword v80, off, s[24:27], 0 offset:380 ; 4-byte Folded Reload
	;; [unrolled: 6-line block ×24, first 2 shown]
	s_waitcnt vmcnt(0)
	ds_write2_b64 v0, v[77:78], v[79:80] offset0:64 offset1:65
	ds_write2_b64 v0, v[81:82], v[83:84] offset0:66 offset1:67
	;; [unrolled: 1-line block ×5, first 2 shown]
	buffer_load_dword v77, off, s[24:27], 0 ; 4-byte Folded Reload
	buffer_load_dword v78, off, s[24:27], 0 offset:4 ; 4-byte Folded Reload
	buffer_load_dword v79, off, s[24:27], 0 offset:8 ; 4-byte Folded Reload
	;; [unrolled: 1-line block ×3, first 2 shown]
	s_waitcnt vmcnt(0)
	ds_write2_b64 v0, v[77:78], v[79:80] offset0:74 offset1:75
	ds_write2_b64 v0, v[73:74], v[75:76] offset0:76 offset1:77
	;; [unrolled: 1-line block ×21, first 2 shown]
.LBB114_165:
	s_or_b64 exec, exec, s[0:1]
	v_cmp_lt_i32_e32 vcc, 7, v93
	s_waitcnt vmcnt(0) lgkmcnt(0)
	s_barrier
	s_and_saveexec_b64 s[0:1], vcc
	s_cbranch_execz .LBB114_167
; %bb.166:
	buffer_load_dword v97, off, s[24:27], 0 offset:416 ; 4-byte Folded Reload
	buffer_load_dword v98, off, s[24:27], 0 offset:420 ; 4-byte Folded Reload
	buffer_load_dword v99, off, s[24:27], 0 offset:424 ; 4-byte Folded Reload
	buffer_load_dword v100, off, s[24:27], 0 offset:428 ; 4-byte Folded Reload
	s_waitcnt vmcnt(0)
	v_mul_f64 v[89:90], v[119:120], v[99:100]
	v_fma_f64 v[125:126], v[117:118], v[97:98], -v[89:90]
	v_mul_f64 v[89:90], v[117:118], v[99:100]
	v_fma_f64 v[99:100], v[119:120], v[97:98], v[89:90]
	ds_read2_b64 v[89:92], v0 offset0:16 offset1:17
	buffer_load_dword v77, off, s[24:27], 0 offset:400 ; 4-byte Folded Reload
	buffer_load_dword v78, off, s[24:27], 0 offset:404 ; 4-byte Folded Reload
	buffer_load_dword v79, off, s[24:27], 0 offset:408 ; 4-byte Folded Reload
	buffer_load_dword v80, off, s[24:27], 0 offset:412 ; 4-byte Folded Reload
	s_waitcnt lgkmcnt(0)
	v_mul_f64 v[95:96], v[91:92], v[99:100]
	v_fma_f64 v[95:96], v[89:90], v[125:126], -v[95:96]
	v_mul_f64 v[89:90], v[89:90], v[99:100]
	v_fma_f64 v[89:90], v[91:92], v[125:126], v[89:90]
	s_waitcnt vmcnt(2)
	v_add_f64 v[77:78], v[77:78], -v[95:96]
	s_waitcnt vmcnt(0)
	v_add_f64 v[79:80], v[79:80], -v[89:90]
	buffer_store_dword v77, off, s[24:27], 0 offset:400 ; 4-byte Folded Spill
	s_nop 0
	buffer_store_dword v78, off, s[24:27], 0 offset:404 ; 4-byte Folded Spill
	buffer_store_dword v79, off, s[24:27], 0 offset:408 ; 4-byte Folded Spill
	buffer_store_dword v80, off, s[24:27], 0 offset:412 ; 4-byte Folded Spill
	ds_read2_b64 v[89:92], v0 offset0:18 offset1:19
	buffer_load_dword v77, off, s[24:27], 0 offset:384 ; 4-byte Folded Reload
	buffer_load_dword v78, off, s[24:27], 0 offset:388 ; 4-byte Folded Reload
	buffer_load_dword v79, off, s[24:27], 0 offset:392 ; 4-byte Folded Reload
	buffer_load_dword v80, off, s[24:27], 0 offset:396 ; 4-byte Folded Reload
	s_waitcnt lgkmcnt(0)
	v_mul_f64 v[95:96], v[91:92], v[99:100]
	v_fma_f64 v[95:96], v[89:90], v[125:126], -v[95:96]
	v_mul_f64 v[89:90], v[89:90], v[99:100]
	v_fma_f64 v[89:90], v[91:92], v[125:126], v[89:90]
	s_waitcnt vmcnt(2)
	v_add_f64 v[77:78], v[77:78], -v[95:96]
	s_waitcnt vmcnt(0)
	v_add_f64 v[79:80], v[79:80], -v[89:90]
	buffer_store_dword v77, off, s[24:27], 0 offset:384 ; 4-byte Folded Spill
	s_nop 0
	buffer_store_dword v78, off, s[24:27], 0 offset:388 ; 4-byte Folded Spill
	buffer_store_dword v79, off, s[24:27], 0 offset:392 ; 4-byte Folded Spill
	buffer_store_dword v80, off, s[24:27], 0 offset:396 ; 4-byte Folded Spill
	;; [unrolled: 19-line block ×25, first 2 shown]
	ds_read2_b64 v[89:92], v0 offset0:66 offset1:67
	s_waitcnt lgkmcnt(0)
	v_mul_f64 v[95:96], v[91:92], v[99:100]
	v_fma_f64 v[95:96], v[89:90], v[125:126], -v[95:96]
	v_mul_f64 v[89:90], v[89:90], v[99:100]
	v_add_f64 v[81:82], v[81:82], -v[95:96]
	v_fma_f64 v[89:90], v[91:92], v[125:126], v[89:90]
	v_add_f64 v[83:84], v[83:84], -v[89:90]
	ds_read2_b64 v[89:92], v0 offset0:68 offset1:69
	s_waitcnt lgkmcnt(0)
	v_mul_f64 v[95:96], v[91:92], v[99:100]
	v_fma_f64 v[95:96], v[89:90], v[125:126], -v[95:96]
	v_mul_f64 v[89:90], v[89:90], v[99:100]
	v_add_f64 v[85:86], v[85:86], -v[95:96]
	v_fma_f64 v[89:90], v[91:92], v[125:126], v[89:90]
	v_add_f64 v[87:88], v[87:88], -v[89:90]
	;; [unrolled: 8-line block ×4, first 2 shown]
	ds_read2_b64 v[89:92], v0 offset0:74 offset1:75
	buffer_load_dword v77, off, s[24:27], 0 ; 4-byte Folded Reload
	buffer_load_dword v78, off, s[24:27], 0 offset:4 ; 4-byte Folded Reload
	buffer_load_dword v79, off, s[24:27], 0 offset:8 ; 4-byte Folded Reload
	;; [unrolled: 1-line block ×3, first 2 shown]
	s_waitcnt lgkmcnt(0)
	v_mul_f64 v[95:96], v[91:92], v[99:100]
	v_fma_f64 v[95:96], v[89:90], v[125:126], -v[95:96]
	v_mul_f64 v[89:90], v[89:90], v[99:100]
	v_fma_f64 v[89:90], v[91:92], v[125:126], v[89:90]
	s_waitcnt vmcnt(2)
	v_add_f64 v[77:78], v[77:78], -v[95:96]
	s_waitcnt vmcnt(0)
	v_add_f64 v[79:80], v[79:80], -v[89:90]
	buffer_store_dword v77, off, s[24:27], 0 ; 4-byte Folded Spill
	s_nop 0
	buffer_store_dword v78, off, s[24:27], 0 offset:4 ; 4-byte Folded Spill
	buffer_store_dword v79, off, s[24:27], 0 offset:8 ; 4-byte Folded Spill
	;; [unrolled: 1-line block ×3, first 2 shown]
	ds_read2_b64 v[89:92], v0 offset0:76 offset1:77
	s_waitcnt lgkmcnt(0)
	v_mul_f64 v[95:96], v[91:92], v[99:100]
	v_fma_f64 v[95:96], v[89:90], v[125:126], -v[95:96]
	v_mul_f64 v[89:90], v[89:90], v[99:100]
	v_add_f64 v[73:74], v[73:74], -v[95:96]
	v_fma_f64 v[89:90], v[91:92], v[125:126], v[89:90]
	v_add_f64 v[75:76], v[75:76], -v[89:90]
	ds_read2_b64 v[89:92], v0 offset0:78 offset1:79
	s_waitcnt lgkmcnt(0)
	v_mul_f64 v[95:96], v[91:92], v[99:100]
	v_fma_f64 v[95:96], v[89:90], v[125:126], -v[95:96]
	v_mul_f64 v[89:90], v[89:90], v[99:100]
	v_add_f64 v[69:70], v[69:70], -v[95:96]
	v_fma_f64 v[89:90], v[91:92], v[125:126], v[89:90]
	v_add_f64 v[71:72], v[71:72], -v[89:90]
	;; [unrolled: 8-line block ×18, first 2 shown]
	ds_read2_b64 v[89:92], v0 offset0:112 offset1:113
	s_waitcnt lgkmcnt(0)
	v_mul_f64 v[95:96], v[91:92], v[99:100]
	v_fma_f64 v[95:96], v[89:90], v[125:126], -v[95:96]
	v_mul_f64 v[89:90], v[89:90], v[99:100]
	v_add_f64 v[1:2], v[1:2], -v[95:96]
	v_fma_f64 v[89:90], v[91:92], v[125:126], v[89:90]
	ds_read2_b64 v[95:98], v0 offset0:114 offset1:115
	s_waitcnt lgkmcnt(0)
	v_mul_f64 v[91:92], v[95:96], v[99:100]
	v_add_f64 v[3:4], v[3:4], -v[89:90]
	v_mul_f64 v[89:90], v[97:98], v[99:100]
	v_fma_f64 v[91:92], v[97:98], v[125:126], v[91:92]
	v_mov_b32_e32 v97, v125
	v_mov_b32_e32 v98, v126
	v_fma_f64 v[89:90], v[95:96], v[125:126], -v[89:90]
	buffer_store_dword v97, off, s[24:27], 0 offset:416 ; 4-byte Folded Spill
	s_nop 0
	buffer_store_dword v98, off, s[24:27], 0 offset:420 ; 4-byte Folded Spill
	buffer_store_dword v99, off, s[24:27], 0 offset:424 ; 4-byte Folded Spill
	;; [unrolled: 1-line block ×3, first 2 shown]
	v_add_f64 v[123:124], v[123:124], -v[91:92]
	v_add_f64 v[121:122], v[121:122], -v[89:90]
.LBB114_167:
	s_or_b64 exec, exec, s[0:1]
	s_waitcnt vmcnt(0)
	s_barrier
	buffer_load_dword v77, off, s[24:27], 0 offset:400 ; 4-byte Folded Reload
	buffer_load_dword v78, off, s[24:27], 0 offset:404 ; 4-byte Folded Reload
	;; [unrolled: 1-line block ×4, first 2 shown]
	v_lshl_add_u32 v89, v93, 4, v0
	s_cmp_lt_i32 s3, 10
	s_waitcnt vmcnt(0)
	ds_write2_b64 v89, v[77:78], v[79:80] offset1:1
	s_waitcnt lgkmcnt(0)
	s_barrier
	ds_read2_b64 v[117:120], v0 offset0:16 offset1:17
	v_mov_b32_e32 v89, 8
	s_cbranch_scc1 .LBB114_170
; %bb.168:
	v_add_u32_e32 v90, 0x90, v0
	s_mov_b32 s0, 9
	v_mov_b32_e32 v89, 8
.LBB114_169:                            ; =>This Inner Loop Header: Depth=1
	s_waitcnt lgkmcnt(0)
	v_cmp_gt_f64_e32 vcc, 0, v[117:118]
	v_xor_b32_e32 v91, 0x80000000, v118
	ds_read2_b64 v[95:98], v90 offset1:1
	v_xor_b32_e32 v99, 0x80000000, v120
	v_add_u32_e32 v90, 16, v90
	s_waitcnt lgkmcnt(0)
	v_xor_b32_e32 v101, 0x80000000, v98
	v_cndmask_b32_e32 v92, v118, v91, vcc
	v_cmp_gt_f64_e32 vcc, 0, v[119:120]
	v_mov_b32_e32 v91, v117
	v_cndmask_b32_e32 v100, v120, v99, vcc
	v_cmp_gt_f64_e32 vcc, 0, v[95:96]
	v_mov_b32_e32 v99, v119
	v_add_f64 v[91:92], v[91:92], v[99:100]
	v_xor_b32_e32 v99, 0x80000000, v96
	v_cndmask_b32_e32 v100, v96, v99, vcc
	v_cmp_gt_f64_e32 vcc, 0, v[97:98]
	v_mov_b32_e32 v99, v95
	v_cndmask_b32_e32 v102, v98, v101, vcc
	v_mov_b32_e32 v101, v97
	v_add_f64 v[99:100], v[99:100], v[101:102]
	v_cmp_lt_f64_e32 vcc, v[91:92], v[99:100]
	v_mov_b32_e32 v91, s0
	s_add_i32 s0, s0, 1
	s_cmp_lg_u32 s3, s0
	v_cndmask_b32_e32 v118, v118, v96, vcc
	v_cndmask_b32_e32 v117, v117, v95, vcc
	;; [unrolled: 1-line block ×5, first 2 shown]
	s_cbranch_scc1 .LBB114_169
.LBB114_170:
	s_waitcnt lgkmcnt(0)
	v_cmp_eq_f64_e32 vcc, 0, v[117:118]
	v_cmp_eq_f64_e64 s[0:1], 0, v[119:120]
	s_and_b64 s[0:1], vcc, s[0:1]
	s_and_saveexec_b64 s[18:19], s[0:1]
	s_xor_b64 s[0:1], exec, s[18:19]
; %bb.171:
	v_cmp_ne_u32_e32 vcc, 0, v94
	v_cndmask_b32_e32 v94, 9, v94, vcc
; %bb.172:
	s_andn2_saveexec_b64 s[0:1], s[0:1]
	s_cbranch_execz .LBB114_178
; %bb.173:
	v_cmp_ngt_f64_e64 s[18:19], |v[117:118]|, |v[119:120]|
	s_and_saveexec_b64 s[20:21], s[18:19]
	s_xor_b64 s[18:19], exec, s[20:21]
	s_cbranch_execz .LBB114_175
; %bb.174:
	v_div_scale_f64 v[90:91], s[20:21], v[119:120], v[119:120], v[117:118]
	v_rcp_f64_e32 v[95:96], v[90:91]
	v_fma_f64 v[97:98], -v[90:91], v[95:96], 1.0
	v_fma_f64 v[95:96], v[95:96], v[97:98], v[95:96]
	v_div_scale_f64 v[97:98], vcc, v[117:118], v[119:120], v[117:118]
	v_fma_f64 v[99:100], -v[90:91], v[95:96], 1.0
	v_fma_f64 v[95:96], v[95:96], v[99:100], v[95:96]
	v_mul_f64 v[99:100], v[97:98], v[95:96]
	v_fma_f64 v[90:91], -v[90:91], v[99:100], v[97:98]
	v_div_fmas_f64 v[90:91], v[90:91], v[95:96], v[99:100]
	v_div_fixup_f64 v[90:91], v[90:91], v[119:120], v[117:118]
	v_fma_f64 v[95:96], v[117:118], v[90:91], v[119:120]
	v_div_scale_f64 v[97:98], s[20:21], v[95:96], v[95:96], 1.0
	v_div_scale_f64 v[103:104], vcc, 1.0, v[95:96], 1.0
	v_rcp_f64_e32 v[99:100], v[97:98]
	v_fma_f64 v[101:102], -v[97:98], v[99:100], 1.0
	v_fma_f64 v[99:100], v[99:100], v[101:102], v[99:100]
	v_fma_f64 v[101:102], -v[97:98], v[99:100], 1.0
	v_fma_f64 v[99:100], v[99:100], v[101:102], v[99:100]
	v_mul_f64 v[101:102], v[103:104], v[99:100]
	v_fma_f64 v[97:98], -v[97:98], v[101:102], v[103:104]
	v_div_fmas_f64 v[97:98], v[97:98], v[99:100], v[101:102]
	v_div_fixup_f64 v[119:120], v[97:98], v[95:96], 1.0
	v_mul_f64 v[117:118], v[90:91], v[119:120]
	v_xor_b32_e32 v120, 0x80000000, v120
.LBB114_175:
	s_andn2_saveexec_b64 s[18:19], s[18:19]
	s_cbranch_execz .LBB114_177
; %bb.176:
	v_div_scale_f64 v[90:91], s[20:21], v[117:118], v[117:118], v[119:120]
	v_rcp_f64_e32 v[95:96], v[90:91]
	v_fma_f64 v[97:98], -v[90:91], v[95:96], 1.0
	v_fma_f64 v[95:96], v[95:96], v[97:98], v[95:96]
	v_div_scale_f64 v[97:98], vcc, v[119:120], v[117:118], v[119:120]
	v_fma_f64 v[99:100], -v[90:91], v[95:96], 1.0
	v_fma_f64 v[95:96], v[95:96], v[99:100], v[95:96]
	v_mul_f64 v[99:100], v[97:98], v[95:96]
	v_fma_f64 v[90:91], -v[90:91], v[99:100], v[97:98]
	v_div_fmas_f64 v[90:91], v[90:91], v[95:96], v[99:100]
	v_div_fixup_f64 v[90:91], v[90:91], v[117:118], v[119:120]
	v_fma_f64 v[95:96], v[119:120], v[90:91], v[117:118]
	v_div_scale_f64 v[97:98], s[20:21], v[95:96], v[95:96], 1.0
	v_div_scale_f64 v[103:104], vcc, 1.0, v[95:96], 1.0
	v_rcp_f64_e32 v[99:100], v[97:98]
	v_fma_f64 v[101:102], -v[97:98], v[99:100], 1.0
	v_fma_f64 v[99:100], v[99:100], v[101:102], v[99:100]
	v_fma_f64 v[101:102], -v[97:98], v[99:100], 1.0
	v_fma_f64 v[99:100], v[99:100], v[101:102], v[99:100]
	v_mul_f64 v[101:102], v[103:104], v[99:100]
	v_fma_f64 v[97:98], -v[97:98], v[101:102], v[103:104]
	v_div_fmas_f64 v[97:98], v[97:98], v[99:100], v[101:102]
	v_div_fixup_f64 v[117:118], v[97:98], v[95:96], 1.0
	v_mul_f64 v[119:120], v[90:91], -v[117:118]
.LBB114_177:
	s_or_b64 exec, exec, s[18:19]
.LBB114_178:
	s_or_b64 exec, exec, s[0:1]
	v_cmp_ne_u32_e32 vcc, v93, v89
	s_and_saveexec_b64 s[0:1], vcc
	s_xor_b64 s[0:1], exec, s[0:1]
	s_cbranch_execz .LBB114_184
; %bb.179:
	v_cmp_eq_u32_e32 vcc, 8, v93
	s_and_saveexec_b64 s[18:19], vcc
	s_cbranch_execz .LBB114_183
; %bb.180:
	v_cmp_ne_u32_e32 vcc, 8, v89
	s_xor_b64 s[20:21], s[6:7], -1
	s_and_b64 s[22:23], s[20:21], vcc
	s_and_saveexec_b64 s[20:21], s[22:23]
	s_cbranch_execz .LBB114_182
; %bb.181:
	v_mov_b32_e32 v77, v81
	v_mov_b32_e32 v78, v82
	;; [unrolled: 1-line block ×4, first 2 shown]
	buffer_load_dword v81, off, s[24:27], 0 offset:480 ; 4-byte Folded Reload
	buffer_load_dword v82, off, s[24:27], 0 offset:484 ; 4-byte Folded Reload
	v_ashrrev_i32_e32 v90, 31, v89
	v_lshlrev_b64 v[90:91], 2, v[89:90]
	s_waitcnt vmcnt(1)
	v_add_co_u32_e32 v90, vcc, v81, v90
	s_waitcnt vmcnt(0)
	v_addc_co_u32_e32 v91, vcc, v82, v91, vcc
	global_load_dword v92, v[90:91], off
	global_load_dword v93, v[81:82], off offset:32
	s_waitcnt vmcnt(1)
	global_store_dword v[81:82], v92, off offset:32
	v_mov_b32_e32 v84, v80
	v_mov_b32_e32 v83, v79
	;; [unrolled: 1-line block ×4, first 2 shown]
	s_waitcnt vmcnt(1)
	global_store_dword v[90:91], v93, off
.LBB114_182:
	s_or_b64 exec, exec, s[20:21]
	v_mov_b32_e32 v93, v89
	v_mov_b32_e32 v127, v89
.LBB114_183:
	s_or_b64 exec, exec, s[18:19]
.LBB114_184:
	s_andn2_saveexec_b64 s[0:1], s[0:1]
	s_cbranch_execz .LBB114_186
; %bb.185:
	buffer_load_dword v77, off, s[24:27], 0 offset:384 ; 4-byte Folded Reload
	buffer_load_dword v78, off, s[24:27], 0 offset:388 ; 4-byte Folded Reload
	;; [unrolled: 1-line block ×4, first 2 shown]
	v_mov_b32_e32 v93, 8
	s_waitcnt vmcnt(0)
	ds_write2_b64 v0, v[77:78], v[79:80] offset0:18 offset1:19
	buffer_load_dword v77, off, s[24:27], 0 offset:368 ; 4-byte Folded Reload
	buffer_load_dword v78, off, s[24:27], 0 offset:372 ; 4-byte Folded Reload
	buffer_load_dword v79, off, s[24:27], 0 offset:376 ; 4-byte Folded Reload
	buffer_load_dword v80, off, s[24:27], 0 offset:380 ; 4-byte Folded Reload
	s_waitcnt vmcnt(0)
	ds_write2_b64 v0, v[77:78], v[79:80] offset0:20 offset1:21
	buffer_load_dword v77, off, s[24:27], 0 offset:352 ; 4-byte Folded Reload
	buffer_load_dword v78, off, s[24:27], 0 offset:356 ; 4-byte Folded Reload
	buffer_load_dword v79, off, s[24:27], 0 offset:360 ; 4-byte Folded Reload
	buffer_load_dword v80, off, s[24:27], 0 offset:364 ; 4-byte Folded Reload
	;; [unrolled: 6-line block ×23, first 2 shown]
	s_waitcnt vmcnt(0)
	ds_write2_b64 v0, v[77:78], v[79:80] offset0:64 offset1:65
	ds_write2_b64 v0, v[81:82], v[83:84] offset0:66 offset1:67
	;; [unrolled: 1-line block ×5, first 2 shown]
	buffer_load_dword v77, off, s[24:27], 0 ; 4-byte Folded Reload
	buffer_load_dword v78, off, s[24:27], 0 offset:4 ; 4-byte Folded Reload
	buffer_load_dword v79, off, s[24:27], 0 offset:8 ; 4-byte Folded Reload
	;; [unrolled: 1-line block ×3, first 2 shown]
	s_waitcnt vmcnt(0)
	ds_write2_b64 v0, v[77:78], v[79:80] offset0:74 offset1:75
	ds_write2_b64 v0, v[73:74], v[75:76] offset0:76 offset1:77
	ds_write2_b64 v0, v[69:70], v[71:72] offset0:78 offset1:79
	ds_write2_b64 v0, v[65:66], v[67:68] offset0:80 offset1:81
	ds_write2_b64 v0, v[61:62], v[63:64] offset0:82 offset1:83
	ds_write2_b64 v0, v[57:58], v[59:60] offset0:84 offset1:85
	ds_write2_b64 v0, v[53:54], v[55:56] offset0:86 offset1:87
	ds_write2_b64 v0, v[49:50], v[51:52] offset0:88 offset1:89
	ds_write2_b64 v0, v[45:46], v[47:48] offset0:90 offset1:91
	ds_write2_b64 v0, v[41:42], v[43:44] offset0:92 offset1:93
	ds_write2_b64 v0, v[37:38], v[39:40] offset0:94 offset1:95
	ds_write2_b64 v0, v[33:34], v[35:36] offset0:96 offset1:97
	ds_write2_b64 v0, v[29:30], v[31:32] offset0:98 offset1:99
	ds_write2_b64 v0, v[25:26], v[27:28] offset0:100 offset1:101
	ds_write2_b64 v0, v[21:22], v[23:24] offset0:102 offset1:103
	ds_write2_b64 v0, v[17:18], v[19:20] offset0:104 offset1:105
	ds_write2_b64 v0, v[13:14], v[15:16] offset0:106 offset1:107
	ds_write2_b64 v0, v[9:10], v[11:12] offset0:108 offset1:109
	ds_write2_b64 v0, v[5:6], v[7:8] offset0:110 offset1:111
	ds_write2_b64 v0, v[1:2], v[3:4] offset0:112 offset1:113
	ds_write2_b64 v0, v[121:122], v[123:124] offset0:114 offset1:115
.LBB114_186:
	s_or_b64 exec, exec, s[0:1]
	v_cmp_lt_i32_e32 vcc, 8, v93
	s_waitcnt vmcnt(0) lgkmcnt(0)
	s_barrier
	s_and_saveexec_b64 s[0:1], vcc
	s_cbranch_execz .LBB114_188
; %bb.187:
	buffer_load_dword v97, off, s[24:27], 0 offset:400 ; 4-byte Folded Reload
	buffer_load_dword v98, off, s[24:27], 0 offset:404 ; 4-byte Folded Reload
	;; [unrolled: 1-line block ×4, first 2 shown]
	s_waitcnt vmcnt(0)
	v_mul_f64 v[89:90], v[119:120], v[99:100]
	v_fma_f64 v[125:126], v[117:118], v[97:98], -v[89:90]
	v_mul_f64 v[89:90], v[117:118], v[99:100]
	v_fma_f64 v[99:100], v[119:120], v[97:98], v[89:90]
	ds_read2_b64 v[89:92], v0 offset0:18 offset1:19
	buffer_load_dword v77, off, s[24:27], 0 offset:384 ; 4-byte Folded Reload
	buffer_load_dword v78, off, s[24:27], 0 offset:388 ; 4-byte Folded Reload
	buffer_load_dword v79, off, s[24:27], 0 offset:392 ; 4-byte Folded Reload
	buffer_load_dword v80, off, s[24:27], 0 offset:396 ; 4-byte Folded Reload
	s_waitcnt lgkmcnt(0)
	v_mul_f64 v[95:96], v[91:92], v[99:100]
	v_fma_f64 v[95:96], v[89:90], v[125:126], -v[95:96]
	v_mul_f64 v[89:90], v[89:90], v[99:100]
	v_fma_f64 v[89:90], v[91:92], v[125:126], v[89:90]
	s_waitcnt vmcnt(2)
	v_add_f64 v[77:78], v[77:78], -v[95:96]
	s_waitcnt vmcnt(0)
	v_add_f64 v[79:80], v[79:80], -v[89:90]
	buffer_store_dword v77, off, s[24:27], 0 offset:384 ; 4-byte Folded Spill
	s_nop 0
	buffer_store_dword v78, off, s[24:27], 0 offset:388 ; 4-byte Folded Spill
	buffer_store_dword v79, off, s[24:27], 0 offset:392 ; 4-byte Folded Spill
	buffer_store_dword v80, off, s[24:27], 0 offset:396 ; 4-byte Folded Spill
	ds_read2_b64 v[89:92], v0 offset0:20 offset1:21
	buffer_load_dword v77, off, s[24:27], 0 offset:368 ; 4-byte Folded Reload
	buffer_load_dword v78, off, s[24:27], 0 offset:372 ; 4-byte Folded Reload
	buffer_load_dword v79, off, s[24:27], 0 offset:376 ; 4-byte Folded Reload
	buffer_load_dword v80, off, s[24:27], 0 offset:380 ; 4-byte Folded Reload
	s_waitcnt lgkmcnt(0)
	v_mul_f64 v[95:96], v[91:92], v[99:100]
	v_fma_f64 v[95:96], v[89:90], v[125:126], -v[95:96]
	v_mul_f64 v[89:90], v[89:90], v[99:100]
	v_fma_f64 v[89:90], v[91:92], v[125:126], v[89:90]
	s_waitcnt vmcnt(2)
	v_add_f64 v[77:78], v[77:78], -v[95:96]
	s_waitcnt vmcnt(0)
	v_add_f64 v[79:80], v[79:80], -v[89:90]
	buffer_store_dword v77, off, s[24:27], 0 offset:368 ; 4-byte Folded Spill
	s_nop 0
	buffer_store_dword v78, off, s[24:27], 0 offset:372 ; 4-byte Folded Spill
	buffer_store_dword v79, off, s[24:27], 0 offset:376 ; 4-byte Folded Spill
	buffer_store_dword v80, off, s[24:27], 0 offset:380 ; 4-byte Folded Spill
	;; [unrolled: 19-line block ×24, first 2 shown]
	ds_read2_b64 v[89:92], v0 offset0:66 offset1:67
	s_waitcnt lgkmcnt(0)
	v_mul_f64 v[95:96], v[91:92], v[99:100]
	v_fma_f64 v[95:96], v[89:90], v[125:126], -v[95:96]
	v_mul_f64 v[89:90], v[89:90], v[99:100]
	v_add_f64 v[81:82], v[81:82], -v[95:96]
	v_fma_f64 v[89:90], v[91:92], v[125:126], v[89:90]
	v_add_f64 v[83:84], v[83:84], -v[89:90]
	ds_read2_b64 v[89:92], v0 offset0:68 offset1:69
	s_waitcnt lgkmcnt(0)
	v_mul_f64 v[95:96], v[91:92], v[99:100]
	v_fma_f64 v[95:96], v[89:90], v[125:126], -v[95:96]
	v_mul_f64 v[89:90], v[89:90], v[99:100]
	v_add_f64 v[85:86], v[85:86], -v[95:96]
	v_fma_f64 v[89:90], v[91:92], v[125:126], v[89:90]
	v_add_f64 v[87:88], v[87:88], -v[89:90]
	;; [unrolled: 8-line block ×4, first 2 shown]
	ds_read2_b64 v[89:92], v0 offset0:74 offset1:75
	buffer_load_dword v77, off, s[24:27], 0 ; 4-byte Folded Reload
	buffer_load_dword v78, off, s[24:27], 0 offset:4 ; 4-byte Folded Reload
	buffer_load_dword v79, off, s[24:27], 0 offset:8 ; 4-byte Folded Reload
	;; [unrolled: 1-line block ×3, first 2 shown]
	s_waitcnt lgkmcnt(0)
	v_mul_f64 v[95:96], v[91:92], v[99:100]
	v_fma_f64 v[95:96], v[89:90], v[125:126], -v[95:96]
	v_mul_f64 v[89:90], v[89:90], v[99:100]
	v_fma_f64 v[89:90], v[91:92], v[125:126], v[89:90]
	s_waitcnt vmcnt(2)
	v_add_f64 v[77:78], v[77:78], -v[95:96]
	s_waitcnt vmcnt(0)
	v_add_f64 v[79:80], v[79:80], -v[89:90]
	buffer_store_dword v77, off, s[24:27], 0 ; 4-byte Folded Spill
	s_nop 0
	buffer_store_dword v78, off, s[24:27], 0 offset:4 ; 4-byte Folded Spill
	buffer_store_dword v79, off, s[24:27], 0 offset:8 ; 4-byte Folded Spill
	buffer_store_dword v80, off, s[24:27], 0 offset:12 ; 4-byte Folded Spill
	ds_read2_b64 v[89:92], v0 offset0:76 offset1:77
	s_waitcnt lgkmcnt(0)
	v_mul_f64 v[95:96], v[91:92], v[99:100]
	v_fma_f64 v[95:96], v[89:90], v[125:126], -v[95:96]
	v_mul_f64 v[89:90], v[89:90], v[99:100]
	v_add_f64 v[73:74], v[73:74], -v[95:96]
	v_fma_f64 v[89:90], v[91:92], v[125:126], v[89:90]
	v_add_f64 v[75:76], v[75:76], -v[89:90]
	ds_read2_b64 v[89:92], v0 offset0:78 offset1:79
	s_waitcnt lgkmcnt(0)
	v_mul_f64 v[95:96], v[91:92], v[99:100]
	v_fma_f64 v[95:96], v[89:90], v[125:126], -v[95:96]
	v_mul_f64 v[89:90], v[89:90], v[99:100]
	v_add_f64 v[69:70], v[69:70], -v[95:96]
	v_fma_f64 v[89:90], v[91:92], v[125:126], v[89:90]
	v_add_f64 v[71:72], v[71:72], -v[89:90]
	ds_read2_b64 v[89:92], v0 offset0:80 offset1:81
	s_waitcnt lgkmcnt(0)
	v_mul_f64 v[95:96], v[91:92], v[99:100]
	v_fma_f64 v[95:96], v[89:90], v[125:126], -v[95:96]
	v_mul_f64 v[89:90], v[89:90], v[99:100]
	v_add_f64 v[65:66], v[65:66], -v[95:96]
	v_fma_f64 v[89:90], v[91:92], v[125:126], v[89:90]
	v_add_f64 v[67:68], v[67:68], -v[89:90]
	ds_read2_b64 v[89:92], v0 offset0:82 offset1:83
	s_waitcnt lgkmcnt(0)
	v_mul_f64 v[95:96], v[91:92], v[99:100]
	v_fma_f64 v[95:96], v[89:90], v[125:126], -v[95:96]
	v_mul_f64 v[89:90], v[89:90], v[99:100]
	v_add_f64 v[61:62], v[61:62], -v[95:96]
	v_fma_f64 v[89:90], v[91:92], v[125:126], v[89:90]
	v_add_f64 v[63:64], v[63:64], -v[89:90]
	ds_read2_b64 v[89:92], v0 offset0:84 offset1:85
	s_waitcnt lgkmcnt(0)
	v_mul_f64 v[95:96], v[91:92], v[99:100]
	v_fma_f64 v[95:96], v[89:90], v[125:126], -v[95:96]
	v_mul_f64 v[89:90], v[89:90], v[99:100]
	v_add_f64 v[57:58], v[57:58], -v[95:96]
	v_fma_f64 v[89:90], v[91:92], v[125:126], v[89:90]
	v_add_f64 v[59:60], v[59:60], -v[89:90]
	ds_read2_b64 v[89:92], v0 offset0:86 offset1:87
	s_waitcnt lgkmcnt(0)
	v_mul_f64 v[95:96], v[91:92], v[99:100]
	v_fma_f64 v[95:96], v[89:90], v[125:126], -v[95:96]
	v_mul_f64 v[89:90], v[89:90], v[99:100]
	v_add_f64 v[53:54], v[53:54], -v[95:96]
	v_fma_f64 v[89:90], v[91:92], v[125:126], v[89:90]
	v_add_f64 v[55:56], v[55:56], -v[89:90]
	ds_read2_b64 v[89:92], v0 offset0:88 offset1:89
	s_waitcnt lgkmcnt(0)
	v_mul_f64 v[95:96], v[91:92], v[99:100]
	v_fma_f64 v[95:96], v[89:90], v[125:126], -v[95:96]
	v_mul_f64 v[89:90], v[89:90], v[99:100]
	v_add_f64 v[49:50], v[49:50], -v[95:96]
	v_fma_f64 v[89:90], v[91:92], v[125:126], v[89:90]
	v_add_f64 v[51:52], v[51:52], -v[89:90]
	ds_read2_b64 v[89:92], v0 offset0:90 offset1:91
	s_waitcnt lgkmcnt(0)
	v_mul_f64 v[95:96], v[91:92], v[99:100]
	v_fma_f64 v[95:96], v[89:90], v[125:126], -v[95:96]
	v_mul_f64 v[89:90], v[89:90], v[99:100]
	v_add_f64 v[45:46], v[45:46], -v[95:96]
	v_fma_f64 v[89:90], v[91:92], v[125:126], v[89:90]
	v_add_f64 v[47:48], v[47:48], -v[89:90]
	ds_read2_b64 v[89:92], v0 offset0:92 offset1:93
	s_waitcnt lgkmcnt(0)
	v_mul_f64 v[95:96], v[91:92], v[99:100]
	v_fma_f64 v[95:96], v[89:90], v[125:126], -v[95:96]
	v_mul_f64 v[89:90], v[89:90], v[99:100]
	v_add_f64 v[41:42], v[41:42], -v[95:96]
	v_fma_f64 v[89:90], v[91:92], v[125:126], v[89:90]
	v_add_f64 v[43:44], v[43:44], -v[89:90]
	ds_read2_b64 v[89:92], v0 offset0:94 offset1:95
	s_waitcnt lgkmcnt(0)
	v_mul_f64 v[95:96], v[91:92], v[99:100]
	v_fma_f64 v[95:96], v[89:90], v[125:126], -v[95:96]
	v_mul_f64 v[89:90], v[89:90], v[99:100]
	v_add_f64 v[37:38], v[37:38], -v[95:96]
	v_fma_f64 v[89:90], v[91:92], v[125:126], v[89:90]
	v_add_f64 v[39:40], v[39:40], -v[89:90]
	ds_read2_b64 v[89:92], v0 offset0:96 offset1:97
	s_waitcnt lgkmcnt(0)
	v_mul_f64 v[95:96], v[91:92], v[99:100]
	v_fma_f64 v[95:96], v[89:90], v[125:126], -v[95:96]
	v_mul_f64 v[89:90], v[89:90], v[99:100]
	v_add_f64 v[33:34], v[33:34], -v[95:96]
	v_fma_f64 v[89:90], v[91:92], v[125:126], v[89:90]
	v_add_f64 v[35:36], v[35:36], -v[89:90]
	ds_read2_b64 v[89:92], v0 offset0:98 offset1:99
	s_waitcnt lgkmcnt(0)
	v_mul_f64 v[95:96], v[91:92], v[99:100]
	v_fma_f64 v[95:96], v[89:90], v[125:126], -v[95:96]
	v_mul_f64 v[89:90], v[89:90], v[99:100]
	v_add_f64 v[29:30], v[29:30], -v[95:96]
	v_fma_f64 v[89:90], v[91:92], v[125:126], v[89:90]
	v_add_f64 v[31:32], v[31:32], -v[89:90]
	ds_read2_b64 v[89:92], v0 offset0:100 offset1:101
	s_waitcnt lgkmcnt(0)
	v_mul_f64 v[95:96], v[91:92], v[99:100]
	v_fma_f64 v[95:96], v[89:90], v[125:126], -v[95:96]
	v_mul_f64 v[89:90], v[89:90], v[99:100]
	v_add_f64 v[25:26], v[25:26], -v[95:96]
	v_fma_f64 v[89:90], v[91:92], v[125:126], v[89:90]
	v_add_f64 v[27:28], v[27:28], -v[89:90]
	ds_read2_b64 v[89:92], v0 offset0:102 offset1:103
	s_waitcnt lgkmcnt(0)
	v_mul_f64 v[95:96], v[91:92], v[99:100]
	v_fma_f64 v[95:96], v[89:90], v[125:126], -v[95:96]
	v_mul_f64 v[89:90], v[89:90], v[99:100]
	v_add_f64 v[21:22], v[21:22], -v[95:96]
	v_fma_f64 v[89:90], v[91:92], v[125:126], v[89:90]
	v_add_f64 v[23:24], v[23:24], -v[89:90]
	ds_read2_b64 v[89:92], v0 offset0:104 offset1:105
	s_waitcnt lgkmcnt(0)
	v_mul_f64 v[95:96], v[91:92], v[99:100]
	v_fma_f64 v[95:96], v[89:90], v[125:126], -v[95:96]
	v_mul_f64 v[89:90], v[89:90], v[99:100]
	v_add_f64 v[17:18], v[17:18], -v[95:96]
	v_fma_f64 v[89:90], v[91:92], v[125:126], v[89:90]
	v_add_f64 v[19:20], v[19:20], -v[89:90]
	ds_read2_b64 v[89:92], v0 offset0:106 offset1:107
	s_waitcnt lgkmcnt(0)
	v_mul_f64 v[95:96], v[91:92], v[99:100]
	v_fma_f64 v[95:96], v[89:90], v[125:126], -v[95:96]
	v_mul_f64 v[89:90], v[89:90], v[99:100]
	v_add_f64 v[13:14], v[13:14], -v[95:96]
	v_fma_f64 v[89:90], v[91:92], v[125:126], v[89:90]
	v_add_f64 v[15:16], v[15:16], -v[89:90]
	ds_read2_b64 v[89:92], v0 offset0:108 offset1:109
	s_waitcnt lgkmcnt(0)
	v_mul_f64 v[95:96], v[91:92], v[99:100]
	v_fma_f64 v[95:96], v[89:90], v[125:126], -v[95:96]
	v_mul_f64 v[89:90], v[89:90], v[99:100]
	v_add_f64 v[9:10], v[9:10], -v[95:96]
	v_fma_f64 v[89:90], v[91:92], v[125:126], v[89:90]
	v_add_f64 v[11:12], v[11:12], -v[89:90]
	ds_read2_b64 v[89:92], v0 offset0:110 offset1:111
	s_waitcnt lgkmcnt(0)
	v_mul_f64 v[95:96], v[91:92], v[99:100]
	v_fma_f64 v[95:96], v[89:90], v[125:126], -v[95:96]
	v_mul_f64 v[89:90], v[89:90], v[99:100]
	v_add_f64 v[5:6], v[5:6], -v[95:96]
	v_fma_f64 v[89:90], v[91:92], v[125:126], v[89:90]
	v_add_f64 v[7:8], v[7:8], -v[89:90]
	ds_read2_b64 v[89:92], v0 offset0:112 offset1:113
	s_waitcnt lgkmcnt(0)
	v_mul_f64 v[95:96], v[91:92], v[99:100]
	v_fma_f64 v[95:96], v[89:90], v[125:126], -v[95:96]
	v_mul_f64 v[89:90], v[89:90], v[99:100]
	v_add_f64 v[1:2], v[1:2], -v[95:96]
	v_fma_f64 v[89:90], v[91:92], v[125:126], v[89:90]
	ds_read2_b64 v[95:98], v0 offset0:114 offset1:115
	s_waitcnt lgkmcnt(0)
	v_mul_f64 v[91:92], v[95:96], v[99:100]
	v_add_f64 v[3:4], v[3:4], -v[89:90]
	v_mul_f64 v[89:90], v[97:98], v[99:100]
	v_fma_f64 v[91:92], v[97:98], v[125:126], v[91:92]
	v_mov_b32_e32 v97, v125
	v_mov_b32_e32 v98, v126
	v_fma_f64 v[89:90], v[95:96], v[125:126], -v[89:90]
	buffer_store_dword v97, off, s[24:27], 0 offset:400 ; 4-byte Folded Spill
	s_nop 0
	buffer_store_dword v98, off, s[24:27], 0 offset:404 ; 4-byte Folded Spill
	buffer_store_dword v99, off, s[24:27], 0 offset:408 ; 4-byte Folded Spill
	buffer_store_dword v100, off, s[24:27], 0 offset:412 ; 4-byte Folded Spill
	v_add_f64 v[123:124], v[123:124], -v[91:92]
	v_add_f64 v[121:122], v[121:122], -v[89:90]
.LBB114_188:
	s_or_b64 exec, exec, s[0:1]
	s_waitcnt vmcnt(0)
	s_barrier
	buffer_load_dword v77, off, s[24:27], 0 offset:384 ; 4-byte Folded Reload
	buffer_load_dword v78, off, s[24:27], 0 offset:388 ; 4-byte Folded Reload
	;; [unrolled: 1-line block ×4, first 2 shown]
	v_lshl_add_u32 v89, v93, 4, v0
	s_cmp_lt_i32 s3, 11
	s_waitcnt vmcnt(0)
	ds_write2_b64 v89, v[77:78], v[79:80] offset1:1
	s_waitcnt lgkmcnt(0)
	s_barrier
	ds_read2_b64 v[117:120], v0 offset0:18 offset1:19
	v_mov_b32_e32 v89, 9
	s_cbranch_scc1 .LBB114_191
; %bb.189:
	v_add_u32_e32 v90, 0xa0, v0
	s_mov_b32 s0, 10
	v_mov_b32_e32 v89, 9
.LBB114_190:                            ; =>This Inner Loop Header: Depth=1
	s_waitcnt lgkmcnt(0)
	v_cmp_gt_f64_e32 vcc, 0, v[117:118]
	v_xor_b32_e32 v91, 0x80000000, v118
	ds_read2_b64 v[95:98], v90 offset1:1
	v_xor_b32_e32 v99, 0x80000000, v120
	v_add_u32_e32 v90, 16, v90
	s_waitcnt lgkmcnt(0)
	v_xor_b32_e32 v101, 0x80000000, v98
	v_cndmask_b32_e32 v92, v118, v91, vcc
	v_cmp_gt_f64_e32 vcc, 0, v[119:120]
	v_mov_b32_e32 v91, v117
	v_cndmask_b32_e32 v100, v120, v99, vcc
	v_cmp_gt_f64_e32 vcc, 0, v[95:96]
	v_mov_b32_e32 v99, v119
	v_add_f64 v[91:92], v[91:92], v[99:100]
	v_xor_b32_e32 v99, 0x80000000, v96
	v_cndmask_b32_e32 v100, v96, v99, vcc
	v_cmp_gt_f64_e32 vcc, 0, v[97:98]
	v_mov_b32_e32 v99, v95
	v_cndmask_b32_e32 v102, v98, v101, vcc
	v_mov_b32_e32 v101, v97
	v_add_f64 v[99:100], v[99:100], v[101:102]
	v_cmp_lt_f64_e32 vcc, v[91:92], v[99:100]
	v_mov_b32_e32 v91, s0
	s_add_i32 s0, s0, 1
	s_cmp_lg_u32 s3, s0
	v_cndmask_b32_e32 v118, v118, v96, vcc
	v_cndmask_b32_e32 v117, v117, v95, vcc
	;; [unrolled: 1-line block ×5, first 2 shown]
	s_cbranch_scc1 .LBB114_190
.LBB114_191:
	s_waitcnt lgkmcnt(0)
	v_cmp_eq_f64_e32 vcc, 0, v[117:118]
	v_cmp_eq_f64_e64 s[0:1], 0, v[119:120]
	s_and_b64 s[0:1], vcc, s[0:1]
	s_and_saveexec_b64 s[18:19], s[0:1]
	s_xor_b64 s[0:1], exec, s[18:19]
; %bb.192:
	v_cmp_ne_u32_e32 vcc, 0, v94
	v_cndmask_b32_e32 v94, 10, v94, vcc
; %bb.193:
	s_andn2_saveexec_b64 s[0:1], s[0:1]
	s_cbranch_execz .LBB114_199
; %bb.194:
	v_cmp_ngt_f64_e64 s[18:19], |v[117:118]|, |v[119:120]|
	s_and_saveexec_b64 s[20:21], s[18:19]
	s_xor_b64 s[18:19], exec, s[20:21]
	s_cbranch_execz .LBB114_196
; %bb.195:
	v_div_scale_f64 v[90:91], s[20:21], v[119:120], v[119:120], v[117:118]
	v_rcp_f64_e32 v[95:96], v[90:91]
	v_fma_f64 v[97:98], -v[90:91], v[95:96], 1.0
	v_fma_f64 v[95:96], v[95:96], v[97:98], v[95:96]
	v_div_scale_f64 v[97:98], vcc, v[117:118], v[119:120], v[117:118]
	v_fma_f64 v[99:100], -v[90:91], v[95:96], 1.0
	v_fma_f64 v[95:96], v[95:96], v[99:100], v[95:96]
	v_mul_f64 v[99:100], v[97:98], v[95:96]
	v_fma_f64 v[90:91], -v[90:91], v[99:100], v[97:98]
	v_div_fmas_f64 v[90:91], v[90:91], v[95:96], v[99:100]
	v_div_fixup_f64 v[90:91], v[90:91], v[119:120], v[117:118]
	v_fma_f64 v[95:96], v[117:118], v[90:91], v[119:120]
	v_div_scale_f64 v[97:98], s[20:21], v[95:96], v[95:96], 1.0
	v_div_scale_f64 v[103:104], vcc, 1.0, v[95:96], 1.0
	v_rcp_f64_e32 v[99:100], v[97:98]
	v_fma_f64 v[101:102], -v[97:98], v[99:100], 1.0
	v_fma_f64 v[99:100], v[99:100], v[101:102], v[99:100]
	v_fma_f64 v[101:102], -v[97:98], v[99:100], 1.0
	v_fma_f64 v[99:100], v[99:100], v[101:102], v[99:100]
	v_mul_f64 v[101:102], v[103:104], v[99:100]
	v_fma_f64 v[97:98], -v[97:98], v[101:102], v[103:104]
	v_div_fmas_f64 v[97:98], v[97:98], v[99:100], v[101:102]
	v_div_fixup_f64 v[119:120], v[97:98], v[95:96], 1.0
	v_mul_f64 v[117:118], v[90:91], v[119:120]
	v_xor_b32_e32 v120, 0x80000000, v120
.LBB114_196:
	s_andn2_saveexec_b64 s[18:19], s[18:19]
	s_cbranch_execz .LBB114_198
; %bb.197:
	v_div_scale_f64 v[90:91], s[20:21], v[117:118], v[117:118], v[119:120]
	v_rcp_f64_e32 v[95:96], v[90:91]
	v_fma_f64 v[97:98], -v[90:91], v[95:96], 1.0
	v_fma_f64 v[95:96], v[95:96], v[97:98], v[95:96]
	v_div_scale_f64 v[97:98], vcc, v[119:120], v[117:118], v[119:120]
	v_fma_f64 v[99:100], -v[90:91], v[95:96], 1.0
	v_fma_f64 v[95:96], v[95:96], v[99:100], v[95:96]
	v_mul_f64 v[99:100], v[97:98], v[95:96]
	v_fma_f64 v[90:91], -v[90:91], v[99:100], v[97:98]
	v_div_fmas_f64 v[90:91], v[90:91], v[95:96], v[99:100]
	v_div_fixup_f64 v[90:91], v[90:91], v[117:118], v[119:120]
	v_fma_f64 v[95:96], v[119:120], v[90:91], v[117:118]
	v_div_scale_f64 v[97:98], s[20:21], v[95:96], v[95:96], 1.0
	v_div_scale_f64 v[103:104], vcc, 1.0, v[95:96], 1.0
	v_rcp_f64_e32 v[99:100], v[97:98]
	v_fma_f64 v[101:102], -v[97:98], v[99:100], 1.0
	v_fma_f64 v[99:100], v[99:100], v[101:102], v[99:100]
	v_fma_f64 v[101:102], -v[97:98], v[99:100], 1.0
	v_fma_f64 v[99:100], v[99:100], v[101:102], v[99:100]
	v_mul_f64 v[101:102], v[103:104], v[99:100]
	v_fma_f64 v[97:98], -v[97:98], v[101:102], v[103:104]
	v_div_fmas_f64 v[97:98], v[97:98], v[99:100], v[101:102]
	v_div_fixup_f64 v[117:118], v[97:98], v[95:96], 1.0
	v_mul_f64 v[119:120], v[90:91], -v[117:118]
.LBB114_198:
	s_or_b64 exec, exec, s[18:19]
.LBB114_199:
	s_or_b64 exec, exec, s[0:1]
	v_cmp_ne_u32_e32 vcc, v93, v89
	s_and_saveexec_b64 s[0:1], vcc
	s_xor_b64 s[0:1], exec, s[0:1]
	s_cbranch_execz .LBB114_205
; %bb.200:
	v_cmp_eq_u32_e32 vcc, 9, v93
	s_and_saveexec_b64 s[18:19], vcc
	s_cbranch_execz .LBB114_204
; %bb.201:
	v_cmp_ne_u32_e32 vcc, 9, v89
	s_xor_b64 s[20:21], s[6:7], -1
	s_and_b64 s[22:23], s[20:21], vcc
	s_and_saveexec_b64 s[20:21], s[22:23]
	s_cbranch_execz .LBB114_203
; %bb.202:
	v_mov_b32_e32 v77, v81
	v_mov_b32_e32 v78, v82
	;; [unrolled: 1-line block ×4, first 2 shown]
	buffer_load_dword v81, off, s[24:27], 0 offset:480 ; 4-byte Folded Reload
	buffer_load_dword v82, off, s[24:27], 0 offset:484 ; 4-byte Folded Reload
	v_ashrrev_i32_e32 v90, 31, v89
	v_lshlrev_b64 v[90:91], 2, v[89:90]
	s_waitcnt vmcnt(1)
	v_add_co_u32_e32 v90, vcc, v81, v90
	s_waitcnt vmcnt(0)
	v_addc_co_u32_e32 v91, vcc, v82, v91, vcc
	global_load_dword v92, v[90:91], off
	global_load_dword v93, v[81:82], off offset:36
	s_waitcnt vmcnt(1)
	global_store_dword v[81:82], v92, off offset:36
	v_mov_b32_e32 v84, v80
	v_mov_b32_e32 v83, v79
	;; [unrolled: 1-line block ×4, first 2 shown]
	s_waitcnt vmcnt(1)
	global_store_dword v[90:91], v93, off
.LBB114_203:
	s_or_b64 exec, exec, s[20:21]
	v_mov_b32_e32 v93, v89
	v_mov_b32_e32 v127, v89
.LBB114_204:
	s_or_b64 exec, exec, s[18:19]
.LBB114_205:
	s_andn2_saveexec_b64 s[0:1], s[0:1]
	s_cbranch_execz .LBB114_207
; %bb.206:
	buffer_load_dword v77, off, s[24:27], 0 offset:368 ; 4-byte Folded Reload
	buffer_load_dword v78, off, s[24:27], 0 offset:372 ; 4-byte Folded Reload
	;; [unrolled: 1-line block ×4, first 2 shown]
	v_mov_b32_e32 v93, 9
	s_waitcnt vmcnt(0)
	ds_write2_b64 v0, v[77:78], v[79:80] offset0:20 offset1:21
	buffer_load_dword v77, off, s[24:27], 0 offset:352 ; 4-byte Folded Reload
	buffer_load_dword v78, off, s[24:27], 0 offset:356 ; 4-byte Folded Reload
	buffer_load_dword v79, off, s[24:27], 0 offset:360 ; 4-byte Folded Reload
	buffer_load_dword v80, off, s[24:27], 0 offset:364 ; 4-byte Folded Reload
	s_waitcnt vmcnt(0)
	ds_write2_b64 v0, v[77:78], v[79:80] offset0:22 offset1:23
	buffer_load_dword v77, off, s[24:27], 0 offset:336 ; 4-byte Folded Reload
	buffer_load_dword v78, off, s[24:27], 0 offset:340 ; 4-byte Folded Reload
	buffer_load_dword v79, off, s[24:27], 0 offset:344 ; 4-byte Folded Reload
	buffer_load_dword v80, off, s[24:27], 0 offset:348 ; 4-byte Folded Reload
	;; [unrolled: 6-line block ×22, first 2 shown]
	s_waitcnt vmcnt(0)
	ds_write2_b64 v0, v[77:78], v[79:80] offset0:64 offset1:65
	ds_write2_b64 v0, v[81:82], v[83:84] offset0:66 offset1:67
	;; [unrolled: 1-line block ×5, first 2 shown]
	buffer_load_dword v77, off, s[24:27], 0 ; 4-byte Folded Reload
	buffer_load_dword v78, off, s[24:27], 0 offset:4 ; 4-byte Folded Reload
	buffer_load_dword v79, off, s[24:27], 0 offset:8 ; 4-byte Folded Reload
	;; [unrolled: 1-line block ×3, first 2 shown]
	s_waitcnt vmcnt(0)
	ds_write2_b64 v0, v[77:78], v[79:80] offset0:74 offset1:75
	ds_write2_b64 v0, v[73:74], v[75:76] offset0:76 offset1:77
	;; [unrolled: 1-line block ×21, first 2 shown]
.LBB114_207:
	s_or_b64 exec, exec, s[0:1]
	v_cmp_lt_i32_e32 vcc, 9, v93
	s_waitcnt vmcnt(0) lgkmcnt(0)
	s_barrier
	s_and_saveexec_b64 s[0:1], vcc
	s_cbranch_execz .LBB114_209
; %bb.208:
	buffer_load_dword v97, off, s[24:27], 0 offset:384 ; 4-byte Folded Reload
	buffer_load_dword v98, off, s[24:27], 0 offset:388 ; 4-byte Folded Reload
	;; [unrolled: 1-line block ×4, first 2 shown]
	s_waitcnt vmcnt(0)
	v_mul_f64 v[89:90], v[119:120], v[99:100]
	v_fma_f64 v[125:126], v[117:118], v[97:98], -v[89:90]
	v_mul_f64 v[89:90], v[117:118], v[99:100]
	v_fma_f64 v[99:100], v[119:120], v[97:98], v[89:90]
	ds_read2_b64 v[89:92], v0 offset0:20 offset1:21
	buffer_load_dword v77, off, s[24:27], 0 offset:368 ; 4-byte Folded Reload
	buffer_load_dword v78, off, s[24:27], 0 offset:372 ; 4-byte Folded Reload
	buffer_load_dword v79, off, s[24:27], 0 offset:376 ; 4-byte Folded Reload
	buffer_load_dword v80, off, s[24:27], 0 offset:380 ; 4-byte Folded Reload
	s_waitcnt lgkmcnt(0)
	v_mul_f64 v[95:96], v[91:92], v[99:100]
	v_fma_f64 v[95:96], v[89:90], v[125:126], -v[95:96]
	v_mul_f64 v[89:90], v[89:90], v[99:100]
	v_fma_f64 v[89:90], v[91:92], v[125:126], v[89:90]
	s_waitcnt vmcnt(2)
	v_add_f64 v[77:78], v[77:78], -v[95:96]
	s_waitcnt vmcnt(0)
	v_add_f64 v[79:80], v[79:80], -v[89:90]
	buffer_store_dword v77, off, s[24:27], 0 offset:368 ; 4-byte Folded Spill
	s_nop 0
	buffer_store_dword v78, off, s[24:27], 0 offset:372 ; 4-byte Folded Spill
	buffer_store_dword v79, off, s[24:27], 0 offset:376 ; 4-byte Folded Spill
	buffer_store_dword v80, off, s[24:27], 0 offset:380 ; 4-byte Folded Spill
	ds_read2_b64 v[89:92], v0 offset0:22 offset1:23
	buffer_load_dword v77, off, s[24:27], 0 offset:352 ; 4-byte Folded Reload
	buffer_load_dword v78, off, s[24:27], 0 offset:356 ; 4-byte Folded Reload
	buffer_load_dword v79, off, s[24:27], 0 offset:360 ; 4-byte Folded Reload
	buffer_load_dword v80, off, s[24:27], 0 offset:364 ; 4-byte Folded Reload
	s_waitcnt lgkmcnt(0)
	v_mul_f64 v[95:96], v[91:92], v[99:100]
	v_fma_f64 v[95:96], v[89:90], v[125:126], -v[95:96]
	v_mul_f64 v[89:90], v[89:90], v[99:100]
	v_fma_f64 v[89:90], v[91:92], v[125:126], v[89:90]
	s_waitcnt vmcnt(2)
	v_add_f64 v[77:78], v[77:78], -v[95:96]
	s_waitcnt vmcnt(0)
	v_add_f64 v[79:80], v[79:80], -v[89:90]
	buffer_store_dword v77, off, s[24:27], 0 offset:352 ; 4-byte Folded Spill
	s_nop 0
	buffer_store_dword v78, off, s[24:27], 0 offset:356 ; 4-byte Folded Spill
	buffer_store_dword v79, off, s[24:27], 0 offset:360 ; 4-byte Folded Spill
	buffer_store_dword v80, off, s[24:27], 0 offset:364 ; 4-byte Folded Spill
	;; [unrolled: 19-line block ×23, first 2 shown]
	ds_read2_b64 v[89:92], v0 offset0:66 offset1:67
	s_waitcnt lgkmcnt(0)
	v_mul_f64 v[95:96], v[91:92], v[99:100]
	v_fma_f64 v[95:96], v[89:90], v[125:126], -v[95:96]
	v_mul_f64 v[89:90], v[89:90], v[99:100]
	v_add_f64 v[81:82], v[81:82], -v[95:96]
	v_fma_f64 v[89:90], v[91:92], v[125:126], v[89:90]
	v_add_f64 v[83:84], v[83:84], -v[89:90]
	ds_read2_b64 v[89:92], v0 offset0:68 offset1:69
	s_waitcnt lgkmcnt(0)
	v_mul_f64 v[95:96], v[91:92], v[99:100]
	v_fma_f64 v[95:96], v[89:90], v[125:126], -v[95:96]
	v_mul_f64 v[89:90], v[89:90], v[99:100]
	v_add_f64 v[85:86], v[85:86], -v[95:96]
	v_fma_f64 v[89:90], v[91:92], v[125:126], v[89:90]
	v_add_f64 v[87:88], v[87:88], -v[89:90]
	;; [unrolled: 8-line block ×4, first 2 shown]
	ds_read2_b64 v[89:92], v0 offset0:74 offset1:75
	buffer_load_dword v77, off, s[24:27], 0 ; 4-byte Folded Reload
	buffer_load_dword v78, off, s[24:27], 0 offset:4 ; 4-byte Folded Reload
	buffer_load_dword v79, off, s[24:27], 0 offset:8 ; 4-byte Folded Reload
	;; [unrolled: 1-line block ×3, first 2 shown]
	s_waitcnt lgkmcnt(0)
	v_mul_f64 v[95:96], v[91:92], v[99:100]
	v_fma_f64 v[95:96], v[89:90], v[125:126], -v[95:96]
	v_mul_f64 v[89:90], v[89:90], v[99:100]
	v_fma_f64 v[89:90], v[91:92], v[125:126], v[89:90]
	s_waitcnt vmcnt(2)
	v_add_f64 v[77:78], v[77:78], -v[95:96]
	s_waitcnt vmcnt(0)
	v_add_f64 v[79:80], v[79:80], -v[89:90]
	buffer_store_dword v77, off, s[24:27], 0 ; 4-byte Folded Spill
	s_nop 0
	buffer_store_dword v78, off, s[24:27], 0 offset:4 ; 4-byte Folded Spill
	buffer_store_dword v79, off, s[24:27], 0 offset:8 ; 4-byte Folded Spill
	buffer_store_dword v80, off, s[24:27], 0 offset:12 ; 4-byte Folded Spill
	ds_read2_b64 v[89:92], v0 offset0:76 offset1:77
	s_waitcnt lgkmcnt(0)
	v_mul_f64 v[95:96], v[91:92], v[99:100]
	v_fma_f64 v[95:96], v[89:90], v[125:126], -v[95:96]
	v_mul_f64 v[89:90], v[89:90], v[99:100]
	v_add_f64 v[73:74], v[73:74], -v[95:96]
	v_fma_f64 v[89:90], v[91:92], v[125:126], v[89:90]
	v_add_f64 v[75:76], v[75:76], -v[89:90]
	ds_read2_b64 v[89:92], v0 offset0:78 offset1:79
	s_waitcnt lgkmcnt(0)
	v_mul_f64 v[95:96], v[91:92], v[99:100]
	v_fma_f64 v[95:96], v[89:90], v[125:126], -v[95:96]
	v_mul_f64 v[89:90], v[89:90], v[99:100]
	v_add_f64 v[69:70], v[69:70], -v[95:96]
	v_fma_f64 v[89:90], v[91:92], v[125:126], v[89:90]
	v_add_f64 v[71:72], v[71:72], -v[89:90]
	;; [unrolled: 8-line block ×18, first 2 shown]
	ds_read2_b64 v[89:92], v0 offset0:112 offset1:113
	s_waitcnt lgkmcnt(0)
	v_mul_f64 v[95:96], v[91:92], v[99:100]
	v_fma_f64 v[95:96], v[89:90], v[125:126], -v[95:96]
	v_mul_f64 v[89:90], v[89:90], v[99:100]
	v_add_f64 v[1:2], v[1:2], -v[95:96]
	v_fma_f64 v[89:90], v[91:92], v[125:126], v[89:90]
	ds_read2_b64 v[95:98], v0 offset0:114 offset1:115
	s_waitcnt lgkmcnt(0)
	v_mul_f64 v[91:92], v[95:96], v[99:100]
	v_add_f64 v[3:4], v[3:4], -v[89:90]
	v_mul_f64 v[89:90], v[97:98], v[99:100]
	v_fma_f64 v[91:92], v[97:98], v[125:126], v[91:92]
	v_mov_b32_e32 v97, v125
	v_mov_b32_e32 v98, v126
	v_fma_f64 v[89:90], v[95:96], v[125:126], -v[89:90]
	buffer_store_dword v97, off, s[24:27], 0 offset:384 ; 4-byte Folded Spill
	s_nop 0
	buffer_store_dword v98, off, s[24:27], 0 offset:388 ; 4-byte Folded Spill
	buffer_store_dword v99, off, s[24:27], 0 offset:392 ; 4-byte Folded Spill
	;; [unrolled: 1-line block ×3, first 2 shown]
	v_add_f64 v[123:124], v[123:124], -v[91:92]
	v_add_f64 v[121:122], v[121:122], -v[89:90]
.LBB114_209:
	s_or_b64 exec, exec, s[0:1]
	s_waitcnt vmcnt(0)
	s_barrier
	buffer_load_dword v77, off, s[24:27], 0 offset:368 ; 4-byte Folded Reload
	buffer_load_dword v78, off, s[24:27], 0 offset:372 ; 4-byte Folded Reload
	buffer_load_dword v79, off, s[24:27], 0 offset:376 ; 4-byte Folded Reload
	buffer_load_dword v80, off, s[24:27], 0 offset:380 ; 4-byte Folded Reload
	v_lshl_add_u32 v89, v93, 4, v0
	s_cmp_lt_i32 s3, 12
	s_waitcnt vmcnt(0)
	ds_write2_b64 v89, v[77:78], v[79:80] offset1:1
	s_waitcnt lgkmcnt(0)
	s_barrier
	ds_read2_b64 v[117:120], v0 offset0:20 offset1:21
	v_mov_b32_e32 v89, 10
	s_cbranch_scc1 .LBB114_212
; %bb.210:
	v_add_u32_e32 v90, 0xb0, v0
	s_mov_b32 s0, 11
	v_mov_b32_e32 v89, 10
.LBB114_211:                            ; =>This Inner Loop Header: Depth=1
	s_waitcnt lgkmcnt(0)
	v_cmp_gt_f64_e32 vcc, 0, v[117:118]
	v_xor_b32_e32 v91, 0x80000000, v118
	ds_read2_b64 v[95:98], v90 offset1:1
	v_xor_b32_e32 v99, 0x80000000, v120
	v_add_u32_e32 v90, 16, v90
	s_waitcnt lgkmcnt(0)
	v_xor_b32_e32 v101, 0x80000000, v98
	v_cndmask_b32_e32 v92, v118, v91, vcc
	v_cmp_gt_f64_e32 vcc, 0, v[119:120]
	v_mov_b32_e32 v91, v117
	v_cndmask_b32_e32 v100, v120, v99, vcc
	v_cmp_gt_f64_e32 vcc, 0, v[95:96]
	v_mov_b32_e32 v99, v119
	v_add_f64 v[91:92], v[91:92], v[99:100]
	v_xor_b32_e32 v99, 0x80000000, v96
	v_cndmask_b32_e32 v100, v96, v99, vcc
	v_cmp_gt_f64_e32 vcc, 0, v[97:98]
	v_mov_b32_e32 v99, v95
	v_cndmask_b32_e32 v102, v98, v101, vcc
	v_mov_b32_e32 v101, v97
	v_add_f64 v[99:100], v[99:100], v[101:102]
	v_cmp_lt_f64_e32 vcc, v[91:92], v[99:100]
	v_mov_b32_e32 v91, s0
	s_add_i32 s0, s0, 1
	s_cmp_lg_u32 s3, s0
	v_cndmask_b32_e32 v118, v118, v96, vcc
	v_cndmask_b32_e32 v117, v117, v95, vcc
	;; [unrolled: 1-line block ×5, first 2 shown]
	s_cbranch_scc1 .LBB114_211
.LBB114_212:
	s_waitcnt lgkmcnt(0)
	v_cmp_eq_f64_e32 vcc, 0, v[117:118]
	v_cmp_eq_f64_e64 s[0:1], 0, v[119:120]
	s_and_b64 s[0:1], vcc, s[0:1]
	s_and_saveexec_b64 s[18:19], s[0:1]
	s_xor_b64 s[0:1], exec, s[18:19]
; %bb.213:
	v_cmp_ne_u32_e32 vcc, 0, v94
	v_cndmask_b32_e32 v94, 11, v94, vcc
; %bb.214:
	s_andn2_saveexec_b64 s[0:1], s[0:1]
	s_cbranch_execz .LBB114_220
; %bb.215:
	v_cmp_ngt_f64_e64 s[18:19], |v[117:118]|, |v[119:120]|
	s_and_saveexec_b64 s[20:21], s[18:19]
	s_xor_b64 s[18:19], exec, s[20:21]
	s_cbranch_execz .LBB114_217
; %bb.216:
	v_div_scale_f64 v[90:91], s[20:21], v[119:120], v[119:120], v[117:118]
	v_rcp_f64_e32 v[95:96], v[90:91]
	v_fma_f64 v[97:98], -v[90:91], v[95:96], 1.0
	v_fma_f64 v[95:96], v[95:96], v[97:98], v[95:96]
	v_div_scale_f64 v[97:98], vcc, v[117:118], v[119:120], v[117:118]
	v_fma_f64 v[99:100], -v[90:91], v[95:96], 1.0
	v_fma_f64 v[95:96], v[95:96], v[99:100], v[95:96]
	v_mul_f64 v[99:100], v[97:98], v[95:96]
	v_fma_f64 v[90:91], -v[90:91], v[99:100], v[97:98]
	v_div_fmas_f64 v[90:91], v[90:91], v[95:96], v[99:100]
	v_div_fixup_f64 v[90:91], v[90:91], v[119:120], v[117:118]
	v_fma_f64 v[95:96], v[117:118], v[90:91], v[119:120]
	v_div_scale_f64 v[97:98], s[20:21], v[95:96], v[95:96], 1.0
	v_div_scale_f64 v[103:104], vcc, 1.0, v[95:96], 1.0
	v_rcp_f64_e32 v[99:100], v[97:98]
	v_fma_f64 v[101:102], -v[97:98], v[99:100], 1.0
	v_fma_f64 v[99:100], v[99:100], v[101:102], v[99:100]
	v_fma_f64 v[101:102], -v[97:98], v[99:100], 1.0
	v_fma_f64 v[99:100], v[99:100], v[101:102], v[99:100]
	v_mul_f64 v[101:102], v[103:104], v[99:100]
	v_fma_f64 v[97:98], -v[97:98], v[101:102], v[103:104]
	v_div_fmas_f64 v[97:98], v[97:98], v[99:100], v[101:102]
	v_div_fixup_f64 v[119:120], v[97:98], v[95:96], 1.0
	v_mul_f64 v[117:118], v[90:91], v[119:120]
	v_xor_b32_e32 v120, 0x80000000, v120
.LBB114_217:
	s_andn2_saveexec_b64 s[18:19], s[18:19]
	s_cbranch_execz .LBB114_219
; %bb.218:
	v_div_scale_f64 v[90:91], s[20:21], v[117:118], v[117:118], v[119:120]
	v_rcp_f64_e32 v[95:96], v[90:91]
	v_fma_f64 v[97:98], -v[90:91], v[95:96], 1.0
	v_fma_f64 v[95:96], v[95:96], v[97:98], v[95:96]
	v_div_scale_f64 v[97:98], vcc, v[119:120], v[117:118], v[119:120]
	v_fma_f64 v[99:100], -v[90:91], v[95:96], 1.0
	v_fma_f64 v[95:96], v[95:96], v[99:100], v[95:96]
	v_mul_f64 v[99:100], v[97:98], v[95:96]
	v_fma_f64 v[90:91], -v[90:91], v[99:100], v[97:98]
	v_div_fmas_f64 v[90:91], v[90:91], v[95:96], v[99:100]
	v_div_fixup_f64 v[90:91], v[90:91], v[117:118], v[119:120]
	v_fma_f64 v[95:96], v[119:120], v[90:91], v[117:118]
	v_div_scale_f64 v[97:98], s[20:21], v[95:96], v[95:96], 1.0
	v_div_scale_f64 v[103:104], vcc, 1.0, v[95:96], 1.0
	v_rcp_f64_e32 v[99:100], v[97:98]
	v_fma_f64 v[101:102], -v[97:98], v[99:100], 1.0
	v_fma_f64 v[99:100], v[99:100], v[101:102], v[99:100]
	v_fma_f64 v[101:102], -v[97:98], v[99:100], 1.0
	v_fma_f64 v[99:100], v[99:100], v[101:102], v[99:100]
	v_mul_f64 v[101:102], v[103:104], v[99:100]
	v_fma_f64 v[97:98], -v[97:98], v[101:102], v[103:104]
	v_div_fmas_f64 v[97:98], v[97:98], v[99:100], v[101:102]
	v_div_fixup_f64 v[117:118], v[97:98], v[95:96], 1.0
	v_mul_f64 v[119:120], v[90:91], -v[117:118]
.LBB114_219:
	s_or_b64 exec, exec, s[18:19]
.LBB114_220:
	s_or_b64 exec, exec, s[0:1]
	v_cmp_ne_u32_e32 vcc, v93, v89
	s_and_saveexec_b64 s[0:1], vcc
	s_xor_b64 s[0:1], exec, s[0:1]
	s_cbranch_execz .LBB114_226
; %bb.221:
	v_cmp_eq_u32_e32 vcc, 10, v93
	s_and_saveexec_b64 s[18:19], vcc
	s_cbranch_execz .LBB114_225
; %bb.222:
	v_cmp_ne_u32_e32 vcc, 10, v89
	s_xor_b64 s[20:21], s[6:7], -1
	s_and_b64 s[22:23], s[20:21], vcc
	s_and_saveexec_b64 s[20:21], s[22:23]
	s_cbranch_execz .LBB114_224
; %bb.223:
	v_mov_b32_e32 v77, v81
	v_mov_b32_e32 v78, v82
	;; [unrolled: 1-line block ×4, first 2 shown]
	buffer_load_dword v81, off, s[24:27], 0 offset:480 ; 4-byte Folded Reload
	buffer_load_dword v82, off, s[24:27], 0 offset:484 ; 4-byte Folded Reload
	v_ashrrev_i32_e32 v90, 31, v89
	v_lshlrev_b64 v[90:91], 2, v[89:90]
	s_waitcnt vmcnt(1)
	v_add_co_u32_e32 v90, vcc, v81, v90
	s_waitcnt vmcnt(0)
	v_addc_co_u32_e32 v91, vcc, v82, v91, vcc
	global_load_dword v92, v[90:91], off
	global_load_dword v93, v[81:82], off offset:40
	s_waitcnt vmcnt(1)
	global_store_dword v[81:82], v92, off offset:40
	v_mov_b32_e32 v84, v80
	v_mov_b32_e32 v83, v79
	;; [unrolled: 1-line block ×4, first 2 shown]
	s_waitcnt vmcnt(1)
	global_store_dword v[90:91], v93, off
.LBB114_224:
	s_or_b64 exec, exec, s[20:21]
	v_mov_b32_e32 v93, v89
	v_mov_b32_e32 v127, v89
.LBB114_225:
	s_or_b64 exec, exec, s[18:19]
.LBB114_226:
	s_andn2_saveexec_b64 s[0:1], s[0:1]
	s_cbranch_execz .LBB114_228
; %bb.227:
	buffer_load_dword v77, off, s[24:27], 0 offset:352 ; 4-byte Folded Reload
	buffer_load_dword v78, off, s[24:27], 0 offset:356 ; 4-byte Folded Reload
	;; [unrolled: 1-line block ×4, first 2 shown]
	v_mov_b32_e32 v93, 10
	s_waitcnt vmcnt(0)
	ds_write2_b64 v0, v[77:78], v[79:80] offset0:22 offset1:23
	buffer_load_dword v77, off, s[24:27], 0 offset:336 ; 4-byte Folded Reload
	buffer_load_dword v78, off, s[24:27], 0 offset:340 ; 4-byte Folded Reload
	buffer_load_dword v79, off, s[24:27], 0 offset:344 ; 4-byte Folded Reload
	buffer_load_dword v80, off, s[24:27], 0 offset:348 ; 4-byte Folded Reload
	s_waitcnt vmcnt(0)
	ds_write2_b64 v0, v[77:78], v[79:80] offset0:24 offset1:25
	buffer_load_dword v77, off, s[24:27], 0 offset:320 ; 4-byte Folded Reload
	buffer_load_dword v78, off, s[24:27], 0 offset:324 ; 4-byte Folded Reload
	buffer_load_dword v79, off, s[24:27], 0 offset:328 ; 4-byte Folded Reload
	buffer_load_dword v80, off, s[24:27], 0 offset:332 ; 4-byte Folded Reload
	;; [unrolled: 6-line block ×21, first 2 shown]
	s_waitcnt vmcnt(0)
	ds_write2_b64 v0, v[77:78], v[79:80] offset0:64 offset1:65
	ds_write2_b64 v0, v[81:82], v[83:84] offset0:66 offset1:67
	;; [unrolled: 1-line block ×5, first 2 shown]
	buffer_load_dword v77, off, s[24:27], 0 ; 4-byte Folded Reload
	buffer_load_dword v78, off, s[24:27], 0 offset:4 ; 4-byte Folded Reload
	buffer_load_dword v79, off, s[24:27], 0 offset:8 ; 4-byte Folded Reload
	;; [unrolled: 1-line block ×3, first 2 shown]
	s_waitcnt vmcnt(0)
	ds_write2_b64 v0, v[77:78], v[79:80] offset0:74 offset1:75
	ds_write2_b64 v0, v[73:74], v[75:76] offset0:76 offset1:77
	;; [unrolled: 1-line block ×21, first 2 shown]
.LBB114_228:
	s_or_b64 exec, exec, s[0:1]
	v_cmp_lt_i32_e32 vcc, 10, v93
	s_waitcnt vmcnt(0) lgkmcnt(0)
	s_barrier
	s_and_saveexec_b64 s[0:1], vcc
	s_cbranch_execz .LBB114_230
; %bb.229:
	buffer_load_dword v97, off, s[24:27], 0 offset:368 ; 4-byte Folded Reload
	buffer_load_dword v98, off, s[24:27], 0 offset:372 ; 4-byte Folded Reload
	;; [unrolled: 1-line block ×4, first 2 shown]
	s_waitcnt vmcnt(0)
	v_mul_f64 v[89:90], v[119:120], v[99:100]
	v_fma_f64 v[125:126], v[117:118], v[97:98], -v[89:90]
	v_mul_f64 v[89:90], v[117:118], v[99:100]
	v_fma_f64 v[99:100], v[119:120], v[97:98], v[89:90]
	ds_read2_b64 v[89:92], v0 offset0:22 offset1:23
	buffer_load_dword v77, off, s[24:27], 0 offset:352 ; 4-byte Folded Reload
	buffer_load_dword v78, off, s[24:27], 0 offset:356 ; 4-byte Folded Reload
	buffer_load_dword v79, off, s[24:27], 0 offset:360 ; 4-byte Folded Reload
	buffer_load_dword v80, off, s[24:27], 0 offset:364 ; 4-byte Folded Reload
	s_waitcnt lgkmcnt(0)
	v_mul_f64 v[95:96], v[91:92], v[99:100]
	v_fma_f64 v[95:96], v[89:90], v[125:126], -v[95:96]
	v_mul_f64 v[89:90], v[89:90], v[99:100]
	v_fma_f64 v[89:90], v[91:92], v[125:126], v[89:90]
	s_waitcnt vmcnt(2)
	v_add_f64 v[77:78], v[77:78], -v[95:96]
	s_waitcnt vmcnt(0)
	v_add_f64 v[79:80], v[79:80], -v[89:90]
	buffer_store_dword v77, off, s[24:27], 0 offset:352 ; 4-byte Folded Spill
	s_nop 0
	buffer_store_dword v78, off, s[24:27], 0 offset:356 ; 4-byte Folded Spill
	buffer_store_dword v79, off, s[24:27], 0 offset:360 ; 4-byte Folded Spill
	buffer_store_dword v80, off, s[24:27], 0 offset:364 ; 4-byte Folded Spill
	ds_read2_b64 v[89:92], v0 offset0:24 offset1:25
	buffer_load_dword v77, off, s[24:27], 0 offset:336 ; 4-byte Folded Reload
	buffer_load_dword v78, off, s[24:27], 0 offset:340 ; 4-byte Folded Reload
	buffer_load_dword v79, off, s[24:27], 0 offset:344 ; 4-byte Folded Reload
	buffer_load_dword v80, off, s[24:27], 0 offset:348 ; 4-byte Folded Reload
	s_waitcnt lgkmcnt(0)
	v_mul_f64 v[95:96], v[91:92], v[99:100]
	v_fma_f64 v[95:96], v[89:90], v[125:126], -v[95:96]
	v_mul_f64 v[89:90], v[89:90], v[99:100]
	v_fma_f64 v[89:90], v[91:92], v[125:126], v[89:90]
	s_waitcnt vmcnt(2)
	v_add_f64 v[77:78], v[77:78], -v[95:96]
	s_waitcnt vmcnt(0)
	v_add_f64 v[79:80], v[79:80], -v[89:90]
	buffer_store_dword v77, off, s[24:27], 0 offset:336 ; 4-byte Folded Spill
	s_nop 0
	buffer_store_dword v78, off, s[24:27], 0 offset:340 ; 4-byte Folded Spill
	buffer_store_dword v79, off, s[24:27], 0 offset:344 ; 4-byte Folded Spill
	buffer_store_dword v80, off, s[24:27], 0 offset:348 ; 4-byte Folded Spill
	ds_read2_b64 v[89:92], v0 offset0:26 offset1:27
	buffer_load_dword v77, off, s[24:27], 0 offset:320 ; 4-byte Folded Reload
	buffer_load_dword v78, off, s[24:27], 0 offset:324 ; 4-byte Folded Reload
	buffer_load_dword v79, off, s[24:27], 0 offset:328 ; 4-byte Folded Reload
	buffer_load_dword v80, off, s[24:27], 0 offset:332 ; 4-byte Folded Reload
	s_waitcnt lgkmcnt(0)
	v_mul_f64 v[95:96], v[91:92], v[99:100]
	v_fma_f64 v[95:96], v[89:90], v[125:126], -v[95:96]
	v_mul_f64 v[89:90], v[89:90], v[99:100]
	v_fma_f64 v[89:90], v[91:92], v[125:126], v[89:90]
	s_waitcnt vmcnt(2)
	v_add_f64 v[77:78], v[77:78], -v[95:96]
	s_waitcnt vmcnt(0)
	v_add_f64 v[79:80], v[79:80], -v[89:90]
	buffer_store_dword v77, off, s[24:27], 0 offset:320 ; 4-byte Folded Spill
	s_nop 0
	buffer_store_dword v78, off, s[24:27], 0 offset:324 ; 4-byte Folded Spill
	buffer_store_dword v79, off, s[24:27], 0 offset:328 ; 4-byte Folded Spill
	buffer_store_dword v80, off, s[24:27], 0 offset:332 ; 4-byte Folded Spill
	ds_read2_b64 v[89:92], v0 offset0:28 offset1:29
	buffer_load_dword v77, off, s[24:27], 0 offset:304 ; 4-byte Folded Reload
	buffer_load_dword v78, off, s[24:27], 0 offset:308 ; 4-byte Folded Reload
	buffer_load_dword v79, off, s[24:27], 0 offset:312 ; 4-byte Folded Reload
	buffer_load_dword v80, off, s[24:27], 0 offset:316 ; 4-byte Folded Reload
	s_waitcnt lgkmcnt(0)
	v_mul_f64 v[95:96], v[91:92], v[99:100]
	v_fma_f64 v[95:96], v[89:90], v[125:126], -v[95:96]
	v_mul_f64 v[89:90], v[89:90], v[99:100]
	v_fma_f64 v[89:90], v[91:92], v[125:126], v[89:90]
	s_waitcnt vmcnt(2)
	v_add_f64 v[77:78], v[77:78], -v[95:96]
	s_waitcnt vmcnt(0)
	v_add_f64 v[79:80], v[79:80], -v[89:90]
	buffer_store_dword v77, off, s[24:27], 0 offset:304 ; 4-byte Folded Spill
	s_nop 0
	buffer_store_dword v78, off, s[24:27], 0 offset:308 ; 4-byte Folded Spill
	buffer_store_dword v79, off, s[24:27], 0 offset:312 ; 4-byte Folded Spill
	buffer_store_dword v80, off, s[24:27], 0 offset:316 ; 4-byte Folded Spill
	ds_read2_b64 v[89:92], v0 offset0:30 offset1:31
	buffer_load_dword v77, off, s[24:27], 0 offset:288 ; 4-byte Folded Reload
	buffer_load_dword v78, off, s[24:27], 0 offset:292 ; 4-byte Folded Reload
	buffer_load_dword v79, off, s[24:27], 0 offset:296 ; 4-byte Folded Reload
	buffer_load_dword v80, off, s[24:27], 0 offset:300 ; 4-byte Folded Reload
	s_waitcnt lgkmcnt(0)
	v_mul_f64 v[95:96], v[91:92], v[99:100]
	v_fma_f64 v[95:96], v[89:90], v[125:126], -v[95:96]
	v_mul_f64 v[89:90], v[89:90], v[99:100]
	v_fma_f64 v[89:90], v[91:92], v[125:126], v[89:90]
	s_waitcnt vmcnt(2)
	v_add_f64 v[77:78], v[77:78], -v[95:96]
	s_waitcnt vmcnt(0)
	v_add_f64 v[79:80], v[79:80], -v[89:90]
	buffer_store_dword v77, off, s[24:27], 0 offset:288 ; 4-byte Folded Spill
	s_nop 0
	buffer_store_dword v78, off, s[24:27], 0 offset:292 ; 4-byte Folded Spill
	buffer_store_dword v79, off, s[24:27], 0 offset:296 ; 4-byte Folded Spill
	buffer_store_dword v80, off, s[24:27], 0 offset:300 ; 4-byte Folded Spill
	ds_read2_b64 v[89:92], v0 offset0:32 offset1:33
	buffer_load_dword v77, off, s[24:27], 0 offset:272 ; 4-byte Folded Reload
	buffer_load_dword v78, off, s[24:27], 0 offset:276 ; 4-byte Folded Reload
	buffer_load_dword v79, off, s[24:27], 0 offset:280 ; 4-byte Folded Reload
	buffer_load_dword v80, off, s[24:27], 0 offset:284 ; 4-byte Folded Reload
	s_waitcnt lgkmcnt(0)
	v_mul_f64 v[95:96], v[91:92], v[99:100]
	v_fma_f64 v[95:96], v[89:90], v[125:126], -v[95:96]
	v_mul_f64 v[89:90], v[89:90], v[99:100]
	v_fma_f64 v[89:90], v[91:92], v[125:126], v[89:90]
	s_waitcnt vmcnt(2)
	v_add_f64 v[77:78], v[77:78], -v[95:96]
	s_waitcnt vmcnt(0)
	v_add_f64 v[79:80], v[79:80], -v[89:90]
	buffer_store_dword v77, off, s[24:27], 0 offset:272 ; 4-byte Folded Spill
	s_nop 0
	buffer_store_dword v78, off, s[24:27], 0 offset:276 ; 4-byte Folded Spill
	buffer_store_dword v79, off, s[24:27], 0 offset:280 ; 4-byte Folded Spill
	buffer_store_dword v80, off, s[24:27], 0 offset:284 ; 4-byte Folded Spill
	ds_read2_b64 v[89:92], v0 offset0:34 offset1:35
	buffer_load_dword v77, off, s[24:27], 0 offset:256 ; 4-byte Folded Reload
	buffer_load_dword v78, off, s[24:27], 0 offset:260 ; 4-byte Folded Reload
	buffer_load_dword v79, off, s[24:27], 0 offset:264 ; 4-byte Folded Reload
	buffer_load_dword v80, off, s[24:27], 0 offset:268 ; 4-byte Folded Reload
	s_waitcnt lgkmcnt(0)
	v_mul_f64 v[95:96], v[91:92], v[99:100]
	v_fma_f64 v[95:96], v[89:90], v[125:126], -v[95:96]
	v_mul_f64 v[89:90], v[89:90], v[99:100]
	v_fma_f64 v[89:90], v[91:92], v[125:126], v[89:90]
	s_waitcnt vmcnt(2)
	v_add_f64 v[77:78], v[77:78], -v[95:96]
	s_waitcnt vmcnt(0)
	v_add_f64 v[79:80], v[79:80], -v[89:90]
	buffer_store_dword v77, off, s[24:27], 0 offset:256 ; 4-byte Folded Spill
	s_nop 0
	buffer_store_dword v78, off, s[24:27], 0 offset:260 ; 4-byte Folded Spill
	buffer_store_dword v79, off, s[24:27], 0 offset:264 ; 4-byte Folded Spill
	buffer_store_dword v80, off, s[24:27], 0 offset:268 ; 4-byte Folded Spill
	ds_read2_b64 v[89:92], v0 offset0:36 offset1:37
	buffer_load_dword v77, off, s[24:27], 0 offset:240 ; 4-byte Folded Reload
	buffer_load_dword v78, off, s[24:27], 0 offset:244 ; 4-byte Folded Reload
	buffer_load_dword v79, off, s[24:27], 0 offset:248 ; 4-byte Folded Reload
	buffer_load_dword v80, off, s[24:27], 0 offset:252 ; 4-byte Folded Reload
	s_waitcnt lgkmcnt(0)
	v_mul_f64 v[95:96], v[91:92], v[99:100]
	v_fma_f64 v[95:96], v[89:90], v[125:126], -v[95:96]
	v_mul_f64 v[89:90], v[89:90], v[99:100]
	v_fma_f64 v[89:90], v[91:92], v[125:126], v[89:90]
	s_waitcnt vmcnt(2)
	v_add_f64 v[77:78], v[77:78], -v[95:96]
	s_waitcnt vmcnt(0)
	v_add_f64 v[79:80], v[79:80], -v[89:90]
	buffer_store_dword v77, off, s[24:27], 0 offset:240 ; 4-byte Folded Spill
	s_nop 0
	buffer_store_dword v78, off, s[24:27], 0 offset:244 ; 4-byte Folded Spill
	buffer_store_dword v79, off, s[24:27], 0 offset:248 ; 4-byte Folded Spill
	buffer_store_dword v80, off, s[24:27], 0 offset:252 ; 4-byte Folded Spill
	ds_read2_b64 v[89:92], v0 offset0:38 offset1:39
	buffer_load_dword v77, off, s[24:27], 0 offset:224 ; 4-byte Folded Reload
	buffer_load_dword v78, off, s[24:27], 0 offset:228 ; 4-byte Folded Reload
	buffer_load_dword v79, off, s[24:27], 0 offset:232 ; 4-byte Folded Reload
	buffer_load_dword v80, off, s[24:27], 0 offset:236 ; 4-byte Folded Reload
	s_waitcnt lgkmcnt(0)
	v_mul_f64 v[95:96], v[91:92], v[99:100]
	v_fma_f64 v[95:96], v[89:90], v[125:126], -v[95:96]
	v_mul_f64 v[89:90], v[89:90], v[99:100]
	v_fma_f64 v[89:90], v[91:92], v[125:126], v[89:90]
	s_waitcnt vmcnt(2)
	v_add_f64 v[77:78], v[77:78], -v[95:96]
	s_waitcnt vmcnt(0)
	v_add_f64 v[79:80], v[79:80], -v[89:90]
	buffer_store_dword v77, off, s[24:27], 0 offset:224 ; 4-byte Folded Spill
	s_nop 0
	buffer_store_dword v78, off, s[24:27], 0 offset:228 ; 4-byte Folded Spill
	buffer_store_dword v79, off, s[24:27], 0 offset:232 ; 4-byte Folded Spill
	buffer_store_dword v80, off, s[24:27], 0 offset:236 ; 4-byte Folded Spill
	ds_read2_b64 v[89:92], v0 offset0:40 offset1:41
	buffer_load_dword v77, off, s[24:27], 0 offset:208 ; 4-byte Folded Reload
	buffer_load_dword v78, off, s[24:27], 0 offset:212 ; 4-byte Folded Reload
	buffer_load_dword v79, off, s[24:27], 0 offset:216 ; 4-byte Folded Reload
	buffer_load_dword v80, off, s[24:27], 0 offset:220 ; 4-byte Folded Reload
	s_waitcnt lgkmcnt(0)
	v_mul_f64 v[95:96], v[91:92], v[99:100]
	v_fma_f64 v[95:96], v[89:90], v[125:126], -v[95:96]
	v_mul_f64 v[89:90], v[89:90], v[99:100]
	v_fma_f64 v[89:90], v[91:92], v[125:126], v[89:90]
	s_waitcnt vmcnt(2)
	v_add_f64 v[77:78], v[77:78], -v[95:96]
	s_waitcnt vmcnt(0)
	v_add_f64 v[79:80], v[79:80], -v[89:90]
	buffer_store_dword v77, off, s[24:27], 0 offset:208 ; 4-byte Folded Spill
	s_nop 0
	buffer_store_dword v78, off, s[24:27], 0 offset:212 ; 4-byte Folded Spill
	buffer_store_dword v79, off, s[24:27], 0 offset:216 ; 4-byte Folded Spill
	buffer_store_dword v80, off, s[24:27], 0 offset:220 ; 4-byte Folded Spill
	ds_read2_b64 v[89:92], v0 offset0:42 offset1:43
	buffer_load_dword v77, off, s[24:27], 0 offset:192 ; 4-byte Folded Reload
	buffer_load_dword v78, off, s[24:27], 0 offset:196 ; 4-byte Folded Reload
	buffer_load_dword v79, off, s[24:27], 0 offset:200 ; 4-byte Folded Reload
	buffer_load_dword v80, off, s[24:27], 0 offset:204 ; 4-byte Folded Reload
	s_waitcnt lgkmcnt(0)
	v_mul_f64 v[95:96], v[91:92], v[99:100]
	v_fma_f64 v[95:96], v[89:90], v[125:126], -v[95:96]
	v_mul_f64 v[89:90], v[89:90], v[99:100]
	v_fma_f64 v[89:90], v[91:92], v[125:126], v[89:90]
	s_waitcnt vmcnt(2)
	v_add_f64 v[77:78], v[77:78], -v[95:96]
	s_waitcnt vmcnt(0)
	v_add_f64 v[79:80], v[79:80], -v[89:90]
	buffer_store_dword v77, off, s[24:27], 0 offset:192 ; 4-byte Folded Spill
	s_nop 0
	buffer_store_dword v78, off, s[24:27], 0 offset:196 ; 4-byte Folded Spill
	buffer_store_dword v79, off, s[24:27], 0 offset:200 ; 4-byte Folded Spill
	buffer_store_dword v80, off, s[24:27], 0 offset:204 ; 4-byte Folded Spill
	ds_read2_b64 v[89:92], v0 offset0:44 offset1:45
	buffer_load_dword v77, off, s[24:27], 0 offset:176 ; 4-byte Folded Reload
	buffer_load_dword v78, off, s[24:27], 0 offset:180 ; 4-byte Folded Reload
	buffer_load_dword v79, off, s[24:27], 0 offset:184 ; 4-byte Folded Reload
	buffer_load_dword v80, off, s[24:27], 0 offset:188 ; 4-byte Folded Reload
	s_waitcnt lgkmcnt(0)
	v_mul_f64 v[95:96], v[91:92], v[99:100]
	v_fma_f64 v[95:96], v[89:90], v[125:126], -v[95:96]
	v_mul_f64 v[89:90], v[89:90], v[99:100]
	v_fma_f64 v[89:90], v[91:92], v[125:126], v[89:90]
	s_waitcnt vmcnt(2)
	v_add_f64 v[77:78], v[77:78], -v[95:96]
	s_waitcnt vmcnt(0)
	v_add_f64 v[79:80], v[79:80], -v[89:90]
	buffer_store_dword v77, off, s[24:27], 0 offset:176 ; 4-byte Folded Spill
	s_nop 0
	buffer_store_dword v78, off, s[24:27], 0 offset:180 ; 4-byte Folded Spill
	buffer_store_dword v79, off, s[24:27], 0 offset:184 ; 4-byte Folded Spill
	buffer_store_dword v80, off, s[24:27], 0 offset:188 ; 4-byte Folded Spill
	ds_read2_b64 v[89:92], v0 offset0:46 offset1:47
	buffer_load_dword v77, off, s[24:27], 0 offset:160 ; 4-byte Folded Reload
	buffer_load_dword v78, off, s[24:27], 0 offset:164 ; 4-byte Folded Reload
	buffer_load_dword v79, off, s[24:27], 0 offset:168 ; 4-byte Folded Reload
	buffer_load_dword v80, off, s[24:27], 0 offset:172 ; 4-byte Folded Reload
	s_waitcnt lgkmcnt(0)
	v_mul_f64 v[95:96], v[91:92], v[99:100]
	v_fma_f64 v[95:96], v[89:90], v[125:126], -v[95:96]
	v_mul_f64 v[89:90], v[89:90], v[99:100]
	v_fma_f64 v[89:90], v[91:92], v[125:126], v[89:90]
	s_waitcnt vmcnt(2)
	v_add_f64 v[77:78], v[77:78], -v[95:96]
	s_waitcnt vmcnt(0)
	v_add_f64 v[79:80], v[79:80], -v[89:90]
	buffer_store_dword v77, off, s[24:27], 0 offset:160 ; 4-byte Folded Spill
	s_nop 0
	buffer_store_dword v78, off, s[24:27], 0 offset:164 ; 4-byte Folded Spill
	buffer_store_dword v79, off, s[24:27], 0 offset:168 ; 4-byte Folded Spill
	buffer_store_dword v80, off, s[24:27], 0 offset:172 ; 4-byte Folded Spill
	ds_read2_b64 v[89:92], v0 offset0:48 offset1:49
	buffer_load_dword v77, off, s[24:27], 0 offset:144 ; 4-byte Folded Reload
	buffer_load_dword v78, off, s[24:27], 0 offset:148 ; 4-byte Folded Reload
	buffer_load_dword v79, off, s[24:27], 0 offset:152 ; 4-byte Folded Reload
	buffer_load_dword v80, off, s[24:27], 0 offset:156 ; 4-byte Folded Reload
	s_waitcnt lgkmcnt(0)
	v_mul_f64 v[95:96], v[91:92], v[99:100]
	v_fma_f64 v[95:96], v[89:90], v[125:126], -v[95:96]
	v_mul_f64 v[89:90], v[89:90], v[99:100]
	v_fma_f64 v[89:90], v[91:92], v[125:126], v[89:90]
	s_waitcnt vmcnt(2)
	v_add_f64 v[77:78], v[77:78], -v[95:96]
	s_waitcnt vmcnt(0)
	v_add_f64 v[79:80], v[79:80], -v[89:90]
	buffer_store_dword v77, off, s[24:27], 0 offset:144 ; 4-byte Folded Spill
	s_nop 0
	buffer_store_dword v78, off, s[24:27], 0 offset:148 ; 4-byte Folded Spill
	buffer_store_dword v79, off, s[24:27], 0 offset:152 ; 4-byte Folded Spill
	buffer_store_dword v80, off, s[24:27], 0 offset:156 ; 4-byte Folded Spill
	ds_read2_b64 v[89:92], v0 offset0:50 offset1:51
	buffer_load_dword v77, off, s[24:27], 0 offset:128 ; 4-byte Folded Reload
	buffer_load_dword v78, off, s[24:27], 0 offset:132 ; 4-byte Folded Reload
	buffer_load_dword v79, off, s[24:27], 0 offset:136 ; 4-byte Folded Reload
	buffer_load_dword v80, off, s[24:27], 0 offset:140 ; 4-byte Folded Reload
	s_waitcnt lgkmcnt(0)
	v_mul_f64 v[95:96], v[91:92], v[99:100]
	v_fma_f64 v[95:96], v[89:90], v[125:126], -v[95:96]
	v_mul_f64 v[89:90], v[89:90], v[99:100]
	v_fma_f64 v[89:90], v[91:92], v[125:126], v[89:90]
	s_waitcnt vmcnt(2)
	v_add_f64 v[77:78], v[77:78], -v[95:96]
	s_waitcnt vmcnt(0)
	v_add_f64 v[79:80], v[79:80], -v[89:90]
	buffer_store_dword v77, off, s[24:27], 0 offset:128 ; 4-byte Folded Spill
	s_nop 0
	buffer_store_dword v78, off, s[24:27], 0 offset:132 ; 4-byte Folded Spill
	buffer_store_dword v79, off, s[24:27], 0 offset:136 ; 4-byte Folded Spill
	buffer_store_dword v80, off, s[24:27], 0 offset:140 ; 4-byte Folded Spill
	ds_read2_b64 v[89:92], v0 offset0:52 offset1:53
	buffer_load_dword v77, off, s[24:27], 0 offset:112 ; 4-byte Folded Reload
	buffer_load_dword v78, off, s[24:27], 0 offset:116 ; 4-byte Folded Reload
	buffer_load_dword v79, off, s[24:27], 0 offset:120 ; 4-byte Folded Reload
	buffer_load_dword v80, off, s[24:27], 0 offset:124 ; 4-byte Folded Reload
	s_waitcnt lgkmcnt(0)
	v_mul_f64 v[95:96], v[91:92], v[99:100]
	v_fma_f64 v[95:96], v[89:90], v[125:126], -v[95:96]
	v_mul_f64 v[89:90], v[89:90], v[99:100]
	v_fma_f64 v[89:90], v[91:92], v[125:126], v[89:90]
	s_waitcnt vmcnt(2)
	v_add_f64 v[77:78], v[77:78], -v[95:96]
	s_waitcnt vmcnt(0)
	v_add_f64 v[79:80], v[79:80], -v[89:90]
	buffer_store_dword v77, off, s[24:27], 0 offset:112 ; 4-byte Folded Spill
	s_nop 0
	buffer_store_dword v78, off, s[24:27], 0 offset:116 ; 4-byte Folded Spill
	buffer_store_dword v79, off, s[24:27], 0 offset:120 ; 4-byte Folded Spill
	buffer_store_dword v80, off, s[24:27], 0 offset:124 ; 4-byte Folded Spill
	ds_read2_b64 v[89:92], v0 offset0:54 offset1:55
	buffer_load_dword v77, off, s[24:27], 0 offset:96 ; 4-byte Folded Reload
	buffer_load_dword v78, off, s[24:27], 0 offset:100 ; 4-byte Folded Reload
	buffer_load_dword v79, off, s[24:27], 0 offset:104 ; 4-byte Folded Reload
	buffer_load_dword v80, off, s[24:27], 0 offset:108 ; 4-byte Folded Reload
	s_waitcnt lgkmcnt(0)
	v_mul_f64 v[95:96], v[91:92], v[99:100]
	v_fma_f64 v[95:96], v[89:90], v[125:126], -v[95:96]
	v_mul_f64 v[89:90], v[89:90], v[99:100]
	v_fma_f64 v[89:90], v[91:92], v[125:126], v[89:90]
	s_waitcnt vmcnt(2)
	v_add_f64 v[77:78], v[77:78], -v[95:96]
	s_waitcnt vmcnt(0)
	v_add_f64 v[79:80], v[79:80], -v[89:90]
	buffer_store_dword v77, off, s[24:27], 0 offset:96 ; 4-byte Folded Spill
	s_nop 0
	buffer_store_dword v78, off, s[24:27], 0 offset:100 ; 4-byte Folded Spill
	buffer_store_dword v79, off, s[24:27], 0 offset:104 ; 4-byte Folded Spill
	buffer_store_dword v80, off, s[24:27], 0 offset:108 ; 4-byte Folded Spill
	ds_read2_b64 v[89:92], v0 offset0:56 offset1:57
	buffer_load_dword v77, off, s[24:27], 0 offset:80 ; 4-byte Folded Reload
	buffer_load_dword v78, off, s[24:27], 0 offset:84 ; 4-byte Folded Reload
	buffer_load_dword v79, off, s[24:27], 0 offset:88 ; 4-byte Folded Reload
	buffer_load_dword v80, off, s[24:27], 0 offset:92 ; 4-byte Folded Reload
	s_waitcnt lgkmcnt(0)
	v_mul_f64 v[95:96], v[91:92], v[99:100]
	v_fma_f64 v[95:96], v[89:90], v[125:126], -v[95:96]
	v_mul_f64 v[89:90], v[89:90], v[99:100]
	v_fma_f64 v[89:90], v[91:92], v[125:126], v[89:90]
	s_waitcnt vmcnt(2)
	v_add_f64 v[77:78], v[77:78], -v[95:96]
	s_waitcnt vmcnt(0)
	v_add_f64 v[79:80], v[79:80], -v[89:90]
	buffer_store_dword v77, off, s[24:27], 0 offset:80 ; 4-byte Folded Spill
	s_nop 0
	buffer_store_dword v78, off, s[24:27], 0 offset:84 ; 4-byte Folded Spill
	buffer_store_dword v79, off, s[24:27], 0 offset:88 ; 4-byte Folded Spill
	buffer_store_dword v80, off, s[24:27], 0 offset:92 ; 4-byte Folded Spill
	ds_read2_b64 v[89:92], v0 offset0:58 offset1:59
	buffer_load_dword v77, off, s[24:27], 0 offset:64 ; 4-byte Folded Reload
	buffer_load_dword v78, off, s[24:27], 0 offset:68 ; 4-byte Folded Reload
	buffer_load_dword v79, off, s[24:27], 0 offset:72 ; 4-byte Folded Reload
	buffer_load_dword v80, off, s[24:27], 0 offset:76 ; 4-byte Folded Reload
	s_waitcnt lgkmcnt(0)
	v_mul_f64 v[95:96], v[91:92], v[99:100]
	v_fma_f64 v[95:96], v[89:90], v[125:126], -v[95:96]
	v_mul_f64 v[89:90], v[89:90], v[99:100]
	v_fma_f64 v[89:90], v[91:92], v[125:126], v[89:90]
	s_waitcnt vmcnt(2)
	v_add_f64 v[77:78], v[77:78], -v[95:96]
	s_waitcnt vmcnt(0)
	v_add_f64 v[79:80], v[79:80], -v[89:90]
	buffer_store_dword v77, off, s[24:27], 0 offset:64 ; 4-byte Folded Spill
	s_nop 0
	buffer_store_dword v78, off, s[24:27], 0 offset:68 ; 4-byte Folded Spill
	buffer_store_dword v79, off, s[24:27], 0 offset:72 ; 4-byte Folded Spill
	buffer_store_dword v80, off, s[24:27], 0 offset:76 ; 4-byte Folded Spill
	ds_read2_b64 v[89:92], v0 offset0:60 offset1:61
	buffer_load_dword v77, off, s[24:27], 0 offset:48 ; 4-byte Folded Reload
	buffer_load_dword v78, off, s[24:27], 0 offset:52 ; 4-byte Folded Reload
	buffer_load_dword v79, off, s[24:27], 0 offset:56 ; 4-byte Folded Reload
	buffer_load_dword v80, off, s[24:27], 0 offset:60 ; 4-byte Folded Reload
	s_waitcnt lgkmcnt(0)
	v_mul_f64 v[95:96], v[91:92], v[99:100]
	v_fma_f64 v[95:96], v[89:90], v[125:126], -v[95:96]
	v_mul_f64 v[89:90], v[89:90], v[99:100]
	v_fma_f64 v[89:90], v[91:92], v[125:126], v[89:90]
	s_waitcnt vmcnt(2)
	v_add_f64 v[77:78], v[77:78], -v[95:96]
	s_waitcnt vmcnt(0)
	v_add_f64 v[79:80], v[79:80], -v[89:90]
	buffer_store_dword v77, off, s[24:27], 0 offset:48 ; 4-byte Folded Spill
	s_nop 0
	buffer_store_dword v78, off, s[24:27], 0 offset:52 ; 4-byte Folded Spill
	buffer_store_dword v79, off, s[24:27], 0 offset:56 ; 4-byte Folded Spill
	buffer_store_dword v80, off, s[24:27], 0 offset:60 ; 4-byte Folded Spill
	ds_read2_b64 v[89:92], v0 offset0:62 offset1:63
	buffer_load_dword v77, off, s[24:27], 0 offset:32 ; 4-byte Folded Reload
	buffer_load_dword v78, off, s[24:27], 0 offset:36 ; 4-byte Folded Reload
	buffer_load_dword v79, off, s[24:27], 0 offset:40 ; 4-byte Folded Reload
	buffer_load_dword v80, off, s[24:27], 0 offset:44 ; 4-byte Folded Reload
	s_waitcnt lgkmcnt(0)
	v_mul_f64 v[95:96], v[91:92], v[99:100]
	v_fma_f64 v[95:96], v[89:90], v[125:126], -v[95:96]
	v_mul_f64 v[89:90], v[89:90], v[99:100]
	v_fma_f64 v[89:90], v[91:92], v[125:126], v[89:90]
	s_waitcnt vmcnt(2)
	v_add_f64 v[77:78], v[77:78], -v[95:96]
	s_waitcnt vmcnt(0)
	v_add_f64 v[79:80], v[79:80], -v[89:90]
	buffer_store_dword v77, off, s[24:27], 0 offset:32 ; 4-byte Folded Spill
	s_nop 0
	buffer_store_dword v78, off, s[24:27], 0 offset:36 ; 4-byte Folded Spill
	buffer_store_dword v79, off, s[24:27], 0 offset:40 ; 4-byte Folded Spill
	buffer_store_dword v80, off, s[24:27], 0 offset:44 ; 4-byte Folded Spill
	ds_read2_b64 v[89:92], v0 offset0:64 offset1:65
	buffer_load_dword v77, off, s[24:27], 0 offset:16 ; 4-byte Folded Reload
	buffer_load_dword v78, off, s[24:27], 0 offset:20 ; 4-byte Folded Reload
	buffer_load_dword v79, off, s[24:27], 0 offset:24 ; 4-byte Folded Reload
	buffer_load_dword v80, off, s[24:27], 0 offset:28 ; 4-byte Folded Reload
	s_waitcnt lgkmcnt(0)
	v_mul_f64 v[95:96], v[91:92], v[99:100]
	v_fma_f64 v[95:96], v[89:90], v[125:126], -v[95:96]
	v_mul_f64 v[89:90], v[89:90], v[99:100]
	v_fma_f64 v[89:90], v[91:92], v[125:126], v[89:90]
	s_waitcnt vmcnt(2)
	v_add_f64 v[77:78], v[77:78], -v[95:96]
	s_waitcnt vmcnt(0)
	v_add_f64 v[79:80], v[79:80], -v[89:90]
	buffer_store_dword v77, off, s[24:27], 0 offset:16 ; 4-byte Folded Spill
	s_nop 0
	buffer_store_dword v78, off, s[24:27], 0 offset:20 ; 4-byte Folded Spill
	buffer_store_dword v79, off, s[24:27], 0 offset:24 ; 4-byte Folded Spill
	buffer_store_dword v80, off, s[24:27], 0 offset:28 ; 4-byte Folded Spill
	ds_read2_b64 v[89:92], v0 offset0:66 offset1:67
	s_waitcnt lgkmcnt(0)
	v_mul_f64 v[95:96], v[91:92], v[99:100]
	v_fma_f64 v[95:96], v[89:90], v[125:126], -v[95:96]
	v_mul_f64 v[89:90], v[89:90], v[99:100]
	v_add_f64 v[81:82], v[81:82], -v[95:96]
	v_fma_f64 v[89:90], v[91:92], v[125:126], v[89:90]
	v_add_f64 v[83:84], v[83:84], -v[89:90]
	ds_read2_b64 v[89:92], v0 offset0:68 offset1:69
	s_waitcnt lgkmcnt(0)
	v_mul_f64 v[95:96], v[91:92], v[99:100]
	v_fma_f64 v[95:96], v[89:90], v[125:126], -v[95:96]
	v_mul_f64 v[89:90], v[89:90], v[99:100]
	v_add_f64 v[85:86], v[85:86], -v[95:96]
	v_fma_f64 v[89:90], v[91:92], v[125:126], v[89:90]
	v_add_f64 v[87:88], v[87:88], -v[89:90]
	;; [unrolled: 8-line block ×4, first 2 shown]
	ds_read2_b64 v[89:92], v0 offset0:74 offset1:75
	buffer_load_dword v77, off, s[24:27], 0 ; 4-byte Folded Reload
	buffer_load_dword v78, off, s[24:27], 0 offset:4 ; 4-byte Folded Reload
	buffer_load_dword v79, off, s[24:27], 0 offset:8 ; 4-byte Folded Reload
	;; [unrolled: 1-line block ×3, first 2 shown]
	s_waitcnt lgkmcnt(0)
	v_mul_f64 v[95:96], v[91:92], v[99:100]
	v_fma_f64 v[95:96], v[89:90], v[125:126], -v[95:96]
	v_mul_f64 v[89:90], v[89:90], v[99:100]
	v_fma_f64 v[89:90], v[91:92], v[125:126], v[89:90]
	s_waitcnt vmcnt(2)
	v_add_f64 v[77:78], v[77:78], -v[95:96]
	s_waitcnt vmcnt(0)
	v_add_f64 v[79:80], v[79:80], -v[89:90]
	buffer_store_dword v77, off, s[24:27], 0 ; 4-byte Folded Spill
	s_nop 0
	buffer_store_dword v78, off, s[24:27], 0 offset:4 ; 4-byte Folded Spill
	buffer_store_dword v79, off, s[24:27], 0 offset:8 ; 4-byte Folded Spill
	;; [unrolled: 1-line block ×3, first 2 shown]
	ds_read2_b64 v[89:92], v0 offset0:76 offset1:77
	s_waitcnt lgkmcnt(0)
	v_mul_f64 v[95:96], v[91:92], v[99:100]
	v_fma_f64 v[95:96], v[89:90], v[125:126], -v[95:96]
	v_mul_f64 v[89:90], v[89:90], v[99:100]
	v_add_f64 v[73:74], v[73:74], -v[95:96]
	v_fma_f64 v[89:90], v[91:92], v[125:126], v[89:90]
	v_add_f64 v[75:76], v[75:76], -v[89:90]
	ds_read2_b64 v[89:92], v0 offset0:78 offset1:79
	s_waitcnt lgkmcnt(0)
	v_mul_f64 v[95:96], v[91:92], v[99:100]
	v_fma_f64 v[95:96], v[89:90], v[125:126], -v[95:96]
	v_mul_f64 v[89:90], v[89:90], v[99:100]
	v_add_f64 v[69:70], v[69:70], -v[95:96]
	v_fma_f64 v[89:90], v[91:92], v[125:126], v[89:90]
	v_add_f64 v[71:72], v[71:72], -v[89:90]
	;; [unrolled: 8-line block ×18, first 2 shown]
	ds_read2_b64 v[89:92], v0 offset0:112 offset1:113
	s_waitcnt lgkmcnt(0)
	v_mul_f64 v[95:96], v[91:92], v[99:100]
	v_fma_f64 v[95:96], v[89:90], v[125:126], -v[95:96]
	v_mul_f64 v[89:90], v[89:90], v[99:100]
	v_add_f64 v[1:2], v[1:2], -v[95:96]
	v_fma_f64 v[89:90], v[91:92], v[125:126], v[89:90]
	ds_read2_b64 v[95:98], v0 offset0:114 offset1:115
	s_waitcnt lgkmcnt(0)
	v_mul_f64 v[91:92], v[95:96], v[99:100]
	v_add_f64 v[3:4], v[3:4], -v[89:90]
	v_mul_f64 v[89:90], v[97:98], v[99:100]
	v_fma_f64 v[91:92], v[97:98], v[125:126], v[91:92]
	v_mov_b32_e32 v97, v125
	v_mov_b32_e32 v98, v126
	v_fma_f64 v[89:90], v[95:96], v[125:126], -v[89:90]
	buffer_store_dword v97, off, s[24:27], 0 offset:368 ; 4-byte Folded Spill
	s_nop 0
	buffer_store_dword v98, off, s[24:27], 0 offset:372 ; 4-byte Folded Spill
	buffer_store_dword v99, off, s[24:27], 0 offset:376 ; 4-byte Folded Spill
	;; [unrolled: 1-line block ×3, first 2 shown]
	v_add_f64 v[123:124], v[123:124], -v[91:92]
	v_add_f64 v[121:122], v[121:122], -v[89:90]
.LBB114_230:
	s_or_b64 exec, exec, s[0:1]
	s_waitcnt vmcnt(0)
	s_barrier
	buffer_load_dword v77, off, s[24:27], 0 offset:352 ; 4-byte Folded Reload
	buffer_load_dword v78, off, s[24:27], 0 offset:356 ; 4-byte Folded Reload
	;; [unrolled: 1-line block ×4, first 2 shown]
	v_lshl_add_u32 v89, v93, 4, v0
	s_cmp_lt_i32 s3, 13
	s_waitcnt vmcnt(0)
	ds_write2_b64 v89, v[77:78], v[79:80] offset1:1
	s_waitcnt lgkmcnt(0)
	s_barrier
	ds_read2_b64 v[117:120], v0 offset0:22 offset1:23
	v_mov_b32_e32 v89, 11
	s_cbranch_scc1 .LBB114_233
; %bb.231:
	v_add_u32_e32 v90, 0xc0, v0
	s_mov_b32 s0, 12
	v_mov_b32_e32 v89, 11
.LBB114_232:                            ; =>This Inner Loop Header: Depth=1
	s_waitcnt lgkmcnt(0)
	v_cmp_gt_f64_e32 vcc, 0, v[117:118]
	v_xor_b32_e32 v91, 0x80000000, v118
	ds_read2_b64 v[95:98], v90 offset1:1
	v_xor_b32_e32 v99, 0x80000000, v120
	v_add_u32_e32 v90, 16, v90
	s_waitcnt lgkmcnt(0)
	v_xor_b32_e32 v101, 0x80000000, v98
	v_cndmask_b32_e32 v92, v118, v91, vcc
	v_cmp_gt_f64_e32 vcc, 0, v[119:120]
	v_mov_b32_e32 v91, v117
	v_cndmask_b32_e32 v100, v120, v99, vcc
	v_cmp_gt_f64_e32 vcc, 0, v[95:96]
	v_mov_b32_e32 v99, v119
	v_add_f64 v[91:92], v[91:92], v[99:100]
	v_xor_b32_e32 v99, 0x80000000, v96
	v_cndmask_b32_e32 v100, v96, v99, vcc
	v_cmp_gt_f64_e32 vcc, 0, v[97:98]
	v_mov_b32_e32 v99, v95
	v_cndmask_b32_e32 v102, v98, v101, vcc
	v_mov_b32_e32 v101, v97
	v_add_f64 v[99:100], v[99:100], v[101:102]
	v_cmp_lt_f64_e32 vcc, v[91:92], v[99:100]
	v_mov_b32_e32 v91, s0
	s_add_i32 s0, s0, 1
	s_cmp_lg_u32 s3, s0
	v_cndmask_b32_e32 v118, v118, v96, vcc
	v_cndmask_b32_e32 v117, v117, v95, vcc
	;; [unrolled: 1-line block ×5, first 2 shown]
	s_cbranch_scc1 .LBB114_232
.LBB114_233:
	s_waitcnt lgkmcnt(0)
	v_cmp_eq_f64_e32 vcc, 0, v[117:118]
	v_cmp_eq_f64_e64 s[0:1], 0, v[119:120]
	s_and_b64 s[0:1], vcc, s[0:1]
	s_and_saveexec_b64 s[18:19], s[0:1]
	s_xor_b64 s[0:1], exec, s[18:19]
; %bb.234:
	v_cmp_ne_u32_e32 vcc, 0, v94
	v_cndmask_b32_e32 v94, 12, v94, vcc
; %bb.235:
	s_andn2_saveexec_b64 s[0:1], s[0:1]
	s_cbranch_execz .LBB114_241
; %bb.236:
	v_cmp_ngt_f64_e64 s[18:19], |v[117:118]|, |v[119:120]|
	s_and_saveexec_b64 s[20:21], s[18:19]
	s_xor_b64 s[18:19], exec, s[20:21]
	s_cbranch_execz .LBB114_238
; %bb.237:
	v_div_scale_f64 v[90:91], s[20:21], v[119:120], v[119:120], v[117:118]
	v_rcp_f64_e32 v[95:96], v[90:91]
	v_fma_f64 v[97:98], -v[90:91], v[95:96], 1.0
	v_fma_f64 v[95:96], v[95:96], v[97:98], v[95:96]
	v_div_scale_f64 v[97:98], vcc, v[117:118], v[119:120], v[117:118]
	v_fma_f64 v[99:100], -v[90:91], v[95:96], 1.0
	v_fma_f64 v[95:96], v[95:96], v[99:100], v[95:96]
	v_mul_f64 v[99:100], v[97:98], v[95:96]
	v_fma_f64 v[90:91], -v[90:91], v[99:100], v[97:98]
	v_div_fmas_f64 v[90:91], v[90:91], v[95:96], v[99:100]
	v_div_fixup_f64 v[90:91], v[90:91], v[119:120], v[117:118]
	v_fma_f64 v[95:96], v[117:118], v[90:91], v[119:120]
	v_div_scale_f64 v[97:98], s[20:21], v[95:96], v[95:96], 1.0
	v_div_scale_f64 v[103:104], vcc, 1.0, v[95:96], 1.0
	v_rcp_f64_e32 v[99:100], v[97:98]
	v_fma_f64 v[101:102], -v[97:98], v[99:100], 1.0
	v_fma_f64 v[99:100], v[99:100], v[101:102], v[99:100]
	v_fma_f64 v[101:102], -v[97:98], v[99:100], 1.0
	v_fma_f64 v[99:100], v[99:100], v[101:102], v[99:100]
	v_mul_f64 v[101:102], v[103:104], v[99:100]
	v_fma_f64 v[97:98], -v[97:98], v[101:102], v[103:104]
	v_div_fmas_f64 v[97:98], v[97:98], v[99:100], v[101:102]
	v_div_fixup_f64 v[119:120], v[97:98], v[95:96], 1.0
	v_mul_f64 v[117:118], v[90:91], v[119:120]
	v_xor_b32_e32 v120, 0x80000000, v120
.LBB114_238:
	s_andn2_saveexec_b64 s[18:19], s[18:19]
	s_cbranch_execz .LBB114_240
; %bb.239:
	v_div_scale_f64 v[90:91], s[20:21], v[117:118], v[117:118], v[119:120]
	v_rcp_f64_e32 v[95:96], v[90:91]
	v_fma_f64 v[97:98], -v[90:91], v[95:96], 1.0
	v_fma_f64 v[95:96], v[95:96], v[97:98], v[95:96]
	v_div_scale_f64 v[97:98], vcc, v[119:120], v[117:118], v[119:120]
	v_fma_f64 v[99:100], -v[90:91], v[95:96], 1.0
	v_fma_f64 v[95:96], v[95:96], v[99:100], v[95:96]
	v_mul_f64 v[99:100], v[97:98], v[95:96]
	v_fma_f64 v[90:91], -v[90:91], v[99:100], v[97:98]
	v_div_fmas_f64 v[90:91], v[90:91], v[95:96], v[99:100]
	v_div_fixup_f64 v[90:91], v[90:91], v[117:118], v[119:120]
	v_fma_f64 v[95:96], v[119:120], v[90:91], v[117:118]
	v_div_scale_f64 v[97:98], s[20:21], v[95:96], v[95:96], 1.0
	v_div_scale_f64 v[103:104], vcc, 1.0, v[95:96], 1.0
	v_rcp_f64_e32 v[99:100], v[97:98]
	v_fma_f64 v[101:102], -v[97:98], v[99:100], 1.0
	v_fma_f64 v[99:100], v[99:100], v[101:102], v[99:100]
	v_fma_f64 v[101:102], -v[97:98], v[99:100], 1.0
	v_fma_f64 v[99:100], v[99:100], v[101:102], v[99:100]
	v_mul_f64 v[101:102], v[103:104], v[99:100]
	v_fma_f64 v[97:98], -v[97:98], v[101:102], v[103:104]
	v_div_fmas_f64 v[97:98], v[97:98], v[99:100], v[101:102]
	v_div_fixup_f64 v[117:118], v[97:98], v[95:96], 1.0
	v_mul_f64 v[119:120], v[90:91], -v[117:118]
.LBB114_240:
	s_or_b64 exec, exec, s[18:19]
.LBB114_241:
	s_or_b64 exec, exec, s[0:1]
	v_cmp_ne_u32_e32 vcc, v93, v89
	s_and_saveexec_b64 s[0:1], vcc
	s_xor_b64 s[0:1], exec, s[0:1]
	s_cbranch_execz .LBB114_247
; %bb.242:
	v_cmp_eq_u32_e32 vcc, 11, v93
	s_and_saveexec_b64 s[18:19], vcc
	s_cbranch_execz .LBB114_246
; %bb.243:
	v_cmp_ne_u32_e32 vcc, 11, v89
	s_xor_b64 s[20:21], s[6:7], -1
	s_and_b64 s[22:23], s[20:21], vcc
	s_and_saveexec_b64 s[20:21], s[22:23]
	s_cbranch_execz .LBB114_245
; %bb.244:
	v_mov_b32_e32 v77, v81
	v_mov_b32_e32 v78, v82
	;; [unrolled: 1-line block ×4, first 2 shown]
	buffer_load_dword v81, off, s[24:27], 0 offset:480 ; 4-byte Folded Reload
	buffer_load_dword v82, off, s[24:27], 0 offset:484 ; 4-byte Folded Reload
	v_ashrrev_i32_e32 v90, 31, v89
	v_lshlrev_b64 v[90:91], 2, v[89:90]
	s_waitcnt vmcnt(1)
	v_add_co_u32_e32 v90, vcc, v81, v90
	s_waitcnt vmcnt(0)
	v_addc_co_u32_e32 v91, vcc, v82, v91, vcc
	global_load_dword v92, v[90:91], off
	global_load_dword v93, v[81:82], off offset:44
	s_waitcnt vmcnt(1)
	global_store_dword v[81:82], v92, off offset:44
	v_mov_b32_e32 v84, v80
	v_mov_b32_e32 v83, v79
	;; [unrolled: 1-line block ×4, first 2 shown]
	s_waitcnt vmcnt(1)
	global_store_dword v[90:91], v93, off
.LBB114_245:
	s_or_b64 exec, exec, s[20:21]
	v_mov_b32_e32 v93, v89
	v_mov_b32_e32 v127, v89
.LBB114_246:
	s_or_b64 exec, exec, s[18:19]
.LBB114_247:
	s_andn2_saveexec_b64 s[0:1], s[0:1]
	s_cbranch_execz .LBB114_249
; %bb.248:
	buffer_load_dword v77, off, s[24:27], 0 offset:336 ; 4-byte Folded Reload
	buffer_load_dword v78, off, s[24:27], 0 offset:340 ; 4-byte Folded Reload
	;; [unrolled: 1-line block ×4, first 2 shown]
	v_mov_b32_e32 v93, 11
	s_waitcnt vmcnt(0)
	ds_write2_b64 v0, v[77:78], v[79:80] offset0:24 offset1:25
	buffer_load_dword v77, off, s[24:27], 0 offset:320 ; 4-byte Folded Reload
	buffer_load_dword v78, off, s[24:27], 0 offset:324 ; 4-byte Folded Reload
	buffer_load_dword v79, off, s[24:27], 0 offset:328 ; 4-byte Folded Reload
	buffer_load_dword v80, off, s[24:27], 0 offset:332 ; 4-byte Folded Reload
	s_waitcnt vmcnt(0)
	ds_write2_b64 v0, v[77:78], v[79:80] offset0:26 offset1:27
	buffer_load_dword v77, off, s[24:27], 0 offset:304 ; 4-byte Folded Reload
	buffer_load_dword v78, off, s[24:27], 0 offset:308 ; 4-byte Folded Reload
	buffer_load_dword v79, off, s[24:27], 0 offset:312 ; 4-byte Folded Reload
	buffer_load_dword v80, off, s[24:27], 0 offset:316 ; 4-byte Folded Reload
	;; [unrolled: 6-line block ×20, first 2 shown]
	s_waitcnt vmcnt(0)
	ds_write2_b64 v0, v[77:78], v[79:80] offset0:64 offset1:65
	ds_write2_b64 v0, v[81:82], v[83:84] offset0:66 offset1:67
	;; [unrolled: 1-line block ×5, first 2 shown]
	buffer_load_dword v77, off, s[24:27], 0 ; 4-byte Folded Reload
	buffer_load_dword v78, off, s[24:27], 0 offset:4 ; 4-byte Folded Reload
	buffer_load_dword v79, off, s[24:27], 0 offset:8 ; 4-byte Folded Reload
	;; [unrolled: 1-line block ×3, first 2 shown]
	s_waitcnt vmcnt(0)
	ds_write2_b64 v0, v[77:78], v[79:80] offset0:74 offset1:75
	ds_write2_b64 v0, v[73:74], v[75:76] offset0:76 offset1:77
	;; [unrolled: 1-line block ×21, first 2 shown]
.LBB114_249:
	s_or_b64 exec, exec, s[0:1]
	v_cmp_lt_i32_e32 vcc, 11, v93
	s_waitcnt vmcnt(0) lgkmcnt(0)
	s_barrier
	s_and_saveexec_b64 s[0:1], vcc
	s_cbranch_execz .LBB114_251
; %bb.250:
	buffer_load_dword v97, off, s[24:27], 0 offset:352 ; 4-byte Folded Reload
	buffer_load_dword v98, off, s[24:27], 0 offset:356 ; 4-byte Folded Reload
	buffer_load_dword v99, off, s[24:27], 0 offset:360 ; 4-byte Folded Reload
	buffer_load_dword v100, off, s[24:27], 0 offset:364 ; 4-byte Folded Reload
	s_waitcnt vmcnt(0)
	v_mul_f64 v[89:90], v[119:120], v[99:100]
	v_fma_f64 v[125:126], v[117:118], v[97:98], -v[89:90]
	v_mul_f64 v[89:90], v[117:118], v[99:100]
	v_fma_f64 v[99:100], v[119:120], v[97:98], v[89:90]
	ds_read2_b64 v[89:92], v0 offset0:24 offset1:25
	buffer_load_dword v77, off, s[24:27], 0 offset:336 ; 4-byte Folded Reload
	buffer_load_dword v78, off, s[24:27], 0 offset:340 ; 4-byte Folded Reload
	buffer_load_dword v79, off, s[24:27], 0 offset:344 ; 4-byte Folded Reload
	buffer_load_dword v80, off, s[24:27], 0 offset:348 ; 4-byte Folded Reload
	s_waitcnt lgkmcnt(0)
	v_mul_f64 v[95:96], v[91:92], v[99:100]
	v_fma_f64 v[95:96], v[89:90], v[125:126], -v[95:96]
	v_mul_f64 v[89:90], v[89:90], v[99:100]
	v_fma_f64 v[89:90], v[91:92], v[125:126], v[89:90]
	s_waitcnt vmcnt(2)
	v_add_f64 v[77:78], v[77:78], -v[95:96]
	s_waitcnt vmcnt(0)
	v_add_f64 v[79:80], v[79:80], -v[89:90]
	buffer_store_dword v77, off, s[24:27], 0 offset:336 ; 4-byte Folded Spill
	s_nop 0
	buffer_store_dword v78, off, s[24:27], 0 offset:340 ; 4-byte Folded Spill
	buffer_store_dword v79, off, s[24:27], 0 offset:344 ; 4-byte Folded Spill
	buffer_store_dword v80, off, s[24:27], 0 offset:348 ; 4-byte Folded Spill
	ds_read2_b64 v[89:92], v0 offset0:26 offset1:27
	buffer_load_dword v77, off, s[24:27], 0 offset:320 ; 4-byte Folded Reload
	buffer_load_dword v78, off, s[24:27], 0 offset:324 ; 4-byte Folded Reload
	buffer_load_dword v79, off, s[24:27], 0 offset:328 ; 4-byte Folded Reload
	buffer_load_dword v80, off, s[24:27], 0 offset:332 ; 4-byte Folded Reload
	s_waitcnt lgkmcnt(0)
	v_mul_f64 v[95:96], v[91:92], v[99:100]
	v_fma_f64 v[95:96], v[89:90], v[125:126], -v[95:96]
	v_mul_f64 v[89:90], v[89:90], v[99:100]
	v_fma_f64 v[89:90], v[91:92], v[125:126], v[89:90]
	s_waitcnt vmcnt(2)
	v_add_f64 v[77:78], v[77:78], -v[95:96]
	s_waitcnt vmcnt(0)
	v_add_f64 v[79:80], v[79:80], -v[89:90]
	buffer_store_dword v77, off, s[24:27], 0 offset:320 ; 4-byte Folded Spill
	s_nop 0
	buffer_store_dword v78, off, s[24:27], 0 offset:324 ; 4-byte Folded Spill
	buffer_store_dword v79, off, s[24:27], 0 offset:328 ; 4-byte Folded Spill
	buffer_store_dword v80, off, s[24:27], 0 offset:332 ; 4-byte Folded Spill
	;; [unrolled: 19-line block ×21, first 2 shown]
	ds_read2_b64 v[89:92], v0 offset0:66 offset1:67
	s_waitcnt lgkmcnt(0)
	v_mul_f64 v[95:96], v[91:92], v[99:100]
	v_fma_f64 v[95:96], v[89:90], v[125:126], -v[95:96]
	v_mul_f64 v[89:90], v[89:90], v[99:100]
	v_add_f64 v[81:82], v[81:82], -v[95:96]
	v_fma_f64 v[89:90], v[91:92], v[125:126], v[89:90]
	v_add_f64 v[83:84], v[83:84], -v[89:90]
	ds_read2_b64 v[89:92], v0 offset0:68 offset1:69
	s_waitcnt lgkmcnt(0)
	v_mul_f64 v[95:96], v[91:92], v[99:100]
	v_fma_f64 v[95:96], v[89:90], v[125:126], -v[95:96]
	v_mul_f64 v[89:90], v[89:90], v[99:100]
	v_add_f64 v[85:86], v[85:86], -v[95:96]
	v_fma_f64 v[89:90], v[91:92], v[125:126], v[89:90]
	v_add_f64 v[87:88], v[87:88], -v[89:90]
	;; [unrolled: 8-line block ×4, first 2 shown]
	ds_read2_b64 v[89:92], v0 offset0:74 offset1:75
	buffer_load_dword v77, off, s[24:27], 0 ; 4-byte Folded Reload
	buffer_load_dword v78, off, s[24:27], 0 offset:4 ; 4-byte Folded Reload
	buffer_load_dword v79, off, s[24:27], 0 offset:8 ; 4-byte Folded Reload
	buffer_load_dword v80, off, s[24:27], 0 offset:12 ; 4-byte Folded Reload
	s_waitcnt lgkmcnt(0)
	v_mul_f64 v[95:96], v[91:92], v[99:100]
	v_fma_f64 v[95:96], v[89:90], v[125:126], -v[95:96]
	v_mul_f64 v[89:90], v[89:90], v[99:100]
	v_fma_f64 v[89:90], v[91:92], v[125:126], v[89:90]
	s_waitcnt vmcnt(2)
	v_add_f64 v[77:78], v[77:78], -v[95:96]
	s_waitcnt vmcnt(0)
	v_add_f64 v[79:80], v[79:80], -v[89:90]
	buffer_store_dword v77, off, s[24:27], 0 ; 4-byte Folded Spill
	s_nop 0
	buffer_store_dword v78, off, s[24:27], 0 offset:4 ; 4-byte Folded Spill
	buffer_store_dword v79, off, s[24:27], 0 offset:8 ; 4-byte Folded Spill
	;; [unrolled: 1-line block ×3, first 2 shown]
	ds_read2_b64 v[89:92], v0 offset0:76 offset1:77
	s_waitcnt lgkmcnt(0)
	v_mul_f64 v[95:96], v[91:92], v[99:100]
	v_fma_f64 v[95:96], v[89:90], v[125:126], -v[95:96]
	v_mul_f64 v[89:90], v[89:90], v[99:100]
	v_add_f64 v[73:74], v[73:74], -v[95:96]
	v_fma_f64 v[89:90], v[91:92], v[125:126], v[89:90]
	v_add_f64 v[75:76], v[75:76], -v[89:90]
	ds_read2_b64 v[89:92], v0 offset0:78 offset1:79
	s_waitcnt lgkmcnt(0)
	v_mul_f64 v[95:96], v[91:92], v[99:100]
	v_fma_f64 v[95:96], v[89:90], v[125:126], -v[95:96]
	v_mul_f64 v[89:90], v[89:90], v[99:100]
	v_add_f64 v[69:70], v[69:70], -v[95:96]
	v_fma_f64 v[89:90], v[91:92], v[125:126], v[89:90]
	v_add_f64 v[71:72], v[71:72], -v[89:90]
	;; [unrolled: 8-line block ×18, first 2 shown]
	ds_read2_b64 v[89:92], v0 offset0:112 offset1:113
	s_waitcnt lgkmcnt(0)
	v_mul_f64 v[95:96], v[91:92], v[99:100]
	v_fma_f64 v[95:96], v[89:90], v[125:126], -v[95:96]
	v_mul_f64 v[89:90], v[89:90], v[99:100]
	v_add_f64 v[1:2], v[1:2], -v[95:96]
	v_fma_f64 v[89:90], v[91:92], v[125:126], v[89:90]
	ds_read2_b64 v[95:98], v0 offset0:114 offset1:115
	s_waitcnt lgkmcnt(0)
	v_mul_f64 v[91:92], v[95:96], v[99:100]
	v_add_f64 v[3:4], v[3:4], -v[89:90]
	v_mul_f64 v[89:90], v[97:98], v[99:100]
	v_fma_f64 v[91:92], v[97:98], v[125:126], v[91:92]
	v_mov_b32_e32 v97, v125
	v_mov_b32_e32 v98, v126
	v_fma_f64 v[89:90], v[95:96], v[125:126], -v[89:90]
	buffer_store_dword v97, off, s[24:27], 0 offset:352 ; 4-byte Folded Spill
	s_nop 0
	buffer_store_dword v98, off, s[24:27], 0 offset:356 ; 4-byte Folded Spill
	buffer_store_dword v99, off, s[24:27], 0 offset:360 ; 4-byte Folded Spill
	;; [unrolled: 1-line block ×3, first 2 shown]
	v_add_f64 v[123:124], v[123:124], -v[91:92]
	v_add_f64 v[121:122], v[121:122], -v[89:90]
.LBB114_251:
	s_or_b64 exec, exec, s[0:1]
	s_waitcnt vmcnt(0)
	s_barrier
	buffer_load_dword v77, off, s[24:27], 0 offset:336 ; 4-byte Folded Reload
	buffer_load_dword v78, off, s[24:27], 0 offset:340 ; 4-byte Folded Reload
	;; [unrolled: 1-line block ×4, first 2 shown]
	v_lshl_add_u32 v89, v93, 4, v0
	s_cmp_lt_i32 s3, 14
	s_waitcnt vmcnt(0)
	ds_write2_b64 v89, v[77:78], v[79:80] offset1:1
	s_waitcnt lgkmcnt(0)
	s_barrier
	ds_read2_b64 v[117:120], v0 offset0:24 offset1:25
	v_mov_b32_e32 v89, 12
	s_cbranch_scc1 .LBB114_254
; %bb.252:
	v_add_u32_e32 v90, 0xd0, v0
	s_mov_b32 s0, 13
	v_mov_b32_e32 v89, 12
.LBB114_253:                            ; =>This Inner Loop Header: Depth=1
	s_waitcnt lgkmcnt(0)
	v_cmp_gt_f64_e32 vcc, 0, v[117:118]
	v_xor_b32_e32 v91, 0x80000000, v118
	ds_read2_b64 v[95:98], v90 offset1:1
	v_xor_b32_e32 v99, 0x80000000, v120
	v_add_u32_e32 v90, 16, v90
	s_waitcnt lgkmcnt(0)
	v_xor_b32_e32 v101, 0x80000000, v98
	v_cndmask_b32_e32 v92, v118, v91, vcc
	v_cmp_gt_f64_e32 vcc, 0, v[119:120]
	v_mov_b32_e32 v91, v117
	v_cndmask_b32_e32 v100, v120, v99, vcc
	v_cmp_gt_f64_e32 vcc, 0, v[95:96]
	v_mov_b32_e32 v99, v119
	v_add_f64 v[91:92], v[91:92], v[99:100]
	v_xor_b32_e32 v99, 0x80000000, v96
	v_cndmask_b32_e32 v100, v96, v99, vcc
	v_cmp_gt_f64_e32 vcc, 0, v[97:98]
	v_mov_b32_e32 v99, v95
	v_cndmask_b32_e32 v102, v98, v101, vcc
	v_mov_b32_e32 v101, v97
	v_add_f64 v[99:100], v[99:100], v[101:102]
	v_cmp_lt_f64_e32 vcc, v[91:92], v[99:100]
	v_mov_b32_e32 v91, s0
	s_add_i32 s0, s0, 1
	s_cmp_lg_u32 s3, s0
	v_cndmask_b32_e32 v118, v118, v96, vcc
	v_cndmask_b32_e32 v117, v117, v95, vcc
	v_cndmask_b32_e32 v120, v120, v98, vcc
	v_cndmask_b32_e32 v119, v119, v97, vcc
	v_cndmask_b32_e32 v89, v89, v91, vcc
	s_cbranch_scc1 .LBB114_253
.LBB114_254:
	s_waitcnt lgkmcnt(0)
	v_cmp_eq_f64_e32 vcc, 0, v[117:118]
	v_cmp_eq_f64_e64 s[0:1], 0, v[119:120]
	s_and_b64 s[0:1], vcc, s[0:1]
	s_and_saveexec_b64 s[18:19], s[0:1]
	s_xor_b64 s[0:1], exec, s[18:19]
; %bb.255:
	v_cmp_ne_u32_e32 vcc, 0, v94
	v_cndmask_b32_e32 v94, 13, v94, vcc
; %bb.256:
	s_andn2_saveexec_b64 s[0:1], s[0:1]
	s_cbranch_execz .LBB114_262
; %bb.257:
	v_cmp_ngt_f64_e64 s[18:19], |v[117:118]|, |v[119:120]|
	s_and_saveexec_b64 s[20:21], s[18:19]
	s_xor_b64 s[18:19], exec, s[20:21]
	s_cbranch_execz .LBB114_259
; %bb.258:
	v_div_scale_f64 v[90:91], s[20:21], v[119:120], v[119:120], v[117:118]
	v_rcp_f64_e32 v[95:96], v[90:91]
	v_fma_f64 v[97:98], -v[90:91], v[95:96], 1.0
	v_fma_f64 v[95:96], v[95:96], v[97:98], v[95:96]
	v_div_scale_f64 v[97:98], vcc, v[117:118], v[119:120], v[117:118]
	v_fma_f64 v[99:100], -v[90:91], v[95:96], 1.0
	v_fma_f64 v[95:96], v[95:96], v[99:100], v[95:96]
	v_mul_f64 v[99:100], v[97:98], v[95:96]
	v_fma_f64 v[90:91], -v[90:91], v[99:100], v[97:98]
	v_div_fmas_f64 v[90:91], v[90:91], v[95:96], v[99:100]
	v_div_fixup_f64 v[90:91], v[90:91], v[119:120], v[117:118]
	v_fma_f64 v[95:96], v[117:118], v[90:91], v[119:120]
	v_div_scale_f64 v[97:98], s[20:21], v[95:96], v[95:96], 1.0
	v_div_scale_f64 v[103:104], vcc, 1.0, v[95:96], 1.0
	v_rcp_f64_e32 v[99:100], v[97:98]
	v_fma_f64 v[101:102], -v[97:98], v[99:100], 1.0
	v_fma_f64 v[99:100], v[99:100], v[101:102], v[99:100]
	v_fma_f64 v[101:102], -v[97:98], v[99:100], 1.0
	v_fma_f64 v[99:100], v[99:100], v[101:102], v[99:100]
	v_mul_f64 v[101:102], v[103:104], v[99:100]
	v_fma_f64 v[97:98], -v[97:98], v[101:102], v[103:104]
	v_div_fmas_f64 v[97:98], v[97:98], v[99:100], v[101:102]
	v_div_fixup_f64 v[119:120], v[97:98], v[95:96], 1.0
	v_mul_f64 v[117:118], v[90:91], v[119:120]
	v_xor_b32_e32 v120, 0x80000000, v120
.LBB114_259:
	s_andn2_saveexec_b64 s[18:19], s[18:19]
	s_cbranch_execz .LBB114_261
; %bb.260:
	v_div_scale_f64 v[90:91], s[20:21], v[117:118], v[117:118], v[119:120]
	v_rcp_f64_e32 v[95:96], v[90:91]
	v_fma_f64 v[97:98], -v[90:91], v[95:96], 1.0
	v_fma_f64 v[95:96], v[95:96], v[97:98], v[95:96]
	v_div_scale_f64 v[97:98], vcc, v[119:120], v[117:118], v[119:120]
	v_fma_f64 v[99:100], -v[90:91], v[95:96], 1.0
	v_fma_f64 v[95:96], v[95:96], v[99:100], v[95:96]
	v_mul_f64 v[99:100], v[97:98], v[95:96]
	v_fma_f64 v[90:91], -v[90:91], v[99:100], v[97:98]
	v_div_fmas_f64 v[90:91], v[90:91], v[95:96], v[99:100]
	v_div_fixup_f64 v[90:91], v[90:91], v[117:118], v[119:120]
	v_fma_f64 v[95:96], v[119:120], v[90:91], v[117:118]
	v_div_scale_f64 v[97:98], s[20:21], v[95:96], v[95:96], 1.0
	v_div_scale_f64 v[103:104], vcc, 1.0, v[95:96], 1.0
	v_rcp_f64_e32 v[99:100], v[97:98]
	v_fma_f64 v[101:102], -v[97:98], v[99:100], 1.0
	v_fma_f64 v[99:100], v[99:100], v[101:102], v[99:100]
	v_fma_f64 v[101:102], -v[97:98], v[99:100], 1.0
	v_fma_f64 v[99:100], v[99:100], v[101:102], v[99:100]
	v_mul_f64 v[101:102], v[103:104], v[99:100]
	v_fma_f64 v[97:98], -v[97:98], v[101:102], v[103:104]
	v_div_fmas_f64 v[97:98], v[97:98], v[99:100], v[101:102]
	v_div_fixup_f64 v[117:118], v[97:98], v[95:96], 1.0
	v_mul_f64 v[119:120], v[90:91], -v[117:118]
.LBB114_261:
	s_or_b64 exec, exec, s[18:19]
.LBB114_262:
	s_or_b64 exec, exec, s[0:1]
	v_cmp_ne_u32_e32 vcc, v93, v89
	s_and_saveexec_b64 s[0:1], vcc
	s_xor_b64 s[0:1], exec, s[0:1]
	s_cbranch_execz .LBB114_268
; %bb.263:
	v_cmp_eq_u32_e32 vcc, 12, v93
	s_and_saveexec_b64 s[18:19], vcc
	s_cbranch_execz .LBB114_267
; %bb.264:
	v_cmp_ne_u32_e32 vcc, 12, v89
	s_xor_b64 s[20:21], s[6:7], -1
	s_and_b64 s[22:23], s[20:21], vcc
	s_and_saveexec_b64 s[20:21], s[22:23]
	s_cbranch_execz .LBB114_266
; %bb.265:
	v_mov_b32_e32 v77, v81
	v_mov_b32_e32 v78, v82
	;; [unrolled: 1-line block ×4, first 2 shown]
	buffer_load_dword v81, off, s[24:27], 0 offset:480 ; 4-byte Folded Reload
	buffer_load_dword v82, off, s[24:27], 0 offset:484 ; 4-byte Folded Reload
	v_ashrrev_i32_e32 v90, 31, v89
	v_lshlrev_b64 v[90:91], 2, v[89:90]
	s_waitcnt vmcnt(1)
	v_add_co_u32_e32 v90, vcc, v81, v90
	s_waitcnt vmcnt(0)
	v_addc_co_u32_e32 v91, vcc, v82, v91, vcc
	global_load_dword v92, v[90:91], off
	global_load_dword v93, v[81:82], off offset:48
	s_waitcnt vmcnt(1)
	global_store_dword v[81:82], v92, off offset:48
	v_mov_b32_e32 v84, v80
	v_mov_b32_e32 v83, v79
	;; [unrolled: 1-line block ×4, first 2 shown]
	s_waitcnt vmcnt(1)
	global_store_dword v[90:91], v93, off
.LBB114_266:
	s_or_b64 exec, exec, s[20:21]
	v_mov_b32_e32 v93, v89
	v_mov_b32_e32 v127, v89
.LBB114_267:
	s_or_b64 exec, exec, s[18:19]
.LBB114_268:
	s_andn2_saveexec_b64 s[0:1], s[0:1]
	s_cbranch_execz .LBB114_270
; %bb.269:
	buffer_load_dword v77, off, s[24:27], 0 offset:320 ; 4-byte Folded Reload
	buffer_load_dword v78, off, s[24:27], 0 offset:324 ; 4-byte Folded Reload
	;; [unrolled: 1-line block ×4, first 2 shown]
	v_mov_b32_e32 v93, 12
	s_waitcnt vmcnt(0)
	ds_write2_b64 v0, v[77:78], v[79:80] offset0:26 offset1:27
	buffer_load_dword v77, off, s[24:27], 0 offset:304 ; 4-byte Folded Reload
	buffer_load_dword v78, off, s[24:27], 0 offset:308 ; 4-byte Folded Reload
	buffer_load_dword v79, off, s[24:27], 0 offset:312 ; 4-byte Folded Reload
	buffer_load_dword v80, off, s[24:27], 0 offset:316 ; 4-byte Folded Reload
	s_waitcnt vmcnt(0)
	ds_write2_b64 v0, v[77:78], v[79:80] offset0:28 offset1:29
	buffer_load_dword v77, off, s[24:27], 0 offset:288 ; 4-byte Folded Reload
	buffer_load_dword v78, off, s[24:27], 0 offset:292 ; 4-byte Folded Reload
	buffer_load_dword v79, off, s[24:27], 0 offset:296 ; 4-byte Folded Reload
	buffer_load_dword v80, off, s[24:27], 0 offset:300 ; 4-byte Folded Reload
	;; [unrolled: 6-line block ×19, first 2 shown]
	s_waitcnt vmcnt(0)
	ds_write2_b64 v0, v[77:78], v[79:80] offset0:64 offset1:65
	ds_write2_b64 v0, v[81:82], v[83:84] offset0:66 offset1:67
	;; [unrolled: 1-line block ×5, first 2 shown]
	buffer_load_dword v77, off, s[24:27], 0 ; 4-byte Folded Reload
	buffer_load_dword v78, off, s[24:27], 0 offset:4 ; 4-byte Folded Reload
	buffer_load_dword v79, off, s[24:27], 0 offset:8 ; 4-byte Folded Reload
	buffer_load_dword v80, off, s[24:27], 0 offset:12 ; 4-byte Folded Reload
	s_waitcnt vmcnt(0)
	ds_write2_b64 v0, v[77:78], v[79:80] offset0:74 offset1:75
	ds_write2_b64 v0, v[73:74], v[75:76] offset0:76 offset1:77
	;; [unrolled: 1-line block ×21, first 2 shown]
.LBB114_270:
	s_or_b64 exec, exec, s[0:1]
	v_cmp_lt_i32_e32 vcc, 12, v93
	s_waitcnt vmcnt(0) lgkmcnt(0)
	s_barrier
	s_and_saveexec_b64 s[0:1], vcc
	s_cbranch_execz .LBB114_272
; %bb.271:
	buffer_load_dword v97, off, s[24:27], 0 offset:336 ; 4-byte Folded Reload
	buffer_load_dword v98, off, s[24:27], 0 offset:340 ; 4-byte Folded Reload
	;; [unrolled: 1-line block ×4, first 2 shown]
	s_waitcnt vmcnt(0)
	v_mul_f64 v[89:90], v[119:120], v[99:100]
	v_fma_f64 v[125:126], v[117:118], v[97:98], -v[89:90]
	v_mul_f64 v[89:90], v[117:118], v[99:100]
	v_fma_f64 v[99:100], v[119:120], v[97:98], v[89:90]
	ds_read2_b64 v[89:92], v0 offset0:26 offset1:27
	buffer_load_dword v77, off, s[24:27], 0 offset:320 ; 4-byte Folded Reload
	buffer_load_dword v78, off, s[24:27], 0 offset:324 ; 4-byte Folded Reload
	buffer_load_dword v79, off, s[24:27], 0 offset:328 ; 4-byte Folded Reload
	buffer_load_dword v80, off, s[24:27], 0 offset:332 ; 4-byte Folded Reload
	s_waitcnt lgkmcnt(0)
	v_mul_f64 v[95:96], v[91:92], v[99:100]
	v_fma_f64 v[95:96], v[89:90], v[125:126], -v[95:96]
	v_mul_f64 v[89:90], v[89:90], v[99:100]
	v_fma_f64 v[89:90], v[91:92], v[125:126], v[89:90]
	s_waitcnt vmcnt(2)
	v_add_f64 v[77:78], v[77:78], -v[95:96]
	s_waitcnt vmcnt(0)
	v_add_f64 v[79:80], v[79:80], -v[89:90]
	buffer_store_dword v77, off, s[24:27], 0 offset:320 ; 4-byte Folded Spill
	s_nop 0
	buffer_store_dword v78, off, s[24:27], 0 offset:324 ; 4-byte Folded Spill
	buffer_store_dword v79, off, s[24:27], 0 offset:328 ; 4-byte Folded Spill
	buffer_store_dword v80, off, s[24:27], 0 offset:332 ; 4-byte Folded Spill
	ds_read2_b64 v[89:92], v0 offset0:28 offset1:29
	buffer_load_dword v77, off, s[24:27], 0 offset:304 ; 4-byte Folded Reload
	buffer_load_dword v78, off, s[24:27], 0 offset:308 ; 4-byte Folded Reload
	buffer_load_dword v79, off, s[24:27], 0 offset:312 ; 4-byte Folded Reload
	buffer_load_dword v80, off, s[24:27], 0 offset:316 ; 4-byte Folded Reload
	s_waitcnt lgkmcnt(0)
	v_mul_f64 v[95:96], v[91:92], v[99:100]
	v_fma_f64 v[95:96], v[89:90], v[125:126], -v[95:96]
	v_mul_f64 v[89:90], v[89:90], v[99:100]
	v_fma_f64 v[89:90], v[91:92], v[125:126], v[89:90]
	s_waitcnt vmcnt(2)
	v_add_f64 v[77:78], v[77:78], -v[95:96]
	s_waitcnt vmcnt(0)
	v_add_f64 v[79:80], v[79:80], -v[89:90]
	buffer_store_dword v77, off, s[24:27], 0 offset:304 ; 4-byte Folded Spill
	s_nop 0
	buffer_store_dword v78, off, s[24:27], 0 offset:308 ; 4-byte Folded Spill
	buffer_store_dword v79, off, s[24:27], 0 offset:312 ; 4-byte Folded Spill
	buffer_store_dword v80, off, s[24:27], 0 offset:316 ; 4-byte Folded Spill
	;; [unrolled: 19-line block ×20, first 2 shown]
	ds_read2_b64 v[89:92], v0 offset0:66 offset1:67
	s_waitcnt lgkmcnt(0)
	v_mul_f64 v[95:96], v[91:92], v[99:100]
	v_fma_f64 v[95:96], v[89:90], v[125:126], -v[95:96]
	v_mul_f64 v[89:90], v[89:90], v[99:100]
	v_add_f64 v[81:82], v[81:82], -v[95:96]
	v_fma_f64 v[89:90], v[91:92], v[125:126], v[89:90]
	v_add_f64 v[83:84], v[83:84], -v[89:90]
	ds_read2_b64 v[89:92], v0 offset0:68 offset1:69
	s_waitcnt lgkmcnt(0)
	v_mul_f64 v[95:96], v[91:92], v[99:100]
	v_fma_f64 v[95:96], v[89:90], v[125:126], -v[95:96]
	v_mul_f64 v[89:90], v[89:90], v[99:100]
	v_add_f64 v[85:86], v[85:86], -v[95:96]
	v_fma_f64 v[89:90], v[91:92], v[125:126], v[89:90]
	v_add_f64 v[87:88], v[87:88], -v[89:90]
	;; [unrolled: 8-line block ×4, first 2 shown]
	ds_read2_b64 v[89:92], v0 offset0:74 offset1:75
	buffer_load_dword v77, off, s[24:27], 0 ; 4-byte Folded Reload
	buffer_load_dword v78, off, s[24:27], 0 offset:4 ; 4-byte Folded Reload
	buffer_load_dword v79, off, s[24:27], 0 offset:8 ; 4-byte Folded Reload
	buffer_load_dword v80, off, s[24:27], 0 offset:12 ; 4-byte Folded Reload
	s_waitcnt lgkmcnt(0)
	v_mul_f64 v[95:96], v[91:92], v[99:100]
	v_fma_f64 v[95:96], v[89:90], v[125:126], -v[95:96]
	v_mul_f64 v[89:90], v[89:90], v[99:100]
	v_fma_f64 v[89:90], v[91:92], v[125:126], v[89:90]
	s_waitcnt vmcnt(2)
	v_add_f64 v[77:78], v[77:78], -v[95:96]
	s_waitcnt vmcnt(0)
	v_add_f64 v[79:80], v[79:80], -v[89:90]
	buffer_store_dword v77, off, s[24:27], 0 ; 4-byte Folded Spill
	s_nop 0
	buffer_store_dword v78, off, s[24:27], 0 offset:4 ; 4-byte Folded Spill
	buffer_store_dword v79, off, s[24:27], 0 offset:8 ; 4-byte Folded Spill
	;; [unrolled: 1-line block ×3, first 2 shown]
	ds_read2_b64 v[89:92], v0 offset0:76 offset1:77
	s_waitcnt lgkmcnt(0)
	v_mul_f64 v[95:96], v[91:92], v[99:100]
	v_fma_f64 v[95:96], v[89:90], v[125:126], -v[95:96]
	v_mul_f64 v[89:90], v[89:90], v[99:100]
	v_add_f64 v[73:74], v[73:74], -v[95:96]
	v_fma_f64 v[89:90], v[91:92], v[125:126], v[89:90]
	v_add_f64 v[75:76], v[75:76], -v[89:90]
	ds_read2_b64 v[89:92], v0 offset0:78 offset1:79
	s_waitcnt lgkmcnt(0)
	v_mul_f64 v[95:96], v[91:92], v[99:100]
	v_fma_f64 v[95:96], v[89:90], v[125:126], -v[95:96]
	v_mul_f64 v[89:90], v[89:90], v[99:100]
	v_add_f64 v[69:70], v[69:70], -v[95:96]
	v_fma_f64 v[89:90], v[91:92], v[125:126], v[89:90]
	v_add_f64 v[71:72], v[71:72], -v[89:90]
	;; [unrolled: 8-line block ×18, first 2 shown]
	ds_read2_b64 v[89:92], v0 offset0:112 offset1:113
	s_waitcnt lgkmcnt(0)
	v_mul_f64 v[95:96], v[91:92], v[99:100]
	v_fma_f64 v[95:96], v[89:90], v[125:126], -v[95:96]
	v_mul_f64 v[89:90], v[89:90], v[99:100]
	v_add_f64 v[1:2], v[1:2], -v[95:96]
	v_fma_f64 v[89:90], v[91:92], v[125:126], v[89:90]
	ds_read2_b64 v[95:98], v0 offset0:114 offset1:115
	s_waitcnt lgkmcnt(0)
	v_mul_f64 v[91:92], v[95:96], v[99:100]
	v_add_f64 v[3:4], v[3:4], -v[89:90]
	v_mul_f64 v[89:90], v[97:98], v[99:100]
	v_fma_f64 v[91:92], v[97:98], v[125:126], v[91:92]
	v_mov_b32_e32 v97, v125
	v_mov_b32_e32 v98, v126
	v_fma_f64 v[89:90], v[95:96], v[125:126], -v[89:90]
	buffer_store_dword v97, off, s[24:27], 0 offset:336 ; 4-byte Folded Spill
	s_nop 0
	buffer_store_dword v98, off, s[24:27], 0 offset:340 ; 4-byte Folded Spill
	buffer_store_dword v99, off, s[24:27], 0 offset:344 ; 4-byte Folded Spill
	buffer_store_dword v100, off, s[24:27], 0 offset:348 ; 4-byte Folded Spill
	v_add_f64 v[123:124], v[123:124], -v[91:92]
	v_add_f64 v[121:122], v[121:122], -v[89:90]
.LBB114_272:
	s_or_b64 exec, exec, s[0:1]
	s_waitcnt vmcnt(0)
	s_barrier
	buffer_load_dword v77, off, s[24:27], 0 offset:320 ; 4-byte Folded Reload
	buffer_load_dword v78, off, s[24:27], 0 offset:324 ; 4-byte Folded Reload
	;; [unrolled: 1-line block ×4, first 2 shown]
	v_lshl_add_u32 v89, v93, 4, v0
	s_cmp_lt_i32 s3, 15
	s_waitcnt vmcnt(0)
	ds_write2_b64 v89, v[77:78], v[79:80] offset1:1
	s_waitcnt lgkmcnt(0)
	s_barrier
	ds_read2_b64 v[117:120], v0 offset0:26 offset1:27
	v_mov_b32_e32 v89, 13
	s_cbranch_scc1 .LBB114_275
; %bb.273:
	v_add_u32_e32 v90, 0xe0, v0
	s_mov_b32 s0, 14
	v_mov_b32_e32 v89, 13
.LBB114_274:                            ; =>This Inner Loop Header: Depth=1
	s_waitcnt lgkmcnt(0)
	v_cmp_gt_f64_e32 vcc, 0, v[117:118]
	v_xor_b32_e32 v91, 0x80000000, v118
	ds_read2_b64 v[95:98], v90 offset1:1
	v_xor_b32_e32 v99, 0x80000000, v120
	v_add_u32_e32 v90, 16, v90
	s_waitcnt lgkmcnt(0)
	v_xor_b32_e32 v101, 0x80000000, v98
	v_cndmask_b32_e32 v92, v118, v91, vcc
	v_cmp_gt_f64_e32 vcc, 0, v[119:120]
	v_mov_b32_e32 v91, v117
	v_cndmask_b32_e32 v100, v120, v99, vcc
	v_cmp_gt_f64_e32 vcc, 0, v[95:96]
	v_mov_b32_e32 v99, v119
	v_add_f64 v[91:92], v[91:92], v[99:100]
	v_xor_b32_e32 v99, 0x80000000, v96
	v_cndmask_b32_e32 v100, v96, v99, vcc
	v_cmp_gt_f64_e32 vcc, 0, v[97:98]
	v_mov_b32_e32 v99, v95
	v_cndmask_b32_e32 v102, v98, v101, vcc
	v_mov_b32_e32 v101, v97
	v_add_f64 v[99:100], v[99:100], v[101:102]
	v_cmp_lt_f64_e32 vcc, v[91:92], v[99:100]
	v_mov_b32_e32 v91, s0
	s_add_i32 s0, s0, 1
	s_cmp_lg_u32 s3, s0
	v_cndmask_b32_e32 v118, v118, v96, vcc
	v_cndmask_b32_e32 v117, v117, v95, vcc
	v_cndmask_b32_e32 v120, v120, v98, vcc
	v_cndmask_b32_e32 v119, v119, v97, vcc
	v_cndmask_b32_e32 v89, v89, v91, vcc
	s_cbranch_scc1 .LBB114_274
.LBB114_275:
	s_waitcnt lgkmcnt(0)
	v_cmp_eq_f64_e32 vcc, 0, v[117:118]
	v_cmp_eq_f64_e64 s[0:1], 0, v[119:120]
	s_and_b64 s[0:1], vcc, s[0:1]
	s_and_saveexec_b64 s[18:19], s[0:1]
	s_xor_b64 s[0:1], exec, s[18:19]
; %bb.276:
	v_cmp_ne_u32_e32 vcc, 0, v94
	v_cndmask_b32_e32 v94, 14, v94, vcc
; %bb.277:
	s_andn2_saveexec_b64 s[0:1], s[0:1]
	s_cbranch_execz .LBB114_283
; %bb.278:
	v_cmp_ngt_f64_e64 s[18:19], |v[117:118]|, |v[119:120]|
	s_and_saveexec_b64 s[20:21], s[18:19]
	s_xor_b64 s[18:19], exec, s[20:21]
	s_cbranch_execz .LBB114_280
; %bb.279:
	v_div_scale_f64 v[90:91], s[20:21], v[119:120], v[119:120], v[117:118]
	v_rcp_f64_e32 v[95:96], v[90:91]
	v_fma_f64 v[97:98], -v[90:91], v[95:96], 1.0
	v_fma_f64 v[95:96], v[95:96], v[97:98], v[95:96]
	v_div_scale_f64 v[97:98], vcc, v[117:118], v[119:120], v[117:118]
	v_fma_f64 v[99:100], -v[90:91], v[95:96], 1.0
	v_fma_f64 v[95:96], v[95:96], v[99:100], v[95:96]
	v_mul_f64 v[99:100], v[97:98], v[95:96]
	v_fma_f64 v[90:91], -v[90:91], v[99:100], v[97:98]
	v_div_fmas_f64 v[90:91], v[90:91], v[95:96], v[99:100]
	v_div_fixup_f64 v[90:91], v[90:91], v[119:120], v[117:118]
	v_fma_f64 v[95:96], v[117:118], v[90:91], v[119:120]
	v_div_scale_f64 v[97:98], s[20:21], v[95:96], v[95:96], 1.0
	v_div_scale_f64 v[103:104], vcc, 1.0, v[95:96], 1.0
	v_rcp_f64_e32 v[99:100], v[97:98]
	v_fma_f64 v[101:102], -v[97:98], v[99:100], 1.0
	v_fma_f64 v[99:100], v[99:100], v[101:102], v[99:100]
	v_fma_f64 v[101:102], -v[97:98], v[99:100], 1.0
	v_fma_f64 v[99:100], v[99:100], v[101:102], v[99:100]
	v_mul_f64 v[101:102], v[103:104], v[99:100]
	v_fma_f64 v[97:98], -v[97:98], v[101:102], v[103:104]
	v_div_fmas_f64 v[97:98], v[97:98], v[99:100], v[101:102]
	v_div_fixup_f64 v[119:120], v[97:98], v[95:96], 1.0
	v_mul_f64 v[117:118], v[90:91], v[119:120]
	v_xor_b32_e32 v120, 0x80000000, v120
.LBB114_280:
	s_andn2_saveexec_b64 s[18:19], s[18:19]
	s_cbranch_execz .LBB114_282
; %bb.281:
	v_div_scale_f64 v[90:91], s[20:21], v[117:118], v[117:118], v[119:120]
	v_rcp_f64_e32 v[95:96], v[90:91]
	v_fma_f64 v[97:98], -v[90:91], v[95:96], 1.0
	v_fma_f64 v[95:96], v[95:96], v[97:98], v[95:96]
	v_div_scale_f64 v[97:98], vcc, v[119:120], v[117:118], v[119:120]
	v_fma_f64 v[99:100], -v[90:91], v[95:96], 1.0
	v_fma_f64 v[95:96], v[95:96], v[99:100], v[95:96]
	v_mul_f64 v[99:100], v[97:98], v[95:96]
	v_fma_f64 v[90:91], -v[90:91], v[99:100], v[97:98]
	v_div_fmas_f64 v[90:91], v[90:91], v[95:96], v[99:100]
	v_div_fixup_f64 v[90:91], v[90:91], v[117:118], v[119:120]
	v_fma_f64 v[95:96], v[119:120], v[90:91], v[117:118]
	v_div_scale_f64 v[97:98], s[20:21], v[95:96], v[95:96], 1.0
	v_div_scale_f64 v[103:104], vcc, 1.0, v[95:96], 1.0
	v_rcp_f64_e32 v[99:100], v[97:98]
	v_fma_f64 v[101:102], -v[97:98], v[99:100], 1.0
	v_fma_f64 v[99:100], v[99:100], v[101:102], v[99:100]
	v_fma_f64 v[101:102], -v[97:98], v[99:100], 1.0
	v_fma_f64 v[99:100], v[99:100], v[101:102], v[99:100]
	v_mul_f64 v[101:102], v[103:104], v[99:100]
	v_fma_f64 v[97:98], -v[97:98], v[101:102], v[103:104]
	v_div_fmas_f64 v[97:98], v[97:98], v[99:100], v[101:102]
	v_div_fixup_f64 v[117:118], v[97:98], v[95:96], 1.0
	v_mul_f64 v[119:120], v[90:91], -v[117:118]
.LBB114_282:
	s_or_b64 exec, exec, s[18:19]
.LBB114_283:
	s_or_b64 exec, exec, s[0:1]
	v_cmp_ne_u32_e32 vcc, v93, v89
	s_and_saveexec_b64 s[0:1], vcc
	s_xor_b64 s[0:1], exec, s[0:1]
	s_cbranch_execz .LBB114_289
; %bb.284:
	v_cmp_eq_u32_e32 vcc, 13, v93
	s_and_saveexec_b64 s[18:19], vcc
	s_cbranch_execz .LBB114_288
; %bb.285:
	v_cmp_ne_u32_e32 vcc, 13, v89
	s_xor_b64 s[20:21], s[6:7], -1
	s_and_b64 s[22:23], s[20:21], vcc
	s_and_saveexec_b64 s[20:21], s[22:23]
	s_cbranch_execz .LBB114_287
; %bb.286:
	v_mov_b32_e32 v77, v81
	v_mov_b32_e32 v78, v82
	;; [unrolled: 1-line block ×4, first 2 shown]
	buffer_load_dword v81, off, s[24:27], 0 offset:480 ; 4-byte Folded Reload
	buffer_load_dword v82, off, s[24:27], 0 offset:484 ; 4-byte Folded Reload
	v_ashrrev_i32_e32 v90, 31, v89
	v_lshlrev_b64 v[90:91], 2, v[89:90]
	s_waitcnt vmcnt(1)
	v_add_co_u32_e32 v90, vcc, v81, v90
	s_waitcnt vmcnt(0)
	v_addc_co_u32_e32 v91, vcc, v82, v91, vcc
	global_load_dword v92, v[90:91], off
	global_load_dword v93, v[81:82], off offset:52
	s_waitcnt vmcnt(1)
	global_store_dword v[81:82], v92, off offset:52
	v_mov_b32_e32 v84, v80
	v_mov_b32_e32 v83, v79
	;; [unrolled: 1-line block ×4, first 2 shown]
	s_waitcnt vmcnt(1)
	global_store_dword v[90:91], v93, off
.LBB114_287:
	s_or_b64 exec, exec, s[20:21]
	v_mov_b32_e32 v93, v89
	v_mov_b32_e32 v127, v89
.LBB114_288:
	s_or_b64 exec, exec, s[18:19]
.LBB114_289:
	s_andn2_saveexec_b64 s[0:1], s[0:1]
	s_cbranch_execz .LBB114_291
; %bb.290:
	buffer_load_dword v77, off, s[24:27], 0 offset:304 ; 4-byte Folded Reload
	buffer_load_dword v78, off, s[24:27], 0 offset:308 ; 4-byte Folded Reload
	;; [unrolled: 1-line block ×4, first 2 shown]
	v_mov_b32_e32 v93, 13
	s_waitcnt vmcnt(0)
	ds_write2_b64 v0, v[77:78], v[79:80] offset0:28 offset1:29
	buffer_load_dword v77, off, s[24:27], 0 offset:288 ; 4-byte Folded Reload
	buffer_load_dword v78, off, s[24:27], 0 offset:292 ; 4-byte Folded Reload
	buffer_load_dword v79, off, s[24:27], 0 offset:296 ; 4-byte Folded Reload
	buffer_load_dword v80, off, s[24:27], 0 offset:300 ; 4-byte Folded Reload
	s_waitcnt vmcnt(0)
	ds_write2_b64 v0, v[77:78], v[79:80] offset0:30 offset1:31
	buffer_load_dword v77, off, s[24:27], 0 offset:272 ; 4-byte Folded Reload
	buffer_load_dword v78, off, s[24:27], 0 offset:276 ; 4-byte Folded Reload
	buffer_load_dword v79, off, s[24:27], 0 offset:280 ; 4-byte Folded Reload
	buffer_load_dword v80, off, s[24:27], 0 offset:284 ; 4-byte Folded Reload
	s_waitcnt vmcnt(0)
	ds_write2_b64 v0, v[77:78], v[79:80] offset0:32 offset1:33
	buffer_load_dword v77, off, s[24:27], 0 offset:256 ; 4-byte Folded Reload
	buffer_load_dword v78, off, s[24:27], 0 offset:260 ; 4-byte Folded Reload
	buffer_load_dword v79, off, s[24:27], 0 offset:264 ; 4-byte Folded Reload
	buffer_load_dword v80, off, s[24:27], 0 offset:268 ; 4-byte Folded Reload
	s_waitcnt vmcnt(0)
	ds_write2_b64 v0, v[77:78], v[79:80] offset0:34 offset1:35
	buffer_load_dword v77, off, s[24:27], 0 offset:240 ; 4-byte Folded Reload
	buffer_load_dword v78, off, s[24:27], 0 offset:244 ; 4-byte Folded Reload
	buffer_load_dword v79, off, s[24:27], 0 offset:248 ; 4-byte Folded Reload
	buffer_load_dword v80, off, s[24:27], 0 offset:252 ; 4-byte Folded Reload
	s_waitcnt vmcnt(0)
	ds_write2_b64 v0, v[77:78], v[79:80] offset0:36 offset1:37
	buffer_load_dword v77, off, s[24:27], 0 offset:224 ; 4-byte Folded Reload
	buffer_load_dword v78, off, s[24:27], 0 offset:228 ; 4-byte Folded Reload
	buffer_load_dword v79, off, s[24:27], 0 offset:232 ; 4-byte Folded Reload
	buffer_load_dword v80, off, s[24:27], 0 offset:236 ; 4-byte Folded Reload
	s_waitcnt vmcnt(0)
	ds_write2_b64 v0, v[77:78], v[79:80] offset0:38 offset1:39
	buffer_load_dword v77, off, s[24:27], 0 offset:208 ; 4-byte Folded Reload
	buffer_load_dword v78, off, s[24:27], 0 offset:212 ; 4-byte Folded Reload
	buffer_load_dword v79, off, s[24:27], 0 offset:216 ; 4-byte Folded Reload
	buffer_load_dword v80, off, s[24:27], 0 offset:220 ; 4-byte Folded Reload
	s_waitcnt vmcnt(0)
	ds_write2_b64 v0, v[77:78], v[79:80] offset0:40 offset1:41
	buffer_load_dword v77, off, s[24:27], 0 offset:192 ; 4-byte Folded Reload
	buffer_load_dword v78, off, s[24:27], 0 offset:196 ; 4-byte Folded Reload
	buffer_load_dword v79, off, s[24:27], 0 offset:200 ; 4-byte Folded Reload
	buffer_load_dword v80, off, s[24:27], 0 offset:204 ; 4-byte Folded Reload
	s_waitcnt vmcnt(0)
	ds_write2_b64 v0, v[77:78], v[79:80] offset0:42 offset1:43
	buffer_load_dword v77, off, s[24:27], 0 offset:176 ; 4-byte Folded Reload
	buffer_load_dword v78, off, s[24:27], 0 offset:180 ; 4-byte Folded Reload
	buffer_load_dword v79, off, s[24:27], 0 offset:184 ; 4-byte Folded Reload
	buffer_load_dword v80, off, s[24:27], 0 offset:188 ; 4-byte Folded Reload
	s_waitcnt vmcnt(0)
	ds_write2_b64 v0, v[77:78], v[79:80] offset0:44 offset1:45
	buffer_load_dword v77, off, s[24:27], 0 offset:160 ; 4-byte Folded Reload
	buffer_load_dword v78, off, s[24:27], 0 offset:164 ; 4-byte Folded Reload
	buffer_load_dword v79, off, s[24:27], 0 offset:168 ; 4-byte Folded Reload
	buffer_load_dword v80, off, s[24:27], 0 offset:172 ; 4-byte Folded Reload
	s_waitcnt vmcnt(0)
	ds_write2_b64 v0, v[77:78], v[79:80] offset0:46 offset1:47
	buffer_load_dword v77, off, s[24:27], 0 offset:144 ; 4-byte Folded Reload
	buffer_load_dword v78, off, s[24:27], 0 offset:148 ; 4-byte Folded Reload
	buffer_load_dword v79, off, s[24:27], 0 offset:152 ; 4-byte Folded Reload
	buffer_load_dword v80, off, s[24:27], 0 offset:156 ; 4-byte Folded Reload
	s_waitcnt vmcnt(0)
	ds_write2_b64 v0, v[77:78], v[79:80] offset0:48 offset1:49
	buffer_load_dword v77, off, s[24:27], 0 offset:128 ; 4-byte Folded Reload
	buffer_load_dword v78, off, s[24:27], 0 offset:132 ; 4-byte Folded Reload
	buffer_load_dword v79, off, s[24:27], 0 offset:136 ; 4-byte Folded Reload
	buffer_load_dword v80, off, s[24:27], 0 offset:140 ; 4-byte Folded Reload
	s_waitcnt vmcnt(0)
	ds_write2_b64 v0, v[77:78], v[79:80] offset0:50 offset1:51
	buffer_load_dword v77, off, s[24:27], 0 offset:112 ; 4-byte Folded Reload
	buffer_load_dword v78, off, s[24:27], 0 offset:116 ; 4-byte Folded Reload
	buffer_load_dword v79, off, s[24:27], 0 offset:120 ; 4-byte Folded Reload
	buffer_load_dword v80, off, s[24:27], 0 offset:124 ; 4-byte Folded Reload
	s_waitcnt vmcnt(0)
	ds_write2_b64 v0, v[77:78], v[79:80] offset0:52 offset1:53
	buffer_load_dword v77, off, s[24:27], 0 offset:96 ; 4-byte Folded Reload
	buffer_load_dword v78, off, s[24:27], 0 offset:100 ; 4-byte Folded Reload
	buffer_load_dword v79, off, s[24:27], 0 offset:104 ; 4-byte Folded Reload
	buffer_load_dword v80, off, s[24:27], 0 offset:108 ; 4-byte Folded Reload
	s_waitcnt vmcnt(0)
	ds_write2_b64 v0, v[77:78], v[79:80] offset0:54 offset1:55
	buffer_load_dword v77, off, s[24:27], 0 offset:80 ; 4-byte Folded Reload
	buffer_load_dword v78, off, s[24:27], 0 offset:84 ; 4-byte Folded Reload
	buffer_load_dword v79, off, s[24:27], 0 offset:88 ; 4-byte Folded Reload
	buffer_load_dword v80, off, s[24:27], 0 offset:92 ; 4-byte Folded Reload
	s_waitcnt vmcnt(0)
	ds_write2_b64 v0, v[77:78], v[79:80] offset0:56 offset1:57
	buffer_load_dword v77, off, s[24:27], 0 offset:64 ; 4-byte Folded Reload
	buffer_load_dword v78, off, s[24:27], 0 offset:68 ; 4-byte Folded Reload
	buffer_load_dword v79, off, s[24:27], 0 offset:72 ; 4-byte Folded Reload
	buffer_load_dword v80, off, s[24:27], 0 offset:76 ; 4-byte Folded Reload
	s_waitcnt vmcnt(0)
	ds_write2_b64 v0, v[77:78], v[79:80] offset0:58 offset1:59
	buffer_load_dword v77, off, s[24:27], 0 offset:48 ; 4-byte Folded Reload
	buffer_load_dword v78, off, s[24:27], 0 offset:52 ; 4-byte Folded Reload
	buffer_load_dword v79, off, s[24:27], 0 offset:56 ; 4-byte Folded Reload
	buffer_load_dword v80, off, s[24:27], 0 offset:60 ; 4-byte Folded Reload
	s_waitcnt vmcnt(0)
	ds_write2_b64 v0, v[77:78], v[79:80] offset0:60 offset1:61
	buffer_load_dword v77, off, s[24:27], 0 offset:32 ; 4-byte Folded Reload
	buffer_load_dword v78, off, s[24:27], 0 offset:36 ; 4-byte Folded Reload
	buffer_load_dword v79, off, s[24:27], 0 offset:40 ; 4-byte Folded Reload
	buffer_load_dword v80, off, s[24:27], 0 offset:44 ; 4-byte Folded Reload
	s_waitcnt vmcnt(0)
	ds_write2_b64 v0, v[77:78], v[79:80] offset0:62 offset1:63
	buffer_load_dword v77, off, s[24:27], 0 offset:16 ; 4-byte Folded Reload
	buffer_load_dword v78, off, s[24:27], 0 offset:20 ; 4-byte Folded Reload
	buffer_load_dword v79, off, s[24:27], 0 offset:24 ; 4-byte Folded Reload
	buffer_load_dword v80, off, s[24:27], 0 offset:28 ; 4-byte Folded Reload
	s_waitcnt vmcnt(0)
	ds_write2_b64 v0, v[77:78], v[79:80] offset0:64 offset1:65
	ds_write2_b64 v0, v[81:82], v[83:84] offset0:66 offset1:67
	;; [unrolled: 1-line block ×5, first 2 shown]
	buffer_load_dword v77, off, s[24:27], 0 ; 4-byte Folded Reload
	buffer_load_dword v78, off, s[24:27], 0 offset:4 ; 4-byte Folded Reload
	buffer_load_dword v79, off, s[24:27], 0 offset:8 ; 4-byte Folded Reload
	;; [unrolled: 1-line block ×3, first 2 shown]
	s_waitcnt vmcnt(0)
	ds_write2_b64 v0, v[77:78], v[79:80] offset0:74 offset1:75
	ds_write2_b64 v0, v[73:74], v[75:76] offset0:76 offset1:77
	;; [unrolled: 1-line block ×21, first 2 shown]
.LBB114_291:
	s_or_b64 exec, exec, s[0:1]
	v_cmp_lt_i32_e32 vcc, 13, v93
	s_waitcnt vmcnt(0) lgkmcnt(0)
	s_barrier
	s_and_saveexec_b64 s[0:1], vcc
	s_cbranch_execz .LBB114_293
; %bb.292:
	buffer_load_dword v97, off, s[24:27], 0 offset:320 ; 4-byte Folded Reload
	buffer_load_dword v98, off, s[24:27], 0 offset:324 ; 4-byte Folded Reload
	;; [unrolled: 1-line block ×4, first 2 shown]
	s_waitcnt vmcnt(0)
	v_mul_f64 v[89:90], v[119:120], v[99:100]
	v_fma_f64 v[125:126], v[117:118], v[97:98], -v[89:90]
	v_mul_f64 v[89:90], v[117:118], v[99:100]
	v_fma_f64 v[99:100], v[119:120], v[97:98], v[89:90]
	ds_read2_b64 v[89:92], v0 offset0:28 offset1:29
	buffer_load_dword v77, off, s[24:27], 0 offset:304 ; 4-byte Folded Reload
	buffer_load_dword v78, off, s[24:27], 0 offset:308 ; 4-byte Folded Reload
	buffer_load_dword v79, off, s[24:27], 0 offset:312 ; 4-byte Folded Reload
	buffer_load_dword v80, off, s[24:27], 0 offset:316 ; 4-byte Folded Reload
	s_waitcnt lgkmcnt(0)
	v_mul_f64 v[95:96], v[91:92], v[99:100]
	v_fma_f64 v[95:96], v[89:90], v[125:126], -v[95:96]
	v_mul_f64 v[89:90], v[89:90], v[99:100]
	v_fma_f64 v[89:90], v[91:92], v[125:126], v[89:90]
	s_waitcnt vmcnt(2)
	v_add_f64 v[77:78], v[77:78], -v[95:96]
	s_waitcnt vmcnt(0)
	v_add_f64 v[79:80], v[79:80], -v[89:90]
	buffer_store_dword v77, off, s[24:27], 0 offset:304 ; 4-byte Folded Spill
	s_nop 0
	buffer_store_dword v78, off, s[24:27], 0 offset:308 ; 4-byte Folded Spill
	buffer_store_dword v79, off, s[24:27], 0 offset:312 ; 4-byte Folded Spill
	buffer_store_dword v80, off, s[24:27], 0 offset:316 ; 4-byte Folded Spill
	ds_read2_b64 v[89:92], v0 offset0:30 offset1:31
	buffer_load_dword v77, off, s[24:27], 0 offset:288 ; 4-byte Folded Reload
	buffer_load_dword v78, off, s[24:27], 0 offset:292 ; 4-byte Folded Reload
	buffer_load_dword v79, off, s[24:27], 0 offset:296 ; 4-byte Folded Reload
	buffer_load_dword v80, off, s[24:27], 0 offset:300 ; 4-byte Folded Reload
	s_waitcnt lgkmcnt(0)
	v_mul_f64 v[95:96], v[91:92], v[99:100]
	v_fma_f64 v[95:96], v[89:90], v[125:126], -v[95:96]
	v_mul_f64 v[89:90], v[89:90], v[99:100]
	v_fma_f64 v[89:90], v[91:92], v[125:126], v[89:90]
	s_waitcnt vmcnt(2)
	v_add_f64 v[77:78], v[77:78], -v[95:96]
	s_waitcnt vmcnt(0)
	v_add_f64 v[79:80], v[79:80], -v[89:90]
	buffer_store_dword v77, off, s[24:27], 0 offset:288 ; 4-byte Folded Spill
	s_nop 0
	buffer_store_dword v78, off, s[24:27], 0 offset:292 ; 4-byte Folded Spill
	buffer_store_dword v79, off, s[24:27], 0 offset:296 ; 4-byte Folded Spill
	buffer_store_dword v80, off, s[24:27], 0 offset:300 ; 4-byte Folded Spill
	;; [unrolled: 19-line block ×19, first 2 shown]
	ds_read2_b64 v[89:92], v0 offset0:66 offset1:67
	s_waitcnt lgkmcnt(0)
	v_mul_f64 v[95:96], v[91:92], v[99:100]
	v_fma_f64 v[95:96], v[89:90], v[125:126], -v[95:96]
	v_mul_f64 v[89:90], v[89:90], v[99:100]
	v_add_f64 v[81:82], v[81:82], -v[95:96]
	v_fma_f64 v[89:90], v[91:92], v[125:126], v[89:90]
	v_add_f64 v[83:84], v[83:84], -v[89:90]
	ds_read2_b64 v[89:92], v0 offset0:68 offset1:69
	s_waitcnt lgkmcnt(0)
	v_mul_f64 v[95:96], v[91:92], v[99:100]
	v_fma_f64 v[95:96], v[89:90], v[125:126], -v[95:96]
	v_mul_f64 v[89:90], v[89:90], v[99:100]
	v_add_f64 v[85:86], v[85:86], -v[95:96]
	v_fma_f64 v[89:90], v[91:92], v[125:126], v[89:90]
	v_add_f64 v[87:88], v[87:88], -v[89:90]
	;; [unrolled: 8-line block ×4, first 2 shown]
	ds_read2_b64 v[89:92], v0 offset0:74 offset1:75
	buffer_load_dword v77, off, s[24:27], 0 ; 4-byte Folded Reload
	buffer_load_dword v78, off, s[24:27], 0 offset:4 ; 4-byte Folded Reload
	buffer_load_dword v79, off, s[24:27], 0 offset:8 ; 4-byte Folded Reload
	;; [unrolled: 1-line block ×3, first 2 shown]
	s_waitcnt lgkmcnt(0)
	v_mul_f64 v[95:96], v[91:92], v[99:100]
	v_fma_f64 v[95:96], v[89:90], v[125:126], -v[95:96]
	v_mul_f64 v[89:90], v[89:90], v[99:100]
	v_fma_f64 v[89:90], v[91:92], v[125:126], v[89:90]
	s_waitcnt vmcnt(2)
	v_add_f64 v[77:78], v[77:78], -v[95:96]
	s_waitcnt vmcnt(0)
	v_add_f64 v[79:80], v[79:80], -v[89:90]
	buffer_store_dword v77, off, s[24:27], 0 ; 4-byte Folded Spill
	s_nop 0
	buffer_store_dword v78, off, s[24:27], 0 offset:4 ; 4-byte Folded Spill
	buffer_store_dword v79, off, s[24:27], 0 offset:8 ; 4-byte Folded Spill
	;; [unrolled: 1-line block ×3, first 2 shown]
	ds_read2_b64 v[89:92], v0 offset0:76 offset1:77
	s_waitcnt lgkmcnt(0)
	v_mul_f64 v[95:96], v[91:92], v[99:100]
	v_fma_f64 v[95:96], v[89:90], v[125:126], -v[95:96]
	v_mul_f64 v[89:90], v[89:90], v[99:100]
	v_add_f64 v[73:74], v[73:74], -v[95:96]
	v_fma_f64 v[89:90], v[91:92], v[125:126], v[89:90]
	v_add_f64 v[75:76], v[75:76], -v[89:90]
	ds_read2_b64 v[89:92], v0 offset0:78 offset1:79
	s_waitcnt lgkmcnt(0)
	v_mul_f64 v[95:96], v[91:92], v[99:100]
	v_fma_f64 v[95:96], v[89:90], v[125:126], -v[95:96]
	v_mul_f64 v[89:90], v[89:90], v[99:100]
	v_add_f64 v[69:70], v[69:70], -v[95:96]
	v_fma_f64 v[89:90], v[91:92], v[125:126], v[89:90]
	v_add_f64 v[71:72], v[71:72], -v[89:90]
	;; [unrolled: 8-line block ×18, first 2 shown]
	ds_read2_b64 v[89:92], v0 offset0:112 offset1:113
	s_waitcnt lgkmcnt(0)
	v_mul_f64 v[95:96], v[91:92], v[99:100]
	v_fma_f64 v[95:96], v[89:90], v[125:126], -v[95:96]
	v_mul_f64 v[89:90], v[89:90], v[99:100]
	v_add_f64 v[1:2], v[1:2], -v[95:96]
	v_fma_f64 v[89:90], v[91:92], v[125:126], v[89:90]
	ds_read2_b64 v[95:98], v0 offset0:114 offset1:115
	s_waitcnt lgkmcnt(0)
	v_mul_f64 v[91:92], v[95:96], v[99:100]
	v_add_f64 v[3:4], v[3:4], -v[89:90]
	v_mul_f64 v[89:90], v[97:98], v[99:100]
	v_fma_f64 v[91:92], v[97:98], v[125:126], v[91:92]
	v_mov_b32_e32 v97, v125
	v_mov_b32_e32 v98, v126
	v_fma_f64 v[89:90], v[95:96], v[125:126], -v[89:90]
	buffer_store_dword v97, off, s[24:27], 0 offset:320 ; 4-byte Folded Spill
	s_nop 0
	buffer_store_dword v98, off, s[24:27], 0 offset:324 ; 4-byte Folded Spill
	buffer_store_dword v99, off, s[24:27], 0 offset:328 ; 4-byte Folded Spill
	;; [unrolled: 1-line block ×3, first 2 shown]
	v_add_f64 v[123:124], v[123:124], -v[91:92]
	v_add_f64 v[121:122], v[121:122], -v[89:90]
.LBB114_293:
	s_or_b64 exec, exec, s[0:1]
	s_waitcnt vmcnt(0)
	s_barrier
	buffer_load_dword v77, off, s[24:27], 0 offset:304 ; 4-byte Folded Reload
	buffer_load_dword v78, off, s[24:27], 0 offset:308 ; 4-byte Folded Reload
	buffer_load_dword v79, off, s[24:27], 0 offset:312 ; 4-byte Folded Reload
	buffer_load_dword v80, off, s[24:27], 0 offset:316 ; 4-byte Folded Reload
	v_lshl_add_u32 v89, v93, 4, v0
	s_cmp_lt_i32 s3, 16
	s_waitcnt vmcnt(0)
	ds_write2_b64 v89, v[77:78], v[79:80] offset1:1
	s_waitcnt lgkmcnt(0)
	s_barrier
	ds_read2_b64 v[117:120], v0 offset0:28 offset1:29
	v_mov_b32_e32 v89, 14
	s_cbranch_scc1 .LBB114_296
; %bb.294:
	v_add_u32_e32 v90, 0xf0, v0
	s_mov_b32 s0, 15
	v_mov_b32_e32 v89, 14
.LBB114_295:                            ; =>This Inner Loop Header: Depth=1
	s_waitcnt lgkmcnt(0)
	v_cmp_gt_f64_e32 vcc, 0, v[117:118]
	v_xor_b32_e32 v91, 0x80000000, v118
	ds_read2_b64 v[95:98], v90 offset1:1
	v_xor_b32_e32 v99, 0x80000000, v120
	v_add_u32_e32 v90, 16, v90
	s_waitcnt lgkmcnt(0)
	v_xor_b32_e32 v101, 0x80000000, v98
	v_cndmask_b32_e32 v92, v118, v91, vcc
	v_cmp_gt_f64_e32 vcc, 0, v[119:120]
	v_mov_b32_e32 v91, v117
	v_cndmask_b32_e32 v100, v120, v99, vcc
	v_cmp_gt_f64_e32 vcc, 0, v[95:96]
	v_mov_b32_e32 v99, v119
	v_add_f64 v[91:92], v[91:92], v[99:100]
	v_xor_b32_e32 v99, 0x80000000, v96
	v_cndmask_b32_e32 v100, v96, v99, vcc
	v_cmp_gt_f64_e32 vcc, 0, v[97:98]
	v_mov_b32_e32 v99, v95
	v_cndmask_b32_e32 v102, v98, v101, vcc
	v_mov_b32_e32 v101, v97
	v_add_f64 v[99:100], v[99:100], v[101:102]
	v_cmp_lt_f64_e32 vcc, v[91:92], v[99:100]
	v_mov_b32_e32 v91, s0
	s_add_i32 s0, s0, 1
	s_cmp_lg_u32 s3, s0
	v_cndmask_b32_e32 v118, v118, v96, vcc
	v_cndmask_b32_e32 v117, v117, v95, vcc
	;; [unrolled: 1-line block ×5, first 2 shown]
	s_cbranch_scc1 .LBB114_295
.LBB114_296:
	s_waitcnt lgkmcnt(0)
	v_cmp_eq_f64_e32 vcc, 0, v[117:118]
	v_cmp_eq_f64_e64 s[0:1], 0, v[119:120]
	s_and_b64 s[0:1], vcc, s[0:1]
	s_and_saveexec_b64 s[18:19], s[0:1]
	s_xor_b64 s[0:1], exec, s[18:19]
; %bb.297:
	v_cmp_ne_u32_e32 vcc, 0, v94
	v_cndmask_b32_e32 v94, 15, v94, vcc
; %bb.298:
	s_andn2_saveexec_b64 s[0:1], s[0:1]
	s_cbranch_execz .LBB114_304
; %bb.299:
	v_cmp_ngt_f64_e64 s[18:19], |v[117:118]|, |v[119:120]|
	s_and_saveexec_b64 s[20:21], s[18:19]
	s_xor_b64 s[18:19], exec, s[20:21]
	s_cbranch_execz .LBB114_301
; %bb.300:
	v_div_scale_f64 v[90:91], s[20:21], v[119:120], v[119:120], v[117:118]
	v_rcp_f64_e32 v[95:96], v[90:91]
	v_fma_f64 v[97:98], -v[90:91], v[95:96], 1.0
	v_fma_f64 v[95:96], v[95:96], v[97:98], v[95:96]
	v_div_scale_f64 v[97:98], vcc, v[117:118], v[119:120], v[117:118]
	v_fma_f64 v[99:100], -v[90:91], v[95:96], 1.0
	v_fma_f64 v[95:96], v[95:96], v[99:100], v[95:96]
	v_mul_f64 v[99:100], v[97:98], v[95:96]
	v_fma_f64 v[90:91], -v[90:91], v[99:100], v[97:98]
	v_div_fmas_f64 v[90:91], v[90:91], v[95:96], v[99:100]
	v_div_fixup_f64 v[90:91], v[90:91], v[119:120], v[117:118]
	v_fma_f64 v[95:96], v[117:118], v[90:91], v[119:120]
	v_div_scale_f64 v[97:98], s[20:21], v[95:96], v[95:96], 1.0
	v_div_scale_f64 v[103:104], vcc, 1.0, v[95:96], 1.0
	v_rcp_f64_e32 v[99:100], v[97:98]
	v_fma_f64 v[101:102], -v[97:98], v[99:100], 1.0
	v_fma_f64 v[99:100], v[99:100], v[101:102], v[99:100]
	v_fma_f64 v[101:102], -v[97:98], v[99:100], 1.0
	v_fma_f64 v[99:100], v[99:100], v[101:102], v[99:100]
	v_mul_f64 v[101:102], v[103:104], v[99:100]
	v_fma_f64 v[97:98], -v[97:98], v[101:102], v[103:104]
	v_div_fmas_f64 v[97:98], v[97:98], v[99:100], v[101:102]
	v_div_fixup_f64 v[119:120], v[97:98], v[95:96], 1.0
	v_mul_f64 v[117:118], v[90:91], v[119:120]
	v_xor_b32_e32 v120, 0x80000000, v120
.LBB114_301:
	s_andn2_saveexec_b64 s[18:19], s[18:19]
	s_cbranch_execz .LBB114_303
; %bb.302:
	v_div_scale_f64 v[90:91], s[20:21], v[117:118], v[117:118], v[119:120]
	v_rcp_f64_e32 v[95:96], v[90:91]
	v_fma_f64 v[97:98], -v[90:91], v[95:96], 1.0
	v_fma_f64 v[95:96], v[95:96], v[97:98], v[95:96]
	v_div_scale_f64 v[97:98], vcc, v[119:120], v[117:118], v[119:120]
	v_fma_f64 v[99:100], -v[90:91], v[95:96], 1.0
	v_fma_f64 v[95:96], v[95:96], v[99:100], v[95:96]
	v_mul_f64 v[99:100], v[97:98], v[95:96]
	v_fma_f64 v[90:91], -v[90:91], v[99:100], v[97:98]
	v_div_fmas_f64 v[90:91], v[90:91], v[95:96], v[99:100]
	v_div_fixup_f64 v[90:91], v[90:91], v[117:118], v[119:120]
	v_fma_f64 v[95:96], v[119:120], v[90:91], v[117:118]
	v_div_scale_f64 v[97:98], s[20:21], v[95:96], v[95:96], 1.0
	v_div_scale_f64 v[103:104], vcc, 1.0, v[95:96], 1.0
	v_rcp_f64_e32 v[99:100], v[97:98]
	v_fma_f64 v[101:102], -v[97:98], v[99:100], 1.0
	v_fma_f64 v[99:100], v[99:100], v[101:102], v[99:100]
	v_fma_f64 v[101:102], -v[97:98], v[99:100], 1.0
	v_fma_f64 v[99:100], v[99:100], v[101:102], v[99:100]
	v_mul_f64 v[101:102], v[103:104], v[99:100]
	v_fma_f64 v[97:98], -v[97:98], v[101:102], v[103:104]
	v_div_fmas_f64 v[97:98], v[97:98], v[99:100], v[101:102]
	v_div_fixup_f64 v[117:118], v[97:98], v[95:96], 1.0
	v_mul_f64 v[119:120], v[90:91], -v[117:118]
.LBB114_303:
	s_or_b64 exec, exec, s[18:19]
.LBB114_304:
	s_or_b64 exec, exec, s[0:1]
	v_cmp_ne_u32_e32 vcc, v93, v89
	s_and_saveexec_b64 s[0:1], vcc
	s_xor_b64 s[0:1], exec, s[0:1]
	s_cbranch_execz .LBB114_310
; %bb.305:
	v_cmp_eq_u32_e32 vcc, 14, v93
	s_and_saveexec_b64 s[18:19], vcc
	s_cbranch_execz .LBB114_309
; %bb.306:
	v_cmp_ne_u32_e32 vcc, 14, v89
	s_xor_b64 s[20:21], s[6:7], -1
	s_and_b64 s[22:23], s[20:21], vcc
	s_and_saveexec_b64 s[20:21], s[22:23]
	s_cbranch_execz .LBB114_308
; %bb.307:
	v_mov_b32_e32 v77, v81
	v_mov_b32_e32 v78, v82
	;; [unrolled: 1-line block ×4, first 2 shown]
	buffer_load_dword v81, off, s[24:27], 0 offset:480 ; 4-byte Folded Reload
	buffer_load_dword v82, off, s[24:27], 0 offset:484 ; 4-byte Folded Reload
	v_ashrrev_i32_e32 v90, 31, v89
	v_lshlrev_b64 v[90:91], 2, v[89:90]
	s_waitcnt vmcnt(1)
	v_add_co_u32_e32 v90, vcc, v81, v90
	s_waitcnt vmcnt(0)
	v_addc_co_u32_e32 v91, vcc, v82, v91, vcc
	global_load_dword v92, v[90:91], off
	global_load_dword v93, v[81:82], off offset:56
	s_waitcnt vmcnt(1)
	global_store_dword v[81:82], v92, off offset:56
	v_mov_b32_e32 v84, v80
	v_mov_b32_e32 v83, v79
	;; [unrolled: 1-line block ×4, first 2 shown]
	s_waitcnt vmcnt(1)
	global_store_dword v[90:91], v93, off
.LBB114_308:
	s_or_b64 exec, exec, s[20:21]
	v_mov_b32_e32 v93, v89
	v_mov_b32_e32 v127, v89
.LBB114_309:
	s_or_b64 exec, exec, s[18:19]
.LBB114_310:
	s_andn2_saveexec_b64 s[0:1], s[0:1]
	s_cbranch_execz .LBB114_312
; %bb.311:
	buffer_load_dword v77, off, s[24:27], 0 offset:288 ; 4-byte Folded Reload
	buffer_load_dword v78, off, s[24:27], 0 offset:292 ; 4-byte Folded Reload
	buffer_load_dword v79, off, s[24:27], 0 offset:296 ; 4-byte Folded Reload
	buffer_load_dword v80, off, s[24:27], 0 offset:300 ; 4-byte Folded Reload
	v_mov_b32_e32 v93, 14
	s_waitcnt vmcnt(0)
	ds_write2_b64 v0, v[77:78], v[79:80] offset0:30 offset1:31
	buffer_load_dword v77, off, s[24:27], 0 offset:272 ; 4-byte Folded Reload
	buffer_load_dword v78, off, s[24:27], 0 offset:276 ; 4-byte Folded Reload
	buffer_load_dword v79, off, s[24:27], 0 offset:280 ; 4-byte Folded Reload
	buffer_load_dword v80, off, s[24:27], 0 offset:284 ; 4-byte Folded Reload
	s_waitcnt vmcnt(0)
	ds_write2_b64 v0, v[77:78], v[79:80] offset0:32 offset1:33
	buffer_load_dword v77, off, s[24:27], 0 offset:256 ; 4-byte Folded Reload
	buffer_load_dword v78, off, s[24:27], 0 offset:260 ; 4-byte Folded Reload
	buffer_load_dword v79, off, s[24:27], 0 offset:264 ; 4-byte Folded Reload
	buffer_load_dword v80, off, s[24:27], 0 offset:268 ; 4-byte Folded Reload
	;; [unrolled: 6-line block ×17, first 2 shown]
	s_waitcnt vmcnt(0)
	ds_write2_b64 v0, v[77:78], v[79:80] offset0:64 offset1:65
	ds_write2_b64 v0, v[81:82], v[83:84] offset0:66 offset1:67
	;; [unrolled: 1-line block ×5, first 2 shown]
	buffer_load_dword v77, off, s[24:27], 0 ; 4-byte Folded Reload
	buffer_load_dword v78, off, s[24:27], 0 offset:4 ; 4-byte Folded Reload
	buffer_load_dword v79, off, s[24:27], 0 offset:8 ; 4-byte Folded Reload
	;; [unrolled: 1-line block ×3, first 2 shown]
	s_waitcnt vmcnt(0)
	ds_write2_b64 v0, v[77:78], v[79:80] offset0:74 offset1:75
	ds_write2_b64 v0, v[73:74], v[75:76] offset0:76 offset1:77
	;; [unrolled: 1-line block ×21, first 2 shown]
.LBB114_312:
	s_or_b64 exec, exec, s[0:1]
	v_cmp_lt_i32_e32 vcc, 14, v93
	s_waitcnt vmcnt(0) lgkmcnt(0)
	s_barrier
	s_and_saveexec_b64 s[0:1], vcc
	s_cbranch_execz .LBB114_314
; %bb.313:
	buffer_load_dword v97, off, s[24:27], 0 offset:304 ; 4-byte Folded Reload
	buffer_load_dword v98, off, s[24:27], 0 offset:308 ; 4-byte Folded Reload
	;; [unrolled: 1-line block ×4, first 2 shown]
	s_waitcnt vmcnt(0)
	v_mul_f64 v[89:90], v[119:120], v[99:100]
	v_fma_f64 v[125:126], v[117:118], v[97:98], -v[89:90]
	v_mul_f64 v[89:90], v[117:118], v[99:100]
	v_fma_f64 v[99:100], v[119:120], v[97:98], v[89:90]
	ds_read2_b64 v[89:92], v0 offset0:30 offset1:31
	buffer_load_dword v77, off, s[24:27], 0 offset:288 ; 4-byte Folded Reload
	buffer_load_dword v78, off, s[24:27], 0 offset:292 ; 4-byte Folded Reload
	buffer_load_dword v79, off, s[24:27], 0 offset:296 ; 4-byte Folded Reload
	buffer_load_dword v80, off, s[24:27], 0 offset:300 ; 4-byte Folded Reload
	s_waitcnt lgkmcnt(0)
	v_mul_f64 v[95:96], v[91:92], v[99:100]
	v_fma_f64 v[95:96], v[89:90], v[125:126], -v[95:96]
	v_mul_f64 v[89:90], v[89:90], v[99:100]
	v_fma_f64 v[89:90], v[91:92], v[125:126], v[89:90]
	s_waitcnt vmcnt(2)
	v_add_f64 v[77:78], v[77:78], -v[95:96]
	s_waitcnt vmcnt(0)
	v_add_f64 v[79:80], v[79:80], -v[89:90]
	buffer_store_dword v77, off, s[24:27], 0 offset:288 ; 4-byte Folded Spill
	s_nop 0
	buffer_store_dword v78, off, s[24:27], 0 offset:292 ; 4-byte Folded Spill
	buffer_store_dword v79, off, s[24:27], 0 offset:296 ; 4-byte Folded Spill
	buffer_store_dword v80, off, s[24:27], 0 offset:300 ; 4-byte Folded Spill
	ds_read2_b64 v[89:92], v0 offset0:32 offset1:33
	buffer_load_dword v77, off, s[24:27], 0 offset:272 ; 4-byte Folded Reload
	buffer_load_dword v78, off, s[24:27], 0 offset:276 ; 4-byte Folded Reload
	buffer_load_dword v79, off, s[24:27], 0 offset:280 ; 4-byte Folded Reload
	buffer_load_dword v80, off, s[24:27], 0 offset:284 ; 4-byte Folded Reload
	s_waitcnt lgkmcnt(0)
	v_mul_f64 v[95:96], v[91:92], v[99:100]
	v_fma_f64 v[95:96], v[89:90], v[125:126], -v[95:96]
	v_mul_f64 v[89:90], v[89:90], v[99:100]
	v_fma_f64 v[89:90], v[91:92], v[125:126], v[89:90]
	s_waitcnt vmcnt(2)
	v_add_f64 v[77:78], v[77:78], -v[95:96]
	s_waitcnt vmcnt(0)
	v_add_f64 v[79:80], v[79:80], -v[89:90]
	buffer_store_dword v77, off, s[24:27], 0 offset:272 ; 4-byte Folded Spill
	s_nop 0
	buffer_store_dword v78, off, s[24:27], 0 offset:276 ; 4-byte Folded Spill
	buffer_store_dword v79, off, s[24:27], 0 offset:280 ; 4-byte Folded Spill
	buffer_store_dword v80, off, s[24:27], 0 offset:284 ; 4-byte Folded Spill
	;; [unrolled: 19-line block ×18, first 2 shown]
	ds_read2_b64 v[89:92], v0 offset0:66 offset1:67
	s_waitcnt lgkmcnt(0)
	v_mul_f64 v[95:96], v[91:92], v[99:100]
	v_fma_f64 v[95:96], v[89:90], v[125:126], -v[95:96]
	v_mul_f64 v[89:90], v[89:90], v[99:100]
	v_add_f64 v[81:82], v[81:82], -v[95:96]
	v_fma_f64 v[89:90], v[91:92], v[125:126], v[89:90]
	v_add_f64 v[83:84], v[83:84], -v[89:90]
	ds_read2_b64 v[89:92], v0 offset0:68 offset1:69
	s_waitcnt lgkmcnt(0)
	v_mul_f64 v[95:96], v[91:92], v[99:100]
	v_fma_f64 v[95:96], v[89:90], v[125:126], -v[95:96]
	v_mul_f64 v[89:90], v[89:90], v[99:100]
	v_add_f64 v[85:86], v[85:86], -v[95:96]
	v_fma_f64 v[89:90], v[91:92], v[125:126], v[89:90]
	v_add_f64 v[87:88], v[87:88], -v[89:90]
	;; [unrolled: 8-line block ×4, first 2 shown]
	ds_read2_b64 v[89:92], v0 offset0:74 offset1:75
	buffer_load_dword v77, off, s[24:27], 0 ; 4-byte Folded Reload
	buffer_load_dword v78, off, s[24:27], 0 offset:4 ; 4-byte Folded Reload
	buffer_load_dword v79, off, s[24:27], 0 offset:8 ; 4-byte Folded Reload
	;; [unrolled: 1-line block ×3, first 2 shown]
	s_waitcnt lgkmcnt(0)
	v_mul_f64 v[95:96], v[91:92], v[99:100]
	v_fma_f64 v[95:96], v[89:90], v[125:126], -v[95:96]
	v_mul_f64 v[89:90], v[89:90], v[99:100]
	v_fma_f64 v[89:90], v[91:92], v[125:126], v[89:90]
	s_waitcnt vmcnt(2)
	v_add_f64 v[77:78], v[77:78], -v[95:96]
	s_waitcnt vmcnt(0)
	v_add_f64 v[79:80], v[79:80], -v[89:90]
	buffer_store_dword v77, off, s[24:27], 0 ; 4-byte Folded Spill
	s_nop 0
	buffer_store_dword v78, off, s[24:27], 0 offset:4 ; 4-byte Folded Spill
	buffer_store_dword v79, off, s[24:27], 0 offset:8 ; 4-byte Folded Spill
	;; [unrolled: 1-line block ×3, first 2 shown]
	ds_read2_b64 v[89:92], v0 offset0:76 offset1:77
	s_waitcnt lgkmcnt(0)
	v_mul_f64 v[95:96], v[91:92], v[99:100]
	v_fma_f64 v[95:96], v[89:90], v[125:126], -v[95:96]
	v_mul_f64 v[89:90], v[89:90], v[99:100]
	v_add_f64 v[73:74], v[73:74], -v[95:96]
	v_fma_f64 v[89:90], v[91:92], v[125:126], v[89:90]
	v_add_f64 v[75:76], v[75:76], -v[89:90]
	ds_read2_b64 v[89:92], v0 offset0:78 offset1:79
	s_waitcnt lgkmcnt(0)
	v_mul_f64 v[95:96], v[91:92], v[99:100]
	v_fma_f64 v[95:96], v[89:90], v[125:126], -v[95:96]
	v_mul_f64 v[89:90], v[89:90], v[99:100]
	v_add_f64 v[69:70], v[69:70], -v[95:96]
	v_fma_f64 v[89:90], v[91:92], v[125:126], v[89:90]
	v_add_f64 v[71:72], v[71:72], -v[89:90]
	;; [unrolled: 8-line block ×18, first 2 shown]
	ds_read2_b64 v[89:92], v0 offset0:112 offset1:113
	s_waitcnt lgkmcnt(0)
	v_mul_f64 v[95:96], v[91:92], v[99:100]
	v_fma_f64 v[95:96], v[89:90], v[125:126], -v[95:96]
	v_mul_f64 v[89:90], v[89:90], v[99:100]
	v_add_f64 v[1:2], v[1:2], -v[95:96]
	v_fma_f64 v[89:90], v[91:92], v[125:126], v[89:90]
	ds_read2_b64 v[95:98], v0 offset0:114 offset1:115
	s_waitcnt lgkmcnt(0)
	v_mul_f64 v[91:92], v[95:96], v[99:100]
	v_add_f64 v[3:4], v[3:4], -v[89:90]
	v_mul_f64 v[89:90], v[97:98], v[99:100]
	v_fma_f64 v[91:92], v[97:98], v[125:126], v[91:92]
	v_mov_b32_e32 v97, v125
	v_mov_b32_e32 v98, v126
	v_fma_f64 v[89:90], v[95:96], v[125:126], -v[89:90]
	buffer_store_dword v97, off, s[24:27], 0 offset:304 ; 4-byte Folded Spill
	s_nop 0
	buffer_store_dword v98, off, s[24:27], 0 offset:308 ; 4-byte Folded Spill
	buffer_store_dword v99, off, s[24:27], 0 offset:312 ; 4-byte Folded Spill
	buffer_store_dword v100, off, s[24:27], 0 offset:316 ; 4-byte Folded Spill
	v_add_f64 v[123:124], v[123:124], -v[91:92]
	v_add_f64 v[121:122], v[121:122], -v[89:90]
.LBB114_314:
	s_or_b64 exec, exec, s[0:1]
	s_waitcnt vmcnt(0)
	s_barrier
	buffer_load_dword v77, off, s[24:27], 0 offset:288 ; 4-byte Folded Reload
	buffer_load_dword v78, off, s[24:27], 0 offset:292 ; 4-byte Folded Reload
	;; [unrolled: 1-line block ×4, first 2 shown]
	v_lshl_add_u32 v89, v93, 4, v0
	s_cmp_lt_i32 s3, 17
	s_waitcnt vmcnt(0)
	ds_write2_b64 v89, v[77:78], v[79:80] offset1:1
	s_waitcnt lgkmcnt(0)
	s_barrier
	ds_read2_b64 v[117:120], v0 offset0:30 offset1:31
	v_mov_b32_e32 v89, 15
	s_cbranch_scc1 .LBB114_317
; %bb.315:
	v_add_u32_e32 v90, 0x100, v0
	s_mov_b32 s0, 16
	v_mov_b32_e32 v89, 15
.LBB114_316:                            ; =>This Inner Loop Header: Depth=1
	s_waitcnt lgkmcnt(0)
	v_cmp_gt_f64_e32 vcc, 0, v[117:118]
	v_xor_b32_e32 v91, 0x80000000, v118
	ds_read2_b64 v[95:98], v90 offset1:1
	v_xor_b32_e32 v99, 0x80000000, v120
	v_add_u32_e32 v90, 16, v90
	s_waitcnt lgkmcnt(0)
	v_xor_b32_e32 v101, 0x80000000, v98
	v_cndmask_b32_e32 v92, v118, v91, vcc
	v_cmp_gt_f64_e32 vcc, 0, v[119:120]
	v_mov_b32_e32 v91, v117
	v_cndmask_b32_e32 v100, v120, v99, vcc
	v_cmp_gt_f64_e32 vcc, 0, v[95:96]
	v_mov_b32_e32 v99, v119
	v_add_f64 v[91:92], v[91:92], v[99:100]
	v_xor_b32_e32 v99, 0x80000000, v96
	v_cndmask_b32_e32 v100, v96, v99, vcc
	v_cmp_gt_f64_e32 vcc, 0, v[97:98]
	v_mov_b32_e32 v99, v95
	v_cndmask_b32_e32 v102, v98, v101, vcc
	v_mov_b32_e32 v101, v97
	v_add_f64 v[99:100], v[99:100], v[101:102]
	v_cmp_lt_f64_e32 vcc, v[91:92], v[99:100]
	v_mov_b32_e32 v91, s0
	s_add_i32 s0, s0, 1
	s_cmp_lg_u32 s3, s0
	v_cndmask_b32_e32 v118, v118, v96, vcc
	v_cndmask_b32_e32 v117, v117, v95, vcc
	;; [unrolled: 1-line block ×5, first 2 shown]
	s_cbranch_scc1 .LBB114_316
.LBB114_317:
	s_waitcnt lgkmcnt(0)
	v_cmp_eq_f64_e32 vcc, 0, v[117:118]
	v_cmp_eq_f64_e64 s[0:1], 0, v[119:120]
	s_and_b64 s[0:1], vcc, s[0:1]
	s_and_saveexec_b64 s[18:19], s[0:1]
	s_xor_b64 s[0:1], exec, s[18:19]
; %bb.318:
	v_cmp_ne_u32_e32 vcc, 0, v94
	v_cndmask_b32_e32 v94, 16, v94, vcc
; %bb.319:
	s_andn2_saveexec_b64 s[0:1], s[0:1]
	s_cbranch_execz .LBB114_325
; %bb.320:
	v_cmp_ngt_f64_e64 s[18:19], |v[117:118]|, |v[119:120]|
	s_and_saveexec_b64 s[20:21], s[18:19]
	s_xor_b64 s[18:19], exec, s[20:21]
	s_cbranch_execz .LBB114_322
; %bb.321:
	v_div_scale_f64 v[90:91], s[20:21], v[119:120], v[119:120], v[117:118]
	v_rcp_f64_e32 v[95:96], v[90:91]
	v_fma_f64 v[97:98], -v[90:91], v[95:96], 1.0
	v_fma_f64 v[95:96], v[95:96], v[97:98], v[95:96]
	v_div_scale_f64 v[97:98], vcc, v[117:118], v[119:120], v[117:118]
	v_fma_f64 v[99:100], -v[90:91], v[95:96], 1.0
	v_fma_f64 v[95:96], v[95:96], v[99:100], v[95:96]
	v_mul_f64 v[99:100], v[97:98], v[95:96]
	v_fma_f64 v[90:91], -v[90:91], v[99:100], v[97:98]
	v_div_fmas_f64 v[90:91], v[90:91], v[95:96], v[99:100]
	v_div_fixup_f64 v[90:91], v[90:91], v[119:120], v[117:118]
	v_fma_f64 v[95:96], v[117:118], v[90:91], v[119:120]
	v_div_scale_f64 v[97:98], s[20:21], v[95:96], v[95:96], 1.0
	v_div_scale_f64 v[103:104], vcc, 1.0, v[95:96], 1.0
	v_rcp_f64_e32 v[99:100], v[97:98]
	v_fma_f64 v[101:102], -v[97:98], v[99:100], 1.0
	v_fma_f64 v[99:100], v[99:100], v[101:102], v[99:100]
	v_fma_f64 v[101:102], -v[97:98], v[99:100], 1.0
	v_fma_f64 v[99:100], v[99:100], v[101:102], v[99:100]
	v_mul_f64 v[101:102], v[103:104], v[99:100]
	v_fma_f64 v[97:98], -v[97:98], v[101:102], v[103:104]
	v_div_fmas_f64 v[97:98], v[97:98], v[99:100], v[101:102]
	v_div_fixup_f64 v[119:120], v[97:98], v[95:96], 1.0
	v_mul_f64 v[117:118], v[90:91], v[119:120]
	v_xor_b32_e32 v120, 0x80000000, v120
.LBB114_322:
	s_andn2_saveexec_b64 s[18:19], s[18:19]
	s_cbranch_execz .LBB114_324
; %bb.323:
	v_div_scale_f64 v[90:91], s[20:21], v[117:118], v[117:118], v[119:120]
	v_rcp_f64_e32 v[95:96], v[90:91]
	v_fma_f64 v[97:98], -v[90:91], v[95:96], 1.0
	v_fma_f64 v[95:96], v[95:96], v[97:98], v[95:96]
	v_div_scale_f64 v[97:98], vcc, v[119:120], v[117:118], v[119:120]
	v_fma_f64 v[99:100], -v[90:91], v[95:96], 1.0
	v_fma_f64 v[95:96], v[95:96], v[99:100], v[95:96]
	v_mul_f64 v[99:100], v[97:98], v[95:96]
	v_fma_f64 v[90:91], -v[90:91], v[99:100], v[97:98]
	v_div_fmas_f64 v[90:91], v[90:91], v[95:96], v[99:100]
	v_div_fixup_f64 v[90:91], v[90:91], v[117:118], v[119:120]
	v_fma_f64 v[95:96], v[119:120], v[90:91], v[117:118]
	v_div_scale_f64 v[97:98], s[20:21], v[95:96], v[95:96], 1.0
	v_div_scale_f64 v[103:104], vcc, 1.0, v[95:96], 1.0
	v_rcp_f64_e32 v[99:100], v[97:98]
	v_fma_f64 v[101:102], -v[97:98], v[99:100], 1.0
	v_fma_f64 v[99:100], v[99:100], v[101:102], v[99:100]
	v_fma_f64 v[101:102], -v[97:98], v[99:100], 1.0
	v_fma_f64 v[99:100], v[99:100], v[101:102], v[99:100]
	v_mul_f64 v[101:102], v[103:104], v[99:100]
	v_fma_f64 v[97:98], -v[97:98], v[101:102], v[103:104]
	v_div_fmas_f64 v[97:98], v[97:98], v[99:100], v[101:102]
	v_div_fixup_f64 v[117:118], v[97:98], v[95:96], 1.0
	v_mul_f64 v[119:120], v[90:91], -v[117:118]
.LBB114_324:
	s_or_b64 exec, exec, s[18:19]
.LBB114_325:
	s_or_b64 exec, exec, s[0:1]
	v_cmp_ne_u32_e32 vcc, v93, v89
	s_and_saveexec_b64 s[0:1], vcc
	s_xor_b64 s[0:1], exec, s[0:1]
	s_cbranch_execz .LBB114_331
; %bb.326:
	v_cmp_eq_u32_e32 vcc, 15, v93
	s_and_saveexec_b64 s[18:19], vcc
	s_cbranch_execz .LBB114_330
; %bb.327:
	v_cmp_ne_u32_e32 vcc, 15, v89
	s_xor_b64 s[20:21], s[6:7], -1
	s_and_b64 s[22:23], s[20:21], vcc
	s_and_saveexec_b64 s[20:21], s[22:23]
	s_cbranch_execz .LBB114_329
; %bb.328:
	v_mov_b32_e32 v77, v81
	v_mov_b32_e32 v78, v82
	;; [unrolled: 1-line block ×4, first 2 shown]
	buffer_load_dword v81, off, s[24:27], 0 offset:480 ; 4-byte Folded Reload
	buffer_load_dword v82, off, s[24:27], 0 offset:484 ; 4-byte Folded Reload
	v_ashrrev_i32_e32 v90, 31, v89
	v_lshlrev_b64 v[90:91], 2, v[89:90]
	s_waitcnt vmcnt(1)
	v_add_co_u32_e32 v90, vcc, v81, v90
	s_waitcnt vmcnt(0)
	v_addc_co_u32_e32 v91, vcc, v82, v91, vcc
	global_load_dword v92, v[90:91], off
	global_load_dword v93, v[81:82], off offset:60
	s_waitcnt vmcnt(1)
	global_store_dword v[81:82], v92, off offset:60
	v_mov_b32_e32 v84, v80
	v_mov_b32_e32 v83, v79
	;; [unrolled: 1-line block ×4, first 2 shown]
	s_waitcnt vmcnt(1)
	global_store_dword v[90:91], v93, off
.LBB114_329:
	s_or_b64 exec, exec, s[20:21]
	v_mov_b32_e32 v93, v89
	v_mov_b32_e32 v127, v89
.LBB114_330:
	s_or_b64 exec, exec, s[18:19]
.LBB114_331:
	s_andn2_saveexec_b64 s[0:1], s[0:1]
	s_cbranch_execz .LBB114_333
; %bb.332:
	buffer_load_dword v77, off, s[24:27], 0 offset:272 ; 4-byte Folded Reload
	buffer_load_dword v78, off, s[24:27], 0 offset:276 ; 4-byte Folded Reload
	;; [unrolled: 1-line block ×4, first 2 shown]
	v_mov_b32_e32 v93, 15
	s_waitcnt vmcnt(0)
	ds_write2_b64 v0, v[77:78], v[79:80] offset0:32 offset1:33
	buffer_load_dword v77, off, s[24:27], 0 offset:256 ; 4-byte Folded Reload
	buffer_load_dword v78, off, s[24:27], 0 offset:260 ; 4-byte Folded Reload
	buffer_load_dword v79, off, s[24:27], 0 offset:264 ; 4-byte Folded Reload
	buffer_load_dword v80, off, s[24:27], 0 offset:268 ; 4-byte Folded Reload
	s_waitcnt vmcnt(0)
	ds_write2_b64 v0, v[77:78], v[79:80] offset0:34 offset1:35
	buffer_load_dword v77, off, s[24:27], 0 offset:240 ; 4-byte Folded Reload
	buffer_load_dword v78, off, s[24:27], 0 offset:244 ; 4-byte Folded Reload
	buffer_load_dword v79, off, s[24:27], 0 offset:248 ; 4-byte Folded Reload
	buffer_load_dword v80, off, s[24:27], 0 offset:252 ; 4-byte Folded Reload
	;; [unrolled: 6-line block ×16, first 2 shown]
	s_waitcnt vmcnt(0)
	ds_write2_b64 v0, v[77:78], v[79:80] offset0:64 offset1:65
	ds_write2_b64 v0, v[81:82], v[83:84] offset0:66 offset1:67
	;; [unrolled: 1-line block ×5, first 2 shown]
	buffer_load_dword v77, off, s[24:27], 0 ; 4-byte Folded Reload
	buffer_load_dword v78, off, s[24:27], 0 offset:4 ; 4-byte Folded Reload
	buffer_load_dword v79, off, s[24:27], 0 offset:8 ; 4-byte Folded Reload
	;; [unrolled: 1-line block ×3, first 2 shown]
	s_waitcnt vmcnt(0)
	ds_write2_b64 v0, v[77:78], v[79:80] offset0:74 offset1:75
	ds_write2_b64 v0, v[73:74], v[75:76] offset0:76 offset1:77
	ds_write2_b64 v0, v[69:70], v[71:72] offset0:78 offset1:79
	ds_write2_b64 v0, v[65:66], v[67:68] offset0:80 offset1:81
	ds_write2_b64 v0, v[61:62], v[63:64] offset0:82 offset1:83
	ds_write2_b64 v0, v[57:58], v[59:60] offset0:84 offset1:85
	ds_write2_b64 v0, v[53:54], v[55:56] offset0:86 offset1:87
	ds_write2_b64 v0, v[49:50], v[51:52] offset0:88 offset1:89
	ds_write2_b64 v0, v[45:46], v[47:48] offset0:90 offset1:91
	ds_write2_b64 v0, v[41:42], v[43:44] offset0:92 offset1:93
	ds_write2_b64 v0, v[37:38], v[39:40] offset0:94 offset1:95
	ds_write2_b64 v0, v[33:34], v[35:36] offset0:96 offset1:97
	ds_write2_b64 v0, v[29:30], v[31:32] offset0:98 offset1:99
	ds_write2_b64 v0, v[25:26], v[27:28] offset0:100 offset1:101
	ds_write2_b64 v0, v[21:22], v[23:24] offset0:102 offset1:103
	ds_write2_b64 v0, v[17:18], v[19:20] offset0:104 offset1:105
	ds_write2_b64 v0, v[13:14], v[15:16] offset0:106 offset1:107
	ds_write2_b64 v0, v[9:10], v[11:12] offset0:108 offset1:109
	ds_write2_b64 v0, v[5:6], v[7:8] offset0:110 offset1:111
	ds_write2_b64 v0, v[1:2], v[3:4] offset0:112 offset1:113
	ds_write2_b64 v0, v[121:122], v[123:124] offset0:114 offset1:115
.LBB114_333:
	s_or_b64 exec, exec, s[0:1]
	v_cmp_lt_i32_e32 vcc, 15, v93
	s_waitcnt vmcnt(0) lgkmcnt(0)
	s_barrier
	s_and_saveexec_b64 s[0:1], vcc
	s_cbranch_execz .LBB114_335
; %bb.334:
	buffer_load_dword v95, off, s[24:27], 0 offset:288 ; 4-byte Folded Reload
	buffer_load_dword v96, off, s[24:27], 0 offset:292 ; 4-byte Folded Reload
	;; [unrolled: 1-line block ×4, first 2 shown]
	s_waitcnt vmcnt(0)
	v_mul_f64 v[89:90], v[119:120], v[97:98]
	v_fma_f64 v[125:126], v[117:118], v[95:96], -v[89:90]
	v_mul_f64 v[89:90], v[117:118], v[97:98]
	v_fma_f64 v[97:98], v[119:120], v[95:96], v[89:90]
	ds_read2_b64 v[89:92], v0 offset0:32 offset1:33
	buffer_load_dword v77, off, s[24:27], 0 offset:272 ; 4-byte Folded Reload
	buffer_load_dword v78, off, s[24:27], 0 offset:276 ; 4-byte Folded Reload
	buffer_load_dword v79, off, s[24:27], 0 offset:280 ; 4-byte Folded Reload
	buffer_load_dword v80, off, s[24:27], 0 offset:284 ; 4-byte Folded Reload
	s_waitcnt lgkmcnt(0)
	v_mul_f64 v[95:96], v[91:92], v[97:98]
	v_fma_f64 v[95:96], v[89:90], v[125:126], -v[95:96]
	v_mul_f64 v[89:90], v[89:90], v[97:98]
	v_fma_f64 v[89:90], v[91:92], v[125:126], v[89:90]
	s_waitcnt vmcnt(2)
	v_add_f64 v[77:78], v[77:78], -v[95:96]
	s_waitcnt vmcnt(0)
	v_add_f64 v[79:80], v[79:80], -v[89:90]
	buffer_store_dword v77, off, s[24:27], 0 offset:272 ; 4-byte Folded Spill
	s_nop 0
	buffer_store_dword v78, off, s[24:27], 0 offset:276 ; 4-byte Folded Spill
	buffer_store_dword v79, off, s[24:27], 0 offset:280 ; 4-byte Folded Spill
	buffer_store_dword v80, off, s[24:27], 0 offset:284 ; 4-byte Folded Spill
	ds_read2_b64 v[89:92], v0 offset0:34 offset1:35
	buffer_load_dword v77, off, s[24:27], 0 offset:256 ; 4-byte Folded Reload
	buffer_load_dword v78, off, s[24:27], 0 offset:260 ; 4-byte Folded Reload
	buffer_load_dword v79, off, s[24:27], 0 offset:264 ; 4-byte Folded Reload
	buffer_load_dword v80, off, s[24:27], 0 offset:268 ; 4-byte Folded Reload
	s_waitcnt lgkmcnt(0)
	v_mul_f64 v[95:96], v[91:92], v[97:98]
	v_fma_f64 v[95:96], v[89:90], v[125:126], -v[95:96]
	v_mul_f64 v[89:90], v[89:90], v[97:98]
	v_fma_f64 v[89:90], v[91:92], v[125:126], v[89:90]
	s_waitcnt vmcnt(2)
	v_add_f64 v[77:78], v[77:78], -v[95:96]
	s_waitcnt vmcnt(0)
	v_add_f64 v[79:80], v[79:80], -v[89:90]
	buffer_store_dword v77, off, s[24:27], 0 offset:256 ; 4-byte Folded Spill
	s_nop 0
	buffer_store_dword v78, off, s[24:27], 0 offset:260 ; 4-byte Folded Spill
	buffer_store_dword v79, off, s[24:27], 0 offset:264 ; 4-byte Folded Spill
	buffer_store_dword v80, off, s[24:27], 0 offset:268 ; 4-byte Folded Spill
	;; [unrolled: 19-line block ×17, first 2 shown]
	ds_read2_b64 v[89:92], v0 offset0:66 offset1:67
	s_waitcnt lgkmcnt(0)
	v_mul_f64 v[95:96], v[91:92], v[97:98]
	v_fma_f64 v[95:96], v[89:90], v[125:126], -v[95:96]
	v_mul_f64 v[89:90], v[89:90], v[97:98]
	v_add_f64 v[81:82], v[81:82], -v[95:96]
	v_fma_f64 v[89:90], v[91:92], v[125:126], v[89:90]
	v_add_f64 v[83:84], v[83:84], -v[89:90]
	ds_read2_b64 v[89:92], v0 offset0:68 offset1:69
	s_waitcnt lgkmcnt(0)
	v_mul_f64 v[95:96], v[91:92], v[97:98]
	v_fma_f64 v[95:96], v[89:90], v[125:126], -v[95:96]
	v_mul_f64 v[89:90], v[89:90], v[97:98]
	v_add_f64 v[85:86], v[85:86], -v[95:96]
	v_fma_f64 v[89:90], v[91:92], v[125:126], v[89:90]
	v_add_f64 v[87:88], v[87:88], -v[89:90]
	;; [unrolled: 8-line block ×4, first 2 shown]
	ds_read2_b64 v[89:92], v0 offset0:74 offset1:75
	buffer_load_dword v77, off, s[24:27], 0 ; 4-byte Folded Reload
	buffer_load_dword v78, off, s[24:27], 0 offset:4 ; 4-byte Folded Reload
	buffer_load_dword v79, off, s[24:27], 0 offset:8 ; 4-byte Folded Reload
	;; [unrolled: 1-line block ×3, first 2 shown]
	s_waitcnt lgkmcnt(0)
	v_mul_f64 v[95:96], v[91:92], v[97:98]
	v_fma_f64 v[95:96], v[89:90], v[125:126], -v[95:96]
	v_mul_f64 v[89:90], v[89:90], v[97:98]
	v_fma_f64 v[89:90], v[91:92], v[125:126], v[89:90]
	s_waitcnt vmcnt(2)
	v_add_f64 v[77:78], v[77:78], -v[95:96]
	s_waitcnt vmcnt(0)
	v_add_f64 v[79:80], v[79:80], -v[89:90]
	buffer_store_dword v77, off, s[24:27], 0 ; 4-byte Folded Spill
	s_nop 0
	buffer_store_dword v78, off, s[24:27], 0 offset:4 ; 4-byte Folded Spill
	buffer_store_dword v79, off, s[24:27], 0 offset:8 ; 4-byte Folded Spill
	;; [unrolled: 1-line block ×3, first 2 shown]
	ds_read2_b64 v[89:92], v0 offset0:76 offset1:77
	s_waitcnt lgkmcnt(0)
	v_mul_f64 v[95:96], v[91:92], v[97:98]
	v_fma_f64 v[95:96], v[89:90], v[125:126], -v[95:96]
	v_mul_f64 v[89:90], v[89:90], v[97:98]
	v_add_f64 v[73:74], v[73:74], -v[95:96]
	v_fma_f64 v[89:90], v[91:92], v[125:126], v[89:90]
	v_add_f64 v[75:76], v[75:76], -v[89:90]
	ds_read2_b64 v[89:92], v0 offset0:78 offset1:79
	s_waitcnt lgkmcnt(0)
	v_mul_f64 v[95:96], v[91:92], v[97:98]
	v_fma_f64 v[95:96], v[89:90], v[125:126], -v[95:96]
	v_mul_f64 v[89:90], v[89:90], v[97:98]
	v_add_f64 v[69:70], v[69:70], -v[95:96]
	v_fma_f64 v[89:90], v[91:92], v[125:126], v[89:90]
	v_add_f64 v[71:72], v[71:72], -v[89:90]
	;; [unrolled: 8-line block ×19, first 2 shown]
	ds_read2_b64 v[89:92], v0 offset0:114 offset1:115
	s_waitcnt lgkmcnt(0)
	v_mul_f64 v[95:96], v[91:92], v[97:98]
	v_fma_f64 v[95:96], v[89:90], v[125:126], -v[95:96]
	v_mul_f64 v[89:90], v[89:90], v[97:98]
	v_add_f64 v[121:122], v[121:122], -v[95:96]
	v_fma_f64 v[89:90], v[91:92], v[125:126], v[89:90]
	v_mov_b32_e32 v95, v125
	v_mov_b32_e32 v96, v126
	buffer_store_dword v95, off, s[24:27], 0 offset:288 ; 4-byte Folded Spill
	s_nop 0
	buffer_store_dword v96, off, s[24:27], 0 offset:292 ; 4-byte Folded Spill
	buffer_store_dword v97, off, s[24:27], 0 offset:296 ; 4-byte Folded Spill
	;; [unrolled: 1-line block ×3, first 2 shown]
	v_add_f64 v[123:124], v[123:124], -v[89:90]
.LBB114_335:
	s_or_b64 exec, exec, s[0:1]
	s_waitcnt vmcnt(0)
	s_barrier
	buffer_load_dword v77, off, s[24:27], 0 offset:272 ; 4-byte Folded Reload
	buffer_load_dword v78, off, s[24:27], 0 offset:276 ; 4-byte Folded Reload
	;; [unrolled: 1-line block ×4, first 2 shown]
	v_lshl_add_u32 v89, v93, 4, v0
	s_cmp_lt_i32 s3, 18
	s_waitcnt vmcnt(0)
	ds_write2_b64 v89, v[77:78], v[79:80] offset1:1
	s_waitcnt lgkmcnt(0)
	s_barrier
	ds_read2_b64 v[117:120], v0 offset0:32 offset1:33
	v_mov_b32_e32 v89, 16
	s_cbranch_scc1 .LBB114_338
; %bb.336:
	v_add_u32_e32 v90, 0x110, v0
	s_mov_b32 s0, 17
	v_mov_b32_e32 v89, 16
.LBB114_337:                            ; =>This Inner Loop Header: Depth=1
	s_waitcnt lgkmcnt(0)
	v_cmp_gt_f64_e32 vcc, 0, v[117:118]
	v_xor_b32_e32 v91, 0x80000000, v118
	ds_read2_b64 v[95:98], v90 offset1:1
	v_xor_b32_e32 v99, 0x80000000, v120
	v_add_u32_e32 v90, 16, v90
	s_waitcnt lgkmcnt(0)
	v_xor_b32_e32 v101, 0x80000000, v98
	v_cndmask_b32_e32 v92, v118, v91, vcc
	v_cmp_gt_f64_e32 vcc, 0, v[119:120]
	v_mov_b32_e32 v91, v117
	v_cndmask_b32_e32 v100, v120, v99, vcc
	v_cmp_gt_f64_e32 vcc, 0, v[95:96]
	v_mov_b32_e32 v99, v119
	v_add_f64 v[91:92], v[91:92], v[99:100]
	v_xor_b32_e32 v99, 0x80000000, v96
	v_cndmask_b32_e32 v100, v96, v99, vcc
	v_cmp_gt_f64_e32 vcc, 0, v[97:98]
	v_mov_b32_e32 v99, v95
	v_cndmask_b32_e32 v102, v98, v101, vcc
	v_mov_b32_e32 v101, v97
	v_add_f64 v[99:100], v[99:100], v[101:102]
	v_cmp_lt_f64_e32 vcc, v[91:92], v[99:100]
	v_mov_b32_e32 v91, s0
	s_add_i32 s0, s0, 1
	s_cmp_lg_u32 s3, s0
	v_cndmask_b32_e32 v118, v118, v96, vcc
	v_cndmask_b32_e32 v117, v117, v95, vcc
	v_cndmask_b32_e32 v120, v120, v98, vcc
	v_cndmask_b32_e32 v119, v119, v97, vcc
	v_cndmask_b32_e32 v89, v89, v91, vcc
	s_cbranch_scc1 .LBB114_337
.LBB114_338:
	s_waitcnt lgkmcnt(0)
	v_cmp_eq_f64_e32 vcc, 0, v[117:118]
	v_cmp_eq_f64_e64 s[0:1], 0, v[119:120]
	s_and_b64 s[0:1], vcc, s[0:1]
	s_and_saveexec_b64 s[18:19], s[0:1]
	s_xor_b64 s[0:1], exec, s[18:19]
; %bb.339:
	v_cmp_ne_u32_e32 vcc, 0, v94
	v_cndmask_b32_e32 v94, 17, v94, vcc
; %bb.340:
	s_andn2_saveexec_b64 s[0:1], s[0:1]
	s_cbranch_execz .LBB114_346
; %bb.341:
	v_cmp_ngt_f64_e64 s[18:19], |v[117:118]|, |v[119:120]|
	s_and_saveexec_b64 s[20:21], s[18:19]
	s_xor_b64 s[18:19], exec, s[20:21]
	s_cbranch_execz .LBB114_343
; %bb.342:
	v_div_scale_f64 v[90:91], s[20:21], v[119:120], v[119:120], v[117:118]
	v_rcp_f64_e32 v[95:96], v[90:91]
	v_fma_f64 v[97:98], -v[90:91], v[95:96], 1.0
	v_fma_f64 v[95:96], v[95:96], v[97:98], v[95:96]
	v_div_scale_f64 v[97:98], vcc, v[117:118], v[119:120], v[117:118]
	v_fma_f64 v[99:100], -v[90:91], v[95:96], 1.0
	v_fma_f64 v[95:96], v[95:96], v[99:100], v[95:96]
	v_mul_f64 v[99:100], v[97:98], v[95:96]
	v_fma_f64 v[90:91], -v[90:91], v[99:100], v[97:98]
	v_div_fmas_f64 v[90:91], v[90:91], v[95:96], v[99:100]
	v_div_fixup_f64 v[90:91], v[90:91], v[119:120], v[117:118]
	v_fma_f64 v[95:96], v[117:118], v[90:91], v[119:120]
	v_div_scale_f64 v[97:98], s[20:21], v[95:96], v[95:96], 1.0
	v_div_scale_f64 v[103:104], vcc, 1.0, v[95:96], 1.0
	v_rcp_f64_e32 v[99:100], v[97:98]
	v_fma_f64 v[101:102], -v[97:98], v[99:100], 1.0
	v_fma_f64 v[99:100], v[99:100], v[101:102], v[99:100]
	v_fma_f64 v[101:102], -v[97:98], v[99:100], 1.0
	v_fma_f64 v[99:100], v[99:100], v[101:102], v[99:100]
	v_mul_f64 v[101:102], v[103:104], v[99:100]
	v_fma_f64 v[97:98], -v[97:98], v[101:102], v[103:104]
	v_div_fmas_f64 v[97:98], v[97:98], v[99:100], v[101:102]
	v_div_fixup_f64 v[119:120], v[97:98], v[95:96], 1.0
	v_mul_f64 v[117:118], v[90:91], v[119:120]
	v_xor_b32_e32 v120, 0x80000000, v120
.LBB114_343:
	s_andn2_saveexec_b64 s[18:19], s[18:19]
	s_cbranch_execz .LBB114_345
; %bb.344:
	v_div_scale_f64 v[90:91], s[20:21], v[117:118], v[117:118], v[119:120]
	v_rcp_f64_e32 v[95:96], v[90:91]
	v_fma_f64 v[97:98], -v[90:91], v[95:96], 1.0
	v_fma_f64 v[95:96], v[95:96], v[97:98], v[95:96]
	v_div_scale_f64 v[97:98], vcc, v[119:120], v[117:118], v[119:120]
	v_fma_f64 v[99:100], -v[90:91], v[95:96], 1.0
	v_fma_f64 v[95:96], v[95:96], v[99:100], v[95:96]
	v_mul_f64 v[99:100], v[97:98], v[95:96]
	v_fma_f64 v[90:91], -v[90:91], v[99:100], v[97:98]
	v_div_fmas_f64 v[90:91], v[90:91], v[95:96], v[99:100]
	v_div_fixup_f64 v[90:91], v[90:91], v[117:118], v[119:120]
	v_fma_f64 v[95:96], v[119:120], v[90:91], v[117:118]
	v_div_scale_f64 v[97:98], s[20:21], v[95:96], v[95:96], 1.0
	v_div_scale_f64 v[103:104], vcc, 1.0, v[95:96], 1.0
	v_rcp_f64_e32 v[99:100], v[97:98]
	v_fma_f64 v[101:102], -v[97:98], v[99:100], 1.0
	v_fma_f64 v[99:100], v[99:100], v[101:102], v[99:100]
	v_fma_f64 v[101:102], -v[97:98], v[99:100], 1.0
	v_fma_f64 v[99:100], v[99:100], v[101:102], v[99:100]
	v_mul_f64 v[101:102], v[103:104], v[99:100]
	v_fma_f64 v[97:98], -v[97:98], v[101:102], v[103:104]
	v_div_fmas_f64 v[97:98], v[97:98], v[99:100], v[101:102]
	v_div_fixup_f64 v[117:118], v[97:98], v[95:96], 1.0
	v_mul_f64 v[119:120], v[90:91], -v[117:118]
.LBB114_345:
	s_or_b64 exec, exec, s[18:19]
.LBB114_346:
	s_or_b64 exec, exec, s[0:1]
	v_cmp_ne_u32_e32 vcc, v93, v89
	s_and_saveexec_b64 s[0:1], vcc
	s_xor_b64 s[0:1], exec, s[0:1]
	s_cbranch_execz .LBB114_352
; %bb.347:
	v_cmp_eq_u32_e32 vcc, 16, v93
	s_and_saveexec_b64 s[18:19], vcc
	s_cbranch_execz .LBB114_351
; %bb.348:
	v_cmp_ne_u32_e32 vcc, 16, v89
	s_xor_b64 s[20:21], s[6:7], -1
	s_and_b64 s[22:23], s[20:21], vcc
	s_and_saveexec_b64 s[20:21], s[22:23]
	s_cbranch_execz .LBB114_350
; %bb.349:
	v_mov_b32_e32 v77, v81
	v_mov_b32_e32 v78, v82
	v_mov_b32_e32 v79, v83
	v_mov_b32_e32 v80, v84
	buffer_load_dword v81, off, s[24:27], 0 offset:480 ; 4-byte Folded Reload
	buffer_load_dword v82, off, s[24:27], 0 offset:484 ; 4-byte Folded Reload
	v_ashrrev_i32_e32 v90, 31, v89
	v_lshlrev_b64 v[90:91], 2, v[89:90]
	s_waitcnt vmcnt(1)
	v_add_co_u32_e32 v90, vcc, v81, v90
	s_waitcnt vmcnt(0)
	v_addc_co_u32_e32 v91, vcc, v82, v91, vcc
	global_load_dword v92, v[90:91], off
	global_load_dword v93, v[81:82], off offset:64
	s_waitcnt vmcnt(1)
	global_store_dword v[81:82], v92, off offset:64
	v_mov_b32_e32 v84, v80
	v_mov_b32_e32 v83, v79
	;; [unrolled: 1-line block ×4, first 2 shown]
	s_waitcnt vmcnt(1)
	global_store_dword v[90:91], v93, off
.LBB114_350:
	s_or_b64 exec, exec, s[20:21]
	v_mov_b32_e32 v93, v89
	v_mov_b32_e32 v127, v89
.LBB114_351:
	s_or_b64 exec, exec, s[18:19]
.LBB114_352:
	s_andn2_saveexec_b64 s[0:1], s[0:1]
	s_cbranch_execz .LBB114_354
; %bb.353:
	buffer_load_dword v77, off, s[24:27], 0 offset:256 ; 4-byte Folded Reload
	buffer_load_dword v78, off, s[24:27], 0 offset:260 ; 4-byte Folded Reload
	;; [unrolled: 1-line block ×4, first 2 shown]
	v_mov_b32_e32 v93, 16
	s_waitcnt vmcnt(0)
	ds_write2_b64 v0, v[77:78], v[79:80] offset0:34 offset1:35
	buffer_load_dword v77, off, s[24:27], 0 offset:240 ; 4-byte Folded Reload
	buffer_load_dword v78, off, s[24:27], 0 offset:244 ; 4-byte Folded Reload
	buffer_load_dword v79, off, s[24:27], 0 offset:248 ; 4-byte Folded Reload
	buffer_load_dword v80, off, s[24:27], 0 offset:252 ; 4-byte Folded Reload
	s_waitcnt vmcnt(0)
	ds_write2_b64 v0, v[77:78], v[79:80] offset0:36 offset1:37
	buffer_load_dword v77, off, s[24:27], 0 offset:224 ; 4-byte Folded Reload
	buffer_load_dword v78, off, s[24:27], 0 offset:228 ; 4-byte Folded Reload
	buffer_load_dword v79, off, s[24:27], 0 offset:232 ; 4-byte Folded Reload
	buffer_load_dword v80, off, s[24:27], 0 offset:236 ; 4-byte Folded Reload
	;; [unrolled: 6-line block ×15, first 2 shown]
	s_waitcnt vmcnt(0)
	ds_write2_b64 v0, v[77:78], v[79:80] offset0:64 offset1:65
	ds_write2_b64 v0, v[81:82], v[83:84] offset0:66 offset1:67
	;; [unrolled: 1-line block ×5, first 2 shown]
	buffer_load_dword v77, off, s[24:27], 0 ; 4-byte Folded Reload
	buffer_load_dword v78, off, s[24:27], 0 offset:4 ; 4-byte Folded Reload
	buffer_load_dword v79, off, s[24:27], 0 offset:8 ; 4-byte Folded Reload
	;; [unrolled: 1-line block ×3, first 2 shown]
	s_waitcnt vmcnt(0)
	ds_write2_b64 v0, v[77:78], v[79:80] offset0:74 offset1:75
	ds_write2_b64 v0, v[73:74], v[75:76] offset0:76 offset1:77
	;; [unrolled: 1-line block ×21, first 2 shown]
.LBB114_354:
	s_or_b64 exec, exec, s[0:1]
	v_cmp_lt_i32_e32 vcc, 16, v93
	s_waitcnt vmcnt(0) lgkmcnt(0)
	s_barrier
	s_and_saveexec_b64 s[0:1], vcc
	s_cbranch_execz .LBB114_356
; %bb.355:
	buffer_load_dword v95, off, s[24:27], 0 offset:272 ; 4-byte Folded Reload
	buffer_load_dword v96, off, s[24:27], 0 offset:276 ; 4-byte Folded Reload
	;; [unrolled: 1-line block ×4, first 2 shown]
	s_waitcnt vmcnt(0)
	v_mul_f64 v[89:90], v[119:120], v[97:98]
	v_fma_f64 v[125:126], v[117:118], v[95:96], -v[89:90]
	v_mul_f64 v[89:90], v[117:118], v[97:98]
	v_fma_f64 v[97:98], v[119:120], v[95:96], v[89:90]
	ds_read2_b64 v[89:92], v0 offset0:34 offset1:35
	buffer_load_dword v77, off, s[24:27], 0 offset:256 ; 4-byte Folded Reload
	buffer_load_dword v78, off, s[24:27], 0 offset:260 ; 4-byte Folded Reload
	buffer_load_dword v79, off, s[24:27], 0 offset:264 ; 4-byte Folded Reload
	buffer_load_dword v80, off, s[24:27], 0 offset:268 ; 4-byte Folded Reload
	s_waitcnt lgkmcnt(0)
	v_mul_f64 v[95:96], v[91:92], v[97:98]
	v_fma_f64 v[95:96], v[89:90], v[125:126], -v[95:96]
	v_mul_f64 v[89:90], v[89:90], v[97:98]
	v_fma_f64 v[89:90], v[91:92], v[125:126], v[89:90]
	s_waitcnt vmcnt(2)
	v_add_f64 v[77:78], v[77:78], -v[95:96]
	s_waitcnt vmcnt(0)
	v_add_f64 v[79:80], v[79:80], -v[89:90]
	buffer_store_dword v77, off, s[24:27], 0 offset:256 ; 4-byte Folded Spill
	s_nop 0
	buffer_store_dword v78, off, s[24:27], 0 offset:260 ; 4-byte Folded Spill
	buffer_store_dword v79, off, s[24:27], 0 offset:264 ; 4-byte Folded Spill
	buffer_store_dword v80, off, s[24:27], 0 offset:268 ; 4-byte Folded Spill
	ds_read2_b64 v[89:92], v0 offset0:36 offset1:37
	buffer_load_dword v77, off, s[24:27], 0 offset:240 ; 4-byte Folded Reload
	buffer_load_dword v78, off, s[24:27], 0 offset:244 ; 4-byte Folded Reload
	buffer_load_dword v79, off, s[24:27], 0 offset:248 ; 4-byte Folded Reload
	buffer_load_dword v80, off, s[24:27], 0 offset:252 ; 4-byte Folded Reload
	s_waitcnt lgkmcnt(0)
	v_mul_f64 v[95:96], v[91:92], v[97:98]
	v_fma_f64 v[95:96], v[89:90], v[125:126], -v[95:96]
	v_mul_f64 v[89:90], v[89:90], v[97:98]
	v_fma_f64 v[89:90], v[91:92], v[125:126], v[89:90]
	s_waitcnt vmcnt(2)
	v_add_f64 v[77:78], v[77:78], -v[95:96]
	s_waitcnt vmcnt(0)
	v_add_f64 v[79:80], v[79:80], -v[89:90]
	buffer_store_dword v77, off, s[24:27], 0 offset:240 ; 4-byte Folded Spill
	s_nop 0
	buffer_store_dword v78, off, s[24:27], 0 offset:244 ; 4-byte Folded Spill
	buffer_store_dword v79, off, s[24:27], 0 offset:248 ; 4-byte Folded Spill
	buffer_store_dword v80, off, s[24:27], 0 offset:252 ; 4-byte Folded Spill
	;; [unrolled: 19-line block ×16, first 2 shown]
	ds_read2_b64 v[89:92], v0 offset0:66 offset1:67
	s_waitcnt lgkmcnt(0)
	v_mul_f64 v[95:96], v[91:92], v[97:98]
	v_fma_f64 v[95:96], v[89:90], v[125:126], -v[95:96]
	v_mul_f64 v[89:90], v[89:90], v[97:98]
	v_add_f64 v[81:82], v[81:82], -v[95:96]
	v_fma_f64 v[89:90], v[91:92], v[125:126], v[89:90]
	v_add_f64 v[83:84], v[83:84], -v[89:90]
	ds_read2_b64 v[89:92], v0 offset0:68 offset1:69
	s_waitcnt lgkmcnt(0)
	v_mul_f64 v[95:96], v[91:92], v[97:98]
	v_fma_f64 v[95:96], v[89:90], v[125:126], -v[95:96]
	v_mul_f64 v[89:90], v[89:90], v[97:98]
	v_add_f64 v[85:86], v[85:86], -v[95:96]
	v_fma_f64 v[89:90], v[91:92], v[125:126], v[89:90]
	v_add_f64 v[87:88], v[87:88], -v[89:90]
	;; [unrolled: 8-line block ×4, first 2 shown]
	ds_read2_b64 v[89:92], v0 offset0:74 offset1:75
	buffer_load_dword v77, off, s[24:27], 0 ; 4-byte Folded Reload
	buffer_load_dword v78, off, s[24:27], 0 offset:4 ; 4-byte Folded Reload
	buffer_load_dword v79, off, s[24:27], 0 offset:8 ; 4-byte Folded Reload
	;; [unrolled: 1-line block ×3, first 2 shown]
	s_waitcnt lgkmcnt(0)
	v_mul_f64 v[95:96], v[91:92], v[97:98]
	v_fma_f64 v[95:96], v[89:90], v[125:126], -v[95:96]
	v_mul_f64 v[89:90], v[89:90], v[97:98]
	v_fma_f64 v[89:90], v[91:92], v[125:126], v[89:90]
	s_waitcnt vmcnt(2)
	v_add_f64 v[77:78], v[77:78], -v[95:96]
	s_waitcnt vmcnt(0)
	v_add_f64 v[79:80], v[79:80], -v[89:90]
	buffer_store_dword v77, off, s[24:27], 0 ; 4-byte Folded Spill
	s_nop 0
	buffer_store_dword v78, off, s[24:27], 0 offset:4 ; 4-byte Folded Spill
	buffer_store_dword v79, off, s[24:27], 0 offset:8 ; 4-byte Folded Spill
	;; [unrolled: 1-line block ×3, first 2 shown]
	ds_read2_b64 v[89:92], v0 offset0:76 offset1:77
	s_waitcnt lgkmcnt(0)
	v_mul_f64 v[95:96], v[91:92], v[97:98]
	v_fma_f64 v[95:96], v[89:90], v[125:126], -v[95:96]
	v_mul_f64 v[89:90], v[89:90], v[97:98]
	v_add_f64 v[73:74], v[73:74], -v[95:96]
	v_fma_f64 v[89:90], v[91:92], v[125:126], v[89:90]
	v_add_f64 v[75:76], v[75:76], -v[89:90]
	ds_read2_b64 v[89:92], v0 offset0:78 offset1:79
	s_waitcnt lgkmcnt(0)
	v_mul_f64 v[95:96], v[91:92], v[97:98]
	v_fma_f64 v[95:96], v[89:90], v[125:126], -v[95:96]
	v_mul_f64 v[89:90], v[89:90], v[97:98]
	v_add_f64 v[69:70], v[69:70], -v[95:96]
	v_fma_f64 v[89:90], v[91:92], v[125:126], v[89:90]
	v_add_f64 v[71:72], v[71:72], -v[89:90]
	;; [unrolled: 8-line block ×19, first 2 shown]
	ds_read2_b64 v[89:92], v0 offset0:114 offset1:115
	s_waitcnt lgkmcnt(0)
	v_mul_f64 v[95:96], v[91:92], v[97:98]
	v_fma_f64 v[95:96], v[89:90], v[125:126], -v[95:96]
	v_mul_f64 v[89:90], v[89:90], v[97:98]
	v_add_f64 v[121:122], v[121:122], -v[95:96]
	v_fma_f64 v[89:90], v[91:92], v[125:126], v[89:90]
	v_mov_b32_e32 v95, v125
	v_mov_b32_e32 v96, v126
	buffer_store_dword v95, off, s[24:27], 0 offset:272 ; 4-byte Folded Spill
	s_nop 0
	buffer_store_dword v96, off, s[24:27], 0 offset:276 ; 4-byte Folded Spill
	buffer_store_dword v97, off, s[24:27], 0 offset:280 ; 4-byte Folded Spill
	;; [unrolled: 1-line block ×3, first 2 shown]
	v_add_f64 v[123:124], v[123:124], -v[89:90]
.LBB114_356:
	s_or_b64 exec, exec, s[0:1]
	s_waitcnt vmcnt(0)
	s_barrier
	buffer_load_dword v77, off, s[24:27], 0 offset:256 ; 4-byte Folded Reload
	buffer_load_dword v78, off, s[24:27], 0 offset:260 ; 4-byte Folded Reload
	;; [unrolled: 1-line block ×4, first 2 shown]
	v_lshl_add_u32 v89, v93, 4, v0
	s_cmp_lt_i32 s3, 19
	s_waitcnt vmcnt(0)
	ds_write2_b64 v89, v[77:78], v[79:80] offset1:1
	s_waitcnt lgkmcnt(0)
	s_barrier
	ds_read2_b64 v[117:120], v0 offset0:34 offset1:35
	v_mov_b32_e32 v89, 17
	s_cbranch_scc1 .LBB114_359
; %bb.357:
	v_add_u32_e32 v90, 0x120, v0
	s_mov_b32 s0, 18
	v_mov_b32_e32 v89, 17
.LBB114_358:                            ; =>This Inner Loop Header: Depth=1
	s_waitcnt lgkmcnt(0)
	v_cmp_gt_f64_e32 vcc, 0, v[117:118]
	v_xor_b32_e32 v91, 0x80000000, v118
	ds_read2_b64 v[95:98], v90 offset1:1
	v_xor_b32_e32 v99, 0x80000000, v120
	v_add_u32_e32 v90, 16, v90
	s_waitcnt lgkmcnt(0)
	v_xor_b32_e32 v101, 0x80000000, v98
	v_cndmask_b32_e32 v92, v118, v91, vcc
	v_cmp_gt_f64_e32 vcc, 0, v[119:120]
	v_mov_b32_e32 v91, v117
	v_cndmask_b32_e32 v100, v120, v99, vcc
	v_cmp_gt_f64_e32 vcc, 0, v[95:96]
	v_mov_b32_e32 v99, v119
	v_add_f64 v[91:92], v[91:92], v[99:100]
	v_xor_b32_e32 v99, 0x80000000, v96
	v_cndmask_b32_e32 v100, v96, v99, vcc
	v_cmp_gt_f64_e32 vcc, 0, v[97:98]
	v_mov_b32_e32 v99, v95
	v_cndmask_b32_e32 v102, v98, v101, vcc
	v_mov_b32_e32 v101, v97
	v_add_f64 v[99:100], v[99:100], v[101:102]
	v_cmp_lt_f64_e32 vcc, v[91:92], v[99:100]
	v_mov_b32_e32 v91, s0
	s_add_i32 s0, s0, 1
	s_cmp_lg_u32 s3, s0
	v_cndmask_b32_e32 v118, v118, v96, vcc
	v_cndmask_b32_e32 v117, v117, v95, vcc
	;; [unrolled: 1-line block ×5, first 2 shown]
	s_cbranch_scc1 .LBB114_358
.LBB114_359:
	s_waitcnt lgkmcnt(0)
	v_cmp_eq_f64_e32 vcc, 0, v[117:118]
	v_cmp_eq_f64_e64 s[0:1], 0, v[119:120]
	s_and_b64 s[0:1], vcc, s[0:1]
	s_and_saveexec_b64 s[18:19], s[0:1]
	s_xor_b64 s[0:1], exec, s[18:19]
; %bb.360:
	v_cmp_ne_u32_e32 vcc, 0, v94
	v_cndmask_b32_e32 v94, 18, v94, vcc
; %bb.361:
	s_andn2_saveexec_b64 s[0:1], s[0:1]
	s_cbranch_execz .LBB114_367
; %bb.362:
	v_cmp_ngt_f64_e64 s[18:19], |v[117:118]|, |v[119:120]|
	s_and_saveexec_b64 s[20:21], s[18:19]
	s_xor_b64 s[18:19], exec, s[20:21]
	s_cbranch_execz .LBB114_364
; %bb.363:
	v_div_scale_f64 v[90:91], s[20:21], v[119:120], v[119:120], v[117:118]
	v_rcp_f64_e32 v[95:96], v[90:91]
	v_fma_f64 v[97:98], -v[90:91], v[95:96], 1.0
	v_fma_f64 v[95:96], v[95:96], v[97:98], v[95:96]
	v_div_scale_f64 v[97:98], vcc, v[117:118], v[119:120], v[117:118]
	v_fma_f64 v[99:100], -v[90:91], v[95:96], 1.0
	v_fma_f64 v[95:96], v[95:96], v[99:100], v[95:96]
	v_mul_f64 v[99:100], v[97:98], v[95:96]
	v_fma_f64 v[90:91], -v[90:91], v[99:100], v[97:98]
	v_div_fmas_f64 v[90:91], v[90:91], v[95:96], v[99:100]
	v_div_fixup_f64 v[90:91], v[90:91], v[119:120], v[117:118]
	v_fma_f64 v[95:96], v[117:118], v[90:91], v[119:120]
	v_div_scale_f64 v[97:98], s[20:21], v[95:96], v[95:96], 1.0
	v_div_scale_f64 v[103:104], vcc, 1.0, v[95:96], 1.0
	v_rcp_f64_e32 v[99:100], v[97:98]
	v_fma_f64 v[101:102], -v[97:98], v[99:100], 1.0
	v_fma_f64 v[99:100], v[99:100], v[101:102], v[99:100]
	v_fma_f64 v[101:102], -v[97:98], v[99:100], 1.0
	v_fma_f64 v[99:100], v[99:100], v[101:102], v[99:100]
	v_mul_f64 v[101:102], v[103:104], v[99:100]
	v_fma_f64 v[97:98], -v[97:98], v[101:102], v[103:104]
	v_div_fmas_f64 v[97:98], v[97:98], v[99:100], v[101:102]
	v_div_fixup_f64 v[119:120], v[97:98], v[95:96], 1.0
	v_mul_f64 v[117:118], v[90:91], v[119:120]
	v_xor_b32_e32 v120, 0x80000000, v120
.LBB114_364:
	s_andn2_saveexec_b64 s[18:19], s[18:19]
	s_cbranch_execz .LBB114_366
; %bb.365:
	v_div_scale_f64 v[90:91], s[20:21], v[117:118], v[117:118], v[119:120]
	v_rcp_f64_e32 v[95:96], v[90:91]
	v_fma_f64 v[97:98], -v[90:91], v[95:96], 1.0
	v_fma_f64 v[95:96], v[95:96], v[97:98], v[95:96]
	v_div_scale_f64 v[97:98], vcc, v[119:120], v[117:118], v[119:120]
	v_fma_f64 v[99:100], -v[90:91], v[95:96], 1.0
	v_fma_f64 v[95:96], v[95:96], v[99:100], v[95:96]
	v_mul_f64 v[99:100], v[97:98], v[95:96]
	v_fma_f64 v[90:91], -v[90:91], v[99:100], v[97:98]
	v_div_fmas_f64 v[90:91], v[90:91], v[95:96], v[99:100]
	v_div_fixup_f64 v[90:91], v[90:91], v[117:118], v[119:120]
	v_fma_f64 v[95:96], v[119:120], v[90:91], v[117:118]
	v_div_scale_f64 v[97:98], s[20:21], v[95:96], v[95:96], 1.0
	v_div_scale_f64 v[103:104], vcc, 1.0, v[95:96], 1.0
	v_rcp_f64_e32 v[99:100], v[97:98]
	v_fma_f64 v[101:102], -v[97:98], v[99:100], 1.0
	v_fma_f64 v[99:100], v[99:100], v[101:102], v[99:100]
	v_fma_f64 v[101:102], -v[97:98], v[99:100], 1.0
	v_fma_f64 v[99:100], v[99:100], v[101:102], v[99:100]
	v_mul_f64 v[101:102], v[103:104], v[99:100]
	v_fma_f64 v[97:98], -v[97:98], v[101:102], v[103:104]
	v_div_fmas_f64 v[97:98], v[97:98], v[99:100], v[101:102]
	v_div_fixup_f64 v[117:118], v[97:98], v[95:96], 1.0
	v_mul_f64 v[119:120], v[90:91], -v[117:118]
.LBB114_366:
	s_or_b64 exec, exec, s[18:19]
.LBB114_367:
	s_or_b64 exec, exec, s[0:1]
	v_cmp_ne_u32_e32 vcc, v93, v89
	s_and_saveexec_b64 s[0:1], vcc
	s_xor_b64 s[0:1], exec, s[0:1]
	s_cbranch_execz .LBB114_373
; %bb.368:
	v_cmp_eq_u32_e32 vcc, 17, v93
	s_and_saveexec_b64 s[18:19], vcc
	s_cbranch_execz .LBB114_372
; %bb.369:
	v_cmp_ne_u32_e32 vcc, 17, v89
	s_xor_b64 s[20:21], s[6:7], -1
	s_and_b64 s[22:23], s[20:21], vcc
	s_and_saveexec_b64 s[20:21], s[22:23]
	s_cbranch_execz .LBB114_371
; %bb.370:
	v_mov_b32_e32 v77, v81
	v_mov_b32_e32 v78, v82
	;; [unrolled: 1-line block ×4, first 2 shown]
	buffer_load_dword v81, off, s[24:27], 0 offset:480 ; 4-byte Folded Reload
	buffer_load_dword v82, off, s[24:27], 0 offset:484 ; 4-byte Folded Reload
	v_ashrrev_i32_e32 v90, 31, v89
	v_lshlrev_b64 v[90:91], 2, v[89:90]
	s_waitcnt vmcnt(1)
	v_add_co_u32_e32 v90, vcc, v81, v90
	s_waitcnt vmcnt(0)
	v_addc_co_u32_e32 v91, vcc, v82, v91, vcc
	global_load_dword v92, v[90:91], off
	global_load_dword v93, v[81:82], off offset:68
	s_waitcnt vmcnt(1)
	global_store_dword v[81:82], v92, off offset:68
	v_mov_b32_e32 v84, v80
	v_mov_b32_e32 v83, v79
	v_mov_b32_e32 v82, v78
	v_mov_b32_e32 v81, v77
	s_waitcnt vmcnt(1)
	global_store_dword v[90:91], v93, off
.LBB114_371:
	s_or_b64 exec, exec, s[20:21]
	v_mov_b32_e32 v93, v89
	v_mov_b32_e32 v127, v89
.LBB114_372:
	s_or_b64 exec, exec, s[18:19]
.LBB114_373:
	s_andn2_saveexec_b64 s[0:1], s[0:1]
	s_cbranch_execz .LBB114_375
; %bb.374:
	buffer_load_dword v77, off, s[24:27], 0 offset:240 ; 4-byte Folded Reload
	buffer_load_dword v78, off, s[24:27], 0 offset:244 ; 4-byte Folded Reload
	;; [unrolled: 1-line block ×4, first 2 shown]
	v_mov_b32_e32 v93, 17
	s_waitcnt vmcnt(0)
	ds_write2_b64 v0, v[77:78], v[79:80] offset0:36 offset1:37
	buffer_load_dword v77, off, s[24:27], 0 offset:224 ; 4-byte Folded Reload
	buffer_load_dword v78, off, s[24:27], 0 offset:228 ; 4-byte Folded Reload
	buffer_load_dword v79, off, s[24:27], 0 offset:232 ; 4-byte Folded Reload
	buffer_load_dword v80, off, s[24:27], 0 offset:236 ; 4-byte Folded Reload
	s_waitcnt vmcnt(0)
	ds_write2_b64 v0, v[77:78], v[79:80] offset0:38 offset1:39
	buffer_load_dword v77, off, s[24:27], 0 offset:208 ; 4-byte Folded Reload
	buffer_load_dword v78, off, s[24:27], 0 offset:212 ; 4-byte Folded Reload
	buffer_load_dword v79, off, s[24:27], 0 offset:216 ; 4-byte Folded Reload
	buffer_load_dword v80, off, s[24:27], 0 offset:220 ; 4-byte Folded Reload
	;; [unrolled: 6-line block ×14, first 2 shown]
	s_waitcnt vmcnt(0)
	ds_write2_b64 v0, v[77:78], v[79:80] offset0:64 offset1:65
	ds_write2_b64 v0, v[81:82], v[83:84] offset0:66 offset1:67
	;; [unrolled: 1-line block ×5, first 2 shown]
	buffer_load_dword v77, off, s[24:27], 0 ; 4-byte Folded Reload
	buffer_load_dword v78, off, s[24:27], 0 offset:4 ; 4-byte Folded Reload
	buffer_load_dword v79, off, s[24:27], 0 offset:8 ; 4-byte Folded Reload
	;; [unrolled: 1-line block ×3, first 2 shown]
	s_waitcnt vmcnt(0)
	ds_write2_b64 v0, v[77:78], v[79:80] offset0:74 offset1:75
	ds_write2_b64 v0, v[73:74], v[75:76] offset0:76 offset1:77
	;; [unrolled: 1-line block ×21, first 2 shown]
.LBB114_375:
	s_or_b64 exec, exec, s[0:1]
	v_cmp_lt_i32_e32 vcc, 17, v93
	s_waitcnt vmcnt(0) lgkmcnt(0)
	s_barrier
	s_and_saveexec_b64 s[0:1], vcc
	s_cbranch_execz .LBB114_377
; %bb.376:
	buffer_load_dword v95, off, s[24:27], 0 offset:256 ; 4-byte Folded Reload
	buffer_load_dword v96, off, s[24:27], 0 offset:260 ; 4-byte Folded Reload
	;; [unrolled: 1-line block ×4, first 2 shown]
	s_waitcnt vmcnt(0)
	v_mul_f64 v[89:90], v[119:120], v[97:98]
	v_fma_f64 v[125:126], v[117:118], v[95:96], -v[89:90]
	v_mul_f64 v[89:90], v[117:118], v[97:98]
	v_fma_f64 v[97:98], v[119:120], v[95:96], v[89:90]
	ds_read2_b64 v[89:92], v0 offset0:36 offset1:37
	buffer_load_dword v77, off, s[24:27], 0 offset:240 ; 4-byte Folded Reload
	buffer_load_dword v78, off, s[24:27], 0 offset:244 ; 4-byte Folded Reload
	buffer_load_dword v79, off, s[24:27], 0 offset:248 ; 4-byte Folded Reload
	buffer_load_dword v80, off, s[24:27], 0 offset:252 ; 4-byte Folded Reload
	s_waitcnt lgkmcnt(0)
	v_mul_f64 v[95:96], v[91:92], v[97:98]
	v_fma_f64 v[95:96], v[89:90], v[125:126], -v[95:96]
	v_mul_f64 v[89:90], v[89:90], v[97:98]
	v_fma_f64 v[89:90], v[91:92], v[125:126], v[89:90]
	s_waitcnt vmcnt(2)
	v_add_f64 v[77:78], v[77:78], -v[95:96]
	s_waitcnt vmcnt(0)
	v_add_f64 v[79:80], v[79:80], -v[89:90]
	buffer_store_dword v77, off, s[24:27], 0 offset:240 ; 4-byte Folded Spill
	s_nop 0
	buffer_store_dword v78, off, s[24:27], 0 offset:244 ; 4-byte Folded Spill
	buffer_store_dword v79, off, s[24:27], 0 offset:248 ; 4-byte Folded Spill
	buffer_store_dword v80, off, s[24:27], 0 offset:252 ; 4-byte Folded Spill
	ds_read2_b64 v[89:92], v0 offset0:38 offset1:39
	buffer_load_dword v77, off, s[24:27], 0 offset:224 ; 4-byte Folded Reload
	buffer_load_dword v78, off, s[24:27], 0 offset:228 ; 4-byte Folded Reload
	buffer_load_dword v79, off, s[24:27], 0 offset:232 ; 4-byte Folded Reload
	buffer_load_dword v80, off, s[24:27], 0 offset:236 ; 4-byte Folded Reload
	s_waitcnt lgkmcnt(0)
	v_mul_f64 v[95:96], v[91:92], v[97:98]
	v_fma_f64 v[95:96], v[89:90], v[125:126], -v[95:96]
	v_mul_f64 v[89:90], v[89:90], v[97:98]
	v_fma_f64 v[89:90], v[91:92], v[125:126], v[89:90]
	s_waitcnt vmcnt(2)
	v_add_f64 v[77:78], v[77:78], -v[95:96]
	s_waitcnt vmcnt(0)
	v_add_f64 v[79:80], v[79:80], -v[89:90]
	buffer_store_dword v77, off, s[24:27], 0 offset:224 ; 4-byte Folded Spill
	s_nop 0
	buffer_store_dword v78, off, s[24:27], 0 offset:228 ; 4-byte Folded Spill
	buffer_store_dword v79, off, s[24:27], 0 offset:232 ; 4-byte Folded Spill
	buffer_store_dword v80, off, s[24:27], 0 offset:236 ; 4-byte Folded Spill
	;; [unrolled: 19-line block ×15, first 2 shown]
	ds_read2_b64 v[89:92], v0 offset0:66 offset1:67
	s_waitcnt lgkmcnt(0)
	v_mul_f64 v[95:96], v[91:92], v[97:98]
	v_fma_f64 v[95:96], v[89:90], v[125:126], -v[95:96]
	v_mul_f64 v[89:90], v[89:90], v[97:98]
	v_add_f64 v[81:82], v[81:82], -v[95:96]
	v_fma_f64 v[89:90], v[91:92], v[125:126], v[89:90]
	v_add_f64 v[83:84], v[83:84], -v[89:90]
	ds_read2_b64 v[89:92], v0 offset0:68 offset1:69
	s_waitcnt lgkmcnt(0)
	v_mul_f64 v[95:96], v[91:92], v[97:98]
	v_fma_f64 v[95:96], v[89:90], v[125:126], -v[95:96]
	v_mul_f64 v[89:90], v[89:90], v[97:98]
	v_add_f64 v[85:86], v[85:86], -v[95:96]
	v_fma_f64 v[89:90], v[91:92], v[125:126], v[89:90]
	v_add_f64 v[87:88], v[87:88], -v[89:90]
	ds_read2_b64 v[89:92], v0 offset0:70 offset1:71
	s_waitcnt lgkmcnt(0)
	v_mul_f64 v[95:96], v[91:92], v[97:98]
	v_fma_f64 v[95:96], v[89:90], v[125:126], -v[95:96]
	v_mul_f64 v[89:90], v[89:90], v[97:98]
	v_add_f64 v[109:110], v[109:110], -v[95:96]
	v_fma_f64 v[89:90], v[91:92], v[125:126], v[89:90]
	v_add_f64 v[111:112], v[111:112], -v[89:90]
	ds_read2_b64 v[89:92], v0 offset0:72 offset1:73
	s_waitcnt lgkmcnt(0)
	v_mul_f64 v[95:96], v[91:92], v[97:98]
	v_fma_f64 v[95:96], v[89:90], v[125:126], -v[95:96]
	v_mul_f64 v[89:90], v[89:90], v[97:98]
	v_add_f64 v[113:114], v[113:114], -v[95:96]
	v_fma_f64 v[89:90], v[91:92], v[125:126], v[89:90]
	v_add_f64 v[115:116], v[115:116], -v[89:90]
	ds_read2_b64 v[89:92], v0 offset0:74 offset1:75
	buffer_load_dword v77, off, s[24:27], 0 ; 4-byte Folded Reload
	buffer_load_dword v78, off, s[24:27], 0 offset:4 ; 4-byte Folded Reload
	buffer_load_dword v79, off, s[24:27], 0 offset:8 ; 4-byte Folded Reload
	;; [unrolled: 1-line block ×3, first 2 shown]
	s_waitcnt lgkmcnt(0)
	v_mul_f64 v[95:96], v[91:92], v[97:98]
	v_fma_f64 v[95:96], v[89:90], v[125:126], -v[95:96]
	v_mul_f64 v[89:90], v[89:90], v[97:98]
	v_fma_f64 v[89:90], v[91:92], v[125:126], v[89:90]
	s_waitcnt vmcnt(2)
	v_add_f64 v[77:78], v[77:78], -v[95:96]
	s_waitcnt vmcnt(0)
	v_add_f64 v[79:80], v[79:80], -v[89:90]
	buffer_store_dword v77, off, s[24:27], 0 ; 4-byte Folded Spill
	s_nop 0
	buffer_store_dword v78, off, s[24:27], 0 offset:4 ; 4-byte Folded Spill
	buffer_store_dword v79, off, s[24:27], 0 offset:8 ; 4-byte Folded Spill
	buffer_store_dword v80, off, s[24:27], 0 offset:12 ; 4-byte Folded Spill
	ds_read2_b64 v[89:92], v0 offset0:76 offset1:77
	s_waitcnt lgkmcnt(0)
	v_mul_f64 v[95:96], v[91:92], v[97:98]
	v_fma_f64 v[95:96], v[89:90], v[125:126], -v[95:96]
	v_mul_f64 v[89:90], v[89:90], v[97:98]
	v_add_f64 v[73:74], v[73:74], -v[95:96]
	v_fma_f64 v[89:90], v[91:92], v[125:126], v[89:90]
	v_add_f64 v[75:76], v[75:76], -v[89:90]
	ds_read2_b64 v[89:92], v0 offset0:78 offset1:79
	s_waitcnt lgkmcnt(0)
	v_mul_f64 v[95:96], v[91:92], v[97:98]
	v_fma_f64 v[95:96], v[89:90], v[125:126], -v[95:96]
	v_mul_f64 v[89:90], v[89:90], v[97:98]
	v_add_f64 v[69:70], v[69:70], -v[95:96]
	v_fma_f64 v[89:90], v[91:92], v[125:126], v[89:90]
	v_add_f64 v[71:72], v[71:72], -v[89:90]
	;; [unrolled: 8-line block ×19, first 2 shown]
	ds_read2_b64 v[89:92], v0 offset0:114 offset1:115
	s_waitcnt lgkmcnt(0)
	v_mul_f64 v[95:96], v[91:92], v[97:98]
	v_fma_f64 v[95:96], v[89:90], v[125:126], -v[95:96]
	v_mul_f64 v[89:90], v[89:90], v[97:98]
	v_add_f64 v[121:122], v[121:122], -v[95:96]
	v_fma_f64 v[89:90], v[91:92], v[125:126], v[89:90]
	v_mov_b32_e32 v95, v125
	v_mov_b32_e32 v96, v126
	buffer_store_dword v95, off, s[24:27], 0 offset:256 ; 4-byte Folded Spill
	s_nop 0
	buffer_store_dword v96, off, s[24:27], 0 offset:260 ; 4-byte Folded Spill
	buffer_store_dword v97, off, s[24:27], 0 offset:264 ; 4-byte Folded Spill
	;; [unrolled: 1-line block ×3, first 2 shown]
	v_add_f64 v[123:124], v[123:124], -v[89:90]
.LBB114_377:
	s_or_b64 exec, exec, s[0:1]
	s_waitcnt vmcnt(0)
	s_barrier
	buffer_load_dword v77, off, s[24:27], 0 offset:240 ; 4-byte Folded Reload
	buffer_load_dword v78, off, s[24:27], 0 offset:244 ; 4-byte Folded Reload
	;; [unrolled: 1-line block ×4, first 2 shown]
	v_lshl_add_u32 v89, v93, 4, v0
	s_cmp_lt_i32 s3, 20
	s_waitcnt vmcnt(0)
	ds_write2_b64 v89, v[77:78], v[79:80] offset1:1
	s_waitcnt lgkmcnt(0)
	s_barrier
	ds_read2_b64 v[117:120], v0 offset0:36 offset1:37
	v_mov_b32_e32 v89, 18
	s_cbranch_scc1 .LBB114_380
; %bb.378:
	v_add_u32_e32 v90, 0x130, v0
	s_mov_b32 s0, 19
	v_mov_b32_e32 v89, 18
.LBB114_379:                            ; =>This Inner Loop Header: Depth=1
	s_waitcnt lgkmcnt(0)
	v_cmp_gt_f64_e32 vcc, 0, v[117:118]
	v_xor_b32_e32 v91, 0x80000000, v118
	ds_read2_b64 v[95:98], v90 offset1:1
	v_xor_b32_e32 v99, 0x80000000, v120
	v_add_u32_e32 v90, 16, v90
	s_waitcnt lgkmcnt(0)
	v_xor_b32_e32 v101, 0x80000000, v98
	v_cndmask_b32_e32 v92, v118, v91, vcc
	v_cmp_gt_f64_e32 vcc, 0, v[119:120]
	v_mov_b32_e32 v91, v117
	v_cndmask_b32_e32 v100, v120, v99, vcc
	v_cmp_gt_f64_e32 vcc, 0, v[95:96]
	v_mov_b32_e32 v99, v119
	v_add_f64 v[91:92], v[91:92], v[99:100]
	v_xor_b32_e32 v99, 0x80000000, v96
	v_cndmask_b32_e32 v100, v96, v99, vcc
	v_cmp_gt_f64_e32 vcc, 0, v[97:98]
	v_mov_b32_e32 v99, v95
	v_cndmask_b32_e32 v102, v98, v101, vcc
	v_mov_b32_e32 v101, v97
	v_add_f64 v[99:100], v[99:100], v[101:102]
	v_cmp_lt_f64_e32 vcc, v[91:92], v[99:100]
	v_mov_b32_e32 v91, s0
	s_add_i32 s0, s0, 1
	s_cmp_lg_u32 s3, s0
	v_cndmask_b32_e32 v118, v118, v96, vcc
	v_cndmask_b32_e32 v117, v117, v95, vcc
	;; [unrolled: 1-line block ×5, first 2 shown]
	s_cbranch_scc1 .LBB114_379
.LBB114_380:
	s_waitcnt lgkmcnt(0)
	v_cmp_eq_f64_e32 vcc, 0, v[117:118]
	v_cmp_eq_f64_e64 s[0:1], 0, v[119:120]
	s_and_b64 s[0:1], vcc, s[0:1]
	s_and_saveexec_b64 s[18:19], s[0:1]
	s_xor_b64 s[0:1], exec, s[18:19]
; %bb.381:
	v_cmp_ne_u32_e32 vcc, 0, v94
	v_cndmask_b32_e32 v94, 19, v94, vcc
; %bb.382:
	s_andn2_saveexec_b64 s[0:1], s[0:1]
	s_cbranch_execz .LBB114_388
; %bb.383:
	v_cmp_ngt_f64_e64 s[18:19], |v[117:118]|, |v[119:120]|
	s_and_saveexec_b64 s[20:21], s[18:19]
	s_xor_b64 s[18:19], exec, s[20:21]
	s_cbranch_execz .LBB114_385
; %bb.384:
	v_div_scale_f64 v[90:91], s[20:21], v[119:120], v[119:120], v[117:118]
	v_rcp_f64_e32 v[95:96], v[90:91]
	v_fma_f64 v[97:98], -v[90:91], v[95:96], 1.0
	v_fma_f64 v[95:96], v[95:96], v[97:98], v[95:96]
	v_div_scale_f64 v[97:98], vcc, v[117:118], v[119:120], v[117:118]
	v_fma_f64 v[99:100], -v[90:91], v[95:96], 1.0
	v_fma_f64 v[95:96], v[95:96], v[99:100], v[95:96]
	v_mul_f64 v[99:100], v[97:98], v[95:96]
	v_fma_f64 v[90:91], -v[90:91], v[99:100], v[97:98]
	v_div_fmas_f64 v[90:91], v[90:91], v[95:96], v[99:100]
	v_div_fixup_f64 v[90:91], v[90:91], v[119:120], v[117:118]
	v_fma_f64 v[95:96], v[117:118], v[90:91], v[119:120]
	v_div_scale_f64 v[97:98], s[20:21], v[95:96], v[95:96], 1.0
	v_div_scale_f64 v[103:104], vcc, 1.0, v[95:96], 1.0
	v_rcp_f64_e32 v[99:100], v[97:98]
	v_fma_f64 v[101:102], -v[97:98], v[99:100], 1.0
	v_fma_f64 v[99:100], v[99:100], v[101:102], v[99:100]
	v_fma_f64 v[101:102], -v[97:98], v[99:100], 1.0
	v_fma_f64 v[99:100], v[99:100], v[101:102], v[99:100]
	v_mul_f64 v[101:102], v[103:104], v[99:100]
	v_fma_f64 v[97:98], -v[97:98], v[101:102], v[103:104]
	v_div_fmas_f64 v[97:98], v[97:98], v[99:100], v[101:102]
	v_div_fixup_f64 v[119:120], v[97:98], v[95:96], 1.0
	v_mul_f64 v[117:118], v[90:91], v[119:120]
	v_xor_b32_e32 v120, 0x80000000, v120
.LBB114_385:
	s_andn2_saveexec_b64 s[18:19], s[18:19]
	s_cbranch_execz .LBB114_387
; %bb.386:
	v_div_scale_f64 v[90:91], s[20:21], v[117:118], v[117:118], v[119:120]
	v_rcp_f64_e32 v[95:96], v[90:91]
	v_fma_f64 v[97:98], -v[90:91], v[95:96], 1.0
	v_fma_f64 v[95:96], v[95:96], v[97:98], v[95:96]
	v_div_scale_f64 v[97:98], vcc, v[119:120], v[117:118], v[119:120]
	v_fma_f64 v[99:100], -v[90:91], v[95:96], 1.0
	v_fma_f64 v[95:96], v[95:96], v[99:100], v[95:96]
	v_mul_f64 v[99:100], v[97:98], v[95:96]
	v_fma_f64 v[90:91], -v[90:91], v[99:100], v[97:98]
	v_div_fmas_f64 v[90:91], v[90:91], v[95:96], v[99:100]
	v_div_fixup_f64 v[90:91], v[90:91], v[117:118], v[119:120]
	v_fma_f64 v[95:96], v[119:120], v[90:91], v[117:118]
	v_div_scale_f64 v[97:98], s[20:21], v[95:96], v[95:96], 1.0
	v_div_scale_f64 v[103:104], vcc, 1.0, v[95:96], 1.0
	v_rcp_f64_e32 v[99:100], v[97:98]
	v_fma_f64 v[101:102], -v[97:98], v[99:100], 1.0
	v_fma_f64 v[99:100], v[99:100], v[101:102], v[99:100]
	v_fma_f64 v[101:102], -v[97:98], v[99:100], 1.0
	v_fma_f64 v[99:100], v[99:100], v[101:102], v[99:100]
	v_mul_f64 v[101:102], v[103:104], v[99:100]
	v_fma_f64 v[97:98], -v[97:98], v[101:102], v[103:104]
	v_div_fmas_f64 v[97:98], v[97:98], v[99:100], v[101:102]
	v_div_fixup_f64 v[117:118], v[97:98], v[95:96], 1.0
	v_mul_f64 v[119:120], v[90:91], -v[117:118]
.LBB114_387:
	s_or_b64 exec, exec, s[18:19]
.LBB114_388:
	s_or_b64 exec, exec, s[0:1]
	v_cmp_ne_u32_e32 vcc, v93, v89
	s_and_saveexec_b64 s[0:1], vcc
	s_xor_b64 s[0:1], exec, s[0:1]
	s_cbranch_execz .LBB114_394
; %bb.389:
	v_cmp_eq_u32_e32 vcc, 18, v93
	s_and_saveexec_b64 s[18:19], vcc
	s_cbranch_execz .LBB114_393
; %bb.390:
	v_cmp_ne_u32_e32 vcc, 18, v89
	s_xor_b64 s[20:21], s[6:7], -1
	s_and_b64 s[22:23], s[20:21], vcc
	s_and_saveexec_b64 s[20:21], s[22:23]
	s_cbranch_execz .LBB114_392
; %bb.391:
	v_mov_b32_e32 v77, v81
	v_mov_b32_e32 v78, v82
	v_mov_b32_e32 v79, v83
	v_mov_b32_e32 v80, v84
	buffer_load_dword v81, off, s[24:27], 0 offset:480 ; 4-byte Folded Reload
	buffer_load_dword v82, off, s[24:27], 0 offset:484 ; 4-byte Folded Reload
	v_ashrrev_i32_e32 v90, 31, v89
	v_lshlrev_b64 v[90:91], 2, v[89:90]
	s_waitcnt vmcnt(1)
	v_add_co_u32_e32 v90, vcc, v81, v90
	s_waitcnt vmcnt(0)
	v_addc_co_u32_e32 v91, vcc, v82, v91, vcc
	global_load_dword v92, v[90:91], off
	global_load_dword v93, v[81:82], off offset:72
	s_waitcnt vmcnt(1)
	global_store_dword v[81:82], v92, off offset:72
	v_mov_b32_e32 v84, v80
	v_mov_b32_e32 v83, v79
	;; [unrolled: 1-line block ×4, first 2 shown]
	s_waitcnt vmcnt(1)
	global_store_dword v[90:91], v93, off
.LBB114_392:
	s_or_b64 exec, exec, s[20:21]
	v_mov_b32_e32 v93, v89
	v_mov_b32_e32 v127, v89
.LBB114_393:
	s_or_b64 exec, exec, s[18:19]
.LBB114_394:
	s_andn2_saveexec_b64 s[0:1], s[0:1]
	s_cbranch_execz .LBB114_396
; %bb.395:
	buffer_load_dword v77, off, s[24:27], 0 offset:224 ; 4-byte Folded Reload
	buffer_load_dword v78, off, s[24:27], 0 offset:228 ; 4-byte Folded Reload
	;; [unrolled: 1-line block ×4, first 2 shown]
	v_mov_b32_e32 v93, 18
	s_waitcnt vmcnt(0)
	ds_write2_b64 v0, v[77:78], v[79:80] offset0:38 offset1:39
	buffer_load_dword v77, off, s[24:27], 0 offset:208 ; 4-byte Folded Reload
	buffer_load_dword v78, off, s[24:27], 0 offset:212 ; 4-byte Folded Reload
	buffer_load_dword v79, off, s[24:27], 0 offset:216 ; 4-byte Folded Reload
	buffer_load_dword v80, off, s[24:27], 0 offset:220 ; 4-byte Folded Reload
	s_waitcnt vmcnt(0)
	ds_write2_b64 v0, v[77:78], v[79:80] offset0:40 offset1:41
	buffer_load_dword v77, off, s[24:27], 0 offset:192 ; 4-byte Folded Reload
	buffer_load_dword v78, off, s[24:27], 0 offset:196 ; 4-byte Folded Reload
	buffer_load_dword v79, off, s[24:27], 0 offset:200 ; 4-byte Folded Reload
	buffer_load_dword v80, off, s[24:27], 0 offset:204 ; 4-byte Folded Reload
	;; [unrolled: 6-line block ×13, first 2 shown]
	s_waitcnt vmcnt(0)
	ds_write2_b64 v0, v[77:78], v[79:80] offset0:64 offset1:65
	ds_write2_b64 v0, v[81:82], v[83:84] offset0:66 offset1:67
	;; [unrolled: 1-line block ×5, first 2 shown]
	buffer_load_dword v77, off, s[24:27], 0 ; 4-byte Folded Reload
	buffer_load_dword v78, off, s[24:27], 0 offset:4 ; 4-byte Folded Reload
	buffer_load_dword v79, off, s[24:27], 0 offset:8 ; 4-byte Folded Reload
	;; [unrolled: 1-line block ×3, first 2 shown]
	s_waitcnt vmcnt(0)
	ds_write2_b64 v0, v[77:78], v[79:80] offset0:74 offset1:75
	ds_write2_b64 v0, v[73:74], v[75:76] offset0:76 offset1:77
	;; [unrolled: 1-line block ×21, first 2 shown]
.LBB114_396:
	s_or_b64 exec, exec, s[0:1]
	v_cmp_lt_i32_e32 vcc, 18, v93
	s_waitcnt vmcnt(0) lgkmcnt(0)
	s_barrier
	s_and_saveexec_b64 s[0:1], vcc
	s_cbranch_execz .LBB114_398
; %bb.397:
	buffer_load_dword v95, off, s[24:27], 0 offset:240 ; 4-byte Folded Reload
	buffer_load_dword v96, off, s[24:27], 0 offset:244 ; 4-byte Folded Reload
	;; [unrolled: 1-line block ×4, first 2 shown]
	s_waitcnt vmcnt(0)
	v_mul_f64 v[89:90], v[119:120], v[97:98]
	v_fma_f64 v[125:126], v[117:118], v[95:96], -v[89:90]
	v_mul_f64 v[89:90], v[117:118], v[97:98]
	v_fma_f64 v[97:98], v[119:120], v[95:96], v[89:90]
	ds_read2_b64 v[89:92], v0 offset0:38 offset1:39
	buffer_load_dword v77, off, s[24:27], 0 offset:224 ; 4-byte Folded Reload
	buffer_load_dword v78, off, s[24:27], 0 offset:228 ; 4-byte Folded Reload
	buffer_load_dword v79, off, s[24:27], 0 offset:232 ; 4-byte Folded Reload
	buffer_load_dword v80, off, s[24:27], 0 offset:236 ; 4-byte Folded Reload
	s_waitcnt lgkmcnt(0)
	v_mul_f64 v[95:96], v[91:92], v[97:98]
	v_fma_f64 v[95:96], v[89:90], v[125:126], -v[95:96]
	v_mul_f64 v[89:90], v[89:90], v[97:98]
	v_fma_f64 v[89:90], v[91:92], v[125:126], v[89:90]
	s_waitcnt vmcnt(2)
	v_add_f64 v[77:78], v[77:78], -v[95:96]
	s_waitcnt vmcnt(0)
	v_add_f64 v[79:80], v[79:80], -v[89:90]
	buffer_store_dword v77, off, s[24:27], 0 offset:224 ; 4-byte Folded Spill
	s_nop 0
	buffer_store_dword v78, off, s[24:27], 0 offset:228 ; 4-byte Folded Spill
	buffer_store_dword v79, off, s[24:27], 0 offset:232 ; 4-byte Folded Spill
	buffer_store_dword v80, off, s[24:27], 0 offset:236 ; 4-byte Folded Spill
	ds_read2_b64 v[89:92], v0 offset0:40 offset1:41
	buffer_load_dword v77, off, s[24:27], 0 offset:208 ; 4-byte Folded Reload
	buffer_load_dword v78, off, s[24:27], 0 offset:212 ; 4-byte Folded Reload
	buffer_load_dword v79, off, s[24:27], 0 offset:216 ; 4-byte Folded Reload
	buffer_load_dword v80, off, s[24:27], 0 offset:220 ; 4-byte Folded Reload
	s_waitcnt lgkmcnt(0)
	v_mul_f64 v[95:96], v[91:92], v[97:98]
	v_fma_f64 v[95:96], v[89:90], v[125:126], -v[95:96]
	v_mul_f64 v[89:90], v[89:90], v[97:98]
	v_fma_f64 v[89:90], v[91:92], v[125:126], v[89:90]
	s_waitcnt vmcnt(2)
	v_add_f64 v[77:78], v[77:78], -v[95:96]
	s_waitcnt vmcnt(0)
	v_add_f64 v[79:80], v[79:80], -v[89:90]
	buffer_store_dword v77, off, s[24:27], 0 offset:208 ; 4-byte Folded Spill
	s_nop 0
	buffer_store_dword v78, off, s[24:27], 0 offset:212 ; 4-byte Folded Spill
	buffer_store_dword v79, off, s[24:27], 0 offset:216 ; 4-byte Folded Spill
	buffer_store_dword v80, off, s[24:27], 0 offset:220 ; 4-byte Folded Spill
	;; [unrolled: 19-line block ×14, first 2 shown]
	ds_read2_b64 v[89:92], v0 offset0:66 offset1:67
	s_waitcnt lgkmcnt(0)
	v_mul_f64 v[95:96], v[91:92], v[97:98]
	v_fma_f64 v[95:96], v[89:90], v[125:126], -v[95:96]
	v_mul_f64 v[89:90], v[89:90], v[97:98]
	v_add_f64 v[81:82], v[81:82], -v[95:96]
	v_fma_f64 v[89:90], v[91:92], v[125:126], v[89:90]
	v_add_f64 v[83:84], v[83:84], -v[89:90]
	ds_read2_b64 v[89:92], v0 offset0:68 offset1:69
	s_waitcnt lgkmcnt(0)
	v_mul_f64 v[95:96], v[91:92], v[97:98]
	v_fma_f64 v[95:96], v[89:90], v[125:126], -v[95:96]
	v_mul_f64 v[89:90], v[89:90], v[97:98]
	v_add_f64 v[85:86], v[85:86], -v[95:96]
	v_fma_f64 v[89:90], v[91:92], v[125:126], v[89:90]
	v_add_f64 v[87:88], v[87:88], -v[89:90]
	;; [unrolled: 8-line block ×4, first 2 shown]
	ds_read2_b64 v[89:92], v0 offset0:74 offset1:75
	buffer_load_dword v77, off, s[24:27], 0 ; 4-byte Folded Reload
	buffer_load_dword v78, off, s[24:27], 0 offset:4 ; 4-byte Folded Reload
	buffer_load_dword v79, off, s[24:27], 0 offset:8 ; 4-byte Folded Reload
	;; [unrolled: 1-line block ×3, first 2 shown]
	s_waitcnt lgkmcnt(0)
	v_mul_f64 v[95:96], v[91:92], v[97:98]
	v_fma_f64 v[95:96], v[89:90], v[125:126], -v[95:96]
	v_mul_f64 v[89:90], v[89:90], v[97:98]
	v_fma_f64 v[89:90], v[91:92], v[125:126], v[89:90]
	s_waitcnt vmcnt(2)
	v_add_f64 v[77:78], v[77:78], -v[95:96]
	s_waitcnt vmcnt(0)
	v_add_f64 v[79:80], v[79:80], -v[89:90]
	buffer_store_dword v77, off, s[24:27], 0 ; 4-byte Folded Spill
	s_nop 0
	buffer_store_dword v78, off, s[24:27], 0 offset:4 ; 4-byte Folded Spill
	buffer_store_dword v79, off, s[24:27], 0 offset:8 ; 4-byte Folded Spill
	;; [unrolled: 1-line block ×3, first 2 shown]
	ds_read2_b64 v[89:92], v0 offset0:76 offset1:77
	s_waitcnt lgkmcnt(0)
	v_mul_f64 v[95:96], v[91:92], v[97:98]
	v_fma_f64 v[95:96], v[89:90], v[125:126], -v[95:96]
	v_mul_f64 v[89:90], v[89:90], v[97:98]
	v_add_f64 v[73:74], v[73:74], -v[95:96]
	v_fma_f64 v[89:90], v[91:92], v[125:126], v[89:90]
	v_add_f64 v[75:76], v[75:76], -v[89:90]
	ds_read2_b64 v[89:92], v0 offset0:78 offset1:79
	s_waitcnt lgkmcnt(0)
	v_mul_f64 v[95:96], v[91:92], v[97:98]
	v_fma_f64 v[95:96], v[89:90], v[125:126], -v[95:96]
	v_mul_f64 v[89:90], v[89:90], v[97:98]
	v_add_f64 v[69:70], v[69:70], -v[95:96]
	v_fma_f64 v[89:90], v[91:92], v[125:126], v[89:90]
	v_add_f64 v[71:72], v[71:72], -v[89:90]
	;; [unrolled: 8-line block ×19, first 2 shown]
	ds_read2_b64 v[89:92], v0 offset0:114 offset1:115
	s_waitcnt lgkmcnt(0)
	v_mul_f64 v[95:96], v[91:92], v[97:98]
	v_fma_f64 v[95:96], v[89:90], v[125:126], -v[95:96]
	v_mul_f64 v[89:90], v[89:90], v[97:98]
	v_add_f64 v[121:122], v[121:122], -v[95:96]
	v_fma_f64 v[89:90], v[91:92], v[125:126], v[89:90]
	v_mov_b32_e32 v95, v125
	v_mov_b32_e32 v96, v126
	buffer_store_dword v95, off, s[24:27], 0 offset:240 ; 4-byte Folded Spill
	s_nop 0
	buffer_store_dword v96, off, s[24:27], 0 offset:244 ; 4-byte Folded Spill
	buffer_store_dword v97, off, s[24:27], 0 offset:248 ; 4-byte Folded Spill
	;; [unrolled: 1-line block ×3, first 2 shown]
	v_add_f64 v[123:124], v[123:124], -v[89:90]
.LBB114_398:
	s_or_b64 exec, exec, s[0:1]
	s_waitcnt vmcnt(0)
	s_barrier
	buffer_load_dword v77, off, s[24:27], 0 offset:224 ; 4-byte Folded Reload
	buffer_load_dword v78, off, s[24:27], 0 offset:228 ; 4-byte Folded Reload
	;; [unrolled: 1-line block ×4, first 2 shown]
	v_lshl_add_u32 v89, v93, 4, v0
	s_cmp_lt_i32 s3, 21
	s_waitcnt vmcnt(0)
	ds_write2_b64 v89, v[77:78], v[79:80] offset1:1
	s_waitcnt lgkmcnt(0)
	s_barrier
	ds_read2_b64 v[117:120], v0 offset0:38 offset1:39
	v_mov_b32_e32 v89, 19
	s_cbranch_scc1 .LBB114_401
; %bb.399:
	v_add_u32_e32 v90, 0x140, v0
	s_mov_b32 s0, 20
	v_mov_b32_e32 v89, 19
.LBB114_400:                            ; =>This Inner Loop Header: Depth=1
	s_waitcnt lgkmcnt(0)
	v_cmp_gt_f64_e32 vcc, 0, v[117:118]
	v_xor_b32_e32 v91, 0x80000000, v118
	ds_read2_b64 v[95:98], v90 offset1:1
	v_xor_b32_e32 v99, 0x80000000, v120
	v_add_u32_e32 v90, 16, v90
	s_waitcnt lgkmcnt(0)
	v_xor_b32_e32 v101, 0x80000000, v98
	v_cndmask_b32_e32 v92, v118, v91, vcc
	v_cmp_gt_f64_e32 vcc, 0, v[119:120]
	v_mov_b32_e32 v91, v117
	v_cndmask_b32_e32 v100, v120, v99, vcc
	v_cmp_gt_f64_e32 vcc, 0, v[95:96]
	v_mov_b32_e32 v99, v119
	v_add_f64 v[91:92], v[91:92], v[99:100]
	v_xor_b32_e32 v99, 0x80000000, v96
	v_cndmask_b32_e32 v100, v96, v99, vcc
	v_cmp_gt_f64_e32 vcc, 0, v[97:98]
	v_mov_b32_e32 v99, v95
	v_cndmask_b32_e32 v102, v98, v101, vcc
	v_mov_b32_e32 v101, v97
	v_add_f64 v[99:100], v[99:100], v[101:102]
	v_cmp_lt_f64_e32 vcc, v[91:92], v[99:100]
	v_mov_b32_e32 v91, s0
	s_add_i32 s0, s0, 1
	s_cmp_lg_u32 s3, s0
	v_cndmask_b32_e32 v118, v118, v96, vcc
	v_cndmask_b32_e32 v117, v117, v95, vcc
	;; [unrolled: 1-line block ×5, first 2 shown]
	s_cbranch_scc1 .LBB114_400
.LBB114_401:
	s_waitcnt lgkmcnt(0)
	v_cmp_eq_f64_e32 vcc, 0, v[117:118]
	v_cmp_eq_f64_e64 s[0:1], 0, v[119:120]
	s_and_b64 s[0:1], vcc, s[0:1]
	s_and_saveexec_b64 s[18:19], s[0:1]
	s_xor_b64 s[0:1], exec, s[18:19]
; %bb.402:
	v_cmp_ne_u32_e32 vcc, 0, v94
	v_cndmask_b32_e32 v94, 20, v94, vcc
; %bb.403:
	s_andn2_saveexec_b64 s[0:1], s[0:1]
	s_cbranch_execz .LBB114_409
; %bb.404:
	v_cmp_ngt_f64_e64 s[18:19], |v[117:118]|, |v[119:120]|
	s_and_saveexec_b64 s[20:21], s[18:19]
	s_xor_b64 s[18:19], exec, s[20:21]
	s_cbranch_execz .LBB114_406
; %bb.405:
	v_div_scale_f64 v[90:91], s[20:21], v[119:120], v[119:120], v[117:118]
	v_rcp_f64_e32 v[95:96], v[90:91]
	v_fma_f64 v[97:98], -v[90:91], v[95:96], 1.0
	v_fma_f64 v[95:96], v[95:96], v[97:98], v[95:96]
	v_div_scale_f64 v[97:98], vcc, v[117:118], v[119:120], v[117:118]
	v_fma_f64 v[99:100], -v[90:91], v[95:96], 1.0
	v_fma_f64 v[95:96], v[95:96], v[99:100], v[95:96]
	v_mul_f64 v[99:100], v[97:98], v[95:96]
	v_fma_f64 v[90:91], -v[90:91], v[99:100], v[97:98]
	v_div_fmas_f64 v[90:91], v[90:91], v[95:96], v[99:100]
	v_div_fixup_f64 v[90:91], v[90:91], v[119:120], v[117:118]
	v_fma_f64 v[95:96], v[117:118], v[90:91], v[119:120]
	v_div_scale_f64 v[97:98], s[20:21], v[95:96], v[95:96], 1.0
	v_div_scale_f64 v[103:104], vcc, 1.0, v[95:96], 1.0
	v_rcp_f64_e32 v[99:100], v[97:98]
	v_fma_f64 v[101:102], -v[97:98], v[99:100], 1.0
	v_fma_f64 v[99:100], v[99:100], v[101:102], v[99:100]
	v_fma_f64 v[101:102], -v[97:98], v[99:100], 1.0
	v_fma_f64 v[99:100], v[99:100], v[101:102], v[99:100]
	v_mul_f64 v[101:102], v[103:104], v[99:100]
	v_fma_f64 v[97:98], -v[97:98], v[101:102], v[103:104]
	v_div_fmas_f64 v[97:98], v[97:98], v[99:100], v[101:102]
	v_div_fixup_f64 v[119:120], v[97:98], v[95:96], 1.0
	v_mul_f64 v[117:118], v[90:91], v[119:120]
	v_xor_b32_e32 v120, 0x80000000, v120
.LBB114_406:
	s_andn2_saveexec_b64 s[18:19], s[18:19]
	s_cbranch_execz .LBB114_408
; %bb.407:
	v_div_scale_f64 v[90:91], s[20:21], v[117:118], v[117:118], v[119:120]
	v_rcp_f64_e32 v[95:96], v[90:91]
	v_fma_f64 v[97:98], -v[90:91], v[95:96], 1.0
	v_fma_f64 v[95:96], v[95:96], v[97:98], v[95:96]
	v_div_scale_f64 v[97:98], vcc, v[119:120], v[117:118], v[119:120]
	v_fma_f64 v[99:100], -v[90:91], v[95:96], 1.0
	v_fma_f64 v[95:96], v[95:96], v[99:100], v[95:96]
	v_mul_f64 v[99:100], v[97:98], v[95:96]
	v_fma_f64 v[90:91], -v[90:91], v[99:100], v[97:98]
	v_div_fmas_f64 v[90:91], v[90:91], v[95:96], v[99:100]
	v_div_fixup_f64 v[90:91], v[90:91], v[117:118], v[119:120]
	v_fma_f64 v[95:96], v[119:120], v[90:91], v[117:118]
	v_div_scale_f64 v[97:98], s[20:21], v[95:96], v[95:96], 1.0
	v_div_scale_f64 v[103:104], vcc, 1.0, v[95:96], 1.0
	v_rcp_f64_e32 v[99:100], v[97:98]
	v_fma_f64 v[101:102], -v[97:98], v[99:100], 1.0
	v_fma_f64 v[99:100], v[99:100], v[101:102], v[99:100]
	v_fma_f64 v[101:102], -v[97:98], v[99:100], 1.0
	v_fma_f64 v[99:100], v[99:100], v[101:102], v[99:100]
	v_mul_f64 v[101:102], v[103:104], v[99:100]
	v_fma_f64 v[97:98], -v[97:98], v[101:102], v[103:104]
	v_div_fmas_f64 v[97:98], v[97:98], v[99:100], v[101:102]
	v_div_fixup_f64 v[117:118], v[97:98], v[95:96], 1.0
	v_mul_f64 v[119:120], v[90:91], -v[117:118]
.LBB114_408:
	s_or_b64 exec, exec, s[18:19]
.LBB114_409:
	s_or_b64 exec, exec, s[0:1]
	v_cmp_ne_u32_e32 vcc, v93, v89
	s_and_saveexec_b64 s[0:1], vcc
	s_xor_b64 s[0:1], exec, s[0:1]
	s_cbranch_execz .LBB114_415
; %bb.410:
	v_cmp_eq_u32_e32 vcc, 19, v93
	s_and_saveexec_b64 s[18:19], vcc
	s_cbranch_execz .LBB114_414
; %bb.411:
	v_cmp_ne_u32_e32 vcc, 19, v89
	s_xor_b64 s[20:21], s[6:7], -1
	s_and_b64 s[22:23], s[20:21], vcc
	s_and_saveexec_b64 s[20:21], s[22:23]
	s_cbranch_execz .LBB114_413
; %bb.412:
	v_mov_b32_e32 v77, v81
	v_mov_b32_e32 v78, v82
	;; [unrolled: 1-line block ×4, first 2 shown]
	buffer_load_dword v81, off, s[24:27], 0 offset:480 ; 4-byte Folded Reload
	buffer_load_dword v82, off, s[24:27], 0 offset:484 ; 4-byte Folded Reload
	v_ashrrev_i32_e32 v90, 31, v89
	v_lshlrev_b64 v[90:91], 2, v[89:90]
	s_waitcnt vmcnt(1)
	v_add_co_u32_e32 v90, vcc, v81, v90
	s_waitcnt vmcnt(0)
	v_addc_co_u32_e32 v91, vcc, v82, v91, vcc
	global_load_dword v92, v[90:91], off
	global_load_dword v93, v[81:82], off offset:76
	s_waitcnt vmcnt(1)
	global_store_dword v[81:82], v92, off offset:76
	v_mov_b32_e32 v84, v80
	v_mov_b32_e32 v83, v79
	;; [unrolled: 1-line block ×4, first 2 shown]
	s_waitcnt vmcnt(1)
	global_store_dword v[90:91], v93, off
.LBB114_413:
	s_or_b64 exec, exec, s[20:21]
	v_mov_b32_e32 v93, v89
	v_mov_b32_e32 v127, v89
.LBB114_414:
	s_or_b64 exec, exec, s[18:19]
.LBB114_415:
	s_andn2_saveexec_b64 s[0:1], s[0:1]
	s_cbranch_execz .LBB114_417
; %bb.416:
	buffer_load_dword v77, off, s[24:27], 0 offset:208 ; 4-byte Folded Reload
	buffer_load_dword v78, off, s[24:27], 0 offset:212 ; 4-byte Folded Reload
	;; [unrolled: 1-line block ×4, first 2 shown]
	v_mov_b32_e32 v93, 19
	s_waitcnt vmcnt(0)
	ds_write2_b64 v0, v[77:78], v[79:80] offset0:40 offset1:41
	buffer_load_dword v77, off, s[24:27], 0 offset:192 ; 4-byte Folded Reload
	buffer_load_dword v78, off, s[24:27], 0 offset:196 ; 4-byte Folded Reload
	buffer_load_dword v79, off, s[24:27], 0 offset:200 ; 4-byte Folded Reload
	buffer_load_dword v80, off, s[24:27], 0 offset:204 ; 4-byte Folded Reload
	s_waitcnt vmcnt(0)
	ds_write2_b64 v0, v[77:78], v[79:80] offset0:42 offset1:43
	buffer_load_dword v77, off, s[24:27], 0 offset:176 ; 4-byte Folded Reload
	buffer_load_dword v78, off, s[24:27], 0 offset:180 ; 4-byte Folded Reload
	buffer_load_dword v79, off, s[24:27], 0 offset:184 ; 4-byte Folded Reload
	buffer_load_dword v80, off, s[24:27], 0 offset:188 ; 4-byte Folded Reload
	;; [unrolled: 6-line block ×12, first 2 shown]
	s_waitcnt vmcnt(0)
	ds_write2_b64 v0, v[77:78], v[79:80] offset0:64 offset1:65
	ds_write2_b64 v0, v[81:82], v[83:84] offset0:66 offset1:67
	;; [unrolled: 1-line block ×5, first 2 shown]
	buffer_load_dword v77, off, s[24:27], 0 ; 4-byte Folded Reload
	buffer_load_dword v78, off, s[24:27], 0 offset:4 ; 4-byte Folded Reload
	buffer_load_dword v79, off, s[24:27], 0 offset:8 ; 4-byte Folded Reload
	buffer_load_dword v80, off, s[24:27], 0 offset:12 ; 4-byte Folded Reload
	s_waitcnt vmcnt(0)
	ds_write2_b64 v0, v[77:78], v[79:80] offset0:74 offset1:75
	ds_write2_b64 v0, v[73:74], v[75:76] offset0:76 offset1:77
	ds_write2_b64 v0, v[69:70], v[71:72] offset0:78 offset1:79
	ds_write2_b64 v0, v[65:66], v[67:68] offset0:80 offset1:81
	ds_write2_b64 v0, v[61:62], v[63:64] offset0:82 offset1:83
	ds_write2_b64 v0, v[57:58], v[59:60] offset0:84 offset1:85
	ds_write2_b64 v0, v[53:54], v[55:56] offset0:86 offset1:87
	ds_write2_b64 v0, v[49:50], v[51:52] offset0:88 offset1:89
	ds_write2_b64 v0, v[45:46], v[47:48] offset0:90 offset1:91
	ds_write2_b64 v0, v[41:42], v[43:44] offset0:92 offset1:93
	ds_write2_b64 v0, v[37:38], v[39:40] offset0:94 offset1:95
	ds_write2_b64 v0, v[33:34], v[35:36] offset0:96 offset1:97
	ds_write2_b64 v0, v[29:30], v[31:32] offset0:98 offset1:99
	ds_write2_b64 v0, v[25:26], v[27:28] offset0:100 offset1:101
	ds_write2_b64 v0, v[21:22], v[23:24] offset0:102 offset1:103
	ds_write2_b64 v0, v[17:18], v[19:20] offset0:104 offset1:105
	ds_write2_b64 v0, v[13:14], v[15:16] offset0:106 offset1:107
	ds_write2_b64 v0, v[9:10], v[11:12] offset0:108 offset1:109
	ds_write2_b64 v0, v[5:6], v[7:8] offset0:110 offset1:111
	ds_write2_b64 v0, v[1:2], v[3:4] offset0:112 offset1:113
	ds_write2_b64 v0, v[121:122], v[123:124] offset0:114 offset1:115
.LBB114_417:
	s_or_b64 exec, exec, s[0:1]
	v_cmp_lt_i32_e32 vcc, 19, v93
	s_waitcnt vmcnt(0) lgkmcnt(0)
	s_barrier
	s_and_saveexec_b64 s[0:1], vcc
	s_cbranch_execz .LBB114_419
; %bb.418:
	buffer_load_dword v95, off, s[24:27], 0 offset:224 ; 4-byte Folded Reload
	buffer_load_dword v96, off, s[24:27], 0 offset:228 ; 4-byte Folded Reload
	;; [unrolled: 1-line block ×4, first 2 shown]
	s_waitcnt vmcnt(0)
	v_mul_f64 v[89:90], v[119:120], v[97:98]
	v_fma_f64 v[125:126], v[117:118], v[95:96], -v[89:90]
	v_mul_f64 v[89:90], v[117:118], v[97:98]
	v_fma_f64 v[97:98], v[119:120], v[95:96], v[89:90]
	ds_read2_b64 v[89:92], v0 offset0:40 offset1:41
	buffer_load_dword v77, off, s[24:27], 0 offset:208 ; 4-byte Folded Reload
	buffer_load_dword v78, off, s[24:27], 0 offset:212 ; 4-byte Folded Reload
	buffer_load_dword v79, off, s[24:27], 0 offset:216 ; 4-byte Folded Reload
	buffer_load_dword v80, off, s[24:27], 0 offset:220 ; 4-byte Folded Reload
	s_waitcnt lgkmcnt(0)
	v_mul_f64 v[95:96], v[91:92], v[97:98]
	v_fma_f64 v[95:96], v[89:90], v[125:126], -v[95:96]
	v_mul_f64 v[89:90], v[89:90], v[97:98]
	v_fma_f64 v[89:90], v[91:92], v[125:126], v[89:90]
	s_waitcnt vmcnt(2)
	v_add_f64 v[77:78], v[77:78], -v[95:96]
	s_waitcnt vmcnt(0)
	v_add_f64 v[79:80], v[79:80], -v[89:90]
	buffer_store_dword v77, off, s[24:27], 0 offset:208 ; 4-byte Folded Spill
	s_nop 0
	buffer_store_dword v78, off, s[24:27], 0 offset:212 ; 4-byte Folded Spill
	buffer_store_dword v79, off, s[24:27], 0 offset:216 ; 4-byte Folded Spill
	buffer_store_dword v80, off, s[24:27], 0 offset:220 ; 4-byte Folded Spill
	ds_read2_b64 v[89:92], v0 offset0:42 offset1:43
	buffer_load_dword v77, off, s[24:27], 0 offset:192 ; 4-byte Folded Reload
	buffer_load_dword v78, off, s[24:27], 0 offset:196 ; 4-byte Folded Reload
	buffer_load_dword v79, off, s[24:27], 0 offset:200 ; 4-byte Folded Reload
	buffer_load_dword v80, off, s[24:27], 0 offset:204 ; 4-byte Folded Reload
	s_waitcnt lgkmcnt(0)
	v_mul_f64 v[95:96], v[91:92], v[97:98]
	v_fma_f64 v[95:96], v[89:90], v[125:126], -v[95:96]
	v_mul_f64 v[89:90], v[89:90], v[97:98]
	v_fma_f64 v[89:90], v[91:92], v[125:126], v[89:90]
	s_waitcnt vmcnt(2)
	v_add_f64 v[77:78], v[77:78], -v[95:96]
	s_waitcnt vmcnt(0)
	v_add_f64 v[79:80], v[79:80], -v[89:90]
	buffer_store_dword v77, off, s[24:27], 0 offset:192 ; 4-byte Folded Spill
	s_nop 0
	buffer_store_dword v78, off, s[24:27], 0 offset:196 ; 4-byte Folded Spill
	buffer_store_dword v79, off, s[24:27], 0 offset:200 ; 4-byte Folded Spill
	buffer_store_dword v80, off, s[24:27], 0 offset:204 ; 4-byte Folded Spill
	;; [unrolled: 19-line block ×13, first 2 shown]
	ds_read2_b64 v[89:92], v0 offset0:66 offset1:67
	s_waitcnt lgkmcnt(0)
	v_mul_f64 v[95:96], v[91:92], v[97:98]
	v_fma_f64 v[95:96], v[89:90], v[125:126], -v[95:96]
	v_mul_f64 v[89:90], v[89:90], v[97:98]
	v_add_f64 v[81:82], v[81:82], -v[95:96]
	v_fma_f64 v[89:90], v[91:92], v[125:126], v[89:90]
	v_add_f64 v[83:84], v[83:84], -v[89:90]
	ds_read2_b64 v[89:92], v0 offset0:68 offset1:69
	s_waitcnt lgkmcnt(0)
	v_mul_f64 v[95:96], v[91:92], v[97:98]
	v_fma_f64 v[95:96], v[89:90], v[125:126], -v[95:96]
	v_mul_f64 v[89:90], v[89:90], v[97:98]
	v_add_f64 v[85:86], v[85:86], -v[95:96]
	v_fma_f64 v[89:90], v[91:92], v[125:126], v[89:90]
	v_add_f64 v[87:88], v[87:88], -v[89:90]
	;; [unrolled: 8-line block ×4, first 2 shown]
	ds_read2_b64 v[89:92], v0 offset0:74 offset1:75
	buffer_load_dword v77, off, s[24:27], 0 ; 4-byte Folded Reload
	buffer_load_dword v78, off, s[24:27], 0 offset:4 ; 4-byte Folded Reload
	buffer_load_dword v79, off, s[24:27], 0 offset:8 ; 4-byte Folded Reload
	;; [unrolled: 1-line block ×3, first 2 shown]
	s_waitcnt lgkmcnt(0)
	v_mul_f64 v[95:96], v[91:92], v[97:98]
	v_fma_f64 v[95:96], v[89:90], v[125:126], -v[95:96]
	v_mul_f64 v[89:90], v[89:90], v[97:98]
	v_fma_f64 v[89:90], v[91:92], v[125:126], v[89:90]
	s_waitcnt vmcnt(2)
	v_add_f64 v[77:78], v[77:78], -v[95:96]
	s_waitcnt vmcnt(0)
	v_add_f64 v[79:80], v[79:80], -v[89:90]
	buffer_store_dword v77, off, s[24:27], 0 ; 4-byte Folded Spill
	s_nop 0
	buffer_store_dword v78, off, s[24:27], 0 offset:4 ; 4-byte Folded Spill
	buffer_store_dword v79, off, s[24:27], 0 offset:8 ; 4-byte Folded Spill
	;; [unrolled: 1-line block ×3, first 2 shown]
	ds_read2_b64 v[89:92], v0 offset0:76 offset1:77
	s_waitcnt lgkmcnt(0)
	v_mul_f64 v[95:96], v[91:92], v[97:98]
	v_fma_f64 v[95:96], v[89:90], v[125:126], -v[95:96]
	v_mul_f64 v[89:90], v[89:90], v[97:98]
	v_add_f64 v[73:74], v[73:74], -v[95:96]
	v_fma_f64 v[89:90], v[91:92], v[125:126], v[89:90]
	v_add_f64 v[75:76], v[75:76], -v[89:90]
	ds_read2_b64 v[89:92], v0 offset0:78 offset1:79
	s_waitcnt lgkmcnt(0)
	v_mul_f64 v[95:96], v[91:92], v[97:98]
	v_fma_f64 v[95:96], v[89:90], v[125:126], -v[95:96]
	v_mul_f64 v[89:90], v[89:90], v[97:98]
	v_add_f64 v[69:70], v[69:70], -v[95:96]
	v_fma_f64 v[89:90], v[91:92], v[125:126], v[89:90]
	v_add_f64 v[71:72], v[71:72], -v[89:90]
	;; [unrolled: 8-line block ×19, first 2 shown]
	ds_read2_b64 v[89:92], v0 offset0:114 offset1:115
	s_waitcnt lgkmcnt(0)
	v_mul_f64 v[95:96], v[91:92], v[97:98]
	v_fma_f64 v[95:96], v[89:90], v[125:126], -v[95:96]
	v_mul_f64 v[89:90], v[89:90], v[97:98]
	v_add_f64 v[121:122], v[121:122], -v[95:96]
	v_fma_f64 v[89:90], v[91:92], v[125:126], v[89:90]
	v_mov_b32_e32 v95, v125
	v_mov_b32_e32 v96, v126
	buffer_store_dword v95, off, s[24:27], 0 offset:224 ; 4-byte Folded Spill
	s_nop 0
	buffer_store_dword v96, off, s[24:27], 0 offset:228 ; 4-byte Folded Spill
	buffer_store_dword v97, off, s[24:27], 0 offset:232 ; 4-byte Folded Spill
	;; [unrolled: 1-line block ×3, first 2 shown]
	v_add_f64 v[123:124], v[123:124], -v[89:90]
.LBB114_419:
	s_or_b64 exec, exec, s[0:1]
	s_waitcnt vmcnt(0)
	s_barrier
	buffer_load_dword v77, off, s[24:27], 0 offset:208 ; 4-byte Folded Reload
	buffer_load_dword v78, off, s[24:27], 0 offset:212 ; 4-byte Folded Reload
	;; [unrolled: 1-line block ×4, first 2 shown]
	v_lshl_add_u32 v89, v93, 4, v0
	s_cmp_lt_i32 s3, 22
	s_waitcnt vmcnt(0)
	ds_write2_b64 v89, v[77:78], v[79:80] offset1:1
	s_waitcnt lgkmcnt(0)
	s_barrier
	ds_read2_b64 v[117:120], v0 offset0:40 offset1:41
	v_mov_b32_e32 v89, 20
	s_cbranch_scc1 .LBB114_422
; %bb.420:
	v_add_u32_e32 v90, 0x150, v0
	s_mov_b32 s0, 21
	v_mov_b32_e32 v89, 20
.LBB114_421:                            ; =>This Inner Loop Header: Depth=1
	s_waitcnt lgkmcnt(0)
	v_cmp_gt_f64_e32 vcc, 0, v[117:118]
	v_xor_b32_e32 v91, 0x80000000, v118
	ds_read2_b64 v[95:98], v90 offset1:1
	v_xor_b32_e32 v99, 0x80000000, v120
	v_add_u32_e32 v90, 16, v90
	s_waitcnt lgkmcnt(0)
	v_xor_b32_e32 v101, 0x80000000, v98
	v_cndmask_b32_e32 v92, v118, v91, vcc
	v_cmp_gt_f64_e32 vcc, 0, v[119:120]
	v_mov_b32_e32 v91, v117
	v_cndmask_b32_e32 v100, v120, v99, vcc
	v_cmp_gt_f64_e32 vcc, 0, v[95:96]
	v_mov_b32_e32 v99, v119
	v_add_f64 v[91:92], v[91:92], v[99:100]
	v_xor_b32_e32 v99, 0x80000000, v96
	v_cndmask_b32_e32 v100, v96, v99, vcc
	v_cmp_gt_f64_e32 vcc, 0, v[97:98]
	v_mov_b32_e32 v99, v95
	v_cndmask_b32_e32 v102, v98, v101, vcc
	v_mov_b32_e32 v101, v97
	v_add_f64 v[99:100], v[99:100], v[101:102]
	v_cmp_lt_f64_e32 vcc, v[91:92], v[99:100]
	v_mov_b32_e32 v91, s0
	s_add_i32 s0, s0, 1
	s_cmp_lg_u32 s3, s0
	v_cndmask_b32_e32 v118, v118, v96, vcc
	v_cndmask_b32_e32 v117, v117, v95, vcc
	;; [unrolled: 1-line block ×5, first 2 shown]
	s_cbranch_scc1 .LBB114_421
.LBB114_422:
	s_waitcnt lgkmcnt(0)
	v_cmp_eq_f64_e32 vcc, 0, v[117:118]
	v_cmp_eq_f64_e64 s[0:1], 0, v[119:120]
	s_and_b64 s[0:1], vcc, s[0:1]
	s_and_saveexec_b64 s[18:19], s[0:1]
	s_xor_b64 s[0:1], exec, s[18:19]
; %bb.423:
	v_cmp_ne_u32_e32 vcc, 0, v94
	v_cndmask_b32_e32 v94, 21, v94, vcc
; %bb.424:
	s_andn2_saveexec_b64 s[0:1], s[0:1]
	s_cbranch_execz .LBB114_430
; %bb.425:
	v_cmp_ngt_f64_e64 s[18:19], |v[117:118]|, |v[119:120]|
	s_and_saveexec_b64 s[20:21], s[18:19]
	s_xor_b64 s[18:19], exec, s[20:21]
	s_cbranch_execz .LBB114_427
; %bb.426:
	v_div_scale_f64 v[90:91], s[20:21], v[119:120], v[119:120], v[117:118]
	v_rcp_f64_e32 v[95:96], v[90:91]
	v_fma_f64 v[97:98], -v[90:91], v[95:96], 1.0
	v_fma_f64 v[95:96], v[95:96], v[97:98], v[95:96]
	v_div_scale_f64 v[97:98], vcc, v[117:118], v[119:120], v[117:118]
	v_fma_f64 v[99:100], -v[90:91], v[95:96], 1.0
	v_fma_f64 v[95:96], v[95:96], v[99:100], v[95:96]
	v_mul_f64 v[99:100], v[97:98], v[95:96]
	v_fma_f64 v[90:91], -v[90:91], v[99:100], v[97:98]
	v_div_fmas_f64 v[90:91], v[90:91], v[95:96], v[99:100]
	v_div_fixup_f64 v[90:91], v[90:91], v[119:120], v[117:118]
	v_fma_f64 v[95:96], v[117:118], v[90:91], v[119:120]
	v_div_scale_f64 v[97:98], s[20:21], v[95:96], v[95:96], 1.0
	v_div_scale_f64 v[103:104], vcc, 1.0, v[95:96], 1.0
	v_rcp_f64_e32 v[99:100], v[97:98]
	v_fma_f64 v[101:102], -v[97:98], v[99:100], 1.0
	v_fma_f64 v[99:100], v[99:100], v[101:102], v[99:100]
	v_fma_f64 v[101:102], -v[97:98], v[99:100], 1.0
	v_fma_f64 v[99:100], v[99:100], v[101:102], v[99:100]
	v_mul_f64 v[101:102], v[103:104], v[99:100]
	v_fma_f64 v[97:98], -v[97:98], v[101:102], v[103:104]
	v_div_fmas_f64 v[97:98], v[97:98], v[99:100], v[101:102]
	v_div_fixup_f64 v[119:120], v[97:98], v[95:96], 1.0
	v_mul_f64 v[117:118], v[90:91], v[119:120]
	v_xor_b32_e32 v120, 0x80000000, v120
.LBB114_427:
	s_andn2_saveexec_b64 s[18:19], s[18:19]
	s_cbranch_execz .LBB114_429
; %bb.428:
	v_div_scale_f64 v[90:91], s[20:21], v[117:118], v[117:118], v[119:120]
	v_rcp_f64_e32 v[95:96], v[90:91]
	v_fma_f64 v[97:98], -v[90:91], v[95:96], 1.0
	v_fma_f64 v[95:96], v[95:96], v[97:98], v[95:96]
	v_div_scale_f64 v[97:98], vcc, v[119:120], v[117:118], v[119:120]
	v_fma_f64 v[99:100], -v[90:91], v[95:96], 1.0
	v_fma_f64 v[95:96], v[95:96], v[99:100], v[95:96]
	v_mul_f64 v[99:100], v[97:98], v[95:96]
	v_fma_f64 v[90:91], -v[90:91], v[99:100], v[97:98]
	v_div_fmas_f64 v[90:91], v[90:91], v[95:96], v[99:100]
	v_div_fixup_f64 v[90:91], v[90:91], v[117:118], v[119:120]
	v_fma_f64 v[95:96], v[119:120], v[90:91], v[117:118]
	v_div_scale_f64 v[97:98], s[20:21], v[95:96], v[95:96], 1.0
	v_div_scale_f64 v[103:104], vcc, 1.0, v[95:96], 1.0
	v_rcp_f64_e32 v[99:100], v[97:98]
	v_fma_f64 v[101:102], -v[97:98], v[99:100], 1.0
	v_fma_f64 v[99:100], v[99:100], v[101:102], v[99:100]
	v_fma_f64 v[101:102], -v[97:98], v[99:100], 1.0
	v_fma_f64 v[99:100], v[99:100], v[101:102], v[99:100]
	v_mul_f64 v[101:102], v[103:104], v[99:100]
	v_fma_f64 v[97:98], -v[97:98], v[101:102], v[103:104]
	v_div_fmas_f64 v[97:98], v[97:98], v[99:100], v[101:102]
	v_div_fixup_f64 v[117:118], v[97:98], v[95:96], 1.0
	v_mul_f64 v[119:120], v[90:91], -v[117:118]
.LBB114_429:
	s_or_b64 exec, exec, s[18:19]
.LBB114_430:
	s_or_b64 exec, exec, s[0:1]
	v_cmp_ne_u32_e32 vcc, v93, v89
	s_and_saveexec_b64 s[0:1], vcc
	s_xor_b64 s[0:1], exec, s[0:1]
	s_cbranch_execz .LBB114_436
; %bb.431:
	v_cmp_eq_u32_e32 vcc, 20, v93
	s_and_saveexec_b64 s[18:19], vcc
	s_cbranch_execz .LBB114_435
; %bb.432:
	v_cmp_ne_u32_e32 vcc, 20, v89
	s_xor_b64 s[20:21], s[6:7], -1
	s_and_b64 s[22:23], s[20:21], vcc
	s_and_saveexec_b64 s[20:21], s[22:23]
	s_cbranch_execz .LBB114_434
; %bb.433:
	v_mov_b32_e32 v77, v81
	v_mov_b32_e32 v78, v82
	;; [unrolled: 1-line block ×4, first 2 shown]
	buffer_load_dword v81, off, s[24:27], 0 offset:480 ; 4-byte Folded Reload
	buffer_load_dword v82, off, s[24:27], 0 offset:484 ; 4-byte Folded Reload
	v_ashrrev_i32_e32 v90, 31, v89
	v_lshlrev_b64 v[90:91], 2, v[89:90]
	s_waitcnt vmcnt(1)
	v_add_co_u32_e32 v90, vcc, v81, v90
	s_waitcnt vmcnt(0)
	v_addc_co_u32_e32 v91, vcc, v82, v91, vcc
	global_load_dword v92, v[90:91], off
	global_load_dword v93, v[81:82], off offset:80
	s_waitcnt vmcnt(1)
	global_store_dword v[81:82], v92, off offset:80
	v_mov_b32_e32 v84, v80
	v_mov_b32_e32 v83, v79
	;; [unrolled: 1-line block ×4, first 2 shown]
	s_waitcnt vmcnt(1)
	global_store_dword v[90:91], v93, off
.LBB114_434:
	s_or_b64 exec, exec, s[20:21]
	v_mov_b32_e32 v93, v89
	v_mov_b32_e32 v127, v89
.LBB114_435:
	s_or_b64 exec, exec, s[18:19]
.LBB114_436:
	s_andn2_saveexec_b64 s[0:1], s[0:1]
	s_cbranch_execz .LBB114_438
; %bb.437:
	buffer_load_dword v77, off, s[24:27], 0 offset:192 ; 4-byte Folded Reload
	buffer_load_dword v78, off, s[24:27], 0 offset:196 ; 4-byte Folded Reload
	;; [unrolled: 1-line block ×4, first 2 shown]
	v_mov_b32_e32 v93, 20
	s_waitcnt vmcnt(0)
	ds_write2_b64 v0, v[77:78], v[79:80] offset0:42 offset1:43
	buffer_load_dword v77, off, s[24:27], 0 offset:176 ; 4-byte Folded Reload
	buffer_load_dword v78, off, s[24:27], 0 offset:180 ; 4-byte Folded Reload
	buffer_load_dword v79, off, s[24:27], 0 offset:184 ; 4-byte Folded Reload
	buffer_load_dword v80, off, s[24:27], 0 offset:188 ; 4-byte Folded Reload
	s_waitcnt vmcnt(0)
	ds_write2_b64 v0, v[77:78], v[79:80] offset0:44 offset1:45
	buffer_load_dword v77, off, s[24:27], 0 offset:160 ; 4-byte Folded Reload
	buffer_load_dword v78, off, s[24:27], 0 offset:164 ; 4-byte Folded Reload
	buffer_load_dword v79, off, s[24:27], 0 offset:168 ; 4-byte Folded Reload
	buffer_load_dword v80, off, s[24:27], 0 offset:172 ; 4-byte Folded Reload
	;; [unrolled: 6-line block ×11, first 2 shown]
	s_waitcnt vmcnt(0)
	ds_write2_b64 v0, v[77:78], v[79:80] offset0:64 offset1:65
	ds_write2_b64 v0, v[81:82], v[83:84] offset0:66 offset1:67
	;; [unrolled: 1-line block ×5, first 2 shown]
	buffer_load_dword v77, off, s[24:27], 0 ; 4-byte Folded Reload
	buffer_load_dword v78, off, s[24:27], 0 offset:4 ; 4-byte Folded Reload
	buffer_load_dword v79, off, s[24:27], 0 offset:8 ; 4-byte Folded Reload
	;; [unrolled: 1-line block ×3, first 2 shown]
	s_waitcnt vmcnt(0)
	ds_write2_b64 v0, v[77:78], v[79:80] offset0:74 offset1:75
	ds_write2_b64 v0, v[73:74], v[75:76] offset0:76 offset1:77
	;; [unrolled: 1-line block ×21, first 2 shown]
.LBB114_438:
	s_or_b64 exec, exec, s[0:1]
	v_cmp_lt_i32_e32 vcc, 20, v93
	s_waitcnt vmcnt(0) lgkmcnt(0)
	s_barrier
	s_and_saveexec_b64 s[0:1], vcc
	s_cbranch_execz .LBB114_440
; %bb.439:
	buffer_load_dword v95, off, s[24:27], 0 offset:208 ; 4-byte Folded Reload
	buffer_load_dword v96, off, s[24:27], 0 offset:212 ; 4-byte Folded Reload
	;; [unrolled: 1-line block ×4, first 2 shown]
	s_waitcnt vmcnt(0)
	v_mul_f64 v[89:90], v[119:120], v[97:98]
	v_fma_f64 v[125:126], v[117:118], v[95:96], -v[89:90]
	v_mul_f64 v[89:90], v[117:118], v[97:98]
	v_fma_f64 v[97:98], v[119:120], v[95:96], v[89:90]
	ds_read2_b64 v[89:92], v0 offset0:42 offset1:43
	buffer_load_dword v77, off, s[24:27], 0 offset:192 ; 4-byte Folded Reload
	buffer_load_dword v78, off, s[24:27], 0 offset:196 ; 4-byte Folded Reload
	buffer_load_dword v79, off, s[24:27], 0 offset:200 ; 4-byte Folded Reload
	buffer_load_dword v80, off, s[24:27], 0 offset:204 ; 4-byte Folded Reload
	s_waitcnt lgkmcnt(0)
	v_mul_f64 v[95:96], v[91:92], v[97:98]
	v_fma_f64 v[95:96], v[89:90], v[125:126], -v[95:96]
	v_mul_f64 v[89:90], v[89:90], v[97:98]
	v_fma_f64 v[89:90], v[91:92], v[125:126], v[89:90]
	s_waitcnt vmcnt(2)
	v_add_f64 v[77:78], v[77:78], -v[95:96]
	s_waitcnt vmcnt(0)
	v_add_f64 v[79:80], v[79:80], -v[89:90]
	buffer_store_dword v77, off, s[24:27], 0 offset:192 ; 4-byte Folded Spill
	s_nop 0
	buffer_store_dword v78, off, s[24:27], 0 offset:196 ; 4-byte Folded Spill
	buffer_store_dword v79, off, s[24:27], 0 offset:200 ; 4-byte Folded Spill
	buffer_store_dword v80, off, s[24:27], 0 offset:204 ; 4-byte Folded Spill
	ds_read2_b64 v[89:92], v0 offset0:44 offset1:45
	buffer_load_dword v77, off, s[24:27], 0 offset:176 ; 4-byte Folded Reload
	buffer_load_dword v78, off, s[24:27], 0 offset:180 ; 4-byte Folded Reload
	buffer_load_dword v79, off, s[24:27], 0 offset:184 ; 4-byte Folded Reload
	buffer_load_dword v80, off, s[24:27], 0 offset:188 ; 4-byte Folded Reload
	s_waitcnt lgkmcnt(0)
	v_mul_f64 v[95:96], v[91:92], v[97:98]
	v_fma_f64 v[95:96], v[89:90], v[125:126], -v[95:96]
	v_mul_f64 v[89:90], v[89:90], v[97:98]
	v_fma_f64 v[89:90], v[91:92], v[125:126], v[89:90]
	s_waitcnt vmcnt(2)
	v_add_f64 v[77:78], v[77:78], -v[95:96]
	s_waitcnt vmcnt(0)
	v_add_f64 v[79:80], v[79:80], -v[89:90]
	buffer_store_dword v77, off, s[24:27], 0 offset:176 ; 4-byte Folded Spill
	s_nop 0
	buffer_store_dword v78, off, s[24:27], 0 offset:180 ; 4-byte Folded Spill
	buffer_store_dword v79, off, s[24:27], 0 offset:184 ; 4-byte Folded Spill
	buffer_store_dword v80, off, s[24:27], 0 offset:188 ; 4-byte Folded Spill
	;; [unrolled: 19-line block ×12, first 2 shown]
	ds_read2_b64 v[89:92], v0 offset0:66 offset1:67
	s_waitcnt lgkmcnt(0)
	v_mul_f64 v[95:96], v[91:92], v[97:98]
	v_fma_f64 v[95:96], v[89:90], v[125:126], -v[95:96]
	v_mul_f64 v[89:90], v[89:90], v[97:98]
	v_add_f64 v[81:82], v[81:82], -v[95:96]
	v_fma_f64 v[89:90], v[91:92], v[125:126], v[89:90]
	v_add_f64 v[83:84], v[83:84], -v[89:90]
	ds_read2_b64 v[89:92], v0 offset0:68 offset1:69
	s_waitcnt lgkmcnt(0)
	v_mul_f64 v[95:96], v[91:92], v[97:98]
	v_fma_f64 v[95:96], v[89:90], v[125:126], -v[95:96]
	v_mul_f64 v[89:90], v[89:90], v[97:98]
	v_add_f64 v[85:86], v[85:86], -v[95:96]
	v_fma_f64 v[89:90], v[91:92], v[125:126], v[89:90]
	v_add_f64 v[87:88], v[87:88], -v[89:90]
	ds_read2_b64 v[89:92], v0 offset0:70 offset1:71
	s_waitcnt lgkmcnt(0)
	v_mul_f64 v[95:96], v[91:92], v[97:98]
	v_fma_f64 v[95:96], v[89:90], v[125:126], -v[95:96]
	v_mul_f64 v[89:90], v[89:90], v[97:98]
	v_add_f64 v[109:110], v[109:110], -v[95:96]
	v_fma_f64 v[89:90], v[91:92], v[125:126], v[89:90]
	v_add_f64 v[111:112], v[111:112], -v[89:90]
	ds_read2_b64 v[89:92], v0 offset0:72 offset1:73
	s_waitcnt lgkmcnt(0)
	v_mul_f64 v[95:96], v[91:92], v[97:98]
	v_fma_f64 v[95:96], v[89:90], v[125:126], -v[95:96]
	v_mul_f64 v[89:90], v[89:90], v[97:98]
	v_add_f64 v[113:114], v[113:114], -v[95:96]
	v_fma_f64 v[89:90], v[91:92], v[125:126], v[89:90]
	v_add_f64 v[115:116], v[115:116], -v[89:90]
	ds_read2_b64 v[89:92], v0 offset0:74 offset1:75
	buffer_load_dword v77, off, s[24:27], 0 ; 4-byte Folded Reload
	buffer_load_dword v78, off, s[24:27], 0 offset:4 ; 4-byte Folded Reload
	buffer_load_dword v79, off, s[24:27], 0 offset:8 ; 4-byte Folded Reload
	;; [unrolled: 1-line block ×3, first 2 shown]
	s_waitcnt lgkmcnt(0)
	v_mul_f64 v[95:96], v[91:92], v[97:98]
	v_fma_f64 v[95:96], v[89:90], v[125:126], -v[95:96]
	v_mul_f64 v[89:90], v[89:90], v[97:98]
	v_fma_f64 v[89:90], v[91:92], v[125:126], v[89:90]
	s_waitcnt vmcnt(2)
	v_add_f64 v[77:78], v[77:78], -v[95:96]
	s_waitcnt vmcnt(0)
	v_add_f64 v[79:80], v[79:80], -v[89:90]
	buffer_store_dword v77, off, s[24:27], 0 ; 4-byte Folded Spill
	s_nop 0
	buffer_store_dword v78, off, s[24:27], 0 offset:4 ; 4-byte Folded Spill
	buffer_store_dword v79, off, s[24:27], 0 offset:8 ; 4-byte Folded Spill
	;; [unrolled: 1-line block ×3, first 2 shown]
	ds_read2_b64 v[89:92], v0 offset0:76 offset1:77
	s_waitcnt lgkmcnt(0)
	v_mul_f64 v[95:96], v[91:92], v[97:98]
	v_fma_f64 v[95:96], v[89:90], v[125:126], -v[95:96]
	v_mul_f64 v[89:90], v[89:90], v[97:98]
	v_add_f64 v[73:74], v[73:74], -v[95:96]
	v_fma_f64 v[89:90], v[91:92], v[125:126], v[89:90]
	v_add_f64 v[75:76], v[75:76], -v[89:90]
	ds_read2_b64 v[89:92], v0 offset0:78 offset1:79
	s_waitcnt lgkmcnt(0)
	v_mul_f64 v[95:96], v[91:92], v[97:98]
	v_fma_f64 v[95:96], v[89:90], v[125:126], -v[95:96]
	v_mul_f64 v[89:90], v[89:90], v[97:98]
	v_add_f64 v[69:70], v[69:70], -v[95:96]
	v_fma_f64 v[89:90], v[91:92], v[125:126], v[89:90]
	v_add_f64 v[71:72], v[71:72], -v[89:90]
	;; [unrolled: 8-line block ×19, first 2 shown]
	ds_read2_b64 v[89:92], v0 offset0:114 offset1:115
	s_waitcnt lgkmcnt(0)
	v_mul_f64 v[95:96], v[91:92], v[97:98]
	v_fma_f64 v[95:96], v[89:90], v[125:126], -v[95:96]
	v_mul_f64 v[89:90], v[89:90], v[97:98]
	v_add_f64 v[121:122], v[121:122], -v[95:96]
	v_fma_f64 v[89:90], v[91:92], v[125:126], v[89:90]
	v_mov_b32_e32 v95, v125
	v_mov_b32_e32 v96, v126
	buffer_store_dword v95, off, s[24:27], 0 offset:208 ; 4-byte Folded Spill
	s_nop 0
	buffer_store_dword v96, off, s[24:27], 0 offset:212 ; 4-byte Folded Spill
	buffer_store_dword v97, off, s[24:27], 0 offset:216 ; 4-byte Folded Spill
	;; [unrolled: 1-line block ×3, first 2 shown]
	v_add_f64 v[123:124], v[123:124], -v[89:90]
.LBB114_440:
	s_or_b64 exec, exec, s[0:1]
	s_waitcnt vmcnt(0)
	s_barrier
	buffer_load_dword v77, off, s[24:27], 0 offset:192 ; 4-byte Folded Reload
	buffer_load_dword v78, off, s[24:27], 0 offset:196 ; 4-byte Folded Reload
	;; [unrolled: 1-line block ×4, first 2 shown]
	v_lshl_add_u32 v89, v93, 4, v0
	s_cmp_lt_i32 s3, 23
	s_waitcnt vmcnt(0)
	ds_write2_b64 v89, v[77:78], v[79:80] offset1:1
	s_waitcnt lgkmcnt(0)
	s_barrier
	ds_read2_b64 v[117:120], v0 offset0:42 offset1:43
	v_mov_b32_e32 v89, 21
	s_cbranch_scc1 .LBB114_443
; %bb.441:
	v_add_u32_e32 v90, 0x160, v0
	s_mov_b32 s0, 22
	v_mov_b32_e32 v89, 21
.LBB114_442:                            ; =>This Inner Loop Header: Depth=1
	s_waitcnt lgkmcnt(0)
	v_cmp_gt_f64_e32 vcc, 0, v[117:118]
	v_xor_b32_e32 v91, 0x80000000, v118
	ds_read2_b64 v[95:98], v90 offset1:1
	v_xor_b32_e32 v99, 0x80000000, v120
	v_add_u32_e32 v90, 16, v90
	s_waitcnt lgkmcnt(0)
	v_xor_b32_e32 v101, 0x80000000, v98
	v_cndmask_b32_e32 v92, v118, v91, vcc
	v_cmp_gt_f64_e32 vcc, 0, v[119:120]
	v_mov_b32_e32 v91, v117
	v_cndmask_b32_e32 v100, v120, v99, vcc
	v_cmp_gt_f64_e32 vcc, 0, v[95:96]
	v_mov_b32_e32 v99, v119
	v_add_f64 v[91:92], v[91:92], v[99:100]
	v_xor_b32_e32 v99, 0x80000000, v96
	v_cndmask_b32_e32 v100, v96, v99, vcc
	v_cmp_gt_f64_e32 vcc, 0, v[97:98]
	v_mov_b32_e32 v99, v95
	v_cndmask_b32_e32 v102, v98, v101, vcc
	v_mov_b32_e32 v101, v97
	v_add_f64 v[99:100], v[99:100], v[101:102]
	v_cmp_lt_f64_e32 vcc, v[91:92], v[99:100]
	v_mov_b32_e32 v91, s0
	s_add_i32 s0, s0, 1
	s_cmp_lg_u32 s3, s0
	v_cndmask_b32_e32 v118, v118, v96, vcc
	v_cndmask_b32_e32 v117, v117, v95, vcc
	;; [unrolled: 1-line block ×5, first 2 shown]
	s_cbranch_scc1 .LBB114_442
.LBB114_443:
	s_waitcnt lgkmcnt(0)
	v_cmp_eq_f64_e32 vcc, 0, v[117:118]
	v_cmp_eq_f64_e64 s[0:1], 0, v[119:120]
	s_and_b64 s[0:1], vcc, s[0:1]
	s_and_saveexec_b64 s[18:19], s[0:1]
	s_xor_b64 s[0:1], exec, s[18:19]
; %bb.444:
	v_cmp_ne_u32_e32 vcc, 0, v94
	v_cndmask_b32_e32 v94, 22, v94, vcc
; %bb.445:
	s_andn2_saveexec_b64 s[0:1], s[0:1]
	s_cbranch_execz .LBB114_451
; %bb.446:
	v_cmp_ngt_f64_e64 s[18:19], |v[117:118]|, |v[119:120]|
	s_and_saveexec_b64 s[20:21], s[18:19]
	s_xor_b64 s[18:19], exec, s[20:21]
	s_cbranch_execz .LBB114_448
; %bb.447:
	v_div_scale_f64 v[90:91], s[20:21], v[119:120], v[119:120], v[117:118]
	v_rcp_f64_e32 v[95:96], v[90:91]
	v_fma_f64 v[97:98], -v[90:91], v[95:96], 1.0
	v_fma_f64 v[95:96], v[95:96], v[97:98], v[95:96]
	v_div_scale_f64 v[97:98], vcc, v[117:118], v[119:120], v[117:118]
	v_fma_f64 v[99:100], -v[90:91], v[95:96], 1.0
	v_fma_f64 v[95:96], v[95:96], v[99:100], v[95:96]
	v_mul_f64 v[99:100], v[97:98], v[95:96]
	v_fma_f64 v[90:91], -v[90:91], v[99:100], v[97:98]
	v_div_fmas_f64 v[90:91], v[90:91], v[95:96], v[99:100]
	v_div_fixup_f64 v[90:91], v[90:91], v[119:120], v[117:118]
	v_fma_f64 v[95:96], v[117:118], v[90:91], v[119:120]
	v_div_scale_f64 v[97:98], s[20:21], v[95:96], v[95:96], 1.0
	v_div_scale_f64 v[103:104], vcc, 1.0, v[95:96], 1.0
	v_rcp_f64_e32 v[99:100], v[97:98]
	v_fma_f64 v[101:102], -v[97:98], v[99:100], 1.0
	v_fma_f64 v[99:100], v[99:100], v[101:102], v[99:100]
	v_fma_f64 v[101:102], -v[97:98], v[99:100], 1.0
	v_fma_f64 v[99:100], v[99:100], v[101:102], v[99:100]
	v_mul_f64 v[101:102], v[103:104], v[99:100]
	v_fma_f64 v[97:98], -v[97:98], v[101:102], v[103:104]
	v_div_fmas_f64 v[97:98], v[97:98], v[99:100], v[101:102]
	v_div_fixup_f64 v[119:120], v[97:98], v[95:96], 1.0
	v_mul_f64 v[117:118], v[90:91], v[119:120]
	v_xor_b32_e32 v120, 0x80000000, v120
.LBB114_448:
	s_andn2_saveexec_b64 s[18:19], s[18:19]
	s_cbranch_execz .LBB114_450
; %bb.449:
	v_div_scale_f64 v[90:91], s[20:21], v[117:118], v[117:118], v[119:120]
	v_rcp_f64_e32 v[95:96], v[90:91]
	v_fma_f64 v[97:98], -v[90:91], v[95:96], 1.0
	v_fma_f64 v[95:96], v[95:96], v[97:98], v[95:96]
	v_div_scale_f64 v[97:98], vcc, v[119:120], v[117:118], v[119:120]
	v_fma_f64 v[99:100], -v[90:91], v[95:96], 1.0
	v_fma_f64 v[95:96], v[95:96], v[99:100], v[95:96]
	v_mul_f64 v[99:100], v[97:98], v[95:96]
	v_fma_f64 v[90:91], -v[90:91], v[99:100], v[97:98]
	v_div_fmas_f64 v[90:91], v[90:91], v[95:96], v[99:100]
	v_div_fixup_f64 v[90:91], v[90:91], v[117:118], v[119:120]
	v_fma_f64 v[95:96], v[119:120], v[90:91], v[117:118]
	v_div_scale_f64 v[97:98], s[20:21], v[95:96], v[95:96], 1.0
	v_div_scale_f64 v[103:104], vcc, 1.0, v[95:96], 1.0
	v_rcp_f64_e32 v[99:100], v[97:98]
	v_fma_f64 v[101:102], -v[97:98], v[99:100], 1.0
	v_fma_f64 v[99:100], v[99:100], v[101:102], v[99:100]
	v_fma_f64 v[101:102], -v[97:98], v[99:100], 1.0
	v_fma_f64 v[99:100], v[99:100], v[101:102], v[99:100]
	v_mul_f64 v[101:102], v[103:104], v[99:100]
	v_fma_f64 v[97:98], -v[97:98], v[101:102], v[103:104]
	v_div_fmas_f64 v[97:98], v[97:98], v[99:100], v[101:102]
	v_div_fixup_f64 v[117:118], v[97:98], v[95:96], 1.0
	v_mul_f64 v[119:120], v[90:91], -v[117:118]
.LBB114_450:
	s_or_b64 exec, exec, s[18:19]
.LBB114_451:
	s_or_b64 exec, exec, s[0:1]
	v_cmp_ne_u32_e32 vcc, v93, v89
	s_and_saveexec_b64 s[0:1], vcc
	s_xor_b64 s[0:1], exec, s[0:1]
	s_cbranch_execz .LBB114_457
; %bb.452:
	v_cmp_eq_u32_e32 vcc, 21, v93
	s_and_saveexec_b64 s[18:19], vcc
	s_cbranch_execz .LBB114_456
; %bb.453:
	v_cmp_ne_u32_e32 vcc, 21, v89
	s_xor_b64 s[20:21], s[6:7], -1
	s_and_b64 s[22:23], s[20:21], vcc
	s_and_saveexec_b64 s[20:21], s[22:23]
	s_cbranch_execz .LBB114_455
; %bb.454:
	v_mov_b32_e32 v77, v81
	v_mov_b32_e32 v78, v82
	;; [unrolled: 1-line block ×4, first 2 shown]
	buffer_load_dword v81, off, s[24:27], 0 offset:480 ; 4-byte Folded Reload
	buffer_load_dword v82, off, s[24:27], 0 offset:484 ; 4-byte Folded Reload
	v_ashrrev_i32_e32 v90, 31, v89
	v_lshlrev_b64 v[90:91], 2, v[89:90]
	s_waitcnt vmcnt(1)
	v_add_co_u32_e32 v90, vcc, v81, v90
	s_waitcnt vmcnt(0)
	v_addc_co_u32_e32 v91, vcc, v82, v91, vcc
	global_load_dword v92, v[90:91], off
	global_load_dword v93, v[81:82], off offset:84
	s_waitcnt vmcnt(1)
	global_store_dword v[81:82], v92, off offset:84
	v_mov_b32_e32 v84, v80
	v_mov_b32_e32 v83, v79
	;; [unrolled: 1-line block ×4, first 2 shown]
	s_waitcnt vmcnt(1)
	global_store_dword v[90:91], v93, off
.LBB114_455:
	s_or_b64 exec, exec, s[20:21]
	v_mov_b32_e32 v93, v89
	v_mov_b32_e32 v127, v89
.LBB114_456:
	s_or_b64 exec, exec, s[18:19]
.LBB114_457:
	s_andn2_saveexec_b64 s[0:1], s[0:1]
	s_cbranch_execz .LBB114_459
; %bb.458:
	buffer_load_dword v77, off, s[24:27], 0 offset:176 ; 4-byte Folded Reload
	buffer_load_dword v78, off, s[24:27], 0 offset:180 ; 4-byte Folded Reload
	;; [unrolled: 1-line block ×4, first 2 shown]
	v_mov_b32_e32 v93, 21
	s_waitcnt vmcnt(0)
	ds_write2_b64 v0, v[77:78], v[79:80] offset0:44 offset1:45
	buffer_load_dword v77, off, s[24:27], 0 offset:160 ; 4-byte Folded Reload
	buffer_load_dword v78, off, s[24:27], 0 offset:164 ; 4-byte Folded Reload
	buffer_load_dword v79, off, s[24:27], 0 offset:168 ; 4-byte Folded Reload
	buffer_load_dword v80, off, s[24:27], 0 offset:172 ; 4-byte Folded Reload
	s_waitcnt vmcnt(0)
	ds_write2_b64 v0, v[77:78], v[79:80] offset0:46 offset1:47
	buffer_load_dword v77, off, s[24:27], 0 offset:144 ; 4-byte Folded Reload
	buffer_load_dword v78, off, s[24:27], 0 offset:148 ; 4-byte Folded Reload
	buffer_load_dword v79, off, s[24:27], 0 offset:152 ; 4-byte Folded Reload
	buffer_load_dword v80, off, s[24:27], 0 offset:156 ; 4-byte Folded Reload
	s_waitcnt vmcnt(0)
	ds_write2_b64 v0, v[77:78], v[79:80] offset0:48 offset1:49
	buffer_load_dword v77, off, s[24:27], 0 offset:128 ; 4-byte Folded Reload
	buffer_load_dword v78, off, s[24:27], 0 offset:132 ; 4-byte Folded Reload
	buffer_load_dword v79, off, s[24:27], 0 offset:136 ; 4-byte Folded Reload
	buffer_load_dword v80, off, s[24:27], 0 offset:140 ; 4-byte Folded Reload
	s_waitcnt vmcnt(0)
	ds_write2_b64 v0, v[77:78], v[79:80] offset0:50 offset1:51
	buffer_load_dword v77, off, s[24:27], 0 offset:112 ; 4-byte Folded Reload
	buffer_load_dword v78, off, s[24:27], 0 offset:116 ; 4-byte Folded Reload
	buffer_load_dword v79, off, s[24:27], 0 offset:120 ; 4-byte Folded Reload
	buffer_load_dword v80, off, s[24:27], 0 offset:124 ; 4-byte Folded Reload
	s_waitcnt vmcnt(0)
	ds_write2_b64 v0, v[77:78], v[79:80] offset0:52 offset1:53
	buffer_load_dword v77, off, s[24:27], 0 offset:96 ; 4-byte Folded Reload
	buffer_load_dword v78, off, s[24:27], 0 offset:100 ; 4-byte Folded Reload
	buffer_load_dword v79, off, s[24:27], 0 offset:104 ; 4-byte Folded Reload
	buffer_load_dword v80, off, s[24:27], 0 offset:108 ; 4-byte Folded Reload
	s_waitcnt vmcnt(0)
	ds_write2_b64 v0, v[77:78], v[79:80] offset0:54 offset1:55
	buffer_load_dword v77, off, s[24:27], 0 offset:80 ; 4-byte Folded Reload
	buffer_load_dword v78, off, s[24:27], 0 offset:84 ; 4-byte Folded Reload
	buffer_load_dword v79, off, s[24:27], 0 offset:88 ; 4-byte Folded Reload
	buffer_load_dword v80, off, s[24:27], 0 offset:92 ; 4-byte Folded Reload
	s_waitcnt vmcnt(0)
	ds_write2_b64 v0, v[77:78], v[79:80] offset0:56 offset1:57
	buffer_load_dword v77, off, s[24:27], 0 offset:64 ; 4-byte Folded Reload
	buffer_load_dword v78, off, s[24:27], 0 offset:68 ; 4-byte Folded Reload
	buffer_load_dword v79, off, s[24:27], 0 offset:72 ; 4-byte Folded Reload
	buffer_load_dword v80, off, s[24:27], 0 offset:76 ; 4-byte Folded Reload
	s_waitcnt vmcnt(0)
	ds_write2_b64 v0, v[77:78], v[79:80] offset0:58 offset1:59
	buffer_load_dword v77, off, s[24:27], 0 offset:48 ; 4-byte Folded Reload
	buffer_load_dword v78, off, s[24:27], 0 offset:52 ; 4-byte Folded Reload
	buffer_load_dword v79, off, s[24:27], 0 offset:56 ; 4-byte Folded Reload
	buffer_load_dword v80, off, s[24:27], 0 offset:60 ; 4-byte Folded Reload
	s_waitcnt vmcnt(0)
	ds_write2_b64 v0, v[77:78], v[79:80] offset0:60 offset1:61
	buffer_load_dword v77, off, s[24:27], 0 offset:32 ; 4-byte Folded Reload
	buffer_load_dword v78, off, s[24:27], 0 offset:36 ; 4-byte Folded Reload
	buffer_load_dword v79, off, s[24:27], 0 offset:40 ; 4-byte Folded Reload
	buffer_load_dword v80, off, s[24:27], 0 offset:44 ; 4-byte Folded Reload
	s_waitcnt vmcnt(0)
	ds_write2_b64 v0, v[77:78], v[79:80] offset0:62 offset1:63
	buffer_load_dword v77, off, s[24:27], 0 offset:16 ; 4-byte Folded Reload
	buffer_load_dword v78, off, s[24:27], 0 offset:20 ; 4-byte Folded Reload
	buffer_load_dword v79, off, s[24:27], 0 offset:24 ; 4-byte Folded Reload
	buffer_load_dword v80, off, s[24:27], 0 offset:28 ; 4-byte Folded Reload
	s_waitcnt vmcnt(0)
	ds_write2_b64 v0, v[77:78], v[79:80] offset0:64 offset1:65
	ds_write2_b64 v0, v[81:82], v[83:84] offset0:66 offset1:67
	;; [unrolled: 1-line block ×5, first 2 shown]
	buffer_load_dword v77, off, s[24:27], 0 ; 4-byte Folded Reload
	buffer_load_dword v78, off, s[24:27], 0 offset:4 ; 4-byte Folded Reload
	buffer_load_dword v79, off, s[24:27], 0 offset:8 ; 4-byte Folded Reload
	buffer_load_dword v80, off, s[24:27], 0 offset:12 ; 4-byte Folded Reload
	s_waitcnt vmcnt(0)
	ds_write2_b64 v0, v[77:78], v[79:80] offset0:74 offset1:75
	ds_write2_b64 v0, v[73:74], v[75:76] offset0:76 offset1:77
	;; [unrolled: 1-line block ×21, first 2 shown]
.LBB114_459:
	s_or_b64 exec, exec, s[0:1]
	v_cmp_lt_i32_e32 vcc, 21, v93
	s_waitcnt vmcnt(0) lgkmcnt(0)
	s_barrier
	s_and_saveexec_b64 s[0:1], vcc
	s_cbranch_execz .LBB114_461
; %bb.460:
	buffer_load_dword v95, off, s[24:27], 0 offset:192 ; 4-byte Folded Reload
	buffer_load_dword v96, off, s[24:27], 0 offset:196 ; 4-byte Folded Reload
	;; [unrolled: 1-line block ×4, first 2 shown]
	s_waitcnt vmcnt(0)
	v_mul_f64 v[89:90], v[119:120], v[97:98]
	v_fma_f64 v[125:126], v[117:118], v[95:96], -v[89:90]
	v_mul_f64 v[89:90], v[117:118], v[97:98]
	v_fma_f64 v[97:98], v[119:120], v[95:96], v[89:90]
	ds_read2_b64 v[89:92], v0 offset0:44 offset1:45
	buffer_load_dword v77, off, s[24:27], 0 offset:176 ; 4-byte Folded Reload
	buffer_load_dword v78, off, s[24:27], 0 offset:180 ; 4-byte Folded Reload
	buffer_load_dword v79, off, s[24:27], 0 offset:184 ; 4-byte Folded Reload
	buffer_load_dword v80, off, s[24:27], 0 offset:188 ; 4-byte Folded Reload
	s_waitcnt lgkmcnt(0)
	v_mul_f64 v[95:96], v[91:92], v[97:98]
	v_fma_f64 v[95:96], v[89:90], v[125:126], -v[95:96]
	v_mul_f64 v[89:90], v[89:90], v[97:98]
	v_fma_f64 v[89:90], v[91:92], v[125:126], v[89:90]
	s_waitcnt vmcnt(2)
	v_add_f64 v[77:78], v[77:78], -v[95:96]
	s_waitcnt vmcnt(0)
	v_add_f64 v[79:80], v[79:80], -v[89:90]
	buffer_store_dword v77, off, s[24:27], 0 offset:176 ; 4-byte Folded Spill
	s_nop 0
	buffer_store_dword v78, off, s[24:27], 0 offset:180 ; 4-byte Folded Spill
	buffer_store_dword v79, off, s[24:27], 0 offset:184 ; 4-byte Folded Spill
	buffer_store_dword v80, off, s[24:27], 0 offset:188 ; 4-byte Folded Spill
	ds_read2_b64 v[89:92], v0 offset0:46 offset1:47
	buffer_load_dword v77, off, s[24:27], 0 offset:160 ; 4-byte Folded Reload
	buffer_load_dword v78, off, s[24:27], 0 offset:164 ; 4-byte Folded Reload
	buffer_load_dword v79, off, s[24:27], 0 offset:168 ; 4-byte Folded Reload
	buffer_load_dword v80, off, s[24:27], 0 offset:172 ; 4-byte Folded Reload
	s_waitcnt lgkmcnt(0)
	v_mul_f64 v[95:96], v[91:92], v[97:98]
	v_fma_f64 v[95:96], v[89:90], v[125:126], -v[95:96]
	v_mul_f64 v[89:90], v[89:90], v[97:98]
	v_fma_f64 v[89:90], v[91:92], v[125:126], v[89:90]
	s_waitcnt vmcnt(2)
	v_add_f64 v[77:78], v[77:78], -v[95:96]
	s_waitcnt vmcnt(0)
	v_add_f64 v[79:80], v[79:80], -v[89:90]
	buffer_store_dword v77, off, s[24:27], 0 offset:160 ; 4-byte Folded Spill
	s_nop 0
	buffer_store_dword v78, off, s[24:27], 0 offset:164 ; 4-byte Folded Spill
	buffer_store_dword v79, off, s[24:27], 0 offset:168 ; 4-byte Folded Spill
	buffer_store_dword v80, off, s[24:27], 0 offset:172 ; 4-byte Folded Spill
	ds_read2_b64 v[89:92], v0 offset0:48 offset1:49
	buffer_load_dword v77, off, s[24:27], 0 offset:144 ; 4-byte Folded Reload
	buffer_load_dword v78, off, s[24:27], 0 offset:148 ; 4-byte Folded Reload
	buffer_load_dword v79, off, s[24:27], 0 offset:152 ; 4-byte Folded Reload
	buffer_load_dword v80, off, s[24:27], 0 offset:156 ; 4-byte Folded Reload
	s_waitcnt lgkmcnt(0)
	v_mul_f64 v[95:96], v[91:92], v[97:98]
	v_fma_f64 v[95:96], v[89:90], v[125:126], -v[95:96]
	v_mul_f64 v[89:90], v[89:90], v[97:98]
	v_fma_f64 v[89:90], v[91:92], v[125:126], v[89:90]
	s_waitcnt vmcnt(2)
	v_add_f64 v[77:78], v[77:78], -v[95:96]
	s_waitcnt vmcnt(0)
	v_add_f64 v[79:80], v[79:80], -v[89:90]
	buffer_store_dword v77, off, s[24:27], 0 offset:144 ; 4-byte Folded Spill
	s_nop 0
	buffer_store_dword v78, off, s[24:27], 0 offset:148 ; 4-byte Folded Spill
	buffer_store_dword v79, off, s[24:27], 0 offset:152 ; 4-byte Folded Spill
	buffer_store_dword v80, off, s[24:27], 0 offset:156 ; 4-byte Folded Spill
	ds_read2_b64 v[89:92], v0 offset0:50 offset1:51
	buffer_load_dword v77, off, s[24:27], 0 offset:128 ; 4-byte Folded Reload
	buffer_load_dword v78, off, s[24:27], 0 offset:132 ; 4-byte Folded Reload
	buffer_load_dword v79, off, s[24:27], 0 offset:136 ; 4-byte Folded Reload
	buffer_load_dword v80, off, s[24:27], 0 offset:140 ; 4-byte Folded Reload
	s_waitcnt lgkmcnt(0)
	v_mul_f64 v[95:96], v[91:92], v[97:98]
	v_fma_f64 v[95:96], v[89:90], v[125:126], -v[95:96]
	v_mul_f64 v[89:90], v[89:90], v[97:98]
	v_fma_f64 v[89:90], v[91:92], v[125:126], v[89:90]
	s_waitcnt vmcnt(2)
	v_add_f64 v[77:78], v[77:78], -v[95:96]
	s_waitcnt vmcnt(0)
	v_add_f64 v[79:80], v[79:80], -v[89:90]
	buffer_store_dword v77, off, s[24:27], 0 offset:128 ; 4-byte Folded Spill
	s_nop 0
	buffer_store_dword v78, off, s[24:27], 0 offset:132 ; 4-byte Folded Spill
	buffer_store_dword v79, off, s[24:27], 0 offset:136 ; 4-byte Folded Spill
	buffer_store_dword v80, off, s[24:27], 0 offset:140 ; 4-byte Folded Spill
	ds_read2_b64 v[89:92], v0 offset0:52 offset1:53
	buffer_load_dword v77, off, s[24:27], 0 offset:112 ; 4-byte Folded Reload
	buffer_load_dword v78, off, s[24:27], 0 offset:116 ; 4-byte Folded Reload
	buffer_load_dword v79, off, s[24:27], 0 offset:120 ; 4-byte Folded Reload
	buffer_load_dword v80, off, s[24:27], 0 offset:124 ; 4-byte Folded Reload
	s_waitcnt lgkmcnt(0)
	v_mul_f64 v[95:96], v[91:92], v[97:98]
	v_fma_f64 v[95:96], v[89:90], v[125:126], -v[95:96]
	v_mul_f64 v[89:90], v[89:90], v[97:98]
	v_fma_f64 v[89:90], v[91:92], v[125:126], v[89:90]
	s_waitcnt vmcnt(2)
	v_add_f64 v[77:78], v[77:78], -v[95:96]
	s_waitcnt vmcnt(0)
	v_add_f64 v[79:80], v[79:80], -v[89:90]
	buffer_store_dword v77, off, s[24:27], 0 offset:112 ; 4-byte Folded Spill
	s_nop 0
	buffer_store_dword v78, off, s[24:27], 0 offset:116 ; 4-byte Folded Spill
	buffer_store_dword v79, off, s[24:27], 0 offset:120 ; 4-byte Folded Spill
	buffer_store_dword v80, off, s[24:27], 0 offset:124 ; 4-byte Folded Spill
	ds_read2_b64 v[89:92], v0 offset0:54 offset1:55
	buffer_load_dword v77, off, s[24:27], 0 offset:96 ; 4-byte Folded Reload
	buffer_load_dword v78, off, s[24:27], 0 offset:100 ; 4-byte Folded Reload
	buffer_load_dword v79, off, s[24:27], 0 offset:104 ; 4-byte Folded Reload
	buffer_load_dword v80, off, s[24:27], 0 offset:108 ; 4-byte Folded Reload
	s_waitcnt lgkmcnt(0)
	v_mul_f64 v[95:96], v[91:92], v[97:98]
	v_fma_f64 v[95:96], v[89:90], v[125:126], -v[95:96]
	v_mul_f64 v[89:90], v[89:90], v[97:98]
	v_fma_f64 v[89:90], v[91:92], v[125:126], v[89:90]
	s_waitcnt vmcnt(2)
	v_add_f64 v[77:78], v[77:78], -v[95:96]
	s_waitcnt vmcnt(0)
	v_add_f64 v[79:80], v[79:80], -v[89:90]
	buffer_store_dword v77, off, s[24:27], 0 offset:96 ; 4-byte Folded Spill
	s_nop 0
	buffer_store_dword v78, off, s[24:27], 0 offset:100 ; 4-byte Folded Spill
	buffer_store_dword v79, off, s[24:27], 0 offset:104 ; 4-byte Folded Spill
	buffer_store_dword v80, off, s[24:27], 0 offset:108 ; 4-byte Folded Spill
	ds_read2_b64 v[89:92], v0 offset0:56 offset1:57
	buffer_load_dword v77, off, s[24:27], 0 offset:80 ; 4-byte Folded Reload
	buffer_load_dword v78, off, s[24:27], 0 offset:84 ; 4-byte Folded Reload
	buffer_load_dword v79, off, s[24:27], 0 offset:88 ; 4-byte Folded Reload
	buffer_load_dword v80, off, s[24:27], 0 offset:92 ; 4-byte Folded Reload
	s_waitcnt lgkmcnt(0)
	v_mul_f64 v[95:96], v[91:92], v[97:98]
	v_fma_f64 v[95:96], v[89:90], v[125:126], -v[95:96]
	v_mul_f64 v[89:90], v[89:90], v[97:98]
	v_fma_f64 v[89:90], v[91:92], v[125:126], v[89:90]
	s_waitcnt vmcnt(2)
	v_add_f64 v[77:78], v[77:78], -v[95:96]
	s_waitcnt vmcnt(0)
	v_add_f64 v[79:80], v[79:80], -v[89:90]
	buffer_store_dword v77, off, s[24:27], 0 offset:80 ; 4-byte Folded Spill
	s_nop 0
	buffer_store_dword v78, off, s[24:27], 0 offset:84 ; 4-byte Folded Spill
	buffer_store_dword v79, off, s[24:27], 0 offset:88 ; 4-byte Folded Spill
	buffer_store_dword v80, off, s[24:27], 0 offset:92 ; 4-byte Folded Spill
	ds_read2_b64 v[89:92], v0 offset0:58 offset1:59
	buffer_load_dword v77, off, s[24:27], 0 offset:64 ; 4-byte Folded Reload
	buffer_load_dword v78, off, s[24:27], 0 offset:68 ; 4-byte Folded Reload
	buffer_load_dword v79, off, s[24:27], 0 offset:72 ; 4-byte Folded Reload
	buffer_load_dword v80, off, s[24:27], 0 offset:76 ; 4-byte Folded Reload
	s_waitcnt lgkmcnt(0)
	v_mul_f64 v[95:96], v[91:92], v[97:98]
	v_fma_f64 v[95:96], v[89:90], v[125:126], -v[95:96]
	v_mul_f64 v[89:90], v[89:90], v[97:98]
	v_fma_f64 v[89:90], v[91:92], v[125:126], v[89:90]
	s_waitcnt vmcnt(2)
	v_add_f64 v[77:78], v[77:78], -v[95:96]
	s_waitcnt vmcnt(0)
	v_add_f64 v[79:80], v[79:80], -v[89:90]
	buffer_store_dword v77, off, s[24:27], 0 offset:64 ; 4-byte Folded Spill
	s_nop 0
	buffer_store_dword v78, off, s[24:27], 0 offset:68 ; 4-byte Folded Spill
	buffer_store_dword v79, off, s[24:27], 0 offset:72 ; 4-byte Folded Spill
	buffer_store_dword v80, off, s[24:27], 0 offset:76 ; 4-byte Folded Spill
	ds_read2_b64 v[89:92], v0 offset0:60 offset1:61
	buffer_load_dword v77, off, s[24:27], 0 offset:48 ; 4-byte Folded Reload
	buffer_load_dword v78, off, s[24:27], 0 offset:52 ; 4-byte Folded Reload
	buffer_load_dword v79, off, s[24:27], 0 offset:56 ; 4-byte Folded Reload
	buffer_load_dword v80, off, s[24:27], 0 offset:60 ; 4-byte Folded Reload
	s_waitcnt lgkmcnt(0)
	v_mul_f64 v[95:96], v[91:92], v[97:98]
	v_fma_f64 v[95:96], v[89:90], v[125:126], -v[95:96]
	v_mul_f64 v[89:90], v[89:90], v[97:98]
	v_fma_f64 v[89:90], v[91:92], v[125:126], v[89:90]
	s_waitcnt vmcnt(2)
	v_add_f64 v[77:78], v[77:78], -v[95:96]
	s_waitcnt vmcnt(0)
	v_add_f64 v[79:80], v[79:80], -v[89:90]
	buffer_store_dword v77, off, s[24:27], 0 offset:48 ; 4-byte Folded Spill
	s_nop 0
	buffer_store_dword v78, off, s[24:27], 0 offset:52 ; 4-byte Folded Spill
	buffer_store_dword v79, off, s[24:27], 0 offset:56 ; 4-byte Folded Spill
	buffer_store_dword v80, off, s[24:27], 0 offset:60 ; 4-byte Folded Spill
	ds_read2_b64 v[89:92], v0 offset0:62 offset1:63
	buffer_load_dword v77, off, s[24:27], 0 offset:32 ; 4-byte Folded Reload
	buffer_load_dword v78, off, s[24:27], 0 offset:36 ; 4-byte Folded Reload
	buffer_load_dword v79, off, s[24:27], 0 offset:40 ; 4-byte Folded Reload
	buffer_load_dword v80, off, s[24:27], 0 offset:44 ; 4-byte Folded Reload
	s_waitcnt lgkmcnt(0)
	v_mul_f64 v[95:96], v[91:92], v[97:98]
	v_fma_f64 v[95:96], v[89:90], v[125:126], -v[95:96]
	v_mul_f64 v[89:90], v[89:90], v[97:98]
	v_fma_f64 v[89:90], v[91:92], v[125:126], v[89:90]
	s_waitcnt vmcnt(2)
	v_add_f64 v[77:78], v[77:78], -v[95:96]
	s_waitcnt vmcnt(0)
	v_add_f64 v[79:80], v[79:80], -v[89:90]
	buffer_store_dword v77, off, s[24:27], 0 offset:32 ; 4-byte Folded Spill
	s_nop 0
	buffer_store_dword v78, off, s[24:27], 0 offset:36 ; 4-byte Folded Spill
	buffer_store_dword v79, off, s[24:27], 0 offset:40 ; 4-byte Folded Spill
	buffer_store_dword v80, off, s[24:27], 0 offset:44 ; 4-byte Folded Spill
	ds_read2_b64 v[89:92], v0 offset0:64 offset1:65
	buffer_load_dword v77, off, s[24:27], 0 offset:16 ; 4-byte Folded Reload
	buffer_load_dword v78, off, s[24:27], 0 offset:20 ; 4-byte Folded Reload
	buffer_load_dword v79, off, s[24:27], 0 offset:24 ; 4-byte Folded Reload
	buffer_load_dword v80, off, s[24:27], 0 offset:28 ; 4-byte Folded Reload
	s_waitcnt lgkmcnt(0)
	v_mul_f64 v[95:96], v[91:92], v[97:98]
	v_fma_f64 v[95:96], v[89:90], v[125:126], -v[95:96]
	v_mul_f64 v[89:90], v[89:90], v[97:98]
	v_fma_f64 v[89:90], v[91:92], v[125:126], v[89:90]
	s_waitcnt vmcnt(2)
	v_add_f64 v[77:78], v[77:78], -v[95:96]
	s_waitcnt vmcnt(0)
	v_add_f64 v[79:80], v[79:80], -v[89:90]
	buffer_store_dword v77, off, s[24:27], 0 offset:16 ; 4-byte Folded Spill
	s_nop 0
	buffer_store_dword v78, off, s[24:27], 0 offset:20 ; 4-byte Folded Spill
	buffer_store_dword v79, off, s[24:27], 0 offset:24 ; 4-byte Folded Spill
	buffer_store_dword v80, off, s[24:27], 0 offset:28 ; 4-byte Folded Spill
	ds_read2_b64 v[89:92], v0 offset0:66 offset1:67
	s_waitcnt lgkmcnt(0)
	v_mul_f64 v[95:96], v[91:92], v[97:98]
	v_fma_f64 v[95:96], v[89:90], v[125:126], -v[95:96]
	v_mul_f64 v[89:90], v[89:90], v[97:98]
	v_add_f64 v[81:82], v[81:82], -v[95:96]
	v_fma_f64 v[89:90], v[91:92], v[125:126], v[89:90]
	v_add_f64 v[83:84], v[83:84], -v[89:90]
	ds_read2_b64 v[89:92], v0 offset0:68 offset1:69
	s_waitcnt lgkmcnt(0)
	v_mul_f64 v[95:96], v[91:92], v[97:98]
	v_fma_f64 v[95:96], v[89:90], v[125:126], -v[95:96]
	v_mul_f64 v[89:90], v[89:90], v[97:98]
	v_add_f64 v[85:86], v[85:86], -v[95:96]
	v_fma_f64 v[89:90], v[91:92], v[125:126], v[89:90]
	v_add_f64 v[87:88], v[87:88], -v[89:90]
	;; [unrolled: 8-line block ×4, first 2 shown]
	ds_read2_b64 v[89:92], v0 offset0:74 offset1:75
	buffer_load_dword v77, off, s[24:27], 0 ; 4-byte Folded Reload
	buffer_load_dword v78, off, s[24:27], 0 offset:4 ; 4-byte Folded Reload
	buffer_load_dword v79, off, s[24:27], 0 offset:8 ; 4-byte Folded Reload
	;; [unrolled: 1-line block ×3, first 2 shown]
	s_waitcnt lgkmcnt(0)
	v_mul_f64 v[95:96], v[91:92], v[97:98]
	v_fma_f64 v[95:96], v[89:90], v[125:126], -v[95:96]
	v_mul_f64 v[89:90], v[89:90], v[97:98]
	v_fma_f64 v[89:90], v[91:92], v[125:126], v[89:90]
	s_waitcnt vmcnt(2)
	v_add_f64 v[77:78], v[77:78], -v[95:96]
	s_waitcnt vmcnt(0)
	v_add_f64 v[79:80], v[79:80], -v[89:90]
	buffer_store_dword v77, off, s[24:27], 0 ; 4-byte Folded Spill
	s_nop 0
	buffer_store_dword v78, off, s[24:27], 0 offset:4 ; 4-byte Folded Spill
	buffer_store_dword v79, off, s[24:27], 0 offset:8 ; 4-byte Folded Spill
	buffer_store_dword v80, off, s[24:27], 0 offset:12 ; 4-byte Folded Spill
	ds_read2_b64 v[89:92], v0 offset0:76 offset1:77
	s_waitcnt lgkmcnt(0)
	v_mul_f64 v[95:96], v[91:92], v[97:98]
	v_fma_f64 v[95:96], v[89:90], v[125:126], -v[95:96]
	v_mul_f64 v[89:90], v[89:90], v[97:98]
	v_add_f64 v[73:74], v[73:74], -v[95:96]
	v_fma_f64 v[89:90], v[91:92], v[125:126], v[89:90]
	v_add_f64 v[75:76], v[75:76], -v[89:90]
	ds_read2_b64 v[89:92], v0 offset0:78 offset1:79
	s_waitcnt lgkmcnt(0)
	v_mul_f64 v[95:96], v[91:92], v[97:98]
	v_fma_f64 v[95:96], v[89:90], v[125:126], -v[95:96]
	v_mul_f64 v[89:90], v[89:90], v[97:98]
	v_add_f64 v[69:70], v[69:70], -v[95:96]
	v_fma_f64 v[89:90], v[91:92], v[125:126], v[89:90]
	v_add_f64 v[71:72], v[71:72], -v[89:90]
	;; [unrolled: 8-line block ×19, first 2 shown]
	ds_read2_b64 v[89:92], v0 offset0:114 offset1:115
	s_waitcnt lgkmcnt(0)
	v_mul_f64 v[95:96], v[91:92], v[97:98]
	v_fma_f64 v[95:96], v[89:90], v[125:126], -v[95:96]
	v_mul_f64 v[89:90], v[89:90], v[97:98]
	v_add_f64 v[121:122], v[121:122], -v[95:96]
	v_fma_f64 v[89:90], v[91:92], v[125:126], v[89:90]
	v_mov_b32_e32 v95, v125
	v_mov_b32_e32 v96, v126
	buffer_store_dword v95, off, s[24:27], 0 offset:192 ; 4-byte Folded Spill
	s_nop 0
	buffer_store_dword v96, off, s[24:27], 0 offset:196 ; 4-byte Folded Spill
	buffer_store_dword v97, off, s[24:27], 0 offset:200 ; 4-byte Folded Spill
	;; [unrolled: 1-line block ×3, first 2 shown]
	v_add_f64 v[123:124], v[123:124], -v[89:90]
.LBB114_461:
	s_or_b64 exec, exec, s[0:1]
	s_waitcnt vmcnt(0)
	s_barrier
	buffer_load_dword v77, off, s[24:27], 0 offset:176 ; 4-byte Folded Reload
	buffer_load_dword v78, off, s[24:27], 0 offset:180 ; 4-byte Folded Reload
	;; [unrolled: 1-line block ×4, first 2 shown]
	v_lshl_add_u32 v89, v93, 4, v0
	s_cmp_lt_i32 s3, 24
	s_waitcnt vmcnt(0)
	ds_write2_b64 v89, v[77:78], v[79:80] offset1:1
	s_waitcnt lgkmcnt(0)
	s_barrier
	ds_read2_b64 v[117:120], v0 offset0:44 offset1:45
	v_mov_b32_e32 v89, 22
	s_cbranch_scc1 .LBB114_464
; %bb.462:
	v_add_u32_e32 v90, 0x170, v0
	s_mov_b32 s0, 23
	v_mov_b32_e32 v89, 22
.LBB114_463:                            ; =>This Inner Loop Header: Depth=1
	s_waitcnt lgkmcnt(0)
	v_cmp_gt_f64_e32 vcc, 0, v[117:118]
	v_xor_b32_e32 v91, 0x80000000, v118
	ds_read2_b64 v[95:98], v90 offset1:1
	v_xor_b32_e32 v99, 0x80000000, v120
	v_add_u32_e32 v90, 16, v90
	s_waitcnt lgkmcnt(0)
	v_xor_b32_e32 v101, 0x80000000, v98
	v_cndmask_b32_e32 v92, v118, v91, vcc
	v_cmp_gt_f64_e32 vcc, 0, v[119:120]
	v_mov_b32_e32 v91, v117
	v_cndmask_b32_e32 v100, v120, v99, vcc
	v_cmp_gt_f64_e32 vcc, 0, v[95:96]
	v_mov_b32_e32 v99, v119
	v_add_f64 v[91:92], v[91:92], v[99:100]
	v_xor_b32_e32 v99, 0x80000000, v96
	v_cndmask_b32_e32 v100, v96, v99, vcc
	v_cmp_gt_f64_e32 vcc, 0, v[97:98]
	v_mov_b32_e32 v99, v95
	v_cndmask_b32_e32 v102, v98, v101, vcc
	v_mov_b32_e32 v101, v97
	v_add_f64 v[99:100], v[99:100], v[101:102]
	v_cmp_lt_f64_e32 vcc, v[91:92], v[99:100]
	v_mov_b32_e32 v91, s0
	s_add_i32 s0, s0, 1
	s_cmp_lg_u32 s3, s0
	v_cndmask_b32_e32 v118, v118, v96, vcc
	v_cndmask_b32_e32 v117, v117, v95, vcc
	;; [unrolled: 1-line block ×5, first 2 shown]
	s_cbranch_scc1 .LBB114_463
.LBB114_464:
	s_waitcnt lgkmcnt(0)
	v_cmp_eq_f64_e32 vcc, 0, v[117:118]
	v_cmp_eq_f64_e64 s[0:1], 0, v[119:120]
	s_and_b64 s[0:1], vcc, s[0:1]
	s_and_saveexec_b64 s[18:19], s[0:1]
	s_xor_b64 s[0:1], exec, s[18:19]
; %bb.465:
	v_cmp_ne_u32_e32 vcc, 0, v94
	v_cndmask_b32_e32 v94, 23, v94, vcc
; %bb.466:
	s_andn2_saveexec_b64 s[0:1], s[0:1]
	s_cbranch_execz .LBB114_472
; %bb.467:
	v_cmp_ngt_f64_e64 s[18:19], |v[117:118]|, |v[119:120]|
	s_and_saveexec_b64 s[20:21], s[18:19]
	s_xor_b64 s[18:19], exec, s[20:21]
	s_cbranch_execz .LBB114_469
; %bb.468:
	v_div_scale_f64 v[90:91], s[20:21], v[119:120], v[119:120], v[117:118]
	v_rcp_f64_e32 v[95:96], v[90:91]
	v_fma_f64 v[97:98], -v[90:91], v[95:96], 1.0
	v_fma_f64 v[95:96], v[95:96], v[97:98], v[95:96]
	v_div_scale_f64 v[97:98], vcc, v[117:118], v[119:120], v[117:118]
	v_fma_f64 v[99:100], -v[90:91], v[95:96], 1.0
	v_fma_f64 v[95:96], v[95:96], v[99:100], v[95:96]
	v_mul_f64 v[99:100], v[97:98], v[95:96]
	v_fma_f64 v[90:91], -v[90:91], v[99:100], v[97:98]
	v_div_fmas_f64 v[90:91], v[90:91], v[95:96], v[99:100]
	v_div_fixup_f64 v[90:91], v[90:91], v[119:120], v[117:118]
	v_fma_f64 v[95:96], v[117:118], v[90:91], v[119:120]
	v_div_scale_f64 v[97:98], s[20:21], v[95:96], v[95:96], 1.0
	v_div_scale_f64 v[103:104], vcc, 1.0, v[95:96], 1.0
	v_rcp_f64_e32 v[99:100], v[97:98]
	v_fma_f64 v[101:102], -v[97:98], v[99:100], 1.0
	v_fma_f64 v[99:100], v[99:100], v[101:102], v[99:100]
	v_fma_f64 v[101:102], -v[97:98], v[99:100], 1.0
	v_fma_f64 v[99:100], v[99:100], v[101:102], v[99:100]
	v_mul_f64 v[101:102], v[103:104], v[99:100]
	v_fma_f64 v[97:98], -v[97:98], v[101:102], v[103:104]
	v_div_fmas_f64 v[97:98], v[97:98], v[99:100], v[101:102]
	v_div_fixup_f64 v[119:120], v[97:98], v[95:96], 1.0
	v_mul_f64 v[117:118], v[90:91], v[119:120]
	v_xor_b32_e32 v120, 0x80000000, v120
.LBB114_469:
	s_andn2_saveexec_b64 s[18:19], s[18:19]
	s_cbranch_execz .LBB114_471
; %bb.470:
	v_div_scale_f64 v[90:91], s[20:21], v[117:118], v[117:118], v[119:120]
	v_rcp_f64_e32 v[95:96], v[90:91]
	v_fma_f64 v[97:98], -v[90:91], v[95:96], 1.0
	v_fma_f64 v[95:96], v[95:96], v[97:98], v[95:96]
	v_div_scale_f64 v[97:98], vcc, v[119:120], v[117:118], v[119:120]
	v_fma_f64 v[99:100], -v[90:91], v[95:96], 1.0
	v_fma_f64 v[95:96], v[95:96], v[99:100], v[95:96]
	v_mul_f64 v[99:100], v[97:98], v[95:96]
	v_fma_f64 v[90:91], -v[90:91], v[99:100], v[97:98]
	v_div_fmas_f64 v[90:91], v[90:91], v[95:96], v[99:100]
	v_div_fixup_f64 v[90:91], v[90:91], v[117:118], v[119:120]
	v_fma_f64 v[95:96], v[119:120], v[90:91], v[117:118]
	v_div_scale_f64 v[97:98], s[20:21], v[95:96], v[95:96], 1.0
	v_div_scale_f64 v[103:104], vcc, 1.0, v[95:96], 1.0
	v_rcp_f64_e32 v[99:100], v[97:98]
	v_fma_f64 v[101:102], -v[97:98], v[99:100], 1.0
	v_fma_f64 v[99:100], v[99:100], v[101:102], v[99:100]
	v_fma_f64 v[101:102], -v[97:98], v[99:100], 1.0
	v_fma_f64 v[99:100], v[99:100], v[101:102], v[99:100]
	v_mul_f64 v[101:102], v[103:104], v[99:100]
	v_fma_f64 v[97:98], -v[97:98], v[101:102], v[103:104]
	v_div_fmas_f64 v[97:98], v[97:98], v[99:100], v[101:102]
	v_div_fixup_f64 v[117:118], v[97:98], v[95:96], 1.0
	v_mul_f64 v[119:120], v[90:91], -v[117:118]
.LBB114_471:
	s_or_b64 exec, exec, s[18:19]
.LBB114_472:
	s_or_b64 exec, exec, s[0:1]
	v_cmp_ne_u32_e32 vcc, v93, v89
	s_and_saveexec_b64 s[0:1], vcc
	s_xor_b64 s[0:1], exec, s[0:1]
	s_cbranch_execz .LBB114_478
; %bb.473:
	v_cmp_eq_u32_e32 vcc, 22, v93
	s_and_saveexec_b64 s[18:19], vcc
	s_cbranch_execz .LBB114_477
; %bb.474:
	v_cmp_ne_u32_e32 vcc, 22, v89
	s_xor_b64 s[20:21], s[6:7], -1
	s_and_b64 s[22:23], s[20:21], vcc
	s_and_saveexec_b64 s[20:21], s[22:23]
	s_cbranch_execz .LBB114_476
; %bb.475:
	v_mov_b32_e32 v77, v81
	v_mov_b32_e32 v78, v82
	;; [unrolled: 1-line block ×4, first 2 shown]
	buffer_load_dword v81, off, s[24:27], 0 offset:480 ; 4-byte Folded Reload
	buffer_load_dword v82, off, s[24:27], 0 offset:484 ; 4-byte Folded Reload
	v_ashrrev_i32_e32 v90, 31, v89
	v_lshlrev_b64 v[90:91], 2, v[89:90]
	s_waitcnt vmcnt(1)
	v_add_co_u32_e32 v90, vcc, v81, v90
	s_waitcnt vmcnt(0)
	v_addc_co_u32_e32 v91, vcc, v82, v91, vcc
	global_load_dword v92, v[90:91], off
	global_load_dword v93, v[81:82], off offset:88
	s_waitcnt vmcnt(1)
	global_store_dword v[81:82], v92, off offset:88
	v_mov_b32_e32 v84, v80
	v_mov_b32_e32 v83, v79
	v_mov_b32_e32 v82, v78
	v_mov_b32_e32 v81, v77
	s_waitcnt vmcnt(1)
	global_store_dword v[90:91], v93, off
.LBB114_476:
	s_or_b64 exec, exec, s[20:21]
	v_mov_b32_e32 v93, v89
	v_mov_b32_e32 v127, v89
.LBB114_477:
	s_or_b64 exec, exec, s[18:19]
.LBB114_478:
	s_andn2_saveexec_b64 s[0:1], s[0:1]
	s_cbranch_execz .LBB114_480
; %bb.479:
	buffer_load_dword v77, off, s[24:27], 0 offset:160 ; 4-byte Folded Reload
	buffer_load_dword v78, off, s[24:27], 0 offset:164 ; 4-byte Folded Reload
	;; [unrolled: 1-line block ×4, first 2 shown]
	v_mov_b32_e32 v93, 22
	s_waitcnt vmcnt(0)
	ds_write2_b64 v0, v[77:78], v[79:80] offset0:46 offset1:47
	buffer_load_dword v77, off, s[24:27], 0 offset:144 ; 4-byte Folded Reload
	buffer_load_dword v78, off, s[24:27], 0 offset:148 ; 4-byte Folded Reload
	buffer_load_dword v79, off, s[24:27], 0 offset:152 ; 4-byte Folded Reload
	buffer_load_dword v80, off, s[24:27], 0 offset:156 ; 4-byte Folded Reload
	s_waitcnt vmcnt(0)
	ds_write2_b64 v0, v[77:78], v[79:80] offset0:48 offset1:49
	buffer_load_dword v77, off, s[24:27], 0 offset:128 ; 4-byte Folded Reload
	buffer_load_dword v78, off, s[24:27], 0 offset:132 ; 4-byte Folded Reload
	buffer_load_dword v79, off, s[24:27], 0 offset:136 ; 4-byte Folded Reload
	buffer_load_dword v80, off, s[24:27], 0 offset:140 ; 4-byte Folded Reload
	;; [unrolled: 6-line block ×9, first 2 shown]
	s_waitcnt vmcnt(0)
	ds_write2_b64 v0, v[77:78], v[79:80] offset0:64 offset1:65
	ds_write2_b64 v0, v[81:82], v[83:84] offset0:66 offset1:67
	;; [unrolled: 1-line block ×5, first 2 shown]
	buffer_load_dword v77, off, s[24:27], 0 ; 4-byte Folded Reload
	buffer_load_dword v78, off, s[24:27], 0 offset:4 ; 4-byte Folded Reload
	buffer_load_dword v79, off, s[24:27], 0 offset:8 ; 4-byte Folded Reload
	;; [unrolled: 1-line block ×3, first 2 shown]
	s_waitcnt vmcnt(0)
	ds_write2_b64 v0, v[77:78], v[79:80] offset0:74 offset1:75
	ds_write2_b64 v0, v[73:74], v[75:76] offset0:76 offset1:77
	;; [unrolled: 1-line block ×21, first 2 shown]
.LBB114_480:
	s_or_b64 exec, exec, s[0:1]
	v_cmp_lt_i32_e32 vcc, 22, v93
	s_waitcnt vmcnt(0) lgkmcnt(0)
	s_barrier
	s_and_saveexec_b64 s[0:1], vcc
	s_cbranch_execz .LBB114_482
; %bb.481:
	buffer_load_dword v95, off, s[24:27], 0 offset:176 ; 4-byte Folded Reload
	buffer_load_dword v96, off, s[24:27], 0 offset:180 ; 4-byte Folded Reload
	;; [unrolled: 1-line block ×4, first 2 shown]
	s_waitcnt vmcnt(0)
	v_mul_f64 v[89:90], v[119:120], v[97:98]
	v_fma_f64 v[125:126], v[117:118], v[95:96], -v[89:90]
	v_mul_f64 v[89:90], v[117:118], v[97:98]
	v_fma_f64 v[97:98], v[119:120], v[95:96], v[89:90]
	ds_read2_b64 v[89:92], v0 offset0:46 offset1:47
	buffer_load_dword v77, off, s[24:27], 0 offset:160 ; 4-byte Folded Reload
	buffer_load_dword v78, off, s[24:27], 0 offset:164 ; 4-byte Folded Reload
	buffer_load_dword v79, off, s[24:27], 0 offset:168 ; 4-byte Folded Reload
	buffer_load_dword v80, off, s[24:27], 0 offset:172 ; 4-byte Folded Reload
	s_waitcnt lgkmcnt(0)
	v_mul_f64 v[95:96], v[91:92], v[97:98]
	v_fma_f64 v[95:96], v[89:90], v[125:126], -v[95:96]
	v_mul_f64 v[89:90], v[89:90], v[97:98]
	v_fma_f64 v[89:90], v[91:92], v[125:126], v[89:90]
	s_waitcnt vmcnt(2)
	v_add_f64 v[77:78], v[77:78], -v[95:96]
	s_waitcnt vmcnt(0)
	v_add_f64 v[79:80], v[79:80], -v[89:90]
	buffer_store_dword v77, off, s[24:27], 0 offset:160 ; 4-byte Folded Spill
	s_nop 0
	buffer_store_dword v78, off, s[24:27], 0 offset:164 ; 4-byte Folded Spill
	buffer_store_dword v79, off, s[24:27], 0 offset:168 ; 4-byte Folded Spill
	buffer_store_dword v80, off, s[24:27], 0 offset:172 ; 4-byte Folded Spill
	ds_read2_b64 v[89:92], v0 offset0:48 offset1:49
	buffer_load_dword v77, off, s[24:27], 0 offset:144 ; 4-byte Folded Reload
	buffer_load_dword v78, off, s[24:27], 0 offset:148 ; 4-byte Folded Reload
	buffer_load_dword v79, off, s[24:27], 0 offset:152 ; 4-byte Folded Reload
	buffer_load_dword v80, off, s[24:27], 0 offset:156 ; 4-byte Folded Reload
	s_waitcnt lgkmcnt(0)
	v_mul_f64 v[95:96], v[91:92], v[97:98]
	v_fma_f64 v[95:96], v[89:90], v[125:126], -v[95:96]
	v_mul_f64 v[89:90], v[89:90], v[97:98]
	v_fma_f64 v[89:90], v[91:92], v[125:126], v[89:90]
	s_waitcnt vmcnt(2)
	v_add_f64 v[77:78], v[77:78], -v[95:96]
	s_waitcnt vmcnt(0)
	v_add_f64 v[79:80], v[79:80], -v[89:90]
	buffer_store_dword v77, off, s[24:27], 0 offset:144 ; 4-byte Folded Spill
	s_nop 0
	buffer_store_dword v78, off, s[24:27], 0 offset:148 ; 4-byte Folded Spill
	buffer_store_dword v79, off, s[24:27], 0 offset:152 ; 4-byte Folded Spill
	buffer_store_dword v80, off, s[24:27], 0 offset:156 ; 4-byte Folded Spill
	;; [unrolled: 19-line block ×10, first 2 shown]
	ds_read2_b64 v[89:92], v0 offset0:66 offset1:67
	s_waitcnt lgkmcnt(0)
	v_mul_f64 v[95:96], v[91:92], v[97:98]
	v_fma_f64 v[95:96], v[89:90], v[125:126], -v[95:96]
	v_mul_f64 v[89:90], v[89:90], v[97:98]
	v_add_f64 v[81:82], v[81:82], -v[95:96]
	v_fma_f64 v[89:90], v[91:92], v[125:126], v[89:90]
	v_add_f64 v[83:84], v[83:84], -v[89:90]
	ds_read2_b64 v[89:92], v0 offset0:68 offset1:69
	s_waitcnt lgkmcnt(0)
	v_mul_f64 v[95:96], v[91:92], v[97:98]
	v_fma_f64 v[95:96], v[89:90], v[125:126], -v[95:96]
	v_mul_f64 v[89:90], v[89:90], v[97:98]
	v_add_f64 v[85:86], v[85:86], -v[95:96]
	v_fma_f64 v[89:90], v[91:92], v[125:126], v[89:90]
	v_add_f64 v[87:88], v[87:88], -v[89:90]
	;; [unrolled: 8-line block ×4, first 2 shown]
	ds_read2_b64 v[89:92], v0 offset0:74 offset1:75
	buffer_load_dword v77, off, s[24:27], 0 ; 4-byte Folded Reload
	buffer_load_dword v78, off, s[24:27], 0 offset:4 ; 4-byte Folded Reload
	buffer_load_dword v79, off, s[24:27], 0 offset:8 ; 4-byte Folded Reload
	;; [unrolled: 1-line block ×3, first 2 shown]
	s_waitcnt lgkmcnt(0)
	v_mul_f64 v[95:96], v[91:92], v[97:98]
	v_fma_f64 v[95:96], v[89:90], v[125:126], -v[95:96]
	v_mul_f64 v[89:90], v[89:90], v[97:98]
	v_fma_f64 v[89:90], v[91:92], v[125:126], v[89:90]
	s_waitcnt vmcnt(2)
	v_add_f64 v[77:78], v[77:78], -v[95:96]
	s_waitcnt vmcnt(0)
	v_add_f64 v[79:80], v[79:80], -v[89:90]
	buffer_store_dword v77, off, s[24:27], 0 ; 4-byte Folded Spill
	s_nop 0
	buffer_store_dword v78, off, s[24:27], 0 offset:4 ; 4-byte Folded Spill
	buffer_store_dword v79, off, s[24:27], 0 offset:8 ; 4-byte Folded Spill
	;; [unrolled: 1-line block ×3, first 2 shown]
	ds_read2_b64 v[89:92], v0 offset0:76 offset1:77
	s_waitcnt lgkmcnt(0)
	v_mul_f64 v[95:96], v[91:92], v[97:98]
	v_fma_f64 v[95:96], v[89:90], v[125:126], -v[95:96]
	v_mul_f64 v[89:90], v[89:90], v[97:98]
	v_add_f64 v[73:74], v[73:74], -v[95:96]
	v_fma_f64 v[89:90], v[91:92], v[125:126], v[89:90]
	v_add_f64 v[75:76], v[75:76], -v[89:90]
	ds_read2_b64 v[89:92], v0 offset0:78 offset1:79
	s_waitcnt lgkmcnt(0)
	v_mul_f64 v[95:96], v[91:92], v[97:98]
	v_fma_f64 v[95:96], v[89:90], v[125:126], -v[95:96]
	v_mul_f64 v[89:90], v[89:90], v[97:98]
	v_add_f64 v[69:70], v[69:70], -v[95:96]
	v_fma_f64 v[89:90], v[91:92], v[125:126], v[89:90]
	v_add_f64 v[71:72], v[71:72], -v[89:90]
	ds_read2_b64 v[89:92], v0 offset0:80 offset1:81
	s_waitcnt lgkmcnt(0)
	v_mul_f64 v[95:96], v[91:92], v[97:98]
	v_fma_f64 v[95:96], v[89:90], v[125:126], -v[95:96]
	v_mul_f64 v[89:90], v[89:90], v[97:98]
	v_add_f64 v[65:66], v[65:66], -v[95:96]
	v_fma_f64 v[89:90], v[91:92], v[125:126], v[89:90]
	v_add_f64 v[67:68], v[67:68], -v[89:90]
	ds_read2_b64 v[89:92], v0 offset0:82 offset1:83
	s_waitcnt lgkmcnt(0)
	v_mul_f64 v[95:96], v[91:92], v[97:98]
	v_fma_f64 v[95:96], v[89:90], v[125:126], -v[95:96]
	v_mul_f64 v[89:90], v[89:90], v[97:98]
	v_add_f64 v[61:62], v[61:62], -v[95:96]
	v_fma_f64 v[89:90], v[91:92], v[125:126], v[89:90]
	v_add_f64 v[63:64], v[63:64], -v[89:90]
	ds_read2_b64 v[89:92], v0 offset0:84 offset1:85
	s_waitcnt lgkmcnt(0)
	v_mul_f64 v[95:96], v[91:92], v[97:98]
	v_fma_f64 v[95:96], v[89:90], v[125:126], -v[95:96]
	v_mul_f64 v[89:90], v[89:90], v[97:98]
	v_add_f64 v[57:58], v[57:58], -v[95:96]
	v_fma_f64 v[89:90], v[91:92], v[125:126], v[89:90]
	v_add_f64 v[59:60], v[59:60], -v[89:90]
	ds_read2_b64 v[89:92], v0 offset0:86 offset1:87
	s_waitcnt lgkmcnt(0)
	v_mul_f64 v[95:96], v[91:92], v[97:98]
	v_fma_f64 v[95:96], v[89:90], v[125:126], -v[95:96]
	v_mul_f64 v[89:90], v[89:90], v[97:98]
	v_add_f64 v[53:54], v[53:54], -v[95:96]
	v_fma_f64 v[89:90], v[91:92], v[125:126], v[89:90]
	v_add_f64 v[55:56], v[55:56], -v[89:90]
	ds_read2_b64 v[89:92], v0 offset0:88 offset1:89
	s_waitcnt lgkmcnt(0)
	v_mul_f64 v[95:96], v[91:92], v[97:98]
	v_fma_f64 v[95:96], v[89:90], v[125:126], -v[95:96]
	v_mul_f64 v[89:90], v[89:90], v[97:98]
	v_add_f64 v[49:50], v[49:50], -v[95:96]
	v_fma_f64 v[89:90], v[91:92], v[125:126], v[89:90]
	v_add_f64 v[51:52], v[51:52], -v[89:90]
	ds_read2_b64 v[89:92], v0 offset0:90 offset1:91
	s_waitcnt lgkmcnt(0)
	v_mul_f64 v[95:96], v[91:92], v[97:98]
	v_fma_f64 v[95:96], v[89:90], v[125:126], -v[95:96]
	v_mul_f64 v[89:90], v[89:90], v[97:98]
	v_add_f64 v[45:46], v[45:46], -v[95:96]
	v_fma_f64 v[89:90], v[91:92], v[125:126], v[89:90]
	v_add_f64 v[47:48], v[47:48], -v[89:90]
	ds_read2_b64 v[89:92], v0 offset0:92 offset1:93
	s_waitcnt lgkmcnt(0)
	v_mul_f64 v[95:96], v[91:92], v[97:98]
	v_fma_f64 v[95:96], v[89:90], v[125:126], -v[95:96]
	v_mul_f64 v[89:90], v[89:90], v[97:98]
	v_add_f64 v[41:42], v[41:42], -v[95:96]
	v_fma_f64 v[89:90], v[91:92], v[125:126], v[89:90]
	v_add_f64 v[43:44], v[43:44], -v[89:90]
	ds_read2_b64 v[89:92], v0 offset0:94 offset1:95
	s_waitcnt lgkmcnt(0)
	v_mul_f64 v[95:96], v[91:92], v[97:98]
	v_fma_f64 v[95:96], v[89:90], v[125:126], -v[95:96]
	v_mul_f64 v[89:90], v[89:90], v[97:98]
	v_add_f64 v[37:38], v[37:38], -v[95:96]
	v_fma_f64 v[89:90], v[91:92], v[125:126], v[89:90]
	v_add_f64 v[39:40], v[39:40], -v[89:90]
	ds_read2_b64 v[89:92], v0 offset0:96 offset1:97
	s_waitcnt lgkmcnt(0)
	v_mul_f64 v[95:96], v[91:92], v[97:98]
	v_fma_f64 v[95:96], v[89:90], v[125:126], -v[95:96]
	v_mul_f64 v[89:90], v[89:90], v[97:98]
	v_add_f64 v[33:34], v[33:34], -v[95:96]
	v_fma_f64 v[89:90], v[91:92], v[125:126], v[89:90]
	v_add_f64 v[35:36], v[35:36], -v[89:90]
	ds_read2_b64 v[89:92], v0 offset0:98 offset1:99
	s_waitcnt lgkmcnt(0)
	v_mul_f64 v[95:96], v[91:92], v[97:98]
	v_fma_f64 v[95:96], v[89:90], v[125:126], -v[95:96]
	v_mul_f64 v[89:90], v[89:90], v[97:98]
	v_add_f64 v[29:30], v[29:30], -v[95:96]
	v_fma_f64 v[89:90], v[91:92], v[125:126], v[89:90]
	v_add_f64 v[31:32], v[31:32], -v[89:90]
	ds_read2_b64 v[89:92], v0 offset0:100 offset1:101
	s_waitcnt lgkmcnt(0)
	v_mul_f64 v[95:96], v[91:92], v[97:98]
	v_fma_f64 v[95:96], v[89:90], v[125:126], -v[95:96]
	v_mul_f64 v[89:90], v[89:90], v[97:98]
	v_add_f64 v[25:26], v[25:26], -v[95:96]
	v_fma_f64 v[89:90], v[91:92], v[125:126], v[89:90]
	v_add_f64 v[27:28], v[27:28], -v[89:90]
	ds_read2_b64 v[89:92], v0 offset0:102 offset1:103
	s_waitcnt lgkmcnt(0)
	v_mul_f64 v[95:96], v[91:92], v[97:98]
	v_fma_f64 v[95:96], v[89:90], v[125:126], -v[95:96]
	v_mul_f64 v[89:90], v[89:90], v[97:98]
	v_add_f64 v[21:22], v[21:22], -v[95:96]
	v_fma_f64 v[89:90], v[91:92], v[125:126], v[89:90]
	v_add_f64 v[23:24], v[23:24], -v[89:90]
	ds_read2_b64 v[89:92], v0 offset0:104 offset1:105
	s_waitcnt lgkmcnt(0)
	v_mul_f64 v[95:96], v[91:92], v[97:98]
	v_fma_f64 v[95:96], v[89:90], v[125:126], -v[95:96]
	v_mul_f64 v[89:90], v[89:90], v[97:98]
	v_add_f64 v[17:18], v[17:18], -v[95:96]
	v_fma_f64 v[89:90], v[91:92], v[125:126], v[89:90]
	v_add_f64 v[19:20], v[19:20], -v[89:90]
	ds_read2_b64 v[89:92], v0 offset0:106 offset1:107
	s_waitcnt lgkmcnt(0)
	v_mul_f64 v[95:96], v[91:92], v[97:98]
	v_fma_f64 v[95:96], v[89:90], v[125:126], -v[95:96]
	v_mul_f64 v[89:90], v[89:90], v[97:98]
	v_add_f64 v[13:14], v[13:14], -v[95:96]
	v_fma_f64 v[89:90], v[91:92], v[125:126], v[89:90]
	v_add_f64 v[15:16], v[15:16], -v[89:90]
	ds_read2_b64 v[89:92], v0 offset0:108 offset1:109
	s_waitcnt lgkmcnt(0)
	v_mul_f64 v[95:96], v[91:92], v[97:98]
	v_fma_f64 v[95:96], v[89:90], v[125:126], -v[95:96]
	v_mul_f64 v[89:90], v[89:90], v[97:98]
	v_add_f64 v[9:10], v[9:10], -v[95:96]
	v_fma_f64 v[89:90], v[91:92], v[125:126], v[89:90]
	v_add_f64 v[11:12], v[11:12], -v[89:90]
	ds_read2_b64 v[89:92], v0 offset0:110 offset1:111
	s_waitcnt lgkmcnt(0)
	v_mul_f64 v[95:96], v[91:92], v[97:98]
	v_fma_f64 v[95:96], v[89:90], v[125:126], -v[95:96]
	v_mul_f64 v[89:90], v[89:90], v[97:98]
	v_add_f64 v[5:6], v[5:6], -v[95:96]
	v_fma_f64 v[89:90], v[91:92], v[125:126], v[89:90]
	v_add_f64 v[7:8], v[7:8], -v[89:90]
	ds_read2_b64 v[89:92], v0 offset0:112 offset1:113
	s_waitcnt lgkmcnt(0)
	v_mul_f64 v[95:96], v[91:92], v[97:98]
	v_fma_f64 v[95:96], v[89:90], v[125:126], -v[95:96]
	v_mul_f64 v[89:90], v[89:90], v[97:98]
	v_add_f64 v[1:2], v[1:2], -v[95:96]
	v_fma_f64 v[89:90], v[91:92], v[125:126], v[89:90]
	v_add_f64 v[3:4], v[3:4], -v[89:90]
	ds_read2_b64 v[89:92], v0 offset0:114 offset1:115
	s_waitcnt lgkmcnt(0)
	v_mul_f64 v[95:96], v[91:92], v[97:98]
	v_fma_f64 v[95:96], v[89:90], v[125:126], -v[95:96]
	v_mul_f64 v[89:90], v[89:90], v[97:98]
	v_add_f64 v[121:122], v[121:122], -v[95:96]
	v_fma_f64 v[89:90], v[91:92], v[125:126], v[89:90]
	v_mov_b32_e32 v95, v125
	v_mov_b32_e32 v96, v126
	buffer_store_dword v95, off, s[24:27], 0 offset:176 ; 4-byte Folded Spill
	s_nop 0
	buffer_store_dword v96, off, s[24:27], 0 offset:180 ; 4-byte Folded Spill
	buffer_store_dword v97, off, s[24:27], 0 offset:184 ; 4-byte Folded Spill
	;; [unrolled: 1-line block ×3, first 2 shown]
	v_add_f64 v[123:124], v[123:124], -v[89:90]
.LBB114_482:
	s_or_b64 exec, exec, s[0:1]
	s_waitcnt vmcnt(0)
	s_barrier
	buffer_load_dword v77, off, s[24:27], 0 offset:160 ; 4-byte Folded Reload
	buffer_load_dword v78, off, s[24:27], 0 offset:164 ; 4-byte Folded Reload
	;; [unrolled: 1-line block ×4, first 2 shown]
	v_lshl_add_u32 v89, v93, 4, v0
	s_cmp_lt_i32 s3, 25
	s_waitcnt vmcnt(0)
	ds_write2_b64 v89, v[77:78], v[79:80] offset1:1
	s_waitcnt lgkmcnt(0)
	s_barrier
	ds_read2_b64 v[117:120], v0 offset0:46 offset1:47
	v_mov_b32_e32 v89, 23
	s_cbranch_scc1 .LBB114_485
; %bb.483:
	v_add_u32_e32 v90, 0x180, v0
	s_mov_b32 s0, 24
	v_mov_b32_e32 v89, 23
.LBB114_484:                            ; =>This Inner Loop Header: Depth=1
	s_waitcnt lgkmcnt(0)
	v_cmp_gt_f64_e32 vcc, 0, v[117:118]
	v_xor_b32_e32 v91, 0x80000000, v118
	ds_read2_b64 v[95:98], v90 offset1:1
	v_xor_b32_e32 v99, 0x80000000, v120
	v_add_u32_e32 v90, 16, v90
	s_waitcnt lgkmcnt(0)
	v_xor_b32_e32 v101, 0x80000000, v98
	v_cndmask_b32_e32 v92, v118, v91, vcc
	v_cmp_gt_f64_e32 vcc, 0, v[119:120]
	v_mov_b32_e32 v91, v117
	v_cndmask_b32_e32 v100, v120, v99, vcc
	v_cmp_gt_f64_e32 vcc, 0, v[95:96]
	v_mov_b32_e32 v99, v119
	v_add_f64 v[91:92], v[91:92], v[99:100]
	v_xor_b32_e32 v99, 0x80000000, v96
	v_cndmask_b32_e32 v100, v96, v99, vcc
	v_cmp_gt_f64_e32 vcc, 0, v[97:98]
	v_mov_b32_e32 v99, v95
	v_cndmask_b32_e32 v102, v98, v101, vcc
	v_mov_b32_e32 v101, v97
	v_add_f64 v[99:100], v[99:100], v[101:102]
	v_cmp_lt_f64_e32 vcc, v[91:92], v[99:100]
	v_mov_b32_e32 v91, s0
	s_add_i32 s0, s0, 1
	s_cmp_lg_u32 s3, s0
	v_cndmask_b32_e32 v118, v118, v96, vcc
	v_cndmask_b32_e32 v117, v117, v95, vcc
	;; [unrolled: 1-line block ×5, first 2 shown]
	s_cbranch_scc1 .LBB114_484
.LBB114_485:
	s_waitcnt lgkmcnt(0)
	v_cmp_eq_f64_e32 vcc, 0, v[117:118]
	v_cmp_eq_f64_e64 s[0:1], 0, v[119:120]
	s_and_b64 s[0:1], vcc, s[0:1]
	s_and_saveexec_b64 s[18:19], s[0:1]
	s_xor_b64 s[0:1], exec, s[18:19]
; %bb.486:
	v_cmp_ne_u32_e32 vcc, 0, v94
	v_cndmask_b32_e32 v94, 24, v94, vcc
; %bb.487:
	s_andn2_saveexec_b64 s[0:1], s[0:1]
	s_cbranch_execz .LBB114_493
; %bb.488:
	v_cmp_ngt_f64_e64 s[18:19], |v[117:118]|, |v[119:120]|
	s_and_saveexec_b64 s[20:21], s[18:19]
	s_xor_b64 s[18:19], exec, s[20:21]
	s_cbranch_execz .LBB114_490
; %bb.489:
	v_div_scale_f64 v[90:91], s[20:21], v[119:120], v[119:120], v[117:118]
	v_rcp_f64_e32 v[95:96], v[90:91]
	v_fma_f64 v[97:98], -v[90:91], v[95:96], 1.0
	v_fma_f64 v[95:96], v[95:96], v[97:98], v[95:96]
	v_div_scale_f64 v[97:98], vcc, v[117:118], v[119:120], v[117:118]
	v_fma_f64 v[99:100], -v[90:91], v[95:96], 1.0
	v_fma_f64 v[95:96], v[95:96], v[99:100], v[95:96]
	v_mul_f64 v[99:100], v[97:98], v[95:96]
	v_fma_f64 v[90:91], -v[90:91], v[99:100], v[97:98]
	v_div_fmas_f64 v[90:91], v[90:91], v[95:96], v[99:100]
	v_div_fixup_f64 v[90:91], v[90:91], v[119:120], v[117:118]
	v_fma_f64 v[95:96], v[117:118], v[90:91], v[119:120]
	v_div_scale_f64 v[97:98], s[20:21], v[95:96], v[95:96], 1.0
	v_div_scale_f64 v[103:104], vcc, 1.0, v[95:96], 1.0
	v_rcp_f64_e32 v[99:100], v[97:98]
	v_fma_f64 v[101:102], -v[97:98], v[99:100], 1.0
	v_fma_f64 v[99:100], v[99:100], v[101:102], v[99:100]
	v_fma_f64 v[101:102], -v[97:98], v[99:100], 1.0
	v_fma_f64 v[99:100], v[99:100], v[101:102], v[99:100]
	v_mul_f64 v[101:102], v[103:104], v[99:100]
	v_fma_f64 v[97:98], -v[97:98], v[101:102], v[103:104]
	v_div_fmas_f64 v[97:98], v[97:98], v[99:100], v[101:102]
	v_div_fixup_f64 v[119:120], v[97:98], v[95:96], 1.0
	v_mul_f64 v[117:118], v[90:91], v[119:120]
	v_xor_b32_e32 v120, 0x80000000, v120
.LBB114_490:
	s_andn2_saveexec_b64 s[18:19], s[18:19]
	s_cbranch_execz .LBB114_492
; %bb.491:
	v_div_scale_f64 v[90:91], s[20:21], v[117:118], v[117:118], v[119:120]
	v_rcp_f64_e32 v[95:96], v[90:91]
	v_fma_f64 v[97:98], -v[90:91], v[95:96], 1.0
	v_fma_f64 v[95:96], v[95:96], v[97:98], v[95:96]
	v_div_scale_f64 v[97:98], vcc, v[119:120], v[117:118], v[119:120]
	v_fma_f64 v[99:100], -v[90:91], v[95:96], 1.0
	v_fma_f64 v[95:96], v[95:96], v[99:100], v[95:96]
	v_mul_f64 v[99:100], v[97:98], v[95:96]
	v_fma_f64 v[90:91], -v[90:91], v[99:100], v[97:98]
	v_div_fmas_f64 v[90:91], v[90:91], v[95:96], v[99:100]
	v_div_fixup_f64 v[90:91], v[90:91], v[117:118], v[119:120]
	v_fma_f64 v[95:96], v[119:120], v[90:91], v[117:118]
	v_div_scale_f64 v[97:98], s[20:21], v[95:96], v[95:96], 1.0
	v_div_scale_f64 v[103:104], vcc, 1.0, v[95:96], 1.0
	v_rcp_f64_e32 v[99:100], v[97:98]
	v_fma_f64 v[101:102], -v[97:98], v[99:100], 1.0
	v_fma_f64 v[99:100], v[99:100], v[101:102], v[99:100]
	v_fma_f64 v[101:102], -v[97:98], v[99:100], 1.0
	v_fma_f64 v[99:100], v[99:100], v[101:102], v[99:100]
	v_mul_f64 v[101:102], v[103:104], v[99:100]
	v_fma_f64 v[97:98], -v[97:98], v[101:102], v[103:104]
	v_div_fmas_f64 v[97:98], v[97:98], v[99:100], v[101:102]
	v_div_fixup_f64 v[117:118], v[97:98], v[95:96], 1.0
	v_mul_f64 v[119:120], v[90:91], -v[117:118]
.LBB114_492:
	s_or_b64 exec, exec, s[18:19]
.LBB114_493:
	s_or_b64 exec, exec, s[0:1]
	v_cmp_ne_u32_e32 vcc, v93, v89
	s_and_saveexec_b64 s[0:1], vcc
	s_xor_b64 s[0:1], exec, s[0:1]
	s_cbranch_execz .LBB114_499
; %bb.494:
	v_cmp_eq_u32_e32 vcc, 23, v93
	s_and_saveexec_b64 s[18:19], vcc
	s_cbranch_execz .LBB114_498
; %bb.495:
	v_cmp_ne_u32_e32 vcc, 23, v89
	s_xor_b64 s[20:21], s[6:7], -1
	s_and_b64 s[22:23], s[20:21], vcc
	s_and_saveexec_b64 s[20:21], s[22:23]
	s_cbranch_execz .LBB114_497
; %bb.496:
	v_mov_b32_e32 v77, v81
	v_mov_b32_e32 v78, v82
	;; [unrolled: 1-line block ×4, first 2 shown]
	buffer_load_dword v81, off, s[24:27], 0 offset:480 ; 4-byte Folded Reload
	buffer_load_dword v82, off, s[24:27], 0 offset:484 ; 4-byte Folded Reload
	v_ashrrev_i32_e32 v90, 31, v89
	v_lshlrev_b64 v[90:91], 2, v[89:90]
	s_waitcnt vmcnt(1)
	v_add_co_u32_e32 v90, vcc, v81, v90
	s_waitcnt vmcnt(0)
	v_addc_co_u32_e32 v91, vcc, v82, v91, vcc
	global_load_dword v92, v[90:91], off
	global_load_dword v93, v[81:82], off offset:92
	s_waitcnt vmcnt(1)
	global_store_dword v[81:82], v92, off offset:92
	v_mov_b32_e32 v84, v80
	v_mov_b32_e32 v83, v79
	;; [unrolled: 1-line block ×4, first 2 shown]
	s_waitcnt vmcnt(1)
	global_store_dword v[90:91], v93, off
.LBB114_497:
	s_or_b64 exec, exec, s[20:21]
	v_mov_b32_e32 v93, v89
	v_mov_b32_e32 v127, v89
.LBB114_498:
	s_or_b64 exec, exec, s[18:19]
.LBB114_499:
	s_andn2_saveexec_b64 s[0:1], s[0:1]
	s_cbranch_execz .LBB114_501
; %bb.500:
	buffer_load_dword v77, off, s[24:27], 0 offset:144 ; 4-byte Folded Reload
	buffer_load_dword v78, off, s[24:27], 0 offset:148 ; 4-byte Folded Reload
	;; [unrolled: 1-line block ×4, first 2 shown]
	v_mov_b32_e32 v93, 23
	s_waitcnt vmcnt(0)
	ds_write2_b64 v0, v[77:78], v[79:80] offset0:48 offset1:49
	buffer_load_dword v77, off, s[24:27], 0 offset:128 ; 4-byte Folded Reload
	buffer_load_dword v78, off, s[24:27], 0 offset:132 ; 4-byte Folded Reload
	buffer_load_dword v79, off, s[24:27], 0 offset:136 ; 4-byte Folded Reload
	buffer_load_dword v80, off, s[24:27], 0 offset:140 ; 4-byte Folded Reload
	s_waitcnt vmcnt(0)
	ds_write2_b64 v0, v[77:78], v[79:80] offset0:50 offset1:51
	buffer_load_dword v77, off, s[24:27], 0 offset:112 ; 4-byte Folded Reload
	buffer_load_dword v78, off, s[24:27], 0 offset:116 ; 4-byte Folded Reload
	buffer_load_dword v79, off, s[24:27], 0 offset:120 ; 4-byte Folded Reload
	buffer_load_dword v80, off, s[24:27], 0 offset:124 ; 4-byte Folded Reload
	;; [unrolled: 6-line block ×8, first 2 shown]
	s_waitcnt vmcnt(0)
	ds_write2_b64 v0, v[77:78], v[79:80] offset0:64 offset1:65
	ds_write2_b64 v0, v[81:82], v[83:84] offset0:66 offset1:67
	ds_write2_b64 v0, v[85:86], v[87:88] offset0:68 offset1:69
	ds_write2_b64 v0, v[109:110], v[111:112] offset0:70 offset1:71
	ds_write2_b64 v0, v[113:114], v[115:116] offset0:72 offset1:73
	buffer_load_dword v77, off, s[24:27], 0 ; 4-byte Folded Reload
	buffer_load_dword v78, off, s[24:27], 0 offset:4 ; 4-byte Folded Reload
	buffer_load_dword v79, off, s[24:27], 0 offset:8 ; 4-byte Folded Reload
	;; [unrolled: 1-line block ×3, first 2 shown]
	s_waitcnt vmcnt(0)
	ds_write2_b64 v0, v[77:78], v[79:80] offset0:74 offset1:75
	ds_write2_b64 v0, v[73:74], v[75:76] offset0:76 offset1:77
	ds_write2_b64 v0, v[69:70], v[71:72] offset0:78 offset1:79
	ds_write2_b64 v0, v[65:66], v[67:68] offset0:80 offset1:81
	ds_write2_b64 v0, v[61:62], v[63:64] offset0:82 offset1:83
	ds_write2_b64 v0, v[57:58], v[59:60] offset0:84 offset1:85
	ds_write2_b64 v0, v[53:54], v[55:56] offset0:86 offset1:87
	ds_write2_b64 v0, v[49:50], v[51:52] offset0:88 offset1:89
	ds_write2_b64 v0, v[45:46], v[47:48] offset0:90 offset1:91
	ds_write2_b64 v0, v[41:42], v[43:44] offset0:92 offset1:93
	ds_write2_b64 v0, v[37:38], v[39:40] offset0:94 offset1:95
	ds_write2_b64 v0, v[33:34], v[35:36] offset0:96 offset1:97
	ds_write2_b64 v0, v[29:30], v[31:32] offset0:98 offset1:99
	ds_write2_b64 v0, v[25:26], v[27:28] offset0:100 offset1:101
	ds_write2_b64 v0, v[21:22], v[23:24] offset0:102 offset1:103
	ds_write2_b64 v0, v[17:18], v[19:20] offset0:104 offset1:105
	ds_write2_b64 v0, v[13:14], v[15:16] offset0:106 offset1:107
	ds_write2_b64 v0, v[9:10], v[11:12] offset0:108 offset1:109
	ds_write2_b64 v0, v[5:6], v[7:8] offset0:110 offset1:111
	ds_write2_b64 v0, v[1:2], v[3:4] offset0:112 offset1:113
	ds_write2_b64 v0, v[121:122], v[123:124] offset0:114 offset1:115
.LBB114_501:
	s_or_b64 exec, exec, s[0:1]
	v_cmp_lt_i32_e32 vcc, 23, v93
	s_waitcnt vmcnt(0) lgkmcnt(0)
	s_barrier
	s_and_saveexec_b64 s[0:1], vcc
	s_cbranch_execz .LBB114_503
; %bb.502:
	buffer_load_dword v95, off, s[24:27], 0 offset:160 ; 4-byte Folded Reload
	buffer_load_dword v96, off, s[24:27], 0 offset:164 ; 4-byte Folded Reload
	;; [unrolled: 1-line block ×4, first 2 shown]
	s_waitcnt vmcnt(0)
	v_mul_f64 v[89:90], v[119:120], v[97:98]
	v_fma_f64 v[125:126], v[117:118], v[95:96], -v[89:90]
	v_mul_f64 v[89:90], v[117:118], v[97:98]
	v_fma_f64 v[97:98], v[119:120], v[95:96], v[89:90]
	ds_read2_b64 v[89:92], v0 offset0:48 offset1:49
	buffer_load_dword v77, off, s[24:27], 0 offset:144 ; 4-byte Folded Reload
	buffer_load_dword v78, off, s[24:27], 0 offset:148 ; 4-byte Folded Reload
	buffer_load_dword v79, off, s[24:27], 0 offset:152 ; 4-byte Folded Reload
	buffer_load_dword v80, off, s[24:27], 0 offset:156 ; 4-byte Folded Reload
	s_waitcnt lgkmcnt(0)
	v_mul_f64 v[95:96], v[91:92], v[97:98]
	v_fma_f64 v[95:96], v[89:90], v[125:126], -v[95:96]
	v_mul_f64 v[89:90], v[89:90], v[97:98]
	v_fma_f64 v[89:90], v[91:92], v[125:126], v[89:90]
	s_waitcnt vmcnt(2)
	v_add_f64 v[77:78], v[77:78], -v[95:96]
	s_waitcnt vmcnt(0)
	v_add_f64 v[79:80], v[79:80], -v[89:90]
	buffer_store_dword v77, off, s[24:27], 0 offset:144 ; 4-byte Folded Spill
	s_nop 0
	buffer_store_dword v78, off, s[24:27], 0 offset:148 ; 4-byte Folded Spill
	buffer_store_dword v79, off, s[24:27], 0 offset:152 ; 4-byte Folded Spill
	buffer_store_dword v80, off, s[24:27], 0 offset:156 ; 4-byte Folded Spill
	ds_read2_b64 v[89:92], v0 offset0:50 offset1:51
	buffer_load_dword v77, off, s[24:27], 0 offset:128 ; 4-byte Folded Reload
	buffer_load_dword v78, off, s[24:27], 0 offset:132 ; 4-byte Folded Reload
	buffer_load_dword v79, off, s[24:27], 0 offset:136 ; 4-byte Folded Reload
	buffer_load_dword v80, off, s[24:27], 0 offset:140 ; 4-byte Folded Reload
	s_waitcnt lgkmcnt(0)
	v_mul_f64 v[95:96], v[91:92], v[97:98]
	v_fma_f64 v[95:96], v[89:90], v[125:126], -v[95:96]
	v_mul_f64 v[89:90], v[89:90], v[97:98]
	v_fma_f64 v[89:90], v[91:92], v[125:126], v[89:90]
	s_waitcnt vmcnt(2)
	v_add_f64 v[77:78], v[77:78], -v[95:96]
	s_waitcnt vmcnt(0)
	v_add_f64 v[79:80], v[79:80], -v[89:90]
	buffer_store_dword v77, off, s[24:27], 0 offset:128 ; 4-byte Folded Spill
	s_nop 0
	buffer_store_dword v78, off, s[24:27], 0 offset:132 ; 4-byte Folded Spill
	buffer_store_dword v79, off, s[24:27], 0 offset:136 ; 4-byte Folded Spill
	buffer_store_dword v80, off, s[24:27], 0 offset:140 ; 4-byte Folded Spill
	;; [unrolled: 19-line block ×9, first 2 shown]
	ds_read2_b64 v[89:92], v0 offset0:66 offset1:67
	s_waitcnt lgkmcnt(0)
	v_mul_f64 v[95:96], v[91:92], v[97:98]
	v_fma_f64 v[95:96], v[89:90], v[125:126], -v[95:96]
	v_mul_f64 v[89:90], v[89:90], v[97:98]
	v_add_f64 v[81:82], v[81:82], -v[95:96]
	v_fma_f64 v[89:90], v[91:92], v[125:126], v[89:90]
	v_add_f64 v[83:84], v[83:84], -v[89:90]
	ds_read2_b64 v[89:92], v0 offset0:68 offset1:69
	s_waitcnt lgkmcnt(0)
	v_mul_f64 v[95:96], v[91:92], v[97:98]
	v_fma_f64 v[95:96], v[89:90], v[125:126], -v[95:96]
	v_mul_f64 v[89:90], v[89:90], v[97:98]
	v_add_f64 v[85:86], v[85:86], -v[95:96]
	v_fma_f64 v[89:90], v[91:92], v[125:126], v[89:90]
	v_add_f64 v[87:88], v[87:88], -v[89:90]
	ds_read2_b64 v[89:92], v0 offset0:70 offset1:71
	s_waitcnt lgkmcnt(0)
	v_mul_f64 v[95:96], v[91:92], v[97:98]
	v_fma_f64 v[95:96], v[89:90], v[125:126], -v[95:96]
	v_mul_f64 v[89:90], v[89:90], v[97:98]
	v_add_f64 v[109:110], v[109:110], -v[95:96]
	v_fma_f64 v[89:90], v[91:92], v[125:126], v[89:90]
	v_add_f64 v[111:112], v[111:112], -v[89:90]
	ds_read2_b64 v[89:92], v0 offset0:72 offset1:73
	s_waitcnt lgkmcnt(0)
	v_mul_f64 v[95:96], v[91:92], v[97:98]
	v_fma_f64 v[95:96], v[89:90], v[125:126], -v[95:96]
	v_mul_f64 v[89:90], v[89:90], v[97:98]
	v_add_f64 v[113:114], v[113:114], -v[95:96]
	v_fma_f64 v[89:90], v[91:92], v[125:126], v[89:90]
	v_add_f64 v[115:116], v[115:116], -v[89:90]
	ds_read2_b64 v[89:92], v0 offset0:74 offset1:75
	buffer_load_dword v77, off, s[24:27], 0 ; 4-byte Folded Reload
	buffer_load_dword v78, off, s[24:27], 0 offset:4 ; 4-byte Folded Reload
	buffer_load_dword v79, off, s[24:27], 0 offset:8 ; 4-byte Folded Reload
	buffer_load_dword v80, off, s[24:27], 0 offset:12 ; 4-byte Folded Reload
	s_waitcnt lgkmcnt(0)
	v_mul_f64 v[95:96], v[91:92], v[97:98]
	v_fma_f64 v[95:96], v[89:90], v[125:126], -v[95:96]
	v_mul_f64 v[89:90], v[89:90], v[97:98]
	v_fma_f64 v[89:90], v[91:92], v[125:126], v[89:90]
	s_waitcnt vmcnt(2)
	v_add_f64 v[77:78], v[77:78], -v[95:96]
	s_waitcnt vmcnt(0)
	v_add_f64 v[79:80], v[79:80], -v[89:90]
	buffer_store_dword v77, off, s[24:27], 0 ; 4-byte Folded Spill
	s_nop 0
	buffer_store_dword v78, off, s[24:27], 0 offset:4 ; 4-byte Folded Spill
	buffer_store_dword v79, off, s[24:27], 0 offset:8 ; 4-byte Folded Spill
	;; [unrolled: 1-line block ×3, first 2 shown]
	ds_read2_b64 v[89:92], v0 offset0:76 offset1:77
	s_waitcnt lgkmcnt(0)
	v_mul_f64 v[95:96], v[91:92], v[97:98]
	v_fma_f64 v[95:96], v[89:90], v[125:126], -v[95:96]
	v_mul_f64 v[89:90], v[89:90], v[97:98]
	v_add_f64 v[73:74], v[73:74], -v[95:96]
	v_fma_f64 v[89:90], v[91:92], v[125:126], v[89:90]
	v_add_f64 v[75:76], v[75:76], -v[89:90]
	ds_read2_b64 v[89:92], v0 offset0:78 offset1:79
	s_waitcnt lgkmcnt(0)
	v_mul_f64 v[95:96], v[91:92], v[97:98]
	v_fma_f64 v[95:96], v[89:90], v[125:126], -v[95:96]
	v_mul_f64 v[89:90], v[89:90], v[97:98]
	v_add_f64 v[69:70], v[69:70], -v[95:96]
	v_fma_f64 v[89:90], v[91:92], v[125:126], v[89:90]
	v_add_f64 v[71:72], v[71:72], -v[89:90]
	;; [unrolled: 8-line block ×19, first 2 shown]
	ds_read2_b64 v[89:92], v0 offset0:114 offset1:115
	s_waitcnt lgkmcnt(0)
	v_mul_f64 v[95:96], v[91:92], v[97:98]
	v_fma_f64 v[95:96], v[89:90], v[125:126], -v[95:96]
	v_mul_f64 v[89:90], v[89:90], v[97:98]
	v_add_f64 v[121:122], v[121:122], -v[95:96]
	v_fma_f64 v[89:90], v[91:92], v[125:126], v[89:90]
	v_mov_b32_e32 v95, v125
	v_mov_b32_e32 v96, v126
	buffer_store_dword v95, off, s[24:27], 0 offset:160 ; 4-byte Folded Spill
	s_nop 0
	buffer_store_dword v96, off, s[24:27], 0 offset:164 ; 4-byte Folded Spill
	buffer_store_dword v97, off, s[24:27], 0 offset:168 ; 4-byte Folded Spill
	;; [unrolled: 1-line block ×3, first 2 shown]
	v_add_f64 v[123:124], v[123:124], -v[89:90]
.LBB114_503:
	s_or_b64 exec, exec, s[0:1]
	s_waitcnt vmcnt(0)
	s_barrier
	buffer_load_dword v77, off, s[24:27], 0 offset:144 ; 4-byte Folded Reload
	buffer_load_dword v78, off, s[24:27], 0 offset:148 ; 4-byte Folded Reload
	;; [unrolled: 1-line block ×4, first 2 shown]
	v_lshl_add_u32 v89, v93, 4, v0
	s_cmp_lt_i32 s3, 26
	s_waitcnt vmcnt(0)
	ds_write2_b64 v89, v[77:78], v[79:80] offset1:1
	s_waitcnt lgkmcnt(0)
	s_barrier
	ds_read2_b64 v[117:120], v0 offset0:48 offset1:49
	v_mov_b32_e32 v89, 24
	s_cbranch_scc1 .LBB114_506
; %bb.504:
	v_add_u32_e32 v90, 0x190, v0
	s_mov_b32 s0, 25
	v_mov_b32_e32 v89, 24
.LBB114_505:                            ; =>This Inner Loop Header: Depth=1
	s_waitcnt lgkmcnt(0)
	v_cmp_gt_f64_e32 vcc, 0, v[117:118]
	v_xor_b32_e32 v91, 0x80000000, v118
	ds_read2_b64 v[95:98], v90 offset1:1
	v_xor_b32_e32 v99, 0x80000000, v120
	v_add_u32_e32 v90, 16, v90
	s_waitcnt lgkmcnt(0)
	v_xor_b32_e32 v101, 0x80000000, v98
	v_cndmask_b32_e32 v92, v118, v91, vcc
	v_cmp_gt_f64_e32 vcc, 0, v[119:120]
	v_mov_b32_e32 v91, v117
	v_cndmask_b32_e32 v100, v120, v99, vcc
	v_cmp_gt_f64_e32 vcc, 0, v[95:96]
	v_mov_b32_e32 v99, v119
	v_add_f64 v[91:92], v[91:92], v[99:100]
	v_xor_b32_e32 v99, 0x80000000, v96
	v_cndmask_b32_e32 v100, v96, v99, vcc
	v_cmp_gt_f64_e32 vcc, 0, v[97:98]
	v_mov_b32_e32 v99, v95
	v_cndmask_b32_e32 v102, v98, v101, vcc
	v_mov_b32_e32 v101, v97
	v_add_f64 v[99:100], v[99:100], v[101:102]
	v_cmp_lt_f64_e32 vcc, v[91:92], v[99:100]
	v_mov_b32_e32 v91, s0
	s_add_i32 s0, s0, 1
	s_cmp_lg_u32 s3, s0
	v_cndmask_b32_e32 v118, v118, v96, vcc
	v_cndmask_b32_e32 v117, v117, v95, vcc
	;; [unrolled: 1-line block ×5, first 2 shown]
	s_cbranch_scc1 .LBB114_505
.LBB114_506:
	s_waitcnt lgkmcnt(0)
	v_cmp_eq_f64_e32 vcc, 0, v[117:118]
	v_cmp_eq_f64_e64 s[0:1], 0, v[119:120]
	s_and_b64 s[0:1], vcc, s[0:1]
	s_and_saveexec_b64 s[18:19], s[0:1]
	s_xor_b64 s[0:1], exec, s[18:19]
; %bb.507:
	v_cmp_ne_u32_e32 vcc, 0, v94
	v_cndmask_b32_e32 v94, 25, v94, vcc
; %bb.508:
	s_andn2_saveexec_b64 s[0:1], s[0:1]
	s_cbranch_execz .LBB114_514
; %bb.509:
	v_cmp_ngt_f64_e64 s[18:19], |v[117:118]|, |v[119:120]|
	s_and_saveexec_b64 s[20:21], s[18:19]
	s_xor_b64 s[18:19], exec, s[20:21]
	s_cbranch_execz .LBB114_511
; %bb.510:
	v_div_scale_f64 v[90:91], s[20:21], v[119:120], v[119:120], v[117:118]
	v_rcp_f64_e32 v[95:96], v[90:91]
	v_fma_f64 v[97:98], -v[90:91], v[95:96], 1.0
	v_fma_f64 v[95:96], v[95:96], v[97:98], v[95:96]
	v_div_scale_f64 v[97:98], vcc, v[117:118], v[119:120], v[117:118]
	v_fma_f64 v[99:100], -v[90:91], v[95:96], 1.0
	v_fma_f64 v[95:96], v[95:96], v[99:100], v[95:96]
	v_mul_f64 v[99:100], v[97:98], v[95:96]
	v_fma_f64 v[90:91], -v[90:91], v[99:100], v[97:98]
	v_div_fmas_f64 v[90:91], v[90:91], v[95:96], v[99:100]
	v_div_fixup_f64 v[90:91], v[90:91], v[119:120], v[117:118]
	v_fma_f64 v[95:96], v[117:118], v[90:91], v[119:120]
	v_div_scale_f64 v[97:98], s[20:21], v[95:96], v[95:96], 1.0
	v_div_scale_f64 v[103:104], vcc, 1.0, v[95:96], 1.0
	v_rcp_f64_e32 v[99:100], v[97:98]
	v_fma_f64 v[101:102], -v[97:98], v[99:100], 1.0
	v_fma_f64 v[99:100], v[99:100], v[101:102], v[99:100]
	v_fma_f64 v[101:102], -v[97:98], v[99:100], 1.0
	v_fma_f64 v[99:100], v[99:100], v[101:102], v[99:100]
	v_mul_f64 v[101:102], v[103:104], v[99:100]
	v_fma_f64 v[97:98], -v[97:98], v[101:102], v[103:104]
	v_div_fmas_f64 v[97:98], v[97:98], v[99:100], v[101:102]
	v_div_fixup_f64 v[119:120], v[97:98], v[95:96], 1.0
	v_mul_f64 v[117:118], v[90:91], v[119:120]
	v_xor_b32_e32 v120, 0x80000000, v120
.LBB114_511:
	s_andn2_saveexec_b64 s[18:19], s[18:19]
	s_cbranch_execz .LBB114_513
; %bb.512:
	v_div_scale_f64 v[90:91], s[20:21], v[117:118], v[117:118], v[119:120]
	v_rcp_f64_e32 v[95:96], v[90:91]
	v_fma_f64 v[97:98], -v[90:91], v[95:96], 1.0
	v_fma_f64 v[95:96], v[95:96], v[97:98], v[95:96]
	v_div_scale_f64 v[97:98], vcc, v[119:120], v[117:118], v[119:120]
	v_fma_f64 v[99:100], -v[90:91], v[95:96], 1.0
	v_fma_f64 v[95:96], v[95:96], v[99:100], v[95:96]
	v_mul_f64 v[99:100], v[97:98], v[95:96]
	v_fma_f64 v[90:91], -v[90:91], v[99:100], v[97:98]
	v_div_fmas_f64 v[90:91], v[90:91], v[95:96], v[99:100]
	v_div_fixup_f64 v[90:91], v[90:91], v[117:118], v[119:120]
	v_fma_f64 v[95:96], v[119:120], v[90:91], v[117:118]
	v_div_scale_f64 v[97:98], s[20:21], v[95:96], v[95:96], 1.0
	v_div_scale_f64 v[103:104], vcc, 1.0, v[95:96], 1.0
	v_rcp_f64_e32 v[99:100], v[97:98]
	v_fma_f64 v[101:102], -v[97:98], v[99:100], 1.0
	v_fma_f64 v[99:100], v[99:100], v[101:102], v[99:100]
	v_fma_f64 v[101:102], -v[97:98], v[99:100], 1.0
	v_fma_f64 v[99:100], v[99:100], v[101:102], v[99:100]
	v_mul_f64 v[101:102], v[103:104], v[99:100]
	v_fma_f64 v[97:98], -v[97:98], v[101:102], v[103:104]
	v_div_fmas_f64 v[97:98], v[97:98], v[99:100], v[101:102]
	v_div_fixup_f64 v[117:118], v[97:98], v[95:96], 1.0
	v_mul_f64 v[119:120], v[90:91], -v[117:118]
.LBB114_513:
	s_or_b64 exec, exec, s[18:19]
.LBB114_514:
	s_or_b64 exec, exec, s[0:1]
	v_cmp_ne_u32_e32 vcc, v93, v89
	s_and_saveexec_b64 s[0:1], vcc
	s_xor_b64 s[0:1], exec, s[0:1]
	s_cbranch_execz .LBB114_520
; %bb.515:
	v_cmp_eq_u32_e32 vcc, 24, v93
	s_and_saveexec_b64 s[18:19], vcc
	s_cbranch_execz .LBB114_519
; %bb.516:
	v_cmp_ne_u32_e32 vcc, 24, v89
	s_xor_b64 s[20:21], s[6:7], -1
	s_and_b64 s[22:23], s[20:21], vcc
	s_and_saveexec_b64 s[20:21], s[22:23]
	s_cbranch_execz .LBB114_518
; %bb.517:
	v_mov_b32_e32 v77, v81
	v_mov_b32_e32 v78, v82
	;; [unrolled: 1-line block ×4, first 2 shown]
	buffer_load_dword v81, off, s[24:27], 0 offset:480 ; 4-byte Folded Reload
	buffer_load_dword v82, off, s[24:27], 0 offset:484 ; 4-byte Folded Reload
	v_ashrrev_i32_e32 v90, 31, v89
	v_lshlrev_b64 v[90:91], 2, v[89:90]
	s_waitcnt vmcnt(1)
	v_add_co_u32_e32 v90, vcc, v81, v90
	s_waitcnt vmcnt(0)
	v_addc_co_u32_e32 v91, vcc, v82, v91, vcc
	global_load_dword v92, v[90:91], off
	global_load_dword v93, v[81:82], off offset:96
	s_waitcnt vmcnt(1)
	global_store_dword v[81:82], v92, off offset:96
	v_mov_b32_e32 v84, v80
	v_mov_b32_e32 v83, v79
	;; [unrolled: 1-line block ×4, first 2 shown]
	s_waitcnt vmcnt(1)
	global_store_dword v[90:91], v93, off
.LBB114_518:
	s_or_b64 exec, exec, s[20:21]
	v_mov_b32_e32 v93, v89
	v_mov_b32_e32 v127, v89
.LBB114_519:
	s_or_b64 exec, exec, s[18:19]
.LBB114_520:
	s_andn2_saveexec_b64 s[0:1], s[0:1]
	s_cbranch_execz .LBB114_522
; %bb.521:
	buffer_load_dword v77, off, s[24:27], 0 offset:128 ; 4-byte Folded Reload
	buffer_load_dword v78, off, s[24:27], 0 offset:132 ; 4-byte Folded Reload
	;; [unrolled: 1-line block ×4, first 2 shown]
	v_mov_b32_e32 v93, 24
	s_waitcnt vmcnt(0)
	ds_write2_b64 v0, v[77:78], v[79:80] offset0:50 offset1:51
	buffer_load_dword v77, off, s[24:27], 0 offset:112 ; 4-byte Folded Reload
	buffer_load_dword v78, off, s[24:27], 0 offset:116 ; 4-byte Folded Reload
	buffer_load_dword v79, off, s[24:27], 0 offset:120 ; 4-byte Folded Reload
	buffer_load_dword v80, off, s[24:27], 0 offset:124 ; 4-byte Folded Reload
	s_waitcnt vmcnt(0)
	ds_write2_b64 v0, v[77:78], v[79:80] offset0:52 offset1:53
	buffer_load_dword v77, off, s[24:27], 0 offset:96 ; 4-byte Folded Reload
	buffer_load_dword v78, off, s[24:27], 0 offset:100 ; 4-byte Folded Reload
	buffer_load_dword v79, off, s[24:27], 0 offset:104 ; 4-byte Folded Reload
	buffer_load_dword v80, off, s[24:27], 0 offset:108 ; 4-byte Folded Reload
	;; [unrolled: 6-line block ×7, first 2 shown]
	s_waitcnt vmcnt(0)
	ds_write2_b64 v0, v[77:78], v[79:80] offset0:64 offset1:65
	ds_write2_b64 v0, v[81:82], v[83:84] offset0:66 offset1:67
	;; [unrolled: 1-line block ×5, first 2 shown]
	buffer_load_dword v77, off, s[24:27], 0 ; 4-byte Folded Reload
	buffer_load_dword v78, off, s[24:27], 0 offset:4 ; 4-byte Folded Reload
	buffer_load_dword v79, off, s[24:27], 0 offset:8 ; 4-byte Folded Reload
	;; [unrolled: 1-line block ×3, first 2 shown]
	s_waitcnt vmcnt(0)
	ds_write2_b64 v0, v[77:78], v[79:80] offset0:74 offset1:75
	ds_write2_b64 v0, v[73:74], v[75:76] offset0:76 offset1:77
	;; [unrolled: 1-line block ×21, first 2 shown]
.LBB114_522:
	s_or_b64 exec, exec, s[0:1]
	v_cmp_lt_i32_e32 vcc, 24, v93
	s_waitcnt vmcnt(0) lgkmcnt(0)
	s_barrier
	s_and_saveexec_b64 s[0:1], vcc
	s_cbranch_execz .LBB114_524
; %bb.523:
	buffer_load_dword v95, off, s[24:27], 0 offset:144 ; 4-byte Folded Reload
	buffer_load_dword v96, off, s[24:27], 0 offset:148 ; 4-byte Folded Reload
	;; [unrolled: 1-line block ×4, first 2 shown]
	s_waitcnt vmcnt(0)
	v_mul_f64 v[89:90], v[119:120], v[97:98]
	v_fma_f64 v[125:126], v[117:118], v[95:96], -v[89:90]
	v_mul_f64 v[89:90], v[117:118], v[97:98]
	v_fma_f64 v[97:98], v[119:120], v[95:96], v[89:90]
	ds_read2_b64 v[89:92], v0 offset0:50 offset1:51
	buffer_load_dword v77, off, s[24:27], 0 offset:128 ; 4-byte Folded Reload
	buffer_load_dword v78, off, s[24:27], 0 offset:132 ; 4-byte Folded Reload
	buffer_load_dword v79, off, s[24:27], 0 offset:136 ; 4-byte Folded Reload
	buffer_load_dword v80, off, s[24:27], 0 offset:140 ; 4-byte Folded Reload
	s_waitcnt lgkmcnt(0)
	v_mul_f64 v[95:96], v[91:92], v[97:98]
	v_fma_f64 v[95:96], v[89:90], v[125:126], -v[95:96]
	v_mul_f64 v[89:90], v[89:90], v[97:98]
	v_fma_f64 v[89:90], v[91:92], v[125:126], v[89:90]
	s_waitcnt vmcnt(2)
	v_add_f64 v[77:78], v[77:78], -v[95:96]
	s_waitcnt vmcnt(0)
	v_add_f64 v[79:80], v[79:80], -v[89:90]
	buffer_store_dword v77, off, s[24:27], 0 offset:128 ; 4-byte Folded Spill
	s_nop 0
	buffer_store_dword v78, off, s[24:27], 0 offset:132 ; 4-byte Folded Spill
	buffer_store_dword v79, off, s[24:27], 0 offset:136 ; 4-byte Folded Spill
	buffer_store_dword v80, off, s[24:27], 0 offset:140 ; 4-byte Folded Spill
	ds_read2_b64 v[89:92], v0 offset0:52 offset1:53
	buffer_load_dword v77, off, s[24:27], 0 offset:112 ; 4-byte Folded Reload
	buffer_load_dword v78, off, s[24:27], 0 offset:116 ; 4-byte Folded Reload
	buffer_load_dword v79, off, s[24:27], 0 offset:120 ; 4-byte Folded Reload
	buffer_load_dword v80, off, s[24:27], 0 offset:124 ; 4-byte Folded Reload
	s_waitcnt lgkmcnt(0)
	v_mul_f64 v[95:96], v[91:92], v[97:98]
	v_fma_f64 v[95:96], v[89:90], v[125:126], -v[95:96]
	v_mul_f64 v[89:90], v[89:90], v[97:98]
	v_fma_f64 v[89:90], v[91:92], v[125:126], v[89:90]
	s_waitcnt vmcnt(2)
	v_add_f64 v[77:78], v[77:78], -v[95:96]
	s_waitcnt vmcnt(0)
	v_add_f64 v[79:80], v[79:80], -v[89:90]
	buffer_store_dword v77, off, s[24:27], 0 offset:112 ; 4-byte Folded Spill
	s_nop 0
	buffer_store_dword v78, off, s[24:27], 0 offset:116 ; 4-byte Folded Spill
	buffer_store_dword v79, off, s[24:27], 0 offset:120 ; 4-byte Folded Spill
	buffer_store_dword v80, off, s[24:27], 0 offset:124 ; 4-byte Folded Spill
	;; [unrolled: 19-line block ×8, first 2 shown]
	ds_read2_b64 v[89:92], v0 offset0:66 offset1:67
	s_waitcnt lgkmcnt(0)
	v_mul_f64 v[95:96], v[91:92], v[97:98]
	v_fma_f64 v[95:96], v[89:90], v[125:126], -v[95:96]
	v_mul_f64 v[89:90], v[89:90], v[97:98]
	v_add_f64 v[81:82], v[81:82], -v[95:96]
	v_fma_f64 v[89:90], v[91:92], v[125:126], v[89:90]
	v_add_f64 v[83:84], v[83:84], -v[89:90]
	ds_read2_b64 v[89:92], v0 offset0:68 offset1:69
	s_waitcnt lgkmcnt(0)
	v_mul_f64 v[95:96], v[91:92], v[97:98]
	v_fma_f64 v[95:96], v[89:90], v[125:126], -v[95:96]
	v_mul_f64 v[89:90], v[89:90], v[97:98]
	v_add_f64 v[85:86], v[85:86], -v[95:96]
	v_fma_f64 v[89:90], v[91:92], v[125:126], v[89:90]
	v_add_f64 v[87:88], v[87:88], -v[89:90]
	;; [unrolled: 8-line block ×4, first 2 shown]
	ds_read2_b64 v[89:92], v0 offset0:74 offset1:75
	buffer_load_dword v77, off, s[24:27], 0 ; 4-byte Folded Reload
	buffer_load_dword v78, off, s[24:27], 0 offset:4 ; 4-byte Folded Reload
	buffer_load_dword v79, off, s[24:27], 0 offset:8 ; 4-byte Folded Reload
	;; [unrolled: 1-line block ×3, first 2 shown]
	s_waitcnt lgkmcnt(0)
	v_mul_f64 v[95:96], v[91:92], v[97:98]
	v_fma_f64 v[95:96], v[89:90], v[125:126], -v[95:96]
	v_mul_f64 v[89:90], v[89:90], v[97:98]
	v_fma_f64 v[89:90], v[91:92], v[125:126], v[89:90]
	s_waitcnt vmcnt(2)
	v_add_f64 v[77:78], v[77:78], -v[95:96]
	s_waitcnt vmcnt(0)
	v_add_f64 v[79:80], v[79:80], -v[89:90]
	buffer_store_dword v77, off, s[24:27], 0 ; 4-byte Folded Spill
	s_nop 0
	buffer_store_dword v78, off, s[24:27], 0 offset:4 ; 4-byte Folded Spill
	buffer_store_dword v79, off, s[24:27], 0 offset:8 ; 4-byte Folded Spill
	buffer_store_dword v80, off, s[24:27], 0 offset:12 ; 4-byte Folded Spill
	ds_read2_b64 v[89:92], v0 offset0:76 offset1:77
	s_waitcnt lgkmcnt(0)
	v_mul_f64 v[95:96], v[91:92], v[97:98]
	v_fma_f64 v[95:96], v[89:90], v[125:126], -v[95:96]
	v_mul_f64 v[89:90], v[89:90], v[97:98]
	v_add_f64 v[73:74], v[73:74], -v[95:96]
	v_fma_f64 v[89:90], v[91:92], v[125:126], v[89:90]
	v_add_f64 v[75:76], v[75:76], -v[89:90]
	ds_read2_b64 v[89:92], v0 offset0:78 offset1:79
	s_waitcnt lgkmcnt(0)
	v_mul_f64 v[95:96], v[91:92], v[97:98]
	v_fma_f64 v[95:96], v[89:90], v[125:126], -v[95:96]
	v_mul_f64 v[89:90], v[89:90], v[97:98]
	v_add_f64 v[69:70], v[69:70], -v[95:96]
	v_fma_f64 v[89:90], v[91:92], v[125:126], v[89:90]
	v_add_f64 v[71:72], v[71:72], -v[89:90]
	;; [unrolled: 8-line block ×19, first 2 shown]
	ds_read2_b64 v[89:92], v0 offset0:114 offset1:115
	s_waitcnt lgkmcnt(0)
	v_mul_f64 v[95:96], v[91:92], v[97:98]
	v_fma_f64 v[95:96], v[89:90], v[125:126], -v[95:96]
	v_mul_f64 v[89:90], v[89:90], v[97:98]
	v_add_f64 v[121:122], v[121:122], -v[95:96]
	v_fma_f64 v[89:90], v[91:92], v[125:126], v[89:90]
	v_mov_b32_e32 v95, v125
	v_mov_b32_e32 v96, v126
	buffer_store_dword v95, off, s[24:27], 0 offset:144 ; 4-byte Folded Spill
	s_nop 0
	buffer_store_dword v96, off, s[24:27], 0 offset:148 ; 4-byte Folded Spill
	buffer_store_dword v97, off, s[24:27], 0 offset:152 ; 4-byte Folded Spill
	;; [unrolled: 1-line block ×3, first 2 shown]
	v_add_f64 v[123:124], v[123:124], -v[89:90]
.LBB114_524:
	s_or_b64 exec, exec, s[0:1]
	s_waitcnt vmcnt(0)
	s_barrier
	buffer_load_dword v77, off, s[24:27], 0 offset:128 ; 4-byte Folded Reload
	buffer_load_dword v78, off, s[24:27], 0 offset:132 ; 4-byte Folded Reload
	;; [unrolled: 1-line block ×4, first 2 shown]
	v_lshl_add_u32 v89, v93, 4, v0
	s_cmp_lt_i32 s3, 27
	s_waitcnt vmcnt(0)
	ds_write2_b64 v89, v[77:78], v[79:80] offset1:1
	s_waitcnt lgkmcnt(0)
	s_barrier
	ds_read2_b64 v[117:120], v0 offset0:50 offset1:51
	v_mov_b32_e32 v89, 25
	s_cbranch_scc1 .LBB114_527
; %bb.525:
	v_add_u32_e32 v90, 0x1a0, v0
	s_mov_b32 s0, 26
	v_mov_b32_e32 v89, 25
.LBB114_526:                            ; =>This Inner Loop Header: Depth=1
	s_waitcnt lgkmcnt(0)
	v_cmp_gt_f64_e32 vcc, 0, v[117:118]
	v_xor_b32_e32 v91, 0x80000000, v118
	ds_read2_b64 v[95:98], v90 offset1:1
	v_xor_b32_e32 v99, 0x80000000, v120
	v_add_u32_e32 v90, 16, v90
	s_waitcnt lgkmcnt(0)
	v_xor_b32_e32 v101, 0x80000000, v98
	v_cndmask_b32_e32 v92, v118, v91, vcc
	v_cmp_gt_f64_e32 vcc, 0, v[119:120]
	v_mov_b32_e32 v91, v117
	v_cndmask_b32_e32 v100, v120, v99, vcc
	v_cmp_gt_f64_e32 vcc, 0, v[95:96]
	v_mov_b32_e32 v99, v119
	v_add_f64 v[91:92], v[91:92], v[99:100]
	v_xor_b32_e32 v99, 0x80000000, v96
	v_cndmask_b32_e32 v100, v96, v99, vcc
	v_cmp_gt_f64_e32 vcc, 0, v[97:98]
	v_mov_b32_e32 v99, v95
	v_cndmask_b32_e32 v102, v98, v101, vcc
	v_mov_b32_e32 v101, v97
	v_add_f64 v[99:100], v[99:100], v[101:102]
	v_cmp_lt_f64_e32 vcc, v[91:92], v[99:100]
	v_mov_b32_e32 v91, s0
	s_add_i32 s0, s0, 1
	s_cmp_lg_u32 s3, s0
	v_cndmask_b32_e32 v118, v118, v96, vcc
	v_cndmask_b32_e32 v117, v117, v95, vcc
	;; [unrolled: 1-line block ×5, first 2 shown]
	s_cbranch_scc1 .LBB114_526
.LBB114_527:
	s_waitcnt lgkmcnt(0)
	v_cmp_eq_f64_e32 vcc, 0, v[117:118]
	v_cmp_eq_f64_e64 s[0:1], 0, v[119:120]
	s_and_b64 s[0:1], vcc, s[0:1]
	s_and_saveexec_b64 s[18:19], s[0:1]
	s_xor_b64 s[0:1], exec, s[18:19]
; %bb.528:
	v_cmp_ne_u32_e32 vcc, 0, v94
	v_cndmask_b32_e32 v94, 26, v94, vcc
; %bb.529:
	s_andn2_saveexec_b64 s[0:1], s[0:1]
	s_cbranch_execz .LBB114_535
; %bb.530:
	v_cmp_ngt_f64_e64 s[18:19], |v[117:118]|, |v[119:120]|
	s_and_saveexec_b64 s[20:21], s[18:19]
	s_xor_b64 s[18:19], exec, s[20:21]
	s_cbranch_execz .LBB114_532
; %bb.531:
	v_div_scale_f64 v[90:91], s[20:21], v[119:120], v[119:120], v[117:118]
	v_rcp_f64_e32 v[95:96], v[90:91]
	v_fma_f64 v[97:98], -v[90:91], v[95:96], 1.0
	v_fma_f64 v[95:96], v[95:96], v[97:98], v[95:96]
	v_div_scale_f64 v[97:98], vcc, v[117:118], v[119:120], v[117:118]
	v_fma_f64 v[99:100], -v[90:91], v[95:96], 1.0
	v_fma_f64 v[95:96], v[95:96], v[99:100], v[95:96]
	v_mul_f64 v[99:100], v[97:98], v[95:96]
	v_fma_f64 v[90:91], -v[90:91], v[99:100], v[97:98]
	v_div_fmas_f64 v[90:91], v[90:91], v[95:96], v[99:100]
	v_div_fixup_f64 v[90:91], v[90:91], v[119:120], v[117:118]
	v_fma_f64 v[95:96], v[117:118], v[90:91], v[119:120]
	v_div_scale_f64 v[97:98], s[20:21], v[95:96], v[95:96], 1.0
	v_div_scale_f64 v[103:104], vcc, 1.0, v[95:96], 1.0
	v_rcp_f64_e32 v[99:100], v[97:98]
	v_fma_f64 v[101:102], -v[97:98], v[99:100], 1.0
	v_fma_f64 v[99:100], v[99:100], v[101:102], v[99:100]
	v_fma_f64 v[101:102], -v[97:98], v[99:100], 1.0
	v_fma_f64 v[99:100], v[99:100], v[101:102], v[99:100]
	v_mul_f64 v[101:102], v[103:104], v[99:100]
	v_fma_f64 v[97:98], -v[97:98], v[101:102], v[103:104]
	v_div_fmas_f64 v[97:98], v[97:98], v[99:100], v[101:102]
	v_div_fixup_f64 v[119:120], v[97:98], v[95:96], 1.0
	v_mul_f64 v[117:118], v[90:91], v[119:120]
	v_xor_b32_e32 v120, 0x80000000, v120
.LBB114_532:
	s_andn2_saveexec_b64 s[18:19], s[18:19]
	s_cbranch_execz .LBB114_534
; %bb.533:
	v_div_scale_f64 v[90:91], s[20:21], v[117:118], v[117:118], v[119:120]
	v_rcp_f64_e32 v[95:96], v[90:91]
	v_fma_f64 v[97:98], -v[90:91], v[95:96], 1.0
	v_fma_f64 v[95:96], v[95:96], v[97:98], v[95:96]
	v_div_scale_f64 v[97:98], vcc, v[119:120], v[117:118], v[119:120]
	v_fma_f64 v[99:100], -v[90:91], v[95:96], 1.0
	v_fma_f64 v[95:96], v[95:96], v[99:100], v[95:96]
	v_mul_f64 v[99:100], v[97:98], v[95:96]
	v_fma_f64 v[90:91], -v[90:91], v[99:100], v[97:98]
	v_div_fmas_f64 v[90:91], v[90:91], v[95:96], v[99:100]
	v_div_fixup_f64 v[90:91], v[90:91], v[117:118], v[119:120]
	v_fma_f64 v[95:96], v[119:120], v[90:91], v[117:118]
	v_div_scale_f64 v[97:98], s[20:21], v[95:96], v[95:96], 1.0
	v_div_scale_f64 v[103:104], vcc, 1.0, v[95:96], 1.0
	v_rcp_f64_e32 v[99:100], v[97:98]
	v_fma_f64 v[101:102], -v[97:98], v[99:100], 1.0
	v_fma_f64 v[99:100], v[99:100], v[101:102], v[99:100]
	v_fma_f64 v[101:102], -v[97:98], v[99:100], 1.0
	v_fma_f64 v[99:100], v[99:100], v[101:102], v[99:100]
	v_mul_f64 v[101:102], v[103:104], v[99:100]
	v_fma_f64 v[97:98], -v[97:98], v[101:102], v[103:104]
	v_div_fmas_f64 v[97:98], v[97:98], v[99:100], v[101:102]
	v_div_fixup_f64 v[117:118], v[97:98], v[95:96], 1.0
	v_mul_f64 v[119:120], v[90:91], -v[117:118]
.LBB114_534:
	s_or_b64 exec, exec, s[18:19]
.LBB114_535:
	s_or_b64 exec, exec, s[0:1]
	v_cmp_ne_u32_e32 vcc, v93, v89
	s_and_saveexec_b64 s[0:1], vcc
	s_xor_b64 s[0:1], exec, s[0:1]
	s_cbranch_execz .LBB114_541
; %bb.536:
	v_cmp_eq_u32_e32 vcc, 25, v93
	s_and_saveexec_b64 s[18:19], vcc
	s_cbranch_execz .LBB114_540
; %bb.537:
	v_cmp_ne_u32_e32 vcc, 25, v89
	s_xor_b64 s[20:21], s[6:7], -1
	s_and_b64 s[22:23], s[20:21], vcc
	s_and_saveexec_b64 s[20:21], s[22:23]
	s_cbranch_execz .LBB114_539
; %bb.538:
	v_mov_b32_e32 v77, v81
	v_mov_b32_e32 v78, v82
	;; [unrolled: 1-line block ×4, first 2 shown]
	buffer_load_dword v81, off, s[24:27], 0 offset:480 ; 4-byte Folded Reload
	buffer_load_dword v82, off, s[24:27], 0 offset:484 ; 4-byte Folded Reload
	v_ashrrev_i32_e32 v90, 31, v89
	v_lshlrev_b64 v[90:91], 2, v[89:90]
	s_waitcnt vmcnt(1)
	v_add_co_u32_e32 v90, vcc, v81, v90
	s_waitcnt vmcnt(0)
	v_addc_co_u32_e32 v91, vcc, v82, v91, vcc
	global_load_dword v92, v[90:91], off
	global_load_dword v93, v[81:82], off offset:100
	s_waitcnt vmcnt(1)
	global_store_dword v[81:82], v92, off offset:100
	v_mov_b32_e32 v84, v80
	v_mov_b32_e32 v83, v79
	;; [unrolled: 1-line block ×4, first 2 shown]
	s_waitcnt vmcnt(1)
	global_store_dword v[90:91], v93, off
.LBB114_539:
	s_or_b64 exec, exec, s[20:21]
	v_mov_b32_e32 v93, v89
	v_mov_b32_e32 v127, v89
.LBB114_540:
	s_or_b64 exec, exec, s[18:19]
.LBB114_541:
	s_andn2_saveexec_b64 s[0:1], s[0:1]
	s_cbranch_execz .LBB114_543
; %bb.542:
	buffer_load_dword v77, off, s[24:27], 0 offset:112 ; 4-byte Folded Reload
	buffer_load_dword v78, off, s[24:27], 0 offset:116 ; 4-byte Folded Reload
	;; [unrolled: 1-line block ×4, first 2 shown]
	v_mov_b32_e32 v93, 25
	s_waitcnt vmcnt(0)
	ds_write2_b64 v0, v[77:78], v[79:80] offset0:52 offset1:53
	buffer_load_dword v77, off, s[24:27], 0 offset:96 ; 4-byte Folded Reload
	buffer_load_dword v78, off, s[24:27], 0 offset:100 ; 4-byte Folded Reload
	buffer_load_dword v79, off, s[24:27], 0 offset:104 ; 4-byte Folded Reload
	buffer_load_dword v80, off, s[24:27], 0 offset:108 ; 4-byte Folded Reload
	s_waitcnt vmcnt(0)
	ds_write2_b64 v0, v[77:78], v[79:80] offset0:54 offset1:55
	buffer_load_dword v77, off, s[24:27], 0 offset:80 ; 4-byte Folded Reload
	buffer_load_dword v78, off, s[24:27], 0 offset:84 ; 4-byte Folded Reload
	buffer_load_dword v79, off, s[24:27], 0 offset:88 ; 4-byte Folded Reload
	buffer_load_dword v80, off, s[24:27], 0 offset:92 ; 4-byte Folded Reload
	;; [unrolled: 6-line block ×6, first 2 shown]
	s_waitcnt vmcnt(0)
	ds_write2_b64 v0, v[77:78], v[79:80] offset0:64 offset1:65
	ds_write2_b64 v0, v[81:82], v[83:84] offset0:66 offset1:67
	;; [unrolled: 1-line block ×5, first 2 shown]
	buffer_load_dword v77, off, s[24:27], 0 ; 4-byte Folded Reload
	buffer_load_dword v78, off, s[24:27], 0 offset:4 ; 4-byte Folded Reload
	buffer_load_dword v79, off, s[24:27], 0 offset:8 ; 4-byte Folded Reload
	;; [unrolled: 1-line block ×3, first 2 shown]
	s_waitcnt vmcnt(0)
	ds_write2_b64 v0, v[77:78], v[79:80] offset0:74 offset1:75
	ds_write2_b64 v0, v[73:74], v[75:76] offset0:76 offset1:77
	;; [unrolled: 1-line block ×21, first 2 shown]
.LBB114_543:
	s_or_b64 exec, exec, s[0:1]
	v_cmp_lt_i32_e32 vcc, 25, v93
	s_waitcnt vmcnt(0) lgkmcnt(0)
	s_barrier
	s_and_saveexec_b64 s[0:1], vcc
	s_cbranch_execz .LBB114_545
; %bb.544:
	buffer_load_dword v95, off, s[24:27], 0 offset:128 ; 4-byte Folded Reload
	buffer_load_dword v96, off, s[24:27], 0 offset:132 ; 4-byte Folded Reload
	;; [unrolled: 1-line block ×4, first 2 shown]
	s_waitcnt vmcnt(0)
	v_mul_f64 v[89:90], v[119:120], v[97:98]
	v_fma_f64 v[125:126], v[117:118], v[95:96], -v[89:90]
	v_mul_f64 v[89:90], v[117:118], v[97:98]
	v_fma_f64 v[97:98], v[119:120], v[95:96], v[89:90]
	ds_read2_b64 v[89:92], v0 offset0:52 offset1:53
	buffer_load_dword v77, off, s[24:27], 0 offset:112 ; 4-byte Folded Reload
	buffer_load_dword v78, off, s[24:27], 0 offset:116 ; 4-byte Folded Reload
	buffer_load_dword v79, off, s[24:27], 0 offset:120 ; 4-byte Folded Reload
	buffer_load_dword v80, off, s[24:27], 0 offset:124 ; 4-byte Folded Reload
	s_waitcnt lgkmcnt(0)
	v_mul_f64 v[95:96], v[91:92], v[97:98]
	v_fma_f64 v[95:96], v[89:90], v[125:126], -v[95:96]
	v_mul_f64 v[89:90], v[89:90], v[97:98]
	v_fma_f64 v[89:90], v[91:92], v[125:126], v[89:90]
	s_waitcnt vmcnt(2)
	v_add_f64 v[77:78], v[77:78], -v[95:96]
	s_waitcnt vmcnt(0)
	v_add_f64 v[79:80], v[79:80], -v[89:90]
	buffer_store_dword v77, off, s[24:27], 0 offset:112 ; 4-byte Folded Spill
	s_nop 0
	buffer_store_dword v78, off, s[24:27], 0 offset:116 ; 4-byte Folded Spill
	buffer_store_dword v79, off, s[24:27], 0 offset:120 ; 4-byte Folded Spill
	buffer_store_dword v80, off, s[24:27], 0 offset:124 ; 4-byte Folded Spill
	ds_read2_b64 v[89:92], v0 offset0:54 offset1:55
	buffer_load_dword v77, off, s[24:27], 0 offset:96 ; 4-byte Folded Reload
	buffer_load_dword v78, off, s[24:27], 0 offset:100 ; 4-byte Folded Reload
	buffer_load_dword v79, off, s[24:27], 0 offset:104 ; 4-byte Folded Reload
	buffer_load_dword v80, off, s[24:27], 0 offset:108 ; 4-byte Folded Reload
	s_waitcnt lgkmcnt(0)
	v_mul_f64 v[95:96], v[91:92], v[97:98]
	v_fma_f64 v[95:96], v[89:90], v[125:126], -v[95:96]
	v_mul_f64 v[89:90], v[89:90], v[97:98]
	v_fma_f64 v[89:90], v[91:92], v[125:126], v[89:90]
	s_waitcnt vmcnt(2)
	v_add_f64 v[77:78], v[77:78], -v[95:96]
	s_waitcnt vmcnt(0)
	v_add_f64 v[79:80], v[79:80], -v[89:90]
	buffer_store_dword v77, off, s[24:27], 0 offset:96 ; 4-byte Folded Spill
	s_nop 0
	buffer_store_dword v78, off, s[24:27], 0 offset:100 ; 4-byte Folded Spill
	buffer_store_dword v79, off, s[24:27], 0 offset:104 ; 4-byte Folded Spill
	buffer_store_dword v80, off, s[24:27], 0 offset:108 ; 4-byte Folded Spill
	;; [unrolled: 19-line block ×7, first 2 shown]
	ds_read2_b64 v[89:92], v0 offset0:66 offset1:67
	s_waitcnt lgkmcnt(0)
	v_mul_f64 v[95:96], v[91:92], v[97:98]
	v_fma_f64 v[95:96], v[89:90], v[125:126], -v[95:96]
	v_mul_f64 v[89:90], v[89:90], v[97:98]
	v_add_f64 v[81:82], v[81:82], -v[95:96]
	v_fma_f64 v[89:90], v[91:92], v[125:126], v[89:90]
	v_add_f64 v[83:84], v[83:84], -v[89:90]
	ds_read2_b64 v[89:92], v0 offset0:68 offset1:69
	s_waitcnt lgkmcnt(0)
	v_mul_f64 v[95:96], v[91:92], v[97:98]
	v_fma_f64 v[95:96], v[89:90], v[125:126], -v[95:96]
	v_mul_f64 v[89:90], v[89:90], v[97:98]
	v_add_f64 v[85:86], v[85:86], -v[95:96]
	v_fma_f64 v[89:90], v[91:92], v[125:126], v[89:90]
	v_add_f64 v[87:88], v[87:88], -v[89:90]
	;; [unrolled: 8-line block ×4, first 2 shown]
	ds_read2_b64 v[89:92], v0 offset0:74 offset1:75
	buffer_load_dword v77, off, s[24:27], 0 ; 4-byte Folded Reload
	buffer_load_dword v78, off, s[24:27], 0 offset:4 ; 4-byte Folded Reload
	buffer_load_dword v79, off, s[24:27], 0 offset:8 ; 4-byte Folded Reload
	;; [unrolled: 1-line block ×3, first 2 shown]
	s_waitcnt lgkmcnt(0)
	v_mul_f64 v[95:96], v[91:92], v[97:98]
	v_fma_f64 v[95:96], v[89:90], v[125:126], -v[95:96]
	v_mul_f64 v[89:90], v[89:90], v[97:98]
	v_fma_f64 v[89:90], v[91:92], v[125:126], v[89:90]
	s_waitcnt vmcnt(2)
	v_add_f64 v[77:78], v[77:78], -v[95:96]
	s_waitcnt vmcnt(0)
	v_add_f64 v[79:80], v[79:80], -v[89:90]
	buffer_store_dword v77, off, s[24:27], 0 ; 4-byte Folded Spill
	s_nop 0
	buffer_store_dword v78, off, s[24:27], 0 offset:4 ; 4-byte Folded Spill
	buffer_store_dword v79, off, s[24:27], 0 offset:8 ; 4-byte Folded Spill
	;; [unrolled: 1-line block ×3, first 2 shown]
	ds_read2_b64 v[89:92], v0 offset0:76 offset1:77
	s_waitcnt lgkmcnt(0)
	v_mul_f64 v[95:96], v[91:92], v[97:98]
	v_fma_f64 v[95:96], v[89:90], v[125:126], -v[95:96]
	v_mul_f64 v[89:90], v[89:90], v[97:98]
	v_add_f64 v[73:74], v[73:74], -v[95:96]
	v_fma_f64 v[89:90], v[91:92], v[125:126], v[89:90]
	v_add_f64 v[75:76], v[75:76], -v[89:90]
	ds_read2_b64 v[89:92], v0 offset0:78 offset1:79
	s_waitcnt lgkmcnt(0)
	v_mul_f64 v[95:96], v[91:92], v[97:98]
	v_fma_f64 v[95:96], v[89:90], v[125:126], -v[95:96]
	v_mul_f64 v[89:90], v[89:90], v[97:98]
	v_add_f64 v[69:70], v[69:70], -v[95:96]
	v_fma_f64 v[89:90], v[91:92], v[125:126], v[89:90]
	v_add_f64 v[71:72], v[71:72], -v[89:90]
	;; [unrolled: 8-line block ×19, first 2 shown]
	ds_read2_b64 v[89:92], v0 offset0:114 offset1:115
	s_waitcnt lgkmcnt(0)
	v_mul_f64 v[95:96], v[91:92], v[97:98]
	v_fma_f64 v[95:96], v[89:90], v[125:126], -v[95:96]
	v_mul_f64 v[89:90], v[89:90], v[97:98]
	v_add_f64 v[121:122], v[121:122], -v[95:96]
	v_fma_f64 v[89:90], v[91:92], v[125:126], v[89:90]
	v_mov_b32_e32 v95, v125
	v_mov_b32_e32 v96, v126
	buffer_store_dword v95, off, s[24:27], 0 offset:128 ; 4-byte Folded Spill
	s_nop 0
	buffer_store_dword v96, off, s[24:27], 0 offset:132 ; 4-byte Folded Spill
	buffer_store_dword v97, off, s[24:27], 0 offset:136 ; 4-byte Folded Spill
	;; [unrolled: 1-line block ×3, first 2 shown]
	v_add_f64 v[123:124], v[123:124], -v[89:90]
.LBB114_545:
	s_or_b64 exec, exec, s[0:1]
	s_waitcnt vmcnt(0)
	s_barrier
	buffer_load_dword v77, off, s[24:27], 0 offset:112 ; 4-byte Folded Reload
	buffer_load_dword v78, off, s[24:27], 0 offset:116 ; 4-byte Folded Reload
	;; [unrolled: 1-line block ×4, first 2 shown]
	v_lshl_add_u32 v89, v93, 4, v0
	s_cmp_lt_i32 s3, 28
	s_waitcnt vmcnt(0)
	ds_write2_b64 v89, v[77:78], v[79:80] offset1:1
	s_waitcnt lgkmcnt(0)
	s_barrier
	ds_read2_b64 v[117:120], v0 offset0:52 offset1:53
	v_mov_b32_e32 v89, 26
	s_cbranch_scc1 .LBB114_548
; %bb.546:
	v_add_u32_e32 v90, 0x1b0, v0
	s_mov_b32 s0, 27
	v_mov_b32_e32 v89, 26
.LBB114_547:                            ; =>This Inner Loop Header: Depth=1
	s_waitcnt lgkmcnt(0)
	v_cmp_gt_f64_e32 vcc, 0, v[117:118]
	v_xor_b32_e32 v91, 0x80000000, v118
	ds_read2_b64 v[95:98], v90 offset1:1
	v_xor_b32_e32 v99, 0x80000000, v120
	v_add_u32_e32 v90, 16, v90
	s_waitcnt lgkmcnt(0)
	v_xor_b32_e32 v101, 0x80000000, v98
	v_cndmask_b32_e32 v92, v118, v91, vcc
	v_cmp_gt_f64_e32 vcc, 0, v[119:120]
	v_mov_b32_e32 v91, v117
	v_cndmask_b32_e32 v100, v120, v99, vcc
	v_cmp_gt_f64_e32 vcc, 0, v[95:96]
	v_mov_b32_e32 v99, v119
	v_add_f64 v[91:92], v[91:92], v[99:100]
	v_xor_b32_e32 v99, 0x80000000, v96
	v_cndmask_b32_e32 v100, v96, v99, vcc
	v_cmp_gt_f64_e32 vcc, 0, v[97:98]
	v_mov_b32_e32 v99, v95
	v_cndmask_b32_e32 v102, v98, v101, vcc
	v_mov_b32_e32 v101, v97
	v_add_f64 v[99:100], v[99:100], v[101:102]
	v_cmp_lt_f64_e32 vcc, v[91:92], v[99:100]
	v_mov_b32_e32 v91, s0
	s_add_i32 s0, s0, 1
	s_cmp_lg_u32 s3, s0
	v_cndmask_b32_e32 v118, v118, v96, vcc
	v_cndmask_b32_e32 v117, v117, v95, vcc
	;; [unrolled: 1-line block ×5, first 2 shown]
	s_cbranch_scc1 .LBB114_547
.LBB114_548:
	s_waitcnt lgkmcnt(0)
	v_cmp_eq_f64_e32 vcc, 0, v[117:118]
	v_cmp_eq_f64_e64 s[0:1], 0, v[119:120]
	s_and_b64 s[0:1], vcc, s[0:1]
	s_and_saveexec_b64 s[18:19], s[0:1]
	s_xor_b64 s[0:1], exec, s[18:19]
; %bb.549:
	v_cmp_ne_u32_e32 vcc, 0, v94
	v_cndmask_b32_e32 v94, 27, v94, vcc
; %bb.550:
	s_andn2_saveexec_b64 s[0:1], s[0:1]
	s_cbranch_execz .LBB114_556
; %bb.551:
	v_cmp_ngt_f64_e64 s[18:19], |v[117:118]|, |v[119:120]|
	s_and_saveexec_b64 s[20:21], s[18:19]
	s_xor_b64 s[18:19], exec, s[20:21]
	s_cbranch_execz .LBB114_553
; %bb.552:
	v_div_scale_f64 v[90:91], s[20:21], v[119:120], v[119:120], v[117:118]
	v_rcp_f64_e32 v[95:96], v[90:91]
	v_fma_f64 v[97:98], -v[90:91], v[95:96], 1.0
	v_fma_f64 v[95:96], v[95:96], v[97:98], v[95:96]
	v_div_scale_f64 v[97:98], vcc, v[117:118], v[119:120], v[117:118]
	v_fma_f64 v[99:100], -v[90:91], v[95:96], 1.0
	v_fma_f64 v[95:96], v[95:96], v[99:100], v[95:96]
	v_mul_f64 v[99:100], v[97:98], v[95:96]
	v_fma_f64 v[90:91], -v[90:91], v[99:100], v[97:98]
	v_div_fmas_f64 v[90:91], v[90:91], v[95:96], v[99:100]
	v_div_fixup_f64 v[90:91], v[90:91], v[119:120], v[117:118]
	v_fma_f64 v[95:96], v[117:118], v[90:91], v[119:120]
	v_div_scale_f64 v[97:98], s[20:21], v[95:96], v[95:96], 1.0
	v_div_scale_f64 v[103:104], vcc, 1.0, v[95:96], 1.0
	v_rcp_f64_e32 v[99:100], v[97:98]
	v_fma_f64 v[101:102], -v[97:98], v[99:100], 1.0
	v_fma_f64 v[99:100], v[99:100], v[101:102], v[99:100]
	v_fma_f64 v[101:102], -v[97:98], v[99:100], 1.0
	v_fma_f64 v[99:100], v[99:100], v[101:102], v[99:100]
	v_mul_f64 v[101:102], v[103:104], v[99:100]
	v_fma_f64 v[97:98], -v[97:98], v[101:102], v[103:104]
	v_div_fmas_f64 v[97:98], v[97:98], v[99:100], v[101:102]
	v_div_fixup_f64 v[119:120], v[97:98], v[95:96], 1.0
	v_mul_f64 v[117:118], v[90:91], v[119:120]
	v_xor_b32_e32 v120, 0x80000000, v120
.LBB114_553:
	s_andn2_saveexec_b64 s[18:19], s[18:19]
	s_cbranch_execz .LBB114_555
; %bb.554:
	v_div_scale_f64 v[90:91], s[20:21], v[117:118], v[117:118], v[119:120]
	v_rcp_f64_e32 v[95:96], v[90:91]
	v_fma_f64 v[97:98], -v[90:91], v[95:96], 1.0
	v_fma_f64 v[95:96], v[95:96], v[97:98], v[95:96]
	v_div_scale_f64 v[97:98], vcc, v[119:120], v[117:118], v[119:120]
	v_fma_f64 v[99:100], -v[90:91], v[95:96], 1.0
	v_fma_f64 v[95:96], v[95:96], v[99:100], v[95:96]
	v_mul_f64 v[99:100], v[97:98], v[95:96]
	v_fma_f64 v[90:91], -v[90:91], v[99:100], v[97:98]
	v_div_fmas_f64 v[90:91], v[90:91], v[95:96], v[99:100]
	v_div_fixup_f64 v[90:91], v[90:91], v[117:118], v[119:120]
	v_fma_f64 v[95:96], v[119:120], v[90:91], v[117:118]
	v_div_scale_f64 v[97:98], s[20:21], v[95:96], v[95:96], 1.0
	v_div_scale_f64 v[103:104], vcc, 1.0, v[95:96], 1.0
	v_rcp_f64_e32 v[99:100], v[97:98]
	v_fma_f64 v[101:102], -v[97:98], v[99:100], 1.0
	v_fma_f64 v[99:100], v[99:100], v[101:102], v[99:100]
	v_fma_f64 v[101:102], -v[97:98], v[99:100], 1.0
	v_fma_f64 v[99:100], v[99:100], v[101:102], v[99:100]
	v_mul_f64 v[101:102], v[103:104], v[99:100]
	v_fma_f64 v[97:98], -v[97:98], v[101:102], v[103:104]
	v_div_fmas_f64 v[97:98], v[97:98], v[99:100], v[101:102]
	v_div_fixup_f64 v[117:118], v[97:98], v[95:96], 1.0
	v_mul_f64 v[119:120], v[90:91], -v[117:118]
.LBB114_555:
	s_or_b64 exec, exec, s[18:19]
.LBB114_556:
	s_or_b64 exec, exec, s[0:1]
	v_cmp_ne_u32_e32 vcc, v93, v89
	s_and_saveexec_b64 s[0:1], vcc
	s_xor_b64 s[0:1], exec, s[0:1]
	s_cbranch_execz .LBB114_562
; %bb.557:
	v_cmp_eq_u32_e32 vcc, 26, v93
	s_and_saveexec_b64 s[18:19], vcc
	s_cbranch_execz .LBB114_561
; %bb.558:
	v_cmp_ne_u32_e32 vcc, 26, v89
	s_xor_b64 s[20:21], s[6:7], -1
	s_and_b64 s[22:23], s[20:21], vcc
	s_and_saveexec_b64 s[20:21], s[22:23]
	s_cbranch_execz .LBB114_560
; %bb.559:
	v_mov_b32_e32 v77, v81
	v_mov_b32_e32 v78, v82
	v_mov_b32_e32 v79, v83
	v_mov_b32_e32 v80, v84
	buffer_load_dword v81, off, s[24:27], 0 offset:480 ; 4-byte Folded Reload
	buffer_load_dword v82, off, s[24:27], 0 offset:484 ; 4-byte Folded Reload
	v_ashrrev_i32_e32 v90, 31, v89
	v_lshlrev_b64 v[90:91], 2, v[89:90]
	s_waitcnt vmcnt(1)
	v_add_co_u32_e32 v90, vcc, v81, v90
	s_waitcnt vmcnt(0)
	v_addc_co_u32_e32 v91, vcc, v82, v91, vcc
	global_load_dword v92, v[90:91], off
	global_load_dword v93, v[81:82], off offset:104
	s_waitcnt vmcnt(1)
	global_store_dword v[81:82], v92, off offset:104
	v_mov_b32_e32 v84, v80
	v_mov_b32_e32 v83, v79
	v_mov_b32_e32 v82, v78
	v_mov_b32_e32 v81, v77
	s_waitcnt vmcnt(1)
	global_store_dword v[90:91], v93, off
.LBB114_560:
	s_or_b64 exec, exec, s[20:21]
	v_mov_b32_e32 v93, v89
	v_mov_b32_e32 v127, v89
.LBB114_561:
	s_or_b64 exec, exec, s[18:19]
.LBB114_562:
	s_andn2_saveexec_b64 s[0:1], s[0:1]
	s_cbranch_execz .LBB114_564
; %bb.563:
	buffer_load_dword v77, off, s[24:27], 0 offset:96 ; 4-byte Folded Reload
	buffer_load_dword v78, off, s[24:27], 0 offset:100 ; 4-byte Folded Reload
	;; [unrolled: 1-line block ×4, first 2 shown]
	v_mov_b32_e32 v93, 26
	s_waitcnt vmcnt(0)
	ds_write2_b64 v0, v[77:78], v[79:80] offset0:54 offset1:55
	buffer_load_dword v77, off, s[24:27], 0 offset:80 ; 4-byte Folded Reload
	buffer_load_dword v78, off, s[24:27], 0 offset:84 ; 4-byte Folded Reload
	buffer_load_dword v79, off, s[24:27], 0 offset:88 ; 4-byte Folded Reload
	buffer_load_dword v80, off, s[24:27], 0 offset:92 ; 4-byte Folded Reload
	s_waitcnt vmcnt(0)
	ds_write2_b64 v0, v[77:78], v[79:80] offset0:56 offset1:57
	buffer_load_dword v77, off, s[24:27], 0 offset:64 ; 4-byte Folded Reload
	buffer_load_dword v78, off, s[24:27], 0 offset:68 ; 4-byte Folded Reload
	buffer_load_dword v79, off, s[24:27], 0 offset:72 ; 4-byte Folded Reload
	buffer_load_dword v80, off, s[24:27], 0 offset:76 ; 4-byte Folded Reload
	;; [unrolled: 6-line block ×5, first 2 shown]
	s_waitcnt vmcnt(0)
	ds_write2_b64 v0, v[77:78], v[79:80] offset0:64 offset1:65
	ds_write2_b64 v0, v[81:82], v[83:84] offset0:66 offset1:67
	;; [unrolled: 1-line block ×5, first 2 shown]
	buffer_load_dword v77, off, s[24:27], 0 ; 4-byte Folded Reload
	buffer_load_dword v78, off, s[24:27], 0 offset:4 ; 4-byte Folded Reload
	buffer_load_dword v79, off, s[24:27], 0 offset:8 ; 4-byte Folded Reload
	;; [unrolled: 1-line block ×3, first 2 shown]
	s_waitcnt vmcnt(0)
	ds_write2_b64 v0, v[77:78], v[79:80] offset0:74 offset1:75
	ds_write2_b64 v0, v[73:74], v[75:76] offset0:76 offset1:77
	ds_write2_b64 v0, v[69:70], v[71:72] offset0:78 offset1:79
	ds_write2_b64 v0, v[65:66], v[67:68] offset0:80 offset1:81
	ds_write2_b64 v0, v[61:62], v[63:64] offset0:82 offset1:83
	ds_write2_b64 v0, v[57:58], v[59:60] offset0:84 offset1:85
	ds_write2_b64 v0, v[53:54], v[55:56] offset0:86 offset1:87
	ds_write2_b64 v0, v[49:50], v[51:52] offset0:88 offset1:89
	ds_write2_b64 v0, v[45:46], v[47:48] offset0:90 offset1:91
	ds_write2_b64 v0, v[41:42], v[43:44] offset0:92 offset1:93
	ds_write2_b64 v0, v[37:38], v[39:40] offset0:94 offset1:95
	ds_write2_b64 v0, v[33:34], v[35:36] offset0:96 offset1:97
	ds_write2_b64 v0, v[29:30], v[31:32] offset0:98 offset1:99
	ds_write2_b64 v0, v[25:26], v[27:28] offset0:100 offset1:101
	ds_write2_b64 v0, v[21:22], v[23:24] offset0:102 offset1:103
	ds_write2_b64 v0, v[17:18], v[19:20] offset0:104 offset1:105
	ds_write2_b64 v0, v[13:14], v[15:16] offset0:106 offset1:107
	ds_write2_b64 v0, v[9:10], v[11:12] offset0:108 offset1:109
	ds_write2_b64 v0, v[5:6], v[7:8] offset0:110 offset1:111
	ds_write2_b64 v0, v[1:2], v[3:4] offset0:112 offset1:113
	ds_write2_b64 v0, v[121:122], v[123:124] offset0:114 offset1:115
.LBB114_564:
	s_or_b64 exec, exec, s[0:1]
	v_cmp_lt_i32_e32 vcc, 26, v93
	s_waitcnt vmcnt(0) lgkmcnt(0)
	s_barrier
	s_and_saveexec_b64 s[0:1], vcc
	s_cbranch_execz .LBB114_566
; %bb.565:
	buffer_load_dword v95, off, s[24:27], 0 offset:112 ; 4-byte Folded Reload
	buffer_load_dword v96, off, s[24:27], 0 offset:116 ; 4-byte Folded Reload
	;; [unrolled: 1-line block ×4, first 2 shown]
	s_waitcnt vmcnt(0)
	v_mul_f64 v[89:90], v[119:120], v[97:98]
	v_fma_f64 v[101:102], v[117:118], v[95:96], -v[89:90]
	v_mul_f64 v[89:90], v[117:118], v[97:98]
	v_fma_f64 v[97:98], v[119:120], v[95:96], v[89:90]
	ds_read2_b64 v[89:92], v0 offset0:54 offset1:55
	buffer_load_dword v77, off, s[24:27], 0 offset:96 ; 4-byte Folded Reload
	buffer_load_dword v78, off, s[24:27], 0 offset:100 ; 4-byte Folded Reload
	buffer_load_dword v79, off, s[24:27], 0 offset:104 ; 4-byte Folded Reload
	buffer_load_dword v80, off, s[24:27], 0 offset:108 ; 4-byte Folded Reload
	s_waitcnt lgkmcnt(0)
	v_mul_f64 v[95:96], v[91:92], v[97:98]
	v_fma_f64 v[95:96], v[89:90], v[101:102], -v[95:96]
	v_mul_f64 v[89:90], v[89:90], v[97:98]
	v_fma_f64 v[89:90], v[91:92], v[101:102], v[89:90]
	s_waitcnt vmcnt(2)
	v_add_f64 v[77:78], v[77:78], -v[95:96]
	s_waitcnt vmcnt(0)
	v_add_f64 v[79:80], v[79:80], -v[89:90]
	buffer_store_dword v77, off, s[24:27], 0 offset:96 ; 4-byte Folded Spill
	s_nop 0
	buffer_store_dword v78, off, s[24:27], 0 offset:100 ; 4-byte Folded Spill
	buffer_store_dword v79, off, s[24:27], 0 offset:104 ; 4-byte Folded Spill
	buffer_store_dword v80, off, s[24:27], 0 offset:108 ; 4-byte Folded Spill
	ds_read2_b64 v[89:92], v0 offset0:56 offset1:57
	buffer_load_dword v77, off, s[24:27], 0 offset:80 ; 4-byte Folded Reload
	buffer_load_dword v78, off, s[24:27], 0 offset:84 ; 4-byte Folded Reload
	buffer_load_dword v79, off, s[24:27], 0 offset:88 ; 4-byte Folded Reload
	buffer_load_dword v80, off, s[24:27], 0 offset:92 ; 4-byte Folded Reload
	s_waitcnt lgkmcnt(0)
	v_mul_f64 v[95:96], v[91:92], v[97:98]
	v_fma_f64 v[95:96], v[89:90], v[101:102], -v[95:96]
	v_mul_f64 v[89:90], v[89:90], v[97:98]
	v_fma_f64 v[89:90], v[91:92], v[101:102], v[89:90]
	s_waitcnt vmcnt(2)
	v_add_f64 v[77:78], v[77:78], -v[95:96]
	s_waitcnt vmcnt(0)
	v_add_f64 v[79:80], v[79:80], -v[89:90]
	buffer_store_dword v77, off, s[24:27], 0 offset:80 ; 4-byte Folded Spill
	s_nop 0
	buffer_store_dword v78, off, s[24:27], 0 offset:84 ; 4-byte Folded Spill
	buffer_store_dword v79, off, s[24:27], 0 offset:88 ; 4-byte Folded Spill
	buffer_store_dword v80, off, s[24:27], 0 offset:92 ; 4-byte Folded Spill
	;; [unrolled: 19-line block ×6, first 2 shown]
	ds_read2_b64 v[89:92], v0 offset0:66 offset1:67
	s_waitcnt lgkmcnt(0)
	v_mul_f64 v[95:96], v[91:92], v[97:98]
	v_fma_f64 v[95:96], v[89:90], v[101:102], -v[95:96]
	v_mul_f64 v[89:90], v[89:90], v[97:98]
	v_add_f64 v[81:82], v[81:82], -v[95:96]
	v_fma_f64 v[89:90], v[91:92], v[101:102], v[89:90]
	v_add_f64 v[83:84], v[83:84], -v[89:90]
	ds_read2_b64 v[89:92], v0 offset0:68 offset1:69
	s_waitcnt lgkmcnt(0)
	v_mul_f64 v[95:96], v[91:92], v[97:98]
	v_fma_f64 v[95:96], v[89:90], v[101:102], -v[95:96]
	v_mul_f64 v[89:90], v[89:90], v[97:98]
	v_add_f64 v[85:86], v[85:86], -v[95:96]
	v_fma_f64 v[89:90], v[91:92], v[101:102], v[89:90]
	v_add_f64 v[87:88], v[87:88], -v[89:90]
	;; [unrolled: 8-line block ×4, first 2 shown]
	ds_read2_b64 v[89:92], v0 offset0:74 offset1:75
	buffer_load_dword v77, off, s[24:27], 0 ; 4-byte Folded Reload
	buffer_load_dword v78, off, s[24:27], 0 offset:4 ; 4-byte Folded Reload
	buffer_load_dword v79, off, s[24:27], 0 offset:8 ; 4-byte Folded Reload
	;; [unrolled: 1-line block ×3, first 2 shown]
	s_waitcnt lgkmcnt(0)
	v_mul_f64 v[95:96], v[91:92], v[97:98]
	v_fma_f64 v[95:96], v[89:90], v[101:102], -v[95:96]
	v_mul_f64 v[89:90], v[89:90], v[97:98]
	v_fma_f64 v[89:90], v[91:92], v[101:102], v[89:90]
	s_waitcnt vmcnt(2)
	v_add_f64 v[77:78], v[77:78], -v[95:96]
	s_waitcnt vmcnt(0)
	v_add_f64 v[79:80], v[79:80], -v[89:90]
	buffer_store_dword v77, off, s[24:27], 0 ; 4-byte Folded Spill
	s_nop 0
	buffer_store_dword v78, off, s[24:27], 0 offset:4 ; 4-byte Folded Spill
	buffer_store_dword v79, off, s[24:27], 0 offset:8 ; 4-byte Folded Spill
	;; [unrolled: 1-line block ×3, first 2 shown]
	ds_read2_b64 v[89:92], v0 offset0:76 offset1:77
	s_waitcnt lgkmcnt(0)
	v_mul_f64 v[95:96], v[91:92], v[97:98]
	v_fma_f64 v[95:96], v[89:90], v[101:102], -v[95:96]
	v_mul_f64 v[89:90], v[89:90], v[97:98]
	v_add_f64 v[73:74], v[73:74], -v[95:96]
	v_fma_f64 v[89:90], v[91:92], v[101:102], v[89:90]
	v_add_f64 v[75:76], v[75:76], -v[89:90]
	ds_read2_b64 v[89:92], v0 offset0:78 offset1:79
	s_waitcnt lgkmcnt(0)
	v_mul_f64 v[95:96], v[91:92], v[97:98]
	v_fma_f64 v[95:96], v[89:90], v[101:102], -v[95:96]
	v_mul_f64 v[89:90], v[89:90], v[97:98]
	v_add_f64 v[69:70], v[69:70], -v[95:96]
	v_fma_f64 v[89:90], v[91:92], v[101:102], v[89:90]
	v_add_f64 v[71:72], v[71:72], -v[89:90]
	ds_read2_b64 v[89:92], v0 offset0:80 offset1:81
	s_waitcnt lgkmcnt(0)
	v_mul_f64 v[95:96], v[91:92], v[97:98]
	v_fma_f64 v[95:96], v[89:90], v[101:102], -v[95:96]
	v_mul_f64 v[89:90], v[89:90], v[97:98]
	v_add_f64 v[65:66], v[65:66], -v[95:96]
	v_fma_f64 v[89:90], v[91:92], v[101:102], v[89:90]
	v_add_f64 v[67:68], v[67:68], -v[89:90]
	ds_read2_b64 v[89:92], v0 offset0:82 offset1:83
	s_waitcnt lgkmcnt(0)
	v_mul_f64 v[95:96], v[91:92], v[97:98]
	v_fma_f64 v[95:96], v[89:90], v[101:102], -v[95:96]
	v_mul_f64 v[89:90], v[89:90], v[97:98]
	v_add_f64 v[61:62], v[61:62], -v[95:96]
	v_fma_f64 v[89:90], v[91:92], v[101:102], v[89:90]
	v_add_f64 v[63:64], v[63:64], -v[89:90]
	ds_read2_b64 v[89:92], v0 offset0:84 offset1:85
	s_waitcnt lgkmcnt(0)
	v_mul_f64 v[95:96], v[91:92], v[97:98]
	v_fma_f64 v[95:96], v[89:90], v[101:102], -v[95:96]
	v_mul_f64 v[89:90], v[89:90], v[97:98]
	v_add_f64 v[57:58], v[57:58], -v[95:96]
	v_fma_f64 v[89:90], v[91:92], v[101:102], v[89:90]
	v_add_f64 v[59:60], v[59:60], -v[89:90]
	ds_read2_b64 v[89:92], v0 offset0:86 offset1:87
	s_waitcnt lgkmcnt(0)
	v_mul_f64 v[95:96], v[91:92], v[97:98]
	v_fma_f64 v[95:96], v[89:90], v[101:102], -v[95:96]
	v_mul_f64 v[89:90], v[89:90], v[97:98]
	v_add_f64 v[53:54], v[53:54], -v[95:96]
	v_fma_f64 v[89:90], v[91:92], v[101:102], v[89:90]
	v_add_f64 v[55:56], v[55:56], -v[89:90]
	ds_read2_b64 v[89:92], v0 offset0:88 offset1:89
	s_waitcnt lgkmcnt(0)
	v_mul_f64 v[95:96], v[91:92], v[97:98]
	v_fma_f64 v[95:96], v[89:90], v[101:102], -v[95:96]
	v_mul_f64 v[89:90], v[89:90], v[97:98]
	v_add_f64 v[49:50], v[49:50], -v[95:96]
	v_fma_f64 v[89:90], v[91:92], v[101:102], v[89:90]
	v_add_f64 v[51:52], v[51:52], -v[89:90]
	ds_read2_b64 v[89:92], v0 offset0:90 offset1:91
	s_waitcnt lgkmcnt(0)
	v_mul_f64 v[95:96], v[91:92], v[97:98]
	v_fma_f64 v[95:96], v[89:90], v[101:102], -v[95:96]
	v_mul_f64 v[89:90], v[89:90], v[97:98]
	v_add_f64 v[45:46], v[45:46], -v[95:96]
	v_fma_f64 v[89:90], v[91:92], v[101:102], v[89:90]
	v_add_f64 v[47:48], v[47:48], -v[89:90]
	ds_read2_b64 v[89:92], v0 offset0:92 offset1:93
	s_waitcnt lgkmcnt(0)
	v_mul_f64 v[95:96], v[91:92], v[97:98]
	v_fma_f64 v[95:96], v[89:90], v[101:102], -v[95:96]
	v_mul_f64 v[89:90], v[89:90], v[97:98]
	v_add_f64 v[41:42], v[41:42], -v[95:96]
	v_fma_f64 v[89:90], v[91:92], v[101:102], v[89:90]
	v_add_f64 v[43:44], v[43:44], -v[89:90]
	ds_read2_b64 v[89:92], v0 offset0:94 offset1:95
	s_waitcnt lgkmcnt(0)
	v_mul_f64 v[95:96], v[91:92], v[97:98]
	v_fma_f64 v[95:96], v[89:90], v[101:102], -v[95:96]
	v_mul_f64 v[89:90], v[89:90], v[97:98]
	v_add_f64 v[37:38], v[37:38], -v[95:96]
	v_fma_f64 v[89:90], v[91:92], v[101:102], v[89:90]
	v_add_f64 v[39:40], v[39:40], -v[89:90]
	ds_read2_b64 v[89:92], v0 offset0:96 offset1:97
	s_waitcnt lgkmcnt(0)
	v_mul_f64 v[95:96], v[91:92], v[97:98]
	v_fma_f64 v[95:96], v[89:90], v[101:102], -v[95:96]
	v_mul_f64 v[89:90], v[89:90], v[97:98]
	v_add_f64 v[33:34], v[33:34], -v[95:96]
	v_fma_f64 v[89:90], v[91:92], v[101:102], v[89:90]
	v_add_f64 v[35:36], v[35:36], -v[89:90]
	ds_read2_b64 v[89:92], v0 offset0:98 offset1:99
	s_waitcnt lgkmcnt(0)
	v_mul_f64 v[95:96], v[91:92], v[97:98]
	v_fma_f64 v[95:96], v[89:90], v[101:102], -v[95:96]
	v_mul_f64 v[89:90], v[89:90], v[97:98]
	v_add_f64 v[29:30], v[29:30], -v[95:96]
	v_fma_f64 v[89:90], v[91:92], v[101:102], v[89:90]
	v_add_f64 v[31:32], v[31:32], -v[89:90]
	ds_read2_b64 v[89:92], v0 offset0:100 offset1:101
	s_waitcnt lgkmcnt(0)
	v_mul_f64 v[95:96], v[91:92], v[97:98]
	v_fma_f64 v[95:96], v[89:90], v[101:102], -v[95:96]
	v_mul_f64 v[89:90], v[89:90], v[97:98]
	v_add_f64 v[25:26], v[25:26], -v[95:96]
	v_fma_f64 v[89:90], v[91:92], v[101:102], v[89:90]
	v_add_f64 v[27:28], v[27:28], -v[89:90]
	ds_read2_b64 v[89:92], v0 offset0:102 offset1:103
	s_waitcnt lgkmcnt(0)
	v_mul_f64 v[95:96], v[91:92], v[97:98]
	v_fma_f64 v[95:96], v[89:90], v[101:102], -v[95:96]
	v_mul_f64 v[89:90], v[89:90], v[97:98]
	v_add_f64 v[21:22], v[21:22], -v[95:96]
	v_fma_f64 v[89:90], v[91:92], v[101:102], v[89:90]
	v_add_f64 v[23:24], v[23:24], -v[89:90]
	ds_read2_b64 v[89:92], v0 offset0:104 offset1:105
	s_waitcnt lgkmcnt(0)
	v_mul_f64 v[95:96], v[91:92], v[97:98]
	v_fma_f64 v[95:96], v[89:90], v[101:102], -v[95:96]
	v_mul_f64 v[89:90], v[89:90], v[97:98]
	v_add_f64 v[17:18], v[17:18], -v[95:96]
	v_fma_f64 v[89:90], v[91:92], v[101:102], v[89:90]
	v_add_f64 v[19:20], v[19:20], -v[89:90]
	ds_read2_b64 v[89:92], v0 offset0:106 offset1:107
	s_waitcnt lgkmcnt(0)
	v_mul_f64 v[95:96], v[91:92], v[97:98]
	v_fma_f64 v[95:96], v[89:90], v[101:102], -v[95:96]
	v_mul_f64 v[89:90], v[89:90], v[97:98]
	v_add_f64 v[13:14], v[13:14], -v[95:96]
	v_fma_f64 v[89:90], v[91:92], v[101:102], v[89:90]
	v_add_f64 v[15:16], v[15:16], -v[89:90]
	ds_read2_b64 v[89:92], v0 offset0:108 offset1:109
	s_waitcnt lgkmcnt(0)
	v_mul_f64 v[95:96], v[91:92], v[97:98]
	v_fma_f64 v[95:96], v[89:90], v[101:102], -v[95:96]
	v_mul_f64 v[89:90], v[89:90], v[97:98]
	v_add_f64 v[9:10], v[9:10], -v[95:96]
	v_fma_f64 v[89:90], v[91:92], v[101:102], v[89:90]
	v_add_f64 v[11:12], v[11:12], -v[89:90]
	ds_read2_b64 v[89:92], v0 offset0:110 offset1:111
	s_waitcnt lgkmcnt(0)
	v_mul_f64 v[95:96], v[91:92], v[97:98]
	v_fma_f64 v[95:96], v[89:90], v[101:102], -v[95:96]
	v_mul_f64 v[89:90], v[89:90], v[97:98]
	v_add_f64 v[5:6], v[5:6], -v[95:96]
	v_fma_f64 v[89:90], v[91:92], v[101:102], v[89:90]
	v_add_f64 v[7:8], v[7:8], -v[89:90]
	ds_read2_b64 v[89:92], v0 offset0:112 offset1:113
	s_waitcnt lgkmcnt(0)
	v_mul_f64 v[95:96], v[91:92], v[97:98]
	v_fma_f64 v[95:96], v[89:90], v[101:102], -v[95:96]
	v_mul_f64 v[89:90], v[89:90], v[97:98]
	v_add_f64 v[1:2], v[1:2], -v[95:96]
	v_fma_f64 v[89:90], v[91:92], v[101:102], v[89:90]
	v_add_f64 v[3:4], v[3:4], -v[89:90]
	ds_read2_b64 v[89:92], v0 offset0:114 offset1:115
	s_waitcnt lgkmcnt(0)
	v_mul_f64 v[95:96], v[91:92], v[97:98]
	v_fma_f64 v[95:96], v[89:90], v[101:102], -v[95:96]
	v_mul_f64 v[89:90], v[89:90], v[97:98]
	v_add_f64 v[121:122], v[121:122], -v[95:96]
	v_fma_f64 v[89:90], v[91:92], v[101:102], v[89:90]
	v_mov_b32_e32 v95, v101
	v_mov_b32_e32 v96, v102
	buffer_store_dword v95, off, s[24:27], 0 offset:112 ; 4-byte Folded Spill
	s_nop 0
	buffer_store_dword v96, off, s[24:27], 0 offset:116 ; 4-byte Folded Spill
	buffer_store_dword v97, off, s[24:27], 0 offset:120 ; 4-byte Folded Spill
	;; [unrolled: 1-line block ×3, first 2 shown]
	v_add_f64 v[123:124], v[123:124], -v[89:90]
.LBB114_566:
	s_or_b64 exec, exec, s[0:1]
	s_waitcnt vmcnt(0)
	s_barrier
	buffer_load_dword v77, off, s[24:27], 0 offset:96 ; 4-byte Folded Reload
	buffer_load_dword v78, off, s[24:27], 0 offset:100 ; 4-byte Folded Reload
	;; [unrolled: 1-line block ×4, first 2 shown]
	v_lshl_add_u32 v89, v93, 4, v0
	s_cmp_lt_i32 s3, 29
	s_waitcnt vmcnt(0)
	ds_write2_b64 v89, v[77:78], v[79:80] offset1:1
	s_waitcnt lgkmcnt(0)
	s_barrier
	ds_read2_b64 v[117:120], v0 offset0:54 offset1:55
	v_mov_b32_e32 v89, 27
	s_cbranch_scc1 .LBB114_569
; %bb.567:
	v_add_u32_e32 v90, 0x1c0, v0
	s_mov_b32 s0, 28
	v_mov_b32_e32 v89, 27
.LBB114_568:                            ; =>This Inner Loop Header: Depth=1
	s_waitcnt lgkmcnt(0)
	v_cmp_gt_f64_e32 vcc, 0, v[117:118]
	v_xor_b32_e32 v91, 0x80000000, v118
	ds_read2_b64 v[95:98], v90 offset1:1
	v_xor_b32_e32 v99, 0x80000000, v120
	v_add_u32_e32 v90, 16, v90
	s_waitcnt lgkmcnt(0)
	v_xor_b32_e32 v101, 0x80000000, v98
	v_cndmask_b32_e32 v92, v118, v91, vcc
	v_cmp_gt_f64_e32 vcc, 0, v[119:120]
	v_mov_b32_e32 v91, v117
	v_cndmask_b32_e32 v100, v120, v99, vcc
	v_cmp_gt_f64_e32 vcc, 0, v[95:96]
	v_mov_b32_e32 v99, v119
	v_add_f64 v[91:92], v[91:92], v[99:100]
	v_xor_b32_e32 v99, 0x80000000, v96
	v_cndmask_b32_e32 v100, v96, v99, vcc
	v_cmp_gt_f64_e32 vcc, 0, v[97:98]
	v_mov_b32_e32 v99, v95
	v_cndmask_b32_e32 v102, v98, v101, vcc
	v_mov_b32_e32 v101, v97
	v_add_f64 v[99:100], v[99:100], v[101:102]
	v_cmp_lt_f64_e32 vcc, v[91:92], v[99:100]
	v_mov_b32_e32 v91, s0
	s_add_i32 s0, s0, 1
	s_cmp_lg_u32 s3, s0
	v_cndmask_b32_e32 v118, v118, v96, vcc
	v_cndmask_b32_e32 v117, v117, v95, vcc
	;; [unrolled: 1-line block ×5, first 2 shown]
	s_cbranch_scc1 .LBB114_568
.LBB114_569:
	s_waitcnt lgkmcnt(0)
	v_cmp_eq_f64_e32 vcc, 0, v[117:118]
	v_cmp_eq_f64_e64 s[0:1], 0, v[119:120]
	s_and_b64 s[0:1], vcc, s[0:1]
	s_and_saveexec_b64 s[18:19], s[0:1]
	s_xor_b64 s[0:1], exec, s[18:19]
; %bb.570:
	v_cmp_ne_u32_e32 vcc, 0, v94
	v_cndmask_b32_e32 v94, 28, v94, vcc
; %bb.571:
	s_andn2_saveexec_b64 s[0:1], s[0:1]
	s_cbranch_execz .LBB114_577
; %bb.572:
	v_cmp_ngt_f64_e64 s[18:19], |v[117:118]|, |v[119:120]|
	s_and_saveexec_b64 s[20:21], s[18:19]
	s_xor_b64 s[18:19], exec, s[20:21]
	s_cbranch_execz .LBB114_574
; %bb.573:
	v_div_scale_f64 v[90:91], s[20:21], v[119:120], v[119:120], v[117:118]
	v_rcp_f64_e32 v[95:96], v[90:91]
	v_fma_f64 v[97:98], -v[90:91], v[95:96], 1.0
	v_fma_f64 v[95:96], v[95:96], v[97:98], v[95:96]
	v_div_scale_f64 v[97:98], vcc, v[117:118], v[119:120], v[117:118]
	v_fma_f64 v[99:100], -v[90:91], v[95:96], 1.0
	v_fma_f64 v[95:96], v[95:96], v[99:100], v[95:96]
	v_mul_f64 v[99:100], v[97:98], v[95:96]
	v_fma_f64 v[90:91], -v[90:91], v[99:100], v[97:98]
	v_div_fmas_f64 v[90:91], v[90:91], v[95:96], v[99:100]
	v_div_fixup_f64 v[90:91], v[90:91], v[119:120], v[117:118]
	v_fma_f64 v[95:96], v[117:118], v[90:91], v[119:120]
	v_div_scale_f64 v[97:98], s[20:21], v[95:96], v[95:96], 1.0
	v_div_scale_f64 v[103:104], vcc, 1.0, v[95:96], 1.0
	v_rcp_f64_e32 v[99:100], v[97:98]
	v_fma_f64 v[101:102], -v[97:98], v[99:100], 1.0
	v_fma_f64 v[99:100], v[99:100], v[101:102], v[99:100]
	v_fma_f64 v[101:102], -v[97:98], v[99:100], 1.0
	v_fma_f64 v[99:100], v[99:100], v[101:102], v[99:100]
	v_mul_f64 v[101:102], v[103:104], v[99:100]
	v_fma_f64 v[97:98], -v[97:98], v[101:102], v[103:104]
	v_div_fmas_f64 v[97:98], v[97:98], v[99:100], v[101:102]
	v_div_fixup_f64 v[119:120], v[97:98], v[95:96], 1.0
	v_mul_f64 v[117:118], v[90:91], v[119:120]
	v_xor_b32_e32 v120, 0x80000000, v120
.LBB114_574:
	s_andn2_saveexec_b64 s[18:19], s[18:19]
	s_cbranch_execz .LBB114_576
; %bb.575:
	v_div_scale_f64 v[90:91], s[20:21], v[117:118], v[117:118], v[119:120]
	v_rcp_f64_e32 v[95:96], v[90:91]
	v_fma_f64 v[97:98], -v[90:91], v[95:96], 1.0
	v_fma_f64 v[95:96], v[95:96], v[97:98], v[95:96]
	v_div_scale_f64 v[97:98], vcc, v[119:120], v[117:118], v[119:120]
	v_fma_f64 v[99:100], -v[90:91], v[95:96], 1.0
	v_fma_f64 v[95:96], v[95:96], v[99:100], v[95:96]
	v_mul_f64 v[99:100], v[97:98], v[95:96]
	v_fma_f64 v[90:91], -v[90:91], v[99:100], v[97:98]
	v_div_fmas_f64 v[90:91], v[90:91], v[95:96], v[99:100]
	v_div_fixup_f64 v[90:91], v[90:91], v[117:118], v[119:120]
	v_fma_f64 v[95:96], v[119:120], v[90:91], v[117:118]
	v_div_scale_f64 v[97:98], s[20:21], v[95:96], v[95:96], 1.0
	v_div_scale_f64 v[103:104], vcc, 1.0, v[95:96], 1.0
	v_rcp_f64_e32 v[99:100], v[97:98]
	v_fma_f64 v[101:102], -v[97:98], v[99:100], 1.0
	v_fma_f64 v[99:100], v[99:100], v[101:102], v[99:100]
	v_fma_f64 v[101:102], -v[97:98], v[99:100], 1.0
	v_fma_f64 v[99:100], v[99:100], v[101:102], v[99:100]
	v_mul_f64 v[101:102], v[103:104], v[99:100]
	v_fma_f64 v[97:98], -v[97:98], v[101:102], v[103:104]
	v_div_fmas_f64 v[97:98], v[97:98], v[99:100], v[101:102]
	v_div_fixup_f64 v[117:118], v[97:98], v[95:96], 1.0
	v_mul_f64 v[119:120], v[90:91], -v[117:118]
.LBB114_576:
	s_or_b64 exec, exec, s[18:19]
.LBB114_577:
	s_or_b64 exec, exec, s[0:1]
	v_cmp_ne_u32_e32 vcc, v93, v89
	s_and_saveexec_b64 s[0:1], vcc
	s_xor_b64 s[0:1], exec, s[0:1]
	s_cbranch_execz .LBB114_583
; %bb.578:
	v_cmp_eq_u32_e32 vcc, 27, v93
	s_and_saveexec_b64 s[18:19], vcc
	s_cbranch_execz .LBB114_582
; %bb.579:
	v_cmp_ne_u32_e32 vcc, 27, v89
	s_xor_b64 s[20:21], s[6:7], -1
	s_and_b64 s[22:23], s[20:21], vcc
	s_and_saveexec_b64 s[20:21], s[22:23]
	s_cbranch_execz .LBB114_581
; %bb.580:
	v_mov_b32_e32 v77, v81
	v_mov_b32_e32 v78, v82
	v_mov_b32_e32 v79, v83
	v_mov_b32_e32 v80, v84
	buffer_load_dword v81, off, s[24:27], 0 offset:480 ; 4-byte Folded Reload
	buffer_load_dword v82, off, s[24:27], 0 offset:484 ; 4-byte Folded Reload
	v_ashrrev_i32_e32 v90, 31, v89
	v_lshlrev_b64 v[90:91], 2, v[89:90]
	s_waitcnt vmcnt(1)
	v_add_co_u32_e32 v90, vcc, v81, v90
	s_waitcnt vmcnt(0)
	v_addc_co_u32_e32 v91, vcc, v82, v91, vcc
	global_load_dword v92, v[90:91], off
	global_load_dword v93, v[81:82], off offset:108
	s_waitcnt vmcnt(1)
	global_store_dword v[81:82], v92, off offset:108
	v_mov_b32_e32 v84, v80
	v_mov_b32_e32 v83, v79
	v_mov_b32_e32 v82, v78
	v_mov_b32_e32 v81, v77
	s_waitcnt vmcnt(1)
	global_store_dword v[90:91], v93, off
.LBB114_581:
	s_or_b64 exec, exec, s[20:21]
	v_mov_b32_e32 v93, v89
	v_mov_b32_e32 v127, v89
.LBB114_582:
	s_or_b64 exec, exec, s[18:19]
.LBB114_583:
	s_andn2_saveexec_b64 s[0:1], s[0:1]
	s_cbranch_execz .LBB114_585
; %bb.584:
	buffer_load_dword v77, off, s[24:27], 0 offset:80 ; 4-byte Folded Reload
	buffer_load_dword v78, off, s[24:27], 0 offset:84 ; 4-byte Folded Reload
	buffer_load_dword v79, off, s[24:27], 0 offset:88 ; 4-byte Folded Reload
	buffer_load_dword v80, off, s[24:27], 0 offset:92 ; 4-byte Folded Reload
	v_mov_b32_e32 v93, 27
	s_waitcnt vmcnt(0)
	ds_write2_b64 v0, v[77:78], v[79:80] offset0:56 offset1:57
	buffer_load_dword v77, off, s[24:27], 0 offset:64 ; 4-byte Folded Reload
	buffer_load_dword v78, off, s[24:27], 0 offset:68 ; 4-byte Folded Reload
	buffer_load_dword v79, off, s[24:27], 0 offset:72 ; 4-byte Folded Reload
	buffer_load_dword v80, off, s[24:27], 0 offset:76 ; 4-byte Folded Reload
	s_waitcnt vmcnt(0)
	ds_write2_b64 v0, v[77:78], v[79:80] offset0:58 offset1:59
	buffer_load_dword v77, off, s[24:27], 0 offset:48 ; 4-byte Folded Reload
	buffer_load_dword v78, off, s[24:27], 0 offset:52 ; 4-byte Folded Reload
	buffer_load_dword v79, off, s[24:27], 0 offset:56 ; 4-byte Folded Reload
	buffer_load_dword v80, off, s[24:27], 0 offset:60 ; 4-byte Folded Reload
	;; [unrolled: 6-line block ×4, first 2 shown]
	s_waitcnt vmcnt(0)
	ds_write2_b64 v0, v[77:78], v[79:80] offset0:64 offset1:65
	ds_write2_b64 v0, v[81:82], v[83:84] offset0:66 offset1:67
	;; [unrolled: 1-line block ×5, first 2 shown]
	buffer_load_dword v77, off, s[24:27], 0 ; 4-byte Folded Reload
	buffer_load_dword v78, off, s[24:27], 0 offset:4 ; 4-byte Folded Reload
	buffer_load_dword v79, off, s[24:27], 0 offset:8 ; 4-byte Folded Reload
	;; [unrolled: 1-line block ×3, first 2 shown]
	s_waitcnt vmcnt(0)
	ds_write2_b64 v0, v[77:78], v[79:80] offset0:74 offset1:75
	ds_write2_b64 v0, v[73:74], v[75:76] offset0:76 offset1:77
	;; [unrolled: 1-line block ×21, first 2 shown]
.LBB114_585:
	s_or_b64 exec, exec, s[0:1]
	v_cmp_lt_i32_e32 vcc, 27, v93
	s_waitcnt vmcnt(0) lgkmcnt(0)
	s_barrier
	s_and_saveexec_b64 s[0:1], vcc
	s_cbranch_execz .LBB114_587
; %bb.586:
	buffer_load_dword v97, off, s[24:27], 0 offset:96 ; 4-byte Folded Reload
	buffer_load_dword v98, off, s[24:27], 0 offset:100 ; 4-byte Folded Reload
	;; [unrolled: 1-line block ×4, first 2 shown]
	s_waitcnt vmcnt(0)
	v_mul_f64 v[89:90], v[119:120], v[99:100]
	v_mul_f64 v[91:92], v[117:118], v[99:100]
	v_fma_f64 v[89:90], v[117:118], v[97:98], -v[89:90]
	v_fma_f64 v[99:100], v[119:120], v[97:98], v[91:92]
	ds_read2_b64 v[95:98], v0 offset0:56 offset1:57
	buffer_load_dword v77, off, s[24:27], 0 offset:80 ; 4-byte Folded Reload
	buffer_load_dword v78, off, s[24:27], 0 offset:84 ; 4-byte Folded Reload
	buffer_load_dword v79, off, s[24:27], 0 offset:88 ; 4-byte Folded Reload
	buffer_load_dword v80, off, s[24:27], 0 offset:92 ; 4-byte Folded Reload
	s_waitcnt lgkmcnt(0)
	v_mul_f64 v[91:92], v[97:98], v[99:100]
	v_fma_f64 v[91:92], v[95:96], v[89:90], -v[91:92]
	v_mul_f64 v[95:96], v[95:96], v[99:100]
	v_fma_f64 v[95:96], v[97:98], v[89:90], v[95:96]
	s_waitcnt vmcnt(2)
	v_add_f64 v[77:78], v[77:78], -v[91:92]
	s_waitcnt vmcnt(0)
	v_add_f64 v[79:80], v[79:80], -v[95:96]
	buffer_store_dword v77, off, s[24:27], 0 offset:80 ; 4-byte Folded Spill
	s_nop 0
	buffer_store_dword v78, off, s[24:27], 0 offset:84 ; 4-byte Folded Spill
	buffer_store_dword v79, off, s[24:27], 0 offset:88 ; 4-byte Folded Spill
	buffer_store_dword v80, off, s[24:27], 0 offset:92 ; 4-byte Folded Spill
	ds_read2_b64 v[95:98], v0 offset0:58 offset1:59
	buffer_load_dword v77, off, s[24:27], 0 offset:64 ; 4-byte Folded Reload
	buffer_load_dword v78, off, s[24:27], 0 offset:68 ; 4-byte Folded Reload
	buffer_load_dword v79, off, s[24:27], 0 offset:72 ; 4-byte Folded Reload
	buffer_load_dword v80, off, s[24:27], 0 offset:76 ; 4-byte Folded Reload
	s_waitcnt lgkmcnt(0)
	v_mul_f64 v[91:92], v[97:98], v[99:100]
	v_fma_f64 v[91:92], v[95:96], v[89:90], -v[91:92]
	v_mul_f64 v[95:96], v[95:96], v[99:100]
	v_fma_f64 v[95:96], v[97:98], v[89:90], v[95:96]
	s_waitcnt vmcnt(2)
	v_add_f64 v[77:78], v[77:78], -v[91:92]
	s_waitcnt vmcnt(0)
	v_add_f64 v[79:80], v[79:80], -v[95:96]
	buffer_store_dword v77, off, s[24:27], 0 offset:64 ; 4-byte Folded Spill
	s_nop 0
	buffer_store_dword v78, off, s[24:27], 0 offset:68 ; 4-byte Folded Spill
	buffer_store_dword v79, off, s[24:27], 0 offset:72 ; 4-byte Folded Spill
	buffer_store_dword v80, off, s[24:27], 0 offset:76 ; 4-byte Folded Spill
	;; [unrolled: 19-line block ×5, first 2 shown]
	ds_read2_b64 v[95:98], v0 offset0:66 offset1:67
	s_waitcnt lgkmcnt(0)
	v_mul_f64 v[91:92], v[97:98], v[99:100]
	v_fma_f64 v[91:92], v[95:96], v[89:90], -v[91:92]
	v_mul_f64 v[95:96], v[95:96], v[99:100]
	v_add_f64 v[81:82], v[81:82], -v[91:92]
	v_fma_f64 v[95:96], v[97:98], v[89:90], v[95:96]
	v_add_f64 v[83:84], v[83:84], -v[95:96]
	ds_read2_b64 v[95:98], v0 offset0:68 offset1:69
	s_waitcnt lgkmcnt(0)
	v_mul_f64 v[91:92], v[97:98], v[99:100]
	v_fma_f64 v[91:92], v[95:96], v[89:90], -v[91:92]
	v_mul_f64 v[95:96], v[95:96], v[99:100]
	v_add_f64 v[85:86], v[85:86], -v[91:92]
	v_fma_f64 v[95:96], v[97:98], v[89:90], v[95:96]
	v_add_f64 v[87:88], v[87:88], -v[95:96]
	ds_read2_b64 v[95:98], v0 offset0:70 offset1:71
	s_waitcnt lgkmcnt(0)
	v_mul_f64 v[91:92], v[97:98], v[99:100]
	v_fma_f64 v[91:92], v[95:96], v[89:90], -v[91:92]
	v_mul_f64 v[95:96], v[95:96], v[99:100]
	v_add_f64 v[109:110], v[109:110], -v[91:92]
	v_fma_f64 v[95:96], v[97:98], v[89:90], v[95:96]
	v_add_f64 v[111:112], v[111:112], -v[95:96]
	ds_read2_b64 v[95:98], v0 offset0:72 offset1:73
	s_waitcnt lgkmcnt(0)
	v_mul_f64 v[91:92], v[97:98], v[99:100]
	v_fma_f64 v[91:92], v[95:96], v[89:90], -v[91:92]
	v_mul_f64 v[95:96], v[95:96], v[99:100]
	v_add_f64 v[113:114], v[113:114], -v[91:92]
	v_fma_f64 v[95:96], v[97:98], v[89:90], v[95:96]
	v_add_f64 v[115:116], v[115:116], -v[95:96]
	ds_read2_b64 v[95:98], v0 offset0:74 offset1:75
	buffer_load_dword v77, off, s[24:27], 0 ; 4-byte Folded Reload
	buffer_load_dword v78, off, s[24:27], 0 offset:4 ; 4-byte Folded Reload
	buffer_load_dword v79, off, s[24:27], 0 offset:8 ; 4-byte Folded Reload
	;; [unrolled: 1-line block ×3, first 2 shown]
	s_waitcnt lgkmcnt(0)
	v_mul_f64 v[91:92], v[97:98], v[99:100]
	v_fma_f64 v[91:92], v[95:96], v[89:90], -v[91:92]
	v_mul_f64 v[95:96], v[95:96], v[99:100]
	v_fma_f64 v[95:96], v[97:98], v[89:90], v[95:96]
	s_waitcnt vmcnt(2)
	v_add_f64 v[77:78], v[77:78], -v[91:92]
	s_waitcnt vmcnt(0)
	v_add_f64 v[79:80], v[79:80], -v[95:96]
	buffer_store_dword v77, off, s[24:27], 0 ; 4-byte Folded Spill
	s_nop 0
	buffer_store_dword v78, off, s[24:27], 0 offset:4 ; 4-byte Folded Spill
	buffer_store_dword v79, off, s[24:27], 0 offset:8 ; 4-byte Folded Spill
	;; [unrolled: 1-line block ×3, first 2 shown]
	ds_read2_b64 v[95:98], v0 offset0:76 offset1:77
	s_waitcnt lgkmcnt(0)
	v_mul_f64 v[91:92], v[97:98], v[99:100]
	v_fma_f64 v[91:92], v[95:96], v[89:90], -v[91:92]
	v_mul_f64 v[95:96], v[95:96], v[99:100]
	v_add_f64 v[73:74], v[73:74], -v[91:92]
	v_fma_f64 v[95:96], v[97:98], v[89:90], v[95:96]
	v_add_f64 v[75:76], v[75:76], -v[95:96]
	ds_read2_b64 v[95:98], v0 offset0:78 offset1:79
	s_waitcnt lgkmcnt(0)
	v_mul_f64 v[91:92], v[97:98], v[99:100]
	v_fma_f64 v[91:92], v[95:96], v[89:90], -v[91:92]
	v_mul_f64 v[95:96], v[95:96], v[99:100]
	v_add_f64 v[69:70], v[69:70], -v[91:92]
	v_fma_f64 v[95:96], v[97:98], v[89:90], v[95:96]
	v_add_f64 v[71:72], v[71:72], -v[95:96]
	;; [unrolled: 8-line block ×19, first 2 shown]
	ds_read2_b64 v[95:98], v0 offset0:114 offset1:115
	s_waitcnt lgkmcnt(0)
	v_mul_f64 v[91:92], v[97:98], v[99:100]
	v_fma_f64 v[91:92], v[95:96], v[89:90], -v[91:92]
	v_mul_f64 v[95:96], v[95:96], v[99:100]
	v_add_f64 v[121:122], v[121:122], -v[91:92]
	v_fma_f64 v[95:96], v[97:98], v[89:90], v[95:96]
	v_mov_b32_e32 v98, v90
	v_mov_b32_e32 v97, v89
	buffer_store_dword v97, off, s[24:27], 0 offset:96 ; 4-byte Folded Spill
	s_nop 0
	buffer_store_dword v98, off, s[24:27], 0 offset:100 ; 4-byte Folded Spill
	buffer_store_dword v99, off, s[24:27], 0 offset:104 ; 4-byte Folded Spill
	;; [unrolled: 1-line block ×3, first 2 shown]
	v_add_f64 v[123:124], v[123:124], -v[95:96]
.LBB114_587:
	s_or_b64 exec, exec, s[0:1]
	s_waitcnt vmcnt(0)
	s_barrier
	buffer_load_dword v77, off, s[24:27], 0 offset:80 ; 4-byte Folded Reload
	buffer_load_dword v78, off, s[24:27], 0 offset:84 ; 4-byte Folded Reload
	;; [unrolled: 1-line block ×4, first 2 shown]
	v_lshl_add_u32 v89, v93, 4, v0
	s_cmp_lt_i32 s3, 30
	s_waitcnt vmcnt(0)
	ds_write2_b64 v89, v[77:78], v[79:80] offset1:1
	s_waitcnt lgkmcnt(0)
	s_barrier
	ds_read2_b64 v[117:120], v0 offset0:56 offset1:57
	v_mov_b32_e32 v89, 28
	s_cbranch_scc1 .LBB114_590
; %bb.588:
	v_add_u32_e32 v90, 0x1d0, v0
	s_mov_b32 s0, 29
	v_mov_b32_e32 v89, 28
.LBB114_589:                            ; =>This Inner Loop Header: Depth=1
	s_waitcnt lgkmcnt(0)
	v_cmp_gt_f64_e32 vcc, 0, v[117:118]
	v_xor_b32_e32 v91, 0x80000000, v118
	ds_read2_b64 v[95:98], v90 offset1:1
	v_xor_b32_e32 v99, 0x80000000, v120
	v_add_u32_e32 v90, 16, v90
	s_waitcnt lgkmcnt(0)
	v_xor_b32_e32 v101, 0x80000000, v98
	v_cndmask_b32_e32 v92, v118, v91, vcc
	v_cmp_gt_f64_e32 vcc, 0, v[119:120]
	v_mov_b32_e32 v91, v117
	v_cndmask_b32_e32 v100, v120, v99, vcc
	v_cmp_gt_f64_e32 vcc, 0, v[95:96]
	v_mov_b32_e32 v99, v119
	v_add_f64 v[91:92], v[91:92], v[99:100]
	v_xor_b32_e32 v99, 0x80000000, v96
	v_cndmask_b32_e32 v100, v96, v99, vcc
	v_cmp_gt_f64_e32 vcc, 0, v[97:98]
	v_mov_b32_e32 v99, v95
	v_cndmask_b32_e32 v102, v98, v101, vcc
	v_mov_b32_e32 v101, v97
	v_add_f64 v[99:100], v[99:100], v[101:102]
	v_cmp_lt_f64_e32 vcc, v[91:92], v[99:100]
	v_mov_b32_e32 v91, s0
	s_add_i32 s0, s0, 1
	s_cmp_lg_u32 s3, s0
	v_cndmask_b32_e32 v118, v118, v96, vcc
	v_cndmask_b32_e32 v117, v117, v95, vcc
	;; [unrolled: 1-line block ×5, first 2 shown]
	s_cbranch_scc1 .LBB114_589
.LBB114_590:
	s_waitcnt lgkmcnt(0)
	v_cmp_eq_f64_e32 vcc, 0, v[117:118]
	v_cmp_eq_f64_e64 s[0:1], 0, v[119:120]
	s_and_b64 s[0:1], vcc, s[0:1]
	s_and_saveexec_b64 s[18:19], s[0:1]
	s_xor_b64 s[0:1], exec, s[18:19]
; %bb.591:
	v_cmp_ne_u32_e32 vcc, 0, v94
	v_cndmask_b32_e32 v94, 29, v94, vcc
; %bb.592:
	s_andn2_saveexec_b64 s[0:1], s[0:1]
	s_cbranch_execz .LBB114_598
; %bb.593:
	v_cmp_ngt_f64_e64 s[18:19], |v[117:118]|, |v[119:120]|
	s_and_saveexec_b64 s[20:21], s[18:19]
	s_xor_b64 s[18:19], exec, s[20:21]
	s_cbranch_execz .LBB114_595
; %bb.594:
	v_div_scale_f64 v[90:91], s[20:21], v[119:120], v[119:120], v[117:118]
	v_rcp_f64_e32 v[95:96], v[90:91]
	v_fma_f64 v[97:98], -v[90:91], v[95:96], 1.0
	v_fma_f64 v[95:96], v[95:96], v[97:98], v[95:96]
	v_div_scale_f64 v[97:98], vcc, v[117:118], v[119:120], v[117:118]
	v_fma_f64 v[99:100], -v[90:91], v[95:96], 1.0
	v_fma_f64 v[95:96], v[95:96], v[99:100], v[95:96]
	v_mul_f64 v[99:100], v[97:98], v[95:96]
	v_fma_f64 v[90:91], -v[90:91], v[99:100], v[97:98]
	v_div_fmas_f64 v[90:91], v[90:91], v[95:96], v[99:100]
	v_div_fixup_f64 v[90:91], v[90:91], v[119:120], v[117:118]
	v_fma_f64 v[95:96], v[117:118], v[90:91], v[119:120]
	v_div_scale_f64 v[97:98], s[20:21], v[95:96], v[95:96], 1.0
	v_div_scale_f64 v[103:104], vcc, 1.0, v[95:96], 1.0
	v_rcp_f64_e32 v[99:100], v[97:98]
	v_fma_f64 v[101:102], -v[97:98], v[99:100], 1.0
	v_fma_f64 v[99:100], v[99:100], v[101:102], v[99:100]
	v_fma_f64 v[101:102], -v[97:98], v[99:100], 1.0
	v_fma_f64 v[99:100], v[99:100], v[101:102], v[99:100]
	v_mul_f64 v[101:102], v[103:104], v[99:100]
	v_fma_f64 v[97:98], -v[97:98], v[101:102], v[103:104]
	v_div_fmas_f64 v[97:98], v[97:98], v[99:100], v[101:102]
	v_div_fixup_f64 v[119:120], v[97:98], v[95:96], 1.0
	v_mul_f64 v[117:118], v[90:91], v[119:120]
	v_xor_b32_e32 v120, 0x80000000, v120
.LBB114_595:
	s_andn2_saveexec_b64 s[18:19], s[18:19]
	s_cbranch_execz .LBB114_597
; %bb.596:
	v_div_scale_f64 v[90:91], s[20:21], v[117:118], v[117:118], v[119:120]
	v_rcp_f64_e32 v[95:96], v[90:91]
	v_fma_f64 v[97:98], -v[90:91], v[95:96], 1.0
	v_fma_f64 v[95:96], v[95:96], v[97:98], v[95:96]
	v_div_scale_f64 v[97:98], vcc, v[119:120], v[117:118], v[119:120]
	v_fma_f64 v[99:100], -v[90:91], v[95:96], 1.0
	v_fma_f64 v[95:96], v[95:96], v[99:100], v[95:96]
	v_mul_f64 v[99:100], v[97:98], v[95:96]
	v_fma_f64 v[90:91], -v[90:91], v[99:100], v[97:98]
	v_div_fmas_f64 v[90:91], v[90:91], v[95:96], v[99:100]
	v_div_fixup_f64 v[90:91], v[90:91], v[117:118], v[119:120]
	v_fma_f64 v[95:96], v[119:120], v[90:91], v[117:118]
	v_div_scale_f64 v[97:98], s[20:21], v[95:96], v[95:96], 1.0
	v_div_scale_f64 v[103:104], vcc, 1.0, v[95:96], 1.0
	v_rcp_f64_e32 v[99:100], v[97:98]
	v_fma_f64 v[101:102], -v[97:98], v[99:100], 1.0
	v_fma_f64 v[99:100], v[99:100], v[101:102], v[99:100]
	v_fma_f64 v[101:102], -v[97:98], v[99:100], 1.0
	v_fma_f64 v[99:100], v[99:100], v[101:102], v[99:100]
	v_mul_f64 v[101:102], v[103:104], v[99:100]
	v_fma_f64 v[97:98], -v[97:98], v[101:102], v[103:104]
	v_div_fmas_f64 v[97:98], v[97:98], v[99:100], v[101:102]
	v_div_fixup_f64 v[117:118], v[97:98], v[95:96], 1.0
	v_mul_f64 v[119:120], v[90:91], -v[117:118]
.LBB114_597:
	s_or_b64 exec, exec, s[18:19]
.LBB114_598:
	s_or_b64 exec, exec, s[0:1]
	v_cmp_ne_u32_e32 vcc, v93, v89
	s_and_saveexec_b64 s[0:1], vcc
	s_xor_b64 s[0:1], exec, s[0:1]
	s_cbranch_execz .LBB114_604
; %bb.599:
	v_cmp_eq_u32_e32 vcc, 28, v93
	s_and_saveexec_b64 s[18:19], vcc
	s_cbranch_execz .LBB114_603
; %bb.600:
	v_cmp_ne_u32_e32 vcc, 28, v89
	s_xor_b64 s[20:21], s[6:7], -1
	s_and_b64 s[22:23], s[20:21], vcc
	s_and_saveexec_b64 s[20:21], s[22:23]
	s_cbranch_execz .LBB114_602
; %bb.601:
	v_mov_b32_e32 v77, v81
	v_mov_b32_e32 v78, v82
	;; [unrolled: 1-line block ×4, first 2 shown]
	buffer_load_dword v81, off, s[24:27], 0 offset:480 ; 4-byte Folded Reload
	buffer_load_dword v82, off, s[24:27], 0 offset:484 ; 4-byte Folded Reload
	v_ashrrev_i32_e32 v90, 31, v89
	v_lshlrev_b64 v[90:91], 2, v[89:90]
	s_waitcnt vmcnt(1)
	v_add_co_u32_e32 v90, vcc, v81, v90
	s_waitcnt vmcnt(0)
	v_addc_co_u32_e32 v91, vcc, v82, v91, vcc
	global_load_dword v92, v[90:91], off
	global_load_dword v93, v[81:82], off offset:112
	s_waitcnt vmcnt(1)
	global_store_dword v[81:82], v92, off offset:112
	v_mov_b32_e32 v84, v80
	v_mov_b32_e32 v83, v79
	;; [unrolled: 1-line block ×4, first 2 shown]
	s_waitcnt vmcnt(1)
	global_store_dword v[90:91], v93, off
.LBB114_602:
	s_or_b64 exec, exec, s[20:21]
	v_mov_b32_e32 v93, v89
	v_mov_b32_e32 v127, v89
.LBB114_603:
	s_or_b64 exec, exec, s[18:19]
.LBB114_604:
	s_andn2_saveexec_b64 s[0:1], s[0:1]
	s_cbranch_execz .LBB114_606
; %bb.605:
	buffer_load_dword v77, off, s[24:27], 0 offset:64 ; 4-byte Folded Reload
	buffer_load_dword v78, off, s[24:27], 0 offset:68 ; 4-byte Folded Reload
	buffer_load_dword v79, off, s[24:27], 0 offset:72 ; 4-byte Folded Reload
	buffer_load_dword v80, off, s[24:27], 0 offset:76 ; 4-byte Folded Reload
	v_mov_b32_e32 v93, 28
	s_waitcnt vmcnt(0)
	ds_write2_b64 v0, v[77:78], v[79:80] offset0:58 offset1:59
	buffer_load_dword v77, off, s[24:27], 0 offset:48 ; 4-byte Folded Reload
	buffer_load_dword v78, off, s[24:27], 0 offset:52 ; 4-byte Folded Reload
	buffer_load_dword v79, off, s[24:27], 0 offset:56 ; 4-byte Folded Reload
	buffer_load_dword v80, off, s[24:27], 0 offset:60 ; 4-byte Folded Reload
	s_waitcnt vmcnt(0)
	ds_write2_b64 v0, v[77:78], v[79:80] offset0:60 offset1:61
	buffer_load_dword v77, off, s[24:27], 0 offset:32 ; 4-byte Folded Reload
	buffer_load_dword v78, off, s[24:27], 0 offset:36 ; 4-byte Folded Reload
	buffer_load_dword v79, off, s[24:27], 0 offset:40 ; 4-byte Folded Reload
	buffer_load_dword v80, off, s[24:27], 0 offset:44 ; 4-byte Folded Reload
	;; [unrolled: 6-line block ×3, first 2 shown]
	s_waitcnt vmcnt(0)
	ds_write2_b64 v0, v[77:78], v[79:80] offset0:64 offset1:65
	ds_write2_b64 v0, v[81:82], v[83:84] offset0:66 offset1:67
	;; [unrolled: 1-line block ×5, first 2 shown]
	buffer_load_dword v77, off, s[24:27], 0 ; 4-byte Folded Reload
	buffer_load_dword v78, off, s[24:27], 0 offset:4 ; 4-byte Folded Reload
	buffer_load_dword v79, off, s[24:27], 0 offset:8 ; 4-byte Folded Reload
	;; [unrolled: 1-line block ×3, first 2 shown]
	s_waitcnt vmcnt(0)
	ds_write2_b64 v0, v[77:78], v[79:80] offset0:74 offset1:75
	ds_write2_b64 v0, v[73:74], v[75:76] offset0:76 offset1:77
	ds_write2_b64 v0, v[69:70], v[71:72] offset0:78 offset1:79
	ds_write2_b64 v0, v[65:66], v[67:68] offset0:80 offset1:81
	ds_write2_b64 v0, v[61:62], v[63:64] offset0:82 offset1:83
	ds_write2_b64 v0, v[57:58], v[59:60] offset0:84 offset1:85
	ds_write2_b64 v0, v[53:54], v[55:56] offset0:86 offset1:87
	ds_write2_b64 v0, v[49:50], v[51:52] offset0:88 offset1:89
	ds_write2_b64 v0, v[45:46], v[47:48] offset0:90 offset1:91
	ds_write2_b64 v0, v[41:42], v[43:44] offset0:92 offset1:93
	ds_write2_b64 v0, v[37:38], v[39:40] offset0:94 offset1:95
	ds_write2_b64 v0, v[33:34], v[35:36] offset0:96 offset1:97
	ds_write2_b64 v0, v[29:30], v[31:32] offset0:98 offset1:99
	ds_write2_b64 v0, v[25:26], v[27:28] offset0:100 offset1:101
	ds_write2_b64 v0, v[21:22], v[23:24] offset0:102 offset1:103
	ds_write2_b64 v0, v[17:18], v[19:20] offset0:104 offset1:105
	ds_write2_b64 v0, v[13:14], v[15:16] offset0:106 offset1:107
	ds_write2_b64 v0, v[9:10], v[11:12] offset0:108 offset1:109
	ds_write2_b64 v0, v[5:6], v[7:8] offset0:110 offset1:111
	ds_write2_b64 v0, v[1:2], v[3:4] offset0:112 offset1:113
	ds_write2_b64 v0, v[121:122], v[123:124] offset0:114 offset1:115
.LBB114_606:
	s_or_b64 exec, exec, s[0:1]
	v_cmp_lt_i32_e32 vcc, 28, v93
	s_waitcnt vmcnt(0) lgkmcnt(0)
	s_barrier
	s_and_saveexec_b64 s[0:1], vcc
	s_cbranch_execz .LBB114_608
; %bb.607:
	buffer_load_dword v97, off, s[24:27], 0 offset:80 ; 4-byte Folded Reload
	buffer_load_dword v98, off, s[24:27], 0 offset:84 ; 4-byte Folded Reload
	;; [unrolled: 1-line block ×4, first 2 shown]
	s_waitcnt vmcnt(0)
	v_mul_f64 v[89:90], v[119:120], v[99:100]
	v_mul_f64 v[91:92], v[117:118], v[99:100]
	v_fma_f64 v[89:90], v[117:118], v[97:98], -v[89:90]
	v_fma_f64 v[99:100], v[119:120], v[97:98], v[91:92]
	ds_read2_b64 v[95:98], v0 offset0:58 offset1:59
	buffer_load_dword v77, off, s[24:27], 0 offset:64 ; 4-byte Folded Reload
	buffer_load_dword v78, off, s[24:27], 0 offset:68 ; 4-byte Folded Reload
	buffer_load_dword v79, off, s[24:27], 0 offset:72 ; 4-byte Folded Reload
	buffer_load_dword v80, off, s[24:27], 0 offset:76 ; 4-byte Folded Reload
	s_waitcnt lgkmcnt(0)
	v_mul_f64 v[91:92], v[97:98], v[99:100]
	v_fma_f64 v[91:92], v[95:96], v[89:90], -v[91:92]
	v_mul_f64 v[95:96], v[95:96], v[99:100]
	v_fma_f64 v[95:96], v[97:98], v[89:90], v[95:96]
	s_waitcnt vmcnt(2)
	v_add_f64 v[77:78], v[77:78], -v[91:92]
	s_waitcnt vmcnt(0)
	v_add_f64 v[79:80], v[79:80], -v[95:96]
	buffer_store_dword v77, off, s[24:27], 0 offset:64 ; 4-byte Folded Spill
	s_nop 0
	buffer_store_dword v78, off, s[24:27], 0 offset:68 ; 4-byte Folded Spill
	buffer_store_dword v79, off, s[24:27], 0 offset:72 ; 4-byte Folded Spill
	buffer_store_dword v80, off, s[24:27], 0 offset:76 ; 4-byte Folded Spill
	ds_read2_b64 v[95:98], v0 offset0:60 offset1:61
	buffer_load_dword v77, off, s[24:27], 0 offset:48 ; 4-byte Folded Reload
	buffer_load_dword v78, off, s[24:27], 0 offset:52 ; 4-byte Folded Reload
	buffer_load_dword v79, off, s[24:27], 0 offset:56 ; 4-byte Folded Reload
	buffer_load_dword v80, off, s[24:27], 0 offset:60 ; 4-byte Folded Reload
	s_waitcnt lgkmcnt(0)
	v_mul_f64 v[91:92], v[97:98], v[99:100]
	v_fma_f64 v[91:92], v[95:96], v[89:90], -v[91:92]
	v_mul_f64 v[95:96], v[95:96], v[99:100]
	v_fma_f64 v[95:96], v[97:98], v[89:90], v[95:96]
	s_waitcnt vmcnt(2)
	v_add_f64 v[77:78], v[77:78], -v[91:92]
	s_waitcnt vmcnt(0)
	v_add_f64 v[79:80], v[79:80], -v[95:96]
	buffer_store_dword v77, off, s[24:27], 0 offset:48 ; 4-byte Folded Spill
	s_nop 0
	buffer_store_dword v78, off, s[24:27], 0 offset:52 ; 4-byte Folded Spill
	buffer_store_dword v79, off, s[24:27], 0 offset:56 ; 4-byte Folded Spill
	buffer_store_dword v80, off, s[24:27], 0 offset:60 ; 4-byte Folded Spill
	;; [unrolled: 19-line block ×4, first 2 shown]
	ds_read2_b64 v[95:98], v0 offset0:66 offset1:67
	s_waitcnt lgkmcnt(0)
	v_mul_f64 v[91:92], v[97:98], v[99:100]
	v_fma_f64 v[91:92], v[95:96], v[89:90], -v[91:92]
	v_mul_f64 v[95:96], v[95:96], v[99:100]
	v_add_f64 v[81:82], v[81:82], -v[91:92]
	v_fma_f64 v[95:96], v[97:98], v[89:90], v[95:96]
	v_add_f64 v[83:84], v[83:84], -v[95:96]
	ds_read2_b64 v[95:98], v0 offset0:68 offset1:69
	s_waitcnt lgkmcnt(0)
	v_mul_f64 v[91:92], v[97:98], v[99:100]
	v_fma_f64 v[91:92], v[95:96], v[89:90], -v[91:92]
	v_mul_f64 v[95:96], v[95:96], v[99:100]
	v_add_f64 v[85:86], v[85:86], -v[91:92]
	v_fma_f64 v[95:96], v[97:98], v[89:90], v[95:96]
	v_add_f64 v[87:88], v[87:88], -v[95:96]
	;; [unrolled: 8-line block ×4, first 2 shown]
	ds_read2_b64 v[95:98], v0 offset0:74 offset1:75
	buffer_load_dword v77, off, s[24:27], 0 ; 4-byte Folded Reload
	buffer_load_dword v78, off, s[24:27], 0 offset:4 ; 4-byte Folded Reload
	buffer_load_dword v79, off, s[24:27], 0 offset:8 ; 4-byte Folded Reload
	;; [unrolled: 1-line block ×3, first 2 shown]
	s_waitcnt lgkmcnt(0)
	v_mul_f64 v[91:92], v[97:98], v[99:100]
	v_fma_f64 v[91:92], v[95:96], v[89:90], -v[91:92]
	v_mul_f64 v[95:96], v[95:96], v[99:100]
	v_fma_f64 v[95:96], v[97:98], v[89:90], v[95:96]
	s_waitcnt vmcnt(2)
	v_add_f64 v[77:78], v[77:78], -v[91:92]
	s_waitcnt vmcnt(0)
	v_add_f64 v[79:80], v[79:80], -v[95:96]
	buffer_store_dword v77, off, s[24:27], 0 ; 4-byte Folded Spill
	s_nop 0
	buffer_store_dword v78, off, s[24:27], 0 offset:4 ; 4-byte Folded Spill
	buffer_store_dword v79, off, s[24:27], 0 offset:8 ; 4-byte Folded Spill
	;; [unrolled: 1-line block ×3, first 2 shown]
	ds_read2_b64 v[95:98], v0 offset0:76 offset1:77
	s_waitcnt lgkmcnt(0)
	v_mul_f64 v[91:92], v[97:98], v[99:100]
	v_fma_f64 v[91:92], v[95:96], v[89:90], -v[91:92]
	v_mul_f64 v[95:96], v[95:96], v[99:100]
	v_add_f64 v[73:74], v[73:74], -v[91:92]
	v_fma_f64 v[95:96], v[97:98], v[89:90], v[95:96]
	v_add_f64 v[75:76], v[75:76], -v[95:96]
	ds_read2_b64 v[95:98], v0 offset0:78 offset1:79
	s_waitcnt lgkmcnt(0)
	v_mul_f64 v[91:92], v[97:98], v[99:100]
	v_fma_f64 v[91:92], v[95:96], v[89:90], -v[91:92]
	v_mul_f64 v[95:96], v[95:96], v[99:100]
	v_add_f64 v[69:70], v[69:70], -v[91:92]
	v_fma_f64 v[95:96], v[97:98], v[89:90], v[95:96]
	v_add_f64 v[71:72], v[71:72], -v[95:96]
	;; [unrolled: 8-line block ×19, first 2 shown]
	ds_read2_b64 v[95:98], v0 offset0:114 offset1:115
	s_waitcnt lgkmcnt(0)
	v_mul_f64 v[91:92], v[97:98], v[99:100]
	v_fma_f64 v[91:92], v[95:96], v[89:90], -v[91:92]
	v_mul_f64 v[95:96], v[95:96], v[99:100]
	v_add_f64 v[121:122], v[121:122], -v[91:92]
	v_fma_f64 v[95:96], v[97:98], v[89:90], v[95:96]
	v_mov_b32_e32 v98, v90
	v_mov_b32_e32 v97, v89
	buffer_store_dword v97, off, s[24:27], 0 offset:80 ; 4-byte Folded Spill
	s_nop 0
	buffer_store_dword v98, off, s[24:27], 0 offset:84 ; 4-byte Folded Spill
	buffer_store_dword v99, off, s[24:27], 0 offset:88 ; 4-byte Folded Spill
	;; [unrolled: 1-line block ×3, first 2 shown]
	v_add_f64 v[123:124], v[123:124], -v[95:96]
.LBB114_608:
	s_or_b64 exec, exec, s[0:1]
	s_waitcnt vmcnt(0)
	s_barrier
	buffer_load_dword v77, off, s[24:27], 0 offset:64 ; 4-byte Folded Reload
	buffer_load_dword v78, off, s[24:27], 0 offset:68 ; 4-byte Folded Reload
	;; [unrolled: 1-line block ×4, first 2 shown]
	v_lshl_add_u32 v89, v93, 4, v0
	s_cmp_lt_i32 s3, 31
	s_waitcnt vmcnt(0)
	ds_write2_b64 v89, v[77:78], v[79:80] offset1:1
	s_waitcnt lgkmcnt(0)
	s_barrier
	ds_read2_b64 v[117:120], v0 offset0:58 offset1:59
	v_mov_b32_e32 v89, 29
	s_cbranch_scc1 .LBB114_611
; %bb.609:
	v_add_u32_e32 v90, 0x1e0, v0
	s_mov_b32 s0, 30
	v_mov_b32_e32 v89, 29
.LBB114_610:                            ; =>This Inner Loop Header: Depth=1
	s_waitcnt lgkmcnt(0)
	v_cmp_gt_f64_e32 vcc, 0, v[117:118]
	v_xor_b32_e32 v91, 0x80000000, v118
	ds_read2_b64 v[95:98], v90 offset1:1
	v_xor_b32_e32 v99, 0x80000000, v120
	v_add_u32_e32 v90, 16, v90
	s_waitcnt lgkmcnt(0)
	v_xor_b32_e32 v101, 0x80000000, v98
	v_cndmask_b32_e32 v92, v118, v91, vcc
	v_cmp_gt_f64_e32 vcc, 0, v[119:120]
	v_mov_b32_e32 v91, v117
	v_cndmask_b32_e32 v100, v120, v99, vcc
	v_cmp_gt_f64_e32 vcc, 0, v[95:96]
	v_mov_b32_e32 v99, v119
	v_add_f64 v[91:92], v[91:92], v[99:100]
	v_xor_b32_e32 v99, 0x80000000, v96
	v_cndmask_b32_e32 v100, v96, v99, vcc
	v_cmp_gt_f64_e32 vcc, 0, v[97:98]
	v_mov_b32_e32 v99, v95
	v_cndmask_b32_e32 v102, v98, v101, vcc
	v_mov_b32_e32 v101, v97
	v_add_f64 v[99:100], v[99:100], v[101:102]
	v_cmp_lt_f64_e32 vcc, v[91:92], v[99:100]
	v_mov_b32_e32 v91, s0
	s_add_i32 s0, s0, 1
	s_cmp_lg_u32 s3, s0
	v_cndmask_b32_e32 v118, v118, v96, vcc
	v_cndmask_b32_e32 v117, v117, v95, vcc
	;; [unrolled: 1-line block ×5, first 2 shown]
	s_cbranch_scc1 .LBB114_610
.LBB114_611:
	s_waitcnt lgkmcnt(0)
	v_cmp_eq_f64_e32 vcc, 0, v[117:118]
	v_cmp_eq_f64_e64 s[0:1], 0, v[119:120]
	s_and_b64 s[0:1], vcc, s[0:1]
	s_and_saveexec_b64 s[18:19], s[0:1]
	s_xor_b64 s[0:1], exec, s[18:19]
; %bb.612:
	v_cmp_ne_u32_e32 vcc, 0, v94
	v_cndmask_b32_e32 v94, 30, v94, vcc
; %bb.613:
	s_andn2_saveexec_b64 s[0:1], s[0:1]
	s_cbranch_execz .LBB114_619
; %bb.614:
	v_cmp_ngt_f64_e64 s[18:19], |v[117:118]|, |v[119:120]|
	s_and_saveexec_b64 s[20:21], s[18:19]
	s_xor_b64 s[18:19], exec, s[20:21]
	s_cbranch_execz .LBB114_616
; %bb.615:
	v_div_scale_f64 v[90:91], s[20:21], v[119:120], v[119:120], v[117:118]
	v_rcp_f64_e32 v[95:96], v[90:91]
	v_fma_f64 v[97:98], -v[90:91], v[95:96], 1.0
	v_fma_f64 v[95:96], v[95:96], v[97:98], v[95:96]
	v_div_scale_f64 v[97:98], vcc, v[117:118], v[119:120], v[117:118]
	v_fma_f64 v[99:100], -v[90:91], v[95:96], 1.0
	v_fma_f64 v[95:96], v[95:96], v[99:100], v[95:96]
	v_mul_f64 v[99:100], v[97:98], v[95:96]
	v_fma_f64 v[90:91], -v[90:91], v[99:100], v[97:98]
	v_div_fmas_f64 v[90:91], v[90:91], v[95:96], v[99:100]
	v_div_fixup_f64 v[90:91], v[90:91], v[119:120], v[117:118]
	v_fma_f64 v[95:96], v[117:118], v[90:91], v[119:120]
	v_div_scale_f64 v[97:98], s[20:21], v[95:96], v[95:96], 1.0
	v_div_scale_f64 v[103:104], vcc, 1.0, v[95:96], 1.0
	v_rcp_f64_e32 v[99:100], v[97:98]
	v_fma_f64 v[101:102], -v[97:98], v[99:100], 1.0
	v_fma_f64 v[99:100], v[99:100], v[101:102], v[99:100]
	v_fma_f64 v[101:102], -v[97:98], v[99:100], 1.0
	v_fma_f64 v[99:100], v[99:100], v[101:102], v[99:100]
	v_mul_f64 v[101:102], v[103:104], v[99:100]
	v_fma_f64 v[97:98], -v[97:98], v[101:102], v[103:104]
	v_div_fmas_f64 v[97:98], v[97:98], v[99:100], v[101:102]
	v_div_fixup_f64 v[119:120], v[97:98], v[95:96], 1.0
	v_mul_f64 v[117:118], v[90:91], v[119:120]
	v_xor_b32_e32 v120, 0x80000000, v120
.LBB114_616:
	s_andn2_saveexec_b64 s[18:19], s[18:19]
	s_cbranch_execz .LBB114_618
; %bb.617:
	v_div_scale_f64 v[90:91], s[20:21], v[117:118], v[117:118], v[119:120]
	v_rcp_f64_e32 v[95:96], v[90:91]
	v_fma_f64 v[97:98], -v[90:91], v[95:96], 1.0
	v_fma_f64 v[95:96], v[95:96], v[97:98], v[95:96]
	v_div_scale_f64 v[97:98], vcc, v[119:120], v[117:118], v[119:120]
	v_fma_f64 v[99:100], -v[90:91], v[95:96], 1.0
	v_fma_f64 v[95:96], v[95:96], v[99:100], v[95:96]
	v_mul_f64 v[99:100], v[97:98], v[95:96]
	v_fma_f64 v[90:91], -v[90:91], v[99:100], v[97:98]
	v_div_fmas_f64 v[90:91], v[90:91], v[95:96], v[99:100]
	v_div_fixup_f64 v[90:91], v[90:91], v[117:118], v[119:120]
	v_fma_f64 v[95:96], v[119:120], v[90:91], v[117:118]
	v_div_scale_f64 v[97:98], s[20:21], v[95:96], v[95:96], 1.0
	v_div_scale_f64 v[103:104], vcc, 1.0, v[95:96], 1.0
	v_rcp_f64_e32 v[99:100], v[97:98]
	v_fma_f64 v[101:102], -v[97:98], v[99:100], 1.0
	v_fma_f64 v[99:100], v[99:100], v[101:102], v[99:100]
	v_fma_f64 v[101:102], -v[97:98], v[99:100], 1.0
	v_fma_f64 v[99:100], v[99:100], v[101:102], v[99:100]
	v_mul_f64 v[101:102], v[103:104], v[99:100]
	v_fma_f64 v[97:98], -v[97:98], v[101:102], v[103:104]
	v_div_fmas_f64 v[97:98], v[97:98], v[99:100], v[101:102]
	v_div_fixup_f64 v[117:118], v[97:98], v[95:96], 1.0
	v_mul_f64 v[119:120], v[90:91], -v[117:118]
.LBB114_618:
	s_or_b64 exec, exec, s[18:19]
.LBB114_619:
	s_or_b64 exec, exec, s[0:1]
	v_cmp_ne_u32_e32 vcc, v93, v89
	s_and_saveexec_b64 s[0:1], vcc
	s_xor_b64 s[0:1], exec, s[0:1]
	s_cbranch_execz .LBB114_625
; %bb.620:
	v_cmp_eq_u32_e32 vcc, 29, v93
	s_and_saveexec_b64 s[18:19], vcc
	s_cbranch_execz .LBB114_624
; %bb.621:
	v_cmp_ne_u32_e32 vcc, 29, v89
	s_xor_b64 s[20:21], s[6:7], -1
	s_and_b64 s[22:23], s[20:21], vcc
	s_and_saveexec_b64 s[20:21], s[22:23]
	s_cbranch_execz .LBB114_623
; %bb.622:
	v_mov_b32_e32 v77, v81
	v_mov_b32_e32 v78, v82
	;; [unrolled: 1-line block ×4, first 2 shown]
	buffer_load_dword v81, off, s[24:27], 0 offset:480 ; 4-byte Folded Reload
	buffer_load_dword v82, off, s[24:27], 0 offset:484 ; 4-byte Folded Reload
	v_ashrrev_i32_e32 v90, 31, v89
	v_lshlrev_b64 v[90:91], 2, v[89:90]
	s_waitcnt vmcnt(1)
	v_add_co_u32_e32 v90, vcc, v81, v90
	s_waitcnt vmcnt(0)
	v_addc_co_u32_e32 v91, vcc, v82, v91, vcc
	global_load_dword v92, v[90:91], off
	global_load_dword v93, v[81:82], off offset:116
	s_waitcnt vmcnt(1)
	global_store_dword v[81:82], v92, off offset:116
	v_mov_b32_e32 v84, v80
	v_mov_b32_e32 v83, v79
	;; [unrolled: 1-line block ×4, first 2 shown]
	s_waitcnt vmcnt(1)
	global_store_dword v[90:91], v93, off
.LBB114_623:
	s_or_b64 exec, exec, s[20:21]
	v_mov_b32_e32 v93, v89
	v_mov_b32_e32 v127, v89
.LBB114_624:
	s_or_b64 exec, exec, s[18:19]
.LBB114_625:
	s_andn2_saveexec_b64 s[0:1], s[0:1]
	s_cbranch_execz .LBB114_627
; %bb.626:
	buffer_load_dword v77, off, s[24:27], 0 offset:48 ; 4-byte Folded Reload
	buffer_load_dword v78, off, s[24:27], 0 offset:52 ; 4-byte Folded Reload
	;; [unrolled: 1-line block ×4, first 2 shown]
	v_mov_b32_e32 v93, 29
	s_waitcnt vmcnt(0)
	ds_write2_b64 v0, v[77:78], v[79:80] offset0:60 offset1:61
	buffer_load_dword v77, off, s[24:27], 0 offset:32 ; 4-byte Folded Reload
	buffer_load_dword v78, off, s[24:27], 0 offset:36 ; 4-byte Folded Reload
	;; [unrolled: 1-line block ×4, first 2 shown]
	s_waitcnt vmcnt(0)
	ds_write2_b64 v0, v[77:78], v[79:80] offset0:62 offset1:63
	buffer_load_dword v77, off, s[24:27], 0 offset:16 ; 4-byte Folded Reload
	buffer_load_dword v78, off, s[24:27], 0 offset:20 ; 4-byte Folded Reload
	;; [unrolled: 1-line block ×4, first 2 shown]
	s_waitcnt vmcnt(0)
	ds_write2_b64 v0, v[77:78], v[79:80] offset0:64 offset1:65
	ds_write2_b64 v0, v[81:82], v[83:84] offset0:66 offset1:67
	;; [unrolled: 1-line block ×5, first 2 shown]
	buffer_load_dword v77, off, s[24:27], 0 ; 4-byte Folded Reload
	buffer_load_dword v78, off, s[24:27], 0 offset:4 ; 4-byte Folded Reload
	buffer_load_dword v79, off, s[24:27], 0 offset:8 ; 4-byte Folded Reload
	;; [unrolled: 1-line block ×3, first 2 shown]
	s_waitcnt vmcnt(0)
	ds_write2_b64 v0, v[77:78], v[79:80] offset0:74 offset1:75
	ds_write2_b64 v0, v[73:74], v[75:76] offset0:76 offset1:77
	;; [unrolled: 1-line block ×21, first 2 shown]
.LBB114_627:
	s_or_b64 exec, exec, s[0:1]
	v_cmp_lt_i32_e32 vcc, 29, v93
	s_waitcnt vmcnt(0) lgkmcnt(0)
	s_barrier
	s_and_saveexec_b64 s[0:1], vcc
	s_cbranch_execz .LBB114_629
; %bb.628:
	buffer_load_dword v97, off, s[24:27], 0 offset:64 ; 4-byte Folded Reload
	buffer_load_dword v98, off, s[24:27], 0 offset:68 ; 4-byte Folded Reload
	;; [unrolled: 1-line block ×4, first 2 shown]
	s_waitcnt vmcnt(0)
	v_mul_f64 v[89:90], v[119:120], v[99:100]
	v_mul_f64 v[91:92], v[117:118], v[99:100]
	v_fma_f64 v[89:90], v[117:118], v[97:98], -v[89:90]
	v_fma_f64 v[99:100], v[119:120], v[97:98], v[91:92]
	ds_read2_b64 v[95:98], v0 offset0:60 offset1:61
	buffer_load_dword v77, off, s[24:27], 0 offset:48 ; 4-byte Folded Reload
	buffer_load_dword v78, off, s[24:27], 0 offset:52 ; 4-byte Folded Reload
	buffer_load_dword v79, off, s[24:27], 0 offset:56 ; 4-byte Folded Reload
	buffer_load_dword v80, off, s[24:27], 0 offset:60 ; 4-byte Folded Reload
	s_waitcnt lgkmcnt(0)
	v_mul_f64 v[91:92], v[97:98], v[99:100]
	v_fma_f64 v[91:92], v[95:96], v[89:90], -v[91:92]
	v_mul_f64 v[95:96], v[95:96], v[99:100]
	v_fma_f64 v[95:96], v[97:98], v[89:90], v[95:96]
	s_waitcnt vmcnt(2)
	v_add_f64 v[77:78], v[77:78], -v[91:92]
	s_waitcnt vmcnt(0)
	v_add_f64 v[79:80], v[79:80], -v[95:96]
	buffer_store_dword v77, off, s[24:27], 0 offset:48 ; 4-byte Folded Spill
	s_nop 0
	buffer_store_dword v78, off, s[24:27], 0 offset:52 ; 4-byte Folded Spill
	buffer_store_dword v79, off, s[24:27], 0 offset:56 ; 4-byte Folded Spill
	buffer_store_dword v80, off, s[24:27], 0 offset:60 ; 4-byte Folded Spill
	ds_read2_b64 v[95:98], v0 offset0:62 offset1:63
	buffer_load_dword v77, off, s[24:27], 0 offset:32 ; 4-byte Folded Reload
	buffer_load_dword v78, off, s[24:27], 0 offset:36 ; 4-byte Folded Reload
	buffer_load_dword v79, off, s[24:27], 0 offset:40 ; 4-byte Folded Reload
	buffer_load_dword v80, off, s[24:27], 0 offset:44 ; 4-byte Folded Reload
	s_waitcnt lgkmcnt(0)
	v_mul_f64 v[91:92], v[97:98], v[99:100]
	v_fma_f64 v[91:92], v[95:96], v[89:90], -v[91:92]
	v_mul_f64 v[95:96], v[95:96], v[99:100]
	v_fma_f64 v[95:96], v[97:98], v[89:90], v[95:96]
	s_waitcnt vmcnt(2)
	v_add_f64 v[77:78], v[77:78], -v[91:92]
	s_waitcnt vmcnt(0)
	v_add_f64 v[79:80], v[79:80], -v[95:96]
	buffer_store_dword v77, off, s[24:27], 0 offset:32 ; 4-byte Folded Spill
	s_nop 0
	buffer_store_dword v78, off, s[24:27], 0 offset:36 ; 4-byte Folded Spill
	buffer_store_dword v79, off, s[24:27], 0 offset:40 ; 4-byte Folded Spill
	buffer_store_dword v80, off, s[24:27], 0 offset:44 ; 4-byte Folded Spill
	;; [unrolled: 19-line block ×3, first 2 shown]
	ds_read2_b64 v[95:98], v0 offset0:66 offset1:67
	s_waitcnt lgkmcnt(0)
	v_mul_f64 v[91:92], v[97:98], v[99:100]
	v_fma_f64 v[91:92], v[95:96], v[89:90], -v[91:92]
	v_mul_f64 v[95:96], v[95:96], v[99:100]
	v_add_f64 v[81:82], v[81:82], -v[91:92]
	v_fma_f64 v[95:96], v[97:98], v[89:90], v[95:96]
	v_add_f64 v[83:84], v[83:84], -v[95:96]
	ds_read2_b64 v[95:98], v0 offset0:68 offset1:69
	s_waitcnt lgkmcnt(0)
	v_mul_f64 v[91:92], v[97:98], v[99:100]
	v_fma_f64 v[91:92], v[95:96], v[89:90], -v[91:92]
	v_mul_f64 v[95:96], v[95:96], v[99:100]
	v_add_f64 v[85:86], v[85:86], -v[91:92]
	v_fma_f64 v[95:96], v[97:98], v[89:90], v[95:96]
	v_add_f64 v[87:88], v[87:88], -v[95:96]
	;; [unrolled: 8-line block ×4, first 2 shown]
	ds_read2_b64 v[95:98], v0 offset0:74 offset1:75
	buffer_load_dword v77, off, s[24:27], 0 ; 4-byte Folded Reload
	buffer_load_dword v78, off, s[24:27], 0 offset:4 ; 4-byte Folded Reload
	buffer_load_dword v79, off, s[24:27], 0 offset:8 ; 4-byte Folded Reload
	;; [unrolled: 1-line block ×3, first 2 shown]
	s_waitcnt lgkmcnt(0)
	v_mul_f64 v[91:92], v[97:98], v[99:100]
	v_fma_f64 v[91:92], v[95:96], v[89:90], -v[91:92]
	v_mul_f64 v[95:96], v[95:96], v[99:100]
	v_fma_f64 v[95:96], v[97:98], v[89:90], v[95:96]
	s_waitcnt vmcnt(2)
	v_add_f64 v[77:78], v[77:78], -v[91:92]
	s_waitcnt vmcnt(0)
	v_add_f64 v[79:80], v[79:80], -v[95:96]
	buffer_store_dword v77, off, s[24:27], 0 ; 4-byte Folded Spill
	s_nop 0
	buffer_store_dword v78, off, s[24:27], 0 offset:4 ; 4-byte Folded Spill
	buffer_store_dword v79, off, s[24:27], 0 offset:8 ; 4-byte Folded Spill
	;; [unrolled: 1-line block ×3, first 2 shown]
	ds_read2_b64 v[95:98], v0 offset0:76 offset1:77
	s_waitcnt lgkmcnt(0)
	v_mul_f64 v[91:92], v[97:98], v[99:100]
	v_fma_f64 v[91:92], v[95:96], v[89:90], -v[91:92]
	v_mul_f64 v[95:96], v[95:96], v[99:100]
	v_add_f64 v[73:74], v[73:74], -v[91:92]
	v_fma_f64 v[95:96], v[97:98], v[89:90], v[95:96]
	v_add_f64 v[75:76], v[75:76], -v[95:96]
	ds_read2_b64 v[95:98], v0 offset0:78 offset1:79
	s_waitcnt lgkmcnt(0)
	v_mul_f64 v[91:92], v[97:98], v[99:100]
	v_fma_f64 v[91:92], v[95:96], v[89:90], -v[91:92]
	v_mul_f64 v[95:96], v[95:96], v[99:100]
	v_add_f64 v[69:70], v[69:70], -v[91:92]
	v_fma_f64 v[95:96], v[97:98], v[89:90], v[95:96]
	v_add_f64 v[71:72], v[71:72], -v[95:96]
	;; [unrolled: 8-line block ×19, first 2 shown]
	ds_read2_b64 v[95:98], v0 offset0:114 offset1:115
	s_waitcnt lgkmcnt(0)
	v_mul_f64 v[91:92], v[97:98], v[99:100]
	v_fma_f64 v[91:92], v[95:96], v[89:90], -v[91:92]
	v_mul_f64 v[95:96], v[95:96], v[99:100]
	v_add_f64 v[121:122], v[121:122], -v[91:92]
	v_fma_f64 v[95:96], v[97:98], v[89:90], v[95:96]
	v_mov_b32_e32 v98, v90
	v_mov_b32_e32 v97, v89
	buffer_store_dword v97, off, s[24:27], 0 offset:64 ; 4-byte Folded Spill
	s_nop 0
	buffer_store_dword v98, off, s[24:27], 0 offset:68 ; 4-byte Folded Spill
	buffer_store_dword v99, off, s[24:27], 0 offset:72 ; 4-byte Folded Spill
	;; [unrolled: 1-line block ×3, first 2 shown]
	v_add_f64 v[123:124], v[123:124], -v[95:96]
.LBB114_629:
	s_or_b64 exec, exec, s[0:1]
	s_waitcnt vmcnt(0)
	s_barrier
	buffer_load_dword v77, off, s[24:27], 0 offset:48 ; 4-byte Folded Reload
	buffer_load_dword v78, off, s[24:27], 0 offset:52 ; 4-byte Folded Reload
	;; [unrolled: 1-line block ×4, first 2 shown]
	v_lshl_add_u32 v89, v93, 4, v0
	s_cmp_lt_i32 s3, 32
	s_waitcnt vmcnt(0)
	ds_write2_b64 v89, v[77:78], v[79:80] offset1:1
	s_waitcnt lgkmcnt(0)
	s_barrier
	ds_read2_b64 v[117:120], v0 offset0:60 offset1:61
	v_mov_b32_e32 v89, 30
	s_cbranch_scc1 .LBB114_632
; %bb.630:
	v_add_u32_e32 v90, 0x1f0, v0
	s_mov_b32 s0, 31
	v_mov_b32_e32 v89, 30
.LBB114_631:                            ; =>This Inner Loop Header: Depth=1
	s_waitcnt lgkmcnt(0)
	v_cmp_gt_f64_e32 vcc, 0, v[117:118]
	v_xor_b32_e32 v91, 0x80000000, v118
	ds_read2_b64 v[95:98], v90 offset1:1
	v_xor_b32_e32 v99, 0x80000000, v120
	v_add_u32_e32 v90, 16, v90
	s_waitcnt lgkmcnt(0)
	v_xor_b32_e32 v101, 0x80000000, v98
	v_cndmask_b32_e32 v92, v118, v91, vcc
	v_cmp_gt_f64_e32 vcc, 0, v[119:120]
	v_mov_b32_e32 v91, v117
	v_cndmask_b32_e32 v100, v120, v99, vcc
	v_cmp_gt_f64_e32 vcc, 0, v[95:96]
	v_mov_b32_e32 v99, v119
	v_add_f64 v[91:92], v[91:92], v[99:100]
	v_xor_b32_e32 v99, 0x80000000, v96
	v_cndmask_b32_e32 v100, v96, v99, vcc
	v_cmp_gt_f64_e32 vcc, 0, v[97:98]
	v_mov_b32_e32 v99, v95
	v_cndmask_b32_e32 v102, v98, v101, vcc
	v_mov_b32_e32 v101, v97
	v_add_f64 v[99:100], v[99:100], v[101:102]
	v_cmp_lt_f64_e32 vcc, v[91:92], v[99:100]
	v_mov_b32_e32 v91, s0
	s_add_i32 s0, s0, 1
	s_cmp_lg_u32 s3, s0
	v_cndmask_b32_e32 v118, v118, v96, vcc
	v_cndmask_b32_e32 v117, v117, v95, vcc
	;; [unrolled: 1-line block ×5, first 2 shown]
	s_cbranch_scc1 .LBB114_631
.LBB114_632:
	s_waitcnt lgkmcnt(0)
	v_cmp_eq_f64_e32 vcc, 0, v[117:118]
	v_cmp_eq_f64_e64 s[0:1], 0, v[119:120]
	s_and_b64 s[0:1], vcc, s[0:1]
	s_and_saveexec_b64 s[18:19], s[0:1]
	s_xor_b64 s[0:1], exec, s[18:19]
; %bb.633:
	v_cmp_ne_u32_e32 vcc, 0, v94
	v_cndmask_b32_e32 v94, 31, v94, vcc
; %bb.634:
	s_andn2_saveexec_b64 s[0:1], s[0:1]
	s_cbranch_execz .LBB114_640
; %bb.635:
	v_cmp_ngt_f64_e64 s[18:19], |v[117:118]|, |v[119:120]|
	s_and_saveexec_b64 s[20:21], s[18:19]
	s_xor_b64 s[18:19], exec, s[20:21]
	s_cbranch_execz .LBB114_637
; %bb.636:
	v_div_scale_f64 v[90:91], s[20:21], v[119:120], v[119:120], v[117:118]
	v_rcp_f64_e32 v[95:96], v[90:91]
	v_fma_f64 v[97:98], -v[90:91], v[95:96], 1.0
	v_fma_f64 v[95:96], v[95:96], v[97:98], v[95:96]
	v_div_scale_f64 v[97:98], vcc, v[117:118], v[119:120], v[117:118]
	v_fma_f64 v[99:100], -v[90:91], v[95:96], 1.0
	v_fma_f64 v[95:96], v[95:96], v[99:100], v[95:96]
	v_mul_f64 v[99:100], v[97:98], v[95:96]
	v_fma_f64 v[90:91], -v[90:91], v[99:100], v[97:98]
	v_div_fmas_f64 v[90:91], v[90:91], v[95:96], v[99:100]
	v_div_fixup_f64 v[90:91], v[90:91], v[119:120], v[117:118]
	v_fma_f64 v[95:96], v[117:118], v[90:91], v[119:120]
	v_div_scale_f64 v[97:98], s[20:21], v[95:96], v[95:96], 1.0
	v_div_scale_f64 v[103:104], vcc, 1.0, v[95:96], 1.0
	v_rcp_f64_e32 v[99:100], v[97:98]
	v_fma_f64 v[101:102], -v[97:98], v[99:100], 1.0
	v_fma_f64 v[99:100], v[99:100], v[101:102], v[99:100]
	v_fma_f64 v[101:102], -v[97:98], v[99:100], 1.0
	v_fma_f64 v[99:100], v[99:100], v[101:102], v[99:100]
	v_mul_f64 v[101:102], v[103:104], v[99:100]
	v_fma_f64 v[97:98], -v[97:98], v[101:102], v[103:104]
	v_div_fmas_f64 v[97:98], v[97:98], v[99:100], v[101:102]
	v_div_fixup_f64 v[119:120], v[97:98], v[95:96], 1.0
	v_mul_f64 v[117:118], v[90:91], v[119:120]
	v_xor_b32_e32 v120, 0x80000000, v120
.LBB114_637:
	s_andn2_saveexec_b64 s[18:19], s[18:19]
	s_cbranch_execz .LBB114_639
; %bb.638:
	v_div_scale_f64 v[90:91], s[20:21], v[117:118], v[117:118], v[119:120]
	v_rcp_f64_e32 v[95:96], v[90:91]
	v_fma_f64 v[97:98], -v[90:91], v[95:96], 1.0
	v_fma_f64 v[95:96], v[95:96], v[97:98], v[95:96]
	v_div_scale_f64 v[97:98], vcc, v[119:120], v[117:118], v[119:120]
	v_fma_f64 v[99:100], -v[90:91], v[95:96], 1.0
	v_fma_f64 v[95:96], v[95:96], v[99:100], v[95:96]
	v_mul_f64 v[99:100], v[97:98], v[95:96]
	v_fma_f64 v[90:91], -v[90:91], v[99:100], v[97:98]
	v_div_fmas_f64 v[90:91], v[90:91], v[95:96], v[99:100]
	v_div_fixup_f64 v[90:91], v[90:91], v[117:118], v[119:120]
	v_fma_f64 v[95:96], v[119:120], v[90:91], v[117:118]
	v_div_scale_f64 v[97:98], s[20:21], v[95:96], v[95:96], 1.0
	v_div_scale_f64 v[103:104], vcc, 1.0, v[95:96], 1.0
	v_rcp_f64_e32 v[99:100], v[97:98]
	v_fma_f64 v[101:102], -v[97:98], v[99:100], 1.0
	v_fma_f64 v[99:100], v[99:100], v[101:102], v[99:100]
	v_fma_f64 v[101:102], -v[97:98], v[99:100], 1.0
	v_fma_f64 v[99:100], v[99:100], v[101:102], v[99:100]
	v_mul_f64 v[101:102], v[103:104], v[99:100]
	v_fma_f64 v[97:98], -v[97:98], v[101:102], v[103:104]
	v_div_fmas_f64 v[97:98], v[97:98], v[99:100], v[101:102]
	v_div_fixup_f64 v[117:118], v[97:98], v[95:96], 1.0
	v_mul_f64 v[119:120], v[90:91], -v[117:118]
.LBB114_639:
	s_or_b64 exec, exec, s[18:19]
.LBB114_640:
	s_or_b64 exec, exec, s[0:1]
	v_cmp_ne_u32_e32 vcc, v93, v89
	s_and_saveexec_b64 s[0:1], vcc
	s_xor_b64 s[0:1], exec, s[0:1]
	s_cbranch_execz .LBB114_646
; %bb.641:
	v_cmp_eq_u32_e32 vcc, 30, v93
	s_and_saveexec_b64 s[18:19], vcc
	s_cbranch_execz .LBB114_645
; %bb.642:
	v_cmp_ne_u32_e32 vcc, 30, v89
	s_xor_b64 s[20:21], s[6:7], -1
	s_and_b64 s[22:23], s[20:21], vcc
	s_and_saveexec_b64 s[20:21], s[22:23]
	s_cbranch_execz .LBB114_644
; %bb.643:
	v_mov_b32_e32 v77, v81
	v_mov_b32_e32 v78, v82
	;; [unrolled: 1-line block ×4, first 2 shown]
	buffer_load_dword v81, off, s[24:27], 0 offset:480 ; 4-byte Folded Reload
	buffer_load_dword v82, off, s[24:27], 0 offset:484 ; 4-byte Folded Reload
	v_ashrrev_i32_e32 v90, 31, v89
	v_lshlrev_b64 v[90:91], 2, v[89:90]
	s_waitcnt vmcnt(1)
	v_add_co_u32_e32 v90, vcc, v81, v90
	s_waitcnt vmcnt(0)
	v_addc_co_u32_e32 v91, vcc, v82, v91, vcc
	global_load_dword v92, v[90:91], off
	global_load_dword v93, v[81:82], off offset:120
	s_waitcnt vmcnt(1)
	global_store_dword v[81:82], v92, off offset:120
	v_mov_b32_e32 v84, v80
	v_mov_b32_e32 v83, v79
	;; [unrolled: 1-line block ×4, first 2 shown]
	s_waitcnt vmcnt(1)
	global_store_dword v[90:91], v93, off
.LBB114_644:
	s_or_b64 exec, exec, s[20:21]
	v_mov_b32_e32 v93, v89
	v_mov_b32_e32 v127, v89
.LBB114_645:
	s_or_b64 exec, exec, s[18:19]
.LBB114_646:
	s_andn2_saveexec_b64 s[0:1], s[0:1]
	s_cbranch_execz .LBB114_648
; %bb.647:
	buffer_load_dword v77, off, s[24:27], 0 offset:32 ; 4-byte Folded Reload
	buffer_load_dword v78, off, s[24:27], 0 offset:36 ; 4-byte Folded Reload
	;; [unrolled: 1-line block ×4, first 2 shown]
	v_mov_b32_e32 v93, 30
	s_waitcnt vmcnt(0)
	ds_write2_b64 v0, v[77:78], v[79:80] offset0:62 offset1:63
	buffer_load_dword v77, off, s[24:27], 0 offset:16 ; 4-byte Folded Reload
	buffer_load_dword v78, off, s[24:27], 0 offset:20 ; 4-byte Folded Reload
	;; [unrolled: 1-line block ×4, first 2 shown]
	s_waitcnt vmcnt(0)
	ds_write2_b64 v0, v[77:78], v[79:80] offset0:64 offset1:65
	ds_write2_b64 v0, v[81:82], v[83:84] offset0:66 offset1:67
	;; [unrolled: 1-line block ×5, first 2 shown]
	buffer_load_dword v77, off, s[24:27], 0 ; 4-byte Folded Reload
	buffer_load_dword v78, off, s[24:27], 0 offset:4 ; 4-byte Folded Reload
	buffer_load_dword v79, off, s[24:27], 0 offset:8 ; 4-byte Folded Reload
	;; [unrolled: 1-line block ×3, first 2 shown]
	s_waitcnt vmcnt(0)
	ds_write2_b64 v0, v[77:78], v[79:80] offset0:74 offset1:75
	ds_write2_b64 v0, v[73:74], v[75:76] offset0:76 offset1:77
	;; [unrolled: 1-line block ×21, first 2 shown]
.LBB114_648:
	s_or_b64 exec, exec, s[0:1]
	v_cmp_lt_i32_e32 vcc, 30, v93
	s_waitcnt vmcnt(0) lgkmcnt(0)
	s_barrier
	s_and_saveexec_b64 s[0:1], vcc
	s_cbranch_execz .LBB114_650
; %bb.649:
	buffer_load_dword v97, off, s[24:27], 0 offset:48 ; 4-byte Folded Reload
	buffer_load_dword v98, off, s[24:27], 0 offset:52 ; 4-byte Folded Reload
	;; [unrolled: 1-line block ×4, first 2 shown]
	s_waitcnt vmcnt(0)
	v_mul_f64 v[89:90], v[119:120], v[99:100]
	v_mul_f64 v[91:92], v[117:118], v[99:100]
	v_fma_f64 v[89:90], v[117:118], v[97:98], -v[89:90]
	v_fma_f64 v[99:100], v[119:120], v[97:98], v[91:92]
	ds_read2_b64 v[95:98], v0 offset0:62 offset1:63
	buffer_load_dword v77, off, s[24:27], 0 offset:32 ; 4-byte Folded Reload
	buffer_load_dword v78, off, s[24:27], 0 offset:36 ; 4-byte Folded Reload
	;; [unrolled: 1-line block ×4, first 2 shown]
	s_waitcnt lgkmcnt(0)
	v_mul_f64 v[91:92], v[97:98], v[99:100]
	v_fma_f64 v[91:92], v[95:96], v[89:90], -v[91:92]
	v_mul_f64 v[95:96], v[95:96], v[99:100]
	v_fma_f64 v[95:96], v[97:98], v[89:90], v[95:96]
	s_waitcnt vmcnt(2)
	v_add_f64 v[77:78], v[77:78], -v[91:92]
	s_waitcnt vmcnt(0)
	v_add_f64 v[79:80], v[79:80], -v[95:96]
	buffer_store_dword v77, off, s[24:27], 0 offset:32 ; 4-byte Folded Spill
	s_nop 0
	buffer_store_dword v78, off, s[24:27], 0 offset:36 ; 4-byte Folded Spill
	buffer_store_dword v79, off, s[24:27], 0 offset:40 ; 4-byte Folded Spill
	;; [unrolled: 1-line block ×3, first 2 shown]
	ds_read2_b64 v[95:98], v0 offset0:64 offset1:65
	buffer_load_dword v77, off, s[24:27], 0 offset:16 ; 4-byte Folded Reload
	buffer_load_dword v78, off, s[24:27], 0 offset:20 ; 4-byte Folded Reload
	;; [unrolled: 1-line block ×4, first 2 shown]
	s_waitcnt lgkmcnt(0)
	v_mul_f64 v[91:92], v[97:98], v[99:100]
	v_fma_f64 v[91:92], v[95:96], v[89:90], -v[91:92]
	v_mul_f64 v[95:96], v[95:96], v[99:100]
	v_fma_f64 v[95:96], v[97:98], v[89:90], v[95:96]
	s_waitcnt vmcnt(2)
	v_add_f64 v[77:78], v[77:78], -v[91:92]
	s_waitcnt vmcnt(0)
	v_add_f64 v[79:80], v[79:80], -v[95:96]
	buffer_store_dword v77, off, s[24:27], 0 offset:16 ; 4-byte Folded Spill
	s_nop 0
	buffer_store_dword v78, off, s[24:27], 0 offset:20 ; 4-byte Folded Spill
	buffer_store_dword v79, off, s[24:27], 0 offset:24 ; 4-byte Folded Spill
	;; [unrolled: 1-line block ×3, first 2 shown]
	ds_read2_b64 v[95:98], v0 offset0:66 offset1:67
	s_waitcnt lgkmcnt(0)
	v_mul_f64 v[91:92], v[97:98], v[99:100]
	v_fma_f64 v[91:92], v[95:96], v[89:90], -v[91:92]
	v_mul_f64 v[95:96], v[95:96], v[99:100]
	v_add_f64 v[81:82], v[81:82], -v[91:92]
	v_fma_f64 v[95:96], v[97:98], v[89:90], v[95:96]
	v_add_f64 v[83:84], v[83:84], -v[95:96]
	ds_read2_b64 v[95:98], v0 offset0:68 offset1:69
	s_waitcnt lgkmcnt(0)
	v_mul_f64 v[91:92], v[97:98], v[99:100]
	v_fma_f64 v[91:92], v[95:96], v[89:90], -v[91:92]
	v_mul_f64 v[95:96], v[95:96], v[99:100]
	v_add_f64 v[85:86], v[85:86], -v[91:92]
	v_fma_f64 v[95:96], v[97:98], v[89:90], v[95:96]
	v_add_f64 v[87:88], v[87:88], -v[95:96]
	;; [unrolled: 8-line block ×4, first 2 shown]
	ds_read2_b64 v[95:98], v0 offset0:74 offset1:75
	buffer_load_dword v77, off, s[24:27], 0 ; 4-byte Folded Reload
	buffer_load_dword v78, off, s[24:27], 0 offset:4 ; 4-byte Folded Reload
	buffer_load_dword v79, off, s[24:27], 0 offset:8 ; 4-byte Folded Reload
	;; [unrolled: 1-line block ×3, first 2 shown]
	s_waitcnt lgkmcnt(0)
	v_mul_f64 v[91:92], v[97:98], v[99:100]
	v_fma_f64 v[91:92], v[95:96], v[89:90], -v[91:92]
	v_mul_f64 v[95:96], v[95:96], v[99:100]
	v_fma_f64 v[95:96], v[97:98], v[89:90], v[95:96]
	s_waitcnt vmcnt(2)
	v_add_f64 v[77:78], v[77:78], -v[91:92]
	s_waitcnt vmcnt(0)
	v_add_f64 v[79:80], v[79:80], -v[95:96]
	buffer_store_dword v77, off, s[24:27], 0 ; 4-byte Folded Spill
	s_nop 0
	buffer_store_dword v78, off, s[24:27], 0 offset:4 ; 4-byte Folded Spill
	buffer_store_dword v79, off, s[24:27], 0 offset:8 ; 4-byte Folded Spill
	;; [unrolled: 1-line block ×3, first 2 shown]
	ds_read2_b64 v[95:98], v0 offset0:76 offset1:77
	s_waitcnt lgkmcnt(0)
	v_mul_f64 v[91:92], v[97:98], v[99:100]
	v_fma_f64 v[91:92], v[95:96], v[89:90], -v[91:92]
	v_mul_f64 v[95:96], v[95:96], v[99:100]
	v_add_f64 v[73:74], v[73:74], -v[91:92]
	v_fma_f64 v[95:96], v[97:98], v[89:90], v[95:96]
	v_add_f64 v[75:76], v[75:76], -v[95:96]
	ds_read2_b64 v[95:98], v0 offset0:78 offset1:79
	s_waitcnt lgkmcnt(0)
	v_mul_f64 v[91:92], v[97:98], v[99:100]
	v_fma_f64 v[91:92], v[95:96], v[89:90], -v[91:92]
	v_mul_f64 v[95:96], v[95:96], v[99:100]
	v_add_f64 v[69:70], v[69:70], -v[91:92]
	v_fma_f64 v[95:96], v[97:98], v[89:90], v[95:96]
	v_add_f64 v[71:72], v[71:72], -v[95:96]
	;; [unrolled: 8-line block ×19, first 2 shown]
	ds_read2_b64 v[95:98], v0 offset0:114 offset1:115
	s_waitcnt lgkmcnt(0)
	v_mul_f64 v[91:92], v[97:98], v[99:100]
	v_fma_f64 v[91:92], v[95:96], v[89:90], -v[91:92]
	v_mul_f64 v[95:96], v[95:96], v[99:100]
	v_add_f64 v[121:122], v[121:122], -v[91:92]
	v_fma_f64 v[95:96], v[97:98], v[89:90], v[95:96]
	v_mov_b32_e32 v98, v90
	v_mov_b32_e32 v97, v89
	buffer_store_dword v97, off, s[24:27], 0 offset:48 ; 4-byte Folded Spill
	s_nop 0
	buffer_store_dword v98, off, s[24:27], 0 offset:52 ; 4-byte Folded Spill
	buffer_store_dword v99, off, s[24:27], 0 offset:56 ; 4-byte Folded Spill
	;; [unrolled: 1-line block ×3, first 2 shown]
	v_add_f64 v[123:124], v[123:124], -v[95:96]
.LBB114_650:
	s_or_b64 exec, exec, s[0:1]
	s_waitcnt vmcnt(0)
	s_barrier
	buffer_load_dword v77, off, s[24:27], 0 offset:32 ; 4-byte Folded Reload
	buffer_load_dword v78, off, s[24:27], 0 offset:36 ; 4-byte Folded Reload
	;; [unrolled: 1-line block ×4, first 2 shown]
	v_lshl_add_u32 v89, v93, 4, v0
	s_cmp_lt_i32 s3, 33
	s_waitcnt vmcnt(0)
	ds_write2_b64 v89, v[77:78], v[79:80] offset1:1
	s_waitcnt lgkmcnt(0)
	s_barrier
	ds_read2_b64 v[117:120], v0 offset0:62 offset1:63
	v_mov_b32_e32 v89, 31
	s_cbranch_scc1 .LBB114_653
; %bb.651:
	v_add_u32_e32 v90, 0x200, v0
	s_mov_b32 s0, 32
	v_mov_b32_e32 v89, 31
.LBB114_652:                            ; =>This Inner Loop Header: Depth=1
	s_waitcnt lgkmcnt(0)
	v_cmp_gt_f64_e32 vcc, 0, v[117:118]
	v_xor_b32_e32 v91, 0x80000000, v118
	ds_read2_b64 v[95:98], v90 offset1:1
	v_xor_b32_e32 v99, 0x80000000, v120
	v_add_u32_e32 v90, 16, v90
	s_waitcnt lgkmcnt(0)
	v_xor_b32_e32 v101, 0x80000000, v98
	v_cndmask_b32_e32 v92, v118, v91, vcc
	v_cmp_gt_f64_e32 vcc, 0, v[119:120]
	v_mov_b32_e32 v91, v117
	v_cndmask_b32_e32 v100, v120, v99, vcc
	v_cmp_gt_f64_e32 vcc, 0, v[95:96]
	v_mov_b32_e32 v99, v119
	v_add_f64 v[91:92], v[91:92], v[99:100]
	v_xor_b32_e32 v99, 0x80000000, v96
	v_cndmask_b32_e32 v100, v96, v99, vcc
	v_cmp_gt_f64_e32 vcc, 0, v[97:98]
	v_mov_b32_e32 v99, v95
	v_cndmask_b32_e32 v102, v98, v101, vcc
	v_mov_b32_e32 v101, v97
	v_add_f64 v[99:100], v[99:100], v[101:102]
	v_cmp_lt_f64_e32 vcc, v[91:92], v[99:100]
	v_mov_b32_e32 v91, s0
	s_add_i32 s0, s0, 1
	s_cmp_lg_u32 s3, s0
	v_cndmask_b32_e32 v118, v118, v96, vcc
	v_cndmask_b32_e32 v117, v117, v95, vcc
	;; [unrolled: 1-line block ×5, first 2 shown]
	s_cbranch_scc1 .LBB114_652
.LBB114_653:
	s_waitcnt lgkmcnt(0)
	v_cmp_eq_f64_e32 vcc, 0, v[117:118]
	v_cmp_eq_f64_e64 s[0:1], 0, v[119:120]
	s_and_b64 s[0:1], vcc, s[0:1]
	s_and_saveexec_b64 s[18:19], s[0:1]
	s_xor_b64 s[0:1], exec, s[18:19]
; %bb.654:
	v_cmp_ne_u32_e32 vcc, 0, v94
	v_cndmask_b32_e32 v94, 32, v94, vcc
; %bb.655:
	s_andn2_saveexec_b64 s[0:1], s[0:1]
	s_cbranch_execz .LBB114_661
; %bb.656:
	v_cmp_ngt_f64_e64 s[18:19], |v[117:118]|, |v[119:120]|
	s_and_saveexec_b64 s[20:21], s[18:19]
	s_xor_b64 s[18:19], exec, s[20:21]
	s_cbranch_execz .LBB114_658
; %bb.657:
	v_div_scale_f64 v[90:91], s[20:21], v[119:120], v[119:120], v[117:118]
	v_rcp_f64_e32 v[95:96], v[90:91]
	v_fma_f64 v[97:98], -v[90:91], v[95:96], 1.0
	v_fma_f64 v[95:96], v[95:96], v[97:98], v[95:96]
	v_div_scale_f64 v[97:98], vcc, v[117:118], v[119:120], v[117:118]
	v_fma_f64 v[99:100], -v[90:91], v[95:96], 1.0
	v_fma_f64 v[95:96], v[95:96], v[99:100], v[95:96]
	v_mul_f64 v[99:100], v[97:98], v[95:96]
	v_fma_f64 v[90:91], -v[90:91], v[99:100], v[97:98]
	v_div_fmas_f64 v[90:91], v[90:91], v[95:96], v[99:100]
	v_div_fixup_f64 v[90:91], v[90:91], v[119:120], v[117:118]
	v_fma_f64 v[95:96], v[117:118], v[90:91], v[119:120]
	v_div_scale_f64 v[97:98], s[20:21], v[95:96], v[95:96], 1.0
	v_div_scale_f64 v[103:104], vcc, 1.0, v[95:96], 1.0
	v_rcp_f64_e32 v[99:100], v[97:98]
	v_fma_f64 v[101:102], -v[97:98], v[99:100], 1.0
	v_fma_f64 v[99:100], v[99:100], v[101:102], v[99:100]
	v_fma_f64 v[101:102], -v[97:98], v[99:100], 1.0
	v_fma_f64 v[99:100], v[99:100], v[101:102], v[99:100]
	v_mul_f64 v[101:102], v[103:104], v[99:100]
	v_fma_f64 v[97:98], -v[97:98], v[101:102], v[103:104]
	v_div_fmas_f64 v[97:98], v[97:98], v[99:100], v[101:102]
	v_div_fixup_f64 v[119:120], v[97:98], v[95:96], 1.0
	v_mul_f64 v[117:118], v[90:91], v[119:120]
	v_xor_b32_e32 v120, 0x80000000, v120
.LBB114_658:
	s_andn2_saveexec_b64 s[18:19], s[18:19]
	s_cbranch_execz .LBB114_660
; %bb.659:
	v_div_scale_f64 v[90:91], s[20:21], v[117:118], v[117:118], v[119:120]
	v_rcp_f64_e32 v[95:96], v[90:91]
	v_fma_f64 v[97:98], -v[90:91], v[95:96], 1.0
	v_fma_f64 v[95:96], v[95:96], v[97:98], v[95:96]
	v_div_scale_f64 v[97:98], vcc, v[119:120], v[117:118], v[119:120]
	v_fma_f64 v[99:100], -v[90:91], v[95:96], 1.0
	v_fma_f64 v[95:96], v[95:96], v[99:100], v[95:96]
	v_mul_f64 v[99:100], v[97:98], v[95:96]
	v_fma_f64 v[90:91], -v[90:91], v[99:100], v[97:98]
	v_div_fmas_f64 v[90:91], v[90:91], v[95:96], v[99:100]
	v_div_fixup_f64 v[90:91], v[90:91], v[117:118], v[119:120]
	v_fma_f64 v[95:96], v[119:120], v[90:91], v[117:118]
	v_div_scale_f64 v[97:98], s[20:21], v[95:96], v[95:96], 1.0
	v_div_scale_f64 v[103:104], vcc, 1.0, v[95:96], 1.0
	v_rcp_f64_e32 v[99:100], v[97:98]
	v_fma_f64 v[101:102], -v[97:98], v[99:100], 1.0
	v_fma_f64 v[99:100], v[99:100], v[101:102], v[99:100]
	v_fma_f64 v[101:102], -v[97:98], v[99:100], 1.0
	v_fma_f64 v[99:100], v[99:100], v[101:102], v[99:100]
	v_mul_f64 v[101:102], v[103:104], v[99:100]
	v_fma_f64 v[97:98], -v[97:98], v[101:102], v[103:104]
	v_div_fmas_f64 v[97:98], v[97:98], v[99:100], v[101:102]
	v_div_fixup_f64 v[117:118], v[97:98], v[95:96], 1.0
	v_mul_f64 v[119:120], v[90:91], -v[117:118]
.LBB114_660:
	s_or_b64 exec, exec, s[18:19]
.LBB114_661:
	s_or_b64 exec, exec, s[0:1]
	v_cmp_ne_u32_e32 vcc, v93, v89
	s_and_saveexec_b64 s[0:1], vcc
	s_xor_b64 s[0:1], exec, s[0:1]
	s_cbranch_execz .LBB114_667
; %bb.662:
	v_cmp_eq_u32_e32 vcc, 31, v93
	s_and_saveexec_b64 s[18:19], vcc
	s_cbranch_execz .LBB114_666
; %bb.663:
	v_cmp_ne_u32_e32 vcc, 31, v89
	s_xor_b64 s[20:21], s[6:7], -1
	s_and_b64 s[22:23], s[20:21], vcc
	s_and_saveexec_b64 s[20:21], s[22:23]
	s_cbranch_execz .LBB114_665
; %bb.664:
	v_mov_b32_e32 v77, v81
	v_mov_b32_e32 v78, v82
	;; [unrolled: 1-line block ×4, first 2 shown]
	buffer_load_dword v81, off, s[24:27], 0 offset:480 ; 4-byte Folded Reload
	buffer_load_dword v82, off, s[24:27], 0 offset:484 ; 4-byte Folded Reload
	v_ashrrev_i32_e32 v90, 31, v89
	v_lshlrev_b64 v[90:91], 2, v[89:90]
	s_waitcnt vmcnt(1)
	v_add_co_u32_e32 v90, vcc, v81, v90
	s_waitcnt vmcnt(0)
	v_addc_co_u32_e32 v91, vcc, v82, v91, vcc
	global_load_dword v92, v[90:91], off
	global_load_dword v93, v[81:82], off offset:124
	s_waitcnt vmcnt(1)
	global_store_dword v[81:82], v92, off offset:124
	v_mov_b32_e32 v84, v80
	v_mov_b32_e32 v83, v79
	;; [unrolled: 1-line block ×4, first 2 shown]
	s_waitcnt vmcnt(1)
	global_store_dword v[90:91], v93, off
.LBB114_665:
	s_or_b64 exec, exec, s[20:21]
	v_mov_b32_e32 v93, v89
	v_mov_b32_e32 v127, v89
.LBB114_666:
	s_or_b64 exec, exec, s[18:19]
.LBB114_667:
	s_andn2_saveexec_b64 s[0:1], s[0:1]
	s_cbranch_execz .LBB114_669
; %bb.668:
	buffer_load_dword v77, off, s[24:27], 0 offset:16 ; 4-byte Folded Reload
	buffer_load_dword v78, off, s[24:27], 0 offset:20 ; 4-byte Folded Reload
	buffer_load_dword v79, off, s[24:27], 0 offset:24 ; 4-byte Folded Reload
	buffer_load_dword v80, off, s[24:27], 0 offset:28 ; 4-byte Folded Reload
	v_mov_b32_e32 v93, 31
	s_waitcnt vmcnt(0)
	ds_write2_b64 v0, v[77:78], v[79:80] offset0:64 offset1:65
	ds_write2_b64 v0, v[81:82], v[83:84] offset0:66 offset1:67
	;; [unrolled: 1-line block ×5, first 2 shown]
	buffer_load_dword v77, off, s[24:27], 0 ; 4-byte Folded Reload
	buffer_load_dword v78, off, s[24:27], 0 offset:4 ; 4-byte Folded Reload
	buffer_load_dword v79, off, s[24:27], 0 offset:8 ; 4-byte Folded Reload
	;; [unrolled: 1-line block ×3, first 2 shown]
	s_waitcnt vmcnt(0)
	ds_write2_b64 v0, v[77:78], v[79:80] offset0:74 offset1:75
	ds_write2_b64 v0, v[73:74], v[75:76] offset0:76 offset1:77
	ds_write2_b64 v0, v[69:70], v[71:72] offset0:78 offset1:79
	ds_write2_b64 v0, v[65:66], v[67:68] offset0:80 offset1:81
	ds_write2_b64 v0, v[61:62], v[63:64] offset0:82 offset1:83
	ds_write2_b64 v0, v[57:58], v[59:60] offset0:84 offset1:85
	ds_write2_b64 v0, v[53:54], v[55:56] offset0:86 offset1:87
	ds_write2_b64 v0, v[49:50], v[51:52] offset0:88 offset1:89
	ds_write2_b64 v0, v[45:46], v[47:48] offset0:90 offset1:91
	ds_write2_b64 v0, v[41:42], v[43:44] offset0:92 offset1:93
	ds_write2_b64 v0, v[37:38], v[39:40] offset0:94 offset1:95
	ds_write2_b64 v0, v[33:34], v[35:36] offset0:96 offset1:97
	ds_write2_b64 v0, v[29:30], v[31:32] offset0:98 offset1:99
	ds_write2_b64 v0, v[25:26], v[27:28] offset0:100 offset1:101
	ds_write2_b64 v0, v[21:22], v[23:24] offset0:102 offset1:103
	ds_write2_b64 v0, v[17:18], v[19:20] offset0:104 offset1:105
	ds_write2_b64 v0, v[13:14], v[15:16] offset0:106 offset1:107
	ds_write2_b64 v0, v[9:10], v[11:12] offset0:108 offset1:109
	ds_write2_b64 v0, v[5:6], v[7:8] offset0:110 offset1:111
	ds_write2_b64 v0, v[1:2], v[3:4] offset0:112 offset1:113
	ds_write2_b64 v0, v[121:122], v[123:124] offset0:114 offset1:115
.LBB114_669:
	s_or_b64 exec, exec, s[0:1]
	v_cmp_lt_i32_e32 vcc, 31, v93
	s_waitcnt vmcnt(0) lgkmcnt(0)
	s_barrier
	s_and_saveexec_b64 s[0:1], vcc
	s_cbranch_execz .LBB114_671
; %bb.670:
	buffer_load_dword v97, off, s[24:27], 0 offset:32 ; 4-byte Folded Reload
	buffer_load_dword v98, off, s[24:27], 0 offset:36 ; 4-byte Folded Reload
	;; [unrolled: 1-line block ×4, first 2 shown]
	s_waitcnt vmcnt(0)
	v_mul_f64 v[89:90], v[119:120], v[99:100]
	v_mul_f64 v[91:92], v[117:118], v[99:100]
	v_fma_f64 v[89:90], v[117:118], v[97:98], -v[89:90]
	v_fma_f64 v[99:100], v[119:120], v[97:98], v[91:92]
	ds_read2_b64 v[95:98], v0 offset0:64 offset1:65
	buffer_load_dword v77, off, s[24:27], 0 offset:16 ; 4-byte Folded Reload
	buffer_load_dword v78, off, s[24:27], 0 offset:20 ; 4-byte Folded Reload
	;; [unrolled: 1-line block ×4, first 2 shown]
	s_waitcnt lgkmcnt(0)
	v_mul_f64 v[91:92], v[97:98], v[99:100]
	v_fma_f64 v[91:92], v[95:96], v[89:90], -v[91:92]
	v_mul_f64 v[95:96], v[95:96], v[99:100]
	v_fma_f64 v[95:96], v[97:98], v[89:90], v[95:96]
	s_waitcnt vmcnt(2)
	v_add_f64 v[77:78], v[77:78], -v[91:92]
	s_waitcnt vmcnt(0)
	v_add_f64 v[79:80], v[79:80], -v[95:96]
	buffer_store_dword v77, off, s[24:27], 0 offset:16 ; 4-byte Folded Spill
	s_nop 0
	buffer_store_dword v78, off, s[24:27], 0 offset:20 ; 4-byte Folded Spill
	buffer_store_dword v79, off, s[24:27], 0 offset:24 ; 4-byte Folded Spill
	;; [unrolled: 1-line block ×3, first 2 shown]
	ds_read2_b64 v[95:98], v0 offset0:66 offset1:67
	s_waitcnt lgkmcnt(0)
	v_mul_f64 v[91:92], v[97:98], v[99:100]
	v_fma_f64 v[91:92], v[95:96], v[89:90], -v[91:92]
	v_mul_f64 v[95:96], v[95:96], v[99:100]
	v_add_f64 v[81:82], v[81:82], -v[91:92]
	v_fma_f64 v[95:96], v[97:98], v[89:90], v[95:96]
	v_add_f64 v[83:84], v[83:84], -v[95:96]
	ds_read2_b64 v[95:98], v0 offset0:68 offset1:69
	s_waitcnt lgkmcnt(0)
	v_mul_f64 v[91:92], v[97:98], v[99:100]
	v_fma_f64 v[91:92], v[95:96], v[89:90], -v[91:92]
	v_mul_f64 v[95:96], v[95:96], v[99:100]
	v_add_f64 v[85:86], v[85:86], -v[91:92]
	v_fma_f64 v[95:96], v[97:98], v[89:90], v[95:96]
	v_add_f64 v[87:88], v[87:88], -v[95:96]
	;; [unrolled: 8-line block ×4, first 2 shown]
	ds_read2_b64 v[95:98], v0 offset0:74 offset1:75
	buffer_load_dword v77, off, s[24:27], 0 ; 4-byte Folded Reload
	buffer_load_dword v78, off, s[24:27], 0 offset:4 ; 4-byte Folded Reload
	buffer_load_dword v79, off, s[24:27], 0 offset:8 ; 4-byte Folded Reload
	;; [unrolled: 1-line block ×3, first 2 shown]
	s_waitcnt lgkmcnt(0)
	v_mul_f64 v[91:92], v[97:98], v[99:100]
	v_fma_f64 v[91:92], v[95:96], v[89:90], -v[91:92]
	v_mul_f64 v[95:96], v[95:96], v[99:100]
	v_fma_f64 v[95:96], v[97:98], v[89:90], v[95:96]
	s_waitcnt vmcnt(2)
	v_add_f64 v[77:78], v[77:78], -v[91:92]
	s_waitcnt vmcnt(0)
	v_add_f64 v[79:80], v[79:80], -v[95:96]
	buffer_store_dword v77, off, s[24:27], 0 ; 4-byte Folded Spill
	s_nop 0
	buffer_store_dword v78, off, s[24:27], 0 offset:4 ; 4-byte Folded Spill
	buffer_store_dword v79, off, s[24:27], 0 offset:8 ; 4-byte Folded Spill
	;; [unrolled: 1-line block ×3, first 2 shown]
	ds_read2_b64 v[95:98], v0 offset0:76 offset1:77
	s_waitcnt lgkmcnt(0)
	v_mul_f64 v[91:92], v[97:98], v[99:100]
	v_fma_f64 v[91:92], v[95:96], v[89:90], -v[91:92]
	v_mul_f64 v[95:96], v[95:96], v[99:100]
	v_add_f64 v[73:74], v[73:74], -v[91:92]
	v_fma_f64 v[95:96], v[97:98], v[89:90], v[95:96]
	v_add_f64 v[75:76], v[75:76], -v[95:96]
	ds_read2_b64 v[95:98], v0 offset0:78 offset1:79
	s_waitcnt lgkmcnt(0)
	v_mul_f64 v[91:92], v[97:98], v[99:100]
	v_fma_f64 v[91:92], v[95:96], v[89:90], -v[91:92]
	v_mul_f64 v[95:96], v[95:96], v[99:100]
	v_add_f64 v[69:70], v[69:70], -v[91:92]
	v_fma_f64 v[95:96], v[97:98], v[89:90], v[95:96]
	v_add_f64 v[71:72], v[71:72], -v[95:96]
	;; [unrolled: 8-line block ×19, first 2 shown]
	ds_read2_b64 v[95:98], v0 offset0:114 offset1:115
	s_waitcnt lgkmcnt(0)
	v_mul_f64 v[91:92], v[97:98], v[99:100]
	v_fma_f64 v[91:92], v[95:96], v[89:90], -v[91:92]
	v_mul_f64 v[95:96], v[95:96], v[99:100]
	v_add_f64 v[121:122], v[121:122], -v[91:92]
	v_fma_f64 v[95:96], v[97:98], v[89:90], v[95:96]
	v_mov_b32_e32 v98, v90
	v_mov_b32_e32 v97, v89
	buffer_store_dword v97, off, s[24:27], 0 offset:32 ; 4-byte Folded Spill
	s_nop 0
	buffer_store_dword v98, off, s[24:27], 0 offset:36 ; 4-byte Folded Spill
	buffer_store_dword v99, off, s[24:27], 0 offset:40 ; 4-byte Folded Spill
	buffer_store_dword v100, off, s[24:27], 0 offset:44 ; 4-byte Folded Spill
	v_add_f64 v[123:124], v[123:124], -v[95:96]
.LBB114_671:
	s_or_b64 exec, exec, s[0:1]
	s_waitcnt vmcnt(0)
	s_barrier
	buffer_load_dword v77, off, s[24:27], 0 offset:16 ; 4-byte Folded Reload
	buffer_load_dword v78, off, s[24:27], 0 offset:20 ; 4-byte Folded Reload
	buffer_load_dword v79, off, s[24:27], 0 offset:24 ; 4-byte Folded Reload
	buffer_load_dword v80, off, s[24:27], 0 offset:28 ; 4-byte Folded Reload
	v_lshl_add_u32 v89, v93, 4, v0
	s_cmp_lt_i32 s3, 34
	s_waitcnt vmcnt(0)
	ds_write2_b64 v89, v[77:78], v[79:80] offset1:1
	s_waitcnt lgkmcnt(0)
	s_barrier
	ds_read2_b64 v[117:120], v0 offset0:64 offset1:65
	v_mov_b32_e32 v89, 32
	s_cbranch_scc1 .LBB114_674
; %bb.672:
	v_add_u32_e32 v90, 0x210, v0
	s_mov_b32 s0, 33
	v_mov_b32_e32 v89, 32
.LBB114_673:                            ; =>This Inner Loop Header: Depth=1
	s_waitcnt lgkmcnt(0)
	v_cmp_gt_f64_e32 vcc, 0, v[117:118]
	v_xor_b32_e32 v91, 0x80000000, v118
	ds_read2_b64 v[95:98], v90 offset1:1
	v_xor_b32_e32 v99, 0x80000000, v120
	v_add_u32_e32 v90, 16, v90
	s_waitcnt lgkmcnt(0)
	v_xor_b32_e32 v101, 0x80000000, v98
	v_cndmask_b32_e32 v92, v118, v91, vcc
	v_cmp_gt_f64_e32 vcc, 0, v[119:120]
	v_mov_b32_e32 v91, v117
	v_cndmask_b32_e32 v100, v120, v99, vcc
	v_cmp_gt_f64_e32 vcc, 0, v[95:96]
	v_mov_b32_e32 v99, v119
	v_add_f64 v[91:92], v[91:92], v[99:100]
	v_xor_b32_e32 v99, 0x80000000, v96
	v_cndmask_b32_e32 v100, v96, v99, vcc
	v_cmp_gt_f64_e32 vcc, 0, v[97:98]
	v_mov_b32_e32 v99, v95
	v_cndmask_b32_e32 v102, v98, v101, vcc
	v_mov_b32_e32 v101, v97
	v_add_f64 v[99:100], v[99:100], v[101:102]
	v_cmp_lt_f64_e32 vcc, v[91:92], v[99:100]
	v_mov_b32_e32 v91, s0
	s_add_i32 s0, s0, 1
	s_cmp_lg_u32 s3, s0
	v_cndmask_b32_e32 v118, v118, v96, vcc
	v_cndmask_b32_e32 v117, v117, v95, vcc
	;; [unrolled: 1-line block ×5, first 2 shown]
	s_cbranch_scc1 .LBB114_673
.LBB114_674:
	s_waitcnt lgkmcnt(0)
	v_cmp_eq_f64_e32 vcc, 0, v[117:118]
	v_cmp_eq_f64_e64 s[0:1], 0, v[119:120]
	s_and_b64 s[0:1], vcc, s[0:1]
	s_and_saveexec_b64 s[18:19], s[0:1]
	s_xor_b64 s[0:1], exec, s[18:19]
; %bb.675:
	v_cmp_ne_u32_e32 vcc, 0, v94
	v_cndmask_b32_e32 v94, 33, v94, vcc
; %bb.676:
	s_andn2_saveexec_b64 s[0:1], s[0:1]
	s_cbranch_execz .LBB114_682
; %bb.677:
	v_cmp_ngt_f64_e64 s[18:19], |v[117:118]|, |v[119:120]|
	s_and_saveexec_b64 s[20:21], s[18:19]
	s_xor_b64 s[18:19], exec, s[20:21]
	s_cbranch_execz .LBB114_679
; %bb.678:
	v_div_scale_f64 v[90:91], s[20:21], v[119:120], v[119:120], v[117:118]
	v_rcp_f64_e32 v[95:96], v[90:91]
	v_fma_f64 v[97:98], -v[90:91], v[95:96], 1.0
	v_fma_f64 v[95:96], v[95:96], v[97:98], v[95:96]
	v_div_scale_f64 v[97:98], vcc, v[117:118], v[119:120], v[117:118]
	v_fma_f64 v[99:100], -v[90:91], v[95:96], 1.0
	v_fma_f64 v[95:96], v[95:96], v[99:100], v[95:96]
	v_mul_f64 v[99:100], v[97:98], v[95:96]
	v_fma_f64 v[90:91], -v[90:91], v[99:100], v[97:98]
	v_div_fmas_f64 v[90:91], v[90:91], v[95:96], v[99:100]
	v_div_fixup_f64 v[90:91], v[90:91], v[119:120], v[117:118]
	v_fma_f64 v[95:96], v[117:118], v[90:91], v[119:120]
	v_div_scale_f64 v[97:98], s[20:21], v[95:96], v[95:96], 1.0
	v_div_scale_f64 v[103:104], vcc, 1.0, v[95:96], 1.0
	v_rcp_f64_e32 v[99:100], v[97:98]
	v_fma_f64 v[101:102], -v[97:98], v[99:100], 1.0
	v_fma_f64 v[99:100], v[99:100], v[101:102], v[99:100]
	v_fma_f64 v[101:102], -v[97:98], v[99:100], 1.0
	v_fma_f64 v[99:100], v[99:100], v[101:102], v[99:100]
	v_mul_f64 v[101:102], v[103:104], v[99:100]
	v_fma_f64 v[97:98], -v[97:98], v[101:102], v[103:104]
	v_div_fmas_f64 v[97:98], v[97:98], v[99:100], v[101:102]
	v_div_fixup_f64 v[119:120], v[97:98], v[95:96], 1.0
	v_mul_f64 v[117:118], v[90:91], v[119:120]
	v_xor_b32_e32 v120, 0x80000000, v120
.LBB114_679:
	s_andn2_saveexec_b64 s[18:19], s[18:19]
	s_cbranch_execz .LBB114_681
; %bb.680:
	v_div_scale_f64 v[90:91], s[20:21], v[117:118], v[117:118], v[119:120]
	v_rcp_f64_e32 v[95:96], v[90:91]
	v_fma_f64 v[97:98], -v[90:91], v[95:96], 1.0
	v_fma_f64 v[95:96], v[95:96], v[97:98], v[95:96]
	v_div_scale_f64 v[97:98], vcc, v[119:120], v[117:118], v[119:120]
	v_fma_f64 v[99:100], -v[90:91], v[95:96], 1.0
	v_fma_f64 v[95:96], v[95:96], v[99:100], v[95:96]
	v_mul_f64 v[99:100], v[97:98], v[95:96]
	v_fma_f64 v[90:91], -v[90:91], v[99:100], v[97:98]
	v_div_fmas_f64 v[90:91], v[90:91], v[95:96], v[99:100]
	v_div_fixup_f64 v[90:91], v[90:91], v[117:118], v[119:120]
	v_fma_f64 v[95:96], v[119:120], v[90:91], v[117:118]
	v_div_scale_f64 v[97:98], s[20:21], v[95:96], v[95:96], 1.0
	v_div_scale_f64 v[103:104], vcc, 1.0, v[95:96], 1.0
	v_rcp_f64_e32 v[99:100], v[97:98]
	v_fma_f64 v[101:102], -v[97:98], v[99:100], 1.0
	v_fma_f64 v[99:100], v[99:100], v[101:102], v[99:100]
	v_fma_f64 v[101:102], -v[97:98], v[99:100], 1.0
	v_fma_f64 v[99:100], v[99:100], v[101:102], v[99:100]
	v_mul_f64 v[101:102], v[103:104], v[99:100]
	v_fma_f64 v[97:98], -v[97:98], v[101:102], v[103:104]
	v_div_fmas_f64 v[97:98], v[97:98], v[99:100], v[101:102]
	v_div_fixup_f64 v[117:118], v[97:98], v[95:96], 1.0
	v_mul_f64 v[119:120], v[90:91], -v[117:118]
.LBB114_681:
	s_or_b64 exec, exec, s[18:19]
.LBB114_682:
	s_or_b64 exec, exec, s[0:1]
	v_cmp_ne_u32_e32 vcc, v93, v89
	s_and_saveexec_b64 s[0:1], vcc
	s_xor_b64 s[0:1], exec, s[0:1]
	s_cbranch_execz .LBB114_688
; %bb.683:
	v_cmp_eq_u32_e32 vcc, 32, v93
	s_and_saveexec_b64 s[18:19], vcc
	s_cbranch_execz .LBB114_687
; %bb.684:
	v_cmp_ne_u32_e32 vcc, 32, v89
	s_xor_b64 s[20:21], s[6:7], -1
	s_and_b64 s[22:23], s[20:21], vcc
	s_and_saveexec_b64 s[20:21], s[22:23]
	s_cbranch_execz .LBB114_686
; %bb.685:
	v_mov_b32_e32 v77, v81
	v_mov_b32_e32 v78, v82
	;; [unrolled: 1-line block ×4, first 2 shown]
	buffer_load_dword v81, off, s[24:27], 0 offset:480 ; 4-byte Folded Reload
	buffer_load_dword v82, off, s[24:27], 0 offset:484 ; 4-byte Folded Reload
	v_ashrrev_i32_e32 v90, 31, v89
	v_lshlrev_b64 v[90:91], 2, v[89:90]
	s_waitcnt vmcnt(1)
	v_add_co_u32_e32 v90, vcc, v81, v90
	s_waitcnt vmcnt(0)
	v_addc_co_u32_e32 v91, vcc, v82, v91, vcc
	global_load_dword v92, v[90:91], off
	global_load_dword v93, v[81:82], off offset:128
	s_waitcnt vmcnt(1)
	global_store_dword v[81:82], v92, off offset:128
	v_mov_b32_e32 v84, v80
	v_mov_b32_e32 v83, v79
	;; [unrolled: 1-line block ×4, first 2 shown]
	s_waitcnt vmcnt(1)
	global_store_dword v[90:91], v93, off
.LBB114_686:
	s_or_b64 exec, exec, s[20:21]
	v_mov_b32_e32 v93, v89
	v_mov_b32_e32 v127, v89
.LBB114_687:
	s_or_b64 exec, exec, s[18:19]
.LBB114_688:
	s_andn2_saveexec_b64 s[0:1], s[0:1]
	s_cbranch_execz .LBB114_690
; %bb.689:
	ds_write2_b64 v0, v[81:82], v[83:84] offset0:66 offset1:67
	ds_write2_b64 v0, v[85:86], v[87:88] offset0:68 offset1:69
	;; [unrolled: 1-line block ×4, first 2 shown]
	buffer_load_dword v77, off, s[24:27], 0 ; 4-byte Folded Reload
	buffer_load_dword v78, off, s[24:27], 0 offset:4 ; 4-byte Folded Reload
	buffer_load_dword v79, off, s[24:27], 0 offset:8 ; 4-byte Folded Reload
	;; [unrolled: 1-line block ×3, first 2 shown]
	v_mov_b32_e32 v93, 32
	s_waitcnt vmcnt(0)
	ds_write2_b64 v0, v[77:78], v[79:80] offset0:74 offset1:75
	ds_write2_b64 v0, v[73:74], v[75:76] offset0:76 offset1:77
	;; [unrolled: 1-line block ×21, first 2 shown]
.LBB114_690:
	s_or_b64 exec, exec, s[0:1]
	v_cmp_lt_i32_e32 vcc, 32, v93
	s_waitcnt vmcnt(0) lgkmcnt(0)
	s_barrier
	s_and_saveexec_b64 s[0:1], vcc
	s_cbranch_execz .LBB114_692
; %bb.691:
	buffer_load_dword v97, off, s[24:27], 0 offset:16 ; 4-byte Folded Reload
	buffer_load_dword v98, off, s[24:27], 0 offset:20 ; 4-byte Folded Reload
	;; [unrolled: 1-line block ×4, first 2 shown]
	s_waitcnt vmcnt(0)
	v_mul_f64 v[91:92], v[117:118], v[99:100]
	v_mul_f64 v[89:90], v[119:120], v[99:100]
	v_fma_f64 v[99:100], v[119:120], v[97:98], v[91:92]
	v_fma_f64 v[89:90], v[117:118], v[97:98], -v[89:90]
	ds_read2_b64 v[95:98], v0 offset0:66 offset1:67
	s_waitcnt lgkmcnt(0)
	v_mul_f64 v[91:92], v[97:98], v[99:100]
	v_fma_f64 v[91:92], v[95:96], v[89:90], -v[91:92]
	v_mul_f64 v[95:96], v[95:96], v[99:100]
	v_add_f64 v[81:82], v[81:82], -v[91:92]
	v_fma_f64 v[95:96], v[97:98], v[89:90], v[95:96]
	v_add_f64 v[83:84], v[83:84], -v[95:96]
	ds_read2_b64 v[95:98], v0 offset0:68 offset1:69
	s_waitcnt lgkmcnt(0)
	v_mul_f64 v[91:92], v[97:98], v[99:100]
	v_fma_f64 v[91:92], v[95:96], v[89:90], -v[91:92]
	v_mul_f64 v[95:96], v[95:96], v[99:100]
	v_add_f64 v[85:86], v[85:86], -v[91:92]
	v_fma_f64 v[95:96], v[97:98], v[89:90], v[95:96]
	v_add_f64 v[87:88], v[87:88], -v[95:96]
	ds_read2_b64 v[95:98], v0 offset0:70 offset1:71
	s_waitcnt lgkmcnt(0)
	v_mul_f64 v[91:92], v[97:98], v[99:100]
	v_fma_f64 v[91:92], v[95:96], v[89:90], -v[91:92]
	v_mul_f64 v[95:96], v[95:96], v[99:100]
	v_add_f64 v[109:110], v[109:110], -v[91:92]
	v_fma_f64 v[95:96], v[97:98], v[89:90], v[95:96]
	v_add_f64 v[111:112], v[111:112], -v[95:96]
	ds_read2_b64 v[95:98], v0 offset0:72 offset1:73
	s_waitcnt lgkmcnt(0)
	v_mul_f64 v[91:92], v[97:98], v[99:100]
	v_fma_f64 v[91:92], v[95:96], v[89:90], -v[91:92]
	v_mul_f64 v[95:96], v[95:96], v[99:100]
	v_add_f64 v[113:114], v[113:114], -v[91:92]
	v_fma_f64 v[95:96], v[97:98], v[89:90], v[95:96]
	v_add_f64 v[115:116], v[115:116], -v[95:96]
	ds_read2_b64 v[95:98], v0 offset0:74 offset1:75
	buffer_load_dword v77, off, s[24:27], 0 ; 4-byte Folded Reload
	buffer_load_dword v78, off, s[24:27], 0 offset:4 ; 4-byte Folded Reload
	buffer_load_dword v79, off, s[24:27], 0 offset:8 ; 4-byte Folded Reload
	buffer_load_dword v80, off, s[24:27], 0 offset:12 ; 4-byte Folded Reload
	s_waitcnt lgkmcnt(0)
	v_mul_f64 v[91:92], v[97:98], v[99:100]
	v_fma_f64 v[91:92], v[95:96], v[89:90], -v[91:92]
	v_mul_f64 v[95:96], v[95:96], v[99:100]
	v_fma_f64 v[95:96], v[97:98], v[89:90], v[95:96]
	s_waitcnt vmcnt(2)
	v_add_f64 v[77:78], v[77:78], -v[91:92]
	s_waitcnt vmcnt(0)
	v_add_f64 v[79:80], v[79:80], -v[95:96]
	buffer_store_dword v77, off, s[24:27], 0 ; 4-byte Folded Spill
	s_nop 0
	buffer_store_dword v78, off, s[24:27], 0 offset:4 ; 4-byte Folded Spill
	buffer_store_dword v79, off, s[24:27], 0 offset:8 ; 4-byte Folded Spill
	;; [unrolled: 1-line block ×3, first 2 shown]
	ds_read2_b64 v[95:98], v0 offset0:76 offset1:77
	s_waitcnt lgkmcnt(0)
	v_mul_f64 v[91:92], v[97:98], v[99:100]
	v_fma_f64 v[91:92], v[95:96], v[89:90], -v[91:92]
	v_mul_f64 v[95:96], v[95:96], v[99:100]
	v_add_f64 v[73:74], v[73:74], -v[91:92]
	v_fma_f64 v[95:96], v[97:98], v[89:90], v[95:96]
	v_add_f64 v[75:76], v[75:76], -v[95:96]
	ds_read2_b64 v[95:98], v0 offset0:78 offset1:79
	s_waitcnt lgkmcnt(0)
	v_mul_f64 v[91:92], v[97:98], v[99:100]
	v_fma_f64 v[91:92], v[95:96], v[89:90], -v[91:92]
	v_mul_f64 v[95:96], v[95:96], v[99:100]
	v_add_f64 v[69:70], v[69:70], -v[91:92]
	v_fma_f64 v[95:96], v[97:98], v[89:90], v[95:96]
	v_add_f64 v[71:72], v[71:72], -v[95:96]
	;; [unrolled: 8-line block ×19, first 2 shown]
	ds_read2_b64 v[95:98], v0 offset0:114 offset1:115
	s_waitcnt lgkmcnt(0)
	v_mul_f64 v[91:92], v[97:98], v[99:100]
	v_fma_f64 v[91:92], v[95:96], v[89:90], -v[91:92]
	v_mul_f64 v[95:96], v[95:96], v[99:100]
	v_add_f64 v[121:122], v[121:122], -v[91:92]
	v_fma_f64 v[95:96], v[97:98], v[89:90], v[95:96]
	v_mov_b32_e32 v98, v90
	v_mov_b32_e32 v97, v89
	buffer_store_dword v97, off, s[24:27], 0 offset:16 ; 4-byte Folded Spill
	s_nop 0
	buffer_store_dword v98, off, s[24:27], 0 offset:20 ; 4-byte Folded Spill
	buffer_store_dword v99, off, s[24:27], 0 offset:24 ; 4-byte Folded Spill
	;; [unrolled: 1-line block ×3, first 2 shown]
	v_add_f64 v[123:124], v[123:124], -v[95:96]
.LBB114_692:
	s_or_b64 exec, exec, s[0:1]
	v_lshl_add_u32 v89, v93, 4, v0
	s_waitcnt vmcnt(0)
	s_barrier
	ds_write2_b64 v89, v[81:82], v[83:84] offset1:1
	s_waitcnt lgkmcnt(0)
	s_barrier
	ds_read2_b64 v[117:120], v0 offset0:66 offset1:67
	s_cmp_lt_i32 s3, 35
	v_mov_b32_e32 v89, 33
	s_cbranch_scc1 .LBB114_695
; %bb.693:
	v_add_u32_e32 v90, 0x220, v0
	s_mov_b32 s0, 34
	v_mov_b32_e32 v89, 33
.LBB114_694:                            ; =>This Inner Loop Header: Depth=1
	s_waitcnt lgkmcnt(0)
	v_cmp_gt_f64_e32 vcc, 0, v[117:118]
	v_xor_b32_e32 v91, 0x80000000, v118
	ds_read2_b64 v[95:98], v90 offset1:1
	v_xor_b32_e32 v99, 0x80000000, v120
	v_add_u32_e32 v90, 16, v90
	s_waitcnt lgkmcnt(0)
	v_xor_b32_e32 v101, 0x80000000, v98
	v_cndmask_b32_e32 v92, v118, v91, vcc
	v_cmp_gt_f64_e32 vcc, 0, v[119:120]
	v_mov_b32_e32 v91, v117
	v_cndmask_b32_e32 v100, v120, v99, vcc
	v_cmp_gt_f64_e32 vcc, 0, v[95:96]
	v_mov_b32_e32 v99, v119
	v_add_f64 v[91:92], v[91:92], v[99:100]
	v_xor_b32_e32 v99, 0x80000000, v96
	v_cndmask_b32_e32 v100, v96, v99, vcc
	v_cmp_gt_f64_e32 vcc, 0, v[97:98]
	v_mov_b32_e32 v99, v95
	v_cndmask_b32_e32 v102, v98, v101, vcc
	v_mov_b32_e32 v101, v97
	v_add_f64 v[99:100], v[99:100], v[101:102]
	v_cmp_lt_f64_e32 vcc, v[91:92], v[99:100]
	v_mov_b32_e32 v91, s0
	s_add_i32 s0, s0, 1
	s_cmp_lg_u32 s3, s0
	v_cndmask_b32_e32 v118, v118, v96, vcc
	v_cndmask_b32_e32 v117, v117, v95, vcc
	;; [unrolled: 1-line block ×5, first 2 shown]
	s_cbranch_scc1 .LBB114_694
.LBB114_695:
	s_waitcnt lgkmcnt(0)
	v_cmp_eq_f64_e32 vcc, 0, v[117:118]
	v_cmp_eq_f64_e64 s[0:1], 0, v[119:120]
	s_and_b64 s[0:1], vcc, s[0:1]
	s_and_saveexec_b64 s[18:19], s[0:1]
	s_xor_b64 s[0:1], exec, s[18:19]
; %bb.696:
	v_cmp_ne_u32_e32 vcc, 0, v94
	v_cndmask_b32_e32 v94, 34, v94, vcc
; %bb.697:
	s_andn2_saveexec_b64 s[0:1], s[0:1]
	s_cbranch_execz .LBB114_703
; %bb.698:
	v_cmp_ngt_f64_e64 s[18:19], |v[117:118]|, |v[119:120]|
	s_and_saveexec_b64 s[20:21], s[18:19]
	s_xor_b64 s[18:19], exec, s[20:21]
	s_cbranch_execz .LBB114_700
; %bb.699:
	v_div_scale_f64 v[90:91], s[20:21], v[119:120], v[119:120], v[117:118]
	v_rcp_f64_e32 v[95:96], v[90:91]
	v_fma_f64 v[97:98], -v[90:91], v[95:96], 1.0
	v_fma_f64 v[95:96], v[95:96], v[97:98], v[95:96]
	v_div_scale_f64 v[97:98], vcc, v[117:118], v[119:120], v[117:118]
	v_fma_f64 v[99:100], -v[90:91], v[95:96], 1.0
	v_fma_f64 v[95:96], v[95:96], v[99:100], v[95:96]
	v_mul_f64 v[99:100], v[97:98], v[95:96]
	v_fma_f64 v[90:91], -v[90:91], v[99:100], v[97:98]
	v_div_fmas_f64 v[90:91], v[90:91], v[95:96], v[99:100]
	v_div_fixup_f64 v[90:91], v[90:91], v[119:120], v[117:118]
	v_fma_f64 v[95:96], v[117:118], v[90:91], v[119:120]
	v_div_scale_f64 v[97:98], s[20:21], v[95:96], v[95:96], 1.0
	v_div_scale_f64 v[103:104], vcc, 1.0, v[95:96], 1.0
	v_rcp_f64_e32 v[99:100], v[97:98]
	v_fma_f64 v[101:102], -v[97:98], v[99:100], 1.0
	v_fma_f64 v[99:100], v[99:100], v[101:102], v[99:100]
	v_fma_f64 v[101:102], -v[97:98], v[99:100], 1.0
	v_fma_f64 v[99:100], v[99:100], v[101:102], v[99:100]
	v_mul_f64 v[101:102], v[103:104], v[99:100]
	v_fma_f64 v[97:98], -v[97:98], v[101:102], v[103:104]
	v_div_fmas_f64 v[97:98], v[97:98], v[99:100], v[101:102]
	v_div_fixup_f64 v[119:120], v[97:98], v[95:96], 1.0
	v_mul_f64 v[117:118], v[90:91], v[119:120]
	v_xor_b32_e32 v120, 0x80000000, v120
.LBB114_700:
	s_andn2_saveexec_b64 s[18:19], s[18:19]
	s_cbranch_execz .LBB114_702
; %bb.701:
	v_div_scale_f64 v[90:91], s[20:21], v[117:118], v[117:118], v[119:120]
	v_rcp_f64_e32 v[95:96], v[90:91]
	v_fma_f64 v[97:98], -v[90:91], v[95:96], 1.0
	v_fma_f64 v[95:96], v[95:96], v[97:98], v[95:96]
	v_div_scale_f64 v[97:98], vcc, v[119:120], v[117:118], v[119:120]
	v_fma_f64 v[99:100], -v[90:91], v[95:96], 1.0
	v_fma_f64 v[95:96], v[95:96], v[99:100], v[95:96]
	v_mul_f64 v[99:100], v[97:98], v[95:96]
	v_fma_f64 v[90:91], -v[90:91], v[99:100], v[97:98]
	v_div_fmas_f64 v[90:91], v[90:91], v[95:96], v[99:100]
	v_div_fixup_f64 v[90:91], v[90:91], v[117:118], v[119:120]
	v_fma_f64 v[95:96], v[119:120], v[90:91], v[117:118]
	v_div_scale_f64 v[97:98], s[20:21], v[95:96], v[95:96], 1.0
	v_div_scale_f64 v[103:104], vcc, 1.0, v[95:96], 1.0
	v_rcp_f64_e32 v[99:100], v[97:98]
	v_fma_f64 v[101:102], -v[97:98], v[99:100], 1.0
	v_fma_f64 v[99:100], v[99:100], v[101:102], v[99:100]
	v_fma_f64 v[101:102], -v[97:98], v[99:100], 1.0
	v_fma_f64 v[99:100], v[99:100], v[101:102], v[99:100]
	v_mul_f64 v[101:102], v[103:104], v[99:100]
	v_fma_f64 v[97:98], -v[97:98], v[101:102], v[103:104]
	v_div_fmas_f64 v[97:98], v[97:98], v[99:100], v[101:102]
	v_div_fixup_f64 v[117:118], v[97:98], v[95:96], 1.0
	v_mul_f64 v[119:120], v[90:91], -v[117:118]
.LBB114_702:
	s_or_b64 exec, exec, s[18:19]
.LBB114_703:
	s_or_b64 exec, exec, s[0:1]
	v_cmp_ne_u32_e32 vcc, v93, v89
	s_and_saveexec_b64 s[0:1], vcc
	s_xor_b64 s[0:1], exec, s[0:1]
	s_cbranch_execz .LBB114_709
; %bb.704:
	v_cmp_eq_u32_e32 vcc, 33, v93
	s_and_saveexec_b64 s[18:19], vcc
	s_cbranch_execz .LBB114_708
; %bb.705:
	v_cmp_ne_u32_e32 vcc, 33, v89
	s_xor_b64 s[20:21], s[6:7], -1
	s_and_b64 s[22:23], s[20:21], vcc
	s_and_saveexec_b64 s[20:21], s[22:23]
	s_cbranch_execz .LBB114_707
; %bb.706:
	v_mov_b32_e32 v77, v81
	v_mov_b32_e32 v78, v82
	;; [unrolled: 1-line block ×4, first 2 shown]
	buffer_load_dword v81, off, s[24:27], 0 offset:480 ; 4-byte Folded Reload
	buffer_load_dword v82, off, s[24:27], 0 offset:484 ; 4-byte Folded Reload
	v_ashrrev_i32_e32 v90, 31, v89
	v_lshlrev_b64 v[90:91], 2, v[89:90]
	s_waitcnt vmcnt(1)
	v_add_co_u32_e32 v90, vcc, v81, v90
	s_waitcnt vmcnt(0)
	v_addc_co_u32_e32 v91, vcc, v82, v91, vcc
	global_load_dword v92, v[90:91], off
	global_load_dword v93, v[81:82], off offset:132
	s_waitcnt vmcnt(1)
	global_store_dword v[81:82], v92, off offset:132
	v_mov_b32_e32 v84, v80
	v_mov_b32_e32 v83, v79
	v_mov_b32_e32 v82, v78
	v_mov_b32_e32 v81, v77
	s_waitcnt vmcnt(1)
	global_store_dword v[90:91], v93, off
.LBB114_707:
	s_or_b64 exec, exec, s[20:21]
	v_mov_b32_e32 v93, v89
	v_mov_b32_e32 v127, v89
.LBB114_708:
	s_or_b64 exec, exec, s[18:19]
.LBB114_709:
	s_andn2_saveexec_b64 s[0:1], s[0:1]
	s_cbranch_execz .LBB114_711
; %bb.710:
	ds_write2_b64 v0, v[85:86], v[87:88] offset0:68 offset1:69
	ds_write2_b64 v0, v[109:110], v[111:112] offset0:70 offset1:71
	;; [unrolled: 1-line block ×3, first 2 shown]
	buffer_load_dword v77, off, s[24:27], 0 ; 4-byte Folded Reload
	buffer_load_dword v78, off, s[24:27], 0 offset:4 ; 4-byte Folded Reload
	buffer_load_dword v79, off, s[24:27], 0 offset:8 ; 4-byte Folded Reload
	;; [unrolled: 1-line block ×3, first 2 shown]
	v_mov_b32_e32 v93, 33
	s_waitcnt vmcnt(0)
	ds_write2_b64 v0, v[77:78], v[79:80] offset0:74 offset1:75
	ds_write2_b64 v0, v[73:74], v[75:76] offset0:76 offset1:77
	;; [unrolled: 1-line block ×21, first 2 shown]
.LBB114_711:
	s_or_b64 exec, exec, s[0:1]
	v_cmp_lt_i32_e32 vcc, 33, v93
	s_waitcnt vmcnt(0) lgkmcnt(0)
	s_barrier
	s_and_saveexec_b64 s[0:1], vcc
	s_cbranch_execz .LBB114_713
; %bb.712:
	v_mul_f64 v[91:92], v[117:118], v[83:84]
	v_mul_f64 v[89:90], v[119:120], v[83:84]
	ds_read2_b64 v[95:98], v0 offset0:68 offset1:69
	v_fma_f64 v[83:84], v[119:120], v[81:82], v[91:92]
	v_fma_f64 v[89:90], v[117:118], v[81:82], -v[89:90]
	s_waitcnt lgkmcnt(0)
	v_mul_f64 v[91:92], v[97:98], v[83:84]
	v_mov_b32_e32 v81, v89
	v_mov_b32_e32 v82, v90
	v_fma_f64 v[91:92], v[95:96], v[89:90], -v[91:92]
	v_mul_f64 v[95:96], v[95:96], v[83:84]
	v_add_f64 v[85:86], v[85:86], -v[91:92]
	v_fma_f64 v[95:96], v[97:98], v[89:90], v[95:96]
	v_add_f64 v[87:88], v[87:88], -v[95:96]
	ds_read2_b64 v[95:98], v0 offset0:70 offset1:71
	s_waitcnt lgkmcnt(0)
	v_mul_f64 v[91:92], v[97:98], v[83:84]
	v_fma_f64 v[91:92], v[95:96], v[89:90], -v[91:92]
	v_mul_f64 v[95:96], v[95:96], v[83:84]
	v_add_f64 v[109:110], v[109:110], -v[91:92]
	v_fma_f64 v[95:96], v[97:98], v[89:90], v[95:96]
	v_add_f64 v[111:112], v[111:112], -v[95:96]
	ds_read2_b64 v[95:98], v0 offset0:72 offset1:73
	s_waitcnt lgkmcnt(0)
	v_mul_f64 v[91:92], v[97:98], v[83:84]
	v_fma_f64 v[91:92], v[95:96], v[89:90], -v[91:92]
	v_mul_f64 v[95:96], v[95:96], v[83:84]
	v_add_f64 v[113:114], v[113:114], -v[91:92]
	v_fma_f64 v[95:96], v[97:98], v[89:90], v[95:96]
	v_add_f64 v[115:116], v[115:116], -v[95:96]
	ds_read2_b64 v[95:98], v0 offset0:74 offset1:75
	buffer_load_dword v77, off, s[24:27], 0 ; 4-byte Folded Reload
	buffer_load_dword v78, off, s[24:27], 0 offset:4 ; 4-byte Folded Reload
	buffer_load_dword v79, off, s[24:27], 0 offset:8 ; 4-byte Folded Reload
	;; [unrolled: 1-line block ×3, first 2 shown]
	s_waitcnt lgkmcnt(0)
	v_mul_f64 v[91:92], v[97:98], v[83:84]
	v_fma_f64 v[91:92], v[95:96], v[89:90], -v[91:92]
	v_mul_f64 v[95:96], v[95:96], v[83:84]
	v_fma_f64 v[95:96], v[97:98], v[89:90], v[95:96]
	s_waitcnt vmcnt(2)
	v_add_f64 v[77:78], v[77:78], -v[91:92]
	s_waitcnt vmcnt(0)
	v_add_f64 v[79:80], v[79:80], -v[95:96]
	buffer_store_dword v77, off, s[24:27], 0 ; 4-byte Folded Spill
	s_nop 0
	buffer_store_dword v78, off, s[24:27], 0 offset:4 ; 4-byte Folded Spill
	buffer_store_dword v79, off, s[24:27], 0 offset:8 ; 4-byte Folded Spill
	;; [unrolled: 1-line block ×3, first 2 shown]
	ds_read2_b64 v[95:98], v0 offset0:76 offset1:77
	s_waitcnt lgkmcnt(0)
	v_mul_f64 v[91:92], v[97:98], v[83:84]
	v_fma_f64 v[91:92], v[95:96], v[89:90], -v[91:92]
	v_mul_f64 v[95:96], v[95:96], v[83:84]
	v_add_f64 v[73:74], v[73:74], -v[91:92]
	v_fma_f64 v[95:96], v[97:98], v[89:90], v[95:96]
	v_add_f64 v[75:76], v[75:76], -v[95:96]
	ds_read2_b64 v[95:98], v0 offset0:78 offset1:79
	s_waitcnt lgkmcnt(0)
	v_mul_f64 v[91:92], v[97:98], v[83:84]
	v_fma_f64 v[91:92], v[95:96], v[89:90], -v[91:92]
	v_mul_f64 v[95:96], v[95:96], v[83:84]
	v_add_f64 v[69:70], v[69:70], -v[91:92]
	v_fma_f64 v[95:96], v[97:98], v[89:90], v[95:96]
	v_add_f64 v[71:72], v[71:72], -v[95:96]
	;; [unrolled: 8-line block ×20, first 2 shown]
.LBB114_713:
	s_or_b64 exec, exec, s[0:1]
	v_lshl_add_u32 v89, v93, 4, v0
	s_waitcnt vmcnt(0)
	s_barrier
	ds_write2_b64 v89, v[85:86], v[87:88] offset1:1
	s_waitcnt lgkmcnt(0)
	s_barrier
	ds_read2_b64 v[117:120], v0 offset0:68 offset1:69
	s_cmp_lt_i32 s3, 36
	v_mov_b32_e32 v89, 34
	s_cbranch_scc1 .LBB114_716
; %bb.714:
	v_add_u32_e32 v90, 0x230, v0
	s_mov_b32 s0, 35
	v_mov_b32_e32 v89, 34
.LBB114_715:                            ; =>This Inner Loop Header: Depth=1
	s_waitcnt lgkmcnt(0)
	v_cmp_gt_f64_e32 vcc, 0, v[117:118]
	v_xor_b32_e32 v91, 0x80000000, v118
	ds_read2_b64 v[95:98], v90 offset1:1
	v_xor_b32_e32 v99, 0x80000000, v120
	v_add_u32_e32 v90, 16, v90
	s_waitcnt lgkmcnt(0)
	v_xor_b32_e32 v101, 0x80000000, v98
	v_cndmask_b32_e32 v92, v118, v91, vcc
	v_cmp_gt_f64_e32 vcc, 0, v[119:120]
	v_mov_b32_e32 v91, v117
	v_cndmask_b32_e32 v100, v120, v99, vcc
	v_cmp_gt_f64_e32 vcc, 0, v[95:96]
	v_mov_b32_e32 v99, v119
	v_add_f64 v[91:92], v[91:92], v[99:100]
	v_xor_b32_e32 v99, 0x80000000, v96
	v_cndmask_b32_e32 v100, v96, v99, vcc
	v_cmp_gt_f64_e32 vcc, 0, v[97:98]
	v_mov_b32_e32 v99, v95
	v_cndmask_b32_e32 v102, v98, v101, vcc
	v_mov_b32_e32 v101, v97
	v_add_f64 v[99:100], v[99:100], v[101:102]
	v_cmp_lt_f64_e32 vcc, v[91:92], v[99:100]
	v_mov_b32_e32 v91, s0
	s_add_i32 s0, s0, 1
	s_cmp_lg_u32 s3, s0
	v_cndmask_b32_e32 v118, v118, v96, vcc
	v_cndmask_b32_e32 v117, v117, v95, vcc
	;; [unrolled: 1-line block ×5, first 2 shown]
	s_cbranch_scc1 .LBB114_715
.LBB114_716:
	s_waitcnt lgkmcnt(0)
	v_cmp_eq_f64_e32 vcc, 0, v[117:118]
	v_cmp_eq_f64_e64 s[0:1], 0, v[119:120]
	s_and_b64 s[0:1], vcc, s[0:1]
	s_and_saveexec_b64 s[18:19], s[0:1]
	s_xor_b64 s[0:1], exec, s[18:19]
; %bb.717:
	v_cmp_ne_u32_e32 vcc, 0, v94
	v_cndmask_b32_e32 v94, 35, v94, vcc
; %bb.718:
	s_andn2_saveexec_b64 s[0:1], s[0:1]
	s_cbranch_execz .LBB114_724
; %bb.719:
	v_cmp_ngt_f64_e64 s[18:19], |v[117:118]|, |v[119:120]|
	s_and_saveexec_b64 s[20:21], s[18:19]
	s_xor_b64 s[18:19], exec, s[20:21]
	s_cbranch_execz .LBB114_721
; %bb.720:
	v_div_scale_f64 v[90:91], s[20:21], v[119:120], v[119:120], v[117:118]
	v_rcp_f64_e32 v[95:96], v[90:91]
	v_fma_f64 v[97:98], -v[90:91], v[95:96], 1.0
	v_fma_f64 v[95:96], v[95:96], v[97:98], v[95:96]
	v_div_scale_f64 v[97:98], vcc, v[117:118], v[119:120], v[117:118]
	v_fma_f64 v[99:100], -v[90:91], v[95:96], 1.0
	v_fma_f64 v[95:96], v[95:96], v[99:100], v[95:96]
	v_mul_f64 v[99:100], v[97:98], v[95:96]
	v_fma_f64 v[90:91], -v[90:91], v[99:100], v[97:98]
	v_div_fmas_f64 v[90:91], v[90:91], v[95:96], v[99:100]
	v_div_fixup_f64 v[90:91], v[90:91], v[119:120], v[117:118]
	v_fma_f64 v[95:96], v[117:118], v[90:91], v[119:120]
	v_div_scale_f64 v[97:98], s[20:21], v[95:96], v[95:96], 1.0
	v_div_scale_f64 v[103:104], vcc, 1.0, v[95:96], 1.0
	v_rcp_f64_e32 v[99:100], v[97:98]
	v_fma_f64 v[101:102], -v[97:98], v[99:100], 1.0
	v_fma_f64 v[99:100], v[99:100], v[101:102], v[99:100]
	v_fma_f64 v[101:102], -v[97:98], v[99:100], 1.0
	v_fma_f64 v[99:100], v[99:100], v[101:102], v[99:100]
	v_mul_f64 v[101:102], v[103:104], v[99:100]
	v_fma_f64 v[97:98], -v[97:98], v[101:102], v[103:104]
	v_div_fmas_f64 v[97:98], v[97:98], v[99:100], v[101:102]
	v_div_fixup_f64 v[119:120], v[97:98], v[95:96], 1.0
	v_mul_f64 v[117:118], v[90:91], v[119:120]
	v_xor_b32_e32 v120, 0x80000000, v120
.LBB114_721:
	s_andn2_saveexec_b64 s[18:19], s[18:19]
	s_cbranch_execz .LBB114_723
; %bb.722:
	v_div_scale_f64 v[90:91], s[20:21], v[117:118], v[117:118], v[119:120]
	v_rcp_f64_e32 v[95:96], v[90:91]
	v_fma_f64 v[97:98], -v[90:91], v[95:96], 1.0
	v_fma_f64 v[95:96], v[95:96], v[97:98], v[95:96]
	v_div_scale_f64 v[97:98], vcc, v[119:120], v[117:118], v[119:120]
	v_fma_f64 v[99:100], -v[90:91], v[95:96], 1.0
	v_fma_f64 v[95:96], v[95:96], v[99:100], v[95:96]
	v_mul_f64 v[99:100], v[97:98], v[95:96]
	v_fma_f64 v[90:91], -v[90:91], v[99:100], v[97:98]
	v_div_fmas_f64 v[90:91], v[90:91], v[95:96], v[99:100]
	v_div_fixup_f64 v[90:91], v[90:91], v[117:118], v[119:120]
	v_fma_f64 v[95:96], v[119:120], v[90:91], v[117:118]
	v_div_scale_f64 v[97:98], s[20:21], v[95:96], v[95:96], 1.0
	v_div_scale_f64 v[103:104], vcc, 1.0, v[95:96], 1.0
	v_rcp_f64_e32 v[99:100], v[97:98]
	v_fma_f64 v[101:102], -v[97:98], v[99:100], 1.0
	v_fma_f64 v[99:100], v[99:100], v[101:102], v[99:100]
	v_fma_f64 v[101:102], -v[97:98], v[99:100], 1.0
	v_fma_f64 v[99:100], v[99:100], v[101:102], v[99:100]
	v_mul_f64 v[101:102], v[103:104], v[99:100]
	v_fma_f64 v[97:98], -v[97:98], v[101:102], v[103:104]
	v_div_fmas_f64 v[97:98], v[97:98], v[99:100], v[101:102]
	v_div_fixup_f64 v[117:118], v[97:98], v[95:96], 1.0
	v_mul_f64 v[119:120], v[90:91], -v[117:118]
.LBB114_723:
	s_or_b64 exec, exec, s[18:19]
.LBB114_724:
	s_or_b64 exec, exec, s[0:1]
	v_cmp_ne_u32_e32 vcc, v93, v89
	s_mov_b64 s[0:1], exec
	s_and_b64 s[18:19], s[0:1], vcc
	v_mov_b32_e32 v108, v84
	s_xor_b64 s[0:1], s[18:19], s[0:1]
	v_mov_b32_e32 v107, v83
	v_mov_b32_e32 v106, v82
	;; [unrolled: 1-line block ×3, first 2 shown]
	s_mov_b64 exec, s[18:19]
	s_cbranch_execz .LBB114_730
; %bb.725:
	v_cmp_eq_u32_e32 vcc, 34, v93
	s_and_saveexec_b64 s[18:19], vcc
	s_cbranch_execz .LBB114_729
; %bb.726:
	v_cmp_ne_u32_e32 vcc, 34, v89
	s_xor_b64 s[20:21], s[6:7], -1
	s_and_b64 s[22:23], s[20:21], vcc
	s_and_saveexec_b64 s[20:21], s[22:23]
	s_cbranch_execz .LBB114_728
; %bb.727:
	buffer_load_dword v81, off, s[24:27], 0 offset:480 ; 4-byte Folded Reload
	buffer_load_dword v82, off, s[24:27], 0 offset:484 ; 4-byte Folded Reload
	v_ashrrev_i32_e32 v90, 31, v89
	v_lshlrev_b64 v[90:91], 2, v[89:90]
	s_waitcnt vmcnt(1)
	v_add_co_u32_e32 v90, vcc, v81, v90
	s_waitcnt vmcnt(0)
	v_addc_co_u32_e32 v91, vcc, v82, v91, vcc
	global_load_dword v92, v[90:91], off
	global_load_dword v93, v[81:82], off offset:136
	s_waitcnt vmcnt(1)
	global_store_dword v[81:82], v92, off offset:136
	v_mov_b32_e32 v81, v105
	v_mov_b32_e32 v82, v106
	;; [unrolled: 1-line block ×4, first 2 shown]
	s_waitcnt vmcnt(1)
	global_store_dword v[90:91], v93, off
.LBB114_728:
	s_or_b64 exec, exec, s[20:21]
	v_mov_b32_e32 v93, v89
	v_mov_b32_e32 v127, v89
.LBB114_729:
	s_or_b64 exec, exec, s[18:19]
.LBB114_730:
	s_andn2_saveexec_b64 s[0:1], s[0:1]
	s_cbranch_execz .LBB114_732
; %bb.731:
	ds_write2_b64 v0, v[109:110], v[111:112] offset0:70 offset1:71
	ds_write2_b64 v0, v[113:114], v[115:116] offset0:72 offset1:73
	buffer_load_dword v77, off, s[24:27], 0 ; 4-byte Folded Reload
	buffer_load_dword v78, off, s[24:27], 0 offset:4 ; 4-byte Folded Reload
	buffer_load_dword v79, off, s[24:27], 0 offset:8 ; 4-byte Folded Reload
	;; [unrolled: 1-line block ×3, first 2 shown]
	v_mov_b32_e32 v93, 34
	s_waitcnt vmcnt(0)
	ds_write2_b64 v0, v[77:78], v[79:80] offset0:74 offset1:75
	ds_write2_b64 v0, v[73:74], v[75:76] offset0:76 offset1:77
	;; [unrolled: 1-line block ×21, first 2 shown]
.LBB114_732:
	s_or_b64 exec, exec, s[0:1]
	v_cmp_lt_i32_e32 vcc, 34, v93
	s_waitcnt vmcnt(0) lgkmcnt(0)
	s_barrier
	s_and_saveexec_b64 s[0:1], vcc
	s_cbranch_execz .LBB114_734
; %bb.733:
	v_mul_f64 v[91:92], v[117:118], v[87:88]
	v_mul_f64 v[89:90], v[119:120], v[87:88]
	ds_read2_b64 v[95:98], v0 offset0:70 offset1:71
	v_fma_f64 v[87:88], v[119:120], v[85:86], v[91:92]
	v_fma_f64 v[89:90], v[117:118], v[85:86], -v[89:90]
	s_waitcnt lgkmcnt(0)
	v_mul_f64 v[91:92], v[97:98], v[87:88]
	v_mov_b32_e32 v85, v89
	v_mov_b32_e32 v86, v90
	v_fma_f64 v[91:92], v[95:96], v[89:90], -v[91:92]
	v_mul_f64 v[95:96], v[95:96], v[87:88]
	v_add_f64 v[109:110], v[109:110], -v[91:92]
	v_fma_f64 v[95:96], v[97:98], v[89:90], v[95:96]
	v_add_f64 v[111:112], v[111:112], -v[95:96]
	ds_read2_b64 v[95:98], v0 offset0:72 offset1:73
	s_waitcnt lgkmcnt(0)
	v_mul_f64 v[91:92], v[97:98], v[87:88]
	v_fma_f64 v[91:92], v[95:96], v[89:90], -v[91:92]
	v_mul_f64 v[95:96], v[95:96], v[87:88]
	v_add_f64 v[113:114], v[113:114], -v[91:92]
	v_fma_f64 v[95:96], v[97:98], v[89:90], v[95:96]
	v_add_f64 v[115:116], v[115:116], -v[95:96]
	ds_read2_b64 v[95:98], v0 offset0:74 offset1:75
	buffer_load_dword v77, off, s[24:27], 0 ; 4-byte Folded Reload
	buffer_load_dword v78, off, s[24:27], 0 offset:4 ; 4-byte Folded Reload
	buffer_load_dword v79, off, s[24:27], 0 offset:8 ; 4-byte Folded Reload
	;; [unrolled: 1-line block ×3, first 2 shown]
	s_waitcnt lgkmcnt(0)
	v_mul_f64 v[91:92], v[97:98], v[87:88]
	v_fma_f64 v[91:92], v[95:96], v[89:90], -v[91:92]
	v_mul_f64 v[95:96], v[95:96], v[87:88]
	v_fma_f64 v[95:96], v[97:98], v[89:90], v[95:96]
	s_waitcnt vmcnt(2)
	v_add_f64 v[77:78], v[77:78], -v[91:92]
	s_waitcnt vmcnt(0)
	v_add_f64 v[79:80], v[79:80], -v[95:96]
	buffer_store_dword v77, off, s[24:27], 0 ; 4-byte Folded Spill
	s_nop 0
	buffer_store_dword v78, off, s[24:27], 0 offset:4 ; 4-byte Folded Spill
	buffer_store_dword v79, off, s[24:27], 0 offset:8 ; 4-byte Folded Spill
	;; [unrolled: 1-line block ×3, first 2 shown]
	ds_read2_b64 v[95:98], v0 offset0:76 offset1:77
	s_waitcnt lgkmcnt(0)
	v_mul_f64 v[91:92], v[97:98], v[87:88]
	v_fma_f64 v[91:92], v[95:96], v[89:90], -v[91:92]
	v_mul_f64 v[95:96], v[95:96], v[87:88]
	v_add_f64 v[73:74], v[73:74], -v[91:92]
	v_fma_f64 v[95:96], v[97:98], v[89:90], v[95:96]
	v_add_f64 v[75:76], v[75:76], -v[95:96]
	ds_read2_b64 v[95:98], v0 offset0:78 offset1:79
	s_waitcnt lgkmcnt(0)
	v_mul_f64 v[91:92], v[97:98], v[87:88]
	v_fma_f64 v[91:92], v[95:96], v[89:90], -v[91:92]
	v_mul_f64 v[95:96], v[95:96], v[87:88]
	v_add_f64 v[69:70], v[69:70], -v[91:92]
	v_fma_f64 v[95:96], v[97:98], v[89:90], v[95:96]
	v_add_f64 v[71:72], v[71:72], -v[95:96]
	ds_read2_b64 v[95:98], v0 offset0:80 offset1:81
	s_waitcnt lgkmcnt(0)
	v_mul_f64 v[91:92], v[97:98], v[87:88]
	v_fma_f64 v[91:92], v[95:96], v[89:90], -v[91:92]
	v_mul_f64 v[95:96], v[95:96], v[87:88]
	v_add_f64 v[65:66], v[65:66], -v[91:92]
	v_fma_f64 v[95:96], v[97:98], v[89:90], v[95:96]
	v_add_f64 v[67:68], v[67:68], -v[95:96]
	ds_read2_b64 v[95:98], v0 offset0:82 offset1:83
	s_waitcnt lgkmcnt(0)
	v_mul_f64 v[91:92], v[97:98], v[87:88]
	v_fma_f64 v[91:92], v[95:96], v[89:90], -v[91:92]
	v_mul_f64 v[95:96], v[95:96], v[87:88]
	v_add_f64 v[61:62], v[61:62], -v[91:92]
	v_fma_f64 v[95:96], v[97:98], v[89:90], v[95:96]
	v_add_f64 v[63:64], v[63:64], -v[95:96]
	ds_read2_b64 v[95:98], v0 offset0:84 offset1:85
	s_waitcnt lgkmcnt(0)
	v_mul_f64 v[91:92], v[97:98], v[87:88]
	v_fma_f64 v[91:92], v[95:96], v[89:90], -v[91:92]
	v_mul_f64 v[95:96], v[95:96], v[87:88]
	v_add_f64 v[57:58], v[57:58], -v[91:92]
	v_fma_f64 v[95:96], v[97:98], v[89:90], v[95:96]
	v_add_f64 v[59:60], v[59:60], -v[95:96]
	ds_read2_b64 v[95:98], v0 offset0:86 offset1:87
	s_waitcnt lgkmcnt(0)
	v_mul_f64 v[91:92], v[97:98], v[87:88]
	v_fma_f64 v[91:92], v[95:96], v[89:90], -v[91:92]
	v_mul_f64 v[95:96], v[95:96], v[87:88]
	v_add_f64 v[53:54], v[53:54], -v[91:92]
	v_fma_f64 v[95:96], v[97:98], v[89:90], v[95:96]
	v_add_f64 v[55:56], v[55:56], -v[95:96]
	ds_read2_b64 v[95:98], v0 offset0:88 offset1:89
	s_waitcnt lgkmcnt(0)
	v_mul_f64 v[91:92], v[97:98], v[87:88]
	v_fma_f64 v[91:92], v[95:96], v[89:90], -v[91:92]
	v_mul_f64 v[95:96], v[95:96], v[87:88]
	v_add_f64 v[49:50], v[49:50], -v[91:92]
	v_fma_f64 v[95:96], v[97:98], v[89:90], v[95:96]
	v_add_f64 v[51:52], v[51:52], -v[95:96]
	ds_read2_b64 v[95:98], v0 offset0:90 offset1:91
	s_waitcnt lgkmcnt(0)
	v_mul_f64 v[91:92], v[97:98], v[87:88]
	v_fma_f64 v[91:92], v[95:96], v[89:90], -v[91:92]
	v_mul_f64 v[95:96], v[95:96], v[87:88]
	v_add_f64 v[45:46], v[45:46], -v[91:92]
	v_fma_f64 v[95:96], v[97:98], v[89:90], v[95:96]
	v_add_f64 v[47:48], v[47:48], -v[95:96]
	ds_read2_b64 v[95:98], v0 offset0:92 offset1:93
	s_waitcnt lgkmcnt(0)
	v_mul_f64 v[91:92], v[97:98], v[87:88]
	v_fma_f64 v[91:92], v[95:96], v[89:90], -v[91:92]
	v_mul_f64 v[95:96], v[95:96], v[87:88]
	v_add_f64 v[41:42], v[41:42], -v[91:92]
	v_fma_f64 v[95:96], v[97:98], v[89:90], v[95:96]
	v_add_f64 v[43:44], v[43:44], -v[95:96]
	ds_read2_b64 v[95:98], v0 offset0:94 offset1:95
	s_waitcnt lgkmcnt(0)
	v_mul_f64 v[91:92], v[97:98], v[87:88]
	v_fma_f64 v[91:92], v[95:96], v[89:90], -v[91:92]
	v_mul_f64 v[95:96], v[95:96], v[87:88]
	v_add_f64 v[37:38], v[37:38], -v[91:92]
	v_fma_f64 v[95:96], v[97:98], v[89:90], v[95:96]
	v_add_f64 v[39:40], v[39:40], -v[95:96]
	ds_read2_b64 v[95:98], v0 offset0:96 offset1:97
	s_waitcnt lgkmcnt(0)
	v_mul_f64 v[91:92], v[97:98], v[87:88]
	v_fma_f64 v[91:92], v[95:96], v[89:90], -v[91:92]
	v_mul_f64 v[95:96], v[95:96], v[87:88]
	v_add_f64 v[33:34], v[33:34], -v[91:92]
	v_fma_f64 v[95:96], v[97:98], v[89:90], v[95:96]
	v_add_f64 v[35:36], v[35:36], -v[95:96]
	ds_read2_b64 v[95:98], v0 offset0:98 offset1:99
	s_waitcnt lgkmcnt(0)
	v_mul_f64 v[91:92], v[97:98], v[87:88]
	v_fma_f64 v[91:92], v[95:96], v[89:90], -v[91:92]
	v_mul_f64 v[95:96], v[95:96], v[87:88]
	v_add_f64 v[29:30], v[29:30], -v[91:92]
	v_fma_f64 v[95:96], v[97:98], v[89:90], v[95:96]
	v_add_f64 v[31:32], v[31:32], -v[95:96]
	ds_read2_b64 v[95:98], v0 offset0:100 offset1:101
	s_waitcnt lgkmcnt(0)
	v_mul_f64 v[91:92], v[97:98], v[87:88]
	v_fma_f64 v[91:92], v[95:96], v[89:90], -v[91:92]
	v_mul_f64 v[95:96], v[95:96], v[87:88]
	v_add_f64 v[25:26], v[25:26], -v[91:92]
	v_fma_f64 v[95:96], v[97:98], v[89:90], v[95:96]
	v_add_f64 v[27:28], v[27:28], -v[95:96]
	ds_read2_b64 v[95:98], v0 offset0:102 offset1:103
	s_waitcnt lgkmcnt(0)
	v_mul_f64 v[91:92], v[97:98], v[87:88]
	v_fma_f64 v[91:92], v[95:96], v[89:90], -v[91:92]
	v_mul_f64 v[95:96], v[95:96], v[87:88]
	v_add_f64 v[21:22], v[21:22], -v[91:92]
	v_fma_f64 v[95:96], v[97:98], v[89:90], v[95:96]
	v_add_f64 v[23:24], v[23:24], -v[95:96]
	ds_read2_b64 v[95:98], v0 offset0:104 offset1:105
	s_waitcnt lgkmcnt(0)
	v_mul_f64 v[91:92], v[97:98], v[87:88]
	v_fma_f64 v[91:92], v[95:96], v[89:90], -v[91:92]
	v_mul_f64 v[95:96], v[95:96], v[87:88]
	v_add_f64 v[17:18], v[17:18], -v[91:92]
	v_fma_f64 v[95:96], v[97:98], v[89:90], v[95:96]
	v_add_f64 v[19:20], v[19:20], -v[95:96]
	ds_read2_b64 v[95:98], v0 offset0:106 offset1:107
	s_waitcnt lgkmcnt(0)
	v_mul_f64 v[91:92], v[97:98], v[87:88]
	v_fma_f64 v[91:92], v[95:96], v[89:90], -v[91:92]
	v_mul_f64 v[95:96], v[95:96], v[87:88]
	v_add_f64 v[13:14], v[13:14], -v[91:92]
	v_fma_f64 v[95:96], v[97:98], v[89:90], v[95:96]
	v_add_f64 v[15:16], v[15:16], -v[95:96]
	ds_read2_b64 v[95:98], v0 offset0:108 offset1:109
	s_waitcnt lgkmcnt(0)
	v_mul_f64 v[91:92], v[97:98], v[87:88]
	v_fma_f64 v[91:92], v[95:96], v[89:90], -v[91:92]
	v_mul_f64 v[95:96], v[95:96], v[87:88]
	v_add_f64 v[9:10], v[9:10], -v[91:92]
	v_fma_f64 v[95:96], v[97:98], v[89:90], v[95:96]
	v_add_f64 v[11:12], v[11:12], -v[95:96]
	ds_read2_b64 v[95:98], v0 offset0:110 offset1:111
	s_waitcnt lgkmcnt(0)
	v_mul_f64 v[91:92], v[97:98], v[87:88]
	v_fma_f64 v[91:92], v[95:96], v[89:90], -v[91:92]
	v_mul_f64 v[95:96], v[95:96], v[87:88]
	v_add_f64 v[5:6], v[5:6], -v[91:92]
	v_fma_f64 v[95:96], v[97:98], v[89:90], v[95:96]
	v_add_f64 v[7:8], v[7:8], -v[95:96]
	ds_read2_b64 v[95:98], v0 offset0:112 offset1:113
	s_waitcnt lgkmcnt(0)
	v_mul_f64 v[91:92], v[97:98], v[87:88]
	v_fma_f64 v[91:92], v[95:96], v[89:90], -v[91:92]
	v_mul_f64 v[95:96], v[95:96], v[87:88]
	v_add_f64 v[1:2], v[1:2], -v[91:92]
	v_fma_f64 v[95:96], v[97:98], v[89:90], v[95:96]
	v_add_f64 v[3:4], v[3:4], -v[95:96]
	ds_read2_b64 v[95:98], v0 offset0:114 offset1:115
	s_waitcnt lgkmcnt(0)
	v_mul_f64 v[91:92], v[97:98], v[87:88]
	v_fma_f64 v[91:92], v[95:96], v[89:90], -v[91:92]
	v_mul_f64 v[95:96], v[95:96], v[87:88]
	v_add_f64 v[121:122], v[121:122], -v[91:92]
	v_fma_f64 v[95:96], v[97:98], v[89:90], v[95:96]
	v_add_f64 v[123:124], v[123:124], -v[95:96]
.LBB114_734:
	s_or_b64 exec, exec, s[0:1]
	v_lshl_add_u32 v89, v93, 4, v0
	s_waitcnt vmcnt(0)
	s_barrier
	ds_write2_b64 v89, v[109:110], v[111:112] offset1:1
	s_waitcnt lgkmcnt(0)
	s_barrier
	ds_read2_b64 v[117:120], v0 offset0:70 offset1:71
	s_cmp_lt_i32 s3, 37
	v_mov_b32_e32 v89, 35
	s_cbranch_scc1 .LBB114_737
; %bb.735:
	v_add_u32_e32 v90, 0x240, v0
	s_mov_b32 s0, 36
	v_mov_b32_e32 v89, 35
.LBB114_736:                            ; =>This Inner Loop Header: Depth=1
	s_waitcnt lgkmcnt(0)
	v_cmp_gt_f64_e32 vcc, 0, v[117:118]
	v_xor_b32_e32 v91, 0x80000000, v118
	ds_read2_b64 v[95:98], v90 offset1:1
	v_xor_b32_e32 v99, 0x80000000, v120
	v_add_u32_e32 v90, 16, v90
	s_waitcnt lgkmcnt(0)
	v_xor_b32_e32 v101, 0x80000000, v98
	v_cndmask_b32_e32 v92, v118, v91, vcc
	v_cmp_gt_f64_e32 vcc, 0, v[119:120]
	v_mov_b32_e32 v91, v117
	v_cndmask_b32_e32 v100, v120, v99, vcc
	v_cmp_gt_f64_e32 vcc, 0, v[95:96]
	v_mov_b32_e32 v99, v119
	v_add_f64 v[91:92], v[91:92], v[99:100]
	v_xor_b32_e32 v99, 0x80000000, v96
	v_cndmask_b32_e32 v100, v96, v99, vcc
	v_cmp_gt_f64_e32 vcc, 0, v[97:98]
	v_mov_b32_e32 v99, v95
	v_cndmask_b32_e32 v102, v98, v101, vcc
	v_mov_b32_e32 v101, v97
	v_add_f64 v[99:100], v[99:100], v[101:102]
	v_cmp_lt_f64_e32 vcc, v[91:92], v[99:100]
	v_mov_b32_e32 v91, s0
	s_add_i32 s0, s0, 1
	s_cmp_lg_u32 s3, s0
	v_cndmask_b32_e32 v118, v118, v96, vcc
	v_cndmask_b32_e32 v117, v117, v95, vcc
	v_cndmask_b32_e32 v120, v120, v98, vcc
	v_cndmask_b32_e32 v119, v119, v97, vcc
	v_cndmask_b32_e32 v89, v89, v91, vcc
	s_cbranch_scc1 .LBB114_736
.LBB114_737:
	s_waitcnt lgkmcnt(0)
	v_cmp_eq_f64_e32 vcc, 0, v[117:118]
	v_cmp_eq_f64_e64 s[0:1], 0, v[119:120]
	s_and_b64 s[0:1], vcc, s[0:1]
	s_and_saveexec_b64 s[18:19], s[0:1]
	s_xor_b64 s[0:1], exec, s[18:19]
; %bb.738:
	v_cmp_ne_u32_e32 vcc, 0, v94
	v_cndmask_b32_e32 v94, 36, v94, vcc
; %bb.739:
	s_andn2_saveexec_b64 s[0:1], s[0:1]
	s_cbranch_execz .LBB114_745
; %bb.740:
	v_cmp_ngt_f64_e64 s[18:19], |v[117:118]|, |v[119:120]|
	s_and_saveexec_b64 s[20:21], s[18:19]
	s_xor_b64 s[18:19], exec, s[20:21]
	s_cbranch_execz .LBB114_742
; %bb.741:
	v_div_scale_f64 v[90:91], s[20:21], v[119:120], v[119:120], v[117:118]
	v_rcp_f64_e32 v[95:96], v[90:91]
	v_fma_f64 v[97:98], -v[90:91], v[95:96], 1.0
	v_fma_f64 v[95:96], v[95:96], v[97:98], v[95:96]
	v_div_scale_f64 v[97:98], vcc, v[117:118], v[119:120], v[117:118]
	v_fma_f64 v[99:100], -v[90:91], v[95:96], 1.0
	v_fma_f64 v[95:96], v[95:96], v[99:100], v[95:96]
	v_mul_f64 v[99:100], v[97:98], v[95:96]
	v_fma_f64 v[90:91], -v[90:91], v[99:100], v[97:98]
	v_div_fmas_f64 v[90:91], v[90:91], v[95:96], v[99:100]
	v_div_fixup_f64 v[90:91], v[90:91], v[119:120], v[117:118]
	v_fma_f64 v[95:96], v[117:118], v[90:91], v[119:120]
	v_div_scale_f64 v[97:98], s[20:21], v[95:96], v[95:96], 1.0
	v_div_scale_f64 v[103:104], vcc, 1.0, v[95:96], 1.0
	v_rcp_f64_e32 v[99:100], v[97:98]
	v_fma_f64 v[101:102], -v[97:98], v[99:100], 1.0
	v_fma_f64 v[99:100], v[99:100], v[101:102], v[99:100]
	v_fma_f64 v[101:102], -v[97:98], v[99:100], 1.0
	v_fma_f64 v[99:100], v[99:100], v[101:102], v[99:100]
	v_mul_f64 v[101:102], v[103:104], v[99:100]
	v_fma_f64 v[97:98], -v[97:98], v[101:102], v[103:104]
	v_div_fmas_f64 v[97:98], v[97:98], v[99:100], v[101:102]
	v_div_fixup_f64 v[119:120], v[97:98], v[95:96], 1.0
	v_mul_f64 v[117:118], v[90:91], v[119:120]
	v_xor_b32_e32 v120, 0x80000000, v120
.LBB114_742:
	s_andn2_saveexec_b64 s[18:19], s[18:19]
	s_cbranch_execz .LBB114_744
; %bb.743:
	v_div_scale_f64 v[90:91], s[20:21], v[117:118], v[117:118], v[119:120]
	v_rcp_f64_e32 v[95:96], v[90:91]
	v_fma_f64 v[97:98], -v[90:91], v[95:96], 1.0
	v_fma_f64 v[95:96], v[95:96], v[97:98], v[95:96]
	v_div_scale_f64 v[97:98], vcc, v[119:120], v[117:118], v[119:120]
	v_fma_f64 v[99:100], -v[90:91], v[95:96], 1.0
	v_fma_f64 v[95:96], v[95:96], v[99:100], v[95:96]
	v_mul_f64 v[99:100], v[97:98], v[95:96]
	v_fma_f64 v[90:91], -v[90:91], v[99:100], v[97:98]
	v_div_fmas_f64 v[90:91], v[90:91], v[95:96], v[99:100]
	v_div_fixup_f64 v[90:91], v[90:91], v[117:118], v[119:120]
	v_fma_f64 v[95:96], v[119:120], v[90:91], v[117:118]
	v_div_scale_f64 v[97:98], s[20:21], v[95:96], v[95:96], 1.0
	v_div_scale_f64 v[103:104], vcc, 1.0, v[95:96], 1.0
	v_rcp_f64_e32 v[99:100], v[97:98]
	v_fma_f64 v[101:102], -v[97:98], v[99:100], 1.0
	v_fma_f64 v[99:100], v[99:100], v[101:102], v[99:100]
	v_fma_f64 v[101:102], -v[97:98], v[99:100], 1.0
	v_fma_f64 v[99:100], v[99:100], v[101:102], v[99:100]
	v_mul_f64 v[101:102], v[103:104], v[99:100]
	v_fma_f64 v[97:98], -v[97:98], v[101:102], v[103:104]
	v_div_fmas_f64 v[97:98], v[97:98], v[99:100], v[101:102]
	v_div_fixup_f64 v[117:118], v[97:98], v[95:96], 1.0
	v_mul_f64 v[119:120], v[90:91], -v[117:118]
.LBB114_744:
	s_or_b64 exec, exec, s[18:19]
.LBB114_745:
	s_or_b64 exec, exec, s[0:1]
	v_cmp_ne_u32_e32 vcc, v93, v89
	s_and_saveexec_b64 s[0:1], vcc
	s_xor_b64 s[0:1], exec, s[0:1]
	s_cbranch_execz .LBB114_751
; %bb.746:
	v_cmp_eq_u32_e32 vcc, 35, v93
	s_and_saveexec_b64 s[18:19], vcc
	s_cbranch_execz .LBB114_750
; %bb.747:
	v_cmp_ne_u32_e32 vcc, 35, v89
	s_xor_b64 s[20:21], s[6:7], -1
	s_and_b64 s[22:23], s[20:21], vcc
	s_and_saveexec_b64 s[20:21], s[22:23]
	s_cbranch_execz .LBB114_749
; %bb.748:
	buffer_load_dword v81, off, s[24:27], 0 offset:480 ; 4-byte Folded Reload
	buffer_load_dword v82, off, s[24:27], 0 offset:484 ; 4-byte Folded Reload
	v_ashrrev_i32_e32 v90, 31, v89
	v_lshlrev_b64 v[90:91], 2, v[89:90]
	s_waitcnt vmcnt(1)
	v_add_co_u32_e32 v90, vcc, v81, v90
	s_waitcnt vmcnt(0)
	v_addc_co_u32_e32 v91, vcc, v82, v91, vcc
	global_load_dword v92, v[90:91], off
	global_load_dword v93, v[81:82], off offset:140
	s_waitcnt vmcnt(1)
	global_store_dword v[81:82], v92, off offset:140
	v_mov_b32_e32 v81, v105
	v_mov_b32_e32 v82, v106
	;; [unrolled: 1-line block ×4, first 2 shown]
	s_waitcnt vmcnt(1)
	global_store_dword v[90:91], v93, off
.LBB114_749:
	s_or_b64 exec, exec, s[20:21]
	v_mov_b32_e32 v93, v89
	v_mov_b32_e32 v127, v89
.LBB114_750:
	s_or_b64 exec, exec, s[18:19]
.LBB114_751:
	s_andn2_saveexec_b64 s[0:1], s[0:1]
	s_cbranch_execz .LBB114_753
; %bb.752:
	ds_write2_b64 v0, v[113:114], v[115:116] offset0:72 offset1:73
	buffer_load_dword v77, off, s[24:27], 0 ; 4-byte Folded Reload
	buffer_load_dword v78, off, s[24:27], 0 offset:4 ; 4-byte Folded Reload
	buffer_load_dword v79, off, s[24:27], 0 offset:8 ; 4-byte Folded Reload
	;; [unrolled: 1-line block ×3, first 2 shown]
	v_mov_b32_e32 v93, 35
	s_waitcnt vmcnt(0)
	ds_write2_b64 v0, v[77:78], v[79:80] offset0:74 offset1:75
	ds_write2_b64 v0, v[73:74], v[75:76] offset0:76 offset1:77
	ds_write2_b64 v0, v[69:70], v[71:72] offset0:78 offset1:79
	ds_write2_b64 v0, v[65:66], v[67:68] offset0:80 offset1:81
	ds_write2_b64 v0, v[61:62], v[63:64] offset0:82 offset1:83
	ds_write2_b64 v0, v[57:58], v[59:60] offset0:84 offset1:85
	ds_write2_b64 v0, v[53:54], v[55:56] offset0:86 offset1:87
	ds_write2_b64 v0, v[49:50], v[51:52] offset0:88 offset1:89
	ds_write2_b64 v0, v[45:46], v[47:48] offset0:90 offset1:91
	ds_write2_b64 v0, v[41:42], v[43:44] offset0:92 offset1:93
	ds_write2_b64 v0, v[37:38], v[39:40] offset0:94 offset1:95
	ds_write2_b64 v0, v[33:34], v[35:36] offset0:96 offset1:97
	ds_write2_b64 v0, v[29:30], v[31:32] offset0:98 offset1:99
	ds_write2_b64 v0, v[25:26], v[27:28] offset0:100 offset1:101
	ds_write2_b64 v0, v[21:22], v[23:24] offset0:102 offset1:103
	ds_write2_b64 v0, v[17:18], v[19:20] offset0:104 offset1:105
	ds_write2_b64 v0, v[13:14], v[15:16] offset0:106 offset1:107
	ds_write2_b64 v0, v[9:10], v[11:12] offset0:108 offset1:109
	ds_write2_b64 v0, v[5:6], v[7:8] offset0:110 offset1:111
	ds_write2_b64 v0, v[1:2], v[3:4] offset0:112 offset1:113
	ds_write2_b64 v0, v[121:122], v[123:124] offset0:114 offset1:115
.LBB114_753:
	s_or_b64 exec, exec, s[0:1]
	v_cmp_lt_i32_e32 vcc, 35, v93
	s_waitcnt vmcnt(0) lgkmcnt(0)
	s_barrier
	s_and_saveexec_b64 s[0:1], vcc
	s_cbranch_execz .LBB114_755
; %bb.754:
	v_mov_b32_e32 v81, v85
	v_mov_b32_e32 v82, v86
	;; [unrolled: 1-line block ×4, first 2 shown]
	v_mul_f64 v[87:88], v[117:118], v[111:112]
	v_mul_f64 v[89:90], v[119:120], v[111:112]
	ds_read2_b64 v[95:98], v0 offset0:72 offset1:73
	v_fma_f64 v[111:112], v[119:120], v[109:110], v[87:88]
	v_fma_f64 v[89:90], v[117:118], v[109:110], -v[89:90]
	s_waitcnt lgkmcnt(0)
	v_mul_f64 v[85:86], v[97:98], v[111:112]
	v_mul_f64 v[91:92], v[95:96], v[111:112]
	v_mov_b32_e32 v110, v90
	v_mov_b32_e32 v109, v89
	v_fma_f64 v[85:86], v[95:96], v[89:90], -v[85:86]
	v_fma_f64 v[91:92], v[97:98], v[89:90], v[91:92]
	ds_read2_b64 v[95:98], v0 offset0:74 offset1:75
	buffer_load_dword v77, off, s[24:27], 0 ; 4-byte Folded Reload
	buffer_load_dword v78, off, s[24:27], 0 offset:4 ; 4-byte Folded Reload
	buffer_load_dword v79, off, s[24:27], 0 offset:8 ; 4-byte Folded Reload
	;; [unrolled: 1-line block ×3, first 2 shown]
	v_add_f64 v[113:114], v[113:114], -v[85:86]
	v_add_f64 v[115:116], v[115:116], -v[91:92]
	s_waitcnt lgkmcnt(0)
	v_mul_f64 v[85:86], v[97:98], v[111:112]
	v_mul_f64 v[91:92], v[95:96], v[111:112]
	v_fma_f64 v[85:86], v[95:96], v[89:90], -v[85:86]
	v_fma_f64 v[91:92], v[97:98], v[89:90], v[91:92]
	s_waitcnt vmcnt(2)
	v_add_f64 v[77:78], v[77:78], -v[85:86]
	s_waitcnt vmcnt(0)
	v_add_f64 v[79:80], v[79:80], -v[91:92]
	buffer_store_dword v77, off, s[24:27], 0 ; 4-byte Folded Spill
	s_nop 0
	buffer_store_dword v78, off, s[24:27], 0 offset:4 ; 4-byte Folded Spill
	buffer_store_dword v79, off, s[24:27], 0 offset:8 ; 4-byte Folded Spill
	;; [unrolled: 1-line block ×3, first 2 shown]
	ds_read2_b64 v[95:98], v0 offset0:76 offset1:77
	s_waitcnt lgkmcnt(0)
	v_mul_f64 v[85:86], v[97:98], v[111:112]
	v_mul_f64 v[91:92], v[95:96], v[111:112]
	v_fma_f64 v[85:86], v[95:96], v[89:90], -v[85:86]
	v_fma_f64 v[91:92], v[97:98], v[89:90], v[91:92]
	ds_read2_b64 v[95:98], v0 offset0:78 offset1:79
	v_add_f64 v[73:74], v[73:74], -v[85:86]
	v_add_f64 v[75:76], v[75:76], -v[91:92]
	s_waitcnt lgkmcnt(0)
	v_mul_f64 v[85:86], v[97:98], v[111:112]
	v_mul_f64 v[91:92], v[95:96], v[111:112]
	v_fma_f64 v[85:86], v[95:96], v[89:90], -v[85:86]
	v_fma_f64 v[91:92], v[97:98], v[89:90], v[91:92]
	ds_read2_b64 v[95:98], v0 offset0:80 offset1:81
	v_add_f64 v[69:70], v[69:70], -v[85:86]
	v_add_f64 v[71:72], v[71:72], -v[91:92]
	;; [unrolled: 8-line block ×19, first 2 shown]
	s_waitcnt lgkmcnt(0)
	v_mul_f64 v[85:86], v[97:98], v[111:112]
	v_mul_f64 v[91:92], v[95:96], v[111:112]
	v_fma_f64 v[85:86], v[95:96], v[89:90], -v[85:86]
	v_fma_f64 v[91:92], v[97:98], v[89:90], v[91:92]
	v_add_f64 v[121:122], v[121:122], -v[85:86]
	v_add_f64 v[123:124], v[123:124], -v[91:92]
	v_mov_b32_e32 v88, v84
	v_mov_b32_e32 v87, v83
	;; [unrolled: 1-line block ×8, first 2 shown]
.LBB114_755:
	s_or_b64 exec, exec, s[0:1]
	v_lshl_add_u32 v89, v93, 4, v0
	s_waitcnt vmcnt(0)
	s_barrier
	ds_write2_b64 v89, v[113:114], v[115:116] offset1:1
	s_waitcnt lgkmcnt(0)
	s_barrier
	ds_read2_b64 v[117:120], v0 offset0:72 offset1:73
	s_cmp_lt_i32 s3, 38
	v_mov_b32_e32 v89, 36
	s_cbranch_scc1 .LBB114_758
; %bb.756:
	v_add_u32_e32 v90, 0x250, v0
	s_mov_b32 s0, 37
	v_mov_b32_e32 v89, 36
.LBB114_757:                            ; =>This Inner Loop Header: Depth=1
	s_waitcnt lgkmcnt(0)
	v_cmp_gt_f64_e32 vcc, 0, v[117:118]
	v_xor_b32_e32 v91, 0x80000000, v118
	ds_read2_b64 v[95:98], v90 offset1:1
	v_xor_b32_e32 v99, 0x80000000, v120
	v_add_u32_e32 v90, 16, v90
	s_waitcnt lgkmcnt(0)
	v_xor_b32_e32 v101, 0x80000000, v98
	v_cndmask_b32_e32 v92, v118, v91, vcc
	v_cmp_gt_f64_e32 vcc, 0, v[119:120]
	v_mov_b32_e32 v91, v117
	v_cndmask_b32_e32 v100, v120, v99, vcc
	v_cmp_gt_f64_e32 vcc, 0, v[95:96]
	v_mov_b32_e32 v99, v119
	v_add_f64 v[91:92], v[91:92], v[99:100]
	v_xor_b32_e32 v99, 0x80000000, v96
	v_cndmask_b32_e32 v100, v96, v99, vcc
	v_cmp_gt_f64_e32 vcc, 0, v[97:98]
	v_mov_b32_e32 v99, v95
	v_cndmask_b32_e32 v102, v98, v101, vcc
	v_mov_b32_e32 v101, v97
	v_add_f64 v[99:100], v[99:100], v[101:102]
	v_cmp_lt_f64_e32 vcc, v[91:92], v[99:100]
	v_mov_b32_e32 v91, s0
	s_add_i32 s0, s0, 1
	s_cmp_lg_u32 s3, s0
	v_cndmask_b32_e32 v118, v118, v96, vcc
	v_cndmask_b32_e32 v117, v117, v95, vcc
	;; [unrolled: 1-line block ×5, first 2 shown]
	s_cbranch_scc1 .LBB114_757
.LBB114_758:
	s_waitcnt lgkmcnt(0)
	v_cmp_eq_f64_e32 vcc, 0, v[117:118]
	v_cmp_eq_f64_e64 s[0:1], 0, v[119:120]
	s_and_b64 s[0:1], vcc, s[0:1]
	s_and_saveexec_b64 s[18:19], s[0:1]
	s_xor_b64 s[0:1], exec, s[18:19]
; %bb.759:
	v_cmp_ne_u32_e32 vcc, 0, v94
	v_cndmask_b32_e32 v94, 37, v94, vcc
; %bb.760:
	s_andn2_saveexec_b64 s[0:1], s[0:1]
	s_cbranch_execz .LBB114_766
; %bb.761:
	v_cmp_ngt_f64_e64 s[18:19], |v[117:118]|, |v[119:120]|
	s_and_saveexec_b64 s[20:21], s[18:19]
	s_xor_b64 s[18:19], exec, s[20:21]
	s_cbranch_execz .LBB114_763
; %bb.762:
	v_div_scale_f64 v[90:91], s[20:21], v[119:120], v[119:120], v[117:118]
	v_rcp_f64_e32 v[95:96], v[90:91]
	v_fma_f64 v[97:98], -v[90:91], v[95:96], 1.0
	v_fma_f64 v[95:96], v[95:96], v[97:98], v[95:96]
	v_div_scale_f64 v[97:98], vcc, v[117:118], v[119:120], v[117:118]
	v_fma_f64 v[99:100], -v[90:91], v[95:96], 1.0
	v_fma_f64 v[95:96], v[95:96], v[99:100], v[95:96]
	v_mul_f64 v[99:100], v[97:98], v[95:96]
	v_fma_f64 v[90:91], -v[90:91], v[99:100], v[97:98]
	v_div_fmas_f64 v[90:91], v[90:91], v[95:96], v[99:100]
	v_div_fixup_f64 v[90:91], v[90:91], v[119:120], v[117:118]
	v_fma_f64 v[95:96], v[117:118], v[90:91], v[119:120]
	v_div_scale_f64 v[97:98], s[20:21], v[95:96], v[95:96], 1.0
	v_div_scale_f64 v[103:104], vcc, 1.0, v[95:96], 1.0
	v_rcp_f64_e32 v[99:100], v[97:98]
	v_fma_f64 v[101:102], -v[97:98], v[99:100], 1.0
	v_fma_f64 v[99:100], v[99:100], v[101:102], v[99:100]
	v_fma_f64 v[101:102], -v[97:98], v[99:100], 1.0
	v_fma_f64 v[99:100], v[99:100], v[101:102], v[99:100]
	v_mul_f64 v[101:102], v[103:104], v[99:100]
	v_fma_f64 v[97:98], -v[97:98], v[101:102], v[103:104]
	v_div_fmas_f64 v[97:98], v[97:98], v[99:100], v[101:102]
	v_div_fixup_f64 v[119:120], v[97:98], v[95:96], 1.0
	v_mul_f64 v[117:118], v[90:91], v[119:120]
	v_xor_b32_e32 v120, 0x80000000, v120
.LBB114_763:
	s_andn2_saveexec_b64 s[18:19], s[18:19]
	s_cbranch_execz .LBB114_765
; %bb.764:
	v_div_scale_f64 v[90:91], s[20:21], v[117:118], v[117:118], v[119:120]
	v_rcp_f64_e32 v[95:96], v[90:91]
	v_fma_f64 v[97:98], -v[90:91], v[95:96], 1.0
	v_fma_f64 v[95:96], v[95:96], v[97:98], v[95:96]
	v_div_scale_f64 v[97:98], vcc, v[119:120], v[117:118], v[119:120]
	v_fma_f64 v[99:100], -v[90:91], v[95:96], 1.0
	v_fma_f64 v[95:96], v[95:96], v[99:100], v[95:96]
	v_mul_f64 v[99:100], v[97:98], v[95:96]
	v_fma_f64 v[90:91], -v[90:91], v[99:100], v[97:98]
	v_div_fmas_f64 v[90:91], v[90:91], v[95:96], v[99:100]
	v_div_fixup_f64 v[90:91], v[90:91], v[117:118], v[119:120]
	v_fma_f64 v[95:96], v[119:120], v[90:91], v[117:118]
	v_div_scale_f64 v[97:98], s[20:21], v[95:96], v[95:96], 1.0
	v_div_scale_f64 v[103:104], vcc, 1.0, v[95:96], 1.0
	v_rcp_f64_e32 v[99:100], v[97:98]
	v_fma_f64 v[101:102], -v[97:98], v[99:100], 1.0
	v_fma_f64 v[99:100], v[99:100], v[101:102], v[99:100]
	v_fma_f64 v[101:102], -v[97:98], v[99:100], 1.0
	v_fma_f64 v[99:100], v[99:100], v[101:102], v[99:100]
	v_mul_f64 v[101:102], v[103:104], v[99:100]
	v_fma_f64 v[97:98], -v[97:98], v[101:102], v[103:104]
	v_div_fmas_f64 v[97:98], v[97:98], v[99:100], v[101:102]
	v_div_fixup_f64 v[117:118], v[97:98], v[95:96], 1.0
	v_mul_f64 v[119:120], v[90:91], -v[117:118]
.LBB114_765:
	s_or_b64 exec, exec, s[18:19]
.LBB114_766:
	s_or_b64 exec, exec, s[0:1]
	v_cmp_ne_u32_e32 vcc, v93, v89
	s_and_saveexec_b64 s[0:1], vcc
	s_xor_b64 s[0:1], exec, s[0:1]
	s_cbranch_execz .LBB114_772
; %bb.767:
	v_cmp_eq_u32_e32 vcc, 36, v93
	s_and_saveexec_b64 s[18:19], vcc
	s_cbranch_execz .LBB114_771
; %bb.768:
	v_cmp_ne_u32_e32 vcc, 36, v89
	s_xor_b64 s[20:21], s[6:7], -1
	s_and_b64 s[22:23], s[20:21], vcc
	s_and_saveexec_b64 s[20:21], s[22:23]
	s_cbranch_execz .LBB114_770
; %bb.769:
	buffer_load_dword v81, off, s[24:27], 0 offset:480 ; 4-byte Folded Reload
	buffer_load_dword v82, off, s[24:27], 0 offset:484 ; 4-byte Folded Reload
	v_ashrrev_i32_e32 v90, 31, v89
	v_lshlrev_b64 v[90:91], 2, v[89:90]
	s_waitcnt vmcnt(1)
	v_add_co_u32_e32 v90, vcc, v81, v90
	s_waitcnt vmcnt(0)
	v_addc_co_u32_e32 v91, vcc, v82, v91, vcc
	global_load_dword v92, v[90:91], off
	global_load_dword v93, v[81:82], off offset:144
	s_waitcnt vmcnt(1)
	global_store_dword v[81:82], v92, off offset:144
	v_mov_b32_e32 v81, v105
	v_mov_b32_e32 v82, v106
	;; [unrolled: 1-line block ×4, first 2 shown]
	s_waitcnt vmcnt(1)
	global_store_dword v[90:91], v93, off
.LBB114_770:
	s_or_b64 exec, exec, s[20:21]
	v_mov_b32_e32 v93, v89
	v_mov_b32_e32 v127, v89
.LBB114_771:
	s_or_b64 exec, exec, s[18:19]
.LBB114_772:
	s_andn2_saveexec_b64 s[0:1], s[0:1]
	s_cbranch_execz .LBB114_774
; %bb.773:
	buffer_load_dword v77, off, s[24:27], 0 ; 4-byte Folded Reload
	buffer_load_dword v78, off, s[24:27], 0 offset:4 ; 4-byte Folded Reload
	buffer_load_dword v79, off, s[24:27], 0 offset:8 ; 4-byte Folded Reload
	buffer_load_dword v80, off, s[24:27], 0 offset:12 ; 4-byte Folded Reload
	v_mov_b32_e32 v93, 36
	s_waitcnt vmcnt(0)
	ds_write2_b64 v0, v[77:78], v[79:80] offset0:74 offset1:75
	ds_write2_b64 v0, v[73:74], v[75:76] offset0:76 offset1:77
	;; [unrolled: 1-line block ×21, first 2 shown]
.LBB114_774:
	s_or_b64 exec, exec, s[0:1]
	v_cmp_lt_i32_e32 vcc, 36, v93
	s_waitcnt vmcnt(0) lgkmcnt(0)
	s_barrier
	s_and_saveexec_b64 s[0:1], vcc
	s_cbranch_execz .LBB114_776
; %bb.775:
	ds_read2_b64 v[95:98], v0 offset0:74 offset1:75
	buffer_load_dword v77, off, s[24:27], 0 ; 4-byte Folded Reload
	buffer_load_dword v78, off, s[24:27], 0 offset:4 ; 4-byte Folded Reload
	buffer_load_dword v79, off, s[24:27], 0 offset:8 ; 4-byte Folded Reload
	;; [unrolled: 1-line block ×3, first 2 shown]
	v_mul_f64 v[83:84], v[117:118], v[115:116]
	v_mul_f64 v[89:90], v[119:120], v[115:116]
	v_fma_f64 v[115:116], v[119:120], v[113:114], v[83:84]
	v_fma_f64 v[89:90], v[117:118], v[113:114], -v[89:90]
	s_waitcnt lgkmcnt(0)
	v_mul_f64 v[81:82], v[97:98], v[115:116]
	v_mul_f64 v[91:92], v[95:96], v[115:116]
	v_mov_b32_e32 v114, v90
	v_mov_b32_e32 v113, v89
	v_fma_f64 v[81:82], v[95:96], v[89:90], -v[81:82]
	v_fma_f64 v[91:92], v[97:98], v[89:90], v[91:92]
	s_waitcnt vmcnt(2)
	v_add_f64 v[77:78], v[77:78], -v[81:82]
	s_waitcnt vmcnt(0)
	v_add_f64 v[79:80], v[79:80], -v[91:92]
	buffer_store_dword v77, off, s[24:27], 0 ; 4-byte Folded Spill
	s_nop 0
	buffer_store_dword v78, off, s[24:27], 0 offset:4 ; 4-byte Folded Spill
	buffer_store_dword v79, off, s[24:27], 0 offset:8 ; 4-byte Folded Spill
	;; [unrolled: 1-line block ×3, first 2 shown]
	ds_read2_b64 v[95:98], v0 offset0:76 offset1:77
	s_waitcnt lgkmcnt(0)
	v_mul_f64 v[81:82], v[97:98], v[115:116]
	v_mul_f64 v[91:92], v[95:96], v[115:116]
	v_fma_f64 v[81:82], v[95:96], v[89:90], -v[81:82]
	v_fma_f64 v[91:92], v[97:98], v[89:90], v[91:92]
	ds_read2_b64 v[95:98], v0 offset0:78 offset1:79
	v_add_f64 v[73:74], v[73:74], -v[81:82]
	v_add_f64 v[75:76], v[75:76], -v[91:92]
	s_waitcnt lgkmcnt(0)
	v_mul_f64 v[81:82], v[97:98], v[115:116]
	v_mul_f64 v[91:92], v[95:96], v[115:116]
	v_fma_f64 v[81:82], v[95:96], v[89:90], -v[81:82]
	v_fma_f64 v[91:92], v[97:98], v[89:90], v[91:92]
	ds_read2_b64 v[95:98], v0 offset0:80 offset1:81
	v_add_f64 v[69:70], v[69:70], -v[81:82]
	v_add_f64 v[71:72], v[71:72], -v[91:92]
	;; [unrolled: 8-line block ×19, first 2 shown]
	s_waitcnt lgkmcnt(0)
	v_mul_f64 v[81:82], v[97:98], v[115:116]
	v_mul_f64 v[91:92], v[95:96], v[115:116]
	v_fma_f64 v[81:82], v[95:96], v[89:90], -v[81:82]
	v_fma_f64 v[91:92], v[97:98], v[89:90], v[91:92]
	v_add_f64 v[121:122], v[121:122], -v[81:82]
	v_add_f64 v[123:124], v[123:124], -v[91:92]
	v_mov_b32_e32 v81, v105
	v_mov_b32_e32 v82, v106
	;; [unrolled: 1-line block ×4, first 2 shown]
.LBB114_776:
	s_or_b64 exec, exec, s[0:1]
	s_waitcnt vmcnt(0)
	s_barrier
	buffer_load_dword v77, off, s[24:27], 0 ; 4-byte Folded Reload
	buffer_load_dword v78, off, s[24:27], 0 offset:4 ; 4-byte Folded Reload
	buffer_load_dword v79, off, s[24:27], 0 offset:8 ; 4-byte Folded Reload
	;; [unrolled: 1-line block ×3, first 2 shown]
	v_lshl_add_u32 v89, v93, 4, v0
	s_cmp_lt_i32 s3, 39
	s_waitcnt vmcnt(0)
	ds_write2_b64 v89, v[77:78], v[79:80] offset1:1
	s_waitcnt lgkmcnt(0)
	s_barrier
	ds_read2_b64 v[117:120], v0 offset0:74 offset1:75
	v_mov_b32_e32 v89, 37
	s_cbranch_scc1 .LBB114_779
; %bb.777:
	v_add_u32_e32 v90, 0x260, v0
	s_mov_b32 s0, 38
	v_mov_b32_e32 v89, 37
.LBB114_778:                            ; =>This Inner Loop Header: Depth=1
	s_waitcnt lgkmcnt(0)
	v_cmp_gt_f64_e32 vcc, 0, v[117:118]
	v_xor_b32_e32 v91, 0x80000000, v118
	ds_read2_b64 v[95:98], v90 offset1:1
	v_xor_b32_e32 v99, 0x80000000, v120
	v_add_u32_e32 v90, 16, v90
	s_waitcnt lgkmcnt(0)
	v_xor_b32_e32 v101, 0x80000000, v98
	v_cndmask_b32_e32 v92, v118, v91, vcc
	v_cmp_gt_f64_e32 vcc, 0, v[119:120]
	v_mov_b32_e32 v91, v117
	v_cndmask_b32_e32 v100, v120, v99, vcc
	v_cmp_gt_f64_e32 vcc, 0, v[95:96]
	v_mov_b32_e32 v99, v119
	v_add_f64 v[91:92], v[91:92], v[99:100]
	v_xor_b32_e32 v99, 0x80000000, v96
	v_cndmask_b32_e32 v100, v96, v99, vcc
	v_cmp_gt_f64_e32 vcc, 0, v[97:98]
	v_mov_b32_e32 v99, v95
	v_cndmask_b32_e32 v102, v98, v101, vcc
	v_mov_b32_e32 v101, v97
	v_add_f64 v[99:100], v[99:100], v[101:102]
	v_cmp_lt_f64_e32 vcc, v[91:92], v[99:100]
	v_mov_b32_e32 v91, s0
	s_add_i32 s0, s0, 1
	s_cmp_lg_u32 s3, s0
	v_cndmask_b32_e32 v118, v118, v96, vcc
	v_cndmask_b32_e32 v117, v117, v95, vcc
	;; [unrolled: 1-line block ×5, first 2 shown]
	s_cbranch_scc1 .LBB114_778
.LBB114_779:
	s_waitcnt lgkmcnt(0)
	v_cmp_eq_f64_e32 vcc, 0, v[117:118]
	v_cmp_eq_f64_e64 s[0:1], 0, v[119:120]
	s_and_b64 s[0:1], vcc, s[0:1]
	s_and_saveexec_b64 s[18:19], s[0:1]
	s_xor_b64 s[0:1], exec, s[18:19]
; %bb.780:
	v_cmp_ne_u32_e32 vcc, 0, v94
	v_cndmask_b32_e32 v94, 38, v94, vcc
; %bb.781:
	s_andn2_saveexec_b64 s[0:1], s[0:1]
	s_cbranch_execz .LBB114_787
; %bb.782:
	v_cmp_ngt_f64_e64 s[18:19], |v[117:118]|, |v[119:120]|
	s_and_saveexec_b64 s[20:21], s[18:19]
	s_xor_b64 s[18:19], exec, s[20:21]
	s_cbranch_execz .LBB114_784
; %bb.783:
	v_div_scale_f64 v[90:91], s[20:21], v[119:120], v[119:120], v[117:118]
	v_rcp_f64_e32 v[95:96], v[90:91]
	v_fma_f64 v[97:98], -v[90:91], v[95:96], 1.0
	v_fma_f64 v[95:96], v[95:96], v[97:98], v[95:96]
	v_div_scale_f64 v[97:98], vcc, v[117:118], v[119:120], v[117:118]
	v_fma_f64 v[99:100], -v[90:91], v[95:96], 1.0
	v_fma_f64 v[95:96], v[95:96], v[99:100], v[95:96]
	v_mul_f64 v[99:100], v[97:98], v[95:96]
	v_fma_f64 v[90:91], -v[90:91], v[99:100], v[97:98]
	v_div_fmas_f64 v[90:91], v[90:91], v[95:96], v[99:100]
	v_div_fixup_f64 v[90:91], v[90:91], v[119:120], v[117:118]
	v_fma_f64 v[95:96], v[117:118], v[90:91], v[119:120]
	v_div_scale_f64 v[97:98], s[20:21], v[95:96], v[95:96], 1.0
	v_div_scale_f64 v[103:104], vcc, 1.0, v[95:96], 1.0
	v_rcp_f64_e32 v[99:100], v[97:98]
	v_fma_f64 v[101:102], -v[97:98], v[99:100], 1.0
	v_fma_f64 v[99:100], v[99:100], v[101:102], v[99:100]
	v_fma_f64 v[101:102], -v[97:98], v[99:100], 1.0
	v_fma_f64 v[99:100], v[99:100], v[101:102], v[99:100]
	v_mul_f64 v[101:102], v[103:104], v[99:100]
	v_fma_f64 v[97:98], -v[97:98], v[101:102], v[103:104]
	v_div_fmas_f64 v[97:98], v[97:98], v[99:100], v[101:102]
	v_div_fixup_f64 v[119:120], v[97:98], v[95:96], 1.0
	v_mul_f64 v[117:118], v[90:91], v[119:120]
	v_xor_b32_e32 v120, 0x80000000, v120
.LBB114_784:
	s_andn2_saveexec_b64 s[18:19], s[18:19]
	s_cbranch_execz .LBB114_786
; %bb.785:
	v_div_scale_f64 v[90:91], s[20:21], v[117:118], v[117:118], v[119:120]
	v_rcp_f64_e32 v[95:96], v[90:91]
	v_fma_f64 v[97:98], -v[90:91], v[95:96], 1.0
	v_fma_f64 v[95:96], v[95:96], v[97:98], v[95:96]
	v_div_scale_f64 v[97:98], vcc, v[119:120], v[117:118], v[119:120]
	v_fma_f64 v[99:100], -v[90:91], v[95:96], 1.0
	v_fma_f64 v[95:96], v[95:96], v[99:100], v[95:96]
	v_mul_f64 v[99:100], v[97:98], v[95:96]
	v_fma_f64 v[90:91], -v[90:91], v[99:100], v[97:98]
	v_div_fmas_f64 v[90:91], v[90:91], v[95:96], v[99:100]
	v_div_fixup_f64 v[90:91], v[90:91], v[117:118], v[119:120]
	v_fma_f64 v[95:96], v[119:120], v[90:91], v[117:118]
	v_div_scale_f64 v[97:98], s[20:21], v[95:96], v[95:96], 1.0
	v_div_scale_f64 v[103:104], vcc, 1.0, v[95:96], 1.0
	v_rcp_f64_e32 v[99:100], v[97:98]
	v_fma_f64 v[101:102], -v[97:98], v[99:100], 1.0
	v_fma_f64 v[99:100], v[99:100], v[101:102], v[99:100]
	v_fma_f64 v[101:102], -v[97:98], v[99:100], 1.0
	v_fma_f64 v[99:100], v[99:100], v[101:102], v[99:100]
	v_mul_f64 v[101:102], v[103:104], v[99:100]
	v_fma_f64 v[97:98], -v[97:98], v[101:102], v[103:104]
	v_div_fmas_f64 v[97:98], v[97:98], v[99:100], v[101:102]
	v_div_fixup_f64 v[117:118], v[97:98], v[95:96], 1.0
	v_mul_f64 v[119:120], v[90:91], -v[117:118]
.LBB114_786:
	s_or_b64 exec, exec, s[18:19]
.LBB114_787:
	s_or_b64 exec, exec, s[0:1]
	v_cmp_ne_u32_e32 vcc, v93, v89
	s_and_saveexec_b64 s[0:1], vcc
	s_xor_b64 s[0:1], exec, s[0:1]
	s_cbranch_execz .LBB114_793
; %bb.788:
	v_cmp_eq_u32_e32 vcc, 37, v93
	s_and_saveexec_b64 s[18:19], vcc
	s_cbranch_execz .LBB114_792
; %bb.789:
	v_cmp_ne_u32_e32 vcc, 37, v89
	s_xor_b64 s[20:21], s[6:7], -1
	s_and_b64 s[22:23], s[20:21], vcc
	s_and_saveexec_b64 s[20:21], s[22:23]
	s_cbranch_execz .LBB114_791
; %bb.790:
	buffer_load_dword v81, off, s[24:27], 0 offset:480 ; 4-byte Folded Reload
	buffer_load_dword v82, off, s[24:27], 0 offset:484 ; 4-byte Folded Reload
	v_ashrrev_i32_e32 v90, 31, v89
	v_lshlrev_b64 v[90:91], 2, v[89:90]
	s_waitcnt vmcnt(1)
	v_add_co_u32_e32 v90, vcc, v81, v90
	s_waitcnt vmcnt(0)
	v_addc_co_u32_e32 v91, vcc, v82, v91, vcc
	global_load_dword v92, v[90:91], off
	global_load_dword v93, v[81:82], off offset:148
	s_waitcnt vmcnt(1)
	global_store_dword v[81:82], v92, off offset:148
	v_mov_b32_e32 v81, v105
	v_mov_b32_e32 v82, v106
	;; [unrolled: 1-line block ×4, first 2 shown]
	s_waitcnt vmcnt(1)
	global_store_dword v[90:91], v93, off
.LBB114_791:
	s_or_b64 exec, exec, s[20:21]
	v_mov_b32_e32 v93, v89
	v_mov_b32_e32 v127, v89
.LBB114_792:
	s_or_b64 exec, exec, s[18:19]
.LBB114_793:
	s_andn2_saveexec_b64 s[0:1], s[0:1]
	s_cbranch_execz .LBB114_795
; %bb.794:
	v_mov_b32_e32 v93, 37
	ds_write2_b64 v0, v[73:74], v[75:76] offset0:76 offset1:77
	ds_write2_b64 v0, v[69:70], v[71:72] offset0:78 offset1:79
	;; [unrolled: 1-line block ×20, first 2 shown]
.LBB114_795:
	s_or_b64 exec, exec, s[0:1]
	v_cmp_lt_i32_e32 vcc, 37, v93
	s_waitcnt vmcnt(0) lgkmcnt(0)
	s_barrier
	s_and_saveexec_b64 s[0:1], vcc
	s_cbranch_execz .LBB114_797
; %bb.796:
	buffer_load_dword v77, off, s[24:27], 0 ; 4-byte Folded Reload
	buffer_load_dword v78, off, s[24:27], 0 offset:4 ; 4-byte Folded Reload
	buffer_load_dword v79, off, s[24:27], 0 offset:8 ; 4-byte Folded Reload
	;; [unrolled: 1-line block ×3, first 2 shown]
	ds_read2_b64 v[95:98], v0 offset0:76 offset1:77
	s_waitcnt vmcnt(0)
	v_mul_f64 v[89:90], v[119:120], v[79:80]
	v_mul_f64 v[79:80], v[117:118], v[79:80]
	v_fma_f64 v[89:90], v[117:118], v[77:78], -v[89:90]
	v_fma_f64 v[79:80], v[119:120], v[77:78], v[79:80]
	s_waitcnt lgkmcnt(0)
	v_mul_f64 v[77:78], v[97:98], v[79:80]
	v_mul_f64 v[91:92], v[95:96], v[79:80]
	v_fma_f64 v[77:78], v[95:96], v[89:90], -v[77:78]
	v_fma_f64 v[91:92], v[97:98], v[89:90], v[91:92]
	ds_read2_b64 v[95:98], v0 offset0:78 offset1:79
	v_add_f64 v[73:74], v[73:74], -v[77:78]
	v_add_f64 v[75:76], v[75:76], -v[91:92]
	s_waitcnt lgkmcnt(0)
	v_mul_f64 v[77:78], v[97:98], v[79:80]
	v_mul_f64 v[91:92], v[95:96], v[79:80]
	v_fma_f64 v[77:78], v[95:96], v[89:90], -v[77:78]
	v_fma_f64 v[91:92], v[97:98], v[89:90], v[91:92]
	ds_read2_b64 v[95:98], v0 offset0:80 offset1:81
	v_add_f64 v[69:70], v[69:70], -v[77:78]
	v_add_f64 v[71:72], v[71:72], -v[91:92]
	;; [unrolled: 8-line block ×19, first 2 shown]
	s_waitcnt lgkmcnt(0)
	v_mul_f64 v[77:78], v[97:98], v[79:80]
	v_mul_f64 v[91:92], v[95:96], v[79:80]
	v_fma_f64 v[77:78], v[95:96], v[89:90], -v[77:78]
	v_fma_f64 v[91:92], v[97:98], v[89:90], v[91:92]
	v_add_f64 v[121:122], v[121:122], -v[77:78]
	v_add_f64 v[123:124], v[123:124], -v[91:92]
	v_mov_b32_e32 v77, v89
	v_mov_b32_e32 v78, v90
	buffer_store_dword v77, off, s[24:27], 0 ; 4-byte Folded Spill
	s_nop 0
	buffer_store_dword v78, off, s[24:27], 0 offset:4 ; 4-byte Folded Spill
	buffer_store_dword v79, off, s[24:27], 0 offset:8 ; 4-byte Folded Spill
	;; [unrolled: 1-line block ×3, first 2 shown]
.LBB114_797:
	s_or_b64 exec, exec, s[0:1]
	v_lshl_add_u32 v89, v93, 4, v0
	s_waitcnt vmcnt(0)
	s_barrier
	ds_write2_b64 v89, v[73:74], v[75:76] offset1:1
	s_waitcnt lgkmcnt(0)
	s_barrier
	ds_read2_b64 v[117:120], v0 offset0:76 offset1:77
	s_cmp_lt_i32 s3, 40
	v_mov_b32_e32 v89, 38
	s_cbranch_scc1 .LBB114_800
; %bb.798:
	v_add_u32_e32 v90, 0x270, v0
	s_mov_b32 s0, 39
	v_mov_b32_e32 v89, 38
.LBB114_799:                            ; =>This Inner Loop Header: Depth=1
	s_waitcnt lgkmcnt(0)
	v_cmp_gt_f64_e32 vcc, 0, v[117:118]
	v_xor_b32_e32 v91, 0x80000000, v118
	ds_read2_b64 v[95:98], v90 offset1:1
	v_xor_b32_e32 v99, 0x80000000, v120
	v_add_u32_e32 v90, 16, v90
	s_waitcnt lgkmcnt(0)
	v_xor_b32_e32 v101, 0x80000000, v98
	v_cndmask_b32_e32 v92, v118, v91, vcc
	v_cmp_gt_f64_e32 vcc, 0, v[119:120]
	v_mov_b32_e32 v91, v117
	v_cndmask_b32_e32 v100, v120, v99, vcc
	v_cmp_gt_f64_e32 vcc, 0, v[95:96]
	v_mov_b32_e32 v99, v119
	v_add_f64 v[91:92], v[91:92], v[99:100]
	v_xor_b32_e32 v99, 0x80000000, v96
	v_cndmask_b32_e32 v100, v96, v99, vcc
	v_cmp_gt_f64_e32 vcc, 0, v[97:98]
	v_mov_b32_e32 v99, v95
	v_cndmask_b32_e32 v102, v98, v101, vcc
	v_mov_b32_e32 v101, v97
	v_add_f64 v[99:100], v[99:100], v[101:102]
	v_cmp_lt_f64_e32 vcc, v[91:92], v[99:100]
	v_mov_b32_e32 v91, s0
	s_add_i32 s0, s0, 1
	s_cmp_lg_u32 s3, s0
	v_cndmask_b32_e32 v118, v118, v96, vcc
	v_cndmask_b32_e32 v117, v117, v95, vcc
	;; [unrolled: 1-line block ×5, first 2 shown]
	s_cbranch_scc1 .LBB114_799
.LBB114_800:
	s_waitcnt lgkmcnt(0)
	v_cmp_eq_f64_e32 vcc, 0, v[117:118]
	v_cmp_eq_f64_e64 s[0:1], 0, v[119:120]
	s_and_b64 s[0:1], vcc, s[0:1]
	s_and_saveexec_b64 s[18:19], s[0:1]
	s_xor_b64 s[0:1], exec, s[18:19]
; %bb.801:
	v_cmp_ne_u32_e32 vcc, 0, v94
	v_cndmask_b32_e32 v94, 39, v94, vcc
; %bb.802:
	s_andn2_saveexec_b64 s[0:1], s[0:1]
	s_cbranch_execz .LBB114_808
; %bb.803:
	v_cmp_ngt_f64_e64 s[18:19], |v[117:118]|, |v[119:120]|
	s_and_saveexec_b64 s[20:21], s[18:19]
	s_xor_b64 s[18:19], exec, s[20:21]
	s_cbranch_execz .LBB114_805
; %bb.804:
	v_div_scale_f64 v[90:91], s[20:21], v[119:120], v[119:120], v[117:118]
	v_rcp_f64_e32 v[95:96], v[90:91]
	v_fma_f64 v[97:98], -v[90:91], v[95:96], 1.0
	v_fma_f64 v[95:96], v[95:96], v[97:98], v[95:96]
	v_div_scale_f64 v[97:98], vcc, v[117:118], v[119:120], v[117:118]
	v_fma_f64 v[99:100], -v[90:91], v[95:96], 1.0
	v_fma_f64 v[95:96], v[95:96], v[99:100], v[95:96]
	v_mul_f64 v[99:100], v[97:98], v[95:96]
	v_fma_f64 v[90:91], -v[90:91], v[99:100], v[97:98]
	v_div_fmas_f64 v[90:91], v[90:91], v[95:96], v[99:100]
	v_div_fixup_f64 v[90:91], v[90:91], v[119:120], v[117:118]
	v_fma_f64 v[95:96], v[117:118], v[90:91], v[119:120]
	v_div_scale_f64 v[97:98], s[20:21], v[95:96], v[95:96], 1.0
	v_div_scale_f64 v[103:104], vcc, 1.0, v[95:96], 1.0
	v_rcp_f64_e32 v[99:100], v[97:98]
	v_fma_f64 v[101:102], -v[97:98], v[99:100], 1.0
	v_fma_f64 v[99:100], v[99:100], v[101:102], v[99:100]
	v_fma_f64 v[101:102], -v[97:98], v[99:100], 1.0
	v_fma_f64 v[99:100], v[99:100], v[101:102], v[99:100]
	v_mul_f64 v[101:102], v[103:104], v[99:100]
	v_fma_f64 v[97:98], -v[97:98], v[101:102], v[103:104]
	v_div_fmas_f64 v[97:98], v[97:98], v[99:100], v[101:102]
	v_div_fixup_f64 v[119:120], v[97:98], v[95:96], 1.0
	v_mul_f64 v[117:118], v[90:91], v[119:120]
	v_xor_b32_e32 v120, 0x80000000, v120
.LBB114_805:
	s_andn2_saveexec_b64 s[18:19], s[18:19]
	s_cbranch_execz .LBB114_807
; %bb.806:
	v_div_scale_f64 v[90:91], s[20:21], v[117:118], v[117:118], v[119:120]
	v_rcp_f64_e32 v[95:96], v[90:91]
	v_fma_f64 v[97:98], -v[90:91], v[95:96], 1.0
	v_fma_f64 v[95:96], v[95:96], v[97:98], v[95:96]
	v_div_scale_f64 v[97:98], vcc, v[119:120], v[117:118], v[119:120]
	v_fma_f64 v[99:100], -v[90:91], v[95:96], 1.0
	v_fma_f64 v[95:96], v[95:96], v[99:100], v[95:96]
	v_mul_f64 v[99:100], v[97:98], v[95:96]
	v_fma_f64 v[90:91], -v[90:91], v[99:100], v[97:98]
	v_div_fmas_f64 v[90:91], v[90:91], v[95:96], v[99:100]
	v_div_fixup_f64 v[90:91], v[90:91], v[117:118], v[119:120]
	v_fma_f64 v[95:96], v[119:120], v[90:91], v[117:118]
	v_div_scale_f64 v[97:98], s[20:21], v[95:96], v[95:96], 1.0
	v_div_scale_f64 v[103:104], vcc, 1.0, v[95:96], 1.0
	v_rcp_f64_e32 v[99:100], v[97:98]
	v_fma_f64 v[101:102], -v[97:98], v[99:100], 1.0
	v_fma_f64 v[99:100], v[99:100], v[101:102], v[99:100]
	v_fma_f64 v[101:102], -v[97:98], v[99:100], 1.0
	v_fma_f64 v[99:100], v[99:100], v[101:102], v[99:100]
	v_mul_f64 v[101:102], v[103:104], v[99:100]
	v_fma_f64 v[97:98], -v[97:98], v[101:102], v[103:104]
	v_div_fmas_f64 v[97:98], v[97:98], v[99:100], v[101:102]
	v_div_fixup_f64 v[117:118], v[97:98], v[95:96], 1.0
	v_mul_f64 v[119:120], v[90:91], -v[117:118]
.LBB114_807:
	s_or_b64 exec, exec, s[18:19]
.LBB114_808:
	s_or_b64 exec, exec, s[0:1]
	v_cmp_ne_u32_e32 vcc, v93, v89
	s_and_saveexec_b64 s[0:1], vcc
	s_xor_b64 s[0:1], exec, s[0:1]
	s_cbranch_execz .LBB114_814
; %bb.809:
	v_cmp_eq_u32_e32 vcc, 38, v93
	s_and_saveexec_b64 s[18:19], vcc
	s_cbranch_execz .LBB114_813
; %bb.810:
	v_cmp_ne_u32_e32 vcc, 38, v89
	s_xor_b64 s[20:21], s[6:7], -1
	s_and_b64 s[22:23], s[20:21], vcc
	s_and_saveexec_b64 s[20:21], s[22:23]
	s_cbranch_execz .LBB114_812
; %bb.811:
	buffer_load_dword v81, off, s[24:27], 0 offset:480 ; 4-byte Folded Reload
	buffer_load_dword v82, off, s[24:27], 0 offset:484 ; 4-byte Folded Reload
	v_ashrrev_i32_e32 v90, 31, v89
	v_lshlrev_b64 v[90:91], 2, v[89:90]
	s_waitcnt vmcnt(1)
	v_add_co_u32_e32 v90, vcc, v81, v90
	s_waitcnt vmcnt(0)
	v_addc_co_u32_e32 v91, vcc, v82, v91, vcc
	global_load_dword v92, v[90:91], off
	global_load_dword v93, v[81:82], off offset:152
	s_waitcnt vmcnt(1)
	global_store_dword v[81:82], v92, off offset:152
	v_mov_b32_e32 v81, v105
	v_mov_b32_e32 v82, v106
	v_mov_b32_e32 v83, v107
	v_mov_b32_e32 v84, v108
	s_waitcnt vmcnt(1)
	global_store_dword v[90:91], v93, off
.LBB114_812:
	s_or_b64 exec, exec, s[20:21]
	v_mov_b32_e32 v93, v89
	v_mov_b32_e32 v127, v89
.LBB114_813:
	s_or_b64 exec, exec, s[18:19]
.LBB114_814:
	s_andn2_saveexec_b64 s[0:1], s[0:1]
	s_cbranch_execz .LBB114_816
; %bb.815:
	v_mov_b32_e32 v93, 38
	ds_write2_b64 v0, v[69:70], v[71:72] offset0:78 offset1:79
	ds_write2_b64 v0, v[65:66], v[67:68] offset0:80 offset1:81
	;; [unrolled: 1-line block ×19, first 2 shown]
.LBB114_816:
	s_or_b64 exec, exec, s[0:1]
	v_cmp_lt_i32_e32 vcc, 38, v93
	s_waitcnt vmcnt(0) lgkmcnt(0)
	s_barrier
	s_and_saveexec_b64 s[0:1], vcc
	s_cbranch_execz .LBB114_818
; %bb.817:
	v_mul_f64 v[89:90], v[119:120], v[75:76]
	v_mul_f64 v[75:76], v[117:118], v[75:76]
	ds_read2_b64 v[95:98], v0 offset0:78 offset1:79
	v_fma_f64 v[89:90], v[117:118], v[73:74], -v[89:90]
	v_fma_f64 v[75:76], v[119:120], v[73:74], v[75:76]
	s_waitcnt lgkmcnt(0)
	v_mul_f64 v[73:74], v[97:98], v[75:76]
	v_mul_f64 v[91:92], v[95:96], v[75:76]
	v_fma_f64 v[73:74], v[95:96], v[89:90], -v[73:74]
	v_fma_f64 v[91:92], v[97:98], v[89:90], v[91:92]
	ds_read2_b64 v[95:98], v0 offset0:80 offset1:81
	v_add_f64 v[69:70], v[69:70], -v[73:74]
	v_add_f64 v[71:72], v[71:72], -v[91:92]
	s_waitcnt lgkmcnt(0)
	v_mul_f64 v[73:74], v[97:98], v[75:76]
	v_mul_f64 v[91:92], v[95:96], v[75:76]
	v_fma_f64 v[73:74], v[95:96], v[89:90], -v[73:74]
	v_fma_f64 v[91:92], v[97:98], v[89:90], v[91:92]
	ds_read2_b64 v[95:98], v0 offset0:82 offset1:83
	v_add_f64 v[65:66], v[65:66], -v[73:74]
	v_add_f64 v[67:68], v[67:68], -v[91:92]
	;; [unrolled: 8-line block ×18, first 2 shown]
	s_waitcnt lgkmcnt(0)
	v_mul_f64 v[73:74], v[97:98], v[75:76]
	v_mul_f64 v[91:92], v[95:96], v[75:76]
	v_fma_f64 v[73:74], v[95:96], v[89:90], -v[73:74]
	v_fma_f64 v[91:92], v[97:98], v[89:90], v[91:92]
	v_add_f64 v[121:122], v[121:122], -v[73:74]
	v_add_f64 v[123:124], v[123:124], -v[91:92]
	v_mov_b32_e32 v73, v89
	v_mov_b32_e32 v74, v90
.LBB114_818:
	s_or_b64 exec, exec, s[0:1]
	v_lshl_add_u32 v89, v93, 4, v0
	s_barrier
	ds_write2_b64 v89, v[69:70], v[71:72] offset1:1
	s_waitcnt lgkmcnt(0)
	s_barrier
	ds_read2_b64 v[117:120], v0 offset0:78 offset1:79
	s_cmp_lt_i32 s3, 41
	v_mov_b32_e32 v89, 39
	s_cbranch_scc1 .LBB114_821
; %bb.819:
	v_add_u32_e32 v90, 0x280, v0
	s_mov_b32 s0, 40
	v_mov_b32_e32 v89, 39
.LBB114_820:                            ; =>This Inner Loop Header: Depth=1
	s_waitcnt lgkmcnt(0)
	v_cmp_gt_f64_e32 vcc, 0, v[117:118]
	v_xor_b32_e32 v91, 0x80000000, v118
	ds_read2_b64 v[95:98], v90 offset1:1
	v_xor_b32_e32 v99, 0x80000000, v120
	v_add_u32_e32 v90, 16, v90
	s_waitcnt lgkmcnt(0)
	v_xor_b32_e32 v101, 0x80000000, v98
	v_cndmask_b32_e32 v92, v118, v91, vcc
	v_cmp_gt_f64_e32 vcc, 0, v[119:120]
	v_mov_b32_e32 v91, v117
	v_cndmask_b32_e32 v100, v120, v99, vcc
	v_cmp_gt_f64_e32 vcc, 0, v[95:96]
	v_mov_b32_e32 v99, v119
	v_add_f64 v[91:92], v[91:92], v[99:100]
	v_xor_b32_e32 v99, 0x80000000, v96
	v_cndmask_b32_e32 v100, v96, v99, vcc
	v_cmp_gt_f64_e32 vcc, 0, v[97:98]
	v_mov_b32_e32 v99, v95
	v_cndmask_b32_e32 v102, v98, v101, vcc
	v_mov_b32_e32 v101, v97
	v_add_f64 v[99:100], v[99:100], v[101:102]
	v_cmp_lt_f64_e32 vcc, v[91:92], v[99:100]
	v_mov_b32_e32 v91, s0
	s_add_i32 s0, s0, 1
	s_cmp_lg_u32 s3, s0
	v_cndmask_b32_e32 v118, v118, v96, vcc
	v_cndmask_b32_e32 v117, v117, v95, vcc
	;; [unrolled: 1-line block ×5, first 2 shown]
	s_cbranch_scc1 .LBB114_820
.LBB114_821:
	s_waitcnt lgkmcnt(0)
	v_cmp_eq_f64_e32 vcc, 0, v[117:118]
	v_cmp_eq_f64_e64 s[0:1], 0, v[119:120]
	s_and_b64 s[0:1], vcc, s[0:1]
	s_and_saveexec_b64 s[18:19], s[0:1]
	s_xor_b64 s[0:1], exec, s[18:19]
; %bb.822:
	v_cmp_ne_u32_e32 vcc, 0, v94
	v_cndmask_b32_e32 v94, 40, v94, vcc
; %bb.823:
	s_andn2_saveexec_b64 s[0:1], s[0:1]
	s_cbranch_execz .LBB114_829
; %bb.824:
	v_cmp_ngt_f64_e64 s[18:19], |v[117:118]|, |v[119:120]|
	s_and_saveexec_b64 s[20:21], s[18:19]
	s_xor_b64 s[18:19], exec, s[20:21]
	s_cbranch_execz .LBB114_826
; %bb.825:
	v_div_scale_f64 v[90:91], s[20:21], v[119:120], v[119:120], v[117:118]
	v_rcp_f64_e32 v[95:96], v[90:91]
	v_fma_f64 v[97:98], -v[90:91], v[95:96], 1.0
	v_fma_f64 v[95:96], v[95:96], v[97:98], v[95:96]
	v_div_scale_f64 v[97:98], vcc, v[117:118], v[119:120], v[117:118]
	v_fma_f64 v[99:100], -v[90:91], v[95:96], 1.0
	v_fma_f64 v[95:96], v[95:96], v[99:100], v[95:96]
	v_mul_f64 v[99:100], v[97:98], v[95:96]
	v_fma_f64 v[90:91], -v[90:91], v[99:100], v[97:98]
	v_div_fmas_f64 v[90:91], v[90:91], v[95:96], v[99:100]
	v_div_fixup_f64 v[90:91], v[90:91], v[119:120], v[117:118]
	v_fma_f64 v[95:96], v[117:118], v[90:91], v[119:120]
	v_div_scale_f64 v[97:98], s[20:21], v[95:96], v[95:96], 1.0
	v_div_scale_f64 v[103:104], vcc, 1.0, v[95:96], 1.0
	v_rcp_f64_e32 v[99:100], v[97:98]
	v_fma_f64 v[101:102], -v[97:98], v[99:100], 1.0
	v_fma_f64 v[99:100], v[99:100], v[101:102], v[99:100]
	v_fma_f64 v[101:102], -v[97:98], v[99:100], 1.0
	v_fma_f64 v[99:100], v[99:100], v[101:102], v[99:100]
	v_mul_f64 v[101:102], v[103:104], v[99:100]
	v_fma_f64 v[97:98], -v[97:98], v[101:102], v[103:104]
	v_div_fmas_f64 v[97:98], v[97:98], v[99:100], v[101:102]
	v_div_fixup_f64 v[119:120], v[97:98], v[95:96], 1.0
	v_mul_f64 v[117:118], v[90:91], v[119:120]
	v_xor_b32_e32 v120, 0x80000000, v120
.LBB114_826:
	s_andn2_saveexec_b64 s[18:19], s[18:19]
	s_cbranch_execz .LBB114_828
; %bb.827:
	v_div_scale_f64 v[90:91], s[20:21], v[117:118], v[117:118], v[119:120]
	v_rcp_f64_e32 v[95:96], v[90:91]
	v_fma_f64 v[97:98], -v[90:91], v[95:96], 1.0
	v_fma_f64 v[95:96], v[95:96], v[97:98], v[95:96]
	v_div_scale_f64 v[97:98], vcc, v[119:120], v[117:118], v[119:120]
	v_fma_f64 v[99:100], -v[90:91], v[95:96], 1.0
	v_fma_f64 v[95:96], v[95:96], v[99:100], v[95:96]
	v_mul_f64 v[99:100], v[97:98], v[95:96]
	v_fma_f64 v[90:91], -v[90:91], v[99:100], v[97:98]
	v_div_fmas_f64 v[90:91], v[90:91], v[95:96], v[99:100]
	v_div_fixup_f64 v[90:91], v[90:91], v[117:118], v[119:120]
	v_fma_f64 v[95:96], v[119:120], v[90:91], v[117:118]
	v_div_scale_f64 v[97:98], s[20:21], v[95:96], v[95:96], 1.0
	v_div_scale_f64 v[103:104], vcc, 1.0, v[95:96], 1.0
	v_rcp_f64_e32 v[99:100], v[97:98]
	v_fma_f64 v[101:102], -v[97:98], v[99:100], 1.0
	v_fma_f64 v[99:100], v[99:100], v[101:102], v[99:100]
	v_fma_f64 v[101:102], -v[97:98], v[99:100], 1.0
	v_fma_f64 v[99:100], v[99:100], v[101:102], v[99:100]
	v_mul_f64 v[101:102], v[103:104], v[99:100]
	v_fma_f64 v[97:98], -v[97:98], v[101:102], v[103:104]
	v_div_fmas_f64 v[97:98], v[97:98], v[99:100], v[101:102]
	v_div_fixup_f64 v[117:118], v[97:98], v[95:96], 1.0
	v_mul_f64 v[119:120], v[90:91], -v[117:118]
.LBB114_828:
	s_or_b64 exec, exec, s[18:19]
.LBB114_829:
	s_or_b64 exec, exec, s[0:1]
	v_cmp_ne_u32_e32 vcc, v93, v89
	s_and_saveexec_b64 s[0:1], vcc
	s_xor_b64 s[0:1], exec, s[0:1]
	s_cbranch_execz .LBB114_835
; %bb.830:
	v_cmp_eq_u32_e32 vcc, 39, v93
	s_and_saveexec_b64 s[18:19], vcc
	s_cbranch_execz .LBB114_834
; %bb.831:
	v_cmp_ne_u32_e32 vcc, 39, v89
	s_xor_b64 s[20:21], s[6:7], -1
	s_and_b64 s[22:23], s[20:21], vcc
	s_and_saveexec_b64 s[20:21], s[22:23]
	s_cbranch_execz .LBB114_833
; %bb.832:
	buffer_load_dword v81, off, s[24:27], 0 offset:480 ; 4-byte Folded Reload
	buffer_load_dword v82, off, s[24:27], 0 offset:484 ; 4-byte Folded Reload
	v_ashrrev_i32_e32 v90, 31, v89
	v_lshlrev_b64 v[90:91], 2, v[89:90]
	s_waitcnt vmcnt(1)
	v_add_co_u32_e32 v90, vcc, v81, v90
	s_waitcnt vmcnt(0)
	v_addc_co_u32_e32 v91, vcc, v82, v91, vcc
	global_load_dword v92, v[90:91], off
	global_load_dword v93, v[81:82], off offset:156
	s_waitcnt vmcnt(1)
	global_store_dword v[81:82], v92, off offset:156
	v_mov_b32_e32 v81, v105
	v_mov_b32_e32 v82, v106
	v_mov_b32_e32 v83, v107
	v_mov_b32_e32 v84, v108
	s_waitcnt vmcnt(1)
	global_store_dword v[90:91], v93, off
.LBB114_833:
	s_or_b64 exec, exec, s[20:21]
	v_mov_b32_e32 v93, v89
	v_mov_b32_e32 v127, v89
.LBB114_834:
	s_or_b64 exec, exec, s[18:19]
.LBB114_835:
	s_andn2_saveexec_b64 s[0:1], s[0:1]
	s_cbranch_execz .LBB114_837
; %bb.836:
	v_mov_b32_e32 v93, 39
	ds_write2_b64 v0, v[65:66], v[67:68] offset0:80 offset1:81
	ds_write2_b64 v0, v[61:62], v[63:64] offset0:82 offset1:83
	;; [unrolled: 1-line block ×18, first 2 shown]
.LBB114_837:
	s_or_b64 exec, exec, s[0:1]
	v_cmp_lt_i32_e32 vcc, 39, v93
	s_waitcnt vmcnt(0) lgkmcnt(0)
	s_barrier
	s_and_saveexec_b64 s[0:1], vcc
	s_cbranch_execz .LBB114_839
; %bb.838:
	v_mul_f64 v[89:90], v[119:120], v[71:72]
	v_mul_f64 v[71:72], v[117:118], v[71:72]
	ds_read2_b64 v[95:98], v0 offset0:80 offset1:81
	v_fma_f64 v[89:90], v[117:118], v[69:70], -v[89:90]
	v_fma_f64 v[71:72], v[119:120], v[69:70], v[71:72]
	s_waitcnt lgkmcnt(0)
	v_mul_f64 v[69:70], v[97:98], v[71:72]
	v_mul_f64 v[91:92], v[95:96], v[71:72]
	v_fma_f64 v[69:70], v[95:96], v[89:90], -v[69:70]
	v_fma_f64 v[91:92], v[97:98], v[89:90], v[91:92]
	ds_read2_b64 v[95:98], v0 offset0:82 offset1:83
	v_add_f64 v[65:66], v[65:66], -v[69:70]
	v_add_f64 v[67:68], v[67:68], -v[91:92]
	s_waitcnt lgkmcnt(0)
	v_mul_f64 v[69:70], v[97:98], v[71:72]
	v_mul_f64 v[91:92], v[95:96], v[71:72]
	v_fma_f64 v[69:70], v[95:96], v[89:90], -v[69:70]
	v_fma_f64 v[91:92], v[97:98], v[89:90], v[91:92]
	ds_read2_b64 v[95:98], v0 offset0:84 offset1:85
	v_add_f64 v[61:62], v[61:62], -v[69:70]
	v_add_f64 v[63:64], v[63:64], -v[91:92]
	;; [unrolled: 8-line block ×17, first 2 shown]
	s_waitcnt lgkmcnt(0)
	v_mul_f64 v[69:70], v[97:98], v[71:72]
	v_mul_f64 v[91:92], v[95:96], v[71:72]
	v_fma_f64 v[69:70], v[95:96], v[89:90], -v[69:70]
	v_fma_f64 v[91:92], v[97:98], v[89:90], v[91:92]
	v_add_f64 v[121:122], v[121:122], -v[69:70]
	v_add_f64 v[123:124], v[123:124], -v[91:92]
	v_mov_b32_e32 v69, v89
	v_mov_b32_e32 v70, v90
.LBB114_839:
	s_or_b64 exec, exec, s[0:1]
	v_lshl_add_u32 v89, v93, 4, v0
	s_barrier
	ds_write2_b64 v89, v[65:66], v[67:68] offset1:1
	s_waitcnt lgkmcnt(0)
	s_barrier
	ds_read2_b64 v[117:120], v0 offset0:80 offset1:81
	s_cmp_lt_i32 s3, 42
	v_mov_b32_e32 v89, 40
	s_cbranch_scc1 .LBB114_842
; %bb.840:
	v_add_u32_e32 v90, 0x290, v0
	s_mov_b32 s0, 41
	v_mov_b32_e32 v89, 40
.LBB114_841:                            ; =>This Inner Loop Header: Depth=1
	s_waitcnt lgkmcnt(0)
	v_cmp_gt_f64_e32 vcc, 0, v[117:118]
	v_xor_b32_e32 v91, 0x80000000, v118
	ds_read2_b64 v[95:98], v90 offset1:1
	v_xor_b32_e32 v99, 0x80000000, v120
	v_add_u32_e32 v90, 16, v90
	s_waitcnt lgkmcnt(0)
	v_xor_b32_e32 v101, 0x80000000, v98
	v_cndmask_b32_e32 v92, v118, v91, vcc
	v_cmp_gt_f64_e32 vcc, 0, v[119:120]
	v_mov_b32_e32 v91, v117
	v_cndmask_b32_e32 v100, v120, v99, vcc
	v_cmp_gt_f64_e32 vcc, 0, v[95:96]
	v_mov_b32_e32 v99, v119
	v_add_f64 v[91:92], v[91:92], v[99:100]
	v_xor_b32_e32 v99, 0x80000000, v96
	v_cndmask_b32_e32 v100, v96, v99, vcc
	v_cmp_gt_f64_e32 vcc, 0, v[97:98]
	v_mov_b32_e32 v99, v95
	v_cndmask_b32_e32 v102, v98, v101, vcc
	v_mov_b32_e32 v101, v97
	v_add_f64 v[99:100], v[99:100], v[101:102]
	v_cmp_lt_f64_e32 vcc, v[91:92], v[99:100]
	v_mov_b32_e32 v91, s0
	s_add_i32 s0, s0, 1
	s_cmp_lg_u32 s3, s0
	v_cndmask_b32_e32 v118, v118, v96, vcc
	v_cndmask_b32_e32 v117, v117, v95, vcc
	;; [unrolled: 1-line block ×5, first 2 shown]
	s_cbranch_scc1 .LBB114_841
.LBB114_842:
	s_waitcnt lgkmcnt(0)
	v_cmp_eq_f64_e32 vcc, 0, v[117:118]
	v_cmp_eq_f64_e64 s[0:1], 0, v[119:120]
	s_and_b64 s[0:1], vcc, s[0:1]
	s_and_saveexec_b64 s[18:19], s[0:1]
	s_xor_b64 s[0:1], exec, s[18:19]
; %bb.843:
	v_cmp_ne_u32_e32 vcc, 0, v94
	v_cndmask_b32_e32 v94, 41, v94, vcc
; %bb.844:
	s_andn2_saveexec_b64 s[0:1], s[0:1]
	s_cbranch_execz .LBB114_850
; %bb.845:
	v_cmp_ngt_f64_e64 s[18:19], |v[117:118]|, |v[119:120]|
	s_and_saveexec_b64 s[20:21], s[18:19]
	s_xor_b64 s[18:19], exec, s[20:21]
	s_cbranch_execz .LBB114_847
; %bb.846:
	v_div_scale_f64 v[90:91], s[20:21], v[119:120], v[119:120], v[117:118]
	v_rcp_f64_e32 v[95:96], v[90:91]
	v_fma_f64 v[97:98], -v[90:91], v[95:96], 1.0
	v_fma_f64 v[95:96], v[95:96], v[97:98], v[95:96]
	v_div_scale_f64 v[97:98], vcc, v[117:118], v[119:120], v[117:118]
	v_fma_f64 v[99:100], -v[90:91], v[95:96], 1.0
	v_fma_f64 v[95:96], v[95:96], v[99:100], v[95:96]
	v_mul_f64 v[99:100], v[97:98], v[95:96]
	v_fma_f64 v[90:91], -v[90:91], v[99:100], v[97:98]
	v_div_fmas_f64 v[90:91], v[90:91], v[95:96], v[99:100]
	v_div_fixup_f64 v[90:91], v[90:91], v[119:120], v[117:118]
	v_fma_f64 v[95:96], v[117:118], v[90:91], v[119:120]
	v_div_scale_f64 v[97:98], s[20:21], v[95:96], v[95:96], 1.0
	v_div_scale_f64 v[103:104], vcc, 1.0, v[95:96], 1.0
	v_rcp_f64_e32 v[99:100], v[97:98]
	v_fma_f64 v[101:102], -v[97:98], v[99:100], 1.0
	v_fma_f64 v[99:100], v[99:100], v[101:102], v[99:100]
	v_fma_f64 v[101:102], -v[97:98], v[99:100], 1.0
	v_fma_f64 v[99:100], v[99:100], v[101:102], v[99:100]
	v_mul_f64 v[101:102], v[103:104], v[99:100]
	v_fma_f64 v[97:98], -v[97:98], v[101:102], v[103:104]
	v_div_fmas_f64 v[97:98], v[97:98], v[99:100], v[101:102]
	v_div_fixup_f64 v[119:120], v[97:98], v[95:96], 1.0
	v_mul_f64 v[117:118], v[90:91], v[119:120]
	v_xor_b32_e32 v120, 0x80000000, v120
.LBB114_847:
	s_andn2_saveexec_b64 s[18:19], s[18:19]
	s_cbranch_execz .LBB114_849
; %bb.848:
	v_div_scale_f64 v[90:91], s[20:21], v[117:118], v[117:118], v[119:120]
	v_rcp_f64_e32 v[95:96], v[90:91]
	v_fma_f64 v[97:98], -v[90:91], v[95:96], 1.0
	v_fma_f64 v[95:96], v[95:96], v[97:98], v[95:96]
	v_div_scale_f64 v[97:98], vcc, v[119:120], v[117:118], v[119:120]
	v_fma_f64 v[99:100], -v[90:91], v[95:96], 1.0
	v_fma_f64 v[95:96], v[95:96], v[99:100], v[95:96]
	v_mul_f64 v[99:100], v[97:98], v[95:96]
	v_fma_f64 v[90:91], -v[90:91], v[99:100], v[97:98]
	v_div_fmas_f64 v[90:91], v[90:91], v[95:96], v[99:100]
	v_div_fixup_f64 v[90:91], v[90:91], v[117:118], v[119:120]
	v_fma_f64 v[95:96], v[119:120], v[90:91], v[117:118]
	v_div_scale_f64 v[97:98], s[20:21], v[95:96], v[95:96], 1.0
	v_div_scale_f64 v[103:104], vcc, 1.0, v[95:96], 1.0
	v_rcp_f64_e32 v[99:100], v[97:98]
	v_fma_f64 v[101:102], -v[97:98], v[99:100], 1.0
	v_fma_f64 v[99:100], v[99:100], v[101:102], v[99:100]
	v_fma_f64 v[101:102], -v[97:98], v[99:100], 1.0
	v_fma_f64 v[99:100], v[99:100], v[101:102], v[99:100]
	v_mul_f64 v[101:102], v[103:104], v[99:100]
	v_fma_f64 v[97:98], -v[97:98], v[101:102], v[103:104]
	v_div_fmas_f64 v[97:98], v[97:98], v[99:100], v[101:102]
	v_div_fixup_f64 v[117:118], v[97:98], v[95:96], 1.0
	v_mul_f64 v[119:120], v[90:91], -v[117:118]
.LBB114_849:
	s_or_b64 exec, exec, s[18:19]
.LBB114_850:
	s_or_b64 exec, exec, s[0:1]
	v_cmp_ne_u32_e32 vcc, v93, v89
	s_and_saveexec_b64 s[0:1], vcc
	s_xor_b64 s[0:1], exec, s[0:1]
	s_cbranch_execz .LBB114_856
; %bb.851:
	v_cmp_eq_u32_e32 vcc, 40, v93
	s_and_saveexec_b64 s[18:19], vcc
	s_cbranch_execz .LBB114_855
; %bb.852:
	v_cmp_ne_u32_e32 vcc, 40, v89
	s_xor_b64 s[20:21], s[6:7], -1
	s_and_b64 s[22:23], s[20:21], vcc
	s_and_saveexec_b64 s[20:21], s[22:23]
	s_cbranch_execz .LBB114_854
; %bb.853:
	buffer_load_dword v81, off, s[24:27], 0 offset:480 ; 4-byte Folded Reload
	buffer_load_dword v82, off, s[24:27], 0 offset:484 ; 4-byte Folded Reload
	v_ashrrev_i32_e32 v90, 31, v89
	v_lshlrev_b64 v[90:91], 2, v[89:90]
	s_waitcnt vmcnt(1)
	v_add_co_u32_e32 v90, vcc, v81, v90
	s_waitcnt vmcnt(0)
	v_addc_co_u32_e32 v91, vcc, v82, v91, vcc
	global_load_dword v92, v[90:91], off
	global_load_dword v93, v[81:82], off offset:160
	s_waitcnt vmcnt(1)
	global_store_dword v[81:82], v92, off offset:160
	v_mov_b32_e32 v81, v105
	v_mov_b32_e32 v82, v106
	;; [unrolled: 1-line block ×4, first 2 shown]
	s_waitcnt vmcnt(1)
	global_store_dword v[90:91], v93, off
.LBB114_854:
	s_or_b64 exec, exec, s[20:21]
	v_mov_b32_e32 v93, v89
	v_mov_b32_e32 v127, v89
.LBB114_855:
	s_or_b64 exec, exec, s[18:19]
.LBB114_856:
	s_andn2_saveexec_b64 s[0:1], s[0:1]
	s_cbranch_execz .LBB114_858
; %bb.857:
	v_mov_b32_e32 v93, 40
	ds_write2_b64 v0, v[61:62], v[63:64] offset0:82 offset1:83
	ds_write2_b64 v0, v[57:58], v[59:60] offset0:84 offset1:85
	;; [unrolled: 1-line block ×17, first 2 shown]
.LBB114_858:
	s_or_b64 exec, exec, s[0:1]
	v_cmp_lt_i32_e32 vcc, 40, v93
	s_waitcnt vmcnt(0) lgkmcnt(0)
	s_barrier
	s_and_saveexec_b64 s[0:1], vcc
	s_cbranch_execz .LBB114_860
; %bb.859:
	v_mul_f64 v[89:90], v[119:120], v[67:68]
	v_mul_f64 v[67:68], v[117:118], v[67:68]
	ds_read2_b64 v[95:98], v0 offset0:82 offset1:83
	v_fma_f64 v[89:90], v[117:118], v[65:66], -v[89:90]
	v_fma_f64 v[67:68], v[119:120], v[65:66], v[67:68]
	s_waitcnt lgkmcnt(0)
	v_mul_f64 v[65:66], v[97:98], v[67:68]
	v_mul_f64 v[91:92], v[95:96], v[67:68]
	v_fma_f64 v[65:66], v[95:96], v[89:90], -v[65:66]
	v_fma_f64 v[91:92], v[97:98], v[89:90], v[91:92]
	ds_read2_b64 v[95:98], v0 offset0:84 offset1:85
	v_add_f64 v[61:62], v[61:62], -v[65:66]
	v_add_f64 v[63:64], v[63:64], -v[91:92]
	s_waitcnt lgkmcnt(0)
	v_mul_f64 v[65:66], v[97:98], v[67:68]
	v_mul_f64 v[91:92], v[95:96], v[67:68]
	v_fma_f64 v[65:66], v[95:96], v[89:90], -v[65:66]
	v_fma_f64 v[91:92], v[97:98], v[89:90], v[91:92]
	ds_read2_b64 v[95:98], v0 offset0:86 offset1:87
	v_add_f64 v[57:58], v[57:58], -v[65:66]
	v_add_f64 v[59:60], v[59:60], -v[91:92]
	;; [unrolled: 8-line block ×16, first 2 shown]
	s_waitcnt lgkmcnt(0)
	v_mul_f64 v[65:66], v[97:98], v[67:68]
	v_mul_f64 v[91:92], v[95:96], v[67:68]
	v_fma_f64 v[65:66], v[95:96], v[89:90], -v[65:66]
	v_fma_f64 v[91:92], v[97:98], v[89:90], v[91:92]
	v_add_f64 v[121:122], v[121:122], -v[65:66]
	v_add_f64 v[123:124], v[123:124], -v[91:92]
	v_mov_b32_e32 v65, v89
	v_mov_b32_e32 v66, v90
.LBB114_860:
	s_or_b64 exec, exec, s[0:1]
	v_lshl_add_u32 v89, v93, 4, v0
	s_barrier
	ds_write2_b64 v89, v[61:62], v[63:64] offset1:1
	s_waitcnt lgkmcnt(0)
	s_barrier
	ds_read2_b64 v[117:120], v0 offset0:82 offset1:83
	s_cmp_lt_i32 s3, 43
	v_mov_b32_e32 v89, 41
	s_cbranch_scc1 .LBB114_863
; %bb.861:
	v_add_u32_e32 v90, 0x2a0, v0
	s_mov_b32 s0, 42
	v_mov_b32_e32 v89, 41
.LBB114_862:                            ; =>This Inner Loop Header: Depth=1
	s_waitcnt lgkmcnt(0)
	v_cmp_gt_f64_e32 vcc, 0, v[117:118]
	v_xor_b32_e32 v91, 0x80000000, v118
	ds_read2_b64 v[95:98], v90 offset1:1
	v_xor_b32_e32 v99, 0x80000000, v120
	v_add_u32_e32 v90, 16, v90
	s_waitcnt lgkmcnt(0)
	v_xor_b32_e32 v101, 0x80000000, v98
	v_cndmask_b32_e32 v92, v118, v91, vcc
	v_cmp_gt_f64_e32 vcc, 0, v[119:120]
	v_mov_b32_e32 v91, v117
	v_cndmask_b32_e32 v100, v120, v99, vcc
	v_cmp_gt_f64_e32 vcc, 0, v[95:96]
	v_mov_b32_e32 v99, v119
	v_add_f64 v[91:92], v[91:92], v[99:100]
	v_xor_b32_e32 v99, 0x80000000, v96
	v_cndmask_b32_e32 v100, v96, v99, vcc
	v_cmp_gt_f64_e32 vcc, 0, v[97:98]
	v_mov_b32_e32 v99, v95
	v_cndmask_b32_e32 v102, v98, v101, vcc
	v_mov_b32_e32 v101, v97
	v_add_f64 v[99:100], v[99:100], v[101:102]
	v_cmp_lt_f64_e32 vcc, v[91:92], v[99:100]
	v_mov_b32_e32 v91, s0
	s_add_i32 s0, s0, 1
	s_cmp_lg_u32 s3, s0
	v_cndmask_b32_e32 v118, v118, v96, vcc
	v_cndmask_b32_e32 v117, v117, v95, vcc
	;; [unrolled: 1-line block ×5, first 2 shown]
	s_cbranch_scc1 .LBB114_862
.LBB114_863:
	s_waitcnt lgkmcnt(0)
	v_cmp_eq_f64_e32 vcc, 0, v[117:118]
	v_cmp_eq_f64_e64 s[0:1], 0, v[119:120]
	s_and_b64 s[0:1], vcc, s[0:1]
	s_and_saveexec_b64 s[18:19], s[0:1]
	s_xor_b64 s[0:1], exec, s[18:19]
; %bb.864:
	v_cmp_ne_u32_e32 vcc, 0, v94
	v_cndmask_b32_e32 v94, 42, v94, vcc
; %bb.865:
	s_andn2_saveexec_b64 s[0:1], s[0:1]
	s_cbranch_execz .LBB114_871
; %bb.866:
	v_cmp_ngt_f64_e64 s[18:19], |v[117:118]|, |v[119:120]|
	s_and_saveexec_b64 s[20:21], s[18:19]
	s_xor_b64 s[18:19], exec, s[20:21]
	s_cbranch_execz .LBB114_868
; %bb.867:
	v_div_scale_f64 v[90:91], s[20:21], v[119:120], v[119:120], v[117:118]
	v_rcp_f64_e32 v[95:96], v[90:91]
	v_fma_f64 v[97:98], -v[90:91], v[95:96], 1.0
	v_fma_f64 v[95:96], v[95:96], v[97:98], v[95:96]
	v_div_scale_f64 v[97:98], vcc, v[117:118], v[119:120], v[117:118]
	v_fma_f64 v[99:100], -v[90:91], v[95:96], 1.0
	v_fma_f64 v[95:96], v[95:96], v[99:100], v[95:96]
	v_mul_f64 v[99:100], v[97:98], v[95:96]
	v_fma_f64 v[90:91], -v[90:91], v[99:100], v[97:98]
	v_div_fmas_f64 v[90:91], v[90:91], v[95:96], v[99:100]
	v_div_fixup_f64 v[90:91], v[90:91], v[119:120], v[117:118]
	v_fma_f64 v[95:96], v[117:118], v[90:91], v[119:120]
	v_div_scale_f64 v[97:98], s[20:21], v[95:96], v[95:96], 1.0
	v_div_scale_f64 v[103:104], vcc, 1.0, v[95:96], 1.0
	v_rcp_f64_e32 v[99:100], v[97:98]
	v_fma_f64 v[101:102], -v[97:98], v[99:100], 1.0
	v_fma_f64 v[99:100], v[99:100], v[101:102], v[99:100]
	v_fma_f64 v[101:102], -v[97:98], v[99:100], 1.0
	v_fma_f64 v[99:100], v[99:100], v[101:102], v[99:100]
	v_mul_f64 v[101:102], v[103:104], v[99:100]
	v_fma_f64 v[97:98], -v[97:98], v[101:102], v[103:104]
	v_div_fmas_f64 v[97:98], v[97:98], v[99:100], v[101:102]
	v_div_fixup_f64 v[119:120], v[97:98], v[95:96], 1.0
	v_mul_f64 v[117:118], v[90:91], v[119:120]
	v_xor_b32_e32 v120, 0x80000000, v120
.LBB114_868:
	s_andn2_saveexec_b64 s[18:19], s[18:19]
	s_cbranch_execz .LBB114_870
; %bb.869:
	v_div_scale_f64 v[90:91], s[20:21], v[117:118], v[117:118], v[119:120]
	v_rcp_f64_e32 v[95:96], v[90:91]
	v_fma_f64 v[97:98], -v[90:91], v[95:96], 1.0
	v_fma_f64 v[95:96], v[95:96], v[97:98], v[95:96]
	v_div_scale_f64 v[97:98], vcc, v[119:120], v[117:118], v[119:120]
	v_fma_f64 v[99:100], -v[90:91], v[95:96], 1.0
	v_fma_f64 v[95:96], v[95:96], v[99:100], v[95:96]
	v_mul_f64 v[99:100], v[97:98], v[95:96]
	v_fma_f64 v[90:91], -v[90:91], v[99:100], v[97:98]
	v_div_fmas_f64 v[90:91], v[90:91], v[95:96], v[99:100]
	v_div_fixup_f64 v[90:91], v[90:91], v[117:118], v[119:120]
	v_fma_f64 v[95:96], v[119:120], v[90:91], v[117:118]
	v_div_scale_f64 v[97:98], s[20:21], v[95:96], v[95:96], 1.0
	v_div_scale_f64 v[103:104], vcc, 1.0, v[95:96], 1.0
	v_rcp_f64_e32 v[99:100], v[97:98]
	v_fma_f64 v[101:102], -v[97:98], v[99:100], 1.0
	v_fma_f64 v[99:100], v[99:100], v[101:102], v[99:100]
	v_fma_f64 v[101:102], -v[97:98], v[99:100], 1.0
	v_fma_f64 v[99:100], v[99:100], v[101:102], v[99:100]
	v_mul_f64 v[101:102], v[103:104], v[99:100]
	v_fma_f64 v[97:98], -v[97:98], v[101:102], v[103:104]
	v_div_fmas_f64 v[97:98], v[97:98], v[99:100], v[101:102]
	v_div_fixup_f64 v[117:118], v[97:98], v[95:96], 1.0
	v_mul_f64 v[119:120], v[90:91], -v[117:118]
.LBB114_870:
	s_or_b64 exec, exec, s[18:19]
.LBB114_871:
	s_or_b64 exec, exec, s[0:1]
	v_cmp_ne_u32_e32 vcc, v93, v89
	s_and_saveexec_b64 s[0:1], vcc
	s_xor_b64 s[0:1], exec, s[0:1]
	s_cbranch_execz .LBB114_877
; %bb.872:
	v_cmp_eq_u32_e32 vcc, 41, v93
	s_and_saveexec_b64 s[18:19], vcc
	s_cbranch_execz .LBB114_876
; %bb.873:
	v_cmp_ne_u32_e32 vcc, 41, v89
	s_xor_b64 s[20:21], s[6:7], -1
	s_and_b64 s[22:23], s[20:21], vcc
	s_and_saveexec_b64 s[20:21], s[22:23]
	s_cbranch_execz .LBB114_875
; %bb.874:
	buffer_load_dword v81, off, s[24:27], 0 offset:480 ; 4-byte Folded Reload
	buffer_load_dword v82, off, s[24:27], 0 offset:484 ; 4-byte Folded Reload
	v_ashrrev_i32_e32 v90, 31, v89
	v_lshlrev_b64 v[90:91], 2, v[89:90]
	s_waitcnt vmcnt(1)
	v_add_co_u32_e32 v90, vcc, v81, v90
	s_waitcnt vmcnt(0)
	v_addc_co_u32_e32 v91, vcc, v82, v91, vcc
	global_load_dword v92, v[90:91], off
	global_load_dword v93, v[81:82], off offset:164
	s_waitcnt vmcnt(1)
	global_store_dword v[81:82], v92, off offset:164
	v_mov_b32_e32 v81, v105
	v_mov_b32_e32 v82, v106
	;; [unrolled: 1-line block ×4, first 2 shown]
	s_waitcnt vmcnt(1)
	global_store_dword v[90:91], v93, off
.LBB114_875:
	s_or_b64 exec, exec, s[20:21]
	v_mov_b32_e32 v93, v89
	v_mov_b32_e32 v127, v89
.LBB114_876:
	s_or_b64 exec, exec, s[18:19]
.LBB114_877:
	s_andn2_saveexec_b64 s[0:1], s[0:1]
	s_cbranch_execz .LBB114_879
; %bb.878:
	v_mov_b32_e32 v93, 41
	ds_write2_b64 v0, v[57:58], v[59:60] offset0:84 offset1:85
	ds_write2_b64 v0, v[53:54], v[55:56] offset0:86 offset1:87
	;; [unrolled: 1-line block ×16, first 2 shown]
.LBB114_879:
	s_or_b64 exec, exec, s[0:1]
	v_cmp_lt_i32_e32 vcc, 41, v93
	s_waitcnt vmcnt(0) lgkmcnt(0)
	s_barrier
	s_and_saveexec_b64 s[0:1], vcc
	s_cbranch_execz .LBB114_881
; %bb.880:
	v_mul_f64 v[89:90], v[117:118], v[63:64]
	v_mul_f64 v[63:64], v[119:120], v[63:64]
	ds_read2_b64 v[95:98], v0 offset0:84 offset1:85
	v_fma_f64 v[89:90], v[119:120], v[61:62], v[89:90]
	v_fma_f64 v[61:62], v[117:118], v[61:62], -v[63:64]
	s_waitcnt lgkmcnt(0)
	v_mul_f64 v[63:64], v[97:98], v[89:90]
	v_mul_f64 v[91:92], v[95:96], v[89:90]
	v_fma_f64 v[63:64], v[95:96], v[61:62], -v[63:64]
	v_fma_f64 v[91:92], v[97:98], v[61:62], v[91:92]
	ds_read2_b64 v[95:98], v0 offset0:86 offset1:87
	v_add_f64 v[57:58], v[57:58], -v[63:64]
	v_add_f64 v[59:60], v[59:60], -v[91:92]
	s_waitcnt lgkmcnt(0)
	v_mul_f64 v[63:64], v[97:98], v[89:90]
	v_mul_f64 v[91:92], v[95:96], v[89:90]
	v_fma_f64 v[63:64], v[95:96], v[61:62], -v[63:64]
	v_fma_f64 v[91:92], v[97:98], v[61:62], v[91:92]
	ds_read2_b64 v[95:98], v0 offset0:88 offset1:89
	v_add_f64 v[53:54], v[53:54], -v[63:64]
	v_add_f64 v[55:56], v[55:56], -v[91:92]
	;; [unrolled: 8-line block ×15, first 2 shown]
	s_waitcnt lgkmcnt(0)
	v_mul_f64 v[63:64], v[97:98], v[89:90]
	v_mul_f64 v[91:92], v[95:96], v[89:90]
	v_fma_f64 v[63:64], v[95:96], v[61:62], -v[63:64]
	v_fma_f64 v[91:92], v[97:98], v[61:62], v[91:92]
	v_add_f64 v[121:122], v[121:122], -v[63:64]
	v_add_f64 v[123:124], v[123:124], -v[91:92]
	v_mov_b32_e32 v63, v89
	v_mov_b32_e32 v64, v90
.LBB114_881:
	s_or_b64 exec, exec, s[0:1]
	v_lshl_add_u32 v89, v93, 4, v0
	s_barrier
	ds_write2_b64 v89, v[57:58], v[59:60] offset1:1
	s_waitcnt lgkmcnt(0)
	s_barrier
	ds_read2_b64 v[117:120], v0 offset0:84 offset1:85
	s_cmp_lt_i32 s3, 44
	v_mov_b32_e32 v89, 42
	s_cbranch_scc1 .LBB114_884
; %bb.882:
	v_add_u32_e32 v90, 0x2b0, v0
	s_mov_b32 s0, 43
	v_mov_b32_e32 v89, 42
.LBB114_883:                            ; =>This Inner Loop Header: Depth=1
	s_waitcnt lgkmcnt(0)
	v_cmp_gt_f64_e32 vcc, 0, v[117:118]
	v_xor_b32_e32 v91, 0x80000000, v118
	ds_read2_b64 v[95:98], v90 offset1:1
	v_xor_b32_e32 v99, 0x80000000, v120
	v_add_u32_e32 v90, 16, v90
	s_waitcnt lgkmcnt(0)
	v_xor_b32_e32 v101, 0x80000000, v98
	v_cndmask_b32_e32 v92, v118, v91, vcc
	v_cmp_gt_f64_e32 vcc, 0, v[119:120]
	v_mov_b32_e32 v91, v117
	v_cndmask_b32_e32 v100, v120, v99, vcc
	v_cmp_gt_f64_e32 vcc, 0, v[95:96]
	v_mov_b32_e32 v99, v119
	v_add_f64 v[91:92], v[91:92], v[99:100]
	v_xor_b32_e32 v99, 0x80000000, v96
	v_cndmask_b32_e32 v100, v96, v99, vcc
	v_cmp_gt_f64_e32 vcc, 0, v[97:98]
	v_mov_b32_e32 v99, v95
	v_cndmask_b32_e32 v102, v98, v101, vcc
	v_mov_b32_e32 v101, v97
	v_add_f64 v[99:100], v[99:100], v[101:102]
	v_cmp_lt_f64_e32 vcc, v[91:92], v[99:100]
	v_mov_b32_e32 v91, s0
	s_add_i32 s0, s0, 1
	s_cmp_lg_u32 s3, s0
	v_cndmask_b32_e32 v118, v118, v96, vcc
	v_cndmask_b32_e32 v117, v117, v95, vcc
	;; [unrolled: 1-line block ×5, first 2 shown]
	s_cbranch_scc1 .LBB114_883
.LBB114_884:
	s_waitcnt lgkmcnt(0)
	v_cmp_eq_f64_e32 vcc, 0, v[117:118]
	v_cmp_eq_f64_e64 s[0:1], 0, v[119:120]
	s_and_b64 s[0:1], vcc, s[0:1]
	s_and_saveexec_b64 s[18:19], s[0:1]
	s_xor_b64 s[0:1], exec, s[18:19]
; %bb.885:
	v_cmp_ne_u32_e32 vcc, 0, v94
	v_cndmask_b32_e32 v94, 43, v94, vcc
; %bb.886:
	s_andn2_saveexec_b64 s[0:1], s[0:1]
	s_cbranch_execz .LBB114_892
; %bb.887:
	v_cmp_ngt_f64_e64 s[18:19], |v[117:118]|, |v[119:120]|
	s_and_saveexec_b64 s[20:21], s[18:19]
	s_xor_b64 s[18:19], exec, s[20:21]
	s_cbranch_execz .LBB114_889
; %bb.888:
	v_div_scale_f64 v[90:91], s[20:21], v[119:120], v[119:120], v[117:118]
	v_rcp_f64_e32 v[95:96], v[90:91]
	v_fma_f64 v[97:98], -v[90:91], v[95:96], 1.0
	v_fma_f64 v[95:96], v[95:96], v[97:98], v[95:96]
	v_div_scale_f64 v[97:98], vcc, v[117:118], v[119:120], v[117:118]
	v_fma_f64 v[99:100], -v[90:91], v[95:96], 1.0
	v_fma_f64 v[95:96], v[95:96], v[99:100], v[95:96]
	v_mul_f64 v[99:100], v[97:98], v[95:96]
	v_fma_f64 v[90:91], -v[90:91], v[99:100], v[97:98]
	v_div_fmas_f64 v[90:91], v[90:91], v[95:96], v[99:100]
	v_div_fixup_f64 v[90:91], v[90:91], v[119:120], v[117:118]
	v_fma_f64 v[95:96], v[117:118], v[90:91], v[119:120]
	v_div_scale_f64 v[97:98], s[20:21], v[95:96], v[95:96], 1.0
	v_div_scale_f64 v[103:104], vcc, 1.0, v[95:96], 1.0
	v_rcp_f64_e32 v[99:100], v[97:98]
	v_fma_f64 v[101:102], -v[97:98], v[99:100], 1.0
	v_fma_f64 v[99:100], v[99:100], v[101:102], v[99:100]
	v_fma_f64 v[101:102], -v[97:98], v[99:100], 1.0
	v_fma_f64 v[99:100], v[99:100], v[101:102], v[99:100]
	v_mul_f64 v[101:102], v[103:104], v[99:100]
	v_fma_f64 v[97:98], -v[97:98], v[101:102], v[103:104]
	v_div_fmas_f64 v[97:98], v[97:98], v[99:100], v[101:102]
	v_div_fixup_f64 v[119:120], v[97:98], v[95:96], 1.0
	v_mul_f64 v[117:118], v[90:91], v[119:120]
	v_xor_b32_e32 v120, 0x80000000, v120
.LBB114_889:
	s_andn2_saveexec_b64 s[18:19], s[18:19]
	s_cbranch_execz .LBB114_891
; %bb.890:
	v_div_scale_f64 v[90:91], s[20:21], v[117:118], v[117:118], v[119:120]
	v_rcp_f64_e32 v[95:96], v[90:91]
	v_fma_f64 v[97:98], -v[90:91], v[95:96], 1.0
	v_fma_f64 v[95:96], v[95:96], v[97:98], v[95:96]
	v_div_scale_f64 v[97:98], vcc, v[119:120], v[117:118], v[119:120]
	v_fma_f64 v[99:100], -v[90:91], v[95:96], 1.0
	v_fma_f64 v[95:96], v[95:96], v[99:100], v[95:96]
	v_mul_f64 v[99:100], v[97:98], v[95:96]
	v_fma_f64 v[90:91], -v[90:91], v[99:100], v[97:98]
	v_div_fmas_f64 v[90:91], v[90:91], v[95:96], v[99:100]
	v_div_fixup_f64 v[90:91], v[90:91], v[117:118], v[119:120]
	v_fma_f64 v[95:96], v[119:120], v[90:91], v[117:118]
	v_div_scale_f64 v[97:98], s[20:21], v[95:96], v[95:96], 1.0
	v_div_scale_f64 v[103:104], vcc, 1.0, v[95:96], 1.0
	v_rcp_f64_e32 v[99:100], v[97:98]
	v_fma_f64 v[101:102], -v[97:98], v[99:100], 1.0
	v_fma_f64 v[99:100], v[99:100], v[101:102], v[99:100]
	v_fma_f64 v[101:102], -v[97:98], v[99:100], 1.0
	v_fma_f64 v[99:100], v[99:100], v[101:102], v[99:100]
	v_mul_f64 v[101:102], v[103:104], v[99:100]
	v_fma_f64 v[97:98], -v[97:98], v[101:102], v[103:104]
	v_div_fmas_f64 v[97:98], v[97:98], v[99:100], v[101:102]
	v_div_fixup_f64 v[117:118], v[97:98], v[95:96], 1.0
	v_mul_f64 v[119:120], v[90:91], -v[117:118]
.LBB114_891:
	s_or_b64 exec, exec, s[18:19]
.LBB114_892:
	s_or_b64 exec, exec, s[0:1]
	v_cmp_ne_u32_e32 vcc, v93, v89
	s_and_saveexec_b64 s[0:1], vcc
	s_xor_b64 s[0:1], exec, s[0:1]
	s_cbranch_execz .LBB114_898
; %bb.893:
	v_cmp_eq_u32_e32 vcc, 42, v93
	s_and_saveexec_b64 s[18:19], vcc
	s_cbranch_execz .LBB114_897
; %bb.894:
	v_cmp_ne_u32_e32 vcc, 42, v89
	s_xor_b64 s[20:21], s[6:7], -1
	s_and_b64 s[22:23], s[20:21], vcc
	s_and_saveexec_b64 s[20:21], s[22:23]
	s_cbranch_execz .LBB114_896
; %bb.895:
	buffer_load_dword v81, off, s[24:27], 0 offset:480 ; 4-byte Folded Reload
	buffer_load_dword v82, off, s[24:27], 0 offset:484 ; 4-byte Folded Reload
	v_ashrrev_i32_e32 v90, 31, v89
	v_lshlrev_b64 v[90:91], 2, v[89:90]
	s_waitcnt vmcnt(1)
	v_add_co_u32_e32 v90, vcc, v81, v90
	s_waitcnt vmcnt(0)
	v_addc_co_u32_e32 v91, vcc, v82, v91, vcc
	global_load_dword v92, v[90:91], off
	global_load_dword v93, v[81:82], off offset:168
	s_waitcnt vmcnt(1)
	global_store_dword v[81:82], v92, off offset:168
	v_mov_b32_e32 v81, v105
	v_mov_b32_e32 v82, v106
	;; [unrolled: 1-line block ×4, first 2 shown]
	s_waitcnt vmcnt(1)
	global_store_dword v[90:91], v93, off
.LBB114_896:
	s_or_b64 exec, exec, s[20:21]
	v_mov_b32_e32 v93, v89
	v_mov_b32_e32 v127, v89
.LBB114_897:
	s_or_b64 exec, exec, s[18:19]
.LBB114_898:
	s_andn2_saveexec_b64 s[0:1], s[0:1]
	s_cbranch_execz .LBB114_900
; %bb.899:
	v_mov_b32_e32 v93, 42
	ds_write2_b64 v0, v[53:54], v[55:56] offset0:86 offset1:87
	ds_write2_b64 v0, v[49:50], v[51:52] offset0:88 offset1:89
	;; [unrolled: 1-line block ×15, first 2 shown]
.LBB114_900:
	s_or_b64 exec, exec, s[0:1]
	v_cmp_lt_i32_e32 vcc, 42, v93
	s_waitcnt vmcnt(0) lgkmcnt(0)
	s_barrier
	s_and_saveexec_b64 s[0:1], vcc
	s_cbranch_execz .LBB114_902
; %bb.901:
	v_mul_f64 v[89:90], v[117:118], v[59:60]
	v_mul_f64 v[59:60], v[119:120], v[59:60]
	ds_read2_b64 v[95:98], v0 offset0:86 offset1:87
	v_fma_f64 v[89:90], v[119:120], v[57:58], v[89:90]
	v_fma_f64 v[57:58], v[117:118], v[57:58], -v[59:60]
	s_waitcnt lgkmcnt(0)
	v_mul_f64 v[59:60], v[97:98], v[89:90]
	v_mul_f64 v[91:92], v[95:96], v[89:90]
	v_fma_f64 v[59:60], v[95:96], v[57:58], -v[59:60]
	v_fma_f64 v[91:92], v[97:98], v[57:58], v[91:92]
	ds_read2_b64 v[95:98], v0 offset0:88 offset1:89
	v_add_f64 v[53:54], v[53:54], -v[59:60]
	v_add_f64 v[55:56], v[55:56], -v[91:92]
	s_waitcnt lgkmcnt(0)
	v_mul_f64 v[59:60], v[97:98], v[89:90]
	v_mul_f64 v[91:92], v[95:96], v[89:90]
	v_fma_f64 v[59:60], v[95:96], v[57:58], -v[59:60]
	v_fma_f64 v[91:92], v[97:98], v[57:58], v[91:92]
	ds_read2_b64 v[95:98], v0 offset0:90 offset1:91
	v_add_f64 v[49:50], v[49:50], -v[59:60]
	v_add_f64 v[51:52], v[51:52], -v[91:92]
	s_waitcnt lgkmcnt(0)
	v_mul_f64 v[59:60], v[97:98], v[89:90]
	v_mul_f64 v[91:92], v[95:96], v[89:90]
	v_fma_f64 v[59:60], v[95:96], v[57:58], -v[59:60]
	v_fma_f64 v[91:92], v[97:98], v[57:58], v[91:92]
	ds_read2_b64 v[95:98], v0 offset0:92 offset1:93
	v_add_f64 v[45:46], v[45:46], -v[59:60]
	v_add_f64 v[47:48], v[47:48], -v[91:92]
	s_waitcnt lgkmcnt(0)
	v_mul_f64 v[59:60], v[97:98], v[89:90]
	v_mul_f64 v[91:92], v[95:96], v[89:90]
	v_fma_f64 v[59:60], v[95:96], v[57:58], -v[59:60]
	v_fma_f64 v[91:92], v[97:98], v[57:58], v[91:92]
	ds_read2_b64 v[95:98], v0 offset0:94 offset1:95
	v_add_f64 v[41:42], v[41:42], -v[59:60]
	v_add_f64 v[43:44], v[43:44], -v[91:92]
	s_waitcnt lgkmcnt(0)
	v_mul_f64 v[59:60], v[97:98], v[89:90]
	v_mul_f64 v[91:92], v[95:96], v[89:90]
	v_fma_f64 v[59:60], v[95:96], v[57:58], -v[59:60]
	v_fma_f64 v[91:92], v[97:98], v[57:58], v[91:92]
	ds_read2_b64 v[95:98], v0 offset0:96 offset1:97
	v_add_f64 v[37:38], v[37:38], -v[59:60]
	v_add_f64 v[39:40], v[39:40], -v[91:92]
	s_waitcnt lgkmcnt(0)
	v_mul_f64 v[59:60], v[97:98], v[89:90]
	v_mul_f64 v[91:92], v[95:96], v[89:90]
	v_fma_f64 v[59:60], v[95:96], v[57:58], -v[59:60]
	v_fma_f64 v[91:92], v[97:98], v[57:58], v[91:92]
	ds_read2_b64 v[95:98], v0 offset0:98 offset1:99
	v_add_f64 v[33:34], v[33:34], -v[59:60]
	v_add_f64 v[35:36], v[35:36], -v[91:92]
	s_waitcnt lgkmcnt(0)
	v_mul_f64 v[59:60], v[97:98], v[89:90]
	v_mul_f64 v[91:92], v[95:96], v[89:90]
	v_fma_f64 v[59:60], v[95:96], v[57:58], -v[59:60]
	v_fma_f64 v[91:92], v[97:98], v[57:58], v[91:92]
	ds_read2_b64 v[95:98], v0 offset0:100 offset1:101
	v_add_f64 v[29:30], v[29:30], -v[59:60]
	v_add_f64 v[31:32], v[31:32], -v[91:92]
	s_waitcnt lgkmcnt(0)
	v_mul_f64 v[59:60], v[97:98], v[89:90]
	v_mul_f64 v[91:92], v[95:96], v[89:90]
	v_fma_f64 v[59:60], v[95:96], v[57:58], -v[59:60]
	v_fma_f64 v[91:92], v[97:98], v[57:58], v[91:92]
	ds_read2_b64 v[95:98], v0 offset0:102 offset1:103
	v_add_f64 v[25:26], v[25:26], -v[59:60]
	v_add_f64 v[27:28], v[27:28], -v[91:92]
	s_waitcnt lgkmcnt(0)
	v_mul_f64 v[59:60], v[97:98], v[89:90]
	v_mul_f64 v[91:92], v[95:96], v[89:90]
	v_fma_f64 v[59:60], v[95:96], v[57:58], -v[59:60]
	v_fma_f64 v[91:92], v[97:98], v[57:58], v[91:92]
	ds_read2_b64 v[95:98], v0 offset0:104 offset1:105
	v_add_f64 v[21:22], v[21:22], -v[59:60]
	v_add_f64 v[23:24], v[23:24], -v[91:92]
	s_waitcnt lgkmcnt(0)
	v_mul_f64 v[59:60], v[97:98], v[89:90]
	v_mul_f64 v[91:92], v[95:96], v[89:90]
	v_fma_f64 v[59:60], v[95:96], v[57:58], -v[59:60]
	v_fma_f64 v[91:92], v[97:98], v[57:58], v[91:92]
	ds_read2_b64 v[95:98], v0 offset0:106 offset1:107
	v_add_f64 v[17:18], v[17:18], -v[59:60]
	v_add_f64 v[19:20], v[19:20], -v[91:92]
	s_waitcnt lgkmcnt(0)
	v_mul_f64 v[59:60], v[97:98], v[89:90]
	v_mul_f64 v[91:92], v[95:96], v[89:90]
	v_fma_f64 v[59:60], v[95:96], v[57:58], -v[59:60]
	v_fma_f64 v[91:92], v[97:98], v[57:58], v[91:92]
	ds_read2_b64 v[95:98], v0 offset0:108 offset1:109
	v_add_f64 v[13:14], v[13:14], -v[59:60]
	v_add_f64 v[15:16], v[15:16], -v[91:92]
	s_waitcnt lgkmcnt(0)
	v_mul_f64 v[59:60], v[97:98], v[89:90]
	v_mul_f64 v[91:92], v[95:96], v[89:90]
	v_fma_f64 v[59:60], v[95:96], v[57:58], -v[59:60]
	v_fma_f64 v[91:92], v[97:98], v[57:58], v[91:92]
	ds_read2_b64 v[95:98], v0 offset0:110 offset1:111
	v_add_f64 v[9:10], v[9:10], -v[59:60]
	v_add_f64 v[11:12], v[11:12], -v[91:92]
	s_waitcnt lgkmcnt(0)
	v_mul_f64 v[59:60], v[97:98], v[89:90]
	v_mul_f64 v[91:92], v[95:96], v[89:90]
	v_fma_f64 v[59:60], v[95:96], v[57:58], -v[59:60]
	v_fma_f64 v[91:92], v[97:98], v[57:58], v[91:92]
	ds_read2_b64 v[95:98], v0 offset0:112 offset1:113
	v_add_f64 v[5:6], v[5:6], -v[59:60]
	v_add_f64 v[7:8], v[7:8], -v[91:92]
	s_waitcnt lgkmcnt(0)
	v_mul_f64 v[59:60], v[97:98], v[89:90]
	v_mul_f64 v[91:92], v[95:96], v[89:90]
	v_fma_f64 v[59:60], v[95:96], v[57:58], -v[59:60]
	v_fma_f64 v[91:92], v[97:98], v[57:58], v[91:92]
	ds_read2_b64 v[95:98], v0 offset0:114 offset1:115
	v_add_f64 v[1:2], v[1:2], -v[59:60]
	v_add_f64 v[3:4], v[3:4], -v[91:92]
	s_waitcnt lgkmcnt(0)
	v_mul_f64 v[59:60], v[97:98], v[89:90]
	v_mul_f64 v[91:92], v[95:96], v[89:90]
	v_fma_f64 v[59:60], v[95:96], v[57:58], -v[59:60]
	v_fma_f64 v[91:92], v[97:98], v[57:58], v[91:92]
	v_add_f64 v[121:122], v[121:122], -v[59:60]
	v_add_f64 v[123:124], v[123:124], -v[91:92]
	v_mov_b32_e32 v59, v89
	v_mov_b32_e32 v60, v90
.LBB114_902:
	s_or_b64 exec, exec, s[0:1]
	v_lshl_add_u32 v89, v93, 4, v0
	s_barrier
	ds_write2_b64 v89, v[53:54], v[55:56] offset1:1
	s_waitcnt lgkmcnt(0)
	s_barrier
	ds_read2_b64 v[117:120], v0 offset0:86 offset1:87
	s_cmp_lt_i32 s3, 45
	v_mov_b32_e32 v89, 43
	s_cbranch_scc1 .LBB114_905
; %bb.903:
	v_add_u32_e32 v90, 0x2c0, v0
	s_mov_b32 s0, 44
	v_mov_b32_e32 v89, 43
.LBB114_904:                            ; =>This Inner Loop Header: Depth=1
	s_waitcnt lgkmcnt(0)
	v_cmp_gt_f64_e32 vcc, 0, v[117:118]
	v_xor_b32_e32 v91, 0x80000000, v118
	ds_read2_b64 v[95:98], v90 offset1:1
	v_xor_b32_e32 v99, 0x80000000, v120
	v_add_u32_e32 v90, 16, v90
	s_waitcnt lgkmcnt(0)
	v_xor_b32_e32 v101, 0x80000000, v98
	v_cndmask_b32_e32 v92, v118, v91, vcc
	v_cmp_gt_f64_e32 vcc, 0, v[119:120]
	v_mov_b32_e32 v91, v117
	v_cndmask_b32_e32 v100, v120, v99, vcc
	v_cmp_gt_f64_e32 vcc, 0, v[95:96]
	v_mov_b32_e32 v99, v119
	v_add_f64 v[91:92], v[91:92], v[99:100]
	v_xor_b32_e32 v99, 0x80000000, v96
	v_cndmask_b32_e32 v100, v96, v99, vcc
	v_cmp_gt_f64_e32 vcc, 0, v[97:98]
	v_mov_b32_e32 v99, v95
	v_cndmask_b32_e32 v102, v98, v101, vcc
	v_mov_b32_e32 v101, v97
	v_add_f64 v[99:100], v[99:100], v[101:102]
	v_cmp_lt_f64_e32 vcc, v[91:92], v[99:100]
	v_mov_b32_e32 v91, s0
	s_add_i32 s0, s0, 1
	s_cmp_lg_u32 s3, s0
	v_cndmask_b32_e32 v118, v118, v96, vcc
	v_cndmask_b32_e32 v117, v117, v95, vcc
	;; [unrolled: 1-line block ×5, first 2 shown]
	s_cbranch_scc1 .LBB114_904
.LBB114_905:
	s_waitcnt lgkmcnt(0)
	v_cmp_eq_f64_e32 vcc, 0, v[117:118]
	v_cmp_eq_f64_e64 s[0:1], 0, v[119:120]
	s_and_b64 s[0:1], vcc, s[0:1]
	s_and_saveexec_b64 s[18:19], s[0:1]
	s_xor_b64 s[0:1], exec, s[18:19]
; %bb.906:
	v_cmp_ne_u32_e32 vcc, 0, v94
	v_cndmask_b32_e32 v94, 44, v94, vcc
; %bb.907:
	s_andn2_saveexec_b64 s[0:1], s[0:1]
	s_cbranch_execz .LBB114_913
; %bb.908:
	v_cmp_ngt_f64_e64 s[18:19], |v[117:118]|, |v[119:120]|
	s_and_saveexec_b64 s[20:21], s[18:19]
	s_xor_b64 s[18:19], exec, s[20:21]
	s_cbranch_execz .LBB114_910
; %bb.909:
	v_div_scale_f64 v[90:91], s[20:21], v[119:120], v[119:120], v[117:118]
	v_rcp_f64_e32 v[95:96], v[90:91]
	v_fma_f64 v[97:98], -v[90:91], v[95:96], 1.0
	v_fma_f64 v[95:96], v[95:96], v[97:98], v[95:96]
	v_div_scale_f64 v[97:98], vcc, v[117:118], v[119:120], v[117:118]
	v_fma_f64 v[99:100], -v[90:91], v[95:96], 1.0
	v_fma_f64 v[95:96], v[95:96], v[99:100], v[95:96]
	v_mul_f64 v[99:100], v[97:98], v[95:96]
	v_fma_f64 v[90:91], -v[90:91], v[99:100], v[97:98]
	v_div_fmas_f64 v[90:91], v[90:91], v[95:96], v[99:100]
	v_div_fixup_f64 v[90:91], v[90:91], v[119:120], v[117:118]
	v_fma_f64 v[95:96], v[117:118], v[90:91], v[119:120]
	v_div_scale_f64 v[97:98], s[20:21], v[95:96], v[95:96], 1.0
	v_div_scale_f64 v[103:104], vcc, 1.0, v[95:96], 1.0
	v_rcp_f64_e32 v[99:100], v[97:98]
	v_fma_f64 v[101:102], -v[97:98], v[99:100], 1.0
	v_fma_f64 v[99:100], v[99:100], v[101:102], v[99:100]
	v_fma_f64 v[101:102], -v[97:98], v[99:100], 1.0
	v_fma_f64 v[99:100], v[99:100], v[101:102], v[99:100]
	v_mul_f64 v[101:102], v[103:104], v[99:100]
	v_fma_f64 v[97:98], -v[97:98], v[101:102], v[103:104]
	v_div_fmas_f64 v[97:98], v[97:98], v[99:100], v[101:102]
	v_div_fixup_f64 v[119:120], v[97:98], v[95:96], 1.0
	v_mul_f64 v[117:118], v[90:91], v[119:120]
	v_xor_b32_e32 v120, 0x80000000, v120
.LBB114_910:
	s_andn2_saveexec_b64 s[18:19], s[18:19]
	s_cbranch_execz .LBB114_912
; %bb.911:
	v_div_scale_f64 v[90:91], s[20:21], v[117:118], v[117:118], v[119:120]
	v_rcp_f64_e32 v[95:96], v[90:91]
	v_fma_f64 v[97:98], -v[90:91], v[95:96], 1.0
	v_fma_f64 v[95:96], v[95:96], v[97:98], v[95:96]
	v_div_scale_f64 v[97:98], vcc, v[119:120], v[117:118], v[119:120]
	v_fma_f64 v[99:100], -v[90:91], v[95:96], 1.0
	v_fma_f64 v[95:96], v[95:96], v[99:100], v[95:96]
	v_mul_f64 v[99:100], v[97:98], v[95:96]
	v_fma_f64 v[90:91], -v[90:91], v[99:100], v[97:98]
	v_div_fmas_f64 v[90:91], v[90:91], v[95:96], v[99:100]
	v_div_fixup_f64 v[90:91], v[90:91], v[117:118], v[119:120]
	v_fma_f64 v[95:96], v[119:120], v[90:91], v[117:118]
	v_div_scale_f64 v[97:98], s[20:21], v[95:96], v[95:96], 1.0
	v_div_scale_f64 v[103:104], vcc, 1.0, v[95:96], 1.0
	v_rcp_f64_e32 v[99:100], v[97:98]
	v_fma_f64 v[101:102], -v[97:98], v[99:100], 1.0
	v_fma_f64 v[99:100], v[99:100], v[101:102], v[99:100]
	v_fma_f64 v[101:102], -v[97:98], v[99:100], 1.0
	v_fma_f64 v[99:100], v[99:100], v[101:102], v[99:100]
	v_mul_f64 v[101:102], v[103:104], v[99:100]
	v_fma_f64 v[97:98], -v[97:98], v[101:102], v[103:104]
	v_div_fmas_f64 v[97:98], v[97:98], v[99:100], v[101:102]
	v_div_fixup_f64 v[117:118], v[97:98], v[95:96], 1.0
	v_mul_f64 v[119:120], v[90:91], -v[117:118]
.LBB114_912:
	s_or_b64 exec, exec, s[18:19]
.LBB114_913:
	s_or_b64 exec, exec, s[0:1]
	v_cmp_ne_u32_e32 vcc, v93, v89
	s_and_saveexec_b64 s[0:1], vcc
	s_xor_b64 s[0:1], exec, s[0:1]
	s_cbranch_execz .LBB114_919
; %bb.914:
	v_cmp_eq_u32_e32 vcc, 43, v93
	s_and_saveexec_b64 s[18:19], vcc
	s_cbranch_execz .LBB114_918
; %bb.915:
	v_cmp_ne_u32_e32 vcc, 43, v89
	s_xor_b64 s[20:21], s[6:7], -1
	s_and_b64 s[22:23], s[20:21], vcc
	s_and_saveexec_b64 s[20:21], s[22:23]
	s_cbranch_execz .LBB114_917
; %bb.916:
	buffer_load_dword v81, off, s[24:27], 0 offset:480 ; 4-byte Folded Reload
	buffer_load_dword v82, off, s[24:27], 0 offset:484 ; 4-byte Folded Reload
	v_ashrrev_i32_e32 v90, 31, v89
	v_lshlrev_b64 v[90:91], 2, v[89:90]
	s_waitcnt vmcnt(1)
	v_add_co_u32_e32 v90, vcc, v81, v90
	s_waitcnt vmcnt(0)
	v_addc_co_u32_e32 v91, vcc, v82, v91, vcc
	global_load_dword v92, v[90:91], off
	global_load_dword v93, v[81:82], off offset:172
	s_waitcnt vmcnt(1)
	global_store_dword v[81:82], v92, off offset:172
	v_mov_b32_e32 v81, v105
	v_mov_b32_e32 v82, v106
	;; [unrolled: 1-line block ×4, first 2 shown]
	s_waitcnt vmcnt(1)
	global_store_dword v[90:91], v93, off
.LBB114_917:
	s_or_b64 exec, exec, s[20:21]
	v_mov_b32_e32 v93, v89
	v_mov_b32_e32 v127, v89
.LBB114_918:
	s_or_b64 exec, exec, s[18:19]
.LBB114_919:
	s_andn2_saveexec_b64 s[0:1], s[0:1]
	s_cbranch_execz .LBB114_921
; %bb.920:
	v_mov_b32_e32 v93, 43
	ds_write2_b64 v0, v[49:50], v[51:52] offset0:88 offset1:89
	ds_write2_b64 v0, v[45:46], v[47:48] offset0:90 offset1:91
	;; [unrolled: 1-line block ×14, first 2 shown]
.LBB114_921:
	s_or_b64 exec, exec, s[0:1]
	v_cmp_lt_i32_e32 vcc, 43, v93
	s_waitcnt vmcnt(0) lgkmcnt(0)
	s_barrier
	s_and_saveexec_b64 s[0:1], vcc
	s_cbranch_execz .LBB114_923
; %bb.922:
	v_mul_f64 v[89:90], v[117:118], v[55:56]
	v_mul_f64 v[55:56], v[119:120], v[55:56]
	ds_read2_b64 v[95:98], v0 offset0:88 offset1:89
	v_fma_f64 v[89:90], v[119:120], v[53:54], v[89:90]
	v_fma_f64 v[53:54], v[117:118], v[53:54], -v[55:56]
	s_waitcnt lgkmcnt(0)
	v_mul_f64 v[55:56], v[97:98], v[89:90]
	v_mul_f64 v[91:92], v[95:96], v[89:90]
	v_fma_f64 v[55:56], v[95:96], v[53:54], -v[55:56]
	v_fma_f64 v[91:92], v[97:98], v[53:54], v[91:92]
	ds_read2_b64 v[95:98], v0 offset0:90 offset1:91
	v_add_f64 v[49:50], v[49:50], -v[55:56]
	v_add_f64 v[51:52], v[51:52], -v[91:92]
	s_waitcnt lgkmcnt(0)
	v_mul_f64 v[55:56], v[97:98], v[89:90]
	v_mul_f64 v[91:92], v[95:96], v[89:90]
	v_fma_f64 v[55:56], v[95:96], v[53:54], -v[55:56]
	v_fma_f64 v[91:92], v[97:98], v[53:54], v[91:92]
	ds_read2_b64 v[95:98], v0 offset0:92 offset1:93
	v_add_f64 v[45:46], v[45:46], -v[55:56]
	v_add_f64 v[47:48], v[47:48], -v[91:92]
	;; [unrolled: 8-line block ×13, first 2 shown]
	s_waitcnt lgkmcnt(0)
	v_mul_f64 v[55:56], v[97:98], v[89:90]
	v_mul_f64 v[91:92], v[95:96], v[89:90]
	v_fma_f64 v[55:56], v[95:96], v[53:54], -v[55:56]
	v_fma_f64 v[91:92], v[97:98], v[53:54], v[91:92]
	v_add_f64 v[121:122], v[121:122], -v[55:56]
	v_add_f64 v[123:124], v[123:124], -v[91:92]
	v_mov_b32_e32 v55, v89
	v_mov_b32_e32 v56, v90
.LBB114_923:
	s_or_b64 exec, exec, s[0:1]
	v_lshl_add_u32 v89, v93, 4, v0
	s_barrier
	ds_write2_b64 v89, v[49:50], v[51:52] offset1:1
	s_waitcnt lgkmcnt(0)
	s_barrier
	ds_read2_b64 v[117:120], v0 offset0:88 offset1:89
	s_cmp_lt_i32 s3, 46
	v_mov_b32_e32 v89, 44
	s_cbranch_scc1 .LBB114_926
; %bb.924:
	v_add_u32_e32 v90, 0x2d0, v0
	s_mov_b32 s0, 45
	v_mov_b32_e32 v89, 44
.LBB114_925:                            ; =>This Inner Loop Header: Depth=1
	s_waitcnt lgkmcnt(0)
	v_cmp_gt_f64_e32 vcc, 0, v[117:118]
	v_xor_b32_e32 v91, 0x80000000, v118
	ds_read2_b64 v[95:98], v90 offset1:1
	v_xor_b32_e32 v99, 0x80000000, v120
	v_add_u32_e32 v90, 16, v90
	s_waitcnt lgkmcnt(0)
	v_xor_b32_e32 v101, 0x80000000, v98
	v_cndmask_b32_e32 v92, v118, v91, vcc
	v_cmp_gt_f64_e32 vcc, 0, v[119:120]
	v_mov_b32_e32 v91, v117
	v_cndmask_b32_e32 v100, v120, v99, vcc
	v_cmp_gt_f64_e32 vcc, 0, v[95:96]
	v_mov_b32_e32 v99, v119
	v_add_f64 v[91:92], v[91:92], v[99:100]
	v_xor_b32_e32 v99, 0x80000000, v96
	v_cndmask_b32_e32 v100, v96, v99, vcc
	v_cmp_gt_f64_e32 vcc, 0, v[97:98]
	v_mov_b32_e32 v99, v95
	v_cndmask_b32_e32 v102, v98, v101, vcc
	v_mov_b32_e32 v101, v97
	v_add_f64 v[99:100], v[99:100], v[101:102]
	v_cmp_lt_f64_e32 vcc, v[91:92], v[99:100]
	v_mov_b32_e32 v91, s0
	s_add_i32 s0, s0, 1
	s_cmp_lg_u32 s3, s0
	v_cndmask_b32_e32 v118, v118, v96, vcc
	v_cndmask_b32_e32 v117, v117, v95, vcc
	;; [unrolled: 1-line block ×5, first 2 shown]
	s_cbranch_scc1 .LBB114_925
.LBB114_926:
	s_waitcnt lgkmcnt(0)
	v_cmp_eq_f64_e32 vcc, 0, v[117:118]
	v_cmp_eq_f64_e64 s[0:1], 0, v[119:120]
	s_and_b64 s[0:1], vcc, s[0:1]
	s_and_saveexec_b64 s[18:19], s[0:1]
	s_xor_b64 s[0:1], exec, s[18:19]
; %bb.927:
	v_cmp_ne_u32_e32 vcc, 0, v94
	v_cndmask_b32_e32 v94, 45, v94, vcc
; %bb.928:
	s_andn2_saveexec_b64 s[0:1], s[0:1]
	s_cbranch_execz .LBB114_934
; %bb.929:
	v_cmp_ngt_f64_e64 s[18:19], |v[117:118]|, |v[119:120]|
	s_and_saveexec_b64 s[20:21], s[18:19]
	s_xor_b64 s[18:19], exec, s[20:21]
	s_cbranch_execz .LBB114_931
; %bb.930:
	v_div_scale_f64 v[90:91], s[20:21], v[119:120], v[119:120], v[117:118]
	v_rcp_f64_e32 v[95:96], v[90:91]
	v_fma_f64 v[97:98], -v[90:91], v[95:96], 1.0
	v_fma_f64 v[95:96], v[95:96], v[97:98], v[95:96]
	v_div_scale_f64 v[97:98], vcc, v[117:118], v[119:120], v[117:118]
	v_fma_f64 v[99:100], -v[90:91], v[95:96], 1.0
	v_fma_f64 v[95:96], v[95:96], v[99:100], v[95:96]
	v_mul_f64 v[99:100], v[97:98], v[95:96]
	v_fma_f64 v[90:91], -v[90:91], v[99:100], v[97:98]
	v_div_fmas_f64 v[90:91], v[90:91], v[95:96], v[99:100]
	v_div_fixup_f64 v[90:91], v[90:91], v[119:120], v[117:118]
	v_fma_f64 v[95:96], v[117:118], v[90:91], v[119:120]
	v_div_scale_f64 v[97:98], s[20:21], v[95:96], v[95:96], 1.0
	v_div_scale_f64 v[103:104], vcc, 1.0, v[95:96], 1.0
	v_rcp_f64_e32 v[99:100], v[97:98]
	v_fma_f64 v[101:102], -v[97:98], v[99:100], 1.0
	v_fma_f64 v[99:100], v[99:100], v[101:102], v[99:100]
	v_fma_f64 v[101:102], -v[97:98], v[99:100], 1.0
	v_fma_f64 v[99:100], v[99:100], v[101:102], v[99:100]
	v_mul_f64 v[101:102], v[103:104], v[99:100]
	v_fma_f64 v[97:98], -v[97:98], v[101:102], v[103:104]
	v_div_fmas_f64 v[97:98], v[97:98], v[99:100], v[101:102]
	v_div_fixup_f64 v[119:120], v[97:98], v[95:96], 1.0
	v_mul_f64 v[117:118], v[90:91], v[119:120]
	v_xor_b32_e32 v120, 0x80000000, v120
.LBB114_931:
	s_andn2_saveexec_b64 s[18:19], s[18:19]
	s_cbranch_execz .LBB114_933
; %bb.932:
	v_div_scale_f64 v[90:91], s[20:21], v[117:118], v[117:118], v[119:120]
	v_rcp_f64_e32 v[95:96], v[90:91]
	v_fma_f64 v[97:98], -v[90:91], v[95:96], 1.0
	v_fma_f64 v[95:96], v[95:96], v[97:98], v[95:96]
	v_div_scale_f64 v[97:98], vcc, v[119:120], v[117:118], v[119:120]
	v_fma_f64 v[99:100], -v[90:91], v[95:96], 1.0
	v_fma_f64 v[95:96], v[95:96], v[99:100], v[95:96]
	v_mul_f64 v[99:100], v[97:98], v[95:96]
	v_fma_f64 v[90:91], -v[90:91], v[99:100], v[97:98]
	v_div_fmas_f64 v[90:91], v[90:91], v[95:96], v[99:100]
	v_div_fixup_f64 v[90:91], v[90:91], v[117:118], v[119:120]
	v_fma_f64 v[95:96], v[119:120], v[90:91], v[117:118]
	v_div_scale_f64 v[97:98], s[20:21], v[95:96], v[95:96], 1.0
	v_div_scale_f64 v[103:104], vcc, 1.0, v[95:96], 1.0
	v_rcp_f64_e32 v[99:100], v[97:98]
	v_fma_f64 v[101:102], -v[97:98], v[99:100], 1.0
	v_fma_f64 v[99:100], v[99:100], v[101:102], v[99:100]
	v_fma_f64 v[101:102], -v[97:98], v[99:100], 1.0
	v_fma_f64 v[99:100], v[99:100], v[101:102], v[99:100]
	v_mul_f64 v[101:102], v[103:104], v[99:100]
	v_fma_f64 v[97:98], -v[97:98], v[101:102], v[103:104]
	v_div_fmas_f64 v[97:98], v[97:98], v[99:100], v[101:102]
	v_div_fixup_f64 v[117:118], v[97:98], v[95:96], 1.0
	v_mul_f64 v[119:120], v[90:91], -v[117:118]
.LBB114_933:
	s_or_b64 exec, exec, s[18:19]
.LBB114_934:
	s_or_b64 exec, exec, s[0:1]
	v_cmp_ne_u32_e32 vcc, v93, v89
	s_and_saveexec_b64 s[0:1], vcc
	s_xor_b64 s[0:1], exec, s[0:1]
	s_cbranch_execz .LBB114_940
; %bb.935:
	v_cmp_eq_u32_e32 vcc, 44, v93
	s_and_saveexec_b64 s[18:19], vcc
	s_cbranch_execz .LBB114_939
; %bb.936:
	v_cmp_ne_u32_e32 vcc, 44, v89
	s_xor_b64 s[20:21], s[6:7], -1
	s_and_b64 s[22:23], s[20:21], vcc
	s_and_saveexec_b64 s[20:21], s[22:23]
	s_cbranch_execz .LBB114_938
; %bb.937:
	buffer_load_dword v81, off, s[24:27], 0 offset:480 ; 4-byte Folded Reload
	buffer_load_dword v82, off, s[24:27], 0 offset:484 ; 4-byte Folded Reload
	v_ashrrev_i32_e32 v90, 31, v89
	v_lshlrev_b64 v[90:91], 2, v[89:90]
	s_waitcnt vmcnt(1)
	v_add_co_u32_e32 v90, vcc, v81, v90
	s_waitcnt vmcnt(0)
	v_addc_co_u32_e32 v91, vcc, v82, v91, vcc
	global_load_dword v92, v[90:91], off
	global_load_dword v93, v[81:82], off offset:176
	s_waitcnt vmcnt(1)
	global_store_dword v[81:82], v92, off offset:176
	v_mov_b32_e32 v81, v105
	v_mov_b32_e32 v82, v106
	v_mov_b32_e32 v83, v107
	v_mov_b32_e32 v84, v108
	s_waitcnt vmcnt(1)
	global_store_dword v[90:91], v93, off
.LBB114_938:
	s_or_b64 exec, exec, s[20:21]
	v_mov_b32_e32 v93, v89
	v_mov_b32_e32 v127, v89
.LBB114_939:
	s_or_b64 exec, exec, s[18:19]
.LBB114_940:
	s_andn2_saveexec_b64 s[0:1], s[0:1]
	s_cbranch_execz .LBB114_942
; %bb.941:
	v_mov_b32_e32 v93, 44
	ds_write2_b64 v0, v[45:46], v[47:48] offset0:90 offset1:91
	ds_write2_b64 v0, v[41:42], v[43:44] offset0:92 offset1:93
	;; [unrolled: 1-line block ×13, first 2 shown]
.LBB114_942:
	s_or_b64 exec, exec, s[0:1]
	v_cmp_lt_i32_e32 vcc, 44, v93
	s_waitcnt vmcnt(0) lgkmcnt(0)
	s_barrier
	s_and_saveexec_b64 s[0:1], vcc
	s_cbranch_execz .LBB114_944
; %bb.943:
	v_mul_f64 v[89:90], v[117:118], v[51:52]
	v_mul_f64 v[51:52], v[119:120], v[51:52]
	ds_read2_b64 v[95:98], v0 offset0:90 offset1:91
	v_fma_f64 v[89:90], v[119:120], v[49:50], v[89:90]
	v_fma_f64 v[49:50], v[117:118], v[49:50], -v[51:52]
	s_waitcnt lgkmcnt(0)
	v_mul_f64 v[51:52], v[97:98], v[89:90]
	v_mul_f64 v[91:92], v[95:96], v[89:90]
	v_fma_f64 v[51:52], v[95:96], v[49:50], -v[51:52]
	v_fma_f64 v[91:92], v[97:98], v[49:50], v[91:92]
	ds_read2_b64 v[95:98], v0 offset0:92 offset1:93
	v_add_f64 v[45:46], v[45:46], -v[51:52]
	v_add_f64 v[47:48], v[47:48], -v[91:92]
	s_waitcnt lgkmcnt(0)
	v_mul_f64 v[51:52], v[97:98], v[89:90]
	v_mul_f64 v[91:92], v[95:96], v[89:90]
	v_fma_f64 v[51:52], v[95:96], v[49:50], -v[51:52]
	v_fma_f64 v[91:92], v[97:98], v[49:50], v[91:92]
	ds_read2_b64 v[95:98], v0 offset0:94 offset1:95
	v_add_f64 v[41:42], v[41:42], -v[51:52]
	v_add_f64 v[43:44], v[43:44], -v[91:92]
	;; [unrolled: 8-line block ×12, first 2 shown]
	s_waitcnt lgkmcnt(0)
	v_mul_f64 v[51:52], v[97:98], v[89:90]
	v_mul_f64 v[91:92], v[95:96], v[89:90]
	v_fma_f64 v[51:52], v[95:96], v[49:50], -v[51:52]
	v_fma_f64 v[91:92], v[97:98], v[49:50], v[91:92]
	v_add_f64 v[121:122], v[121:122], -v[51:52]
	v_add_f64 v[123:124], v[123:124], -v[91:92]
	v_mov_b32_e32 v51, v89
	v_mov_b32_e32 v52, v90
.LBB114_944:
	s_or_b64 exec, exec, s[0:1]
	v_lshl_add_u32 v89, v93, 4, v0
	s_barrier
	ds_write2_b64 v89, v[45:46], v[47:48] offset1:1
	s_waitcnt lgkmcnt(0)
	s_barrier
	ds_read2_b64 v[117:120], v0 offset0:90 offset1:91
	s_cmp_lt_i32 s3, 47
	v_mov_b32_e32 v89, 45
	s_cbranch_scc1 .LBB114_947
; %bb.945:
	v_add_u32_e32 v90, 0x2e0, v0
	s_mov_b32 s0, 46
	v_mov_b32_e32 v89, 45
.LBB114_946:                            ; =>This Inner Loop Header: Depth=1
	s_waitcnt lgkmcnt(0)
	v_cmp_gt_f64_e32 vcc, 0, v[117:118]
	v_xor_b32_e32 v91, 0x80000000, v118
	ds_read2_b64 v[95:98], v90 offset1:1
	v_xor_b32_e32 v99, 0x80000000, v120
	v_add_u32_e32 v90, 16, v90
	s_waitcnt lgkmcnt(0)
	v_xor_b32_e32 v101, 0x80000000, v98
	v_cndmask_b32_e32 v92, v118, v91, vcc
	v_cmp_gt_f64_e32 vcc, 0, v[119:120]
	v_mov_b32_e32 v91, v117
	v_cndmask_b32_e32 v100, v120, v99, vcc
	v_cmp_gt_f64_e32 vcc, 0, v[95:96]
	v_mov_b32_e32 v99, v119
	v_add_f64 v[91:92], v[91:92], v[99:100]
	v_xor_b32_e32 v99, 0x80000000, v96
	v_cndmask_b32_e32 v100, v96, v99, vcc
	v_cmp_gt_f64_e32 vcc, 0, v[97:98]
	v_mov_b32_e32 v99, v95
	v_cndmask_b32_e32 v102, v98, v101, vcc
	v_mov_b32_e32 v101, v97
	v_add_f64 v[99:100], v[99:100], v[101:102]
	v_cmp_lt_f64_e32 vcc, v[91:92], v[99:100]
	v_mov_b32_e32 v91, s0
	s_add_i32 s0, s0, 1
	s_cmp_lg_u32 s3, s0
	v_cndmask_b32_e32 v118, v118, v96, vcc
	v_cndmask_b32_e32 v117, v117, v95, vcc
	;; [unrolled: 1-line block ×5, first 2 shown]
	s_cbranch_scc1 .LBB114_946
.LBB114_947:
	s_waitcnt lgkmcnt(0)
	v_cmp_eq_f64_e32 vcc, 0, v[117:118]
	v_cmp_eq_f64_e64 s[0:1], 0, v[119:120]
	s_and_b64 s[0:1], vcc, s[0:1]
	s_and_saveexec_b64 s[18:19], s[0:1]
	s_xor_b64 s[0:1], exec, s[18:19]
; %bb.948:
	v_cmp_ne_u32_e32 vcc, 0, v94
	v_cndmask_b32_e32 v94, 46, v94, vcc
; %bb.949:
	s_andn2_saveexec_b64 s[0:1], s[0:1]
	s_cbranch_execz .LBB114_955
; %bb.950:
	v_cmp_ngt_f64_e64 s[18:19], |v[117:118]|, |v[119:120]|
	s_and_saveexec_b64 s[20:21], s[18:19]
	s_xor_b64 s[18:19], exec, s[20:21]
	s_cbranch_execz .LBB114_952
; %bb.951:
	v_div_scale_f64 v[90:91], s[20:21], v[119:120], v[119:120], v[117:118]
	v_rcp_f64_e32 v[95:96], v[90:91]
	v_fma_f64 v[97:98], -v[90:91], v[95:96], 1.0
	v_fma_f64 v[95:96], v[95:96], v[97:98], v[95:96]
	v_div_scale_f64 v[97:98], vcc, v[117:118], v[119:120], v[117:118]
	v_fma_f64 v[99:100], -v[90:91], v[95:96], 1.0
	v_fma_f64 v[95:96], v[95:96], v[99:100], v[95:96]
	v_mul_f64 v[99:100], v[97:98], v[95:96]
	v_fma_f64 v[90:91], -v[90:91], v[99:100], v[97:98]
	v_div_fmas_f64 v[90:91], v[90:91], v[95:96], v[99:100]
	v_div_fixup_f64 v[90:91], v[90:91], v[119:120], v[117:118]
	v_fma_f64 v[95:96], v[117:118], v[90:91], v[119:120]
	v_div_scale_f64 v[97:98], s[20:21], v[95:96], v[95:96], 1.0
	v_div_scale_f64 v[103:104], vcc, 1.0, v[95:96], 1.0
	v_rcp_f64_e32 v[99:100], v[97:98]
	v_fma_f64 v[101:102], -v[97:98], v[99:100], 1.0
	v_fma_f64 v[99:100], v[99:100], v[101:102], v[99:100]
	v_fma_f64 v[101:102], -v[97:98], v[99:100], 1.0
	v_fma_f64 v[99:100], v[99:100], v[101:102], v[99:100]
	v_mul_f64 v[101:102], v[103:104], v[99:100]
	v_fma_f64 v[97:98], -v[97:98], v[101:102], v[103:104]
	v_div_fmas_f64 v[97:98], v[97:98], v[99:100], v[101:102]
	v_div_fixup_f64 v[119:120], v[97:98], v[95:96], 1.0
	v_mul_f64 v[117:118], v[90:91], v[119:120]
	v_xor_b32_e32 v120, 0x80000000, v120
.LBB114_952:
	s_andn2_saveexec_b64 s[18:19], s[18:19]
	s_cbranch_execz .LBB114_954
; %bb.953:
	v_div_scale_f64 v[90:91], s[20:21], v[117:118], v[117:118], v[119:120]
	v_rcp_f64_e32 v[95:96], v[90:91]
	v_fma_f64 v[97:98], -v[90:91], v[95:96], 1.0
	v_fma_f64 v[95:96], v[95:96], v[97:98], v[95:96]
	v_div_scale_f64 v[97:98], vcc, v[119:120], v[117:118], v[119:120]
	v_fma_f64 v[99:100], -v[90:91], v[95:96], 1.0
	v_fma_f64 v[95:96], v[95:96], v[99:100], v[95:96]
	v_mul_f64 v[99:100], v[97:98], v[95:96]
	v_fma_f64 v[90:91], -v[90:91], v[99:100], v[97:98]
	v_div_fmas_f64 v[90:91], v[90:91], v[95:96], v[99:100]
	v_div_fixup_f64 v[90:91], v[90:91], v[117:118], v[119:120]
	v_fma_f64 v[95:96], v[119:120], v[90:91], v[117:118]
	v_div_scale_f64 v[97:98], s[20:21], v[95:96], v[95:96], 1.0
	v_div_scale_f64 v[103:104], vcc, 1.0, v[95:96], 1.0
	v_rcp_f64_e32 v[99:100], v[97:98]
	v_fma_f64 v[101:102], -v[97:98], v[99:100], 1.0
	v_fma_f64 v[99:100], v[99:100], v[101:102], v[99:100]
	v_fma_f64 v[101:102], -v[97:98], v[99:100], 1.0
	v_fma_f64 v[99:100], v[99:100], v[101:102], v[99:100]
	v_mul_f64 v[101:102], v[103:104], v[99:100]
	v_fma_f64 v[97:98], -v[97:98], v[101:102], v[103:104]
	v_div_fmas_f64 v[97:98], v[97:98], v[99:100], v[101:102]
	v_div_fixup_f64 v[117:118], v[97:98], v[95:96], 1.0
	v_mul_f64 v[119:120], v[90:91], -v[117:118]
.LBB114_954:
	s_or_b64 exec, exec, s[18:19]
.LBB114_955:
	s_or_b64 exec, exec, s[0:1]
	v_cmp_ne_u32_e32 vcc, v93, v89
	s_and_saveexec_b64 s[0:1], vcc
	s_xor_b64 s[0:1], exec, s[0:1]
	s_cbranch_execz .LBB114_961
; %bb.956:
	v_cmp_eq_u32_e32 vcc, 45, v93
	s_and_saveexec_b64 s[18:19], vcc
	s_cbranch_execz .LBB114_960
; %bb.957:
	v_cmp_ne_u32_e32 vcc, 45, v89
	s_xor_b64 s[20:21], s[6:7], -1
	s_and_b64 s[22:23], s[20:21], vcc
	s_and_saveexec_b64 s[20:21], s[22:23]
	s_cbranch_execz .LBB114_959
; %bb.958:
	buffer_load_dword v81, off, s[24:27], 0 offset:480 ; 4-byte Folded Reload
	buffer_load_dword v82, off, s[24:27], 0 offset:484 ; 4-byte Folded Reload
	v_ashrrev_i32_e32 v90, 31, v89
	v_lshlrev_b64 v[90:91], 2, v[89:90]
	s_waitcnt vmcnt(1)
	v_add_co_u32_e32 v90, vcc, v81, v90
	s_waitcnt vmcnt(0)
	v_addc_co_u32_e32 v91, vcc, v82, v91, vcc
	global_load_dword v92, v[90:91], off
	global_load_dword v93, v[81:82], off offset:180
	s_waitcnt vmcnt(1)
	global_store_dword v[81:82], v92, off offset:180
	v_mov_b32_e32 v81, v105
	v_mov_b32_e32 v82, v106
	v_mov_b32_e32 v83, v107
	v_mov_b32_e32 v84, v108
	s_waitcnt vmcnt(1)
	global_store_dword v[90:91], v93, off
.LBB114_959:
	s_or_b64 exec, exec, s[20:21]
	v_mov_b32_e32 v93, v89
	v_mov_b32_e32 v127, v89
.LBB114_960:
	s_or_b64 exec, exec, s[18:19]
.LBB114_961:
	s_andn2_saveexec_b64 s[0:1], s[0:1]
	s_cbranch_execz .LBB114_963
; %bb.962:
	v_mov_b32_e32 v93, 45
	ds_write2_b64 v0, v[41:42], v[43:44] offset0:92 offset1:93
	ds_write2_b64 v0, v[37:38], v[39:40] offset0:94 offset1:95
	;; [unrolled: 1-line block ×12, first 2 shown]
.LBB114_963:
	s_or_b64 exec, exec, s[0:1]
	v_cmp_lt_i32_e32 vcc, 45, v93
	s_waitcnt vmcnt(0) lgkmcnt(0)
	s_barrier
	s_and_saveexec_b64 s[0:1], vcc
	s_cbranch_execz .LBB114_965
; %bb.964:
	v_mul_f64 v[89:90], v[117:118], v[47:48]
	v_mul_f64 v[47:48], v[119:120], v[47:48]
	ds_read2_b64 v[95:98], v0 offset0:92 offset1:93
	v_fma_f64 v[89:90], v[119:120], v[45:46], v[89:90]
	v_fma_f64 v[45:46], v[117:118], v[45:46], -v[47:48]
	s_waitcnt lgkmcnt(0)
	v_mul_f64 v[47:48], v[97:98], v[89:90]
	v_mul_f64 v[91:92], v[95:96], v[89:90]
	v_fma_f64 v[47:48], v[95:96], v[45:46], -v[47:48]
	v_fma_f64 v[91:92], v[97:98], v[45:46], v[91:92]
	ds_read2_b64 v[95:98], v0 offset0:94 offset1:95
	v_add_f64 v[41:42], v[41:42], -v[47:48]
	v_add_f64 v[43:44], v[43:44], -v[91:92]
	s_waitcnt lgkmcnt(0)
	v_mul_f64 v[47:48], v[97:98], v[89:90]
	v_mul_f64 v[91:92], v[95:96], v[89:90]
	v_fma_f64 v[47:48], v[95:96], v[45:46], -v[47:48]
	v_fma_f64 v[91:92], v[97:98], v[45:46], v[91:92]
	ds_read2_b64 v[95:98], v0 offset0:96 offset1:97
	v_add_f64 v[37:38], v[37:38], -v[47:48]
	v_add_f64 v[39:40], v[39:40], -v[91:92]
	;; [unrolled: 8-line block ×11, first 2 shown]
	s_waitcnt lgkmcnt(0)
	v_mul_f64 v[47:48], v[97:98], v[89:90]
	v_mul_f64 v[91:92], v[95:96], v[89:90]
	v_fma_f64 v[47:48], v[95:96], v[45:46], -v[47:48]
	v_fma_f64 v[91:92], v[97:98], v[45:46], v[91:92]
	v_add_f64 v[121:122], v[121:122], -v[47:48]
	v_add_f64 v[123:124], v[123:124], -v[91:92]
	v_mov_b32_e32 v47, v89
	v_mov_b32_e32 v48, v90
.LBB114_965:
	s_or_b64 exec, exec, s[0:1]
	v_lshl_add_u32 v89, v93, 4, v0
	s_barrier
	ds_write2_b64 v89, v[41:42], v[43:44] offset1:1
	s_waitcnt lgkmcnt(0)
	s_barrier
	ds_read2_b64 v[117:120], v0 offset0:92 offset1:93
	s_cmp_lt_i32 s3, 48
	v_mov_b32_e32 v89, 46
	s_cbranch_scc1 .LBB114_968
; %bb.966:
	v_add_u32_e32 v90, 0x2f0, v0
	s_mov_b32 s0, 47
	v_mov_b32_e32 v89, 46
.LBB114_967:                            ; =>This Inner Loop Header: Depth=1
	s_waitcnt lgkmcnt(0)
	v_cmp_gt_f64_e32 vcc, 0, v[117:118]
	v_xor_b32_e32 v91, 0x80000000, v118
	ds_read2_b64 v[95:98], v90 offset1:1
	v_xor_b32_e32 v99, 0x80000000, v120
	v_add_u32_e32 v90, 16, v90
	s_waitcnt lgkmcnt(0)
	v_xor_b32_e32 v101, 0x80000000, v98
	v_cndmask_b32_e32 v92, v118, v91, vcc
	v_cmp_gt_f64_e32 vcc, 0, v[119:120]
	v_mov_b32_e32 v91, v117
	v_cndmask_b32_e32 v100, v120, v99, vcc
	v_cmp_gt_f64_e32 vcc, 0, v[95:96]
	v_mov_b32_e32 v99, v119
	v_add_f64 v[91:92], v[91:92], v[99:100]
	v_xor_b32_e32 v99, 0x80000000, v96
	v_cndmask_b32_e32 v100, v96, v99, vcc
	v_cmp_gt_f64_e32 vcc, 0, v[97:98]
	v_mov_b32_e32 v99, v95
	v_cndmask_b32_e32 v102, v98, v101, vcc
	v_mov_b32_e32 v101, v97
	v_add_f64 v[99:100], v[99:100], v[101:102]
	v_cmp_lt_f64_e32 vcc, v[91:92], v[99:100]
	v_mov_b32_e32 v91, s0
	s_add_i32 s0, s0, 1
	s_cmp_lg_u32 s3, s0
	v_cndmask_b32_e32 v118, v118, v96, vcc
	v_cndmask_b32_e32 v117, v117, v95, vcc
	;; [unrolled: 1-line block ×5, first 2 shown]
	s_cbranch_scc1 .LBB114_967
.LBB114_968:
	s_waitcnt lgkmcnt(0)
	v_cmp_eq_f64_e32 vcc, 0, v[117:118]
	v_cmp_eq_f64_e64 s[0:1], 0, v[119:120]
	s_and_b64 s[0:1], vcc, s[0:1]
	s_and_saveexec_b64 s[18:19], s[0:1]
	s_xor_b64 s[0:1], exec, s[18:19]
; %bb.969:
	v_cmp_ne_u32_e32 vcc, 0, v94
	v_cndmask_b32_e32 v94, 47, v94, vcc
; %bb.970:
	s_andn2_saveexec_b64 s[0:1], s[0:1]
	s_cbranch_execz .LBB114_976
; %bb.971:
	v_cmp_ngt_f64_e64 s[18:19], |v[117:118]|, |v[119:120]|
	s_and_saveexec_b64 s[20:21], s[18:19]
	s_xor_b64 s[18:19], exec, s[20:21]
	s_cbranch_execz .LBB114_973
; %bb.972:
	v_div_scale_f64 v[90:91], s[20:21], v[119:120], v[119:120], v[117:118]
	v_rcp_f64_e32 v[95:96], v[90:91]
	v_fma_f64 v[97:98], -v[90:91], v[95:96], 1.0
	v_fma_f64 v[95:96], v[95:96], v[97:98], v[95:96]
	v_div_scale_f64 v[97:98], vcc, v[117:118], v[119:120], v[117:118]
	v_fma_f64 v[99:100], -v[90:91], v[95:96], 1.0
	v_fma_f64 v[95:96], v[95:96], v[99:100], v[95:96]
	v_mul_f64 v[99:100], v[97:98], v[95:96]
	v_fma_f64 v[90:91], -v[90:91], v[99:100], v[97:98]
	v_div_fmas_f64 v[90:91], v[90:91], v[95:96], v[99:100]
	v_div_fixup_f64 v[90:91], v[90:91], v[119:120], v[117:118]
	v_fma_f64 v[95:96], v[117:118], v[90:91], v[119:120]
	v_div_scale_f64 v[97:98], s[20:21], v[95:96], v[95:96], 1.0
	v_div_scale_f64 v[103:104], vcc, 1.0, v[95:96], 1.0
	v_rcp_f64_e32 v[99:100], v[97:98]
	v_fma_f64 v[101:102], -v[97:98], v[99:100], 1.0
	v_fma_f64 v[99:100], v[99:100], v[101:102], v[99:100]
	v_fma_f64 v[101:102], -v[97:98], v[99:100], 1.0
	v_fma_f64 v[99:100], v[99:100], v[101:102], v[99:100]
	v_mul_f64 v[101:102], v[103:104], v[99:100]
	v_fma_f64 v[97:98], -v[97:98], v[101:102], v[103:104]
	v_div_fmas_f64 v[97:98], v[97:98], v[99:100], v[101:102]
	v_div_fixup_f64 v[119:120], v[97:98], v[95:96], 1.0
	v_mul_f64 v[117:118], v[90:91], v[119:120]
	v_xor_b32_e32 v120, 0x80000000, v120
.LBB114_973:
	s_andn2_saveexec_b64 s[18:19], s[18:19]
	s_cbranch_execz .LBB114_975
; %bb.974:
	v_div_scale_f64 v[90:91], s[20:21], v[117:118], v[117:118], v[119:120]
	v_rcp_f64_e32 v[95:96], v[90:91]
	v_fma_f64 v[97:98], -v[90:91], v[95:96], 1.0
	v_fma_f64 v[95:96], v[95:96], v[97:98], v[95:96]
	v_div_scale_f64 v[97:98], vcc, v[119:120], v[117:118], v[119:120]
	v_fma_f64 v[99:100], -v[90:91], v[95:96], 1.0
	v_fma_f64 v[95:96], v[95:96], v[99:100], v[95:96]
	v_mul_f64 v[99:100], v[97:98], v[95:96]
	v_fma_f64 v[90:91], -v[90:91], v[99:100], v[97:98]
	v_div_fmas_f64 v[90:91], v[90:91], v[95:96], v[99:100]
	v_div_fixup_f64 v[90:91], v[90:91], v[117:118], v[119:120]
	v_fma_f64 v[95:96], v[119:120], v[90:91], v[117:118]
	v_div_scale_f64 v[97:98], s[20:21], v[95:96], v[95:96], 1.0
	v_div_scale_f64 v[103:104], vcc, 1.0, v[95:96], 1.0
	v_rcp_f64_e32 v[99:100], v[97:98]
	v_fma_f64 v[101:102], -v[97:98], v[99:100], 1.0
	v_fma_f64 v[99:100], v[99:100], v[101:102], v[99:100]
	v_fma_f64 v[101:102], -v[97:98], v[99:100], 1.0
	v_fma_f64 v[99:100], v[99:100], v[101:102], v[99:100]
	v_mul_f64 v[101:102], v[103:104], v[99:100]
	v_fma_f64 v[97:98], -v[97:98], v[101:102], v[103:104]
	v_div_fmas_f64 v[97:98], v[97:98], v[99:100], v[101:102]
	v_div_fixup_f64 v[117:118], v[97:98], v[95:96], 1.0
	v_mul_f64 v[119:120], v[90:91], -v[117:118]
.LBB114_975:
	s_or_b64 exec, exec, s[18:19]
.LBB114_976:
	s_or_b64 exec, exec, s[0:1]
	v_cmp_ne_u32_e32 vcc, v93, v89
	s_and_saveexec_b64 s[0:1], vcc
	s_xor_b64 s[0:1], exec, s[0:1]
	s_cbranch_execz .LBB114_982
; %bb.977:
	v_cmp_eq_u32_e32 vcc, 46, v93
	s_and_saveexec_b64 s[18:19], vcc
	s_cbranch_execz .LBB114_981
; %bb.978:
	v_cmp_ne_u32_e32 vcc, 46, v89
	s_xor_b64 s[20:21], s[6:7], -1
	s_and_b64 s[22:23], s[20:21], vcc
	s_and_saveexec_b64 s[20:21], s[22:23]
	s_cbranch_execz .LBB114_980
; %bb.979:
	buffer_load_dword v81, off, s[24:27], 0 offset:480 ; 4-byte Folded Reload
	buffer_load_dword v82, off, s[24:27], 0 offset:484 ; 4-byte Folded Reload
	v_ashrrev_i32_e32 v90, 31, v89
	v_lshlrev_b64 v[90:91], 2, v[89:90]
	s_waitcnt vmcnt(1)
	v_add_co_u32_e32 v90, vcc, v81, v90
	s_waitcnt vmcnt(0)
	v_addc_co_u32_e32 v91, vcc, v82, v91, vcc
	global_load_dword v92, v[90:91], off
	global_load_dword v93, v[81:82], off offset:184
	s_waitcnt vmcnt(1)
	global_store_dword v[81:82], v92, off offset:184
	v_mov_b32_e32 v81, v105
	v_mov_b32_e32 v82, v106
	;; [unrolled: 1-line block ×4, first 2 shown]
	s_waitcnt vmcnt(1)
	global_store_dword v[90:91], v93, off
.LBB114_980:
	s_or_b64 exec, exec, s[20:21]
	v_mov_b32_e32 v93, v89
	v_mov_b32_e32 v127, v89
.LBB114_981:
	s_or_b64 exec, exec, s[18:19]
.LBB114_982:
	s_andn2_saveexec_b64 s[0:1], s[0:1]
	s_cbranch_execz .LBB114_984
; %bb.983:
	v_mov_b32_e32 v93, 46
	ds_write2_b64 v0, v[37:38], v[39:40] offset0:94 offset1:95
	ds_write2_b64 v0, v[33:34], v[35:36] offset0:96 offset1:97
	ds_write2_b64 v0, v[29:30], v[31:32] offset0:98 offset1:99
	ds_write2_b64 v0, v[25:26], v[27:28] offset0:100 offset1:101
	ds_write2_b64 v0, v[21:22], v[23:24] offset0:102 offset1:103
	ds_write2_b64 v0, v[17:18], v[19:20] offset0:104 offset1:105
	ds_write2_b64 v0, v[13:14], v[15:16] offset0:106 offset1:107
	ds_write2_b64 v0, v[9:10], v[11:12] offset0:108 offset1:109
	ds_write2_b64 v0, v[5:6], v[7:8] offset0:110 offset1:111
	ds_write2_b64 v0, v[1:2], v[3:4] offset0:112 offset1:113
	ds_write2_b64 v0, v[121:122], v[123:124] offset0:114 offset1:115
.LBB114_984:
	s_or_b64 exec, exec, s[0:1]
	v_cmp_lt_i32_e32 vcc, 46, v93
	s_waitcnt vmcnt(0) lgkmcnt(0)
	s_barrier
	s_and_saveexec_b64 s[0:1], vcc
	s_cbranch_execz .LBB114_986
; %bb.985:
	v_mul_f64 v[89:90], v[117:118], v[43:44]
	v_mul_f64 v[43:44], v[119:120], v[43:44]
	ds_read2_b64 v[95:98], v0 offset0:94 offset1:95
	v_fma_f64 v[89:90], v[119:120], v[41:42], v[89:90]
	v_fma_f64 v[41:42], v[117:118], v[41:42], -v[43:44]
	s_waitcnt lgkmcnt(0)
	v_mul_f64 v[43:44], v[97:98], v[89:90]
	v_mul_f64 v[91:92], v[95:96], v[89:90]
	v_fma_f64 v[43:44], v[95:96], v[41:42], -v[43:44]
	v_fma_f64 v[91:92], v[97:98], v[41:42], v[91:92]
	ds_read2_b64 v[95:98], v0 offset0:96 offset1:97
	v_add_f64 v[37:38], v[37:38], -v[43:44]
	v_add_f64 v[39:40], v[39:40], -v[91:92]
	s_waitcnt lgkmcnt(0)
	v_mul_f64 v[43:44], v[97:98], v[89:90]
	v_mul_f64 v[91:92], v[95:96], v[89:90]
	v_fma_f64 v[43:44], v[95:96], v[41:42], -v[43:44]
	v_fma_f64 v[91:92], v[97:98], v[41:42], v[91:92]
	ds_read2_b64 v[95:98], v0 offset0:98 offset1:99
	v_add_f64 v[33:34], v[33:34], -v[43:44]
	v_add_f64 v[35:36], v[35:36], -v[91:92]
	;; [unrolled: 8-line block ×10, first 2 shown]
	s_waitcnt lgkmcnt(0)
	v_mul_f64 v[43:44], v[97:98], v[89:90]
	v_mul_f64 v[91:92], v[95:96], v[89:90]
	v_fma_f64 v[43:44], v[95:96], v[41:42], -v[43:44]
	v_fma_f64 v[91:92], v[97:98], v[41:42], v[91:92]
	v_add_f64 v[121:122], v[121:122], -v[43:44]
	v_add_f64 v[123:124], v[123:124], -v[91:92]
	v_mov_b32_e32 v43, v89
	v_mov_b32_e32 v44, v90
.LBB114_986:
	s_or_b64 exec, exec, s[0:1]
	v_lshl_add_u32 v89, v93, 4, v0
	s_barrier
	ds_write2_b64 v89, v[37:38], v[39:40] offset1:1
	s_waitcnt lgkmcnt(0)
	s_barrier
	ds_read2_b64 v[117:120], v0 offset0:94 offset1:95
	s_cmp_lt_i32 s3, 49
	v_mov_b32_e32 v89, 47
	s_cbranch_scc1 .LBB114_989
; %bb.987:
	v_add_u32_e32 v90, 0x300, v0
	s_mov_b32 s0, 48
	v_mov_b32_e32 v89, 47
.LBB114_988:                            ; =>This Inner Loop Header: Depth=1
	s_waitcnt lgkmcnt(0)
	v_cmp_gt_f64_e32 vcc, 0, v[117:118]
	v_xor_b32_e32 v91, 0x80000000, v118
	ds_read2_b64 v[95:98], v90 offset1:1
	v_xor_b32_e32 v99, 0x80000000, v120
	v_add_u32_e32 v90, 16, v90
	s_waitcnt lgkmcnt(0)
	v_xor_b32_e32 v101, 0x80000000, v98
	v_cndmask_b32_e32 v92, v118, v91, vcc
	v_cmp_gt_f64_e32 vcc, 0, v[119:120]
	v_mov_b32_e32 v91, v117
	v_cndmask_b32_e32 v100, v120, v99, vcc
	v_cmp_gt_f64_e32 vcc, 0, v[95:96]
	v_mov_b32_e32 v99, v119
	v_add_f64 v[91:92], v[91:92], v[99:100]
	v_xor_b32_e32 v99, 0x80000000, v96
	v_cndmask_b32_e32 v100, v96, v99, vcc
	v_cmp_gt_f64_e32 vcc, 0, v[97:98]
	v_mov_b32_e32 v99, v95
	v_cndmask_b32_e32 v102, v98, v101, vcc
	v_mov_b32_e32 v101, v97
	v_add_f64 v[99:100], v[99:100], v[101:102]
	v_cmp_lt_f64_e32 vcc, v[91:92], v[99:100]
	v_mov_b32_e32 v91, s0
	s_add_i32 s0, s0, 1
	s_cmp_lg_u32 s3, s0
	v_cndmask_b32_e32 v118, v118, v96, vcc
	v_cndmask_b32_e32 v117, v117, v95, vcc
	;; [unrolled: 1-line block ×5, first 2 shown]
	s_cbranch_scc1 .LBB114_988
.LBB114_989:
	s_waitcnt lgkmcnt(0)
	v_cmp_eq_f64_e32 vcc, 0, v[117:118]
	v_cmp_eq_f64_e64 s[0:1], 0, v[119:120]
	s_and_b64 s[0:1], vcc, s[0:1]
	s_and_saveexec_b64 s[18:19], s[0:1]
	s_xor_b64 s[0:1], exec, s[18:19]
; %bb.990:
	v_cmp_ne_u32_e32 vcc, 0, v94
	v_cndmask_b32_e32 v94, 48, v94, vcc
; %bb.991:
	s_andn2_saveexec_b64 s[0:1], s[0:1]
	s_cbranch_execz .LBB114_997
; %bb.992:
	v_cmp_ngt_f64_e64 s[18:19], |v[117:118]|, |v[119:120]|
	s_and_saveexec_b64 s[20:21], s[18:19]
	s_xor_b64 s[18:19], exec, s[20:21]
	s_cbranch_execz .LBB114_994
; %bb.993:
	v_div_scale_f64 v[90:91], s[20:21], v[119:120], v[119:120], v[117:118]
	v_rcp_f64_e32 v[95:96], v[90:91]
	v_fma_f64 v[97:98], -v[90:91], v[95:96], 1.0
	v_fma_f64 v[95:96], v[95:96], v[97:98], v[95:96]
	v_div_scale_f64 v[97:98], vcc, v[117:118], v[119:120], v[117:118]
	v_fma_f64 v[99:100], -v[90:91], v[95:96], 1.0
	v_fma_f64 v[95:96], v[95:96], v[99:100], v[95:96]
	v_mul_f64 v[99:100], v[97:98], v[95:96]
	v_fma_f64 v[90:91], -v[90:91], v[99:100], v[97:98]
	v_div_fmas_f64 v[90:91], v[90:91], v[95:96], v[99:100]
	v_div_fixup_f64 v[90:91], v[90:91], v[119:120], v[117:118]
	v_fma_f64 v[95:96], v[117:118], v[90:91], v[119:120]
	v_div_scale_f64 v[97:98], s[20:21], v[95:96], v[95:96], 1.0
	v_div_scale_f64 v[103:104], vcc, 1.0, v[95:96], 1.0
	v_rcp_f64_e32 v[99:100], v[97:98]
	v_fma_f64 v[101:102], -v[97:98], v[99:100], 1.0
	v_fma_f64 v[99:100], v[99:100], v[101:102], v[99:100]
	v_fma_f64 v[101:102], -v[97:98], v[99:100], 1.0
	v_fma_f64 v[99:100], v[99:100], v[101:102], v[99:100]
	v_mul_f64 v[101:102], v[103:104], v[99:100]
	v_fma_f64 v[97:98], -v[97:98], v[101:102], v[103:104]
	v_div_fmas_f64 v[97:98], v[97:98], v[99:100], v[101:102]
	v_div_fixup_f64 v[119:120], v[97:98], v[95:96], 1.0
	v_mul_f64 v[117:118], v[90:91], v[119:120]
	v_xor_b32_e32 v120, 0x80000000, v120
.LBB114_994:
	s_andn2_saveexec_b64 s[18:19], s[18:19]
	s_cbranch_execz .LBB114_996
; %bb.995:
	v_div_scale_f64 v[90:91], s[20:21], v[117:118], v[117:118], v[119:120]
	v_rcp_f64_e32 v[95:96], v[90:91]
	v_fma_f64 v[97:98], -v[90:91], v[95:96], 1.0
	v_fma_f64 v[95:96], v[95:96], v[97:98], v[95:96]
	v_div_scale_f64 v[97:98], vcc, v[119:120], v[117:118], v[119:120]
	v_fma_f64 v[99:100], -v[90:91], v[95:96], 1.0
	v_fma_f64 v[95:96], v[95:96], v[99:100], v[95:96]
	v_mul_f64 v[99:100], v[97:98], v[95:96]
	v_fma_f64 v[90:91], -v[90:91], v[99:100], v[97:98]
	v_div_fmas_f64 v[90:91], v[90:91], v[95:96], v[99:100]
	v_div_fixup_f64 v[90:91], v[90:91], v[117:118], v[119:120]
	v_fma_f64 v[95:96], v[119:120], v[90:91], v[117:118]
	v_div_scale_f64 v[97:98], s[20:21], v[95:96], v[95:96], 1.0
	v_div_scale_f64 v[103:104], vcc, 1.0, v[95:96], 1.0
	v_rcp_f64_e32 v[99:100], v[97:98]
	v_fma_f64 v[101:102], -v[97:98], v[99:100], 1.0
	v_fma_f64 v[99:100], v[99:100], v[101:102], v[99:100]
	v_fma_f64 v[101:102], -v[97:98], v[99:100], 1.0
	v_fma_f64 v[99:100], v[99:100], v[101:102], v[99:100]
	v_mul_f64 v[101:102], v[103:104], v[99:100]
	v_fma_f64 v[97:98], -v[97:98], v[101:102], v[103:104]
	v_div_fmas_f64 v[97:98], v[97:98], v[99:100], v[101:102]
	v_div_fixup_f64 v[117:118], v[97:98], v[95:96], 1.0
	v_mul_f64 v[119:120], v[90:91], -v[117:118]
.LBB114_996:
	s_or_b64 exec, exec, s[18:19]
.LBB114_997:
	s_or_b64 exec, exec, s[0:1]
	v_cmp_ne_u32_e32 vcc, v93, v89
	s_and_saveexec_b64 s[0:1], vcc
	s_xor_b64 s[0:1], exec, s[0:1]
	s_cbranch_execz .LBB114_1003
; %bb.998:
	v_cmp_eq_u32_e32 vcc, 47, v93
	s_and_saveexec_b64 s[18:19], vcc
	s_cbranch_execz .LBB114_1002
; %bb.999:
	v_cmp_ne_u32_e32 vcc, 47, v89
	s_xor_b64 s[20:21], s[6:7], -1
	s_and_b64 s[22:23], s[20:21], vcc
	s_and_saveexec_b64 s[20:21], s[22:23]
	s_cbranch_execz .LBB114_1001
; %bb.1000:
	buffer_load_dword v81, off, s[24:27], 0 offset:480 ; 4-byte Folded Reload
	buffer_load_dword v82, off, s[24:27], 0 offset:484 ; 4-byte Folded Reload
	v_ashrrev_i32_e32 v90, 31, v89
	v_lshlrev_b64 v[90:91], 2, v[89:90]
	s_waitcnt vmcnt(1)
	v_add_co_u32_e32 v90, vcc, v81, v90
	s_waitcnt vmcnt(0)
	v_addc_co_u32_e32 v91, vcc, v82, v91, vcc
	global_load_dword v92, v[90:91], off
	global_load_dword v93, v[81:82], off offset:188
	s_waitcnt vmcnt(1)
	global_store_dword v[81:82], v92, off offset:188
	v_mov_b32_e32 v81, v105
	v_mov_b32_e32 v82, v106
	;; [unrolled: 1-line block ×4, first 2 shown]
	s_waitcnt vmcnt(1)
	global_store_dword v[90:91], v93, off
.LBB114_1001:
	s_or_b64 exec, exec, s[20:21]
	v_mov_b32_e32 v93, v89
	v_mov_b32_e32 v127, v89
.LBB114_1002:
	s_or_b64 exec, exec, s[18:19]
.LBB114_1003:
	s_andn2_saveexec_b64 s[0:1], s[0:1]
	s_cbranch_execz .LBB114_1005
; %bb.1004:
	v_mov_b32_e32 v93, 47
	ds_write2_b64 v0, v[33:34], v[35:36] offset0:96 offset1:97
	ds_write2_b64 v0, v[29:30], v[31:32] offset0:98 offset1:99
	;; [unrolled: 1-line block ×10, first 2 shown]
.LBB114_1005:
	s_or_b64 exec, exec, s[0:1]
	v_cmp_lt_i32_e32 vcc, 47, v93
	s_waitcnt vmcnt(0) lgkmcnt(0)
	s_barrier
	s_and_saveexec_b64 s[0:1], vcc
	s_cbranch_execz .LBB114_1007
; %bb.1006:
	v_mul_f64 v[89:90], v[117:118], v[39:40]
	v_mul_f64 v[39:40], v[119:120], v[39:40]
	ds_read2_b64 v[95:98], v0 offset0:96 offset1:97
	v_fma_f64 v[89:90], v[119:120], v[37:38], v[89:90]
	v_fma_f64 v[37:38], v[117:118], v[37:38], -v[39:40]
	s_waitcnt lgkmcnt(0)
	v_mul_f64 v[39:40], v[97:98], v[89:90]
	v_mul_f64 v[91:92], v[95:96], v[89:90]
	v_fma_f64 v[39:40], v[95:96], v[37:38], -v[39:40]
	v_fma_f64 v[91:92], v[97:98], v[37:38], v[91:92]
	ds_read2_b64 v[95:98], v0 offset0:98 offset1:99
	v_add_f64 v[33:34], v[33:34], -v[39:40]
	v_add_f64 v[35:36], v[35:36], -v[91:92]
	s_waitcnt lgkmcnt(0)
	v_mul_f64 v[39:40], v[97:98], v[89:90]
	v_mul_f64 v[91:92], v[95:96], v[89:90]
	v_fma_f64 v[39:40], v[95:96], v[37:38], -v[39:40]
	v_fma_f64 v[91:92], v[97:98], v[37:38], v[91:92]
	ds_read2_b64 v[95:98], v0 offset0:100 offset1:101
	v_add_f64 v[29:30], v[29:30], -v[39:40]
	v_add_f64 v[31:32], v[31:32], -v[91:92]
	;; [unrolled: 8-line block ×9, first 2 shown]
	s_waitcnt lgkmcnt(0)
	v_mul_f64 v[39:40], v[97:98], v[89:90]
	v_mul_f64 v[91:92], v[95:96], v[89:90]
	v_fma_f64 v[39:40], v[95:96], v[37:38], -v[39:40]
	v_fma_f64 v[91:92], v[97:98], v[37:38], v[91:92]
	v_add_f64 v[121:122], v[121:122], -v[39:40]
	v_add_f64 v[123:124], v[123:124], -v[91:92]
	v_mov_b32_e32 v39, v89
	v_mov_b32_e32 v40, v90
.LBB114_1007:
	s_or_b64 exec, exec, s[0:1]
	v_lshl_add_u32 v89, v93, 4, v0
	s_barrier
	ds_write2_b64 v89, v[33:34], v[35:36] offset1:1
	s_waitcnt lgkmcnt(0)
	s_barrier
	ds_read2_b64 v[117:120], v0 offset0:96 offset1:97
	s_cmp_lt_i32 s3, 50
	v_mov_b32_e32 v89, 48
	s_cbranch_scc1 .LBB114_1010
; %bb.1008:
	v_add_u32_e32 v90, 0x310, v0
	s_mov_b32 s0, 49
	v_mov_b32_e32 v89, 48
.LBB114_1009:                           ; =>This Inner Loop Header: Depth=1
	s_waitcnt lgkmcnt(0)
	v_cmp_gt_f64_e32 vcc, 0, v[117:118]
	v_xor_b32_e32 v91, 0x80000000, v118
	ds_read2_b64 v[95:98], v90 offset1:1
	v_xor_b32_e32 v99, 0x80000000, v120
	v_add_u32_e32 v90, 16, v90
	s_waitcnt lgkmcnt(0)
	v_xor_b32_e32 v101, 0x80000000, v98
	v_cndmask_b32_e32 v92, v118, v91, vcc
	v_cmp_gt_f64_e32 vcc, 0, v[119:120]
	v_mov_b32_e32 v91, v117
	v_cndmask_b32_e32 v100, v120, v99, vcc
	v_cmp_gt_f64_e32 vcc, 0, v[95:96]
	v_mov_b32_e32 v99, v119
	v_add_f64 v[91:92], v[91:92], v[99:100]
	v_xor_b32_e32 v99, 0x80000000, v96
	v_cndmask_b32_e32 v100, v96, v99, vcc
	v_cmp_gt_f64_e32 vcc, 0, v[97:98]
	v_mov_b32_e32 v99, v95
	v_cndmask_b32_e32 v102, v98, v101, vcc
	v_mov_b32_e32 v101, v97
	v_add_f64 v[99:100], v[99:100], v[101:102]
	v_cmp_lt_f64_e32 vcc, v[91:92], v[99:100]
	v_mov_b32_e32 v91, s0
	s_add_i32 s0, s0, 1
	s_cmp_lg_u32 s3, s0
	v_cndmask_b32_e32 v118, v118, v96, vcc
	v_cndmask_b32_e32 v117, v117, v95, vcc
	;; [unrolled: 1-line block ×5, first 2 shown]
	s_cbranch_scc1 .LBB114_1009
.LBB114_1010:
	s_waitcnt lgkmcnt(0)
	v_cmp_eq_f64_e32 vcc, 0, v[117:118]
	v_cmp_eq_f64_e64 s[0:1], 0, v[119:120]
	s_and_b64 s[0:1], vcc, s[0:1]
	s_and_saveexec_b64 s[18:19], s[0:1]
	s_xor_b64 s[0:1], exec, s[18:19]
; %bb.1011:
	v_cmp_ne_u32_e32 vcc, 0, v94
	v_cndmask_b32_e32 v94, 49, v94, vcc
; %bb.1012:
	s_andn2_saveexec_b64 s[0:1], s[0:1]
	s_cbranch_execz .LBB114_1018
; %bb.1013:
	v_cmp_ngt_f64_e64 s[18:19], |v[117:118]|, |v[119:120]|
	s_and_saveexec_b64 s[20:21], s[18:19]
	s_xor_b64 s[18:19], exec, s[20:21]
	s_cbranch_execz .LBB114_1015
; %bb.1014:
	v_div_scale_f64 v[90:91], s[20:21], v[119:120], v[119:120], v[117:118]
	v_rcp_f64_e32 v[95:96], v[90:91]
	v_fma_f64 v[97:98], -v[90:91], v[95:96], 1.0
	v_fma_f64 v[95:96], v[95:96], v[97:98], v[95:96]
	v_div_scale_f64 v[97:98], vcc, v[117:118], v[119:120], v[117:118]
	v_fma_f64 v[99:100], -v[90:91], v[95:96], 1.0
	v_fma_f64 v[95:96], v[95:96], v[99:100], v[95:96]
	v_mul_f64 v[99:100], v[97:98], v[95:96]
	v_fma_f64 v[90:91], -v[90:91], v[99:100], v[97:98]
	v_div_fmas_f64 v[90:91], v[90:91], v[95:96], v[99:100]
	v_div_fixup_f64 v[90:91], v[90:91], v[119:120], v[117:118]
	v_fma_f64 v[95:96], v[117:118], v[90:91], v[119:120]
	v_div_scale_f64 v[97:98], s[20:21], v[95:96], v[95:96], 1.0
	v_div_scale_f64 v[103:104], vcc, 1.0, v[95:96], 1.0
	v_rcp_f64_e32 v[99:100], v[97:98]
	v_fma_f64 v[101:102], -v[97:98], v[99:100], 1.0
	v_fma_f64 v[99:100], v[99:100], v[101:102], v[99:100]
	v_fma_f64 v[101:102], -v[97:98], v[99:100], 1.0
	v_fma_f64 v[99:100], v[99:100], v[101:102], v[99:100]
	v_mul_f64 v[101:102], v[103:104], v[99:100]
	v_fma_f64 v[97:98], -v[97:98], v[101:102], v[103:104]
	v_div_fmas_f64 v[97:98], v[97:98], v[99:100], v[101:102]
	v_div_fixup_f64 v[119:120], v[97:98], v[95:96], 1.0
	v_mul_f64 v[117:118], v[90:91], v[119:120]
	v_xor_b32_e32 v120, 0x80000000, v120
.LBB114_1015:
	s_andn2_saveexec_b64 s[18:19], s[18:19]
	s_cbranch_execz .LBB114_1017
; %bb.1016:
	v_div_scale_f64 v[90:91], s[20:21], v[117:118], v[117:118], v[119:120]
	v_rcp_f64_e32 v[95:96], v[90:91]
	v_fma_f64 v[97:98], -v[90:91], v[95:96], 1.0
	v_fma_f64 v[95:96], v[95:96], v[97:98], v[95:96]
	v_div_scale_f64 v[97:98], vcc, v[119:120], v[117:118], v[119:120]
	v_fma_f64 v[99:100], -v[90:91], v[95:96], 1.0
	v_fma_f64 v[95:96], v[95:96], v[99:100], v[95:96]
	v_mul_f64 v[99:100], v[97:98], v[95:96]
	v_fma_f64 v[90:91], -v[90:91], v[99:100], v[97:98]
	v_div_fmas_f64 v[90:91], v[90:91], v[95:96], v[99:100]
	v_div_fixup_f64 v[90:91], v[90:91], v[117:118], v[119:120]
	v_fma_f64 v[95:96], v[119:120], v[90:91], v[117:118]
	v_div_scale_f64 v[97:98], s[20:21], v[95:96], v[95:96], 1.0
	v_div_scale_f64 v[103:104], vcc, 1.0, v[95:96], 1.0
	v_rcp_f64_e32 v[99:100], v[97:98]
	v_fma_f64 v[101:102], -v[97:98], v[99:100], 1.0
	v_fma_f64 v[99:100], v[99:100], v[101:102], v[99:100]
	v_fma_f64 v[101:102], -v[97:98], v[99:100], 1.0
	v_fma_f64 v[99:100], v[99:100], v[101:102], v[99:100]
	v_mul_f64 v[101:102], v[103:104], v[99:100]
	v_fma_f64 v[97:98], -v[97:98], v[101:102], v[103:104]
	v_div_fmas_f64 v[97:98], v[97:98], v[99:100], v[101:102]
	v_div_fixup_f64 v[117:118], v[97:98], v[95:96], 1.0
	v_mul_f64 v[119:120], v[90:91], -v[117:118]
.LBB114_1017:
	s_or_b64 exec, exec, s[18:19]
.LBB114_1018:
	s_or_b64 exec, exec, s[0:1]
	v_cmp_ne_u32_e32 vcc, v93, v89
	s_and_saveexec_b64 s[0:1], vcc
	s_xor_b64 s[0:1], exec, s[0:1]
	s_cbranch_execz .LBB114_1024
; %bb.1019:
	v_cmp_eq_u32_e32 vcc, 48, v93
	s_and_saveexec_b64 s[18:19], vcc
	s_cbranch_execz .LBB114_1023
; %bb.1020:
	v_cmp_ne_u32_e32 vcc, 48, v89
	s_xor_b64 s[20:21], s[6:7], -1
	s_and_b64 s[22:23], s[20:21], vcc
	s_and_saveexec_b64 s[20:21], s[22:23]
	s_cbranch_execz .LBB114_1022
; %bb.1021:
	buffer_load_dword v81, off, s[24:27], 0 offset:480 ; 4-byte Folded Reload
	buffer_load_dword v82, off, s[24:27], 0 offset:484 ; 4-byte Folded Reload
	v_ashrrev_i32_e32 v90, 31, v89
	v_lshlrev_b64 v[90:91], 2, v[89:90]
	s_waitcnt vmcnt(1)
	v_add_co_u32_e32 v90, vcc, v81, v90
	s_waitcnt vmcnt(0)
	v_addc_co_u32_e32 v91, vcc, v82, v91, vcc
	global_load_dword v92, v[90:91], off
	global_load_dword v93, v[81:82], off offset:192
	s_waitcnt vmcnt(1)
	global_store_dword v[81:82], v92, off offset:192
	v_mov_b32_e32 v81, v105
	v_mov_b32_e32 v82, v106
	;; [unrolled: 1-line block ×4, first 2 shown]
	s_waitcnt vmcnt(1)
	global_store_dword v[90:91], v93, off
.LBB114_1022:
	s_or_b64 exec, exec, s[20:21]
	v_mov_b32_e32 v93, v89
	v_mov_b32_e32 v127, v89
.LBB114_1023:
	s_or_b64 exec, exec, s[18:19]
.LBB114_1024:
	s_andn2_saveexec_b64 s[0:1], s[0:1]
	s_cbranch_execz .LBB114_1026
; %bb.1025:
	v_mov_b32_e32 v93, 48
	ds_write2_b64 v0, v[29:30], v[31:32] offset0:98 offset1:99
	ds_write2_b64 v0, v[25:26], v[27:28] offset0:100 offset1:101
	;; [unrolled: 1-line block ×9, first 2 shown]
.LBB114_1026:
	s_or_b64 exec, exec, s[0:1]
	v_cmp_lt_i32_e32 vcc, 48, v93
	s_waitcnt vmcnt(0) lgkmcnt(0)
	s_barrier
	s_and_saveexec_b64 s[0:1], vcc
	s_cbranch_execz .LBB114_1028
; %bb.1027:
	v_mul_f64 v[89:90], v[117:118], v[35:36]
	v_mul_f64 v[35:36], v[119:120], v[35:36]
	ds_read2_b64 v[95:98], v0 offset0:98 offset1:99
	v_fma_f64 v[89:90], v[119:120], v[33:34], v[89:90]
	v_fma_f64 v[33:34], v[117:118], v[33:34], -v[35:36]
	s_waitcnt lgkmcnt(0)
	v_mul_f64 v[35:36], v[97:98], v[89:90]
	v_mul_f64 v[91:92], v[95:96], v[89:90]
	v_fma_f64 v[35:36], v[95:96], v[33:34], -v[35:36]
	v_fma_f64 v[91:92], v[97:98], v[33:34], v[91:92]
	ds_read2_b64 v[95:98], v0 offset0:100 offset1:101
	v_add_f64 v[29:30], v[29:30], -v[35:36]
	v_add_f64 v[31:32], v[31:32], -v[91:92]
	s_waitcnt lgkmcnt(0)
	v_mul_f64 v[35:36], v[97:98], v[89:90]
	v_mul_f64 v[91:92], v[95:96], v[89:90]
	v_fma_f64 v[35:36], v[95:96], v[33:34], -v[35:36]
	v_fma_f64 v[91:92], v[97:98], v[33:34], v[91:92]
	ds_read2_b64 v[95:98], v0 offset0:102 offset1:103
	v_add_f64 v[25:26], v[25:26], -v[35:36]
	v_add_f64 v[27:28], v[27:28], -v[91:92]
	;; [unrolled: 8-line block ×8, first 2 shown]
	s_waitcnt lgkmcnt(0)
	v_mul_f64 v[35:36], v[97:98], v[89:90]
	v_mul_f64 v[91:92], v[95:96], v[89:90]
	v_fma_f64 v[35:36], v[95:96], v[33:34], -v[35:36]
	v_fma_f64 v[91:92], v[97:98], v[33:34], v[91:92]
	v_add_f64 v[121:122], v[121:122], -v[35:36]
	v_add_f64 v[123:124], v[123:124], -v[91:92]
	v_mov_b32_e32 v35, v89
	v_mov_b32_e32 v36, v90
.LBB114_1028:
	s_or_b64 exec, exec, s[0:1]
	v_lshl_add_u32 v89, v93, 4, v0
	s_barrier
	ds_write2_b64 v89, v[29:30], v[31:32] offset1:1
	s_waitcnt lgkmcnt(0)
	s_barrier
	ds_read2_b64 v[117:120], v0 offset0:98 offset1:99
	s_cmp_lt_i32 s3, 51
	v_mov_b32_e32 v89, 49
	s_cbranch_scc1 .LBB114_1031
; %bb.1029:
	v_add_u32_e32 v90, 0x320, v0
	s_mov_b32 s0, 50
	v_mov_b32_e32 v89, 49
.LBB114_1030:                           ; =>This Inner Loop Header: Depth=1
	s_waitcnt lgkmcnt(0)
	v_cmp_gt_f64_e32 vcc, 0, v[117:118]
	v_xor_b32_e32 v91, 0x80000000, v118
	ds_read2_b64 v[95:98], v90 offset1:1
	v_xor_b32_e32 v99, 0x80000000, v120
	v_add_u32_e32 v90, 16, v90
	s_waitcnt lgkmcnt(0)
	v_xor_b32_e32 v101, 0x80000000, v98
	v_cndmask_b32_e32 v92, v118, v91, vcc
	v_cmp_gt_f64_e32 vcc, 0, v[119:120]
	v_mov_b32_e32 v91, v117
	v_cndmask_b32_e32 v100, v120, v99, vcc
	v_cmp_gt_f64_e32 vcc, 0, v[95:96]
	v_mov_b32_e32 v99, v119
	v_add_f64 v[91:92], v[91:92], v[99:100]
	v_xor_b32_e32 v99, 0x80000000, v96
	v_cndmask_b32_e32 v100, v96, v99, vcc
	v_cmp_gt_f64_e32 vcc, 0, v[97:98]
	v_mov_b32_e32 v99, v95
	v_cndmask_b32_e32 v102, v98, v101, vcc
	v_mov_b32_e32 v101, v97
	v_add_f64 v[99:100], v[99:100], v[101:102]
	v_cmp_lt_f64_e32 vcc, v[91:92], v[99:100]
	v_mov_b32_e32 v91, s0
	s_add_i32 s0, s0, 1
	s_cmp_lg_u32 s3, s0
	v_cndmask_b32_e32 v118, v118, v96, vcc
	v_cndmask_b32_e32 v117, v117, v95, vcc
	;; [unrolled: 1-line block ×5, first 2 shown]
	s_cbranch_scc1 .LBB114_1030
.LBB114_1031:
	s_waitcnt lgkmcnt(0)
	v_cmp_eq_f64_e32 vcc, 0, v[117:118]
	v_cmp_eq_f64_e64 s[0:1], 0, v[119:120]
	s_and_b64 s[0:1], vcc, s[0:1]
	s_and_saveexec_b64 s[18:19], s[0:1]
	s_xor_b64 s[0:1], exec, s[18:19]
; %bb.1032:
	v_cmp_ne_u32_e32 vcc, 0, v94
	v_cndmask_b32_e32 v94, 50, v94, vcc
; %bb.1033:
	s_andn2_saveexec_b64 s[0:1], s[0:1]
	s_cbranch_execz .LBB114_1039
; %bb.1034:
	v_cmp_ngt_f64_e64 s[18:19], |v[117:118]|, |v[119:120]|
	s_and_saveexec_b64 s[20:21], s[18:19]
	s_xor_b64 s[18:19], exec, s[20:21]
	s_cbranch_execz .LBB114_1036
; %bb.1035:
	v_div_scale_f64 v[90:91], s[20:21], v[119:120], v[119:120], v[117:118]
	v_rcp_f64_e32 v[95:96], v[90:91]
	v_fma_f64 v[97:98], -v[90:91], v[95:96], 1.0
	v_fma_f64 v[95:96], v[95:96], v[97:98], v[95:96]
	v_div_scale_f64 v[97:98], vcc, v[117:118], v[119:120], v[117:118]
	v_fma_f64 v[99:100], -v[90:91], v[95:96], 1.0
	v_fma_f64 v[95:96], v[95:96], v[99:100], v[95:96]
	v_mul_f64 v[99:100], v[97:98], v[95:96]
	v_fma_f64 v[90:91], -v[90:91], v[99:100], v[97:98]
	v_div_fmas_f64 v[90:91], v[90:91], v[95:96], v[99:100]
	v_div_fixup_f64 v[90:91], v[90:91], v[119:120], v[117:118]
	v_fma_f64 v[95:96], v[117:118], v[90:91], v[119:120]
	v_div_scale_f64 v[97:98], s[20:21], v[95:96], v[95:96], 1.0
	v_div_scale_f64 v[103:104], vcc, 1.0, v[95:96], 1.0
	v_rcp_f64_e32 v[99:100], v[97:98]
	v_fma_f64 v[101:102], -v[97:98], v[99:100], 1.0
	v_fma_f64 v[99:100], v[99:100], v[101:102], v[99:100]
	v_fma_f64 v[101:102], -v[97:98], v[99:100], 1.0
	v_fma_f64 v[99:100], v[99:100], v[101:102], v[99:100]
	v_mul_f64 v[101:102], v[103:104], v[99:100]
	v_fma_f64 v[97:98], -v[97:98], v[101:102], v[103:104]
	v_div_fmas_f64 v[97:98], v[97:98], v[99:100], v[101:102]
	v_div_fixup_f64 v[119:120], v[97:98], v[95:96], 1.0
	v_mul_f64 v[117:118], v[90:91], v[119:120]
	v_xor_b32_e32 v120, 0x80000000, v120
.LBB114_1036:
	s_andn2_saveexec_b64 s[18:19], s[18:19]
	s_cbranch_execz .LBB114_1038
; %bb.1037:
	v_div_scale_f64 v[90:91], s[20:21], v[117:118], v[117:118], v[119:120]
	v_rcp_f64_e32 v[95:96], v[90:91]
	v_fma_f64 v[97:98], -v[90:91], v[95:96], 1.0
	v_fma_f64 v[95:96], v[95:96], v[97:98], v[95:96]
	v_div_scale_f64 v[97:98], vcc, v[119:120], v[117:118], v[119:120]
	v_fma_f64 v[99:100], -v[90:91], v[95:96], 1.0
	v_fma_f64 v[95:96], v[95:96], v[99:100], v[95:96]
	v_mul_f64 v[99:100], v[97:98], v[95:96]
	v_fma_f64 v[90:91], -v[90:91], v[99:100], v[97:98]
	v_div_fmas_f64 v[90:91], v[90:91], v[95:96], v[99:100]
	v_div_fixup_f64 v[90:91], v[90:91], v[117:118], v[119:120]
	v_fma_f64 v[95:96], v[119:120], v[90:91], v[117:118]
	v_div_scale_f64 v[97:98], s[20:21], v[95:96], v[95:96], 1.0
	v_div_scale_f64 v[103:104], vcc, 1.0, v[95:96], 1.0
	v_rcp_f64_e32 v[99:100], v[97:98]
	v_fma_f64 v[101:102], -v[97:98], v[99:100], 1.0
	v_fma_f64 v[99:100], v[99:100], v[101:102], v[99:100]
	v_fma_f64 v[101:102], -v[97:98], v[99:100], 1.0
	v_fma_f64 v[99:100], v[99:100], v[101:102], v[99:100]
	v_mul_f64 v[101:102], v[103:104], v[99:100]
	v_fma_f64 v[97:98], -v[97:98], v[101:102], v[103:104]
	v_div_fmas_f64 v[97:98], v[97:98], v[99:100], v[101:102]
	v_div_fixup_f64 v[117:118], v[97:98], v[95:96], 1.0
	v_mul_f64 v[119:120], v[90:91], -v[117:118]
.LBB114_1038:
	s_or_b64 exec, exec, s[18:19]
.LBB114_1039:
	s_or_b64 exec, exec, s[0:1]
	v_cmp_ne_u32_e32 vcc, v93, v89
	s_and_saveexec_b64 s[0:1], vcc
	s_xor_b64 s[0:1], exec, s[0:1]
	s_cbranch_execz .LBB114_1045
; %bb.1040:
	v_cmp_eq_u32_e32 vcc, 49, v93
	s_and_saveexec_b64 s[18:19], vcc
	s_cbranch_execz .LBB114_1044
; %bb.1041:
	v_cmp_ne_u32_e32 vcc, 49, v89
	s_xor_b64 s[20:21], s[6:7], -1
	s_and_b64 s[22:23], s[20:21], vcc
	s_and_saveexec_b64 s[20:21], s[22:23]
	s_cbranch_execz .LBB114_1043
; %bb.1042:
	buffer_load_dword v81, off, s[24:27], 0 offset:480 ; 4-byte Folded Reload
	buffer_load_dword v82, off, s[24:27], 0 offset:484 ; 4-byte Folded Reload
	v_ashrrev_i32_e32 v90, 31, v89
	v_lshlrev_b64 v[90:91], 2, v[89:90]
	s_waitcnt vmcnt(1)
	v_add_co_u32_e32 v90, vcc, v81, v90
	s_waitcnt vmcnt(0)
	v_addc_co_u32_e32 v91, vcc, v82, v91, vcc
	global_load_dword v92, v[90:91], off
	global_load_dword v93, v[81:82], off offset:196
	s_waitcnt vmcnt(1)
	global_store_dword v[81:82], v92, off offset:196
	v_mov_b32_e32 v81, v105
	v_mov_b32_e32 v82, v106
	;; [unrolled: 1-line block ×4, first 2 shown]
	s_waitcnt vmcnt(1)
	global_store_dword v[90:91], v93, off
.LBB114_1043:
	s_or_b64 exec, exec, s[20:21]
	v_mov_b32_e32 v93, v89
	v_mov_b32_e32 v127, v89
.LBB114_1044:
	s_or_b64 exec, exec, s[18:19]
.LBB114_1045:
	s_andn2_saveexec_b64 s[0:1], s[0:1]
	s_cbranch_execz .LBB114_1047
; %bb.1046:
	v_mov_b32_e32 v93, 49
	ds_write2_b64 v0, v[25:26], v[27:28] offset0:100 offset1:101
	ds_write2_b64 v0, v[21:22], v[23:24] offset0:102 offset1:103
	;; [unrolled: 1-line block ×8, first 2 shown]
.LBB114_1047:
	s_or_b64 exec, exec, s[0:1]
	v_cmp_lt_i32_e32 vcc, 49, v93
	s_waitcnt vmcnt(0) lgkmcnt(0)
	s_barrier
	s_and_saveexec_b64 s[0:1], vcc
	s_cbranch_execz .LBB114_1049
; %bb.1048:
	v_mul_f64 v[89:90], v[117:118], v[31:32]
	v_mul_f64 v[31:32], v[119:120], v[31:32]
	ds_read2_b64 v[95:98], v0 offset0:100 offset1:101
	v_fma_f64 v[89:90], v[119:120], v[29:30], v[89:90]
	v_fma_f64 v[29:30], v[117:118], v[29:30], -v[31:32]
	s_waitcnt lgkmcnt(0)
	v_mul_f64 v[31:32], v[97:98], v[89:90]
	v_mul_f64 v[91:92], v[95:96], v[89:90]
	v_fma_f64 v[31:32], v[95:96], v[29:30], -v[31:32]
	v_fma_f64 v[91:92], v[97:98], v[29:30], v[91:92]
	ds_read2_b64 v[95:98], v0 offset0:102 offset1:103
	v_add_f64 v[25:26], v[25:26], -v[31:32]
	v_add_f64 v[27:28], v[27:28], -v[91:92]
	s_waitcnt lgkmcnt(0)
	v_mul_f64 v[31:32], v[97:98], v[89:90]
	v_mul_f64 v[91:92], v[95:96], v[89:90]
	v_fma_f64 v[31:32], v[95:96], v[29:30], -v[31:32]
	v_fma_f64 v[91:92], v[97:98], v[29:30], v[91:92]
	ds_read2_b64 v[95:98], v0 offset0:104 offset1:105
	v_add_f64 v[21:22], v[21:22], -v[31:32]
	v_add_f64 v[23:24], v[23:24], -v[91:92]
	;; [unrolled: 8-line block ×7, first 2 shown]
	s_waitcnt lgkmcnt(0)
	v_mul_f64 v[31:32], v[97:98], v[89:90]
	v_mul_f64 v[91:92], v[95:96], v[89:90]
	v_fma_f64 v[31:32], v[95:96], v[29:30], -v[31:32]
	v_fma_f64 v[91:92], v[97:98], v[29:30], v[91:92]
	v_add_f64 v[121:122], v[121:122], -v[31:32]
	v_add_f64 v[123:124], v[123:124], -v[91:92]
	v_mov_b32_e32 v31, v89
	v_mov_b32_e32 v32, v90
.LBB114_1049:
	s_or_b64 exec, exec, s[0:1]
	v_lshl_add_u32 v89, v93, 4, v0
	s_barrier
	ds_write2_b64 v89, v[25:26], v[27:28] offset1:1
	s_waitcnt lgkmcnt(0)
	s_barrier
	ds_read2_b64 v[117:120], v0 offset0:100 offset1:101
	s_cmp_lt_i32 s3, 52
	v_mov_b32_e32 v89, 50
	s_cbranch_scc1 .LBB114_1052
; %bb.1050:
	v_add_u32_e32 v90, 0x330, v0
	s_mov_b32 s0, 51
	v_mov_b32_e32 v89, 50
.LBB114_1051:                           ; =>This Inner Loop Header: Depth=1
	s_waitcnt lgkmcnt(0)
	v_cmp_gt_f64_e32 vcc, 0, v[117:118]
	v_xor_b32_e32 v91, 0x80000000, v118
	ds_read2_b64 v[95:98], v90 offset1:1
	v_xor_b32_e32 v99, 0x80000000, v120
	v_add_u32_e32 v90, 16, v90
	s_waitcnt lgkmcnt(0)
	v_xor_b32_e32 v101, 0x80000000, v98
	v_cndmask_b32_e32 v92, v118, v91, vcc
	v_cmp_gt_f64_e32 vcc, 0, v[119:120]
	v_mov_b32_e32 v91, v117
	v_cndmask_b32_e32 v100, v120, v99, vcc
	v_cmp_gt_f64_e32 vcc, 0, v[95:96]
	v_mov_b32_e32 v99, v119
	v_add_f64 v[91:92], v[91:92], v[99:100]
	v_xor_b32_e32 v99, 0x80000000, v96
	v_cndmask_b32_e32 v100, v96, v99, vcc
	v_cmp_gt_f64_e32 vcc, 0, v[97:98]
	v_mov_b32_e32 v99, v95
	v_cndmask_b32_e32 v102, v98, v101, vcc
	v_mov_b32_e32 v101, v97
	v_add_f64 v[99:100], v[99:100], v[101:102]
	v_cmp_lt_f64_e32 vcc, v[91:92], v[99:100]
	v_mov_b32_e32 v91, s0
	s_add_i32 s0, s0, 1
	s_cmp_lg_u32 s3, s0
	v_cndmask_b32_e32 v118, v118, v96, vcc
	v_cndmask_b32_e32 v117, v117, v95, vcc
	;; [unrolled: 1-line block ×5, first 2 shown]
	s_cbranch_scc1 .LBB114_1051
.LBB114_1052:
	s_waitcnt lgkmcnt(0)
	v_cmp_eq_f64_e32 vcc, 0, v[117:118]
	v_cmp_eq_f64_e64 s[0:1], 0, v[119:120]
	s_and_b64 s[0:1], vcc, s[0:1]
	s_and_saveexec_b64 s[18:19], s[0:1]
	s_xor_b64 s[0:1], exec, s[18:19]
; %bb.1053:
	v_cmp_ne_u32_e32 vcc, 0, v94
	v_cndmask_b32_e32 v94, 51, v94, vcc
; %bb.1054:
	s_andn2_saveexec_b64 s[0:1], s[0:1]
	s_cbranch_execz .LBB114_1060
; %bb.1055:
	v_cmp_ngt_f64_e64 s[18:19], |v[117:118]|, |v[119:120]|
	s_and_saveexec_b64 s[20:21], s[18:19]
	s_xor_b64 s[18:19], exec, s[20:21]
	s_cbranch_execz .LBB114_1057
; %bb.1056:
	v_div_scale_f64 v[90:91], s[20:21], v[119:120], v[119:120], v[117:118]
	v_rcp_f64_e32 v[95:96], v[90:91]
	v_fma_f64 v[97:98], -v[90:91], v[95:96], 1.0
	v_fma_f64 v[95:96], v[95:96], v[97:98], v[95:96]
	v_div_scale_f64 v[97:98], vcc, v[117:118], v[119:120], v[117:118]
	v_fma_f64 v[99:100], -v[90:91], v[95:96], 1.0
	v_fma_f64 v[95:96], v[95:96], v[99:100], v[95:96]
	v_mul_f64 v[99:100], v[97:98], v[95:96]
	v_fma_f64 v[90:91], -v[90:91], v[99:100], v[97:98]
	v_div_fmas_f64 v[90:91], v[90:91], v[95:96], v[99:100]
	v_div_fixup_f64 v[90:91], v[90:91], v[119:120], v[117:118]
	v_fma_f64 v[95:96], v[117:118], v[90:91], v[119:120]
	v_div_scale_f64 v[97:98], s[20:21], v[95:96], v[95:96], 1.0
	v_div_scale_f64 v[103:104], vcc, 1.0, v[95:96], 1.0
	v_rcp_f64_e32 v[99:100], v[97:98]
	v_fma_f64 v[101:102], -v[97:98], v[99:100], 1.0
	v_fma_f64 v[99:100], v[99:100], v[101:102], v[99:100]
	v_fma_f64 v[101:102], -v[97:98], v[99:100], 1.0
	v_fma_f64 v[99:100], v[99:100], v[101:102], v[99:100]
	v_mul_f64 v[101:102], v[103:104], v[99:100]
	v_fma_f64 v[97:98], -v[97:98], v[101:102], v[103:104]
	v_div_fmas_f64 v[97:98], v[97:98], v[99:100], v[101:102]
	v_div_fixup_f64 v[119:120], v[97:98], v[95:96], 1.0
	v_mul_f64 v[117:118], v[90:91], v[119:120]
	v_xor_b32_e32 v120, 0x80000000, v120
.LBB114_1057:
	s_andn2_saveexec_b64 s[18:19], s[18:19]
	s_cbranch_execz .LBB114_1059
; %bb.1058:
	v_div_scale_f64 v[90:91], s[20:21], v[117:118], v[117:118], v[119:120]
	v_rcp_f64_e32 v[95:96], v[90:91]
	v_fma_f64 v[97:98], -v[90:91], v[95:96], 1.0
	v_fma_f64 v[95:96], v[95:96], v[97:98], v[95:96]
	v_div_scale_f64 v[97:98], vcc, v[119:120], v[117:118], v[119:120]
	v_fma_f64 v[99:100], -v[90:91], v[95:96], 1.0
	v_fma_f64 v[95:96], v[95:96], v[99:100], v[95:96]
	v_mul_f64 v[99:100], v[97:98], v[95:96]
	v_fma_f64 v[90:91], -v[90:91], v[99:100], v[97:98]
	v_div_fmas_f64 v[90:91], v[90:91], v[95:96], v[99:100]
	v_div_fixup_f64 v[90:91], v[90:91], v[117:118], v[119:120]
	v_fma_f64 v[95:96], v[119:120], v[90:91], v[117:118]
	v_div_scale_f64 v[97:98], s[20:21], v[95:96], v[95:96], 1.0
	v_div_scale_f64 v[103:104], vcc, 1.0, v[95:96], 1.0
	v_rcp_f64_e32 v[99:100], v[97:98]
	v_fma_f64 v[101:102], -v[97:98], v[99:100], 1.0
	v_fma_f64 v[99:100], v[99:100], v[101:102], v[99:100]
	v_fma_f64 v[101:102], -v[97:98], v[99:100], 1.0
	v_fma_f64 v[99:100], v[99:100], v[101:102], v[99:100]
	v_mul_f64 v[101:102], v[103:104], v[99:100]
	v_fma_f64 v[97:98], -v[97:98], v[101:102], v[103:104]
	v_div_fmas_f64 v[97:98], v[97:98], v[99:100], v[101:102]
	v_div_fixup_f64 v[117:118], v[97:98], v[95:96], 1.0
	v_mul_f64 v[119:120], v[90:91], -v[117:118]
.LBB114_1059:
	s_or_b64 exec, exec, s[18:19]
.LBB114_1060:
	s_or_b64 exec, exec, s[0:1]
	v_cmp_ne_u32_e32 vcc, v93, v89
	s_and_saveexec_b64 s[0:1], vcc
	s_xor_b64 s[0:1], exec, s[0:1]
	s_cbranch_execz .LBB114_1066
; %bb.1061:
	v_cmp_eq_u32_e32 vcc, 50, v93
	s_and_saveexec_b64 s[18:19], vcc
	s_cbranch_execz .LBB114_1065
; %bb.1062:
	v_cmp_ne_u32_e32 vcc, 50, v89
	s_xor_b64 s[20:21], s[6:7], -1
	s_and_b64 s[22:23], s[20:21], vcc
	s_and_saveexec_b64 s[20:21], s[22:23]
	s_cbranch_execz .LBB114_1064
; %bb.1063:
	buffer_load_dword v81, off, s[24:27], 0 offset:480 ; 4-byte Folded Reload
	buffer_load_dword v82, off, s[24:27], 0 offset:484 ; 4-byte Folded Reload
	v_ashrrev_i32_e32 v90, 31, v89
	v_lshlrev_b64 v[90:91], 2, v[89:90]
	s_waitcnt vmcnt(1)
	v_add_co_u32_e32 v90, vcc, v81, v90
	s_waitcnt vmcnt(0)
	v_addc_co_u32_e32 v91, vcc, v82, v91, vcc
	global_load_dword v92, v[90:91], off
	global_load_dword v93, v[81:82], off offset:200
	s_waitcnt vmcnt(1)
	global_store_dword v[81:82], v92, off offset:200
	v_mov_b32_e32 v81, v105
	v_mov_b32_e32 v82, v106
	;; [unrolled: 1-line block ×4, first 2 shown]
	s_waitcnt vmcnt(1)
	global_store_dword v[90:91], v93, off
.LBB114_1064:
	s_or_b64 exec, exec, s[20:21]
	v_mov_b32_e32 v93, v89
	v_mov_b32_e32 v127, v89
.LBB114_1065:
	s_or_b64 exec, exec, s[18:19]
.LBB114_1066:
	s_andn2_saveexec_b64 s[0:1], s[0:1]
	s_cbranch_execz .LBB114_1068
; %bb.1067:
	v_mov_b32_e32 v93, 50
	ds_write2_b64 v0, v[21:22], v[23:24] offset0:102 offset1:103
	ds_write2_b64 v0, v[17:18], v[19:20] offset0:104 offset1:105
	;; [unrolled: 1-line block ×7, first 2 shown]
.LBB114_1068:
	s_or_b64 exec, exec, s[0:1]
	v_cmp_lt_i32_e32 vcc, 50, v93
	s_waitcnt vmcnt(0) lgkmcnt(0)
	s_barrier
	s_and_saveexec_b64 s[0:1], vcc
	s_cbranch_execz .LBB114_1070
; %bb.1069:
	v_mul_f64 v[89:90], v[117:118], v[27:28]
	v_mul_f64 v[27:28], v[119:120], v[27:28]
	ds_read2_b64 v[95:98], v0 offset0:102 offset1:103
	v_fma_f64 v[89:90], v[119:120], v[25:26], v[89:90]
	v_fma_f64 v[25:26], v[117:118], v[25:26], -v[27:28]
	s_waitcnt lgkmcnt(0)
	v_mul_f64 v[27:28], v[97:98], v[89:90]
	v_mul_f64 v[91:92], v[95:96], v[89:90]
	v_fma_f64 v[27:28], v[95:96], v[25:26], -v[27:28]
	v_fma_f64 v[91:92], v[97:98], v[25:26], v[91:92]
	ds_read2_b64 v[95:98], v0 offset0:104 offset1:105
	v_add_f64 v[21:22], v[21:22], -v[27:28]
	v_add_f64 v[23:24], v[23:24], -v[91:92]
	s_waitcnt lgkmcnt(0)
	v_mul_f64 v[27:28], v[97:98], v[89:90]
	v_mul_f64 v[91:92], v[95:96], v[89:90]
	v_fma_f64 v[27:28], v[95:96], v[25:26], -v[27:28]
	v_fma_f64 v[91:92], v[97:98], v[25:26], v[91:92]
	ds_read2_b64 v[95:98], v0 offset0:106 offset1:107
	v_add_f64 v[17:18], v[17:18], -v[27:28]
	v_add_f64 v[19:20], v[19:20], -v[91:92]
	;; [unrolled: 8-line block ×6, first 2 shown]
	s_waitcnt lgkmcnt(0)
	v_mul_f64 v[27:28], v[97:98], v[89:90]
	v_mul_f64 v[91:92], v[95:96], v[89:90]
	v_fma_f64 v[27:28], v[95:96], v[25:26], -v[27:28]
	v_fma_f64 v[91:92], v[97:98], v[25:26], v[91:92]
	v_add_f64 v[121:122], v[121:122], -v[27:28]
	v_add_f64 v[123:124], v[123:124], -v[91:92]
	v_mov_b32_e32 v27, v89
	v_mov_b32_e32 v28, v90
.LBB114_1070:
	s_or_b64 exec, exec, s[0:1]
	v_lshl_add_u32 v89, v93, 4, v0
	s_barrier
	ds_write2_b64 v89, v[21:22], v[23:24] offset1:1
	s_waitcnt lgkmcnt(0)
	s_barrier
	ds_read2_b64 v[117:120], v0 offset0:102 offset1:103
	s_cmp_lt_i32 s3, 53
	v_mov_b32_e32 v89, 51
	s_cbranch_scc1 .LBB114_1073
; %bb.1071:
	v_add_u32_e32 v90, 0x340, v0
	s_mov_b32 s0, 52
	v_mov_b32_e32 v89, 51
.LBB114_1072:                           ; =>This Inner Loop Header: Depth=1
	s_waitcnt lgkmcnt(0)
	v_cmp_gt_f64_e32 vcc, 0, v[117:118]
	v_xor_b32_e32 v91, 0x80000000, v118
	ds_read2_b64 v[95:98], v90 offset1:1
	v_xor_b32_e32 v99, 0x80000000, v120
	v_add_u32_e32 v90, 16, v90
	s_waitcnt lgkmcnt(0)
	v_xor_b32_e32 v101, 0x80000000, v98
	v_cndmask_b32_e32 v92, v118, v91, vcc
	v_cmp_gt_f64_e32 vcc, 0, v[119:120]
	v_mov_b32_e32 v91, v117
	v_cndmask_b32_e32 v100, v120, v99, vcc
	v_cmp_gt_f64_e32 vcc, 0, v[95:96]
	v_mov_b32_e32 v99, v119
	v_add_f64 v[91:92], v[91:92], v[99:100]
	v_xor_b32_e32 v99, 0x80000000, v96
	v_cndmask_b32_e32 v100, v96, v99, vcc
	v_cmp_gt_f64_e32 vcc, 0, v[97:98]
	v_mov_b32_e32 v99, v95
	v_cndmask_b32_e32 v102, v98, v101, vcc
	v_mov_b32_e32 v101, v97
	v_add_f64 v[99:100], v[99:100], v[101:102]
	v_cmp_lt_f64_e32 vcc, v[91:92], v[99:100]
	v_mov_b32_e32 v91, s0
	s_add_i32 s0, s0, 1
	s_cmp_lg_u32 s3, s0
	v_cndmask_b32_e32 v118, v118, v96, vcc
	v_cndmask_b32_e32 v117, v117, v95, vcc
	;; [unrolled: 1-line block ×5, first 2 shown]
	s_cbranch_scc1 .LBB114_1072
.LBB114_1073:
	s_waitcnt lgkmcnt(0)
	v_cmp_eq_f64_e32 vcc, 0, v[117:118]
	v_cmp_eq_f64_e64 s[0:1], 0, v[119:120]
	s_and_b64 s[0:1], vcc, s[0:1]
	s_and_saveexec_b64 s[18:19], s[0:1]
	s_xor_b64 s[0:1], exec, s[18:19]
; %bb.1074:
	v_cmp_ne_u32_e32 vcc, 0, v94
	v_cndmask_b32_e32 v94, 52, v94, vcc
; %bb.1075:
	s_andn2_saveexec_b64 s[0:1], s[0:1]
	s_cbranch_execz .LBB114_1081
; %bb.1076:
	v_cmp_ngt_f64_e64 s[18:19], |v[117:118]|, |v[119:120]|
	s_and_saveexec_b64 s[20:21], s[18:19]
	s_xor_b64 s[18:19], exec, s[20:21]
	s_cbranch_execz .LBB114_1078
; %bb.1077:
	v_div_scale_f64 v[90:91], s[20:21], v[119:120], v[119:120], v[117:118]
	v_rcp_f64_e32 v[95:96], v[90:91]
	v_fma_f64 v[97:98], -v[90:91], v[95:96], 1.0
	v_fma_f64 v[95:96], v[95:96], v[97:98], v[95:96]
	v_div_scale_f64 v[97:98], vcc, v[117:118], v[119:120], v[117:118]
	v_fma_f64 v[99:100], -v[90:91], v[95:96], 1.0
	v_fma_f64 v[95:96], v[95:96], v[99:100], v[95:96]
	v_mul_f64 v[99:100], v[97:98], v[95:96]
	v_fma_f64 v[90:91], -v[90:91], v[99:100], v[97:98]
	v_div_fmas_f64 v[90:91], v[90:91], v[95:96], v[99:100]
	v_div_fixup_f64 v[90:91], v[90:91], v[119:120], v[117:118]
	v_fma_f64 v[95:96], v[117:118], v[90:91], v[119:120]
	v_div_scale_f64 v[97:98], s[20:21], v[95:96], v[95:96], 1.0
	v_div_scale_f64 v[103:104], vcc, 1.0, v[95:96], 1.0
	v_rcp_f64_e32 v[99:100], v[97:98]
	v_fma_f64 v[101:102], -v[97:98], v[99:100], 1.0
	v_fma_f64 v[99:100], v[99:100], v[101:102], v[99:100]
	v_fma_f64 v[101:102], -v[97:98], v[99:100], 1.0
	v_fma_f64 v[99:100], v[99:100], v[101:102], v[99:100]
	v_mul_f64 v[101:102], v[103:104], v[99:100]
	v_fma_f64 v[97:98], -v[97:98], v[101:102], v[103:104]
	v_div_fmas_f64 v[97:98], v[97:98], v[99:100], v[101:102]
	v_div_fixup_f64 v[119:120], v[97:98], v[95:96], 1.0
	v_mul_f64 v[117:118], v[90:91], v[119:120]
	v_xor_b32_e32 v120, 0x80000000, v120
.LBB114_1078:
	s_andn2_saveexec_b64 s[18:19], s[18:19]
	s_cbranch_execz .LBB114_1080
; %bb.1079:
	v_div_scale_f64 v[90:91], s[20:21], v[117:118], v[117:118], v[119:120]
	v_rcp_f64_e32 v[95:96], v[90:91]
	v_fma_f64 v[97:98], -v[90:91], v[95:96], 1.0
	v_fma_f64 v[95:96], v[95:96], v[97:98], v[95:96]
	v_div_scale_f64 v[97:98], vcc, v[119:120], v[117:118], v[119:120]
	v_fma_f64 v[99:100], -v[90:91], v[95:96], 1.0
	v_fma_f64 v[95:96], v[95:96], v[99:100], v[95:96]
	v_mul_f64 v[99:100], v[97:98], v[95:96]
	v_fma_f64 v[90:91], -v[90:91], v[99:100], v[97:98]
	v_div_fmas_f64 v[90:91], v[90:91], v[95:96], v[99:100]
	v_div_fixup_f64 v[90:91], v[90:91], v[117:118], v[119:120]
	v_fma_f64 v[95:96], v[119:120], v[90:91], v[117:118]
	v_div_scale_f64 v[97:98], s[20:21], v[95:96], v[95:96], 1.0
	v_div_scale_f64 v[103:104], vcc, 1.0, v[95:96], 1.0
	v_rcp_f64_e32 v[99:100], v[97:98]
	v_fma_f64 v[101:102], -v[97:98], v[99:100], 1.0
	v_fma_f64 v[99:100], v[99:100], v[101:102], v[99:100]
	v_fma_f64 v[101:102], -v[97:98], v[99:100], 1.0
	v_fma_f64 v[99:100], v[99:100], v[101:102], v[99:100]
	v_mul_f64 v[101:102], v[103:104], v[99:100]
	v_fma_f64 v[97:98], -v[97:98], v[101:102], v[103:104]
	v_div_fmas_f64 v[97:98], v[97:98], v[99:100], v[101:102]
	v_div_fixup_f64 v[117:118], v[97:98], v[95:96], 1.0
	v_mul_f64 v[119:120], v[90:91], -v[117:118]
.LBB114_1080:
	s_or_b64 exec, exec, s[18:19]
.LBB114_1081:
	s_or_b64 exec, exec, s[0:1]
	v_cmp_ne_u32_e32 vcc, v93, v89
	s_and_saveexec_b64 s[0:1], vcc
	s_xor_b64 s[0:1], exec, s[0:1]
	s_cbranch_execz .LBB114_1087
; %bb.1082:
	v_cmp_eq_u32_e32 vcc, 51, v93
	s_and_saveexec_b64 s[18:19], vcc
	s_cbranch_execz .LBB114_1086
; %bb.1083:
	v_cmp_ne_u32_e32 vcc, 51, v89
	s_xor_b64 s[20:21], s[6:7], -1
	s_and_b64 s[22:23], s[20:21], vcc
	s_and_saveexec_b64 s[20:21], s[22:23]
	s_cbranch_execz .LBB114_1085
; %bb.1084:
	buffer_load_dword v81, off, s[24:27], 0 offset:480 ; 4-byte Folded Reload
	buffer_load_dword v82, off, s[24:27], 0 offset:484 ; 4-byte Folded Reload
	v_ashrrev_i32_e32 v90, 31, v89
	v_lshlrev_b64 v[90:91], 2, v[89:90]
	s_waitcnt vmcnt(1)
	v_add_co_u32_e32 v90, vcc, v81, v90
	s_waitcnt vmcnt(0)
	v_addc_co_u32_e32 v91, vcc, v82, v91, vcc
	global_load_dword v92, v[90:91], off
	global_load_dword v93, v[81:82], off offset:204
	s_waitcnt vmcnt(1)
	global_store_dword v[81:82], v92, off offset:204
	v_mov_b32_e32 v81, v105
	v_mov_b32_e32 v82, v106
	v_mov_b32_e32 v83, v107
	v_mov_b32_e32 v84, v108
	s_waitcnt vmcnt(1)
	global_store_dword v[90:91], v93, off
.LBB114_1085:
	s_or_b64 exec, exec, s[20:21]
	v_mov_b32_e32 v93, v89
	v_mov_b32_e32 v127, v89
.LBB114_1086:
	s_or_b64 exec, exec, s[18:19]
.LBB114_1087:
	s_andn2_saveexec_b64 s[0:1], s[0:1]
	s_cbranch_execz .LBB114_1089
; %bb.1088:
	v_mov_b32_e32 v93, 51
	ds_write2_b64 v0, v[17:18], v[19:20] offset0:104 offset1:105
	ds_write2_b64 v0, v[13:14], v[15:16] offset0:106 offset1:107
	;; [unrolled: 1-line block ×6, first 2 shown]
.LBB114_1089:
	s_or_b64 exec, exec, s[0:1]
	v_cmp_lt_i32_e32 vcc, 51, v93
	s_waitcnt vmcnt(0) lgkmcnt(0)
	s_barrier
	s_and_saveexec_b64 s[0:1], vcc
	s_cbranch_execz .LBB114_1091
; %bb.1090:
	v_mul_f64 v[89:90], v[117:118], v[23:24]
	v_mul_f64 v[23:24], v[119:120], v[23:24]
	ds_read2_b64 v[95:98], v0 offset0:104 offset1:105
	v_fma_f64 v[89:90], v[119:120], v[21:22], v[89:90]
	v_fma_f64 v[21:22], v[117:118], v[21:22], -v[23:24]
	s_waitcnt lgkmcnt(0)
	v_mul_f64 v[23:24], v[97:98], v[89:90]
	v_mul_f64 v[91:92], v[95:96], v[89:90]
	v_fma_f64 v[23:24], v[95:96], v[21:22], -v[23:24]
	v_fma_f64 v[91:92], v[97:98], v[21:22], v[91:92]
	ds_read2_b64 v[95:98], v0 offset0:106 offset1:107
	v_add_f64 v[17:18], v[17:18], -v[23:24]
	v_add_f64 v[19:20], v[19:20], -v[91:92]
	s_waitcnt lgkmcnt(0)
	v_mul_f64 v[23:24], v[97:98], v[89:90]
	v_mul_f64 v[91:92], v[95:96], v[89:90]
	v_fma_f64 v[23:24], v[95:96], v[21:22], -v[23:24]
	v_fma_f64 v[91:92], v[97:98], v[21:22], v[91:92]
	ds_read2_b64 v[95:98], v0 offset0:108 offset1:109
	v_add_f64 v[13:14], v[13:14], -v[23:24]
	v_add_f64 v[15:16], v[15:16], -v[91:92]
	;; [unrolled: 8-line block ×5, first 2 shown]
	s_waitcnt lgkmcnt(0)
	v_mul_f64 v[23:24], v[97:98], v[89:90]
	v_mul_f64 v[91:92], v[95:96], v[89:90]
	v_fma_f64 v[23:24], v[95:96], v[21:22], -v[23:24]
	v_fma_f64 v[91:92], v[97:98], v[21:22], v[91:92]
	v_add_f64 v[121:122], v[121:122], -v[23:24]
	v_add_f64 v[123:124], v[123:124], -v[91:92]
	v_mov_b32_e32 v23, v89
	v_mov_b32_e32 v24, v90
.LBB114_1091:
	s_or_b64 exec, exec, s[0:1]
	v_lshl_add_u32 v89, v93, 4, v0
	s_barrier
	ds_write2_b64 v89, v[17:18], v[19:20] offset1:1
	s_waitcnt lgkmcnt(0)
	s_barrier
	ds_read2_b64 v[117:120], v0 offset0:104 offset1:105
	s_cmp_lt_i32 s3, 54
	v_mov_b32_e32 v89, 52
	s_cbranch_scc1 .LBB114_1094
; %bb.1092:
	v_add_u32_e32 v90, 0x350, v0
	s_mov_b32 s0, 53
	v_mov_b32_e32 v89, 52
.LBB114_1093:                           ; =>This Inner Loop Header: Depth=1
	s_waitcnt lgkmcnt(0)
	v_cmp_gt_f64_e32 vcc, 0, v[117:118]
	v_xor_b32_e32 v91, 0x80000000, v118
	ds_read2_b64 v[95:98], v90 offset1:1
	v_xor_b32_e32 v99, 0x80000000, v120
	v_add_u32_e32 v90, 16, v90
	s_waitcnt lgkmcnt(0)
	v_xor_b32_e32 v101, 0x80000000, v98
	v_cndmask_b32_e32 v92, v118, v91, vcc
	v_cmp_gt_f64_e32 vcc, 0, v[119:120]
	v_mov_b32_e32 v91, v117
	v_cndmask_b32_e32 v100, v120, v99, vcc
	v_cmp_gt_f64_e32 vcc, 0, v[95:96]
	v_mov_b32_e32 v99, v119
	v_add_f64 v[91:92], v[91:92], v[99:100]
	v_xor_b32_e32 v99, 0x80000000, v96
	v_cndmask_b32_e32 v100, v96, v99, vcc
	v_cmp_gt_f64_e32 vcc, 0, v[97:98]
	v_mov_b32_e32 v99, v95
	v_cndmask_b32_e32 v102, v98, v101, vcc
	v_mov_b32_e32 v101, v97
	v_add_f64 v[99:100], v[99:100], v[101:102]
	v_cmp_lt_f64_e32 vcc, v[91:92], v[99:100]
	v_mov_b32_e32 v91, s0
	s_add_i32 s0, s0, 1
	s_cmp_lg_u32 s3, s0
	v_cndmask_b32_e32 v118, v118, v96, vcc
	v_cndmask_b32_e32 v117, v117, v95, vcc
	;; [unrolled: 1-line block ×5, first 2 shown]
	s_cbranch_scc1 .LBB114_1093
.LBB114_1094:
	s_waitcnt lgkmcnt(0)
	v_cmp_eq_f64_e32 vcc, 0, v[117:118]
	v_cmp_eq_f64_e64 s[0:1], 0, v[119:120]
	s_and_b64 s[0:1], vcc, s[0:1]
	s_and_saveexec_b64 s[18:19], s[0:1]
	s_xor_b64 s[0:1], exec, s[18:19]
; %bb.1095:
	v_cmp_ne_u32_e32 vcc, 0, v94
	v_cndmask_b32_e32 v94, 53, v94, vcc
; %bb.1096:
	s_andn2_saveexec_b64 s[0:1], s[0:1]
	s_cbranch_execz .LBB114_1102
; %bb.1097:
	v_cmp_ngt_f64_e64 s[18:19], |v[117:118]|, |v[119:120]|
	s_and_saveexec_b64 s[20:21], s[18:19]
	s_xor_b64 s[18:19], exec, s[20:21]
	s_cbranch_execz .LBB114_1099
; %bb.1098:
	v_div_scale_f64 v[90:91], s[20:21], v[119:120], v[119:120], v[117:118]
	v_rcp_f64_e32 v[95:96], v[90:91]
	v_fma_f64 v[97:98], -v[90:91], v[95:96], 1.0
	v_fma_f64 v[95:96], v[95:96], v[97:98], v[95:96]
	v_div_scale_f64 v[97:98], vcc, v[117:118], v[119:120], v[117:118]
	v_fma_f64 v[99:100], -v[90:91], v[95:96], 1.0
	v_fma_f64 v[95:96], v[95:96], v[99:100], v[95:96]
	v_mul_f64 v[99:100], v[97:98], v[95:96]
	v_fma_f64 v[90:91], -v[90:91], v[99:100], v[97:98]
	v_div_fmas_f64 v[90:91], v[90:91], v[95:96], v[99:100]
	v_div_fixup_f64 v[90:91], v[90:91], v[119:120], v[117:118]
	v_fma_f64 v[95:96], v[117:118], v[90:91], v[119:120]
	v_div_scale_f64 v[97:98], s[20:21], v[95:96], v[95:96], 1.0
	v_div_scale_f64 v[103:104], vcc, 1.0, v[95:96], 1.0
	v_rcp_f64_e32 v[99:100], v[97:98]
	v_fma_f64 v[101:102], -v[97:98], v[99:100], 1.0
	v_fma_f64 v[99:100], v[99:100], v[101:102], v[99:100]
	v_fma_f64 v[101:102], -v[97:98], v[99:100], 1.0
	v_fma_f64 v[99:100], v[99:100], v[101:102], v[99:100]
	v_mul_f64 v[101:102], v[103:104], v[99:100]
	v_fma_f64 v[97:98], -v[97:98], v[101:102], v[103:104]
	v_div_fmas_f64 v[97:98], v[97:98], v[99:100], v[101:102]
	v_div_fixup_f64 v[119:120], v[97:98], v[95:96], 1.0
	v_mul_f64 v[117:118], v[90:91], v[119:120]
	v_xor_b32_e32 v120, 0x80000000, v120
.LBB114_1099:
	s_andn2_saveexec_b64 s[18:19], s[18:19]
	s_cbranch_execz .LBB114_1101
; %bb.1100:
	v_div_scale_f64 v[90:91], s[20:21], v[117:118], v[117:118], v[119:120]
	v_rcp_f64_e32 v[95:96], v[90:91]
	v_fma_f64 v[97:98], -v[90:91], v[95:96], 1.0
	v_fma_f64 v[95:96], v[95:96], v[97:98], v[95:96]
	v_div_scale_f64 v[97:98], vcc, v[119:120], v[117:118], v[119:120]
	v_fma_f64 v[99:100], -v[90:91], v[95:96], 1.0
	v_fma_f64 v[95:96], v[95:96], v[99:100], v[95:96]
	v_mul_f64 v[99:100], v[97:98], v[95:96]
	v_fma_f64 v[90:91], -v[90:91], v[99:100], v[97:98]
	v_div_fmas_f64 v[90:91], v[90:91], v[95:96], v[99:100]
	v_div_fixup_f64 v[90:91], v[90:91], v[117:118], v[119:120]
	v_fma_f64 v[95:96], v[119:120], v[90:91], v[117:118]
	v_div_scale_f64 v[97:98], s[20:21], v[95:96], v[95:96], 1.0
	v_div_scale_f64 v[103:104], vcc, 1.0, v[95:96], 1.0
	v_rcp_f64_e32 v[99:100], v[97:98]
	v_fma_f64 v[101:102], -v[97:98], v[99:100], 1.0
	v_fma_f64 v[99:100], v[99:100], v[101:102], v[99:100]
	v_fma_f64 v[101:102], -v[97:98], v[99:100], 1.0
	v_fma_f64 v[99:100], v[99:100], v[101:102], v[99:100]
	v_mul_f64 v[101:102], v[103:104], v[99:100]
	v_fma_f64 v[97:98], -v[97:98], v[101:102], v[103:104]
	v_div_fmas_f64 v[97:98], v[97:98], v[99:100], v[101:102]
	v_div_fixup_f64 v[117:118], v[97:98], v[95:96], 1.0
	v_mul_f64 v[119:120], v[90:91], -v[117:118]
.LBB114_1101:
	s_or_b64 exec, exec, s[18:19]
.LBB114_1102:
	s_or_b64 exec, exec, s[0:1]
	v_cmp_ne_u32_e32 vcc, v93, v89
	s_and_saveexec_b64 s[0:1], vcc
	s_xor_b64 s[0:1], exec, s[0:1]
	s_cbranch_execz .LBB114_1108
; %bb.1103:
	v_cmp_eq_u32_e32 vcc, 52, v93
	s_and_saveexec_b64 s[18:19], vcc
	s_cbranch_execz .LBB114_1107
; %bb.1104:
	v_cmp_ne_u32_e32 vcc, 52, v89
	s_xor_b64 s[20:21], s[6:7], -1
	s_and_b64 s[22:23], s[20:21], vcc
	s_and_saveexec_b64 s[20:21], s[22:23]
	s_cbranch_execz .LBB114_1106
; %bb.1105:
	buffer_load_dword v81, off, s[24:27], 0 offset:480 ; 4-byte Folded Reload
	buffer_load_dword v82, off, s[24:27], 0 offset:484 ; 4-byte Folded Reload
	v_ashrrev_i32_e32 v90, 31, v89
	v_lshlrev_b64 v[90:91], 2, v[89:90]
	s_waitcnt vmcnt(1)
	v_add_co_u32_e32 v90, vcc, v81, v90
	s_waitcnt vmcnt(0)
	v_addc_co_u32_e32 v91, vcc, v82, v91, vcc
	global_load_dword v92, v[90:91], off
	global_load_dword v93, v[81:82], off offset:208
	s_waitcnt vmcnt(1)
	global_store_dword v[81:82], v92, off offset:208
	v_mov_b32_e32 v81, v105
	v_mov_b32_e32 v82, v106
	;; [unrolled: 1-line block ×4, first 2 shown]
	s_waitcnt vmcnt(1)
	global_store_dword v[90:91], v93, off
.LBB114_1106:
	s_or_b64 exec, exec, s[20:21]
	v_mov_b32_e32 v93, v89
	v_mov_b32_e32 v127, v89
.LBB114_1107:
	s_or_b64 exec, exec, s[18:19]
.LBB114_1108:
	s_andn2_saveexec_b64 s[0:1], s[0:1]
	s_cbranch_execz .LBB114_1110
; %bb.1109:
	v_mov_b32_e32 v93, 52
	ds_write2_b64 v0, v[13:14], v[15:16] offset0:106 offset1:107
	ds_write2_b64 v0, v[9:10], v[11:12] offset0:108 offset1:109
	;; [unrolled: 1-line block ×5, first 2 shown]
.LBB114_1110:
	s_or_b64 exec, exec, s[0:1]
	v_cmp_lt_i32_e32 vcc, 52, v93
	s_waitcnt vmcnt(0) lgkmcnt(0)
	s_barrier
	s_and_saveexec_b64 s[0:1], vcc
	s_cbranch_execz .LBB114_1112
; %bb.1111:
	v_mul_f64 v[89:90], v[117:118], v[19:20]
	v_mul_f64 v[19:20], v[119:120], v[19:20]
	v_fma_f64 v[95:96], v[119:120], v[17:18], v[89:90]
	ds_read2_b64 v[89:92], v0 offset0:106 offset1:107
	v_fma_f64 v[17:18], v[117:118], v[17:18], -v[19:20]
	s_waitcnt lgkmcnt(0)
	v_mul_f64 v[19:20], v[91:92], v[95:96]
	v_fma_f64 v[19:20], v[89:90], v[17:18], -v[19:20]
	v_mul_f64 v[89:90], v[89:90], v[95:96]
	v_add_f64 v[13:14], v[13:14], -v[19:20]
	v_fma_f64 v[89:90], v[91:92], v[17:18], v[89:90]
	v_add_f64 v[15:16], v[15:16], -v[89:90]
	ds_read2_b64 v[89:92], v0 offset0:108 offset1:109
	s_waitcnt lgkmcnt(0)
	v_mul_f64 v[19:20], v[91:92], v[95:96]
	v_fma_f64 v[19:20], v[89:90], v[17:18], -v[19:20]
	v_mul_f64 v[89:90], v[89:90], v[95:96]
	v_add_f64 v[9:10], v[9:10], -v[19:20]
	v_fma_f64 v[89:90], v[91:92], v[17:18], v[89:90]
	v_add_f64 v[11:12], v[11:12], -v[89:90]
	ds_read2_b64 v[89:92], v0 offset0:110 offset1:111
	;; [unrolled: 8-line block ×4, first 2 shown]
	s_waitcnt lgkmcnt(0)
	v_mul_f64 v[19:20], v[91:92], v[95:96]
	v_fma_f64 v[19:20], v[89:90], v[17:18], -v[19:20]
	v_mul_f64 v[89:90], v[89:90], v[95:96]
	v_add_f64 v[121:122], v[121:122], -v[19:20]
	v_fma_f64 v[89:90], v[91:92], v[17:18], v[89:90]
	v_mov_b32_e32 v19, v95
	v_mov_b32_e32 v20, v96
	v_add_f64 v[123:124], v[123:124], -v[89:90]
.LBB114_1112:
	s_or_b64 exec, exec, s[0:1]
	v_lshl_add_u32 v89, v93, 4, v0
	s_barrier
	ds_write2_b64 v89, v[13:14], v[15:16] offset1:1
	s_waitcnt lgkmcnt(0)
	s_barrier
	ds_read2_b64 v[117:120], v0 offset0:106 offset1:107
	s_cmp_lt_i32 s3, 55
	v_mov_b32_e32 v89, 53
	s_cbranch_scc1 .LBB114_1115
; %bb.1113:
	v_add_u32_e32 v90, 0x360, v0
	s_mov_b32 s0, 54
	v_mov_b32_e32 v89, 53
.LBB114_1114:                           ; =>This Inner Loop Header: Depth=1
	s_waitcnt lgkmcnt(0)
	v_cmp_gt_f64_e32 vcc, 0, v[117:118]
	v_xor_b32_e32 v91, 0x80000000, v118
	ds_read2_b64 v[95:98], v90 offset1:1
	v_xor_b32_e32 v99, 0x80000000, v120
	v_add_u32_e32 v90, 16, v90
	s_waitcnt lgkmcnt(0)
	v_xor_b32_e32 v101, 0x80000000, v98
	v_cndmask_b32_e32 v92, v118, v91, vcc
	v_cmp_gt_f64_e32 vcc, 0, v[119:120]
	v_mov_b32_e32 v91, v117
	v_cndmask_b32_e32 v100, v120, v99, vcc
	v_cmp_gt_f64_e32 vcc, 0, v[95:96]
	v_mov_b32_e32 v99, v119
	v_add_f64 v[91:92], v[91:92], v[99:100]
	v_xor_b32_e32 v99, 0x80000000, v96
	v_cndmask_b32_e32 v100, v96, v99, vcc
	v_cmp_gt_f64_e32 vcc, 0, v[97:98]
	v_mov_b32_e32 v99, v95
	v_cndmask_b32_e32 v102, v98, v101, vcc
	v_mov_b32_e32 v101, v97
	v_add_f64 v[99:100], v[99:100], v[101:102]
	v_cmp_lt_f64_e32 vcc, v[91:92], v[99:100]
	v_mov_b32_e32 v91, s0
	s_add_i32 s0, s0, 1
	s_cmp_lg_u32 s3, s0
	v_cndmask_b32_e32 v118, v118, v96, vcc
	v_cndmask_b32_e32 v117, v117, v95, vcc
	;; [unrolled: 1-line block ×5, first 2 shown]
	s_cbranch_scc1 .LBB114_1114
.LBB114_1115:
	s_waitcnt lgkmcnt(0)
	v_cmp_eq_f64_e32 vcc, 0, v[117:118]
	v_cmp_eq_f64_e64 s[0:1], 0, v[119:120]
	s_and_b64 s[0:1], vcc, s[0:1]
	s_and_saveexec_b64 s[18:19], s[0:1]
	s_xor_b64 s[0:1], exec, s[18:19]
; %bb.1116:
	v_cmp_ne_u32_e32 vcc, 0, v94
	v_cndmask_b32_e32 v94, 54, v94, vcc
; %bb.1117:
	s_andn2_saveexec_b64 s[0:1], s[0:1]
	s_cbranch_execz .LBB114_1123
; %bb.1118:
	v_cmp_ngt_f64_e64 s[18:19], |v[117:118]|, |v[119:120]|
	s_and_saveexec_b64 s[20:21], s[18:19]
	s_xor_b64 s[18:19], exec, s[20:21]
	s_cbranch_execz .LBB114_1120
; %bb.1119:
	v_div_scale_f64 v[90:91], s[20:21], v[119:120], v[119:120], v[117:118]
	v_rcp_f64_e32 v[95:96], v[90:91]
	v_fma_f64 v[97:98], -v[90:91], v[95:96], 1.0
	v_fma_f64 v[95:96], v[95:96], v[97:98], v[95:96]
	v_div_scale_f64 v[97:98], vcc, v[117:118], v[119:120], v[117:118]
	v_fma_f64 v[99:100], -v[90:91], v[95:96], 1.0
	v_fma_f64 v[95:96], v[95:96], v[99:100], v[95:96]
	v_mul_f64 v[99:100], v[97:98], v[95:96]
	v_fma_f64 v[90:91], -v[90:91], v[99:100], v[97:98]
	v_div_fmas_f64 v[90:91], v[90:91], v[95:96], v[99:100]
	v_div_fixup_f64 v[90:91], v[90:91], v[119:120], v[117:118]
	v_fma_f64 v[95:96], v[117:118], v[90:91], v[119:120]
	v_div_scale_f64 v[97:98], s[20:21], v[95:96], v[95:96], 1.0
	v_div_scale_f64 v[103:104], vcc, 1.0, v[95:96], 1.0
	v_rcp_f64_e32 v[99:100], v[97:98]
	v_fma_f64 v[101:102], -v[97:98], v[99:100], 1.0
	v_fma_f64 v[99:100], v[99:100], v[101:102], v[99:100]
	v_fma_f64 v[101:102], -v[97:98], v[99:100], 1.0
	v_fma_f64 v[99:100], v[99:100], v[101:102], v[99:100]
	v_mul_f64 v[101:102], v[103:104], v[99:100]
	v_fma_f64 v[97:98], -v[97:98], v[101:102], v[103:104]
	v_div_fmas_f64 v[97:98], v[97:98], v[99:100], v[101:102]
	v_div_fixup_f64 v[119:120], v[97:98], v[95:96], 1.0
	v_mul_f64 v[117:118], v[90:91], v[119:120]
	v_xor_b32_e32 v120, 0x80000000, v120
.LBB114_1120:
	s_andn2_saveexec_b64 s[18:19], s[18:19]
	s_cbranch_execz .LBB114_1122
; %bb.1121:
	v_div_scale_f64 v[90:91], s[20:21], v[117:118], v[117:118], v[119:120]
	v_rcp_f64_e32 v[95:96], v[90:91]
	v_fma_f64 v[97:98], -v[90:91], v[95:96], 1.0
	v_fma_f64 v[95:96], v[95:96], v[97:98], v[95:96]
	v_div_scale_f64 v[97:98], vcc, v[119:120], v[117:118], v[119:120]
	v_fma_f64 v[99:100], -v[90:91], v[95:96], 1.0
	v_fma_f64 v[95:96], v[95:96], v[99:100], v[95:96]
	v_mul_f64 v[99:100], v[97:98], v[95:96]
	v_fma_f64 v[90:91], -v[90:91], v[99:100], v[97:98]
	v_div_fmas_f64 v[90:91], v[90:91], v[95:96], v[99:100]
	v_div_fixup_f64 v[90:91], v[90:91], v[117:118], v[119:120]
	v_fma_f64 v[95:96], v[119:120], v[90:91], v[117:118]
	v_div_scale_f64 v[97:98], s[20:21], v[95:96], v[95:96], 1.0
	v_div_scale_f64 v[103:104], vcc, 1.0, v[95:96], 1.0
	v_rcp_f64_e32 v[99:100], v[97:98]
	v_fma_f64 v[101:102], -v[97:98], v[99:100], 1.0
	v_fma_f64 v[99:100], v[99:100], v[101:102], v[99:100]
	v_fma_f64 v[101:102], -v[97:98], v[99:100], 1.0
	v_fma_f64 v[99:100], v[99:100], v[101:102], v[99:100]
	v_mul_f64 v[101:102], v[103:104], v[99:100]
	v_fma_f64 v[97:98], -v[97:98], v[101:102], v[103:104]
	v_div_fmas_f64 v[97:98], v[97:98], v[99:100], v[101:102]
	v_div_fixup_f64 v[117:118], v[97:98], v[95:96], 1.0
	v_mul_f64 v[119:120], v[90:91], -v[117:118]
.LBB114_1122:
	s_or_b64 exec, exec, s[18:19]
.LBB114_1123:
	s_or_b64 exec, exec, s[0:1]
	v_cmp_ne_u32_e32 vcc, v93, v89
	s_and_saveexec_b64 s[0:1], vcc
	s_xor_b64 s[0:1], exec, s[0:1]
	s_cbranch_execz .LBB114_1129
; %bb.1124:
	v_cmp_eq_u32_e32 vcc, 53, v93
	s_and_saveexec_b64 s[18:19], vcc
	s_cbranch_execz .LBB114_1128
; %bb.1125:
	v_cmp_ne_u32_e32 vcc, 53, v89
	s_xor_b64 s[20:21], s[6:7], -1
	s_and_b64 s[22:23], s[20:21], vcc
	s_and_saveexec_b64 s[20:21], s[22:23]
	s_cbranch_execz .LBB114_1127
; %bb.1126:
	buffer_load_dword v81, off, s[24:27], 0 offset:480 ; 4-byte Folded Reload
	buffer_load_dword v82, off, s[24:27], 0 offset:484 ; 4-byte Folded Reload
	v_ashrrev_i32_e32 v90, 31, v89
	v_lshlrev_b64 v[90:91], 2, v[89:90]
	s_waitcnt vmcnt(1)
	v_add_co_u32_e32 v90, vcc, v81, v90
	s_waitcnt vmcnt(0)
	v_addc_co_u32_e32 v91, vcc, v82, v91, vcc
	global_load_dword v92, v[90:91], off
	global_load_dword v93, v[81:82], off offset:212
	s_waitcnt vmcnt(1)
	global_store_dword v[81:82], v92, off offset:212
	v_mov_b32_e32 v81, v105
	v_mov_b32_e32 v82, v106
	;; [unrolled: 1-line block ×4, first 2 shown]
	s_waitcnt vmcnt(1)
	global_store_dword v[90:91], v93, off
.LBB114_1127:
	s_or_b64 exec, exec, s[20:21]
	v_mov_b32_e32 v93, v89
	v_mov_b32_e32 v127, v89
.LBB114_1128:
	s_or_b64 exec, exec, s[18:19]
.LBB114_1129:
	s_andn2_saveexec_b64 s[0:1], s[0:1]
	s_cbranch_execz .LBB114_1131
; %bb.1130:
	v_mov_b32_e32 v93, 53
	ds_write2_b64 v0, v[9:10], v[11:12] offset0:108 offset1:109
	ds_write2_b64 v0, v[5:6], v[7:8] offset0:110 offset1:111
	;; [unrolled: 1-line block ×4, first 2 shown]
.LBB114_1131:
	s_or_b64 exec, exec, s[0:1]
	v_cmp_lt_i32_e32 vcc, 53, v93
	s_waitcnt vmcnt(0) lgkmcnt(0)
	s_barrier
	s_and_saveexec_b64 s[0:1], vcc
	s_cbranch_execz .LBB114_1133
; %bb.1132:
	v_mul_f64 v[89:90], v[117:118], v[15:16]
	v_mul_f64 v[15:16], v[119:120], v[15:16]
	v_fma_f64 v[95:96], v[119:120], v[13:14], v[89:90]
	ds_read2_b64 v[89:92], v0 offset0:108 offset1:109
	v_fma_f64 v[13:14], v[117:118], v[13:14], -v[15:16]
	s_waitcnt lgkmcnt(0)
	v_mul_f64 v[15:16], v[91:92], v[95:96]
	v_fma_f64 v[15:16], v[89:90], v[13:14], -v[15:16]
	v_mul_f64 v[89:90], v[89:90], v[95:96]
	v_add_f64 v[9:10], v[9:10], -v[15:16]
	v_fma_f64 v[89:90], v[91:92], v[13:14], v[89:90]
	v_add_f64 v[11:12], v[11:12], -v[89:90]
	ds_read2_b64 v[89:92], v0 offset0:110 offset1:111
	s_waitcnt lgkmcnt(0)
	v_mul_f64 v[15:16], v[91:92], v[95:96]
	v_fma_f64 v[15:16], v[89:90], v[13:14], -v[15:16]
	v_mul_f64 v[89:90], v[89:90], v[95:96]
	v_add_f64 v[5:6], v[5:6], -v[15:16]
	v_fma_f64 v[89:90], v[91:92], v[13:14], v[89:90]
	v_add_f64 v[7:8], v[7:8], -v[89:90]
	ds_read2_b64 v[89:92], v0 offset0:112 offset1:113
	;; [unrolled: 8-line block ×3, first 2 shown]
	s_waitcnt lgkmcnt(0)
	v_mul_f64 v[15:16], v[91:92], v[95:96]
	v_fma_f64 v[15:16], v[89:90], v[13:14], -v[15:16]
	v_mul_f64 v[89:90], v[89:90], v[95:96]
	v_add_f64 v[121:122], v[121:122], -v[15:16]
	v_fma_f64 v[89:90], v[91:92], v[13:14], v[89:90]
	v_mov_b32_e32 v15, v95
	v_mov_b32_e32 v16, v96
	v_add_f64 v[123:124], v[123:124], -v[89:90]
.LBB114_1133:
	s_or_b64 exec, exec, s[0:1]
	v_lshl_add_u32 v89, v93, 4, v0
	s_barrier
	ds_write2_b64 v89, v[9:10], v[11:12] offset1:1
	s_waitcnt lgkmcnt(0)
	s_barrier
	ds_read2_b64 v[117:120], v0 offset0:108 offset1:109
	s_cmp_lt_i32 s3, 56
	v_mov_b32_e32 v89, 54
	s_cbranch_scc1 .LBB114_1136
; %bb.1134:
	v_add_u32_e32 v90, 0x370, v0
	s_mov_b32 s0, 55
	v_mov_b32_e32 v89, 54
.LBB114_1135:                           ; =>This Inner Loop Header: Depth=1
	s_waitcnt lgkmcnt(0)
	v_cmp_gt_f64_e32 vcc, 0, v[117:118]
	v_xor_b32_e32 v91, 0x80000000, v118
	ds_read2_b64 v[95:98], v90 offset1:1
	v_xor_b32_e32 v99, 0x80000000, v120
	v_add_u32_e32 v90, 16, v90
	s_waitcnt lgkmcnt(0)
	v_xor_b32_e32 v101, 0x80000000, v98
	v_cndmask_b32_e32 v92, v118, v91, vcc
	v_cmp_gt_f64_e32 vcc, 0, v[119:120]
	v_mov_b32_e32 v91, v117
	v_cndmask_b32_e32 v100, v120, v99, vcc
	v_cmp_gt_f64_e32 vcc, 0, v[95:96]
	v_mov_b32_e32 v99, v119
	v_add_f64 v[91:92], v[91:92], v[99:100]
	v_xor_b32_e32 v99, 0x80000000, v96
	v_cndmask_b32_e32 v100, v96, v99, vcc
	v_cmp_gt_f64_e32 vcc, 0, v[97:98]
	v_mov_b32_e32 v99, v95
	v_cndmask_b32_e32 v102, v98, v101, vcc
	v_mov_b32_e32 v101, v97
	v_add_f64 v[99:100], v[99:100], v[101:102]
	v_cmp_lt_f64_e32 vcc, v[91:92], v[99:100]
	v_mov_b32_e32 v91, s0
	s_add_i32 s0, s0, 1
	s_cmp_lg_u32 s3, s0
	v_cndmask_b32_e32 v118, v118, v96, vcc
	v_cndmask_b32_e32 v117, v117, v95, vcc
	v_cndmask_b32_e32 v120, v120, v98, vcc
	v_cndmask_b32_e32 v119, v119, v97, vcc
	v_cndmask_b32_e32 v89, v89, v91, vcc
	s_cbranch_scc1 .LBB114_1135
.LBB114_1136:
	s_waitcnt lgkmcnt(0)
	v_cmp_eq_f64_e32 vcc, 0, v[117:118]
	v_cmp_eq_f64_e64 s[0:1], 0, v[119:120]
	s_and_b64 s[0:1], vcc, s[0:1]
	s_and_saveexec_b64 s[18:19], s[0:1]
	s_xor_b64 s[0:1], exec, s[18:19]
; %bb.1137:
	v_cmp_ne_u32_e32 vcc, 0, v94
	v_cndmask_b32_e32 v94, 55, v94, vcc
; %bb.1138:
	s_andn2_saveexec_b64 s[0:1], s[0:1]
	s_cbranch_execz .LBB114_1144
; %bb.1139:
	v_cmp_ngt_f64_e64 s[18:19], |v[117:118]|, |v[119:120]|
	s_and_saveexec_b64 s[20:21], s[18:19]
	s_xor_b64 s[18:19], exec, s[20:21]
	s_cbranch_execz .LBB114_1141
; %bb.1140:
	v_div_scale_f64 v[90:91], s[20:21], v[119:120], v[119:120], v[117:118]
	v_rcp_f64_e32 v[95:96], v[90:91]
	v_fma_f64 v[97:98], -v[90:91], v[95:96], 1.0
	v_fma_f64 v[95:96], v[95:96], v[97:98], v[95:96]
	v_div_scale_f64 v[97:98], vcc, v[117:118], v[119:120], v[117:118]
	v_fma_f64 v[99:100], -v[90:91], v[95:96], 1.0
	v_fma_f64 v[95:96], v[95:96], v[99:100], v[95:96]
	v_mul_f64 v[99:100], v[97:98], v[95:96]
	v_fma_f64 v[90:91], -v[90:91], v[99:100], v[97:98]
	v_div_fmas_f64 v[90:91], v[90:91], v[95:96], v[99:100]
	v_div_fixup_f64 v[90:91], v[90:91], v[119:120], v[117:118]
	v_fma_f64 v[95:96], v[117:118], v[90:91], v[119:120]
	v_div_scale_f64 v[97:98], s[20:21], v[95:96], v[95:96], 1.0
	v_div_scale_f64 v[103:104], vcc, 1.0, v[95:96], 1.0
	v_rcp_f64_e32 v[99:100], v[97:98]
	v_fma_f64 v[101:102], -v[97:98], v[99:100], 1.0
	v_fma_f64 v[99:100], v[99:100], v[101:102], v[99:100]
	v_fma_f64 v[101:102], -v[97:98], v[99:100], 1.0
	v_fma_f64 v[99:100], v[99:100], v[101:102], v[99:100]
	v_mul_f64 v[101:102], v[103:104], v[99:100]
	v_fma_f64 v[97:98], -v[97:98], v[101:102], v[103:104]
	v_div_fmas_f64 v[97:98], v[97:98], v[99:100], v[101:102]
	v_div_fixup_f64 v[119:120], v[97:98], v[95:96], 1.0
	v_mul_f64 v[117:118], v[90:91], v[119:120]
	v_xor_b32_e32 v120, 0x80000000, v120
.LBB114_1141:
	s_andn2_saveexec_b64 s[18:19], s[18:19]
	s_cbranch_execz .LBB114_1143
; %bb.1142:
	v_div_scale_f64 v[90:91], s[20:21], v[117:118], v[117:118], v[119:120]
	v_rcp_f64_e32 v[95:96], v[90:91]
	v_fma_f64 v[97:98], -v[90:91], v[95:96], 1.0
	v_fma_f64 v[95:96], v[95:96], v[97:98], v[95:96]
	v_div_scale_f64 v[97:98], vcc, v[119:120], v[117:118], v[119:120]
	v_fma_f64 v[99:100], -v[90:91], v[95:96], 1.0
	v_fma_f64 v[95:96], v[95:96], v[99:100], v[95:96]
	v_mul_f64 v[99:100], v[97:98], v[95:96]
	v_fma_f64 v[90:91], -v[90:91], v[99:100], v[97:98]
	v_div_fmas_f64 v[90:91], v[90:91], v[95:96], v[99:100]
	v_div_fixup_f64 v[90:91], v[90:91], v[117:118], v[119:120]
	v_fma_f64 v[95:96], v[119:120], v[90:91], v[117:118]
	v_div_scale_f64 v[97:98], s[20:21], v[95:96], v[95:96], 1.0
	v_div_scale_f64 v[103:104], vcc, 1.0, v[95:96], 1.0
	v_rcp_f64_e32 v[99:100], v[97:98]
	v_fma_f64 v[101:102], -v[97:98], v[99:100], 1.0
	v_fma_f64 v[99:100], v[99:100], v[101:102], v[99:100]
	v_fma_f64 v[101:102], -v[97:98], v[99:100], 1.0
	v_fma_f64 v[99:100], v[99:100], v[101:102], v[99:100]
	v_mul_f64 v[101:102], v[103:104], v[99:100]
	v_fma_f64 v[97:98], -v[97:98], v[101:102], v[103:104]
	v_div_fmas_f64 v[97:98], v[97:98], v[99:100], v[101:102]
	v_div_fixup_f64 v[117:118], v[97:98], v[95:96], 1.0
	v_mul_f64 v[119:120], v[90:91], -v[117:118]
.LBB114_1143:
	s_or_b64 exec, exec, s[18:19]
.LBB114_1144:
	s_or_b64 exec, exec, s[0:1]
	v_cmp_ne_u32_e32 vcc, v93, v89
	s_and_saveexec_b64 s[0:1], vcc
	s_xor_b64 s[0:1], exec, s[0:1]
	s_cbranch_execz .LBB114_1150
; %bb.1145:
	v_cmp_eq_u32_e32 vcc, 54, v93
	s_and_saveexec_b64 s[18:19], vcc
	s_cbranch_execz .LBB114_1149
; %bb.1146:
	v_cmp_ne_u32_e32 vcc, 54, v89
	s_xor_b64 s[20:21], s[6:7], -1
	s_and_b64 s[22:23], s[20:21], vcc
	s_and_saveexec_b64 s[20:21], s[22:23]
	s_cbranch_execz .LBB114_1148
; %bb.1147:
	buffer_load_dword v81, off, s[24:27], 0 offset:480 ; 4-byte Folded Reload
	buffer_load_dword v82, off, s[24:27], 0 offset:484 ; 4-byte Folded Reload
	v_ashrrev_i32_e32 v90, 31, v89
	v_lshlrev_b64 v[90:91], 2, v[89:90]
	s_waitcnt vmcnt(1)
	v_add_co_u32_e32 v90, vcc, v81, v90
	s_waitcnt vmcnt(0)
	v_addc_co_u32_e32 v91, vcc, v82, v91, vcc
	global_load_dword v92, v[90:91], off
	global_load_dword v93, v[81:82], off offset:216
	s_waitcnt vmcnt(1)
	global_store_dword v[81:82], v92, off offset:216
	v_mov_b32_e32 v81, v105
	v_mov_b32_e32 v82, v106
	;; [unrolled: 1-line block ×4, first 2 shown]
	s_waitcnt vmcnt(1)
	global_store_dword v[90:91], v93, off
.LBB114_1148:
	s_or_b64 exec, exec, s[20:21]
	v_mov_b32_e32 v93, v89
	v_mov_b32_e32 v127, v89
.LBB114_1149:
	s_or_b64 exec, exec, s[18:19]
.LBB114_1150:
	s_andn2_saveexec_b64 s[0:1], s[0:1]
	s_cbranch_execz .LBB114_1152
; %bb.1151:
	v_mov_b32_e32 v93, 54
	ds_write2_b64 v0, v[5:6], v[7:8] offset0:110 offset1:111
	ds_write2_b64 v0, v[1:2], v[3:4] offset0:112 offset1:113
	;; [unrolled: 1-line block ×3, first 2 shown]
.LBB114_1152:
	s_or_b64 exec, exec, s[0:1]
	v_cmp_lt_i32_e32 vcc, 54, v93
	s_waitcnt vmcnt(0) lgkmcnt(0)
	s_barrier
	s_and_saveexec_b64 s[0:1], vcc
	s_cbranch_execz .LBB114_1154
; %bb.1153:
	v_mul_f64 v[89:90], v[117:118], v[11:12]
	v_mul_f64 v[11:12], v[119:120], v[11:12]
	v_fma_f64 v[95:96], v[119:120], v[9:10], v[89:90]
	ds_read2_b64 v[89:92], v0 offset0:110 offset1:111
	v_fma_f64 v[9:10], v[117:118], v[9:10], -v[11:12]
	s_waitcnt lgkmcnt(0)
	v_mul_f64 v[11:12], v[91:92], v[95:96]
	v_fma_f64 v[11:12], v[89:90], v[9:10], -v[11:12]
	v_mul_f64 v[89:90], v[89:90], v[95:96]
	v_add_f64 v[5:6], v[5:6], -v[11:12]
	v_fma_f64 v[89:90], v[91:92], v[9:10], v[89:90]
	v_add_f64 v[7:8], v[7:8], -v[89:90]
	ds_read2_b64 v[89:92], v0 offset0:112 offset1:113
	s_waitcnt lgkmcnt(0)
	v_mul_f64 v[11:12], v[91:92], v[95:96]
	v_fma_f64 v[11:12], v[89:90], v[9:10], -v[11:12]
	v_mul_f64 v[89:90], v[89:90], v[95:96]
	v_add_f64 v[1:2], v[1:2], -v[11:12]
	v_fma_f64 v[89:90], v[91:92], v[9:10], v[89:90]
	v_add_f64 v[3:4], v[3:4], -v[89:90]
	ds_read2_b64 v[89:92], v0 offset0:114 offset1:115
	s_waitcnt lgkmcnt(0)
	v_mul_f64 v[11:12], v[91:92], v[95:96]
	v_fma_f64 v[11:12], v[89:90], v[9:10], -v[11:12]
	v_mul_f64 v[89:90], v[89:90], v[95:96]
	v_add_f64 v[121:122], v[121:122], -v[11:12]
	v_fma_f64 v[89:90], v[91:92], v[9:10], v[89:90]
	v_mov_b32_e32 v11, v95
	v_mov_b32_e32 v12, v96
	v_add_f64 v[123:124], v[123:124], -v[89:90]
.LBB114_1154:
	s_or_b64 exec, exec, s[0:1]
	v_lshl_add_u32 v89, v93, 4, v0
	s_barrier
	ds_write2_b64 v89, v[5:6], v[7:8] offset1:1
	s_waitcnt lgkmcnt(0)
	s_barrier
	ds_read2_b64 v[117:120], v0 offset0:110 offset1:111
	s_cmp_lt_i32 s3, 57
	v_mov_b32_e32 v89, 55
	s_cbranch_scc1 .LBB114_1157
; %bb.1155:
	v_add_u32_e32 v90, 0x380, v0
	s_mov_b32 s0, 56
	v_mov_b32_e32 v89, 55
.LBB114_1156:                           ; =>This Inner Loop Header: Depth=1
	s_waitcnt lgkmcnt(0)
	v_cmp_gt_f64_e32 vcc, 0, v[117:118]
	v_xor_b32_e32 v91, 0x80000000, v118
	ds_read2_b64 v[95:98], v90 offset1:1
	v_xor_b32_e32 v99, 0x80000000, v120
	v_add_u32_e32 v90, 16, v90
	s_waitcnt lgkmcnt(0)
	v_xor_b32_e32 v101, 0x80000000, v98
	v_cndmask_b32_e32 v92, v118, v91, vcc
	v_cmp_gt_f64_e32 vcc, 0, v[119:120]
	v_mov_b32_e32 v91, v117
	v_cndmask_b32_e32 v100, v120, v99, vcc
	v_cmp_gt_f64_e32 vcc, 0, v[95:96]
	v_mov_b32_e32 v99, v119
	v_add_f64 v[91:92], v[91:92], v[99:100]
	v_xor_b32_e32 v99, 0x80000000, v96
	v_cndmask_b32_e32 v100, v96, v99, vcc
	v_cmp_gt_f64_e32 vcc, 0, v[97:98]
	v_mov_b32_e32 v99, v95
	v_cndmask_b32_e32 v102, v98, v101, vcc
	v_mov_b32_e32 v101, v97
	v_add_f64 v[99:100], v[99:100], v[101:102]
	v_cmp_lt_f64_e32 vcc, v[91:92], v[99:100]
	v_mov_b32_e32 v91, s0
	s_add_i32 s0, s0, 1
	s_cmp_lg_u32 s3, s0
	v_cndmask_b32_e32 v118, v118, v96, vcc
	v_cndmask_b32_e32 v117, v117, v95, vcc
	;; [unrolled: 1-line block ×5, first 2 shown]
	s_cbranch_scc1 .LBB114_1156
.LBB114_1157:
	s_waitcnt lgkmcnt(0)
	v_cmp_eq_f64_e32 vcc, 0, v[117:118]
	v_cmp_eq_f64_e64 s[0:1], 0, v[119:120]
	s_and_b64 s[0:1], vcc, s[0:1]
	s_and_saveexec_b64 s[18:19], s[0:1]
	s_xor_b64 s[0:1], exec, s[18:19]
; %bb.1158:
	v_cmp_ne_u32_e32 vcc, 0, v94
	v_cndmask_b32_e32 v94, 56, v94, vcc
; %bb.1159:
	s_andn2_saveexec_b64 s[0:1], s[0:1]
	s_cbranch_execz .LBB114_1165
; %bb.1160:
	v_cmp_ngt_f64_e64 s[18:19], |v[117:118]|, |v[119:120]|
	s_and_saveexec_b64 s[20:21], s[18:19]
	s_xor_b64 s[18:19], exec, s[20:21]
	s_cbranch_execz .LBB114_1162
; %bb.1161:
	v_div_scale_f64 v[90:91], s[20:21], v[119:120], v[119:120], v[117:118]
	v_rcp_f64_e32 v[95:96], v[90:91]
	v_fma_f64 v[97:98], -v[90:91], v[95:96], 1.0
	v_fma_f64 v[95:96], v[95:96], v[97:98], v[95:96]
	v_div_scale_f64 v[97:98], vcc, v[117:118], v[119:120], v[117:118]
	v_fma_f64 v[99:100], -v[90:91], v[95:96], 1.0
	v_fma_f64 v[95:96], v[95:96], v[99:100], v[95:96]
	v_mul_f64 v[99:100], v[97:98], v[95:96]
	v_fma_f64 v[90:91], -v[90:91], v[99:100], v[97:98]
	v_div_fmas_f64 v[90:91], v[90:91], v[95:96], v[99:100]
	v_div_fixup_f64 v[90:91], v[90:91], v[119:120], v[117:118]
	v_fma_f64 v[95:96], v[117:118], v[90:91], v[119:120]
	v_div_scale_f64 v[97:98], s[20:21], v[95:96], v[95:96], 1.0
	v_div_scale_f64 v[103:104], vcc, 1.0, v[95:96], 1.0
	v_rcp_f64_e32 v[99:100], v[97:98]
	v_fma_f64 v[101:102], -v[97:98], v[99:100], 1.0
	v_fma_f64 v[99:100], v[99:100], v[101:102], v[99:100]
	v_fma_f64 v[101:102], -v[97:98], v[99:100], 1.0
	v_fma_f64 v[99:100], v[99:100], v[101:102], v[99:100]
	v_mul_f64 v[101:102], v[103:104], v[99:100]
	v_fma_f64 v[97:98], -v[97:98], v[101:102], v[103:104]
	v_div_fmas_f64 v[97:98], v[97:98], v[99:100], v[101:102]
	v_div_fixup_f64 v[119:120], v[97:98], v[95:96], 1.0
	v_mul_f64 v[117:118], v[90:91], v[119:120]
	v_xor_b32_e32 v120, 0x80000000, v120
.LBB114_1162:
	s_andn2_saveexec_b64 s[18:19], s[18:19]
	s_cbranch_execz .LBB114_1164
; %bb.1163:
	v_div_scale_f64 v[90:91], s[20:21], v[117:118], v[117:118], v[119:120]
	v_rcp_f64_e32 v[95:96], v[90:91]
	v_fma_f64 v[97:98], -v[90:91], v[95:96], 1.0
	v_fma_f64 v[95:96], v[95:96], v[97:98], v[95:96]
	v_div_scale_f64 v[97:98], vcc, v[119:120], v[117:118], v[119:120]
	v_fma_f64 v[99:100], -v[90:91], v[95:96], 1.0
	v_fma_f64 v[95:96], v[95:96], v[99:100], v[95:96]
	v_mul_f64 v[99:100], v[97:98], v[95:96]
	v_fma_f64 v[90:91], -v[90:91], v[99:100], v[97:98]
	v_div_fmas_f64 v[90:91], v[90:91], v[95:96], v[99:100]
	v_div_fixup_f64 v[90:91], v[90:91], v[117:118], v[119:120]
	v_fma_f64 v[95:96], v[119:120], v[90:91], v[117:118]
	v_div_scale_f64 v[97:98], s[20:21], v[95:96], v[95:96], 1.0
	v_div_scale_f64 v[103:104], vcc, 1.0, v[95:96], 1.0
	v_rcp_f64_e32 v[99:100], v[97:98]
	v_fma_f64 v[101:102], -v[97:98], v[99:100], 1.0
	v_fma_f64 v[99:100], v[99:100], v[101:102], v[99:100]
	v_fma_f64 v[101:102], -v[97:98], v[99:100], 1.0
	v_fma_f64 v[99:100], v[99:100], v[101:102], v[99:100]
	v_mul_f64 v[101:102], v[103:104], v[99:100]
	v_fma_f64 v[97:98], -v[97:98], v[101:102], v[103:104]
	v_div_fmas_f64 v[97:98], v[97:98], v[99:100], v[101:102]
	v_div_fixup_f64 v[117:118], v[97:98], v[95:96], 1.0
	v_mul_f64 v[119:120], v[90:91], -v[117:118]
.LBB114_1164:
	s_or_b64 exec, exec, s[18:19]
.LBB114_1165:
	s_or_b64 exec, exec, s[0:1]
	v_cmp_ne_u32_e32 vcc, v93, v89
	s_and_saveexec_b64 s[0:1], vcc
	s_xor_b64 s[0:1], exec, s[0:1]
	s_cbranch_execz .LBB114_1171
; %bb.1166:
	v_cmp_eq_u32_e32 vcc, 55, v93
	s_and_saveexec_b64 s[18:19], vcc
	s_cbranch_execz .LBB114_1170
; %bb.1167:
	v_cmp_ne_u32_e32 vcc, 55, v89
	s_xor_b64 s[20:21], s[6:7], -1
	s_and_b64 s[22:23], s[20:21], vcc
	s_and_saveexec_b64 s[20:21], s[22:23]
	s_cbranch_execz .LBB114_1169
; %bb.1168:
	buffer_load_dword v81, off, s[24:27], 0 offset:480 ; 4-byte Folded Reload
	buffer_load_dword v82, off, s[24:27], 0 offset:484 ; 4-byte Folded Reload
	v_ashrrev_i32_e32 v90, 31, v89
	v_lshlrev_b64 v[90:91], 2, v[89:90]
	s_waitcnt vmcnt(1)
	v_add_co_u32_e32 v90, vcc, v81, v90
	s_waitcnt vmcnt(0)
	v_addc_co_u32_e32 v91, vcc, v82, v91, vcc
	global_load_dword v92, v[90:91], off
	global_load_dword v93, v[81:82], off offset:220
	s_waitcnt vmcnt(1)
	global_store_dword v[81:82], v92, off offset:220
	v_mov_b32_e32 v81, v105
	v_mov_b32_e32 v82, v106
	;; [unrolled: 1-line block ×4, first 2 shown]
	s_waitcnt vmcnt(1)
	global_store_dword v[90:91], v93, off
.LBB114_1169:
	s_or_b64 exec, exec, s[20:21]
	v_mov_b32_e32 v93, v89
	v_mov_b32_e32 v127, v89
.LBB114_1170:
	s_or_b64 exec, exec, s[18:19]
.LBB114_1171:
	s_andn2_saveexec_b64 s[0:1], s[0:1]
	s_cbranch_execz .LBB114_1173
; %bb.1172:
	v_mov_b32_e32 v93, 55
	ds_write2_b64 v0, v[1:2], v[3:4] offset0:112 offset1:113
	ds_write2_b64 v0, v[121:122], v[123:124] offset0:114 offset1:115
.LBB114_1173:
	s_or_b64 exec, exec, s[0:1]
	v_cmp_lt_i32_e32 vcc, 55, v93
	s_waitcnt vmcnt(0) lgkmcnt(0)
	s_barrier
	s_and_saveexec_b64 s[0:1], vcc
	s_cbranch_execz .LBB114_1175
; %bb.1174:
	v_mul_f64 v[89:90], v[117:118], v[7:8]
	v_mul_f64 v[7:8], v[119:120], v[7:8]
	v_fma_f64 v[95:96], v[119:120], v[5:6], v[89:90]
	ds_read2_b64 v[89:92], v0 offset0:112 offset1:113
	v_fma_f64 v[5:6], v[117:118], v[5:6], -v[7:8]
	s_waitcnt lgkmcnt(0)
	v_mul_f64 v[7:8], v[91:92], v[95:96]
	v_fma_f64 v[7:8], v[89:90], v[5:6], -v[7:8]
	v_mul_f64 v[89:90], v[89:90], v[95:96]
	v_add_f64 v[1:2], v[1:2], -v[7:8]
	v_fma_f64 v[89:90], v[91:92], v[5:6], v[89:90]
	v_add_f64 v[3:4], v[3:4], -v[89:90]
	ds_read2_b64 v[89:92], v0 offset0:114 offset1:115
	s_waitcnt lgkmcnt(0)
	v_mul_f64 v[7:8], v[91:92], v[95:96]
	v_fma_f64 v[7:8], v[89:90], v[5:6], -v[7:8]
	v_mul_f64 v[89:90], v[89:90], v[95:96]
	v_add_f64 v[121:122], v[121:122], -v[7:8]
	v_fma_f64 v[89:90], v[91:92], v[5:6], v[89:90]
	v_mov_b32_e32 v7, v95
	v_mov_b32_e32 v8, v96
	v_add_f64 v[123:124], v[123:124], -v[89:90]
.LBB114_1175:
	s_or_b64 exec, exec, s[0:1]
	v_lshl_add_u32 v89, v93, 4, v0
	s_barrier
	ds_write2_b64 v89, v[1:2], v[3:4] offset1:1
	s_waitcnt lgkmcnt(0)
	s_barrier
	ds_read2_b64 v[117:120], v0 offset0:112 offset1:113
	s_cmp_lt_i32 s3, 58
	v_mov_b32_e32 v89, 56
	s_cbranch_scc1 .LBB114_1178
; %bb.1176:
	v_add_u32_e32 v90, 0x390, v0
	s_mov_b32 s0, 57
	v_mov_b32_e32 v89, 56
.LBB114_1177:                           ; =>This Inner Loop Header: Depth=1
	s_waitcnt lgkmcnt(0)
	v_cmp_gt_f64_e32 vcc, 0, v[117:118]
	v_xor_b32_e32 v91, 0x80000000, v118
	ds_read2_b64 v[95:98], v90 offset1:1
	v_xor_b32_e32 v99, 0x80000000, v120
	v_add_u32_e32 v90, 16, v90
	s_waitcnt lgkmcnt(0)
	v_xor_b32_e32 v101, 0x80000000, v98
	v_cndmask_b32_e32 v92, v118, v91, vcc
	v_cmp_gt_f64_e32 vcc, 0, v[119:120]
	v_mov_b32_e32 v91, v117
	v_cndmask_b32_e32 v100, v120, v99, vcc
	v_cmp_gt_f64_e32 vcc, 0, v[95:96]
	v_mov_b32_e32 v99, v119
	v_add_f64 v[91:92], v[91:92], v[99:100]
	v_xor_b32_e32 v99, 0x80000000, v96
	v_cndmask_b32_e32 v100, v96, v99, vcc
	v_cmp_gt_f64_e32 vcc, 0, v[97:98]
	v_mov_b32_e32 v99, v95
	v_cndmask_b32_e32 v102, v98, v101, vcc
	v_mov_b32_e32 v101, v97
	v_add_f64 v[99:100], v[99:100], v[101:102]
	v_cmp_lt_f64_e32 vcc, v[91:92], v[99:100]
	v_mov_b32_e32 v91, s0
	s_add_i32 s0, s0, 1
	s_cmp_lg_u32 s3, s0
	v_cndmask_b32_e32 v118, v118, v96, vcc
	v_cndmask_b32_e32 v117, v117, v95, vcc
	;; [unrolled: 1-line block ×5, first 2 shown]
	s_cbranch_scc1 .LBB114_1177
.LBB114_1178:
	s_waitcnt lgkmcnt(0)
	v_cmp_eq_f64_e32 vcc, 0, v[117:118]
	v_cmp_eq_f64_e64 s[0:1], 0, v[119:120]
	s_and_b64 s[0:1], vcc, s[0:1]
	s_and_saveexec_b64 s[18:19], s[0:1]
	s_xor_b64 s[0:1], exec, s[18:19]
; %bb.1179:
	v_cmp_ne_u32_e32 vcc, 0, v94
	v_cndmask_b32_e32 v94, 57, v94, vcc
; %bb.1180:
	s_andn2_saveexec_b64 s[0:1], s[0:1]
	s_cbranch_execz .LBB114_1186
; %bb.1181:
	v_cmp_ngt_f64_e64 s[18:19], |v[117:118]|, |v[119:120]|
	s_and_saveexec_b64 s[20:21], s[18:19]
	s_xor_b64 s[18:19], exec, s[20:21]
	s_cbranch_execz .LBB114_1183
; %bb.1182:
	v_div_scale_f64 v[90:91], s[20:21], v[119:120], v[119:120], v[117:118]
	v_rcp_f64_e32 v[95:96], v[90:91]
	v_fma_f64 v[97:98], -v[90:91], v[95:96], 1.0
	v_fma_f64 v[95:96], v[95:96], v[97:98], v[95:96]
	v_div_scale_f64 v[97:98], vcc, v[117:118], v[119:120], v[117:118]
	v_fma_f64 v[99:100], -v[90:91], v[95:96], 1.0
	v_fma_f64 v[95:96], v[95:96], v[99:100], v[95:96]
	v_mul_f64 v[99:100], v[97:98], v[95:96]
	v_fma_f64 v[90:91], -v[90:91], v[99:100], v[97:98]
	v_div_fmas_f64 v[90:91], v[90:91], v[95:96], v[99:100]
	v_div_fixup_f64 v[90:91], v[90:91], v[119:120], v[117:118]
	v_fma_f64 v[95:96], v[117:118], v[90:91], v[119:120]
	v_div_scale_f64 v[97:98], s[20:21], v[95:96], v[95:96], 1.0
	v_div_scale_f64 v[103:104], vcc, 1.0, v[95:96], 1.0
	v_rcp_f64_e32 v[99:100], v[97:98]
	v_fma_f64 v[101:102], -v[97:98], v[99:100], 1.0
	v_fma_f64 v[99:100], v[99:100], v[101:102], v[99:100]
	v_fma_f64 v[101:102], -v[97:98], v[99:100], 1.0
	v_fma_f64 v[99:100], v[99:100], v[101:102], v[99:100]
	v_mul_f64 v[101:102], v[103:104], v[99:100]
	v_fma_f64 v[97:98], -v[97:98], v[101:102], v[103:104]
	v_div_fmas_f64 v[97:98], v[97:98], v[99:100], v[101:102]
	v_div_fixup_f64 v[119:120], v[97:98], v[95:96], 1.0
	v_mul_f64 v[117:118], v[90:91], v[119:120]
	v_xor_b32_e32 v120, 0x80000000, v120
.LBB114_1183:
	s_andn2_saveexec_b64 s[18:19], s[18:19]
	s_cbranch_execz .LBB114_1185
; %bb.1184:
	v_div_scale_f64 v[90:91], s[20:21], v[117:118], v[117:118], v[119:120]
	v_rcp_f64_e32 v[95:96], v[90:91]
	v_fma_f64 v[97:98], -v[90:91], v[95:96], 1.0
	v_fma_f64 v[95:96], v[95:96], v[97:98], v[95:96]
	v_div_scale_f64 v[97:98], vcc, v[119:120], v[117:118], v[119:120]
	v_fma_f64 v[99:100], -v[90:91], v[95:96], 1.0
	v_fma_f64 v[95:96], v[95:96], v[99:100], v[95:96]
	v_mul_f64 v[99:100], v[97:98], v[95:96]
	v_fma_f64 v[90:91], -v[90:91], v[99:100], v[97:98]
	v_div_fmas_f64 v[90:91], v[90:91], v[95:96], v[99:100]
	v_div_fixup_f64 v[90:91], v[90:91], v[117:118], v[119:120]
	v_fma_f64 v[95:96], v[119:120], v[90:91], v[117:118]
	v_div_scale_f64 v[97:98], s[20:21], v[95:96], v[95:96], 1.0
	v_div_scale_f64 v[103:104], vcc, 1.0, v[95:96], 1.0
	v_rcp_f64_e32 v[99:100], v[97:98]
	v_fma_f64 v[101:102], -v[97:98], v[99:100], 1.0
	v_fma_f64 v[99:100], v[99:100], v[101:102], v[99:100]
	v_fma_f64 v[101:102], -v[97:98], v[99:100], 1.0
	v_fma_f64 v[99:100], v[99:100], v[101:102], v[99:100]
	v_mul_f64 v[101:102], v[103:104], v[99:100]
	v_fma_f64 v[97:98], -v[97:98], v[101:102], v[103:104]
	v_div_fmas_f64 v[97:98], v[97:98], v[99:100], v[101:102]
	v_div_fixup_f64 v[117:118], v[97:98], v[95:96], 1.0
	v_mul_f64 v[119:120], v[90:91], -v[117:118]
.LBB114_1185:
	s_or_b64 exec, exec, s[18:19]
.LBB114_1186:
	s_or_b64 exec, exec, s[0:1]
	v_cmp_ne_u32_e32 vcc, v93, v89
	s_and_saveexec_b64 s[0:1], vcc
	s_xor_b64 s[0:1], exec, s[0:1]
	s_cbranch_execz .LBB114_1192
; %bb.1187:
	v_cmp_eq_u32_e32 vcc, 56, v93
	s_and_saveexec_b64 s[18:19], vcc
	s_cbranch_execz .LBB114_1191
; %bb.1188:
	v_cmp_ne_u32_e32 vcc, 56, v89
	s_xor_b64 s[20:21], s[6:7], -1
	s_and_b64 s[22:23], s[20:21], vcc
	s_and_saveexec_b64 s[20:21], s[22:23]
	s_cbranch_execz .LBB114_1190
; %bb.1189:
	buffer_load_dword v81, off, s[24:27], 0 offset:480 ; 4-byte Folded Reload
	buffer_load_dword v82, off, s[24:27], 0 offset:484 ; 4-byte Folded Reload
	v_ashrrev_i32_e32 v90, 31, v89
	v_lshlrev_b64 v[90:91], 2, v[89:90]
	s_waitcnt vmcnt(1)
	v_add_co_u32_e32 v90, vcc, v81, v90
	s_waitcnt vmcnt(0)
	v_addc_co_u32_e32 v91, vcc, v82, v91, vcc
	global_load_dword v92, v[90:91], off
	global_load_dword v93, v[81:82], off offset:224
	s_waitcnt vmcnt(1)
	global_store_dword v[81:82], v92, off offset:224
	v_mov_b32_e32 v81, v105
	v_mov_b32_e32 v82, v106
	v_mov_b32_e32 v83, v107
	v_mov_b32_e32 v84, v108
	s_waitcnt vmcnt(1)
	global_store_dword v[90:91], v93, off
.LBB114_1190:
	s_or_b64 exec, exec, s[20:21]
	v_mov_b32_e32 v93, v89
	v_mov_b32_e32 v127, v89
.LBB114_1191:
	s_or_b64 exec, exec, s[18:19]
.LBB114_1192:
	s_andn2_saveexec_b64 s[0:1], s[0:1]
; %bb.1193:
	v_mov_b32_e32 v93, 56
	ds_write2_b64 v0, v[121:122], v[123:124] offset0:114 offset1:115
; %bb.1194:
	s_or_b64 exec, exec, s[0:1]
	v_cmp_lt_i32_e32 vcc, 56, v93
	s_waitcnt vmcnt(0) lgkmcnt(0)
	s_barrier
	s_and_saveexec_b64 s[0:1], vcc
	s_cbranch_execz .LBB114_1196
; %bb.1195:
	v_mul_f64 v[89:90], v[117:118], v[3:4]
	v_mul_f64 v[3:4], v[119:120], v[3:4]
	v_fma_f64 v[95:96], v[119:120], v[1:2], v[89:90]
	ds_read2_b64 v[89:92], v0 offset0:114 offset1:115
	v_fma_f64 v[1:2], v[117:118], v[1:2], -v[3:4]
	s_waitcnt lgkmcnt(0)
	v_mul_f64 v[3:4], v[91:92], v[95:96]
	v_fma_f64 v[3:4], v[89:90], v[1:2], -v[3:4]
	v_mul_f64 v[89:90], v[89:90], v[95:96]
	v_add_f64 v[121:122], v[121:122], -v[3:4]
	v_fma_f64 v[89:90], v[91:92], v[1:2], v[89:90]
	v_mov_b32_e32 v3, v95
	v_mov_b32_e32 v4, v96
	v_add_f64 v[123:124], v[123:124], -v[89:90]
.LBB114_1196:
	s_or_b64 exec, exec, s[0:1]
	v_lshl_add_u32 v89, v93, 4, v0
	s_barrier
	ds_write2_b64 v89, v[121:122], v[123:124] offset1:1
	s_waitcnt lgkmcnt(0)
	s_barrier
	ds_read2_b64 v[117:120], v0 offset0:114 offset1:115
	s_cmp_lt_i32 s3, 59
	v_mov_b32_e32 v89, 57
	s_cbranch_scc1 .LBB114_1199
; %bb.1197:
	v_add_u32_e32 v0, 0x3a0, v0
	s_mov_b32 s0, 58
	v_mov_b32_e32 v89, 57
.LBB114_1198:                           ; =>This Inner Loop Header: Depth=1
	s_waitcnt lgkmcnt(0)
	v_cmp_gt_f64_e32 vcc, 0, v[117:118]
	v_xor_b32_e32 v90, 0x80000000, v118
	ds_read2_b64 v[95:98], v0 offset1:1
	v_xor_b32_e32 v92, 0x80000000, v120
	v_mov_b32_e32 v99, v119
	v_add_u32_e32 v0, 16, v0
	s_waitcnt lgkmcnt(0)
	v_mov_b32_e32 v101, v97
	v_cndmask_b32_e32 v91, v118, v90, vcc
	v_cmp_gt_f64_e32 vcc, 0, v[119:120]
	v_mov_b32_e32 v90, v117
	v_cndmask_b32_e32 v100, v120, v92, vcc
	v_cmp_gt_f64_e32 vcc, 0, v[95:96]
	v_xor_b32_e32 v92, 0x80000000, v96
	v_add_f64 v[90:91], v[90:91], v[99:100]
	v_mov_b32_e32 v99, v95
	v_cndmask_b32_e32 v100, v96, v92, vcc
	v_cmp_gt_f64_e32 vcc, 0, v[97:98]
	v_xor_b32_e32 v92, 0x80000000, v98
	v_cndmask_b32_e32 v102, v98, v92, vcc
	v_add_f64 v[99:100], v[99:100], v[101:102]
	v_cmp_lt_f64_e32 vcc, v[90:91], v[99:100]
	v_mov_b32_e32 v90, s0
	s_add_i32 s0, s0, 1
	s_cmp_lg_u32 s3, s0
	v_cndmask_b32_e32 v118, v118, v96, vcc
	v_cndmask_b32_e32 v117, v117, v95, vcc
	;; [unrolled: 1-line block ×5, first 2 shown]
	s_cbranch_scc1 .LBB114_1198
.LBB114_1199:
	s_waitcnt lgkmcnt(0)
	v_cmp_eq_f64_e32 vcc, 0, v[117:118]
	v_cmp_eq_f64_e64 s[0:1], 0, v[119:120]
	s_and_b64 s[0:1], vcc, s[0:1]
	s_and_saveexec_b64 s[18:19], s[0:1]
	s_xor_b64 s[0:1], exec, s[18:19]
; %bb.1200:
	v_cmp_ne_u32_e32 vcc, 0, v94
	v_cndmask_b32_e32 v94, 58, v94, vcc
; %bb.1201:
	s_andn2_saveexec_b64 s[0:1], s[0:1]
	s_cbranch_execz .LBB114_1207
; %bb.1202:
	v_cmp_ngt_f64_e64 s[18:19], |v[117:118]|, |v[119:120]|
	s_and_saveexec_b64 s[20:21], s[18:19]
	s_xor_b64 s[18:19], exec, s[20:21]
	s_cbranch_execz .LBB114_1204
; %bb.1203:
	v_div_scale_f64 v[90:91], s[20:21], v[119:120], v[119:120], v[117:118]
	v_rcp_f64_e32 v[95:96], v[90:91]
	v_fma_f64 v[97:98], -v[90:91], v[95:96], 1.0
	v_fma_f64 v[95:96], v[95:96], v[97:98], v[95:96]
	v_div_scale_f64 v[97:98], vcc, v[117:118], v[119:120], v[117:118]
	v_fma_f64 v[99:100], -v[90:91], v[95:96], 1.0
	v_fma_f64 v[95:96], v[95:96], v[99:100], v[95:96]
	v_mul_f64 v[99:100], v[97:98], v[95:96]
	v_fma_f64 v[90:91], -v[90:91], v[99:100], v[97:98]
	v_div_fmas_f64 v[90:91], v[90:91], v[95:96], v[99:100]
	v_div_fixup_f64 v[90:91], v[90:91], v[119:120], v[117:118]
	v_fma_f64 v[95:96], v[117:118], v[90:91], v[119:120]
	v_div_scale_f64 v[97:98], s[20:21], v[95:96], v[95:96], 1.0
	v_div_scale_f64 v[103:104], vcc, 1.0, v[95:96], 1.0
	v_rcp_f64_e32 v[99:100], v[97:98]
	v_fma_f64 v[101:102], -v[97:98], v[99:100], 1.0
	v_fma_f64 v[99:100], v[99:100], v[101:102], v[99:100]
	v_fma_f64 v[101:102], -v[97:98], v[99:100], 1.0
	v_fma_f64 v[99:100], v[99:100], v[101:102], v[99:100]
	v_mul_f64 v[101:102], v[103:104], v[99:100]
	v_fma_f64 v[97:98], -v[97:98], v[101:102], v[103:104]
	v_div_fmas_f64 v[97:98], v[97:98], v[99:100], v[101:102]
	v_div_fixup_f64 v[119:120], v[97:98], v[95:96], 1.0
	v_mul_f64 v[117:118], v[90:91], v[119:120]
	v_xor_b32_e32 v120, 0x80000000, v120
.LBB114_1204:
	s_andn2_saveexec_b64 s[18:19], s[18:19]
	s_cbranch_execz .LBB114_1206
; %bb.1205:
	v_div_scale_f64 v[90:91], s[20:21], v[117:118], v[117:118], v[119:120]
	v_rcp_f64_e32 v[95:96], v[90:91]
	v_fma_f64 v[97:98], -v[90:91], v[95:96], 1.0
	v_fma_f64 v[95:96], v[95:96], v[97:98], v[95:96]
	v_div_scale_f64 v[97:98], vcc, v[119:120], v[117:118], v[119:120]
	v_fma_f64 v[99:100], -v[90:91], v[95:96], 1.0
	v_fma_f64 v[95:96], v[95:96], v[99:100], v[95:96]
	v_mul_f64 v[99:100], v[97:98], v[95:96]
	v_fma_f64 v[90:91], -v[90:91], v[99:100], v[97:98]
	v_div_fmas_f64 v[90:91], v[90:91], v[95:96], v[99:100]
	v_div_fixup_f64 v[90:91], v[90:91], v[117:118], v[119:120]
	v_fma_f64 v[95:96], v[119:120], v[90:91], v[117:118]
	v_div_scale_f64 v[97:98], s[20:21], v[95:96], v[95:96], 1.0
	v_div_scale_f64 v[103:104], vcc, 1.0, v[95:96], 1.0
	v_rcp_f64_e32 v[99:100], v[97:98]
	v_fma_f64 v[101:102], -v[97:98], v[99:100], 1.0
	v_fma_f64 v[99:100], v[99:100], v[101:102], v[99:100]
	v_fma_f64 v[101:102], -v[97:98], v[99:100], 1.0
	v_fma_f64 v[99:100], v[99:100], v[101:102], v[99:100]
	v_mul_f64 v[101:102], v[103:104], v[99:100]
	v_fma_f64 v[97:98], -v[97:98], v[101:102], v[103:104]
	v_div_fmas_f64 v[97:98], v[97:98], v[99:100], v[101:102]
	v_div_fixup_f64 v[117:118], v[97:98], v[95:96], 1.0
	v_mul_f64 v[119:120], v[90:91], -v[117:118]
.LBB114_1206:
	s_or_b64 exec, exec, s[18:19]
.LBB114_1207:
	s_or_b64 exec, exec, s[0:1]
	v_cmp_ne_u32_e32 vcc, v93, v89
	v_mov_b32_e32 v90, 57
	s_and_saveexec_b64 s[0:1], vcc
	s_cbranch_execz .LBB114_1213
; %bb.1208:
	v_cmp_eq_u32_e32 vcc, 57, v93
	s_and_saveexec_b64 s[18:19], vcc
	s_cbranch_execz .LBB114_1212
; %bb.1209:
	v_cmp_ne_u32_e32 vcc, 57, v89
	s_xor_b64 s[6:7], s[6:7], -1
	s_and_b64 s[20:21], s[6:7], vcc
	s_and_saveexec_b64 s[6:7], s[20:21]
	s_cbranch_execz .LBB114_1211
; %bb.1210:
	buffer_load_dword v81, off, s[24:27], 0 offset:480 ; 4-byte Folded Reload
	buffer_load_dword v82, off, s[24:27], 0 offset:484 ; 4-byte Folded Reload
	v_ashrrev_i32_e32 v90, 31, v89
	v_lshlrev_b64 v[90:91], 2, v[89:90]
	s_waitcnt vmcnt(1)
	v_add_co_u32_e32 v90, vcc, v81, v90
	s_waitcnt vmcnt(0)
	v_addc_co_u32_e32 v91, vcc, v82, v91, vcc
	global_load_dword v0, v[90:91], off
	global_load_dword v92, v[81:82], off offset:228
	s_waitcnt vmcnt(1)
	global_store_dword v[81:82], v0, off offset:228
	v_mov_b32_e32 v81, v105
	v_mov_b32_e32 v82, v106
	;; [unrolled: 1-line block ×4, first 2 shown]
	s_waitcnt vmcnt(1)
	global_store_dword v[90:91], v92, off
.LBB114_1211:
	s_or_b64 exec, exec, s[6:7]
	v_mov_b32_e32 v93, v89
	v_mov_b32_e32 v127, v89
.LBB114_1212:
	s_or_b64 exec, exec, s[18:19]
	v_mov_b32_e32 v90, v93
.LBB114_1213:
	s_or_b64 exec, exec, s[0:1]
	v_cmp_gt_i32_e32 vcc, 58, v90
	v_ashrrev_i32_e32 v91, 31, v90
	s_waitcnt vmcnt(0)
	s_barrier
	s_barrier
	s_and_saveexec_b64 s[0:1], vcc
	s_cbranch_execz .LBB114_1215
; %bb.1214:
	buffer_load_dword v77, off, s[24:27], 0 offset:560 ; 4-byte Folded Reload
	buffer_load_dword v78, off, s[24:27], 0 offset:564 ; 4-byte Folded Reload
	s_waitcnt vmcnt(1)
	v_mul_lo_u32 v0, s15, v77
	s_waitcnt vmcnt(0)
	v_mul_lo_u32 v89, s14, v78
	v_mad_u64_u32 v[92:93], s[6:7], s14, v77, 0
	s_lshl_b64 s[6:7], s[12:13], 2
	v_add3_u32 v93, v93, v89, v0
	v_lshlrev_b64 v[92:93], 2, v[92:93]
	v_mov_b32_e32 v0, s11
	v_add_co_u32_e32 v89, vcc, s10, v92
	v_addc_co_u32_e32 v0, vcc, v0, v93, vcc
	v_mov_b32_e32 v92, s7
	v_add_co_u32_e32 v89, vcc, s6, v89
	v_addc_co_u32_e32 v0, vcc, v0, v92, vcc
	v_lshlrev_b64 v[92:93], 2, v[90:91]
	v_add_co_u32_e32 v92, vcc, v89, v92
	v_addc_co_u32_e32 v93, vcc, v0, v93, vcc
	v_add3_u32 v0, v127, s17, 1
	global_store_dword v[92:93], v0, off
.LBB114_1215:
	s_or_b64 exec, exec, s[0:1]
	v_cmp_eq_u32_e32 vcc, 0, v90
	s_and_saveexec_b64 s[6:7], vcc
	s_cbranch_execz .LBB114_1218
; %bb.1216:
	buffer_load_dword v77, off, s[24:27], 0 offset:560 ; 4-byte Folded Reload
	buffer_load_dword v78, off, s[24:27], 0 offset:564 ; 4-byte Folded Reload
	v_mov_b32_e32 v0, s5
	v_cmp_ne_u32_e64 s[0:1], 0, v94
	s_waitcnt vmcnt(0)
	v_lshlrev_b64 v[92:93], 2, v[77:78]
	v_add_co_u32_e32 v92, vcc, s4, v92
	v_addc_co_u32_e32 v93, vcc, v0, v93, vcc
	global_load_dword v0, v[92:93], off
	s_waitcnt vmcnt(0)
	v_cmp_eq_u32_e32 vcc, 0, v0
	s_and_b64 s[0:1], vcc, s[0:1]
	s_and_b64 exec, exec, s[0:1]
	s_cbranch_execz .LBB114_1218
; %bb.1217:
	v_add_u32_e32 v0, s17, v94
	global_store_dword v[92:93], v0, off
.LBB114_1218:
	s_or_b64 exec, exec, s[6:7]
	v_mul_f64 v[92:93], v[117:118], v[123:124]
	v_mul_f64 v[94:95], v[119:120], v[123:124]
	v_cmp_lt_i32_e32 vcc, 57, v90
	v_mov_b32_e32 v0, s9
	v_add_u32_e32 v89, s16, v90
	v_fma_f64 v[92:93], v[119:120], v[121:122], v[92:93]
	v_fma_f64 v[94:95], v[117:118], v[121:122], -v[94:95]
	v_cndmask_b32_e32 v120, v124, v93, vcc
	buffer_load_dword v93, off, s[24:27], 0 offset:552 ; 4-byte Folded Reload
	v_cndmask_b32_e32 v117, v121, v94, vcc
	buffer_load_dword v94, off, s[24:27], 0 offset:556 ; 4-byte Folded Reload
	buffer_load_dword v77, off, s[24:27], 0 offset:536 ; 4-byte Folded Reload
	;; [unrolled: 1-line block ×5, first 2 shown]
	v_cndmask_b32_e32 v119, v123, v92, vcc
	v_lshlrev_b64 v[91:92], 4, v[90:91]
	v_cndmask_b32_e32 v118, v122, v95, vcc
	v_ashrrev_i32_e32 v90, 31, v89
	s_waitcnt vmcnt(5)
	v_add_co_u32_e32 v91, vcc, v93, v91
	s_waitcnt vmcnt(4)
	v_addc_co_u32_e32 v92, vcc, v94, v92, vcc
	s_waitcnt vmcnt(0)
	global_store_dwordx4 v[91:92], v[77:80], off
	buffer_load_dword v77, off, s[24:27], 0 offset:520 ; 4-byte Folded Reload
	s_nop 0
	buffer_load_dword v78, off, s[24:27], 0 offset:524 ; 4-byte Folded Reload
	buffer_load_dword v79, off, s[24:27], 0 offset:528 ; 4-byte Folded Reload
	;; [unrolled: 1-line block ×3, first 2 shown]
	v_add_co_u32_e32 v91, vcc, s8, v91
	v_addc_co_u32_e32 v92, vcc, v92, v0, vcc
	s_waitcnt vmcnt(0)
	global_store_dwordx4 v[91:92], v[77:80], off
	buffer_load_dword v77, off, s[24:27], 0 offset:504 ; 4-byte Folded Reload
	s_nop 0
	buffer_load_dword v78, off, s[24:27], 0 offset:508 ; 4-byte Folded Reload
	buffer_load_dword v79, off, s[24:27], 0 offset:512 ; 4-byte Folded Reload
	;; [unrolled: 1-line block ×3, first 2 shown]
	v_lshlrev_b64 v[90:91], 4, v[89:90]
	v_add_u32_e32 v89, s2, v89
	v_add_co_u32_e32 v90, vcc, v93, v90
	v_addc_co_u32_e32 v91, vcc, v94, v91, vcc
	s_waitcnt vmcnt(0)
	global_store_dwordx4 v[90:91], v[77:80], off
	buffer_load_dword v77, off, s[24:27], 0 offset:488 ; 4-byte Folded Reload
	s_nop 0
	buffer_load_dword v78, off, s[24:27], 0 offset:492 ; 4-byte Folded Reload
	buffer_load_dword v79, off, s[24:27], 0 offset:496 ; 4-byte Folded Reload
	buffer_load_dword v80, off, s[24:27], 0 offset:500 ; 4-byte Folded Reload
	v_ashrrev_i32_e32 v90, 31, v89
	v_lshlrev_b64 v[90:91], 4, v[89:90]
	v_add_u32_e32 v89, s2, v89
	v_add_co_u32_e32 v90, vcc, v93, v90
	v_addc_co_u32_e32 v91, vcc, v94, v91, vcc
	s_waitcnt vmcnt(0)
	global_store_dwordx4 v[90:91], v[77:80], off
	buffer_load_dword v77, off, s[24:27], 0 offset:464 ; 4-byte Folded Reload
	s_nop 0
	buffer_load_dword v78, off, s[24:27], 0 offset:468 ; 4-byte Folded Reload
	buffer_load_dword v79, off, s[24:27], 0 offset:472 ; 4-byte Folded Reload
	buffer_load_dword v80, off, s[24:27], 0 offset:476 ; 4-byte Folded Reload
	v_ashrrev_i32_e32 v90, 31, v89
	;; [unrolled: 12-line block ×30, first 2 shown]
	v_lshlrev_b64 v[90:91], 4, v[89:90]
	v_add_u32_e32 v89, s2, v89
	v_add_co_u32_e32 v90, vcc, v93, v90
	v_addc_co_u32_e32 v91, vcc, v94, v91, vcc
	s_waitcnt vmcnt(0)
	global_store_dwordx4 v[90:91], v[77:80], off
	v_ashrrev_i32_e32 v90, 31, v89
	v_lshlrev_b64 v[90:91], 4, v[89:90]
	v_add_u32_e32 v89, s2, v89
	v_add_co_u32_e32 v90, vcc, v93, v90
	v_addc_co_u32_e32 v91, vcc, v94, v91, vcc
	global_store_dwordx4 v[90:91], v[81:84], off
	v_ashrrev_i32_e32 v90, 31, v89
	v_lshlrev_b64 v[90:91], 4, v[89:90]
	v_add_u32_e32 v89, s2, v89
	v_add_co_u32_e32 v90, vcc, v93, v90
	v_addc_co_u32_e32 v91, vcc, v94, v91, vcc
	global_store_dwordx4 v[90:91], v[85:88], off
	v_ashrrev_i32_e32 v90, 31, v89
	v_lshlrev_b64 v[90:91], 4, v[89:90]
	v_add_u32_e32 v85, s2, v89
	v_ashrrev_i32_e32 v86, 31, v85
	v_add_co_u32_e32 v90, vcc, v93, v90
	v_lshlrev_b64 v[86:87], 4, v[85:86]
	v_addc_co_u32_e32 v91, vcc, v94, v91, vcc
	v_add_co_u32_e32 v86, vcc, v93, v86
	v_addc_co_u32_e32 v87, vcc, v94, v87, vcc
	global_store_dwordx4 v[90:91], v[109:112], off
	global_store_dwordx4 v[86:87], v[113:116], off
	buffer_load_dword v77, off, s[24:27], 0 ; 4-byte Folded Reload
	buffer_load_dword v78, off, s[24:27], 0 offset:4 ; 4-byte Folded Reload
	buffer_load_dword v79, off, s[24:27], 0 offset:8 ; 4-byte Folded Reload
	;; [unrolled: 1-line block ×3, first 2 shown]
	v_add_u32_e32 v81, s2, v85
	v_ashrrev_i32_e32 v82, 31, v81
	v_lshlrev_b64 v[82:83], 4, v[81:82]
	v_add_co_u32_e32 v82, vcc, v93, v82
	v_addc_co_u32_e32 v83, vcc, v94, v83, vcc
	s_waitcnt vmcnt(0)
	global_store_dwordx4 v[82:83], v[77:80], off
	s_nop 0
	v_add_u32_e32 v77, s2, v81
	v_ashrrev_i32_e32 v78, 31, v77
	v_lshlrev_b64 v[78:79], 4, v[77:78]
	v_add_co_u32_e32 v78, vcc, v93, v78
	v_addc_co_u32_e32 v79, vcc, v94, v79, vcc
	global_store_dwordx4 v[78:79], v[73:76], off
	s_nop 0
	v_add_u32_e32 v73, s2, v77
	v_ashrrev_i32_e32 v74, 31, v73
	v_lshlrev_b64 v[74:75], 4, v[73:74]
	v_add_co_u32_e32 v74, vcc, v93, v74
	v_addc_co_u32_e32 v75, vcc, v94, v75, vcc
	;; [unrolled: 7-line block ×18, first 2 shown]
	global_store_dwordx4 v[10:11], v[5:8], off
	s_nop 0
	v_add_u32_e32 v5, s2, v9
	v_ashrrev_i32_e32 v6, 31, v5
	v_lshlrev_b64 v[6:7], 4, v[5:6]
	v_add_u32_e32 v0, s2, v5
	v_add_co_u32_e32 v6, vcc, v93, v6
	v_addc_co_u32_e32 v7, vcc, v94, v7, vcc
	global_store_dwordx4 v[6:7], v[1:4], off
	s_nop 0
	v_ashrrev_i32_e32 v1, 31, v0
	v_lshlrev_b64 v[0:1], 4, v[0:1]
	v_add_co_u32_e32 v0, vcc, v93, v0
	v_addc_co_u32_e32 v1, vcc, v94, v1, vcc
	global_store_dwordx4 v[0:1], v[117:120], off
.LBB114_1219:
	s_endpgm
	.section	.rodata,"a",@progbits
	.p2align	6, 0x0
	.amdhsa_kernel _ZN9rocsolver6v33100L18getf2_small_kernelILi58E19rocblas_complex_numIdEiiPS3_EEvT1_T3_lS5_lPS5_llPT2_S5_S5_S7_l
		.amdhsa_group_segment_fixed_size 0
		.amdhsa_private_segment_fixed_size 576
		.amdhsa_kernarg_size 352
		.amdhsa_user_sgpr_count 6
		.amdhsa_user_sgpr_private_segment_buffer 1
		.amdhsa_user_sgpr_dispatch_ptr 0
		.amdhsa_user_sgpr_queue_ptr 0
		.amdhsa_user_sgpr_kernarg_segment_ptr 1
		.amdhsa_user_sgpr_dispatch_id 0
		.amdhsa_user_sgpr_flat_scratch_init 0
		.amdhsa_user_sgpr_private_segment_size 0
		.amdhsa_uses_dynamic_stack 0
		.amdhsa_system_sgpr_private_segment_wavefront_offset 1
		.amdhsa_system_sgpr_workgroup_id_x 1
		.amdhsa_system_sgpr_workgroup_id_y 1
		.amdhsa_system_sgpr_workgroup_id_z 0
		.amdhsa_system_sgpr_workgroup_info 0
		.amdhsa_system_vgpr_workitem_id 1
		.amdhsa_next_free_vgpr 128
		.amdhsa_next_free_sgpr 30
		.amdhsa_reserve_vcc 1
		.amdhsa_reserve_flat_scratch 0
		.amdhsa_float_round_mode_32 0
		.amdhsa_float_round_mode_16_64 0
		.amdhsa_float_denorm_mode_32 3
		.amdhsa_float_denorm_mode_16_64 3
		.amdhsa_dx10_clamp 1
		.amdhsa_ieee_mode 1
		.amdhsa_fp16_overflow 0
		.amdhsa_exception_fp_ieee_invalid_op 0
		.amdhsa_exception_fp_denorm_src 0
		.amdhsa_exception_fp_ieee_div_zero 0
		.amdhsa_exception_fp_ieee_overflow 0
		.amdhsa_exception_fp_ieee_underflow 0
		.amdhsa_exception_fp_ieee_inexact 0
		.amdhsa_exception_int_div_zero 0
	.end_amdhsa_kernel
	.section	.text._ZN9rocsolver6v33100L18getf2_small_kernelILi58E19rocblas_complex_numIdEiiPS3_EEvT1_T3_lS5_lPS5_llPT2_S5_S5_S7_l,"axG",@progbits,_ZN9rocsolver6v33100L18getf2_small_kernelILi58E19rocblas_complex_numIdEiiPS3_EEvT1_T3_lS5_lPS5_llPT2_S5_S5_S7_l,comdat
.Lfunc_end114:
	.size	_ZN9rocsolver6v33100L18getf2_small_kernelILi58E19rocblas_complex_numIdEiiPS3_EEvT1_T3_lS5_lPS5_llPT2_S5_S5_S7_l, .Lfunc_end114-_ZN9rocsolver6v33100L18getf2_small_kernelILi58E19rocblas_complex_numIdEiiPS3_EEvT1_T3_lS5_lPS5_llPT2_S5_S5_S7_l
                                        ; -- End function
	.set _ZN9rocsolver6v33100L18getf2_small_kernelILi58E19rocblas_complex_numIdEiiPS3_EEvT1_T3_lS5_lPS5_llPT2_S5_S5_S7_l.num_vgpr, 128
	.set _ZN9rocsolver6v33100L18getf2_small_kernelILi58E19rocblas_complex_numIdEiiPS3_EEvT1_T3_lS5_lPS5_llPT2_S5_S5_S7_l.num_agpr, 0
	.set _ZN9rocsolver6v33100L18getf2_small_kernelILi58E19rocblas_complex_numIdEiiPS3_EEvT1_T3_lS5_lPS5_llPT2_S5_S5_S7_l.numbered_sgpr, 30
	.set _ZN9rocsolver6v33100L18getf2_small_kernelILi58E19rocblas_complex_numIdEiiPS3_EEvT1_T3_lS5_lPS5_llPT2_S5_S5_S7_l.num_named_barrier, 0
	.set _ZN9rocsolver6v33100L18getf2_small_kernelILi58E19rocblas_complex_numIdEiiPS3_EEvT1_T3_lS5_lPS5_llPT2_S5_S5_S7_l.private_seg_size, 576
	.set _ZN9rocsolver6v33100L18getf2_small_kernelILi58E19rocblas_complex_numIdEiiPS3_EEvT1_T3_lS5_lPS5_llPT2_S5_S5_S7_l.uses_vcc, 1
	.set _ZN9rocsolver6v33100L18getf2_small_kernelILi58E19rocblas_complex_numIdEiiPS3_EEvT1_T3_lS5_lPS5_llPT2_S5_S5_S7_l.uses_flat_scratch, 0
	.set _ZN9rocsolver6v33100L18getf2_small_kernelILi58E19rocblas_complex_numIdEiiPS3_EEvT1_T3_lS5_lPS5_llPT2_S5_S5_S7_l.has_dyn_sized_stack, 0
	.set _ZN9rocsolver6v33100L18getf2_small_kernelILi58E19rocblas_complex_numIdEiiPS3_EEvT1_T3_lS5_lPS5_llPT2_S5_S5_S7_l.has_recursion, 0
	.set _ZN9rocsolver6v33100L18getf2_small_kernelILi58E19rocblas_complex_numIdEiiPS3_EEvT1_T3_lS5_lPS5_llPT2_S5_S5_S7_l.has_indirect_call, 0
	.section	.AMDGPU.csdata,"",@progbits
; Kernel info:
; codeLenInByte = 240604
; TotalNumSgprs: 34
; NumVgprs: 128
; ScratchSize: 576
; MemoryBound: 0
; FloatMode: 240
; IeeeMode: 1
; LDSByteSize: 0 bytes/workgroup (compile time only)
; SGPRBlocks: 4
; VGPRBlocks: 31
; NumSGPRsForWavesPerEU: 34
; NumVGPRsForWavesPerEU: 128
; Occupancy: 2
; WaveLimiterHint : 0
; COMPUTE_PGM_RSRC2:SCRATCH_EN: 1
; COMPUTE_PGM_RSRC2:USER_SGPR: 6
; COMPUTE_PGM_RSRC2:TRAP_HANDLER: 0
; COMPUTE_PGM_RSRC2:TGID_X_EN: 1
; COMPUTE_PGM_RSRC2:TGID_Y_EN: 1
; COMPUTE_PGM_RSRC2:TGID_Z_EN: 0
; COMPUTE_PGM_RSRC2:TIDIG_COMP_CNT: 1
	.section	.text._ZN9rocsolver6v33100L23getf2_npvt_small_kernelILi58E19rocblas_complex_numIdEiiPS3_EEvT1_T3_lS5_lPT2_S5_S5_,"axG",@progbits,_ZN9rocsolver6v33100L23getf2_npvt_small_kernelILi58E19rocblas_complex_numIdEiiPS3_EEvT1_T3_lS5_lPT2_S5_S5_,comdat
	.globl	_ZN9rocsolver6v33100L23getf2_npvt_small_kernelILi58E19rocblas_complex_numIdEiiPS3_EEvT1_T3_lS5_lPT2_S5_S5_ ; -- Begin function _ZN9rocsolver6v33100L23getf2_npvt_small_kernelILi58E19rocblas_complex_numIdEiiPS3_EEvT1_T3_lS5_lPT2_S5_S5_
	.p2align	8
	.type	_ZN9rocsolver6v33100L23getf2_npvt_small_kernelILi58E19rocblas_complex_numIdEiiPS3_EEvT1_T3_lS5_lPT2_S5_S5_,@function
_ZN9rocsolver6v33100L23getf2_npvt_small_kernelILi58E19rocblas_complex_numIdEiiPS3_EEvT1_T3_lS5_lPT2_S5_S5_: ; @_ZN9rocsolver6v33100L23getf2_npvt_small_kernelILi58E19rocblas_complex_numIdEiiPS3_EEvT1_T3_lS5_lPT2_S5_S5_
; %bb.0:
	s_mov_b64 s[22:23], s[2:3]
	s_mov_b64 s[20:21], s[0:1]
	s_load_dword s0, s[4:5], 0x44
	s_load_dwordx2 s[12:13], s[4:5], 0x30
	s_add_u32 s20, s20, s8
	s_addc_u32 s21, s21, 0
	s_waitcnt lgkmcnt(0)
	s_lshr_b32 s2, s0, 16
	s_mul_i32 s7, s7, s2
	v_add_u32_e32 v2, s7, v1
	v_cmp_gt_i32_e32 vcc, s12, v2
	s_and_saveexec_b64 s[0:1], vcc
	s_cbranch_execnz .LBB115_1
; %bb.526:
	s_getpc_b64 s[14:15]
.Lpost_getpc29:
	s_add_u32 s14, s14, (.LBB115_525-.Lpost_getpc29)&4294967295
	s_addc_u32 s15, s15, (.LBB115_525-.Lpost_getpc29)>>32
	s_setpc_b64 s[14:15]
.LBB115_1:
	s_load_dwordx4 s[8:11], s[4:5], 0x20
	s_load_dwordx4 s[16:19], s[4:5], 0x8
	v_ashrrev_i32_e32 v3, 31, v2
	s_mulk_i32 s2, 0x3a0
	s_waitcnt lgkmcnt(0)
	v_mul_lo_u32 v4, s9, v2
	v_mul_lo_u32 v5, s8, v3
	buffer_store_dword v2, off, s[20:23], 0 offset:1952 ; 4-byte Folded Spill
	s_nop 0
	buffer_store_dword v3, off, s[20:23], 0 offset:1956 ; 4-byte Folded Spill
	v_mov_b32_e32 v6, s17
	v_mad_u64_u32 v[2:3], s[0:1], s8, v2, 0
	s_load_dword s0, s[4:5], 0x18
	s_lshl_b64 s[4:5], s[18:19], 4
	v_add3_u32 v3, v3, v5, v4
	v_lshlrev_b64 v[2:3], 4, v[2:3]
	v_mov_b32_e32 v4, s5
	v_add_co_u32_e32 v2, vcc, s16, v2
	v_addc_co_u32_e32 v3, vcc, v6, v3, vcc
	v_add_co_u32_e32 v2, vcc, s4, v2
	s_waitcnt lgkmcnt(0)
	s_add_i32 s1, s0, s0
	v_addc_co_u32_e32 v3, vcc, v3, v4, vcc
	v_add_u32_e32 v4, s1, v0
	v_ashrrev_i32_e32 v5, 31, v4
	v_lshlrev_b64 v[5:6], 4, v[4:5]
	v_add_u32_e32 v4, s0, v4
	v_add_co_u32_e32 v73, vcc, v2, v5
	v_ashrrev_i32_e32 v5, 31, v4
	v_addc_co_u32_e32 v74, vcc, v3, v6, vcc
	v_lshlrev_b64 v[5:6], 4, v[4:5]
	v_add_u32_e32 v4, s0, v4
	v_add_co_u32_e32 v75, vcc, v2, v5
	v_ashrrev_i32_e32 v5, 31, v4
	v_addc_co_u32_e32 v76, vcc, v3, v6, vcc
	;; [unrolled: 5-line block ×54, first 2 shown]
	v_lshlrev_b64 v[5:6], 4, v[4:5]
	v_add_u32_e32 v4, s0, v4
	v_add_co_u32_e32 v91, vcc, v2, v5
	v_ashrrev_i32_e32 v5, 31, v4
	v_lshlrev_b64 v[4:5], 4, v[4:5]
	v_addc_co_u32_e32 v92, vcc, v3, v6, vcc
	v_add_co_u32_e32 v119, vcc, v2, v4
	v_addc_co_u32_e32 v120, vcc, v3, v5, vcc
	v_lshlrev_b32_e32 v4, 4, v0
	v_add_co_u32_e32 v4, vcc, v2, v4
	s_ashr_i32 s1, s0, 31
	v_addc_co_u32_e32 v5, vcc, 0, v3, vcc
	s_lshl_b64 s[0:1], s[0:1], 4
	v_mov_b32_e32 v2, s1
	v_add_co_u32_e32 v79, vcc, s0, v4
	v_addc_co_u32_e32 v80, vcc, v5, v2, vcc
	buffer_store_dword v4, off, s[20:23], 0 offset:1168 ; 4-byte Folded Spill
	s_nop 0
	buffer_store_dword v5, off, s[20:23], 0 offset:1172 ; 4-byte Folded Spill
	s_movk_i32 s0, 0x3a0
	s_add_i32 s1, s2, 0
	v_mad_u32_u24 v125, v1, s0, 0
	v_lshl_add_u32 v127, v1, 4, s1
	v_cmp_ne_u32_e64 s[2:3], 0, v0
	v_cmp_eq_u32_e64 s[0:1], 0, v0
	global_load_dwordx4 v[1:4], v[4:5], off
	s_waitcnt vmcnt(0)
	buffer_store_dword v1, off, s[20:23], 0 offset:720 ; 4-byte Folded Spill
	s_nop 0
	buffer_store_dword v2, off, s[20:23], 0 offset:724 ; 4-byte Folded Spill
	buffer_store_dword v3, off, s[20:23], 0 offset:728 ; 4-byte Folded Spill
	buffer_store_dword v4, off, s[20:23], 0 offset:732 ; 4-byte Folded Spill
	buffer_store_dword v79, off, s[20:23], 0 offset:1176 ; 4-byte Folded Spill
	s_nop 0
	buffer_store_dword v80, off, s[20:23], 0 offset:1180 ; 4-byte Folded Spill
	global_load_dwordx4 v[1:4], v[79:80], off
	s_waitcnt vmcnt(0)
	buffer_store_dword v1, off, s[20:23], 0 offset:704 ; 4-byte Folded Spill
	s_nop 0
	buffer_store_dword v2, off, s[20:23], 0 offset:708 ; 4-byte Folded Spill
	buffer_store_dword v3, off, s[20:23], 0 offset:712 ; 4-byte Folded Spill
	buffer_store_dword v4, off, s[20:23], 0 offset:716 ; 4-byte Folded Spill
	buffer_store_dword v73, off, s[20:23], 0 offset:1128 ; 4-byte Folded Spill
	s_nop 0
	buffer_store_dword v74, off, s[20:23], 0 offset:1132 ; 4-byte Folded Spill
	global_load_dwordx4 v[1:4], v[73:74], off
	s_waitcnt vmcnt(0)
	buffer_store_dword v1, off, s[20:23], 0 offset:688 ; 4-byte Folded Spill
	s_nop 0
	buffer_store_dword v2, off, s[20:23], 0 offset:692 ; 4-byte Folded Spill
	buffer_store_dword v3, off, s[20:23], 0 offset:696 ; 4-byte Folded Spill
	buffer_store_dword v4, off, s[20:23], 0 offset:700 ; 4-byte Folded Spill
	buffer_store_dword v75, off, s[20:23], 0 offset:1136 ; 4-byte Folded Spill
	s_nop 0
	buffer_store_dword v76, off, s[20:23], 0 offset:1140 ; 4-byte Folded Spill
	global_load_dwordx4 v[1:4], v[75:76], off
	s_waitcnt vmcnt(0)
	buffer_store_dword v1, off, s[20:23], 0 offset:672 ; 4-byte Folded Spill
	s_nop 0
	buffer_store_dword v2, off, s[20:23], 0 offset:676 ; 4-byte Folded Spill
	buffer_store_dword v3, off, s[20:23], 0 offset:680 ; 4-byte Folded Spill
	buffer_store_dword v4, off, s[20:23], 0 offset:684 ; 4-byte Folded Spill
	buffer_store_dword v77, off, s[20:23], 0 offset:1144 ; 4-byte Folded Spill
	s_nop 0
	buffer_store_dword v78, off, s[20:23], 0 offset:1148 ; 4-byte Folded Spill
	global_load_dwordx4 v[1:4], v[77:78], off
	s_waitcnt vmcnt(0)
	buffer_store_dword v1, off, s[20:23], 0 offset:656 ; 4-byte Folded Spill
	s_nop 0
	buffer_store_dword v2, off, s[20:23], 0 offset:660 ; 4-byte Folded Spill
	buffer_store_dword v3, off, s[20:23], 0 offset:664 ; 4-byte Folded Spill
	buffer_store_dword v4, off, s[20:23], 0 offset:668 ; 4-byte Folded Spill
	buffer_store_dword v81, off, s[20:23], 0 offset:1216 ; 4-byte Folded Spill
	s_nop 0
	buffer_store_dword v82, off, s[20:23], 0 offset:1220 ; 4-byte Folded Spill
	global_load_dwordx4 v[1:4], v[81:82], off
	s_waitcnt vmcnt(0)
	buffer_store_dword v1, off, s[20:23], 0 offset:640 ; 4-byte Folded Spill
	s_nop 0
	buffer_store_dword v2, off, s[20:23], 0 offset:644 ; 4-byte Folded Spill
	buffer_store_dword v3, off, s[20:23], 0 offset:648 ; 4-byte Folded Spill
	buffer_store_dword v4, off, s[20:23], 0 offset:652 ; 4-byte Folded Spill
	buffer_store_dword v7, off, s[20:23], 0 offset:736 ; 4-byte Folded Spill
	s_nop 0
	buffer_store_dword v8, off, s[20:23], 0 offset:740 ; 4-byte Folded Spill
	global_load_dwordx4 v[1:4], v[7:8], off
	s_waitcnt vmcnt(0)
	buffer_store_dword v1, off, s[20:23], 0 offset:624 ; 4-byte Folded Spill
	s_nop 0
	buffer_store_dword v2, off, s[20:23], 0 offset:628 ; 4-byte Folded Spill
	buffer_store_dword v3, off, s[20:23], 0 offset:632 ; 4-byte Folded Spill
	buffer_store_dword v4, off, s[20:23], 0 offset:636 ; 4-byte Folded Spill
	buffer_store_dword v83, off, s[20:23], 0 offset:1784 ; 4-byte Folded Spill
	s_nop 0
	buffer_store_dword v84, off, s[20:23], 0 offset:1788 ; 4-byte Folded Spill
	global_load_dwordx4 v[1:4], v[83:84], off
	s_waitcnt vmcnt(0)
	buffer_store_dword v1, off, s[20:23], 0 offset:608 ; 4-byte Folded Spill
	s_nop 0
	buffer_store_dword v2, off, s[20:23], 0 offset:612 ; 4-byte Folded Spill
	buffer_store_dword v3, off, s[20:23], 0 offset:616 ; 4-byte Folded Spill
	buffer_store_dword v4, off, s[20:23], 0 offset:620 ; 4-byte Folded Spill
	buffer_store_dword v9, off, s[20:23], 0 offset:744 ; 4-byte Folded Spill
	s_nop 0
	buffer_store_dword v10, off, s[20:23], 0 offset:748 ; 4-byte Folded Spill
	global_load_dwordx4 v[1:4], v[9:10], off
	s_waitcnt vmcnt(0)
	buffer_store_dword v1, off, s[20:23], 0 offset:592 ; 4-byte Folded Spill
	s_nop 0
	buffer_store_dword v2, off, s[20:23], 0 offset:596 ; 4-byte Folded Spill
	buffer_store_dword v3, off, s[20:23], 0 offset:600 ; 4-byte Folded Spill
	buffer_store_dword v4, off, s[20:23], 0 offset:604 ; 4-byte Folded Spill
	buffer_store_dword v11, off, s[20:23], 0 offset:752 ; 4-byte Folded Spill
	s_nop 0
	buffer_store_dword v12, off, s[20:23], 0 offset:756 ; 4-byte Folded Spill
	global_load_dwordx4 v[1:4], v[11:12], off
	s_waitcnt vmcnt(0)
	buffer_store_dword v1, off, s[20:23], 0 offset:576 ; 4-byte Folded Spill
	s_nop 0
	buffer_store_dword v2, off, s[20:23], 0 offset:580 ; 4-byte Folded Spill
	buffer_store_dword v3, off, s[20:23], 0 offset:584 ; 4-byte Folded Spill
	buffer_store_dword v4, off, s[20:23], 0 offset:588 ; 4-byte Folded Spill
	buffer_store_dword v13, off, s[20:23], 0 offset:760 ; 4-byte Folded Spill
	s_nop 0
	buffer_store_dword v14, off, s[20:23], 0 offset:764 ; 4-byte Folded Spill
	global_load_dwordx4 v[1:4], v[13:14], off
	s_waitcnt vmcnt(0)
	buffer_store_dword v1, off, s[20:23], 0 offset:560 ; 4-byte Folded Spill
	s_nop 0
	buffer_store_dword v2, off, s[20:23], 0 offset:564 ; 4-byte Folded Spill
	buffer_store_dword v3, off, s[20:23], 0 offset:568 ; 4-byte Folded Spill
	buffer_store_dword v4, off, s[20:23], 0 offset:572 ; 4-byte Folded Spill
	buffer_store_dword v15, off, s[20:23], 0 offset:768 ; 4-byte Folded Spill
	s_nop 0
	buffer_store_dword v16, off, s[20:23], 0 offset:772 ; 4-byte Folded Spill
	global_load_dwordx4 v[1:4], v[15:16], off
	s_waitcnt vmcnt(0)
	buffer_store_dword v1, off, s[20:23], 0 offset:544 ; 4-byte Folded Spill
	s_nop 0
	buffer_store_dword v2, off, s[20:23], 0 offset:548 ; 4-byte Folded Spill
	buffer_store_dword v3, off, s[20:23], 0 offset:552 ; 4-byte Folded Spill
	buffer_store_dword v4, off, s[20:23], 0 offset:556 ; 4-byte Folded Spill
	buffer_store_dword v17, off, s[20:23], 0 offset:776 ; 4-byte Folded Spill
	s_nop 0
	buffer_store_dword v18, off, s[20:23], 0 offset:780 ; 4-byte Folded Spill
	global_load_dwordx4 v[1:4], v[17:18], off
	s_waitcnt vmcnt(0)
	buffer_store_dword v1, off, s[20:23], 0 offset:528 ; 4-byte Folded Spill
	s_nop 0
	buffer_store_dword v2, off, s[20:23], 0 offset:532 ; 4-byte Folded Spill
	buffer_store_dword v3, off, s[20:23], 0 offset:536 ; 4-byte Folded Spill
	buffer_store_dword v4, off, s[20:23], 0 offset:540 ; 4-byte Folded Spill
	buffer_store_dword v19, off, s[20:23], 0 offset:784 ; 4-byte Folded Spill
	s_nop 0
	buffer_store_dword v20, off, s[20:23], 0 offset:788 ; 4-byte Folded Spill
	global_load_dwordx4 v[1:4], v[19:20], off
	s_waitcnt vmcnt(0)
	buffer_store_dword v1, off, s[20:23], 0 offset:512 ; 4-byte Folded Spill
	s_nop 0
	buffer_store_dword v2, off, s[20:23], 0 offset:516 ; 4-byte Folded Spill
	buffer_store_dword v3, off, s[20:23], 0 offset:520 ; 4-byte Folded Spill
	buffer_store_dword v4, off, s[20:23], 0 offset:524 ; 4-byte Folded Spill
	buffer_store_dword v21, off, s[20:23], 0 offset:792 ; 4-byte Folded Spill
	s_nop 0
	buffer_store_dword v22, off, s[20:23], 0 offset:796 ; 4-byte Folded Spill
	global_load_dwordx4 v[1:4], v[21:22], off
	s_waitcnt vmcnt(0)
	buffer_store_dword v1, off, s[20:23], 0 offset:496 ; 4-byte Folded Spill
	s_nop 0
	buffer_store_dword v2, off, s[20:23], 0 offset:500 ; 4-byte Folded Spill
	buffer_store_dword v3, off, s[20:23], 0 offset:504 ; 4-byte Folded Spill
	buffer_store_dword v4, off, s[20:23], 0 offset:508 ; 4-byte Folded Spill
	buffer_store_dword v23, off, s[20:23], 0 offset:800 ; 4-byte Folded Spill
	s_nop 0
	buffer_store_dword v24, off, s[20:23], 0 offset:804 ; 4-byte Folded Spill
	global_load_dwordx4 v[1:4], v[23:24], off
	s_waitcnt vmcnt(0)
	buffer_store_dword v1, off, s[20:23], 0 offset:480 ; 4-byte Folded Spill
	s_nop 0
	buffer_store_dword v2, off, s[20:23], 0 offset:484 ; 4-byte Folded Spill
	buffer_store_dword v3, off, s[20:23], 0 offset:488 ; 4-byte Folded Spill
	buffer_store_dword v4, off, s[20:23], 0 offset:492 ; 4-byte Folded Spill
	buffer_store_dword v25, off, s[20:23], 0 offset:808 ; 4-byte Folded Spill
	s_nop 0
	buffer_store_dword v26, off, s[20:23], 0 offset:812 ; 4-byte Folded Spill
	global_load_dwordx4 v[1:4], v[25:26], off
	s_waitcnt vmcnt(0)
	buffer_store_dword v1, off, s[20:23], 0 offset:464 ; 4-byte Folded Spill
	s_nop 0
	buffer_store_dword v2, off, s[20:23], 0 offset:468 ; 4-byte Folded Spill
	buffer_store_dword v3, off, s[20:23], 0 offset:472 ; 4-byte Folded Spill
	buffer_store_dword v4, off, s[20:23], 0 offset:476 ; 4-byte Folded Spill
	buffer_store_dword v27, off, s[20:23], 0 offset:816 ; 4-byte Folded Spill
	s_nop 0
	buffer_store_dword v28, off, s[20:23], 0 offset:820 ; 4-byte Folded Spill
	global_load_dwordx4 v[1:4], v[27:28], off
	s_waitcnt vmcnt(0)
	buffer_store_dword v1, off, s[20:23], 0 offset:448 ; 4-byte Folded Spill
	s_nop 0
	buffer_store_dword v2, off, s[20:23], 0 offset:452 ; 4-byte Folded Spill
	buffer_store_dword v3, off, s[20:23], 0 offset:456 ; 4-byte Folded Spill
	buffer_store_dword v4, off, s[20:23], 0 offset:460 ; 4-byte Folded Spill
	buffer_store_dword v29, off, s[20:23], 0 offset:824 ; 4-byte Folded Spill
	s_nop 0
	buffer_store_dword v30, off, s[20:23], 0 offset:828 ; 4-byte Folded Spill
	global_load_dwordx4 v[1:4], v[29:30], off
	s_waitcnt vmcnt(0)
	buffer_store_dword v1, off, s[20:23], 0 offset:432 ; 4-byte Folded Spill
	s_nop 0
	buffer_store_dword v2, off, s[20:23], 0 offset:436 ; 4-byte Folded Spill
	buffer_store_dword v3, off, s[20:23], 0 offset:440 ; 4-byte Folded Spill
	buffer_store_dword v4, off, s[20:23], 0 offset:444 ; 4-byte Folded Spill
	buffer_store_dword v31, off, s[20:23], 0 offset:832 ; 4-byte Folded Spill
	s_nop 0
	buffer_store_dword v32, off, s[20:23], 0 offset:836 ; 4-byte Folded Spill
	global_load_dwordx4 v[1:4], v[31:32], off
	s_waitcnt vmcnt(0)
	buffer_store_dword v1, off, s[20:23], 0 offset:416 ; 4-byte Folded Spill
	s_nop 0
	buffer_store_dword v2, off, s[20:23], 0 offset:420 ; 4-byte Folded Spill
	buffer_store_dword v3, off, s[20:23], 0 offset:424 ; 4-byte Folded Spill
	buffer_store_dword v4, off, s[20:23], 0 offset:428 ; 4-byte Folded Spill
	buffer_store_dword v33, off, s[20:23], 0 offset:840 ; 4-byte Folded Spill
	s_nop 0
	buffer_store_dword v34, off, s[20:23], 0 offset:844 ; 4-byte Folded Spill
	global_load_dwordx4 v[1:4], v[33:34], off
	s_waitcnt vmcnt(0)
	buffer_store_dword v1, off, s[20:23], 0 offset:400 ; 4-byte Folded Spill
	s_nop 0
	buffer_store_dword v2, off, s[20:23], 0 offset:404 ; 4-byte Folded Spill
	buffer_store_dword v3, off, s[20:23], 0 offset:408 ; 4-byte Folded Spill
	buffer_store_dword v4, off, s[20:23], 0 offset:412 ; 4-byte Folded Spill
	buffer_store_dword v35, off, s[20:23], 0 offset:848 ; 4-byte Folded Spill
	s_nop 0
	buffer_store_dword v36, off, s[20:23], 0 offset:852 ; 4-byte Folded Spill
	global_load_dwordx4 v[1:4], v[35:36], off
	s_waitcnt vmcnt(0)
	buffer_store_dword v1, off, s[20:23], 0 offset:384 ; 4-byte Folded Spill
	s_nop 0
	buffer_store_dword v2, off, s[20:23], 0 offset:388 ; 4-byte Folded Spill
	buffer_store_dword v3, off, s[20:23], 0 offset:392 ; 4-byte Folded Spill
	buffer_store_dword v4, off, s[20:23], 0 offset:396 ; 4-byte Folded Spill
	buffer_store_dword v37, off, s[20:23], 0 offset:856 ; 4-byte Folded Spill
	s_nop 0
	buffer_store_dword v38, off, s[20:23], 0 offset:860 ; 4-byte Folded Spill
	global_load_dwordx4 v[1:4], v[37:38], off
	s_waitcnt vmcnt(0)
	buffer_store_dword v1, off, s[20:23], 0 offset:368 ; 4-byte Folded Spill
	s_nop 0
	buffer_store_dword v2, off, s[20:23], 0 offset:372 ; 4-byte Folded Spill
	buffer_store_dword v3, off, s[20:23], 0 offset:376 ; 4-byte Folded Spill
	buffer_store_dword v4, off, s[20:23], 0 offset:380 ; 4-byte Folded Spill
	buffer_store_dword v39, off, s[20:23], 0 offset:864 ; 4-byte Folded Spill
	s_nop 0
	buffer_store_dword v40, off, s[20:23], 0 offset:868 ; 4-byte Folded Spill
	global_load_dwordx4 v[1:4], v[39:40], off
	s_waitcnt vmcnt(0)
	buffer_store_dword v1, off, s[20:23], 0 offset:352 ; 4-byte Folded Spill
	s_nop 0
	buffer_store_dword v2, off, s[20:23], 0 offset:356 ; 4-byte Folded Spill
	buffer_store_dword v3, off, s[20:23], 0 offset:360 ; 4-byte Folded Spill
	buffer_store_dword v4, off, s[20:23], 0 offset:364 ; 4-byte Folded Spill
	buffer_store_dword v41, off, s[20:23], 0 offset:872 ; 4-byte Folded Spill
	s_nop 0
	buffer_store_dword v42, off, s[20:23], 0 offset:876 ; 4-byte Folded Spill
	global_load_dwordx4 v[1:4], v[41:42], off
	s_waitcnt vmcnt(0)
	buffer_store_dword v1, off, s[20:23], 0 offset:336 ; 4-byte Folded Spill
	s_nop 0
	buffer_store_dword v2, off, s[20:23], 0 offset:340 ; 4-byte Folded Spill
	buffer_store_dword v3, off, s[20:23], 0 offset:344 ; 4-byte Folded Spill
	buffer_store_dword v4, off, s[20:23], 0 offset:348 ; 4-byte Folded Spill
	buffer_store_dword v43, off, s[20:23], 0 offset:880 ; 4-byte Folded Spill
	s_nop 0
	buffer_store_dword v44, off, s[20:23], 0 offset:884 ; 4-byte Folded Spill
	global_load_dwordx4 v[1:4], v[43:44], off
	s_waitcnt vmcnt(0)
	buffer_store_dword v1, off, s[20:23], 0 offset:320 ; 4-byte Folded Spill
	s_nop 0
	buffer_store_dword v2, off, s[20:23], 0 offset:324 ; 4-byte Folded Spill
	buffer_store_dword v3, off, s[20:23], 0 offset:328 ; 4-byte Folded Spill
	buffer_store_dword v4, off, s[20:23], 0 offset:332 ; 4-byte Folded Spill
	buffer_store_dword v45, off, s[20:23], 0 offset:888 ; 4-byte Folded Spill
	s_nop 0
	buffer_store_dword v46, off, s[20:23], 0 offset:892 ; 4-byte Folded Spill
	global_load_dwordx4 v[1:4], v[45:46], off
	s_waitcnt vmcnt(0)
	buffer_store_dword v1, off, s[20:23], 0 offset:304 ; 4-byte Folded Spill
	s_nop 0
	buffer_store_dword v2, off, s[20:23], 0 offset:308 ; 4-byte Folded Spill
	buffer_store_dword v3, off, s[20:23], 0 offset:312 ; 4-byte Folded Spill
	buffer_store_dword v4, off, s[20:23], 0 offset:316 ; 4-byte Folded Spill
	buffer_store_dword v47, off, s[20:23], 0 offset:896 ; 4-byte Folded Spill
	s_nop 0
	buffer_store_dword v48, off, s[20:23], 0 offset:900 ; 4-byte Folded Spill
	global_load_dwordx4 v[1:4], v[47:48], off
	s_waitcnt vmcnt(0)
	buffer_store_dword v1, off, s[20:23], 0 offset:288 ; 4-byte Folded Spill
	s_nop 0
	buffer_store_dword v2, off, s[20:23], 0 offset:292 ; 4-byte Folded Spill
	buffer_store_dword v3, off, s[20:23], 0 offset:296 ; 4-byte Folded Spill
	buffer_store_dword v4, off, s[20:23], 0 offset:300 ; 4-byte Folded Spill
	buffer_store_dword v49, off, s[20:23], 0 offset:904 ; 4-byte Folded Spill
	s_nop 0
	buffer_store_dword v50, off, s[20:23], 0 offset:908 ; 4-byte Folded Spill
	global_load_dwordx4 v[1:4], v[49:50], off
	s_waitcnt vmcnt(0)
	buffer_store_dword v1, off, s[20:23], 0 offset:272 ; 4-byte Folded Spill
	s_nop 0
	buffer_store_dword v2, off, s[20:23], 0 offset:276 ; 4-byte Folded Spill
	buffer_store_dword v3, off, s[20:23], 0 offset:280 ; 4-byte Folded Spill
	buffer_store_dword v4, off, s[20:23], 0 offset:284 ; 4-byte Folded Spill
	buffer_store_dword v51, off, s[20:23], 0 offset:912 ; 4-byte Folded Spill
	s_nop 0
	buffer_store_dword v52, off, s[20:23], 0 offset:916 ; 4-byte Folded Spill
	global_load_dwordx4 v[1:4], v[51:52], off
	s_waitcnt vmcnt(0)
	buffer_store_dword v1, off, s[20:23], 0 offset:256 ; 4-byte Folded Spill
	s_nop 0
	buffer_store_dword v2, off, s[20:23], 0 offset:260 ; 4-byte Folded Spill
	buffer_store_dword v3, off, s[20:23], 0 offset:264 ; 4-byte Folded Spill
	buffer_store_dword v4, off, s[20:23], 0 offset:268 ; 4-byte Folded Spill
	buffer_store_dword v53, off, s[20:23], 0 offset:920 ; 4-byte Folded Spill
	s_nop 0
	buffer_store_dword v54, off, s[20:23], 0 offset:924 ; 4-byte Folded Spill
	global_load_dwordx4 v[1:4], v[53:54], off
	s_waitcnt vmcnt(0)
	buffer_store_dword v1, off, s[20:23], 0 offset:240 ; 4-byte Folded Spill
	s_nop 0
	buffer_store_dword v2, off, s[20:23], 0 offset:244 ; 4-byte Folded Spill
	buffer_store_dword v3, off, s[20:23], 0 offset:248 ; 4-byte Folded Spill
	buffer_store_dword v4, off, s[20:23], 0 offset:252 ; 4-byte Folded Spill
	buffer_store_dword v55, off, s[20:23], 0 offset:928 ; 4-byte Folded Spill
	s_nop 0
	buffer_store_dword v56, off, s[20:23], 0 offset:932 ; 4-byte Folded Spill
	global_load_dwordx4 v[1:4], v[55:56], off
	s_waitcnt vmcnt(0)
	buffer_store_dword v1, off, s[20:23], 0 offset:224 ; 4-byte Folded Spill
	s_nop 0
	buffer_store_dword v2, off, s[20:23], 0 offset:228 ; 4-byte Folded Spill
	buffer_store_dword v3, off, s[20:23], 0 offset:232 ; 4-byte Folded Spill
	buffer_store_dword v4, off, s[20:23], 0 offset:236 ; 4-byte Folded Spill
	buffer_store_dword v57, off, s[20:23], 0 offset:936 ; 4-byte Folded Spill
	s_nop 0
	buffer_store_dword v58, off, s[20:23], 0 offset:940 ; 4-byte Folded Spill
	global_load_dwordx4 v[1:4], v[57:58], off
	s_waitcnt vmcnt(0)
	buffer_store_dword v1, off, s[20:23], 0 offset:208 ; 4-byte Folded Spill
	s_nop 0
	buffer_store_dword v2, off, s[20:23], 0 offset:212 ; 4-byte Folded Spill
	buffer_store_dword v3, off, s[20:23], 0 offset:216 ; 4-byte Folded Spill
	buffer_store_dword v4, off, s[20:23], 0 offset:220 ; 4-byte Folded Spill
	buffer_store_dword v59, off, s[20:23], 0 offset:944 ; 4-byte Folded Spill
	s_nop 0
	buffer_store_dword v60, off, s[20:23], 0 offset:948 ; 4-byte Folded Spill
	global_load_dwordx4 v[1:4], v[59:60], off
	s_waitcnt vmcnt(0)
	buffer_store_dword v1, off, s[20:23], 0 offset:192 ; 4-byte Folded Spill
	s_nop 0
	buffer_store_dword v2, off, s[20:23], 0 offset:196 ; 4-byte Folded Spill
	buffer_store_dword v3, off, s[20:23], 0 offset:200 ; 4-byte Folded Spill
	buffer_store_dword v4, off, s[20:23], 0 offset:204 ; 4-byte Folded Spill
	buffer_store_dword v61, off, s[20:23], 0 offset:952 ; 4-byte Folded Spill
	s_nop 0
	buffer_store_dword v62, off, s[20:23], 0 offset:956 ; 4-byte Folded Spill
	global_load_dwordx4 v[1:4], v[61:62], off
	s_waitcnt vmcnt(0)
	buffer_store_dword v1, off, s[20:23], 0 offset:176 ; 4-byte Folded Spill
	s_nop 0
	buffer_store_dword v2, off, s[20:23], 0 offset:180 ; 4-byte Folded Spill
	buffer_store_dword v3, off, s[20:23], 0 offset:184 ; 4-byte Folded Spill
	buffer_store_dword v4, off, s[20:23], 0 offset:188 ; 4-byte Folded Spill
	buffer_store_dword v63, off, s[20:23], 0 offset:960 ; 4-byte Folded Spill
	s_nop 0
	buffer_store_dword v64, off, s[20:23], 0 offset:964 ; 4-byte Folded Spill
	global_load_dwordx4 v[1:4], v[63:64], off
	s_nop 0
	buffer_store_dword v65, off, s[20:23], 0 offset:968 ; 4-byte Folded Spill
	s_nop 0
	buffer_store_dword v66, off, s[20:23], 0 offset:972 ; 4-byte Folded Spill
	global_load_dwordx4 v[5:8], v[65:66], off
	s_waitcnt vmcnt(0)
	buffer_store_dword v5, off, s[20:23], 0 offset:160 ; 4-byte Folded Spill
	s_nop 0
	buffer_store_dword v6, off, s[20:23], 0 offset:164 ; 4-byte Folded Spill
	buffer_store_dword v7, off, s[20:23], 0 offset:168 ; 4-byte Folded Spill
	buffer_store_dword v8, off, s[20:23], 0 offset:172 ; 4-byte Folded Spill
	buffer_store_dword v67, off, s[20:23], 0 offset:976 ; 4-byte Folded Spill
	s_nop 0
	buffer_store_dword v68, off, s[20:23], 0 offset:980 ; 4-byte Folded Spill
	global_load_dwordx4 v[5:8], v[67:68], off
	s_waitcnt vmcnt(0)
	buffer_store_dword v5, off, s[20:23], 0 offset:144 ; 4-byte Folded Spill
	s_nop 0
	buffer_store_dword v6, off, s[20:23], 0 offset:148 ; 4-byte Folded Spill
	buffer_store_dword v7, off, s[20:23], 0 offset:152 ; 4-byte Folded Spill
	buffer_store_dword v8, off, s[20:23], 0 offset:156 ; 4-byte Folded Spill
	buffer_store_dword v69, off, s[20:23], 0 offset:984 ; 4-byte Folded Spill
	s_nop 0
	buffer_store_dword v70, off, s[20:23], 0 offset:988 ; 4-byte Folded Spill
	global_load_dwordx4 v[5:8], v[69:70], off
	s_waitcnt vmcnt(0)
	buffer_store_dword v5, off, s[20:23], 0 offset:128 ; 4-byte Folded Spill
	s_nop 0
	buffer_store_dword v6, off, s[20:23], 0 offset:132 ; 4-byte Folded Spill
	buffer_store_dword v7, off, s[20:23], 0 offset:136 ; 4-byte Folded Spill
	buffer_store_dword v8, off, s[20:23], 0 offset:140 ; 4-byte Folded Spill
	buffer_store_dword v71, off, s[20:23], 0 offset:992 ; 4-byte Folded Spill
	s_nop 0
	buffer_store_dword v72, off, s[20:23], 0 offset:996 ; 4-byte Folded Spill
	global_load_dwordx4 v[5:8], v[71:72], off
	s_waitcnt vmcnt(0)
	buffer_store_dword v5, off, s[20:23], 0 offset:112 ; 4-byte Folded Spill
	s_nop 0
	buffer_store_dword v6, off, s[20:23], 0 offset:116 ; 4-byte Folded Spill
	buffer_store_dword v7, off, s[20:23], 0 offset:120 ; 4-byte Folded Spill
	buffer_store_dword v8, off, s[20:23], 0 offset:124 ; 4-byte Folded Spill
	buffer_store_dword v87, off, s[20:23], 0 offset:1000 ; 4-byte Folded Spill
	s_nop 0
	buffer_store_dword v88, off, s[20:23], 0 offset:1004 ; 4-byte Folded Spill
	global_load_dwordx4 v[5:8], v[87:88], off
	s_waitcnt vmcnt(0)
	buffer_store_dword v5, off, s[20:23], 0 offset:96 ; 4-byte Folded Spill
	s_nop 0
	buffer_store_dword v6, off, s[20:23], 0 offset:100 ; 4-byte Folded Spill
	buffer_store_dword v7, off, s[20:23], 0 offset:104 ; 4-byte Folded Spill
	buffer_store_dword v8, off, s[20:23], 0 offset:108 ; 4-byte Folded Spill
	buffer_store_dword v93, off, s[20:23], 0 offset:1008 ; 4-byte Folded Spill
	s_nop 0
	buffer_store_dword v94, off, s[20:23], 0 offset:1012 ; 4-byte Folded Spill
	v_mov_b32_e32 v87, v91
	v_mov_b32_e32 v88, v92
	global_load_dwordx4 v[5:8], v[93:94], off
	s_waitcnt vmcnt(0)
	buffer_store_dword v5, off, s[20:23], 0 offset:80 ; 4-byte Folded Spill
	s_nop 0
	buffer_store_dword v6, off, s[20:23], 0 offset:84 ; 4-byte Folded Spill
	buffer_store_dword v7, off, s[20:23], 0 offset:88 ; 4-byte Folded Spill
	;; [unrolled: 1-line block ×4, first 2 shown]
	s_nop 0
	buffer_store_dword v96, off, s[20:23], 0 offset:1020 ; 4-byte Folded Spill
	v_mov_b32_e32 v94, v4
	v_mov_b32_e32 v93, v3
	;; [unrolled: 1-line block ×4, first 2 shown]
	global_load_dwordx4 v[5:8], v[95:96], off
	s_waitcnt vmcnt(0)
	buffer_store_dword v5, off, s[20:23], 0 offset:64 ; 4-byte Folded Spill
	s_nop 0
	buffer_store_dword v6, off, s[20:23], 0 offset:68 ; 4-byte Folded Spill
	buffer_store_dword v7, off, s[20:23], 0 offset:72 ; 4-byte Folded Spill
	buffer_store_dword v8, off, s[20:23], 0 offset:76 ; 4-byte Folded Spill
	buffer_store_dword v97, off, s[20:23], 0 offset:1024 ; 4-byte Folded Spill
	s_nop 0
	buffer_store_dword v98, off, s[20:23], 0 offset:1028 ; 4-byte Folded Spill
	global_load_dwordx4 v[5:8], v[97:98], off
	s_waitcnt vmcnt(0)
	buffer_store_dword v5, off, s[20:23], 0 offset:48 ; 4-byte Folded Spill
	s_nop 0
	buffer_store_dword v6, off, s[20:23], 0 offset:52 ; 4-byte Folded Spill
	buffer_store_dword v7, off, s[20:23], 0 offset:56 ; 4-byte Folded Spill
	buffer_store_dword v8, off, s[20:23], 0 offset:60 ; 4-byte Folded Spill
	buffer_store_dword v99, off, s[20:23], 0 offset:1032 ; 4-byte Folded Spill
	s_nop 0
	buffer_store_dword v100, off, s[20:23], 0 offset:1036 ; 4-byte Folded Spill
	;; [unrolled: 10-line block ×4, first 2 shown]
	global_load_dwordx4 v[5:8], v[103:104], off
	s_waitcnt vmcnt(0)
	buffer_store_dword v5, off, s[20:23], 0 ; 4-byte Folded Spill
	s_nop 0
	buffer_store_dword v6, off, s[20:23], 0 offset:4 ; 4-byte Folded Spill
	buffer_store_dword v7, off, s[20:23], 0 offset:8 ; 4-byte Folded Spill
	;; [unrolled: 1-line block ×4, first 2 shown]
	s_nop 0
	buffer_store_dword v106, off, s[20:23], 0 offset:1060 ; 4-byte Folded Spill
	global_load_dwordx4 v[37:40], v[105:106], off
	s_nop 0
	buffer_store_dword v107, off, s[20:23], 0 offset:1064 ; 4-byte Folded Spill
	s_nop 0
	buffer_store_dword v108, off, s[20:23], 0 offset:1068 ; 4-byte Folded Spill
	global_load_dwordx4 v[33:36], v[107:108], off
	s_nop 0
	buffer_store_dword v109, off, s[20:23], 0 offset:1072 ; 4-byte Folded Spill
	;; [unrolled: 5-line block ×10, first 2 shown]
	s_nop 0
	buffer_store_dword v120, off, s[20:23], 0 offset:1772 ; 4-byte Folded Spill
	global_load_dwordx4 v[121:124], v[119:120], off
	s_and_saveexec_b64 s[6:7], s[0:1]
	s_cbranch_execz .LBB115_8
; %bb.2:
	buffer_load_dword v95, off, s[20:23], 0 offset:720 ; 4-byte Folded Reload
	buffer_load_dword v96, off, s[20:23], 0 offset:724 ; 4-byte Folded Reload
	;; [unrolled: 1-line block ×4, first 2 shown]
	s_waitcnt vmcnt(0)
	ds_write2_b64 v127, v[95:96], v[97:98] offset1:1
	buffer_load_dword v95, off, s[20:23], 0 offset:704 ; 4-byte Folded Reload
	buffer_load_dword v96, off, s[20:23], 0 offset:708 ; 4-byte Folded Reload
	buffer_load_dword v97, off, s[20:23], 0 offset:712 ; 4-byte Folded Reload
	buffer_load_dword v98, off, s[20:23], 0 offset:716 ; 4-byte Folded Reload
	s_waitcnt vmcnt(0)
	ds_write2_b64 v125, v[95:96], v[97:98] offset0:2 offset1:3
	buffer_load_dword v95, off, s[20:23], 0 offset:688 ; 4-byte Folded Reload
	buffer_load_dword v96, off, s[20:23], 0 offset:692 ; 4-byte Folded Reload
	buffer_load_dword v97, off, s[20:23], 0 offset:696 ; 4-byte Folded Reload
	buffer_load_dword v98, off, s[20:23], 0 offset:700 ; 4-byte Folded Reload
	s_waitcnt vmcnt(0)
	ds_write2_b64 v125, v[95:96], v[97:98] offset0:4 offset1:5
	;; [unrolled: 6-line block ×34, first 2 shown]
	ds_write2_b64 v125, v[91:92], v[93:94] offset0:70 offset1:71
	buffer_load_dword v77, off, s[20:23], 0 offset:160 ; 4-byte Folded Reload
	buffer_load_dword v78, off, s[20:23], 0 offset:164 ; 4-byte Folded Reload
	buffer_load_dword v79, off, s[20:23], 0 offset:168 ; 4-byte Folded Reload
	buffer_load_dword v80, off, s[20:23], 0 offset:172 ; 4-byte Folded Reload
	s_waitcnt vmcnt(0)
	ds_write2_b64 v125, v[77:78], v[79:80] offset0:72 offset1:73
	buffer_load_dword v77, off, s[20:23], 0 offset:144 ; 4-byte Folded Reload
	buffer_load_dword v78, off, s[20:23], 0 offset:148 ; 4-byte Folded Reload
	buffer_load_dword v79, off, s[20:23], 0 offset:152 ; 4-byte Folded Reload
	buffer_load_dword v80, off, s[20:23], 0 offset:156 ; 4-byte Folded Reload
	s_waitcnt vmcnt(0)
	;; [unrolled: 6-line block ×10, first 2 shown]
	ds_write2_b64 v125, v[45:46], v[47:48] offset0:90 offset1:91
	buffer_load_dword v41, off, s[20:23], 0 ; 4-byte Folded Reload
	buffer_load_dword v42, off, s[20:23], 0 offset:4 ; 4-byte Folded Reload
	buffer_load_dword v43, off, s[20:23], 0 offset:8 ; 4-byte Folded Reload
	;; [unrolled: 1-line block ×3, first 2 shown]
	s_waitcnt vmcnt(0)
	ds_write2_b64 v125, v[41:42], v[43:44] offset0:92 offset1:93
	ds_write2_b64 v125, v[37:38], v[39:40] offset0:94 offset1:95
	;; [unrolled: 1-line block ×12, first 2 shown]
	ds_read2_b64 v[97:100], v127 offset1:1
	s_waitcnt lgkmcnt(0)
	v_cmp_neq_f64_e32 vcc, 0, v[97:98]
	v_cmp_neq_f64_e64 s[4:5], 0, v[99:100]
	s_or_b64 s[4:5], vcc, s[4:5]
	s_and_b64 exec, exec, s[4:5]
	s_cbranch_execz .LBB115_8
; %bb.3:
	v_cmp_ngt_f64_e64 s[4:5], |v[97:98]|, |v[99:100]|
                                        ; implicit-def: $vgpr101_vgpr102
	s_and_saveexec_b64 s[8:9], s[4:5]
	s_xor_b64 s[4:5], exec, s[8:9]
                                        ; implicit-def: $vgpr103_vgpr104
	s_cbranch_execz .LBB115_5
; %bb.4:
	v_div_scale_f64 v[101:102], s[8:9], v[99:100], v[99:100], v[97:98]
	v_rcp_f64_e32 v[103:104], v[101:102]
	v_fma_f64 v[105:106], -v[101:102], v[103:104], 1.0
	v_fma_f64 v[103:104], v[103:104], v[105:106], v[103:104]
	v_div_scale_f64 v[105:106], vcc, v[97:98], v[99:100], v[97:98]
	v_fma_f64 v[107:108], -v[101:102], v[103:104], 1.0
	v_fma_f64 v[103:104], v[103:104], v[107:108], v[103:104]
	v_mul_f64 v[107:108], v[105:106], v[103:104]
	v_fma_f64 v[101:102], -v[101:102], v[107:108], v[105:106]
	v_div_fmas_f64 v[101:102], v[101:102], v[103:104], v[107:108]
	v_div_fixup_f64 v[101:102], v[101:102], v[99:100], v[97:98]
	v_fma_f64 v[97:98], v[97:98], v[101:102], v[99:100]
	v_div_scale_f64 v[99:100], s[8:9], v[97:98], v[97:98], 1.0
	v_div_scale_f64 v[107:108], vcc, 1.0, v[97:98], 1.0
	v_rcp_f64_e32 v[103:104], v[99:100]
	v_fma_f64 v[105:106], -v[99:100], v[103:104], 1.0
	v_fma_f64 v[103:104], v[103:104], v[105:106], v[103:104]
	v_fma_f64 v[105:106], -v[99:100], v[103:104], 1.0
	v_fma_f64 v[103:104], v[103:104], v[105:106], v[103:104]
	v_mul_f64 v[105:106], v[107:108], v[103:104]
	v_fma_f64 v[99:100], -v[99:100], v[105:106], v[107:108]
	v_div_fmas_f64 v[99:100], v[99:100], v[103:104], v[105:106]
	v_div_fixup_f64 v[103:104], v[99:100], v[97:98], 1.0
                                        ; implicit-def: $vgpr97_vgpr98
	v_mul_f64 v[101:102], v[101:102], v[103:104]
	v_xor_b32_e32 v104, 0x80000000, v104
.LBB115_5:
	s_andn2_saveexec_b64 s[4:5], s[4:5]
	s_cbranch_execz .LBB115_7
; %bb.6:
	v_div_scale_f64 v[101:102], s[8:9], v[97:98], v[97:98], v[99:100]
	v_rcp_f64_e32 v[103:104], v[101:102]
	v_fma_f64 v[105:106], -v[101:102], v[103:104], 1.0
	v_fma_f64 v[103:104], v[103:104], v[105:106], v[103:104]
	v_div_scale_f64 v[105:106], vcc, v[99:100], v[97:98], v[99:100]
	v_fma_f64 v[107:108], -v[101:102], v[103:104], 1.0
	v_fma_f64 v[103:104], v[103:104], v[107:108], v[103:104]
	v_mul_f64 v[107:108], v[105:106], v[103:104]
	v_fma_f64 v[101:102], -v[101:102], v[107:108], v[105:106]
	v_div_fmas_f64 v[101:102], v[101:102], v[103:104], v[107:108]
	v_div_fixup_f64 v[103:104], v[101:102], v[97:98], v[99:100]
	v_fma_f64 v[97:98], v[99:100], v[103:104], v[97:98]
	v_div_scale_f64 v[99:100], s[8:9], v[97:98], v[97:98], 1.0
	v_div_scale_f64 v[107:108], vcc, 1.0, v[97:98], 1.0
	v_rcp_f64_e32 v[101:102], v[99:100]
	v_fma_f64 v[105:106], -v[99:100], v[101:102], 1.0
	v_fma_f64 v[101:102], v[101:102], v[105:106], v[101:102]
	v_fma_f64 v[105:106], -v[99:100], v[101:102], 1.0
	v_fma_f64 v[101:102], v[101:102], v[105:106], v[101:102]
	v_mul_f64 v[105:106], v[107:108], v[101:102]
	v_fma_f64 v[99:100], -v[99:100], v[105:106], v[107:108]
	v_div_fmas_f64 v[99:100], v[99:100], v[101:102], v[105:106]
	v_div_fixup_f64 v[101:102], v[99:100], v[97:98], 1.0
	v_mul_f64 v[103:104], v[103:104], -v[101:102]
.LBB115_7:
	s_or_b64 exec, exec, s[4:5]
	ds_write2_b64 v127, v[101:102], v[103:104] offset1:1
.LBB115_8:
	s_or_b64 exec, exec, s[6:7]
	s_waitcnt vmcnt(0) lgkmcnt(0)
	s_barrier
	ds_read2_b64 v[95:98], v127 offset1:1
	s_waitcnt lgkmcnt(0)
	buffer_store_dword v95, off, s[20:23], 0 offset:1184 ; 4-byte Folded Spill
	s_nop 0
	buffer_store_dword v96, off, s[20:23], 0 offset:1188 ; 4-byte Folded Spill
	buffer_store_dword v97, off, s[20:23], 0 offset:1192 ; 4-byte Folded Spill
	;; [unrolled: 1-line block ×3, first 2 shown]
	s_and_saveexec_b64 s[4:5], s[2:3]
	s_cbranch_execz .LBB115_10
; %bb.9:
	buffer_load_dword v107, off, s[20:23], 0 offset:720 ; 4-byte Folded Reload
	buffer_load_dword v108, off, s[20:23], 0 offset:724 ; 4-byte Folded Reload
	;; [unrolled: 1-line block ×8, first 2 shown]
	s_waitcnt vmcnt(0)
	v_mul_f64 v[97:98], v[101:102], v[109:110]
	v_fma_f64 v[97:98], v[99:100], v[107:108], -v[97:98]
	v_mul_f64 v[99:100], v[99:100], v[109:110]
	v_fma_f64 v[109:110], v[101:102], v[107:108], v[99:100]
	ds_read2_b64 v[99:102], v125 offset0:2 offset1:3
	buffer_load_dword v105, off, s[20:23], 0 offset:704 ; 4-byte Folded Reload
	buffer_load_dword v106, off, s[20:23], 0 offset:708 ; 4-byte Folded Reload
	buffer_load_dword v107, off, s[20:23], 0 offset:712 ; 4-byte Folded Reload
	buffer_load_dword v108, off, s[20:23], 0 offset:716 ; 4-byte Folded Reload
	s_waitcnt lgkmcnt(0)
	v_mul_f64 v[103:104], v[101:102], v[109:110]
	v_fma_f64 v[103:104], v[99:100], v[97:98], -v[103:104]
	v_mul_f64 v[99:100], v[99:100], v[109:110]
	v_fma_f64 v[99:100], v[101:102], v[97:98], v[99:100]
	s_waitcnt vmcnt(2)
	v_add_f64 v[105:106], v[105:106], -v[103:104]
	s_waitcnt vmcnt(0)
	v_add_f64 v[107:108], v[107:108], -v[99:100]
	buffer_store_dword v105, off, s[20:23], 0 offset:704 ; 4-byte Folded Spill
	s_nop 0
	buffer_store_dword v106, off, s[20:23], 0 offset:708 ; 4-byte Folded Spill
	buffer_store_dword v107, off, s[20:23], 0 offset:712 ; 4-byte Folded Spill
	buffer_store_dword v108, off, s[20:23], 0 offset:716 ; 4-byte Folded Spill
	ds_read2_b64 v[99:102], v125 offset0:4 offset1:5
	buffer_load_dword v105, off, s[20:23], 0 offset:688 ; 4-byte Folded Reload
	buffer_load_dword v106, off, s[20:23], 0 offset:692 ; 4-byte Folded Reload
	buffer_load_dword v107, off, s[20:23], 0 offset:696 ; 4-byte Folded Reload
	buffer_load_dword v108, off, s[20:23], 0 offset:700 ; 4-byte Folded Reload
	s_waitcnt lgkmcnt(0)
	v_mul_f64 v[103:104], v[101:102], v[109:110]
	v_fma_f64 v[103:104], v[99:100], v[97:98], -v[103:104]
	v_mul_f64 v[99:100], v[99:100], v[109:110]
	v_fma_f64 v[99:100], v[101:102], v[97:98], v[99:100]
	s_waitcnt vmcnt(2)
	v_add_f64 v[105:106], v[105:106], -v[103:104]
	s_waitcnt vmcnt(0)
	v_add_f64 v[107:108], v[107:108], -v[99:100]
	buffer_store_dword v105, off, s[20:23], 0 offset:688 ; 4-byte Folded Spill
	s_nop 0
	buffer_store_dword v106, off, s[20:23], 0 offset:692 ; 4-byte Folded Spill
	buffer_store_dword v107, off, s[20:23], 0 offset:696 ; 4-byte Folded Spill
	buffer_store_dword v108, off, s[20:23], 0 offset:700 ; 4-byte Folded Spill
	;; [unrolled: 19-line block ×34, first 2 shown]
	ds_read2_b64 v[99:102], v125 offset0:70 offset1:71
	v_mov_b32_e32 v108, v98
	v_mov_b32_e32 v107, v97
	s_waitcnt lgkmcnt(0)
	v_mul_f64 v[103:104], v[101:102], v[109:110]
	v_fma_f64 v[103:104], v[99:100], v[97:98], -v[103:104]
	v_mul_f64 v[99:100], v[99:100], v[109:110]
	v_add_f64 v[91:92], v[91:92], -v[103:104]
	v_fma_f64 v[99:100], v[101:102], v[97:98], v[99:100]
	v_add_f64 v[93:94], v[93:94], -v[99:100]
	ds_read2_b64 v[99:102], v125 offset0:72 offset1:73
	buffer_load_dword v77, off, s[20:23], 0 offset:160 ; 4-byte Folded Reload
	buffer_load_dword v78, off, s[20:23], 0 offset:164 ; 4-byte Folded Reload
	buffer_load_dword v79, off, s[20:23], 0 offset:168 ; 4-byte Folded Reload
	buffer_load_dword v80, off, s[20:23], 0 offset:172 ; 4-byte Folded Reload
	s_waitcnt lgkmcnt(0)
	v_mul_f64 v[103:104], v[101:102], v[109:110]
	v_fma_f64 v[103:104], v[99:100], v[97:98], -v[103:104]
	v_mul_f64 v[99:100], v[99:100], v[109:110]
	v_fma_f64 v[99:100], v[101:102], v[97:98], v[99:100]
	s_waitcnt vmcnt(2)
	v_add_f64 v[77:78], v[77:78], -v[103:104]
	s_waitcnt vmcnt(0)
	v_add_f64 v[79:80], v[79:80], -v[99:100]
	buffer_store_dword v77, off, s[20:23], 0 offset:160 ; 4-byte Folded Spill
	s_nop 0
	buffer_store_dword v78, off, s[20:23], 0 offset:164 ; 4-byte Folded Spill
	buffer_store_dword v79, off, s[20:23], 0 offset:168 ; 4-byte Folded Spill
	buffer_store_dword v80, off, s[20:23], 0 offset:172 ; 4-byte Folded Spill
	ds_read2_b64 v[99:102], v125 offset0:74 offset1:75
	buffer_load_dword v77, off, s[20:23], 0 offset:144 ; 4-byte Folded Reload
	buffer_load_dword v78, off, s[20:23], 0 offset:148 ; 4-byte Folded Reload
	buffer_load_dword v79, off, s[20:23], 0 offset:152 ; 4-byte Folded Reload
	buffer_load_dword v80, off, s[20:23], 0 offset:156 ; 4-byte Folded Reload
	s_waitcnt lgkmcnt(0)
	v_mul_f64 v[103:104], v[101:102], v[109:110]
	v_fma_f64 v[103:104], v[99:100], v[97:98], -v[103:104]
	v_mul_f64 v[99:100], v[99:100], v[109:110]
	v_fma_f64 v[99:100], v[101:102], v[97:98], v[99:100]
	s_waitcnt vmcnt(2)
	v_add_f64 v[77:78], v[77:78], -v[103:104]
	s_waitcnt vmcnt(0)
	v_add_f64 v[79:80], v[79:80], -v[99:100]
	buffer_store_dword v77, off, s[20:23], 0 offset:144 ; 4-byte Folded Spill
	s_nop 0
	buffer_store_dword v78, off, s[20:23], 0 offset:148 ; 4-byte Folded Spill
	buffer_store_dword v79, off, s[20:23], 0 offset:152 ; 4-byte Folded Spill
	buffer_store_dword v80, off, s[20:23], 0 offset:156 ; 4-byte Folded Spill
	;; [unrolled: 19-line block ×10, first 2 shown]
	ds_read2_b64 v[99:102], v125 offset0:92 offset1:93
	buffer_load_dword v41, off, s[20:23], 0 ; 4-byte Folded Reload
	buffer_load_dword v42, off, s[20:23], 0 offset:4 ; 4-byte Folded Reload
	buffer_load_dword v43, off, s[20:23], 0 offset:8 ; 4-byte Folded Reload
	buffer_load_dword v44, off, s[20:23], 0 offset:12 ; 4-byte Folded Reload
	s_waitcnt lgkmcnt(0)
	v_mul_f64 v[103:104], v[101:102], v[109:110]
	v_fma_f64 v[103:104], v[99:100], v[97:98], -v[103:104]
	v_mul_f64 v[99:100], v[99:100], v[109:110]
	v_fma_f64 v[99:100], v[101:102], v[97:98], v[99:100]
	s_waitcnt vmcnt(2)
	v_add_f64 v[41:42], v[41:42], -v[103:104]
	s_waitcnt vmcnt(0)
	v_add_f64 v[43:44], v[43:44], -v[99:100]
	buffer_store_dword v41, off, s[20:23], 0 ; 4-byte Folded Spill
	s_nop 0
	buffer_store_dword v42, off, s[20:23], 0 offset:4 ; 4-byte Folded Spill
	buffer_store_dword v43, off, s[20:23], 0 offset:8 ; 4-byte Folded Spill
	;; [unrolled: 1-line block ×3, first 2 shown]
	ds_read2_b64 v[99:102], v125 offset0:94 offset1:95
	s_waitcnt lgkmcnt(0)
	v_mul_f64 v[103:104], v[101:102], v[109:110]
	v_fma_f64 v[103:104], v[99:100], v[97:98], -v[103:104]
	v_mul_f64 v[99:100], v[99:100], v[109:110]
	v_add_f64 v[37:38], v[37:38], -v[103:104]
	v_fma_f64 v[99:100], v[101:102], v[97:98], v[99:100]
	v_add_f64 v[39:40], v[39:40], -v[99:100]
	ds_read2_b64 v[99:102], v125 offset0:96 offset1:97
	s_waitcnt lgkmcnt(0)
	v_mul_f64 v[103:104], v[101:102], v[109:110]
	v_fma_f64 v[103:104], v[99:100], v[97:98], -v[103:104]
	v_mul_f64 v[99:100], v[99:100], v[109:110]
	v_add_f64 v[33:34], v[33:34], -v[103:104]
	v_fma_f64 v[99:100], v[101:102], v[97:98], v[99:100]
	v_add_f64 v[35:36], v[35:36], -v[99:100]
	ds_read2_b64 v[99:102], v125 offset0:98 offset1:99
	s_waitcnt lgkmcnt(0)
	v_mul_f64 v[103:104], v[101:102], v[109:110]
	v_fma_f64 v[103:104], v[99:100], v[97:98], -v[103:104]
	v_mul_f64 v[99:100], v[99:100], v[109:110]
	v_add_f64 v[29:30], v[29:30], -v[103:104]
	v_fma_f64 v[99:100], v[101:102], v[97:98], v[99:100]
	v_add_f64 v[31:32], v[31:32], -v[99:100]
	ds_read2_b64 v[99:102], v125 offset0:100 offset1:101
	s_waitcnt lgkmcnt(0)
	v_mul_f64 v[103:104], v[101:102], v[109:110]
	v_fma_f64 v[103:104], v[99:100], v[97:98], -v[103:104]
	v_mul_f64 v[99:100], v[99:100], v[109:110]
	v_add_f64 v[25:26], v[25:26], -v[103:104]
	v_fma_f64 v[99:100], v[101:102], v[97:98], v[99:100]
	v_add_f64 v[27:28], v[27:28], -v[99:100]
	ds_read2_b64 v[99:102], v125 offset0:102 offset1:103
	s_waitcnt lgkmcnt(0)
	v_mul_f64 v[103:104], v[101:102], v[109:110]
	v_fma_f64 v[103:104], v[99:100], v[97:98], -v[103:104]
	v_mul_f64 v[99:100], v[99:100], v[109:110]
	v_add_f64 v[21:22], v[21:22], -v[103:104]
	v_fma_f64 v[99:100], v[101:102], v[97:98], v[99:100]
	v_add_f64 v[23:24], v[23:24], -v[99:100]
	ds_read2_b64 v[99:102], v125 offset0:104 offset1:105
	s_waitcnt lgkmcnt(0)
	v_mul_f64 v[103:104], v[101:102], v[109:110]
	v_fma_f64 v[103:104], v[99:100], v[97:98], -v[103:104]
	v_mul_f64 v[99:100], v[99:100], v[109:110]
	v_add_f64 v[17:18], v[17:18], -v[103:104]
	v_fma_f64 v[99:100], v[101:102], v[97:98], v[99:100]
	v_add_f64 v[19:20], v[19:20], -v[99:100]
	ds_read2_b64 v[99:102], v125 offset0:106 offset1:107
	s_waitcnt lgkmcnt(0)
	v_mul_f64 v[103:104], v[101:102], v[109:110]
	v_fma_f64 v[103:104], v[99:100], v[97:98], -v[103:104]
	v_mul_f64 v[99:100], v[99:100], v[109:110]
	v_add_f64 v[13:14], v[13:14], -v[103:104]
	v_fma_f64 v[99:100], v[101:102], v[97:98], v[99:100]
	v_add_f64 v[15:16], v[15:16], -v[99:100]
	ds_read2_b64 v[99:102], v125 offset0:108 offset1:109
	s_waitcnt lgkmcnt(0)
	v_mul_f64 v[103:104], v[101:102], v[109:110]
	v_fma_f64 v[103:104], v[99:100], v[97:98], -v[103:104]
	v_mul_f64 v[99:100], v[99:100], v[109:110]
	v_add_f64 v[9:10], v[9:10], -v[103:104]
	v_fma_f64 v[99:100], v[101:102], v[97:98], v[99:100]
	v_add_f64 v[11:12], v[11:12], -v[99:100]
	ds_read2_b64 v[99:102], v125 offset0:110 offset1:111
	s_waitcnt lgkmcnt(0)
	v_mul_f64 v[103:104], v[101:102], v[109:110]
	v_fma_f64 v[103:104], v[99:100], v[97:98], -v[103:104]
	v_mul_f64 v[99:100], v[99:100], v[109:110]
	v_add_f64 v[5:6], v[5:6], -v[103:104]
	v_fma_f64 v[99:100], v[101:102], v[97:98], v[99:100]
	v_add_f64 v[7:8], v[7:8], -v[99:100]
	ds_read2_b64 v[99:102], v125 offset0:112 offset1:113
	s_waitcnt lgkmcnt(0)
	v_mul_f64 v[103:104], v[101:102], v[109:110]
	v_fma_f64 v[103:104], v[99:100], v[97:98], -v[103:104]
	v_mul_f64 v[99:100], v[99:100], v[109:110]
	v_add_f64 v[1:2], v[1:2], -v[103:104]
	v_fma_f64 v[99:100], v[101:102], v[97:98], v[99:100]
	ds_read2_b64 v[101:104], v125 offset0:114 offset1:115
	v_add_f64 v[3:4], v[3:4], -v[99:100]
	s_waitcnt lgkmcnt(0)
	v_mul_f64 v[99:100], v[103:104], v[109:110]
	v_fma_f64 v[99:100], v[101:102], v[97:98], -v[99:100]
	v_mul_f64 v[101:102], v[101:102], v[109:110]
	buffer_store_dword v107, off, s[20:23], 0 offset:720 ; 4-byte Folded Spill
	s_nop 0
	buffer_store_dword v108, off, s[20:23], 0 offset:724 ; 4-byte Folded Spill
	buffer_store_dword v109, off, s[20:23], 0 offset:728 ; 4-byte Folded Spill
	;; [unrolled: 1-line block ×3, first 2 shown]
	v_add_f64 v[121:122], v[121:122], -v[99:100]
	v_fma_f64 v[101:102], v[103:104], v[97:98], v[101:102]
	v_add_f64 v[123:124], v[123:124], -v[101:102]
.LBB115_10:
	s_or_b64 exec, exec, s[4:5]
	v_cmp_eq_u32_e32 vcc, 1, v0
	s_waitcnt vmcnt(0)
	s_barrier
	s_and_saveexec_b64 s[4:5], vcc
	s_cbranch_execz .LBB115_17
; %bb.11:
	buffer_load_dword v95, off, s[20:23], 0 offset:704 ; 4-byte Folded Reload
	buffer_load_dword v96, off, s[20:23], 0 offset:708 ; 4-byte Folded Reload
	;; [unrolled: 1-line block ×4, first 2 shown]
	s_waitcnt vmcnt(0)
	ds_write2_b64 v127, v[95:96], v[97:98] offset1:1
	buffer_load_dword v95, off, s[20:23], 0 offset:688 ; 4-byte Folded Reload
	buffer_load_dword v96, off, s[20:23], 0 offset:692 ; 4-byte Folded Reload
	buffer_load_dword v97, off, s[20:23], 0 offset:696 ; 4-byte Folded Reload
	buffer_load_dword v98, off, s[20:23], 0 offset:700 ; 4-byte Folded Reload
	s_waitcnt vmcnt(0)
	ds_write2_b64 v125, v[95:96], v[97:98] offset0:4 offset1:5
	buffer_load_dword v95, off, s[20:23], 0 offset:672 ; 4-byte Folded Reload
	buffer_load_dword v96, off, s[20:23], 0 offset:676 ; 4-byte Folded Reload
	buffer_load_dword v97, off, s[20:23], 0 offset:680 ; 4-byte Folded Reload
	buffer_load_dword v98, off, s[20:23], 0 offset:684 ; 4-byte Folded Reload
	s_waitcnt vmcnt(0)
	ds_write2_b64 v125, v[95:96], v[97:98] offset0:6 offset1:7
	;; [unrolled: 6-line block ×33, first 2 shown]
	ds_write2_b64 v125, v[91:92], v[93:94] offset0:70 offset1:71
	buffer_load_dword v77, off, s[20:23], 0 offset:160 ; 4-byte Folded Reload
	buffer_load_dword v78, off, s[20:23], 0 offset:164 ; 4-byte Folded Reload
	buffer_load_dword v79, off, s[20:23], 0 offset:168 ; 4-byte Folded Reload
	buffer_load_dword v80, off, s[20:23], 0 offset:172 ; 4-byte Folded Reload
	s_waitcnt vmcnt(0)
	ds_write2_b64 v125, v[77:78], v[79:80] offset0:72 offset1:73
	buffer_load_dword v77, off, s[20:23], 0 offset:144 ; 4-byte Folded Reload
	buffer_load_dword v78, off, s[20:23], 0 offset:148 ; 4-byte Folded Reload
	buffer_load_dword v79, off, s[20:23], 0 offset:152 ; 4-byte Folded Reload
	buffer_load_dword v80, off, s[20:23], 0 offset:156 ; 4-byte Folded Reload
	s_waitcnt vmcnt(0)
	;; [unrolled: 6-line block ×10, first 2 shown]
	ds_write2_b64 v125, v[45:46], v[47:48] offset0:90 offset1:91
	buffer_load_dword v41, off, s[20:23], 0 ; 4-byte Folded Reload
	buffer_load_dword v42, off, s[20:23], 0 offset:4 ; 4-byte Folded Reload
	buffer_load_dword v43, off, s[20:23], 0 offset:8 ; 4-byte Folded Reload
	;; [unrolled: 1-line block ×3, first 2 shown]
	s_waitcnt vmcnt(0)
	ds_write2_b64 v125, v[41:42], v[43:44] offset0:92 offset1:93
	ds_write2_b64 v125, v[37:38], v[39:40] offset0:94 offset1:95
	;; [unrolled: 1-line block ×12, first 2 shown]
	ds_read2_b64 v[97:100], v127 offset1:1
	s_waitcnt lgkmcnt(0)
	v_cmp_neq_f64_e32 vcc, 0, v[97:98]
	v_cmp_neq_f64_e64 s[2:3], 0, v[99:100]
	s_or_b64 s[2:3], vcc, s[2:3]
	s_and_b64 exec, exec, s[2:3]
	s_cbranch_execz .LBB115_17
; %bb.12:
	v_cmp_ngt_f64_e64 s[2:3], |v[97:98]|, |v[99:100]|
                                        ; implicit-def: $vgpr101_vgpr102
	s_and_saveexec_b64 s[6:7], s[2:3]
	s_xor_b64 s[2:3], exec, s[6:7]
                                        ; implicit-def: $vgpr103_vgpr104
	s_cbranch_execz .LBB115_14
; %bb.13:
	v_div_scale_f64 v[101:102], s[6:7], v[99:100], v[99:100], v[97:98]
	v_rcp_f64_e32 v[103:104], v[101:102]
	v_fma_f64 v[105:106], -v[101:102], v[103:104], 1.0
	v_fma_f64 v[103:104], v[103:104], v[105:106], v[103:104]
	v_div_scale_f64 v[105:106], vcc, v[97:98], v[99:100], v[97:98]
	v_fma_f64 v[107:108], -v[101:102], v[103:104], 1.0
	v_fma_f64 v[103:104], v[103:104], v[107:108], v[103:104]
	v_mul_f64 v[107:108], v[105:106], v[103:104]
	v_fma_f64 v[101:102], -v[101:102], v[107:108], v[105:106]
	v_div_fmas_f64 v[101:102], v[101:102], v[103:104], v[107:108]
	v_div_fixup_f64 v[101:102], v[101:102], v[99:100], v[97:98]
	v_fma_f64 v[97:98], v[97:98], v[101:102], v[99:100]
	v_div_scale_f64 v[99:100], s[6:7], v[97:98], v[97:98], 1.0
	v_div_scale_f64 v[107:108], vcc, 1.0, v[97:98], 1.0
	v_rcp_f64_e32 v[103:104], v[99:100]
	v_fma_f64 v[105:106], -v[99:100], v[103:104], 1.0
	v_fma_f64 v[103:104], v[103:104], v[105:106], v[103:104]
	v_fma_f64 v[105:106], -v[99:100], v[103:104], 1.0
	v_fma_f64 v[103:104], v[103:104], v[105:106], v[103:104]
	v_mul_f64 v[105:106], v[107:108], v[103:104]
	v_fma_f64 v[99:100], -v[99:100], v[105:106], v[107:108]
	v_div_fmas_f64 v[99:100], v[99:100], v[103:104], v[105:106]
	v_div_fixup_f64 v[103:104], v[99:100], v[97:98], 1.0
                                        ; implicit-def: $vgpr97_vgpr98
	v_mul_f64 v[101:102], v[101:102], v[103:104]
	v_xor_b32_e32 v104, 0x80000000, v104
.LBB115_14:
	s_andn2_saveexec_b64 s[2:3], s[2:3]
	s_cbranch_execz .LBB115_16
; %bb.15:
	v_div_scale_f64 v[101:102], s[6:7], v[97:98], v[97:98], v[99:100]
	v_rcp_f64_e32 v[103:104], v[101:102]
	v_fma_f64 v[105:106], -v[101:102], v[103:104], 1.0
	v_fma_f64 v[103:104], v[103:104], v[105:106], v[103:104]
	v_div_scale_f64 v[105:106], vcc, v[99:100], v[97:98], v[99:100]
	v_fma_f64 v[107:108], -v[101:102], v[103:104], 1.0
	v_fma_f64 v[103:104], v[103:104], v[107:108], v[103:104]
	v_mul_f64 v[107:108], v[105:106], v[103:104]
	v_fma_f64 v[101:102], -v[101:102], v[107:108], v[105:106]
	v_div_fmas_f64 v[101:102], v[101:102], v[103:104], v[107:108]
	v_div_fixup_f64 v[103:104], v[101:102], v[97:98], v[99:100]
	v_fma_f64 v[97:98], v[99:100], v[103:104], v[97:98]
	v_div_scale_f64 v[99:100], s[6:7], v[97:98], v[97:98], 1.0
	v_div_scale_f64 v[107:108], vcc, 1.0, v[97:98], 1.0
	v_rcp_f64_e32 v[101:102], v[99:100]
	v_fma_f64 v[105:106], -v[99:100], v[101:102], 1.0
	v_fma_f64 v[101:102], v[101:102], v[105:106], v[101:102]
	v_fma_f64 v[105:106], -v[99:100], v[101:102], 1.0
	v_fma_f64 v[101:102], v[101:102], v[105:106], v[101:102]
	v_mul_f64 v[105:106], v[107:108], v[101:102]
	v_fma_f64 v[99:100], -v[99:100], v[105:106], v[107:108]
	v_div_fmas_f64 v[99:100], v[99:100], v[101:102], v[105:106]
	v_div_fixup_f64 v[101:102], v[99:100], v[97:98], 1.0
	v_mul_f64 v[103:104], v[103:104], -v[101:102]
.LBB115_16:
	s_or_b64 exec, exec, s[2:3]
	ds_write2_b64 v127, v[101:102], v[103:104] offset1:1
.LBB115_17:
	s_or_b64 exec, exec, s[4:5]
	s_waitcnt lgkmcnt(0)
	s_barrier
	ds_read2_b64 v[95:98], v127 offset1:1
	v_cmp_lt_u32_e32 vcc, 1, v0
	s_waitcnt lgkmcnt(0)
	buffer_store_dword v95, off, s[20:23], 0 offset:1200 ; 4-byte Folded Spill
	s_nop 0
	buffer_store_dword v96, off, s[20:23], 0 offset:1204 ; 4-byte Folded Spill
	buffer_store_dword v97, off, s[20:23], 0 offset:1208 ; 4-byte Folded Spill
	;; [unrolled: 1-line block ×3, first 2 shown]
	s_and_saveexec_b64 s[2:3], vcc
	s_cbranch_execz .LBB115_19
; %bb.18:
	buffer_load_dword v107, off, s[20:23], 0 offset:704 ; 4-byte Folded Reload
	buffer_load_dword v108, off, s[20:23], 0 offset:708 ; 4-byte Folded Reload
	;; [unrolled: 1-line block ×8, first 2 shown]
	s_waitcnt vmcnt(0)
	v_mul_f64 v[97:98], v[101:102], v[109:110]
	v_fma_f64 v[97:98], v[99:100], v[107:108], -v[97:98]
	v_mul_f64 v[99:100], v[99:100], v[109:110]
	v_fma_f64 v[109:110], v[101:102], v[107:108], v[99:100]
	ds_read2_b64 v[99:102], v125 offset0:4 offset1:5
	buffer_load_dword v105, off, s[20:23], 0 offset:688 ; 4-byte Folded Reload
	buffer_load_dword v106, off, s[20:23], 0 offset:692 ; 4-byte Folded Reload
	buffer_load_dword v107, off, s[20:23], 0 offset:696 ; 4-byte Folded Reload
	buffer_load_dword v108, off, s[20:23], 0 offset:700 ; 4-byte Folded Reload
	s_waitcnt lgkmcnt(0)
	v_mul_f64 v[103:104], v[101:102], v[109:110]
	v_fma_f64 v[103:104], v[99:100], v[97:98], -v[103:104]
	v_mul_f64 v[99:100], v[99:100], v[109:110]
	v_fma_f64 v[99:100], v[101:102], v[97:98], v[99:100]
	s_waitcnt vmcnt(2)
	v_add_f64 v[105:106], v[105:106], -v[103:104]
	s_waitcnt vmcnt(0)
	v_add_f64 v[107:108], v[107:108], -v[99:100]
	buffer_store_dword v105, off, s[20:23], 0 offset:688 ; 4-byte Folded Spill
	s_nop 0
	buffer_store_dword v106, off, s[20:23], 0 offset:692 ; 4-byte Folded Spill
	buffer_store_dword v107, off, s[20:23], 0 offset:696 ; 4-byte Folded Spill
	buffer_store_dword v108, off, s[20:23], 0 offset:700 ; 4-byte Folded Spill
	ds_read2_b64 v[99:102], v125 offset0:6 offset1:7
	buffer_load_dword v105, off, s[20:23], 0 offset:672 ; 4-byte Folded Reload
	buffer_load_dword v106, off, s[20:23], 0 offset:676 ; 4-byte Folded Reload
	buffer_load_dword v107, off, s[20:23], 0 offset:680 ; 4-byte Folded Reload
	buffer_load_dword v108, off, s[20:23], 0 offset:684 ; 4-byte Folded Reload
	s_waitcnt lgkmcnt(0)
	v_mul_f64 v[103:104], v[101:102], v[109:110]
	v_fma_f64 v[103:104], v[99:100], v[97:98], -v[103:104]
	v_mul_f64 v[99:100], v[99:100], v[109:110]
	v_fma_f64 v[99:100], v[101:102], v[97:98], v[99:100]
	s_waitcnt vmcnt(2)
	v_add_f64 v[105:106], v[105:106], -v[103:104]
	s_waitcnt vmcnt(0)
	v_add_f64 v[107:108], v[107:108], -v[99:100]
	buffer_store_dword v105, off, s[20:23], 0 offset:672 ; 4-byte Folded Spill
	s_nop 0
	buffer_store_dword v106, off, s[20:23], 0 offset:676 ; 4-byte Folded Spill
	buffer_store_dword v107, off, s[20:23], 0 offset:680 ; 4-byte Folded Spill
	buffer_store_dword v108, off, s[20:23], 0 offset:684 ; 4-byte Folded Spill
	;; [unrolled: 19-line block ×33, first 2 shown]
	ds_read2_b64 v[99:102], v125 offset0:70 offset1:71
	v_mov_b32_e32 v108, v98
	v_mov_b32_e32 v107, v97
	s_waitcnt lgkmcnt(0)
	v_mul_f64 v[103:104], v[101:102], v[109:110]
	v_fma_f64 v[103:104], v[99:100], v[97:98], -v[103:104]
	v_mul_f64 v[99:100], v[99:100], v[109:110]
	v_add_f64 v[91:92], v[91:92], -v[103:104]
	v_fma_f64 v[99:100], v[101:102], v[97:98], v[99:100]
	v_add_f64 v[93:94], v[93:94], -v[99:100]
	ds_read2_b64 v[99:102], v125 offset0:72 offset1:73
	buffer_load_dword v77, off, s[20:23], 0 offset:160 ; 4-byte Folded Reload
	buffer_load_dword v78, off, s[20:23], 0 offset:164 ; 4-byte Folded Reload
	buffer_load_dword v79, off, s[20:23], 0 offset:168 ; 4-byte Folded Reload
	buffer_load_dword v80, off, s[20:23], 0 offset:172 ; 4-byte Folded Reload
	s_waitcnt lgkmcnt(0)
	v_mul_f64 v[103:104], v[101:102], v[109:110]
	v_fma_f64 v[103:104], v[99:100], v[97:98], -v[103:104]
	v_mul_f64 v[99:100], v[99:100], v[109:110]
	v_fma_f64 v[99:100], v[101:102], v[97:98], v[99:100]
	s_waitcnt vmcnt(2)
	v_add_f64 v[77:78], v[77:78], -v[103:104]
	s_waitcnt vmcnt(0)
	v_add_f64 v[79:80], v[79:80], -v[99:100]
	buffer_store_dword v77, off, s[20:23], 0 offset:160 ; 4-byte Folded Spill
	s_nop 0
	buffer_store_dword v78, off, s[20:23], 0 offset:164 ; 4-byte Folded Spill
	buffer_store_dword v79, off, s[20:23], 0 offset:168 ; 4-byte Folded Spill
	buffer_store_dword v80, off, s[20:23], 0 offset:172 ; 4-byte Folded Spill
	ds_read2_b64 v[99:102], v125 offset0:74 offset1:75
	buffer_load_dword v77, off, s[20:23], 0 offset:144 ; 4-byte Folded Reload
	buffer_load_dword v78, off, s[20:23], 0 offset:148 ; 4-byte Folded Reload
	buffer_load_dword v79, off, s[20:23], 0 offset:152 ; 4-byte Folded Reload
	buffer_load_dword v80, off, s[20:23], 0 offset:156 ; 4-byte Folded Reload
	s_waitcnt lgkmcnt(0)
	v_mul_f64 v[103:104], v[101:102], v[109:110]
	v_fma_f64 v[103:104], v[99:100], v[97:98], -v[103:104]
	v_mul_f64 v[99:100], v[99:100], v[109:110]
	v_fma_f64 v[99:100], v[101:102], v[97:98], v[99:100]
	s_waitcnt vmcnt(2)
	v_add_f64 v[77:78], v[77:78], -v[103:104]
	s_waitcnt vmcnt(0)
	v_add_f64 v[79:80], v[79:80], -v[99:100]
	buffer_store_dword v77, off, s[20:23], 0 offset:144 ; 4-byte Folded Spill
	s_nop 0
	buffer_store_dword v78, off, s[20:23], 0 offset:148 ; 4-byte Folded Spill
	buffer_store_dword v79, off, s[20:23], 0 offset:152 ; 4-byte Folded Spill
	buffer_store_dword v80, off, s[20:23], 0 offset:156 ; 4-byte Folded Spill
	;; [unrolled: 19-line block ×10, first 2 shown]
	ds_read2_b64 v[99:102], v125 offset0:92 offset1:93
	buffer_load_dword v41, off, s[20:23], 0 ; 4-byte Folded Reload
	buffer_load_dword v42, off, s[20:23], 0 offset:4 ; 4-byte Folded Reload
	buffer_load_dword v43, off, s[20:23], 0 offset:8 ; 4-byte Folded Reload
	;; [unrolled: 1-line block ×3, first 2 shown]
	s_waitcnt lgkmcnt(0)
	v_mul_f64 v[103:104], v[101:102], v[109:110]
	v_fma_f64 v[103:104], v[99:100], v[97:98], -v[103:104]
	v_mul_f64 v[99:100], v[99:100], v[109:110]
	v_fma_f64 v[99:100], v[101:102], v[97:98], v[99:100]
	s_waitcnt vmcnt(2)
	v_add_f64 v[41:42], v[41:42], -v[103:104]
	s_waitcnt vmcnt(0)
	v_add_f64 v[43:44], v[43:44], -v[99:100]
	buffer_store_dword v41, off, s[20:23], 0 ; 4-byte Folded Spill
	s_nop 0
	buffer_store_dword v42, off, s[20:23], 0 offset:4 ; 4-byte Folded Spill
	buffer_store_dword v43, off, s[20:23], 0 offset:8 ; 4-byte Folded Spill
	;; [unrolled: 1-line block ×3, first 2 shown]
	ds_read2_b64 v[99:102], v125 offset0:94 offset1:95
	s_waitcnt lgkmcnt(0)
	v_mul_f64 v[103:104], v[101:102], v[109:110]
	v_fma_f64 v[103:104], v[99:100], v[97:98], -v[103:104]
	v_mul_f64 v[99:100], v[99:100], v[109:110]
	v_add_f64 v[37:38], v[37:38], -v[103:104]
	v_fma_f64 v[99:100], v[101:102], v[97:98], v[99:100]
	v_add_f64 v[39:40], v[39:40], -v[99:100]
	ds_read2_b64 v[99:102], v125 offset0:96 offset1:97
	s_waitcnt lgkmcnt(0)
	v_mul_f64 v[103:104], v[101:102], v[109:110]
	v_fma_f64 v[103:104], v[99:100], v[97:98], -v[103:104]
	v_mul_f64 v[99:100], v[99:100], v[109:110]
	v_add_f64 v[33:34], v[33:34], -v[103:104]
	v_fma_f64 v[99:100], v[101:102], v[97:98], v[99:100]
	v_add_f64 v[35:36], v[35:36], -v[99:100]
	ds_read2_b64 v[99:102], v125 offset0:98 offset1:99
	s_waitcnt lgkmcnt(0)
	v_mul_f64 v[103:104], v[101:102], v[109:110]
	v_fma_f64 v[103:104], v[99:100], v[97:98], -v[103:104]
	v_mul_f64 v[99:100], v[99:100], v[109:110]
	v_add_f64 v[29:30], v[29:30], -v[103:104]
	v_fma_f64 v[99:100], v[101:102], v[97:98], v[99:100]
	v_add_f64 v[31:32], v[31:32], -v[99:100]
	ds_read2_b64 v[99:102], v125 offset0:100 offset1:101
	s_waitcnt lgkmcnt(0)
	v_mul_f64 v[103:104], v[101:102], v[109:110]
	v_fma_f64 v[103:104], v[99:100], v[97:98], -v[103:104]
	v_mul_f64 v[99:100], v[99:100], v[109:110]
	v_add_f64 v[25:26], v[25:26], -v[103:104]
	v_fma_f64 v[99:100], v[101:102], v[97:98], v[99:100]
	v_add_f64 v[27:28], v[27:28], -v[99:100]
	ds_read2_b64 v[99:102], v125 offset0:102 offset1:103
	s_waitcnt lgkmcnt(0)
	v_mul_f64 v[103:104], v[101:102], v[109:110]
	v_fma_f64 v[103:104], v[99:100], v[97:98], -v[103:104]
	v_mul_f64 v[99:100], v[99:100], v[109:110]
	v_add_f64 v[21:22], v[21:22], -v[103:104]
	v_fma_f64 v[99:100], v[101:102], v[97:98], v[99:100]
	v_add_f64 v[23:24], v[23:24], -v[99:100]
	ds_read2_b64 v[99:102], v125 offset0:104 offset1:105
	s_waitcnt lgkmcnt(0)
	v_mul_f64 v[103:104], v[101:102], v[109:110]
	v_fma_f64 v[103:104], v[99:100], v[97:98], -v[103:104]
	v_mul_f64 v[99:100], v[99:100], v[109:110]
	v_add_f64 v[17:18], v[17:18], -v[103:104]
	v_fma_f64 v[99:100], v[101:102], v[97:98], v[99:100]
	v_add_f64 v[19:20], v[19:20], -v[99:100]
	ds_read2_b64 v[99:102], v125 offset0:106 offset1:107
	s_waitcnt lgkmcnt(0)
	v_mul_f64 v[103:104], v[101:102], v[109:110]
	v_fma_f64 v[103:104], v[99:100], v[97:98], -v[103:104]
	v_mul_f64 v[99:100], v[99:100], v[109:110]
	v_add_f64 v[13:14], v[13:14], -v[103:104]
	v_fma_f64 v[99:100], v[101:102], v[97:98], v[99:100]
	v_add_f64 v[15:16], v[15:16], -v[99:100]
	ds_read2_b64 v[99:102], v125 offset0:108 offset1:109
	s_waitcnt lgkmcnt(0)
	v_mul_f64 v[103:104], v[101:102], v[109:110]
	v_fma_f64 v[103:104], v[99:100], v[97:98], -v[103:104]
	v_mul_f64 v[99:100], v[99:100], v[109:110]
	v_add_f64 v[9:10], v[9:10], -v[103:104]
	v_fma_f64 v[99:100], v[101:102], v[97:98], v[99:100]
	v_add_f64 v[11:12], v[11:12], -v[99:100]
	ds_read2_b64 v[99:102], v125 offset0:110 offset1:111
	s_waitcnt lgkmcnt(0)
	v_mul_f64 v[103:104], v[101:102], v[109:110]
	v_fma_f64 v[103:104], v[99:100], v[97:98], -v[103:104]
	v_mul_f64 v[99:100], v[99:100], v[109:110]
	v_add_f64 v[5:6], v[5:6], -v[103:104]
	v_fma_f64 v[99:100], v[101:102], v[97:98], v[99:100]
	v_add_f64 v[7:8], v[7:8], -v[99:100]
	ds_read2_b64 v[99:102], v125 offset0:112 offset1:113
	s_waitcnt lgkmcnt(0)
	v_mul_f64 v[103:104], v[101:102], v[109:110]
	v_fma_f64 v[103:104], v[99:100], v[97:98], -v[103:104]
	v_mul_f64 v[99:100], v[99:100], v[109:110]
	v_add_f64 v[1:2], v[1:2], -v[103:104]
	v_fma_f64 v[99:100], v[101:102], v[97:98], v[99:100]
	ds_read2_b64 v[101:104], v125 offset0:114 offset1:115
	v_add_f64 v[3:4], v[3:4], -v[99:100]
	s_waitcnt lgkmcnt(0)
	v_mul_f64 v[99:100], v[103:104], v[109:110]
	v_fma_f64 v[99:100], v[101:102], v[97:98], -v[99:100]
	v_mul_f64 v[101:102], v[101:102], v[109:110]
	buffer_store_dword v107, off, s[20:23], 0 offset:704 ; 4-byte Folded Spill
	s_nop 0
	buffer_store_dword v108, off, s[20:23], 0 offset:708 ; 4-byte Folded Spill
	buffer_store_dword v109, off, s[20:23], 0 offset:712 ; 4-byte Folded Spill
	;; [unrolled: 1-line block ×3, first 2 shown]
	v_add_f64 v[121:122], v[121:122], -v[99:100]
	v_fma_f64 v[101:102], v[103:104], v[97:98], v[101:102]
	v_add_f64 v[123:124], v[123:124], -v[101:102]
.LBB115_19:
	s_or_b64 exec, exec, s[2:3]
	v_cmp_eq_u32_e32 vcc, 2, v0
	s_waitcnt vmcnt(0)
	s_barrier
	s_and_saveexec_b64 s[4:5], vcc
	s_cbranch_execz .LBB115_26
; %bb.20:
	buffer_load_dword v95, off, s[20:23], 0 offset:688 ; 4-byte Folded Reload
	buffer_load_dword v96, off, s[20:23], 0 offset:692 ; 4-byte Folded Reload
	;; [unrolled: 1-line block ×4, first 2 shown]
	s_waitcnt vmcnt(0)
	ds_write2_b64 v127, v[95:96], v[97:98] offset1:1
	buffer_load_dword v95, off, s[20:23], 0 offset:672 ; 4-byte Folded Reload
	buffer_load_dword v96, off, s[20:23], 0 offset:676 ; 4-byte Folded Reload
	buffer_load_dword v97, off, s[20:23], 0 offset:680 ; 4-byte Folded Reload
	buffer_load_dword v98, off, s[20:23], 0 offset:684 ; 4-byte Folded Reload
	s_waitcnt vmcnt(0)
	ds_write2_b64 v125, v[95:96], v[97:98] offset0:6 offset1:7
	buffer_load_dword v95, off, s[20:23], 0 offset:656 ; 4-byte Folded Reload
	buffer_load_dword v96, off, s[20:23], 0 offset:660 ; 4-byte Folded Reload
	buffer_load_dword v97, off, s[20:23], 0 offset:664 ; 4-byte Folded Reload
	buffer_load_dword v98, off, s[20:23], 0 offset:668 ; 4-byte Folded Reload
	s_waitcnt vmcnt(0)
	ds_write2_b64 v125, v[95:96], v[97:98] offset0:8 offset1:9
	;; [unrolled: 6-line block ×32, first 2 shown]
	ds_write2_b64 v125, v[91:92], v[93:94] offset0:70 offset1:71
	buffer_load_dword v77, off, s[20:23], 0 offset:160 ; 4-byte Folded Reload
	buffer_load_dword v78, off, s[20:23], 0 offset:164 ; 4-byte Folded Reload
	buffer_load_dword v79, off, s[20:23], 0 offset:168 ; 4-byte Folded Reload
	buffer_load_dword v80, off, s[20:23], 0 offset:172 ; 4-byte Folded Reload
	s_waitcnt vmcnt(0)
	ds_write2_b64 v125, v[77:78], v[79:80] offset0:72 offset1:73
	buffer_load_dword v77, off, s[20:23], 0 offset:144 ; 4-byte Folded Reload
	buffer_load_dword v78, off, s[20:23], 0 offset:148 ; 4-byte Folded Reload
	buffer_load_dword v79, off, s[20:23], 0 offset:152 ; 4-byte Folded Reload
	buffer_load_dword v80, off, s[20:23], 0 offset:156 ; 4-byte Folded Reload
	s_waitcnt vmcnt(0)
	;; [unrolled: 6-line block ×10, first 2 shown]
	ds_write2_b64 v125, v[45:46], v[47:48] offset0:90 offset1:91
	buffer_load_dword v41, off, s[20:23], 0 ; 4-byte Folded Reload
	buffer_load_dword v42, off, s[20:23], 0 offset:4 ; 4-byte Folded Reload
	buffer_load_dword v43, off, s[20:23], 0 offset:8 ; 4-byte Folded Reload
	;; [unrolled: 1-line block ×3, first 2 shown]
	s_waitcnt vmcnt(0)
	ds_write2_b64 v125, v[41:42], v[43:44] offset0:92 offset1:93
	ds_write2_b64 v125, v[37:38], v[39:40] offset0:94 offset1:95
	;; [unrolled: 1-line block ×12, first 2 shown]
	ds_read2_b64 v[97:100], v127 offset1:1
	s_waitcnt lgkmcnt(0)
	v_cmp_neq_f64_e32 vcc, 0, v[97:98]
	v_cmp_neq_f64_e64 s[2:3], 0, v[99:100]
	s_or_b64 s[2:3], vcc, s[2:3]
	s_and_b64 exec, exec, s[2:3]
	s_cbranch_execz .LBB115_26
; %bb.21:
	v_cmp_ngt_f64_e64 s[2:3], |v[97:98]|, |v[99:100]|
                                        ; implicit-def: $vgpr101_vgpr102
	s_and_saveexec_b64 s[6:7], s[2:3]
	s_xor_b64 s[2:3], exec, s[6:7]
                                        ; implicit-def: $vgpr103_vgpr104
	s_cbranch_execz .LBB115_23
; %bb.22:
	v_div_scale_f64 v[101:102], s[6:7], v[99:100], v[99:100], v[97:98]
	v_rcp_f64_e32 v[103:104], v[101:102]
	v_fma_f64 v[105:106], -v[101:102], v[103:104], 1.0
	v_fma_f64 v[103:104], v[103:104], v[105:106], v[103:104]
	v_div_scale_f64 v[105:106], vcc, v[97:98], v[99:100], v[97:98]
	v_fma_f64 v[107:108], -v[101:102], v[103:104], 1.0
	v_fma_f64 v[103:104], v[103:104], v[107:108], v[103:104]
	v_mul_f64 v[107:108], v[105:106], v[103:104]
	v_fma_f64 v[101:102], -v[101:102], v[107:108], v[105:106]
	v_div_fmas_f64 v[101:102], v[101:102], v[103:104], v[107:108]
	v_div_fixup_f64 v[101:102], v[101:102], v[99:100], v[97:98]
	v_fma_f64 v[97:98], v[97:98], v[101:102], v[99:100]
	v_div_scale_f64 v[99:100], s[6:7], v[97:98], v[97:98], 1.0
	v_div_scale_f64 v[107:108], vcc, 1.0, v[97:98], 1.0
	v_rcp_f64_e32 v[103:104], v[99:100]
	v_fma_f64 v[105:106], -v[99:100], v[103:104], 1.0
	v_fma_f64 v[103:104], v[103:104], v[105:106], v[103:104]
	v_fma_f64 v[105:106], -v[99:100], v[103:104], 1.0
	v_fma_f64 v[103:104], v[103:104], v[105:106], v[103:104]
	v_mul_f64 v[105:106], v[107:108], v[103:104]
	v_fma_f64 v[99:100], -v[99:100], v[105:106], v[107:108]
	v_div_fmas_f64 v[99:100], v[99:100], v[103:104], v[105:106]
	v_div_fixup_f64 v[103:104], v[99:100], v[97:98], 1.0
                                        ; implicit-def: $vgpr97_vgpr98
	v_mul_f64 v[101:102], v[101:102], v[103:104]
	v_xor_b32_e32 v104, 0x80000000, v104
.LBB115_23:
	s_andn2_saveexec_b64 s[2:3], s[2:3]
	s_cbranch_execz .LBB115_25
; %bb.24:
	v_div_scale_f64 v[101:102], s[6:7], v[97:98], v[97:98], v[99:100]
	v_rcp_f64_e32 v[103:104], v[101:102]
	v_fma_f64 v[105:106], -v[101:102], v[103:104], 1.0
	v_fma_f64 v[103:104], v[103:104], v[105:106], v[103:104]
	v_div_scale_f64 v[105:106], vcc, v[99:100], v[97:98], v[99:100]
	v_fma_f64 v[107:108], -v[101:102], v[103:104], 1.0
	v_fma_f64 v[103:104], v[103:104], v[107:108], v[103:104]
	v_mul_f64 v[107:108], v[105:106], v[103:104]
	v_fma_f64 v[101:102], -v[101:102], v[107:108], v[105:106]
	v_div_fmas_f64 v[101:102], v[101:102], v[103:104], v[107:108]
	v_div_fixup_f64 v[103:104], v[101:102], v[97:98], v[99:100]
	v_fma_f64 v[97:98], v[99:100], v[103:104], v[97:98]
	v_div_scale_f64 v[99:100], s[6:7], v[97:98], v[97:98], 1.0
	v_div_scale_f64 v[107:108], vcc, 1.0, v[97:98], 1.0
	v_rcp_f64_e32 v[101:102], v[99:100]
	v_fma_f64 v[105:106], -v[99:100], v[101:102], 1.0
	v_fma_f64 v[101:102], v[101:102], v[105:106], v[101:102]
	v_fma_f64 v[105:106], -v[99:100], v[101:102], 1.0
	v_fma_f64 v[101:102], v[101:102], v[105:106], v[101:102]
	v_mul_f64 v[105:106], v[107:108], v[101:102]
	v_fma_f64 v[99:100], -v[99:100], v[105:106], v[107:108]
	v_div_fmas_f64 v[99:100], v[99:100], v[101:102], v[105:106]
	v_div_fixup_f64 v[101:102], v[99:100], v[97:98], 1.0
	v_mul_f64 v[103:104], v[103:104], -v[101:102]
.LBB115_25:
	s_or_b64 exec, exec, s[2:3]
	ds_write2_b64 v127, v[101:102], v[103:104] offset1:1
.LBB115_26:
	s_or_b64 exec, exec, s[4:5]
	s_waitcnt lgkmcnt(0)
	s_barrier
	ds_read2_b64 v[87:90], v127 offset1:1
	v_cmp_lt_u32_e32 vcc, 2, v0
	s_waitcnt lgkmcnt(0)
	buffer_store_dword v87, off, s[20:23], 0 offset:1224 ; 4-byte Folded Spill
	s_nop 0
	buffer_store_dword v88, off, s[20:23], 0 offset:1228 ; 4-byte Folded Spill
	buffer_store_dword v89, off, s[20:23], 0 offset:1232 ; 4-byte Folded Spill
	buffer_store_dword v90, off, s[20:23], 0 offset:1236 ; 4-byte Folded Spill
	s_and_saveexec_b64 s[2:3], vcc
	s_cbranch_execz .LBB115_28
; %bb.27:
	buffer_load_dword v107, off, s[20:23], 0 offset:688 ; 4-byte Folded Reload
	buffer_load_dword v108, off, s[20:23], 0 offset:692 ; 4-byte Folded Reload
	;; [unrolled: 1-line block ×8, first 2 shown]
	s_waitcnt vmcnt(2)
	v_mul_f64 v[99:100], v[87:88], v[109:110]
	s_waitcnt vmcnt(0)
	v_mul_f64 v[97:98], v[89:90], v[109:110]
	v_fma_f64 v[109:110], v[89:90], v[107:108], v[99:100]
	ds_read2_b64 v[99:102], v125 offset0:6 offset1:7
	v_fma_f64 v[97:98], v[87:88], v[107:108], -v[97:98]
	buffer_load_dword v105, off, s[20:23], 0 offset:672 ; 4-byte Folded Reload
	buffer_load_dword v106, off, s[20:23], 0 offset:676 ; 4-byte Folded Reload
	buffer_load_dword v107, off, s[20:23], 0 offset:680 ; 4-byte Folded Reload
	buffer_load_dword v108, off, s[20:23], 0 offset:684 ; 4-byte Folded Reload
	s_waitcnt lgkmcnt(0)
	v_mul_f64 v[103:104], v[101:102], v[109:110]
	v_fma_f64 v[103:104], v[99:100], v[97:98], -v[103:104]
	v_mul_f64 v[99:100], v[99:100], v[109:110]
	v_fma_f64 v[99:100], v[101:102], v[97:98], v[99:100]
	s_waitcnt vmcnt(2)
	v_add_f64 v[105:106], v[105:106], -v[103:104]
	s_waitcnt vmcnt(0)
	v_add_f64 v[107:108], v[107:108], -v[99:100]
	buffer_store_dword v105, off, s[20:23], 0 offset:672 ; 4-byte Folded Spill
	s_nop 0
	buffer_store_dword v106, off, s[20:23], 0 offset:676 ; 4-byte Folded Spill
	buffer_store_dword v107, off, s[20:23], 0 offset:680 ; 4-byte Folded Spill
	buffer_store_dword v108, off, s[20:23], 0 offset:684 ; 4-byte Folded Spill
	ds_read2_b64 v[99:102], v125 offset0:8 offset1:9
	buffer_load_dword v105, off, s[20:23], 0 offset:656 ; 4-byte Folded Reload
	buffer_load_dword v106, off, s[20:23], 0 offset:660 ; 4-byte Folded Reload
	buffer_load_dword v107, off, s[20:23], 0 offset:664 ; 4-byte Folded Reload
	buffer_load_dword v108, off, s[20:23], 0 offset:668 ; 4-byte Folded Reload
	s_waitcnt lgkmcnt(0)
	v_mul_f64 v[103:104], v[101:102], v[109:110]
	v_fma_f64 v[103:104], v[99:100], v[97:98], -v[103:104]
	v_mul_f64 v[99:100], v[99:100], v[109:110]
	v_fma_f64 v[99:100], v[101:102], v[97:98], v[99:100]
	s_waitcnt vmcnt(2)
	v_add_f64 v[105:106], v[105:106], -v[103:104]
	s_waitcnt vmcnt(0)
	v_add_f64 v[107:108], v[107:108], -v[99:100]
	buffer_store_dword v105, off, s[20:23], 0 offset:656 ; 4-byte Folded Spill
	s_nop 0
	buffer_store_dword v106, off, s[20:23], 0 offset:660 ; 4-byte Folded Spill
	buffer_store_dword v107, off, s[20:23], 0 offset:664 ; 4-byte Folded Spill
	buffer_store_dword v108, off, s[20:23], 0 offset:668 ; 4-byte Folded Spill
	ds_read2_b64 v[99:102], v125 offset0:10 offset1:11
	;; [unrolled: 19-line block ×32, first 2 shown]
	v_mov_b32_e32 v108, v98
	v_mov_b32_e32 v107, v97
	s_waitcnt lgkmcnt(0)
	v_mul_f64 v[103:104], v[101:102], v[109:110]
	v_fma_f64 v[103:104], v[99:100], v[97:98], -v[103:104]
	v_mul_f64 v[99:100], v[99:100], v[109:110]
	v_add_f64 v[91:92], v[91:92], -v[103:104]
	v_fma_f64 v[99:100], v[101:102], v[97:98], v[99:100]
	v_add_f64 v[93:94], v[93:94], -v[99:100]
	ds_read2_b64 v[99:102], v125 offset0:72 offset1:73
	buffer_load_dword v77, off, s[20:23], 0 offset:160 ; 4-byte Folded Reload
	buffer_load_dword v78, off, s[20:23], 0 offset:164 ; 4-byte Folded Reload
	buffer_load_dword v79, off, s[20:23], 0 offset:168 ; 4-byte Folded Reload
	buffer_load_dword v80, off, s[20:23], 0 offset:172 ; 4-byte Folded Reload
	s_waitcnt lgkmcnt(0)
	v_mul_f64 v[103:104], v[101:102], v[109:110]
	v_fma_f64 v[103:104], v[99:100], v[97:98], -v[103:104]
	v_mul_f64 v[99:100], v[99:100], v[109:110]
	v_fma_f64 v[99:100], v[101:102], v[97:98], v[99:100]
	s_waitcnt vmcnt(2)
	v_add_f64 v[77:78], v[77:78], -v[103:104]
	s_waitcnt vmcnt(0)
	v_add_f64 v[79:80], v[79:80], -v[99:100]
	buffer_store_dword v77, off, s[20:23], 0 offset:160 ; 4-byte Folded Spill
	s_nop 0
	buffer_store_dword v78, off, s[20:23], 0 offset:164 ; 4-byte Folded Spill
	buffer_store_dword v79, off, s[20:23], 0 offset:168 ; 4-byte Folded Spill
	buffer_store_dword v80, off, s[20:23], 0 offset:172 ; 4-byte Folded Spill
	ds_read2_b64 v[99:102], v125 offset0:74 offset1:75
	buffer_load_dword v77, off, s[20:23], 0 offset:144 ; 4-byte Folded Reload
	buffer_load_dword v78, off, s[20:23], 0 offset:148 ; 4-byte Folded Reload
	buffer_load_dword v79, off, s[20:23], 0 offset:152 ; 4-byte Folded Reload
	buffer_load_dword v80, off, s[20:23], 0 offset:156 ; 4-byte Folded Reload
	s_waitcnt lgkmcnt(0)
	v_mul_f64 v[103:104], v[101:102], v[109:110]
	v_fma_f64 v[103:104], v[99:100], v[97:98], -v[103:104]
	v_mul_f64 v[99:100], v[99:100], v[109:110]
	v_fma_f64 v[99:100], v[101:102], v[97:98], v[99:100]
	s_waitcnt vmcnt(2)
	v_add_f64 v[77:78], v[77:78], -v[103:104]
	s_waitcnt vmcnt(0)
	v_add_f64 v[79:80], v[79:80], -v[99:100]
	buffer_store_dword v77, off, s[20:23], 0 offset:144 ; 4-byte Folded Spill
	s_nop 0
	buffer_store_dword v78, off, s[20:23], 0 offset:148 ; 4-byte Folded Spill
	buffer_store_dword v79, off, s[20:23], 0 offset:152 ; 4-byte Folded Spill
	buffer_store_dword v80, off, s[20:23], 0 offset:156 ; 4-byte Folded Spill
	ds_read2_b64 v[99:102], v125 offset0:76 offset1:77
	buffer_load_dword v73, off, s[20:23], 0 offset:128 ; 4-byte Folded Reload
	buffer_load_dword v74, off, s[20:23], 0 offset:132 ; 4-byte Folded Reload
	buffer_load_dword v75, off, s[20:23], 0 offset:136 ; 4-byte Folded Reload
	buffer_load_dword v76, off, s[20:23], 0 offset:140 ; 4-byte Folded Reload
	s_waitcnt lgkmcnt(0)
	v_mul_f64 v[103:104], v[101:102], v[109:110]
	v_fma_f64 v[103:104], v[99:100], v[97:98], -v[103:104]
	v_mul_f64 v[99:100], v[99:100], v[109:110]
	v_fma_f64 v[99:100], v[101:102], v[97:98], v[99:100]
	s_waitcnt vmcnt(2)
	v_add_f64 v[73:74], v[73:74], -v[103:104]
	s_waitcnt vmcnt(0)
	v_add_f64 v[75:76], v[75:76], -v[99:100]
	buffer_store_dword v73, off, s[20:23], 0 offset:128 ; 4-byte Folded Spill
	s_nop 0
	buffer_store_dword v74, off, s[20:23], 0 offset:132 ; 4-byte Folded Spill
	buffer_store_dword v75, off, s[20:23], 0 offset:136 ; 4-byte Folded Spill
	buffer_store_dword v76, off, s[20:23], 0 offset:140 ; 4-byte Folded Spill
	ds_read2_b64 v[99:102], v125 offset0:78 offset1:79
	buffer_load_dword v69, off, s[20:23], 0 offset:112 ; 4-byte Folded Reload
	buffer_load_dword v70, off, s[20:23], 0 offset:116 ; 4-byte Folded Reload
	buffer_load_dword v71, off, s[20:23], 0 offset:120 ; 4-byte Folded Reload
	buffer_load_dword v72, off, s[20:23], 0 offset:124 ; 4-byte Folded Reload
	s_waitcnt lgkmcnt(0)
	v_mul_f64 v[103:104], v[101:102], v[109:110]
	v_fma_f64 v[103:104], v[99:100], v[97:98], -v[103:104]
	v_mul_f64 v[99:100], v[99:100], v[109:110]
	v_fma_f64 v[99:100], v[101:102], v[97:98], v[99:100]
	s_waitcnt vmcnt(2)
	v_add_f64 v[69:70], v[69:70], -v[103:104]
	s_waitcnt vmcnt(0)
	v_add_f64 v[71:72], v[71:72], -v[99:100]
	buffer_store_dword v69, off, s[20:23], 0 offset:112 ; 4-byte Folded Spill
	s_nop 0
	buffer_store_dword v70, off, s[20:23], 0 offset:116 ; 4-byte Folded Spill
	buffer_store_dword v71, off, s[20:23], 0 offset:120 ; 4-byte Folded Spill
	buffer_store_dword v72, off, s[20:23], 0 offset:124 ; 4-byte Folded Spill
	ds_read2_b64 v[99:102], v125 offset0:80 offset1:81
	buffer_load_dword v65, off, s[20:23], 0 offset:96 ; 4-byte Folded Reload
	buffer_load_dword v66, off, s[20:23], 0 offset:100 ; 4-byte Folded Reload
	buffer_load_dword v67, off, s[20:23], 0 offset:104 ; 4-byte Folded Reload
	buffer_load_dword v68, off, s[20:23], 0 offset:108 ; 4-byte Folded Reload
	s_waitcnt lgkmcnt(0)
	v_mul_f64 v[103:104], v[101:102], v[109:110]
	v_fma_f64 v[103:104], v[99:100], v[97:98], -v[103:104]
	v_mul_f64 v[99:100], v[99:100], v[109:110]
	v_fma_f64 v[99:100], v[101:102], v[97:98], v[99:100]
	s_waitcnt vmcnt(2)
	v_add_f64 v[65:66], v[65:66], -v[103:104]
	s_waitcnt vmcnt(0)
	v_add_f64 v[67:68], v[67:68], -v[99:100]
	buffer_store_dword v65, off, s[20:23], 0 offset:96 ; 4-byte Folded Spill
	s_nop 0
	buffer_store_dword v66, off, s[20:23], 0 offset:100 ; 4-byte Folded Spill
	buffer_store_dword v67, off, s[20:23], 0 offset:104 ; 4-byte Folded Spill
	buffer_store_dword v68, off, s[20:23], 0 offset:108 ; 4-byte Folded Spill
	ds_read2_b64 v[99:102], v125 offset0:82 offset1:83
	buffer_load_dword v61, off, s[20:23], 0 offset:80 ; 4-byte Folded Reload
	buffer_load_dword v62, off, s[20:23], 0 offset:84 ; 4-byte Folded Reload
	buffer_load_dword v63, off, s[20:23], 0 offset:88 ; 4-byte Folded Reload
	buffer_load_dword v64, off, s[20:23], 0 offset:92 ; 4-byte Folded Reload
	s_waitcnt lgkmcnt(0)
	v_mul_f64 v[103:104], v[101:102], v[109:110]
	v_fma_f64 v[103:104], v[99:100], v[97:98], -v[103:104]
	v_mul_f64 v[99:100], v[99:100], v[109:110]
	v_fma_f64 v[99:100], v[101:102], v[97:98], v[99:100]
	s_waitcnt vmcnt(2)
	v_add_f64 v[61:62], v[61:62], -v[103:104]
	s_waitcnt vmcnt(0)
	v_add_f64 v[63:64], v[63:64], -v[99:100]
	buffer_store_dword v61, off, s[20:23], 0 offset:80 ; 4-byte Folded Spill
	s_nop 0
	buffer_store_dword v62, off, s[20:23], 0 offset:84 ; 4-byte Folded Spill
	buffer_store_dword v63, off, s[20:23], 0 offset:88 ; 4-byte Folded Spill
	buffer_store_dword v64, off, s[20:23], 0 offset:92 ; 4-byte Folded Spill
	ds_read2_b64 v[99:102], v125 offset0:84 offset1:85
	buffer_load_dword v57, off, s[20:23], 0 offset:64 ; 4-byte Folded Reload
	buffer_load_dword v58, off, s[20:23], 0 offset:68 ; 4-byte Folded Reload
	buffer_load_dword v59, off, s[20:23], 0 offset:72 ; 4-byte Folded Reload
	buffer_load_dword v60, off, s[20:23], 0 offset:76 ; 4-byte Folded Reload
	s_waitcnt lgkmcnt(0)
	v_mul_f64 v[103:104], v[101:102], v[109:110]
	v_fma_f64 v[103:104], v[99:100], v[97:98], -v[103:104]
	v_mul_f64 v[99:100], v[99:100], v[109:110]
	v_fma_f64 v[99:100], v[101:102], v[97:98], v[99:100]
	s_waitcnt vmcnt(2)
	v_add_f64 v[57:58], v[57:58], -v[103:104]
	s_waitcnt vmcnt(0)
	v_add_f64 v[59:60], v[59:60], -v[99:100]
	buffer_store_dword v57, off, s[20:23], 0 offset:64 ; 4-byte Folded Spill
	s_nop 0
	buffer_store_dword v58, off, s[20:23], 0 offset:68 ; 4-byte Folded Spill
	buffer_store_dword v59, off, s[20:23], 0 offset:72 ; 4-byte Folded Spill
	buffer_store_dword v60, off, s[20:23], 0 offset:76 ; 4-byte Folded Spill
	ds_read2_b64 v[99:102], v125 offset0:86 offset1:87
	buffer_load_dword v53, off, s[20:23], 0 offset:48 ; 4-byte Folded Reload
	buffer_load_dword v54, off, s[20:23], 0 offset:52 ; 4-byte Folded Reload
	buffer_load_dword v55, off, s[20:23], 0 offset:56 ; 4-byte Folded Reload
	buffer_load_dword v56, off, s[20:23], 0 offset:60 ; 4-byte Folded Reload
	s_waitcnt lgkmcnt(0)
	v_mul_f64 v[103:104], v[101:102], v[109:110]
	v_fma_f64 v[103:104], v[99:100], v[97:98], -v[103:104]
	v_mul_f64 v[99:100], v[99:100], v[109:110]
	v_fma_f64 v[99:100], v[101:102], v[97:98], v[99:100]
	s_waitcnt vmcnt(2)
	v_add_f64 v[53:54], v[53:54], -v[103:104]
	s_waitcnt vmcnt(0)
	v_add_f64 v[55:56], v[55:56], -v[99:100]
	buffer_store_dword v53, off, s[20:23], 0 offset:48 ; 4-byte Folded Spill
	s_nop 0
	buffer_store_dword v54, off, s[20:23], 0 offset:52 ; 4-byte Folded Spill
	buffer_store_dword v55, off, s[20:23], 0 offset:56 ; 4-byte Folded Spill
	buffer_store_dword v56, off, s[20:23], 0 offset:60 ; 4-byte Folded Spill
	ds_read2_b64 v[99:102], v125 offset0:88 offset1:89
	buffer_load_dword v49, off, s[20:23], 0 offset:32 ; 4-byte Folded Reload
	buffer_load_dword v50, off, s[20:23], 0 offset:36 ; 4-byte Folded Reload
	buffer_load_dword v51, off, s[20:23], 0 offset:40 ; 4-byte Folded Reload
	buffer_load_dword v52, off, s[20:23], 0 offset:44 ; 4-byte Folded Reload
	s_waitcnt lgkmcnt(0)
	v_mul_f64 v[103:104], v[101:102], v[109:110]
	v_fma_f64 v[103:104], v[99:100], v[97:98], -v[103:104]
	v_mul_f64 v[99:100], v[99:100], v[109:110]
	v_fma_f64 v[99:100], v[101:102], v[97:98], v[99:100]
	s_waitcnt vmcnt(2)
	v_add_f64 v[49:50], v[49:50], -v[103:104]
	s_waitcnt vmcnt(0)
	v_add_f64 v[51:52], v[51:52], -v[99:100]
	buffer_store_dword v49, off, s[20:23], 0 offset:32 ; 4-byte Folded Spill
	s_nop 0
	buffer_store_dword v50, off, s[20:23], 0 offset:36 ; 4-byte Folded Spill
	buffer_store_dword v51, off, s[20:23], 0 offset:40 ; 4-byte Folded Spill
	buffer_store_dword v52, off, s[20:23], 0 offset:44 ; 4-byte Folded Spill
	ds_read2_b64 v[99:102], v125 offset0:90 offset1:91
	buffer_load_dword v45, off, s[20:23], 0 offset:16 ; 4-byte Folded Reload
	buffer_load_dword v46, off, s[20:23], 0 offset:20 ; 4-byte Folded Reload
	buffer_load_dword v47, off, s[20:23], 0 offset:24 ; 4-byte Folded Reload
	buffer_load_dword v48, off, s[20:23], 0 offset:28 ; 4-byte Folded Reload
	s_waitcnt lgkmcnt(0)
	v_mul_f64 v[103:104], v[101:102], v[109:110]
	v_fma_f64 v[103:104], v[99:100], v[97:98], -v[103:104]
	v_mul_f64 v[99:100], v[99:100], v[109:110]
	v_fma_f64 v[99:100], v[101:102], v[97:98], v[99:100]
	s_waitcnt vmcnt(2)
	v_add_f64 v[45:46], v[45:46], -v[103:104]
	s_waitcnt vmcnt(0)
	v_add_f64 v[47:48], v[47:48], -v[99:100]
	buffer_store_dword v45, off, s[20:23], 0 offset:16 ; 4-byte Folded Spill
	s_nop 0
	buffer_store_dword v46, off, s[20:23], 0 offset:20 ; 4-byte Folded Spill
	buffer_store_dword v47, off, s[20:23], 0 offset:24 ; 4-byte Folded Spill
	buffer_store_dword v48, off, s[20:23], 0 offset:28 ; 4-byte Folded Spill
	ds_read2_b64 v[99:102], v125 offset0:92 offset1:93
	buffer_load_dword v41, off, s[20:23], 0 ; 4-byte Folded Reload
	buffer_load_dword v42, off, s[20:23], 0 offset:4 ; 4-byte Folded Reload
	buffer_load_dword v43, off, s[20:23], 0 offset:8 ; 4-byte Folded Reload
	;; [unrolled: 1-line block ×3, first 2 shown]
	s_waitcnt lgkmcnt(0)
	v_mul_f64 v[103:104], v[101:102], v[109:110]
	v_fma_f64 v[103:104], v[99:100], v[97:98], -v[103:104]
	v_mul_f64 v[99:100], v[99:100], v[109:110]
	v_fma_f64 v[99:100], v[101:102], v[97:98], v[99:100]
	s_waitcnt vmcnt(2)
	v_add_f64 v[41:42], v[41:42], -v[103:104]
	s_waitcnt vmcnt(0)
	v_add_f64 v[43:44], v[43:44], -v[99:100]
	buffer_store_dword v41, off, s[20:23], 0 ; 4-byte Folded Spill
	s_nop 0
	buffer_store_dword v42, off, s[20:23], 0 offset:4 ; 4-byte Folded Spill
	buffer_store_dword v43, off, s[20:23], 0 offset:8 ; 4-byte Folded Spill
	;; [unrolled: 1-line block ×3, first 2 shown]
	ds_read2_b64 v[99:102], v125 offset0:94 offset1:95
	s_waitcnt lgkmcnt(0)
	v_mul_f64 v[103:104], v[101:102], v[109:110]
	v_fma_f64 v[103:104], v[99:100], v[97:98], -v[103:104]
	v_mul_f64 v[99:100], v[99:100], v[109:110]
	v_add_f64 v[37:38], v[37:38], -v[103:104]
	v_fma_f64 v[99:100], v[101:102], v[97:98], v[99:100]
	v_add_f64 v[39:40], v[39:40], -v[99:100]
	ds_read2_b64 v[99:102], v125 offset0:96 offset1:97
	s_waitcnt lgkmcnt(0)
	v_mul_f64 v[103:104], v[101:102], v[109:110]
	v_fma_f64 v[103:104], v[99:100], v[97:98], -v[103:104]
	v_mul_f64 v[99:100], v[99:100], v[109:110]
	v_add_f64 v[33:34], v[33:34], -v[103:104]
	v_fma_f64 v[99:100], v[101:102], v[97:98], v[99:100]
	v_add_f64 v[35:36], v[35:36], -v[99:100]
	;; [unrolled: 8-line block ×9, first 2 shown]
	ds_read2_b64 v[99:102], v125 offset0:112 offset1:113
	s_waitcnt lgkmcnt(0)
	v_mul_f64 v[103:104], v[101:102], v[109:110]
	v_fma_f64 v[103:104], v[99:100], v[97:98], -v[103:104]
	v_mul_f64 v[99:100], v[99:100], v[109:110]
	v_add_f64 v[1:2], v[1:2], -v[103:104]
	v_fma_f64 v[99:100], v[101:102], v[97:98], v[99:100]
	ds_read2_b64 v[101:104], v125 offset0:114 offset1:115
	v_add_f64 v[3:4], v[3:4], -v[99:100]
	s_waitcnt lgkmcnt(0)
	v_mul_f64 v[99:100], v[103:104], v[109:110]
	v_fma_f64 v[99:100], v[101:102], v[97:98], -v[99:100]
	v_mul_f64 v[101:102], v[101:102], v[109:110]
	buffer_store_dword v107, off, s[20:23], 0 offset:688 ; 4-byte Folded Spill
	s_nop 0
	buffer_store_dword v108, off, s[20:23], 0 offset:692 ; 4-byte Folded Spill
	buffer_store_dword v109, off, s[20:23], 0 offset:696 ; 4-byte Folded Spill
	;; [unrolled: 1-line block ×3, first 2 shown]
	v_add_f64 v[121:122], v[121:122], -v[99:100]
	v_fma_f64 v[101:102], v[103:104], v[97:98], v[101:102]
	v_add_f64 v[123:124], v[123:124], -v[101:102]
.LBB115_28:
	s_or_b64 exec, exec, s[2:3]
	v_cmp_eq_u32_e32 vcc, 3, v0
	s_waitcnt vmcnt(0)
	s_barrier
	s_and_saveexec_b64 s[4:5], vcc
	s_cbranch_execz .LBB115_35
; %bb.29:
	buffer_load_dword v95, off, s[20:23], 0 offset:672 ; 4-byte Folded Reload
	buffer_load_dword v96, off, s[20:23], 0 offset:676 ; 4-byte Folded Reload
	buffer_load_dword v97, off, s[20:23], 0 offset:680 ; 4-byte Folded Reload
	buffer_load_dword v98, off, s[20:23], 0 offset:684 ; 4-byte Folded Reload
	s_waitcnt vmcnt(0)
	ds_write2_b64 v127, v[95:96], v[97:98] offset1:1
	buffer_load_dword v95, off, s[20:23], 0 offset:656 ; 4-byte Folded Reload
	buffer_load_dword v96, off, s[20:23], 0 offset:660 ; 4-byte Folded Reload
	buffer_load_dword v97, off, s[20:23], 0 offset:664 ; 4-byte Folded Reload
	buffer_load_dword v98, off, s[20:23], 0 offset:668 ; 4-byte Folded Reload
	s_waitcnt vmcnt(0)
	ds_write2_b64 v125, v[95:96], v[97:98] offset0:8 offset1:9
	buffer_load_dword v95, off, s[20:23], 0 offset:640 ; 4-byte Folded Reload
	buffer_load_dword v96, off, s[20:23], 0 offset:644 ; 4-byte Folded Reload
	buffer_load_dword v97, off, s[20:23], 0 offset:648 ; 4-byte Folded Reload
	buffer_load_dword v98, off, s[20:23], 0 offset:652 ; 4-byte Folded Reload
	s_waitcnt vmcnt(0)
	ds_write2_b64 v125, v[95:96], v[97:98] offset0:10 offset1:11
	;; [unrolled: 6-line block ×31, first 2 shown]
	ds_write2_b64 v125, v[91:92], v[93:94] offset0:70 offset1:71
	buffer_load_dword v77, off, s[20:23], 0 offset:160 ; 4-byte Folded Reload
	buffer_load_dword v78, off, s[20:23], 0 offset:164 ; 4-byte Folded Reload
	buffer_load_dword v79, off, s[20:23], 0 offset:168 ; 4-byte Folded Reload
	buffer_load_dword v80, off, s[20:23], 0 offset:172 ; 4-byte Folded Reload
	s_waitcnt vmcnt(0)
	ds_write2_b64 v125, v[77:78], v[79:80] offset0:72 offset1:73
	buffer_load_dword v77, off, s[20:23], 0 offset:144 ; 4-byte Folded Reload
	buffer_load_dword v78, off, s[20:23], 0 offset:148 ; 4-byte Folded Reload
	buffer_load_dword v79, off, s[20:23], 0 offset:152 ; 4-byte Folded Reload
	buffer_load_dword v80, off, s[20:23], 0 offset:156 ; 4-byte Folded Reload
	s_waitcnt vmcnt(0)
	;; [unrolled: 6-line block ×10, first 2 shown]
	ds_write2_b64 v125, v[45:46], v[47:48] offset0:90 offset1:91
	buffer_load_dword v41, off, s[20:23], 0 ; 4-byte Folded Reload
	buffer_load_dword v42, off, s[20:23], 0 offset:4 ; 4-byte Folded Reload
	buffer_load_dword v43, off, s[20:23], 0 offset:8 ; 4-byte Folded Reload
	;; [unrolled: 1-line block ×3, first 2 shown]
	s_waitcnt vmcnt(0)
	ds_write2_b64 v125, v[41:42], v[43:44] offset0:92 offset1:93
	ds_write2_b64 v125, v[37:38], v[39:40] offset0:94 offset1:95
	;; [unrolled: 1-line block ×12, first 2 shown]
	ds_read2_b64 v[97:100], v127 offset1:1
	s_waitcnt lgkmcnt(0)
	v_cmp_neq_f64_e32 vcc, 0, v[97:98]
	v_cmp_neq_f64_e64 s[2:3], 0, v[99:100]
	s_or_b64 s[2:3], vcc, s[2:3]
	s_and_b64 exec, exec, s[2:3]
	s_cbranch_execz .LBB115_35
; %bb.30:
	v_cmp_ngt_f64_e64 s[2:3], |v[97:98]|, |v[99:100]|
                                        ; implicit-def: $vgpr101_vgpr102
	s_and_saveexec_b64 s[6:7], s[2:3]
	s_xor_b64 s[2:3], exec, s[6:7]
                                        ; implicit-def: $vgpr103_vgpr104
	s_cbranch_execz .LBB115_32
; %bb.31:
	v_div_scale_f64 v[101:102], s[6:7], v[99:100], v[99:100], v[97:98]
	v_rcp_f64_e32 v[103:104], v[101:102]
	v_fma_f64 v[105:106], -v[101:102], v[103:104], 1.0
	v_fma_f64 v[103:104], v[103:104], v[105:106], v[103:104]
	v_div_scale_f64 v[105:106], vcc, v[97:98], v[99:100], v[97:98]
	v_fma_f64 v[107:108], -v[101:102], v[103:104], 1.0
	v_fma_f64 v[103:104], v[103:104], v[107:108], v[103:104]
	v_mul_f64 v[107:108], v[105:106], v[103:104]
	v_fma_f64 v[101:102], -v[101:102], v[107:108], v[105:106]
	v_div_fmas_f64 v[101:102], v[101:102], v[103:104], v[107:108]
	v_div_fixup_f64 v[101:102], v[101:102], v[99:100], v[97:98]
	v_fma_f64 v[97:98], v[97:98], v[101:102], v[99:100]
	v_div_scale_f64 v[99:100], s[6:7], v[97:98], v[97:98], 1.0
	v_div_scale_f64 v[107:108], vcc, 1.0, v[97:98], 1.0
	v_rcp_f64_e32 v[103:104], v[99:100]
	v_fma_f64 v[105:106], -v[99:100], v[103:104], 1.0
	v_fma_f64 v[103:104], v[103:104], v[105:106], v[103:104]
	v_fma_f64 v[105:106], -v[99:100], v[103:104], 1.0
	v_fma_f64 v[103:104], v[103:104], v[105:106], v[103:104]
	v_mul_f64 v[105:106], v[107:108], v[103:104]
	v_fma_f64 v[99:100], -v[99:100], v[105:106], v[107:108]
	v_div_fmas_f64 v[99:100], v[99:100], v[103:104], v[105:106]
	v_div_fixup_f64 v[103:104], v[99:100], v[97:98], 1.0
                                        ; implicit-def: $vgpr97_vgpr98
	v_mul_f64 v[101:102], v[101:102], v[103:104]
	v_xor_b32_e32 v104, 0x80000000, v104
.LBB115_32:
	s_andn2_saveexec_b64 s[2:3], s[2:3]
	s_cbranch_execz .LBB115_34
; %bb.33:
	v_div_scale_f64 v[101:102], s[6:7], v[97:98], v[97:98], v[99:100]
	v_rcp_f64_e32 v[103:104], v[101:102]
	v_fma_f64 v[105:106], -v[101:102], v[103:104], 1.0
	v_fma_f64 v[103:104], v[103:104], v[105:106], v[103:104]
	v_div_scale_f64 v[105:106], vcc, v[99:100], v[97:98], v[99:100]
	v_fma_f64 v[107:108], -v[101:102], v[103:104], 1.0
	v_fma_f64 v[103:104], v[103:104], v[107:108], v[103:104]
	v_mul_f64 v[107:108], v[105:106], v[103:104]
	v_fma_f64 v[101:102], -v[101:102], v[107:108], v[105:106]
	v_div_fmas_f64 v[101:102], v[101:102], v[103:104], v[107:108]
	v_div_fixup_f64 v[103:104], v[101:102], v[97:98], v[99:100]
	v_fma_f64 v[97:98], v[99:100], v[103:104], v[97:98]
	v_div_scale_f64 v[99:100], s[6:7], v[97:98], v[97:98], 1.0
	v_div_scale_f64 v[107:108], vcc, 1.0, v[97:98], 1.0
	v_rcp_f64_e32 v[101:102], v[99:100]
	v_fma_f64 v[105:106], -v[99:100], v[101:102], 1.0
	v_fma_f64 v[101:102], v[101:102], v[105:106], v[101:102]
	v_fma_f64 v[105:106], -v[99:100], v[101:102], 1.0
	v_fma_f64 v[101:102], v[101:102], v[105:106], v[101:102]
	v_mul_f64 v[105:106], v[107:108], v[101:102]
	v_fma_f64 v[99:100], -v[99:100], v[105:106], v[107:108]
	v_div_fmas_f64 v[99:100], v[99:100], v[101:102], v[105:106]
	v_div_fixup_f64 v[101:102], v[99:100], v[97:98], 1.0
	v_mul_f64 v[103:104], v[103:104], -v[101:102]
.LBB115_34:
	s_or_b64 exec, exec, s[2:3]
	ds_write2_b64 v127, v[101:102], v[103:104] offset1:1
.LBB115_35:
	s_or_b64 exec, exec, s[4:5]
	s_waitcnt lgkmcnt(0)
	s_barrier
	ds_read2_b64 v[87:90], v127 offset1:1
	v_cmp_lt_u32_e32 vcc, 3, v0
	s_waitcnt lgkmcnt(0)
	buffer_store_dword v87, off, s[20:23], 0 offset:1240 ; 4-byte Folded Spill
	s_nop 0
	buffer_store_dword v88, off, s[20:23], 0 offset:1244 ; 4-byte Folded Spill
	buffer_store_dword v89, off, s[20:23], 0 offset:1248 ; 4-byte Folded Spill
	;; [unrolled: 1-line block ×3, first 2 shown]
	s_and_saveexec_b64 s[2:3], vcc
	s_cbranch_execz .LBB115_37
; %bb.36:
	buffer_load_dword v107, off, s[20:23], 0 offset:672 ; 4-byte Folded Reload
	buffer_load_dword v108, off, s[20:23], 0 offset:676 ; 4-byte Folded Reload
	;; [unrolled: 1-line block ×8, first 2 shown]
	s_waitcnt vmcnt(2)
	v_mul_f64 v[99:100], v[87:88], v[109:110]
	s_waitcnt vmcnt(0)
	v_mul_f64 v[97:98], v[89:90], v[109:110]
	v_fma_f64 v[109:110], v[89:90], v[107:108], v[99:100]
	ds_read2_b64 v[99:102], v125 offset0:8 offset1:9
	v_fma_f64 v[97:98], v[87:88], v[107:108], -v[97:98]
	buffer_load_dword v105, off, s[20:23], 0 offset:656 ; 4-byte Folded Reload
	buffer_load_dword v106, off, s[20:23], 0 offset:660 ; 4-byte Folded Reload
	buffer_load_dword v107, off, s[20:23], 0 offset:664 ; 4-byte Folded Reload
	buffer_load_dword v108, off, s[20:23], 0 offset:668 ; 4-byte Folded Reload
	s_waitcnt lgkmcnt(0)
	v_mul_f64 v[103:104], v[101:102], v[109:110]
	v_fma_f64 v[103:104], v[99:100], v[97:98], -v[103:104]
	v_mul_f64 v[99:100], v[99:100], v[109:110]
	v_fma_f64 v[99:100], v[101:102], v[97:98], v[99:100]
	s_waitcnt vmcnt(2)
	v_add_f64 v[105:106], v[105:106], -v[103:104]
	s_waitcnt vmcnt(0)
	v_add_f64 v[107:108], v[107:108], -v[99:100]
	buffer_store_dword v105, off, s[20:23], 0 offset:656 ; 4-byte Folded Spill
	s_nop 0
	buffer_store_dword v106, off, s[20:23], 0 offset:660 ; 4-byte Folded Spill
	buffer_store_dword v107, off, s[20:23], 0 offset:664 ; 4-byte Folded Spill
	buffer_store_dword v108, off, s[20:23], 0 offset:668 ; 4-byte Folded Spill
	ds_read2_b64 v[99:102], v125 offset0:10 offset1:11
	buffer_load_dword v105, off, s[20:23], 0 offset:640 ; 4-byte Folded Reload
	buffer_load_dword v106, off, s[20:23], 0 offset:644 ; 4-byte Folded Reload
	buffer_load_dword v107, off, s[20:23], 0 offset:648 ; 4-byte Folded Reload
	buffer_load_dword v108, off, s[20:23], 0 offset:652 ; 4-byte Folded Reload
	s_waitcnt lgkmcnt(0)
	v_mul_f64 v[103:104], v[101:102], v[109:110]
	v_fma_f64 v[103:104], v[99:100], v[97:98], -v[103:104]
	v_mul_f64 v[99:100], v[99:100], v[109:110]
	v_fma_f64 v[99:100], v[101:102], v[97:98], v[99:100]
	s_waitcnt vmcnt(2)
	v_add_f64 v[105:106], v[105:106], -v[103:104]
	s_waitcnt vmcnt(0)
	v_add_f64 v[107:108], v[107:108], -v[99:100]
	buffer_store_dword v105, off, s[20:23], 0 offset:640 ; 4-byte Folded Spill
	s_nop 0
	buffer_store_dword v106, off, s[20:23], 0 offset:644 ; 4-byte Folded Spill
	buffer_store_dword v107, off, s[20:23], 0 offset:648 ; 4-byte Folded Spill
	buffer_store_dword v108, off, s[20:23], 0 offset:652 ; 4-byte Folded Spill
	ds_read2_b64 v[99:102], v125 offset0:12 offset1:13
	;; [unrolled: 19-line block ×31, first 2 shown]
	v_mov_b32_e32 v108, v98
	v_mov_b32_e32 v107, v97
	s_waitcnt lgkmcnt(0)
	v_mul_f64 v[103:104], v[101:102], v[109:110]
	v_fma_f64 v[103:104], v[99:100], v[97:98], -v[103:104]
	v_mul_f64 v[99:100], v[99:100], v[109:110]
	v_add_f64 v[91:92], v[91:92], -v[103:104]
	v_fma_f64 v[99:100], v[101:102], v[97:98], v[99:100]
	v_add_f64 v[93:94], v[93:94], -v[99:100]
	ds_read2_b64 v[99:102], v125 offset0:72 offset1:73
	buffer_load_dword v77, off, s[20:23], 0 offset:160 ; 4-byte Folded Reload
	buffer_load_dword v78, off, s[20:23], 0 offset:164 ; 4-byte Folded Reload
	buffer_load_dword v79, off, s[20:23], 0 offset:168 ; 4-byte Folded Reload
	buffer_load_dword v80, off, s[20:23], 0 offset:172 ; 4-byte Folded Reload
	s_waitcnt lgkmcnt(0)
	v_mul_f64 v[103:104], v[101:102], v[109:110]
	v_fma_f64 v[103:104], v[99:100], v[97:98], -v[103:104]
	v_mul_f64 v[99:100], v[99:100], v[109:110]
	v_fma_f64 v[99:100], v[101:102], v[97:98], v[99:100]
	s_waitcnt vmcnt(2)
	v_add_f64 v[77:78], v[77:78], -v[103:104]
	s_waitcnt vmcnt(0)
	v_add_f64 v[79:80], v[79:80], -v[99:100]
	buffer_store_dword v77, off, s[20:23], 0 offset:160 ; 4-byte Folded Spill
	s_nop 0
	buffer_store_dword v78, off, s[20:23], 0 offset:164 ; 4-byte Folded Spill
	buffer_store_dword v79, off, s[20:23], 0 offset:168 ; 4-byte Folded Spill
	buffer_store_dword v80, off, s[20:23], 0 offset:172 ; 4-byte Folded Spill
	ds_read2_b64 v[99:102], v125 offset0:74 offset1:75
	buffer_load_dword v77, off, s[20:23], 0 offset:144 ; 4-byte Folded Reload
	buffer_load_dword v78, off, s[20:23], 0 offset:148 ; 4-byte Folded Reload
	buffer_load_dword v79, off, s[20:23], 0 offset:152 ; 4-byte Folded Reload
	buffer_load_dword v80, off, s[20:23], 0 offset:156 ; 4-byte Folded Reload
	s_waitcnt lgkmcnt(0)
	v_mul_f64 v[103:104], v[101:102], v[109:110]
	v_fma_f64 v[103:104], v[99:100], v[97:98], -v[103:104]
	v_mul_f64 v[99:100], v[99:100], v[109:110]
	v_fma_f64 v[99:100], v[101:102], v[97:98], v[99:100]
	s_waitcnt vmcnt(2)
	v_add_f64 v[77:78], v[77:78], -v[103:104]
	s_waitcnt vmcnt(0)
	v_add_f64 v[79:80], v[79:80], -v[99:100]
	buffer_store_dword v77, off, s[20:23], 0 offset:144 ; 4-byte Folded Spill
	s_nop 0
	buffer_store_dword v78, off, s[20:23], 0 offset:148 ; 4-byte Folded Spill
	buffer_store_dword v79, off, s[20:23], 0 offset:152 ; 4-byte Folded Spill
	buffer_store_dword v80, off, s[20:23], 0 offset:156 ; 4-byte Folded Spill
	;; [unrolled: 19-line block ×10, first 2 shown]
	ds_read2_b64 v[99:102], v125 offset0:92 offset1:93
	buffer_load_dword v41, off, s[20:23], 0 ; 4-byte Folded Reload
	buffer_load_dword v42, off, s[20:23], 0 offset:4 ; 4-byte Folded Reload
	buffer_load_dword v43, off, s[20:23], 0 offset:8 ; 4-byte Folded Reload
	;; [unrolled: 1-line block ×3, first 2 shown]
	s_waitcnt lgkmcnt(0)
	v_mul_f64 v[103:104], v[101:102], v[109:110]
	v_fma_f64 v[103:104], v[99:100], v[97:98], -v[103:104]
	v_mul_f64 v[99:100], v[99:100], v[109:110]
	v_fma_f64 v[99:100], v[101:102], v[97:98], v[99:100]
	s_waitcnt vmcnt(2)
	v_add_f64 v[41:42], v[41:42], -v[103:104]
	s_waitcnt vmcnt(0)
	v_add_f64 v[43:44], v[43:44], -v[99:100]
	buffer_store_dword v41, off, s[20:23], 0 ; 4-byte Folded Spill
	s_nop 0
	buffer_store_dword v42, off, s[20:23], 0 offset:4 ; 4-byte Folded Spill
	buffer_store_dword v43, off, s[20:23], 0 offset:8 ; 4-byte Folded Spill
	;; [unrolled: 1-line block ×3, first 2 shown]
	ds_read2_b64 v[99:102], v125 offset0:94 offset1:95
	s_waitcnt lgkmcnt(0)
	v_mul_f64 v[103:104], v[101:102], v[109:110]
	v_fma_f64 v[103:104], v[99:100], v[97:98], -v[103:104]
	v_mul_f64 v[99:100], v[99:100], v[109:110]
	v_add_f64 v[37:38], v[37:38], -v[103:104]
	v_fma_f64 v[99:100], v[101:102], v[97:98], v[99:100]
	v_add_f64 v[39:40], v[39:40], -v[99:100]
	ds_read2_b64 v[99:102], v125 offset0:96 offset1:97
	s_waitcnt lgkmcnt(0)
	v_mul_f64 v[103:104], v[101:102], v[109:110]
	v_fma_f64 v[103:104], v[99:100], v[97:98], -v[103:104]
	v_mul_f64 v[99:100], v[99:100], v[109:110]
	v_add_f64 v[33:34], v[33:34], -v[103:104]
	v_fma_f64 v[99:100], v[101:102], v[97:98], v[99:100]
	v_add_f64 v[35:36], v[35:36], -v[99:100]
	;; [unrolled: 8-line block ×9, first 2 shown]
	ds_read2_b64 v[99:102], v125 offset0:112 offset1:113
	s_waitcnt lgkmcnt(0)
	v_mul_f64 v[103:104], v[101:102], v[109:110]
	v_fma_f64 v[103:104], v[99:100], v[97:98], -v[103:104]
	v_mul_f64 v[99:100], v[99:100], v[109:110]
	v_add_f64 v[1:2], v[1:2], -v[103:104]
	v_fma_f64 v[99:100], v[101:102], v[97:98], v[99:100]
	ds_read2_b64 v[101:104], v125 offset0:114 offset1:115
	v_add_f64 v[3:4], v[3:4], -v[99:100]
	s_waitcnt lgkmcnt(0)
	v_mul_f64 v[99:100], v[103:104], v[109:110]
	v_fma_f64 v[99:100], v[101:102], v[97:98], -v[99:100]
	v_mul_f64 v[101:102], v[101:102], v[109:110]
	buffer_store_dword v107, off, s[20:23], 0 offset:672 ; 4-byte Folded Spill
	s_nop 0
	buffer_store_dword v108, off, s[20:23], 0 offset:676 ; 4-byte Folded Spill
	buffer_store_dword v109, off, s[20:23], 0 offset:680 ; 4-byte Folded Spill
	;; [unrolled: 1-line block ×3, first 2 shown]
	v_add_f64 v[121:122], v[121:122], -v[99:100]
	v_fma_f64 v[101:102], v[103:104], v[97:98], v[101:102]
	v_add_f64 v[123:124], v[123:124], -v[101:102]
.LBB115_37:
	s_or_b64 exec, exec, s[2:3]
	v_cmp_eq_u32_e32 vcc, 4, v0
	s_waitcnt vmcnt(0)
	s_barrier
	s_and_saveexec_b64 s[4:5], vcc
	s_cbranch_execz .LBB115_44
; %bb.38:
	buffer_load_dword v95, off, s[20:23], 0 offset:656 ; 4-byte Folded Reload
	buffer_load_dword v96, off, s[20:23], 0 offset:660 ; 4-byte Folded Reload
	;; [unrolled: 1-line block ×4, first 2 shown]
	s_waitcnt vmcnt(0)
	ds_write2_b64 v127, v[95:96], v[97:98] offset1:1
	buffer_load_dword v95, off, s[20:23], 0 offset:640 ; 4-byte Folded Reload
	buffer_load_dword v96, off, s[20:23], 0 offset:644 ; 4-byte Folded Reload
	buffer_load_dword v97, off, s[20:23], 0 offset:648 ; 4-byte Folded Reload
	buffer_load_dword v98, off, s[20:23], 0 offset:652 ; 4-byte Folded Reload
	s_waitcnt vmcnt(0)
	ds_write2_b64 v125, v[95:96], v[97:98] offset0:10 offset1:11
	buffer_load_dword v95, off, s[20:23], 0 offset:624 ; 4-byte Folded Reload
	buffer_load_dword v96, off, s[20:23], 0 offset:628 ; 4-byte Folded Reload
	buffer_load_dword v97, off, s[20:23], 0 offset:632 ; 4-byte Folded Reload
	buffer_load_dword v98, off, s[20:23], 0 offset:636 ; 4-byte Folded Reload
	s_waitcnt vmcnt(0)
	ds_write2_b64 v125, v[95:96], v[97:98] offset0:12 offset1:13
	;; [unrolled: 6-line block ×30, first 2 shown]
	ds_write2_b64 v125, v[91:92], v[93:94] offset0:70 offset1:71
	buffer_load_dword v77, off, s[20:23], 0 offset:160 ; 4-byte Folded Reload
	buffer_load_dword v78, off, s[20:23], 0 offset:164 ; 4-byte Folded Reload
	buffer_load_dword v79, off, s[20:23], 0 offset:168 ; 4-byte Folded Reload
	buffer_load_dword v80, off, s[20:23], 0 offset:172 ; 4-byte Folded Reload
	s_waitcnt vmcnt(0)
	ds_write2_b64 v125, v[77:78], v[79:80] offset0:72 offset1:73
	buffer_load_dword v77, off, s[20:23], 0 offset:144 ; 4-byte Folded Reload
	buffer_load_dword v78, off, s[20:23], 0 offset:148 ; 4-byte Folded Reload
	buffer_load_dword v79, off, s[20:23], 0 offset:152 ; 4-byte Folded Reload
	buffer_load_dword v80, off, s[20:23], 0 offset:156 ; 4-byte Folded Reload
	s_waitcnt vmcnt(0)
	;; [unrolled: 6-line block ×10, first 2 shown]
	ds_write2_b64 v125, v[45:46], v[47:48] offset0:90 offset1:91
	buffer_load_dword v41, off, s[20:23], 0 ; 4-byte Folded Reload
	buffer_load_dword v42, off, s[20:23], 0 offset:4 ; 4-byte Folded Reload
	buffer_load_dword v43, off, s[20:23], 0 offset:8 ; 4-byte Folded Reload
	;; [unrolled: 1-line block ×3, first 2 shown]
	s_waitcnt vmcnt(0)
	ds_write2_b64 v125, v[41:42], v[43:44] offset0:92 offset1:93
	ds_write2_b64 v125, v[37:38], v[39:40] offset0:94 offset1:95
	;; [unrolled: 1-line block ×12, first 2 shown]
	ds_read2_b64 v[97:100], v127 offset1:1
	s_waitcnt lgkmcnt(0)
	v_cmp_neq_f64_e32 vcc, 0, v[97:98]
	v_cmp_neq_f64_e64 s[2:3], 0, v[99:100]
	s_or_b64 s[2:3], vcc, s[2:3]
	s_and_b64 exec, exec, s[2:3]
	s_cbranch_execz .LBB115_44
; %bb.39:
	v_cmp_ngt_f64_e64 s[2:3], |v[97:98]|, |v[99:100]|
                                        ; implicit-def: $vgpr101_vgpr102
	s_and_saveexec_b64 s[6:7], s[2:3]
	s_xor_b64 s[2:3], exec, s[6:7]
                                        ; implicit-def: $vgpr103_vgpr104
	s_cbranch_execz .LBB115_41
; %bb.40:
	v_div_scale_f64 v[101:102], s[6:7], v[99:100], v[99:100], v[97:98]
	v_rcp_f64_e32 v[103:104], v[101:102]
	v_fma_f64 v[105:106], -v[101:102], v[103:104], 1.0
	v_fma_f64 v[103:104], v[103:104], v[105:106], v[103:104]
	v_div_scale_f64 v[105:106], vcc, v[97:98], v[99:100], v[97:98]
	v_fma_f64 v[107:108], -v[101:102], v[103:104], 1.0
	v_fma_f64 v[103:104], v[103:104], v[107:108], v[103:104]
	v_mul_f64 v[107:108], v[105:106], v[103:104]
	v_fma_f64 v[101:102], -v[101:102], v[107:108], v[105:106]
	v_div_fmas_f64 v[101:102], v[101:102], v[103:104], v[107:108]
	v_div_fixup_f64 v[101:102], v[101:102], v[99:100], v[97:98]
	v_fma_f64 v[97:98], v[97:98], v[101:102], v[99:100]
	v_div_scale_f64 v[99:100], s[6:7], v[97:98], v[97:98], 1.0
	v_div_scale_f64 v[107:108], vcc, 1.0, v[97:98], 1.0
	v_rcp_f64_e32 v[103:104], v[99:100]
	v_fma_f64 v[105:106], -v[99:100], v[103:104], 1.0
	v_fma_f64 v[103:104], v[103:104], v[105:106], v[103:104]
	v_fma_f64 v[105:106], -v[99:100], v[103:104], 1.0
	v_fma_f64 v[103:104], v[103:104], v[105:106], v[103:104]
	v_mul_f64 v[105:106], v[107:108], v[103:104]
	v_fma_f64 v[99:100], -v[99:100], v[105:106], v[107:108]
	v_div_fmas_f64 v[99:100], v[99:100], v[103:104], v[105:106]
	v_div_fixup_f64 v[103:104], v[99:100], v[97:98], 1.0
                                        ; implicit-def: $vgpr97_vgpr98
	v_mul_f64 v[101:102], v[101:102], v[103:104]
	v_xor_b32_e32 v104, 0x80000000, v104
.LBB115_41:
	s_andn2_saveexec_b64 s[2:3], s[2:3]
	s_cbranch_execz .LBB115_43
; %bb.42:
	v_div_scale_f64 v[101:102], s[6:7], v[97:98], v[97:98], v[99:100]
	v_rcp_f64_e32 v[103:104], v[101:102]
	v_fma_f64 v[105:106], -v[101:102], v[103:104], 1.0
	v_fma_f64 v[103:104], v[103:104], v[105:106], v[103:104]
	v_div_scale_f64 v[105:106], vcc, v[99:100], v[97:98], v[99:100]
	v_fma_f64 v[107:108], -v[101:102], v[103:104], 1.0
	v_fma_f64 v[103:104], v[103:104], v[107:108], v[103:104]
	v_mul_f64 v[107:108], v[105:106], v[103:104]
	v_fma_f64 v[101:102], -v[101:102], v[107:108], v[105:106]
	v_div_fmas_f64 v[101:102], v[101:102], v[103:104], v[107:108]
	v_div_fixup_f64 v[103:104], v[101:102], v[97:98], v[99:100]
	v_fma_f64 v[97:98], v[99:100], v[103:104], v[97:98]
	v_div_scale_f64 v[99:100], s[6:7], v[97:98], v[97:98], 1.0
	v_div_scale_f64 v[107:108], vcc, 1.0, v[97:98], 1.0
	v_rcp_f64_e32 v[101:102], v[99:100]
	v_fma_f64 v[105:106], -v[99:100], v[101:102], 1.0
	v_fma_f64 v[101:102], v[101:102], v[105:106], v[101:102]
	v_fma_f64 v[105:106], -v[99:100], v[101:102], 1.0
	v_fma_f64 v[101:102], v[101:102], v[105:106], v[101:102]
	v_mul_f64 v[105:106], v[107:108], v[101:102]
	v_fma_f64 v[99:100], -v[99:100], v[105:106], v[107:108]
	v_div_fmas_f64 v[99:100], v[99:100], v[101:102], v[105:106]
	v_div_fixup_f64 v[101:102], v[99:100], v[97:98], 1.0
	v_mul_f64 v[103:104], v[103:104], -v[101:102]
.LBB115_43:
	s_or_b64 exec, exec, s[2:3]
	ds_write2_b64 v127, v[101:102], v[103:104] offset1:1
.LBB115_44:
	s_or_b64 exec, exec, s[4:5]
	s_waitcnt lgkmcnt(0)
	s_barrier
	ds_read2_b64 v[87:90], v127 offset1:1
	v_cmp_lt_u32_e32 vcc, 4, v0
	s_waitcnt lgkmcnt(0)
	buffer_store_dword v87, off, s[20:23], 0 offset:1256 ; 4-byte Folded Spill
	s_nop 0
	buffer_store_dword v88, off, s[20:23], 0 offset:1260 ; 4-byte Folded Spill
	buffer_store_dword v89, off, s[20:23], 0 offset:1264 ; 4-byte Folded Spill
	;; [unrolled: 1-line block ×3, first 2 shown]
	s_and_saveexec_b64 s[2:3], vcc
	s_cbranch_execz .LBB115_46
; %bb.45:
	buffer_load_dword v107, off, s[20:23], 0 offset:656 ; 4-byte Folded Reload
	buffer_load_dword v108, off, s[20:23], 0 offset:660 ; 4-byte Folded Reload
	;; [unrolled: 1-line block ×8, first 2 shown]
	s_waitcnt vmcnt(2)
	v_mul_f64 v[99:100], v[87:88], v[109:110]
	s_waitcnt vmcnt(0)
	v_mul_f64 v[97:98], v[89:90], v[109:110]
	v_fma_f64 v[109:110], v[89:90], v[107:108], v[99:100]
	ds_read2_b64 v[99:102], v125 offset0:10 offset1:11
	v_fma_f64 v[97:98], v[87:88], v[107:108], -v[97:98]
	buffer_load_dword v105, off, s[20:23], 0 offset:640 ; 4-byte Folded Reload
	buffer_load_dword v106, off, s[20:23], 0 offset:644 ; 4-byte Folded Reload
	buffer_load_dword v107, off, s[20:23], 0 offset:648 ; 4-byte Folded Reload
	buffer_load_dword v108, off, s[20:23], 0 offset:652 ; 4-byte Folded Reload
	s_waitcnt lgkmcnt(0)
	v_mul_f64 v[103:104], v[101:102], v[109:110]
	v_fma_f64 v[103:104], v[99:100], v[97:98], -v[103:104]
	v_mul_f64 v[99:100], v[99:100], v[109:110]
	v_fma_f64 v[99:100], v[101:102], v[97:98], v[99:100]
	s_waitcnt vmcnt(2)
	v_add_f64 v[105:106], v[105:106], -v[103:104]
	s_waitcnt vmcnt(0)
	v_add_f64 v[107:108], v[107:108], -v[99:100]
	buffer_store_dword v105, off, s[20:23], 0 offset:640 ; 4-byte Folded Spill
	s_nop 0
	buffer_store_dword v106, off, s[20:23], 0 offset:644 ; 4-byte Folded Spill
	buffer_store_dword v107, off, s[20:23], 0 offset:648 ; 4-byte Folded Spill
	buffer_store_dword v108, off, s[20:23], 0 offset:652 ; 4-byte Folded Spill
	ds_read2_b64 v[99:102], v125 offset0:12 offset1:13
	buffer_load_dword v105, off, s[20:23], 0 offset:624 ; 4-byte Folded Reload
	buffer_load_dword v106, off, s[20:23], 0 offset:628 ; 4-byte Folded Reload
	buffer_load_dword v107, off, s[20:23], 0 offset:632 ; 4-byte Folded Reload
	buffer_load_dword v108, off, s[20:23], 0 offset:636 ; 4-byte Folded Reload
	s_waitcnt lgkmcnt(0)
	v_mul_f64 v[103:104], v[101:102], v[109:110]
	v_fma_f64 v[103:104], v[99:100], v[97:98], -v[103:104]
	v_mul_f64 v[99:100], v[99:100], v[109:110]
	v_fma_f64 v[99:100], v[101:102], v[97:98], v[99:100]
	s_waitcnt vmcnt(2)
	v_add_f64 v[105:106], v[105:106], -v[103:104]
	s_waitcnt vmcnt(0)
	v_add_f64 v[107:108], v[107:108], -v[99:100]
	buffer_store_dword v105, off, s[20:23], 0 offset:624 ; 4-byte Folded Spill
	s_nop 0
	buffer_store_dword v106, off, s[20:23], 0 offset:628 ; 4-byte Folded Spill
	buffer_store_dword v107, off, s[20:23], 0 offset:632 ; 4-byte Folded Spill
	buffer_store_dword v108, off, s[20:23], 0 offset:636 ; 4-byte Folded Spill
	ds_read2_b64 v[99:102], v125 offset0:14 offset1:15
	;; [unrolled: 19-line block ×30, first 2 shown]
	v_mov_b32_e32 v108, v98
	v_mov_b32_e32 v107, v97
	s_waitcnt lgkmcnt(0)
	v_mul_f64 v[103:104], v[101:102], v[109:110]
	v_fma_f64 v[103:104], v[99:100], v[97:98], -v[103:104]
	v_mul_f64 v[99:100], v[99:100], v[109:110]
	v_add_f64 v[91:92], v[91:92], -v[103:104]
	v_fma_f64 v[99:100], v[101:102], v[97:98], v[99:100]
	v_add_f64 v[93:94], v[93:94], -v[99:100]
	ds_read2_b64 v[99:102], v125 offset0:72 offset1:73
	buffer_load_dword v77, off, s[20:23], 0 offset:160 ; 4-byte Folded Reload
	buffer_load_dword v78, off, s[20:23], 0 offset:164 ; 4-byte Folded Reload
	buffer_load_dword v79, off, s[20:23], 0 offset:168 ; 4-byte Folded Reload
	buffer_load_dword v80, off, s[20:23], 0 offset:172 ; 4-byte Folded Reload
	s_waitcnt lgkmcnt(0)
	v_mul_f64 v[103:104], v[101:102], v[109:110]
	v_fma_f64 v[103:104], v[99:100], v[97:98], -v[103:104]
	v_mul_f64 v[99:100], v[99:100], v[109:110]
	v_fma_f64 v[99:100], v[101:102], v[97:98], v[99:100]
	s_waitcnt vmcnt(2)
	v_add_f64 v[77:78], v[77:78], -v[103:104]
	s_waitcnt vmcnt(0)
	v_add_f64 v[79:80], v[79:80], -v[99:100]
	buffer_store_dword v77, off, s[20:23], 0 offset:160 ; 4-byte Folded Spill
	s_nop 0
	buffer_store_dword v78, off, s[20:23], 0 offset:164 ; 4-byte Folded Spill
	buffer_store_dword v79, off, s[20:23], 0 offset:168 ; 4-byte Folded Spill
	buffer_store_dword v80, off, s[20:23], 0 offset:172 ; 4-byte Folded Spill
	ds_read2_b64 v[99:102], v125 offset0:74 offset1:75
	buffer_load_dword v77, off, s[20:23], 0 offset:144 ; 4-byte Folded Reload
	buffer_load_dword v78, off, s[20:23], 0 offset:148 ; 4-byte Folded Reload
	buffer_load_dword v79, off, s[20:23], 0 offset:152 ; 4-byte Folded Reload
	buffer_load_dword v80, off, s[20:23], 0 offset:156 ; 4-byte Folded Reload
	s_waitcnt lgkmcnt(0)
	v_mul_f64 v[103:104], v[101:102], v[109:110]
	v_fma_f64 v[103:104], v[99:100], v[97:98], -v[103:104]
	v_mul_f64 v[99:100], v[99:100], v[109:110]
	v_fma_f64 v[99:100], v[101:102], v[97:98], v[99:100]
	s_waitcnt vmcnt(2)
	v_add_f64 v[77:78], v[77:78], -v[103:104]
	s_waitcnt vmcnt(0)
	v_add_f64 v[79:80], v[79:80], -v[99:100]
	buffer_store_dword v77, off, s[20:23], 0 offset:144 ; 4-byte Folded Spill
	s_nop 0
	buffer_store_dword v78, off, s[20:23], 0 offset:148 ; 4-byte Folded Spill
	buffer_store_dword v79, off, s[20:23], 0 offset:152 ; 4-byte Folded Spill
	buffer_store_dword v80, off, s[20:23], 0 offset:156 ; 4-byte Folded Spill
	;; [unrolled: 19-line block ×10, first 2 shown]
	ds_read2_b64 v[99:102], v125 offset0:92 offset1:93
	buffer_load_dword v41, off, s[20:23], 0 ; 4-byte Folded Reload
	buffer_load_dword v42, off, s[20:23], 0 offset:4 ; 4-byte Folded Reload
	buffer_load_dword v43, off, s[20:23], 0 offset:8 ; 4-byte Folded Reload
	;; [unrolled: 1-line block ×3, first 2 shown]
	s_waitcnt lgkmcnt(0)
	v_mul_f64 v[103:104], v[101:102], v[109:110]
	v_fma_f64 v[103:104], v[99:100], v[97:98], -v[103:104]
	v_mul_f64 v[99:100], v[99:100], v[109:110]
	v_fma_f64 v[99:100], v[101:102], v[97:98], v[99:100]
	s_waitcnt vmcnt(2)
	v_add_f64 v[41:42], v[41:42], -v[103:104]
	s_waitcnt vmcnt(0)
	v_add_f64 v[43:44], v[43:44], -v[99:100]
	buffer_store_dword v41, off, s[20:23], 0 ; 4-byte Folded Spill
	s_nop 0
	buffer_store_dword v42, off, s[20:23], 0 offset:4 ; 4-byte Folded Spill
	buffer_store_dword v43, off, s[20:23], 0 offset:8 ; 4-byte Folded Spill
	buffer_store_dword v44, off, s[20:23], 0 offset:12 ; 4-byte Folded Spill
	ds_read2_b64 v[99:102], v125 offset0:94 offset1:95
	s_waitcnt lgkmcnt(0)
	v_mul_f64 v[103:104], v[101:102], v[109:110]
	v_fma_f64 v[103:104], v[99:100], v[97:98], -v[103:104]
	v_mul_f64 v[99:100], v[99:100], v[109:110]
	v_add_f64 v[37:38], v[37:38], -v[103:104]
	v_fma_f64 v[99:100], v[101:102], v[97:98], v[99:100]
	v_add_f64 v[39:40], v[39:40], -v[99:100]
	ds_read2_b64 v[99:102], v125 offset0:96 offset1:97
	s_waitcnt lgkmcnt(0)
	v_mul_f64 v[103:104], v[101:102], v[109:110]
	v_fma_f64 v[103:104], v[99:100], v[97:98], -v[103:104]
	v_mul_f64 v[99:100], v[99:100], v[109:110]
	v_add_f64 v[33:34], v[33:34], -v[103:104]
	v_fma_f64 v[99:100], v[101:102], v[97:98], v[99:100]
	v_add_f64 v[35:36], v[35:36], -v[99:100]
	;; [unrolled: 8-line block ×9, first 2 shown]
	ds_read2_b64 v[99:102], v125 offset0:112 offset1:113
	s_waitcnt lgkmcnt(0)
	v_mul_f64 v[103:104], v[101:102], v[109:110]
	v_fma_f64 v[103:104], v[99:100], v[97:98], -v[103:104]
	v_mul_f64 v[99:100], v[99:100], v[109:110]
	v_add_f64 v[1:2], v[1:2], -v[103:104]
	v_fma_f64 v[99:100], v[101:102], v[97:98], v[99:100]
	ds_read2_b64 v[101:104], v125 offset0:114 offset1:115
	v_add_f64 v[3:4], v[3:4], -v[99:100]
	s_waitcnt lgkmcnt(0)
	v_mul_f64 v[99:100], v[103:104], v[109:110]
	v_fma_f64 v[99:100], v[101:102], v[97:98], -v[99:100]
	v_mul_f64 v[101:102], v[101:102], v[109:110]
	buffer_store_dword v107, off, s[20:23], 0 offset:656 ; 4-byte Folded Spill
	s_nop 0
	buffer_store_dword v108, off, s[20:23], 0 offset:660 ; 4-byte Folded Spill
	buffer_store_dword v109, off, s[20:23], 0 offset:664 ; 4-byte Folded Spill
	;; [unrolled: 1-line block ×3, first 2 shown]
	v_add_f64 v[121:122], v[121:122], -v[99:100]
	v_fma_f64 v[101:102], v[103:104], v[97:98], v[101:102]
	v_add_f64 v[123:124], v[123:124], -v[101:102]
.LBB115_46:
	s_or_b64 exec, exec, s[2:3]
	v_cmp_eq_u32_e32 vcc, 5, v0
	s_waitcnt vmcnt(0)
	s_barrier
	s_and_saveexec_b64 s[4:5], vcc
	s_cbranch_execz .LBB115_53
; %bb.47:
	buffer_load_dword v95, off, s[20:23], 0 offset:640 ; 4-byte Folded Reload
	buffer_load_dword v96, off, s[20:23], 0 offset:644 ; 4-byte Folded Reload
	buffer_load_dword v97, off, s[20:23], 0 offset:648 ; 4-byte Folded Reload
	buffer_load_dword v98, off, s[20:23], 0 offset:652 ; 4-byte Folded Reload
	s_waitcnt vmcnt(0)
	ds_write2_b64 v127, v[95:96], v[97:98] offset1:1
	buffer_load_dword v95, off, s[20:23], 0 offset:624 ; 4-byte Folded Reload
	buffer_load_dword v96, off, s[20:23], 0 offset:628 ; 4-byte Folded Reload
	buffer_load_dword v97, off, s[20:23], 0 offset:632 ; 4-byte Folded Reload
	buffer_load_dword v98, off, s[20:23], 0 offset:636 ; 4-byte Folded Reload
	s_waitcnt vmcnt(0)
	ds_write2_b64 v125, v[95:96], v[97:98] offset0:12 offset1:13
	buffer_load_dword v95, off, s[20:23], 0 offset:608 ; 4-byte Folded Reload
	buffer_load_dword v96, off, s[20:23], 0 offset:612 ; 4-byte Folded Reload
	buffer_load_dword v97, off, s[20:23], 0 offset:616 ; 4-byte Folded Reload
	buffer_load_dword v98, off, s[20:23], 0 offset:620 ; 4-byte Folded Reload
	s_waitcnt vmcnt(0)
	ds_write2_b64 v125, v[95:96], v[97:98] offset0:14 offset1:15
	;; [unrolled: 6-line block ×29, first 2 shown]
	ds_write2_b64 v125, v[91:92], v[93:94] offset0:70 offset1:71
	buffer_load_dword v77, off, s[20:23], 0 offset:160 ; 4-byte Folded Reload
	buffer_load_dword v78, off, s[20:23], 0 offset:164 ; 4-byte Folded Reload
	buffer_load_dword v79, off, s[20:23], 0 offset:168 ; 4-byte Folded Reload
	buffer_load_dword v80, off, s[20:23], 0 offset:172 ; 4-byte Folded Reload
	s_waitcnt vmcnt(0)
	ds_write2_b64 v125, v[77:78], v[79:80] offset0:72 offset1:73
	buffer_load_dword v77, off, s[20:23], 0 offset:144 ; 4-byte Folded Reload
	buffer_load_dword v78, off, s[20:23], 0 offset:148 ; 4-byte Folded Reload
	buffer_load_dword v79, off, s[20:23], 0 offset:152 ; 4-byte Folded Reload
	buffer_load_dword v80, off, s[20:23], 0 offset:156 ; 4-byte Folded Reload
	s_waitcnt vmcnt(0)
	;; [unrolled: 6-line block ×10, first 2 shown]
	ds_write2_b64 v125, v[45:46], v[47:48] offset0:90 offset1:91
	buffer_load_dword v41, off, s[20:23], 0 ; 4-byte Folded Reload
	buffer_load_dword v42, off, s[20:23], 0 offset:4 ; 4-byte Folded Reload
	buffer_load_dword v43, off, s[20:23], 0 offset:8 ; 4-byte Folded Reload
	;; [unrolled: 1-line block ×3, first 2 shown]
	s_waitcnt vmcnt(0)
	ds_write2_b64 v125, v[41:42], v[43:44] offset0:92 offset1:93
	ds_write2_b64 v125, v[37:38], v[39:40] offset0:94 offset1:95
	;; [unrolled: 1-line block ×12, first 2 shown]
	ds_read2_b64 v[97:100], v127 offset1:1
	s_waitcnt lgkmcnt(0)
	v_cmp_neq_f64_e32 vcc, 0, v[97:98]
	v_cmp_neq_f64_e64 s[2:3], 0, v[99:100]
	s_or_b64 s[2:3], vcc, s[2:3]
	s_and_b64 exec, exec, s[2:3]
	s_cbranch_execz .LBB115_53
; %bb.48:
	v_cmp_ngt_f64_e64 s[2:3], |v[97:98]|, |v[99:100]|
                                        ; implicit-def: $vgpr101_vgpr102
	s_and_saveexec_b64 s[6:7], s[2:3]
	s_xor_b64 s[2:3], exec, s[6:7]
                                        ; implicit-def: $vgpr103_vgpr104
	s_cbranch_execz .LBB115_50
; %bb.49:
	v_div_scale_f64 v[101:102], s[6:7], v[99:100], v[99:100], v[97:98]
	v_rcp_f64_e32 v[103:104], v[101:102]
	v_fma_f64 v[105:106], -v[101:102], v[103:104], 1.0
	v_fma_f64 v[103:104], v[103:104], v[105:106], v[103:104]
	v_div_scale_f64 v[105:106], vcc, v[97:98], v[99:100], v[97:98]
	v_fma_f64 v[107:108], -v[101:102], v[103:104], 1.0
	v_fma_f64 v[103:104], v[103:104], v[107:108], v[103:104]
	v_mul_f64 v[107:108], v[105:106], v[103:104]
	v_fma_f64 v[101:102], -v[101:102], v[107:108], v[105:106]
	v_div_fmas_f64 v[101:102], v[101:102], v[103:104], v[107:108]
	v_div_fixup_f64 v[101:102], v[101:102], v[99:100], v[97:98]
	v_fma_f64 v[97:98], v[97:98], v[101:102], v[99:100]
	v_div_scale_f64 v[99:100], s[6:7], v[97:98], v[97:98], 1.0
	v_div_scale_f64 v[107:108], vcc, 1.0, v[97:98], 1.0
	v_rcp_f64_e32 v[103:104], v[99:100]
	v_fma_f64 v[105:106], -v[99:100], v[103:104], 1.0
	v_fma_f64 v[103:104], v[103:104], v[105:106], v[103:104]
	v_fma_f64 v[105:106], -v[99:100], v[103:104], 1.0
	v_fma_f64 v[103:104], v[103:104], v[105:106], v[103:104]
	v_mul_f64 v[105:106], v[107:108], v[103:104]
	v_fma_f64 v[99:100], -v[99:100], v[105:106], v[107:108]
	v_div_fmas_f64 v[99:100], v[99:100], v[103:104], v[105:106]
	v_div_fixup_f64 v[103:104], v[99:100], v[97:98], 1.0
                                        ; implicit-def: $vgpr97_vgpr98
	v_mul_f64 v[101:102], v[101:102], v[103:104]
	v_xor_b32_e32 v104, 0x80000000, v104
.LBB115_50:
	s_andn2_saveexec_b64 s[2:3], s[2:3]
	s_cbranch_execz .LBB115_52
; %bb.51:
	v_div_scale_f64 v[101:102], s[6:7], v[97:98], v[97:98], v[99:100]
	v_rcp_f64_e32 v[103:104], v[101:102]
	v_fma_f64 v[105:106], -v[101:102], v[103:104], 1.0
	v_fma_f64 v[103:104], v[103:104], v[105:106], v[103:104]
	v_div_scale_f64 v[105:106], vcc, v[99:100], v[97:98], v[99:100]
	v_fma_f64 v[107:108], -v[101:102], v[103:104], 1.0
	v_fma_f64 v[103:104], v[103:104], v[107:108], v[103:104]
	v_mul_f64 v[107:108], v[105:106], v[103:104]
	v_fma_f64 v[101:102], -v[101:102], v[107:108], v[105:106]
	v_div_fmas_f64 v[101:102], v[101:102], v[103:104], v[107:108]
	v_div_fixup_f64 v[103:104], v[101:102], v[97:98], v[99:100]
	v_fma_f64 v[97:98], v[99:100], v[103:104], v[97:98]
	v_div_scale_f64 v[99:100], s[6:7], v[97:98], v[97:98], 1.0
	v_div_scale_f64 v[107:108], vcc, 1.0, v[97:98], 1.0
	v_rcp_f64_e32 v[101:102], v[99:100]
	v_fma_f64 v[105:106], -v[99:100], v[101:102], 1.0
	v_fma_f64 v[101:102], v[101:102], v[105:106], v[101:102]
	v_fma_f64 v[105:106], -v[99:100], v[101:102], 1.0
	v_fma_f64 v[101:102], v[101:102], v[105:106], v[101:102]
	v_mul_f64 v[105:106], v[107:108], v[101:102]
	v_fma_f64 v[99:100], -v[99:100], v[105:106], v[107:108]
	v_div_fmas_f64 v[99:100], v[99:100], v[101:102], v[105:106]
	v_div_fixup_f64 v[101:102], v[99:100], v[97:98], 1.0
	v_mul_f64 v[103:104], v[103:104], -v[101:102]
.LBB115_52:
	s_or_b64 exec, exec, s[2:3]
	ds_write2_b64 v127, v[101:102], v[103:104] offset1:1
.LBB115_53:
	s_or_b64 exec, exec, s[4:5]
	s_waitcnt lgkmcnt(0)
	s_barrier
	ds_read2_b64 v[87:90], v127 offset1:1
	v_cmp_lt_u32_e32 vcc, 5, v0
	s_waitcnt lgkmcnt(0)
	buffer_store_dword v87, off, s[20:23], 0 offset:1272 ; 4-byte Folded Spill
	s_nop 0
	buffer_store_dword v88, off, s[20:23], 0 offset:1276 ; 4-byte Folded Spill
	buffer_store_dword v89, off, s[20:23], 0 offset:1280 ; 4-byte Folded Spill
	;; [unrolled: 1-line block ×3, first 2 shown]
	s_and_saveexec_b64 s[2:3], vcc
	s_cbranch_execz .LBB115_55
; %bb.54:
	buffer_load_dword v107, off, s[20:23], 0 offset:640 ; 4-byte Folded Reload
	buffer_load_dword v108, off, s[20:23], 0 offset:644 ; 4-byte Folded Reload
	;; [unrolled: 1-line block ×8, first 2 shown]
	s_waitcnt vmcnt(2)
	v_mul_f64 v[99:100], v[87:88], v[109:110]
	s_waitcnt vmcnt(0)
	v_mul_f64 v[97:98], v[89:90], v[109:110]
	v_fma_f64 v[109:110], v[89:90], v[107:108], v[99:100]
	ds_read2_b64 v[99:102], v125 offset0:12 offset1:13
	v_fma_f64 v[97:98], v[87:88], v[107:108], -v[97:98]
	buffer_load_dword v105, off, s[20:23], 0 offset:624 ; 4-byte Folded Reload
	buffer_load_dword v106, off, s[20:23], 0 offset:628 ; 4-byte Folded Reload
	buffer_load_dword v107, off, s[20:23], 0 offset:632 ; 4-byte Folded Reload
	buffer_load_dword v108, off, s[20:23], 0 offset:636 ; 4-byte Folded Reload
	s_waitcnt lgkmcnt(0)
	v_mul_f64 v[103:104], v[101:102], v[109:110]
	v_fma_f64 v[103:104], v[99:100], v[97:98], -v[103:104]
	v_mul_f64 v[99:100], v[99:100], v[109:110]
	v_fma_f64 v[99:100], v[101:102], v[97:98], v[99:100]
	s_waitcnt vmcnt(2)
	v_add_f64 v[105:106], v[105:106], -v[103:104]
	s_waitcnt vmcnt(0)
	v_add_f64 v[107:108], v[107:108], -v[99:100]
	buffer_store_dword v105, off, s[20:23], 0 offset:624 ; 4-byte Folded Spill
	s_nop 0
	buffer_store_dword v106, off, s[20:23], 0 offset:628 ; 4-byte Folded Spill
	buffer_store_dword v107, off, s[20:23], 0 offset:632 ; 4-byte Folded Spill
	buffer_store_dword v108, off, s[20:23], 0 offset:636 ; 4-byte Folded Spill
	ds_read2_b64 v[99:102], v125 offset0:14 offset1:15
	buffer_load_dword v105, off, s[20:23], 0 offset:608 ; 4-byte Folded Reload
	buffer_load_dword v106, off, s[20:23], 0 offset:612 ; 4-byte Folded Reload
	buffer_load_dword v107, off, s[20:23], 0 offset:616 ; 4-byte Folded Reload
	buffer_load_dword v108, off, s[20:23], 0 offset:620 ; 4-byte Folded Reload
	s_waitcnt lgkmcnt(0)
	v_mul_f64 v[103:104], v[101:102], v[109:110]
	v_fma_f64 v[103:104], v[99:100], v[97:98], -v[103:104]
	v_mul_f64 v[99:100], v[99:100], v[109:110]
	v_fma_f64 v[99:100], v[101:102], v[97:98], v[99:100]
	s_waitcnt vmcnt(2)
	v_add_f64 v[105:106], v[105:106], -v[103:104]
	s_waitcnt vmcnt(0)
	v_add_f64 v[107:108], v[107:108], -v[99:100]
	buffer_store_dword v105, off, s[20:23], 0 offset:608 ; 4-byte Folded Spill
	s_nop 0
	buffer_store_dword v106, off, s[20:23], 0 offset:612 ; 4-byte Folded Spill
	buffer_store_dword v107, off, s[20:23], 0 offset:616 ; 4-byte Folded Spill
	buffer_store_dword v108, off, s[20:23], 0 offset:620 ; 4-byte Folded Spill
	ds_read2_b64 v[99:102], v125 offset0:16 offset1:17
	;; [unrolled: 19-line block ×29, first 2 shown]
	v_mov_b32_e32 v108, v98
	v_mov_b32_e32 v107, v97
	s_waitcnt lgkmcnt(0)
	v_mul_f64 v[103:104], v[101:102], v[109:110]
	v_fma_f64 v[103:104], v[99:100], v[97:98], -v[103:104]
	v_mul_f64 v[99:100], v[99:100], v[109:110]
	v_add_f64 v[91:92], v[91:92], -v[103:104]
	v_fma_f64 v[99:100], v[101:102], v[97:98], v[99:100]
	v_add_f64 v[93:94], v[93:94], -v[99:100]
	ds_read2_b64 v[99:102], v125 offset0:72 offset1:73
	buffer_load_dword v77, off, s[20:23], 0 offset:160 ; 4-byte Folded Reload
	buffer_load_dword v78, off, s[20:23], 0 offset:164 ; 4-byte Folded Reload
	buffer_load_dword v79, off, s[20:23], 0 offset:168 ; 4-byte Folded Reload
	buffer_load_dword v80, off, s[20:23], 0 offset:172 ; 4-byte Folded Reload
	s_waitcnt lgkmcnt(0)
	v_mul_f64 v[103:104], v[101:102], v[109:110]
	v_fma_f64 v[103:104], v[99:100], v[97:98], -v[103:104]
	v_mul_f64 v[99:100], v[99:100], v[109:110]
	v_fma_f64 v[99:100], v[101:102], v[97:98], v[99:100]
	s_waitcnt vmcnt(2)
	v_add_f64 v[77:78], v[77:78], -v[103:104]
	s_waitcnt vmcnt(0)
	v_add_f64 v[79:80], v[79:80], -v[99:100]
	buffer_store_dword v77, off, s[20:23], 0 offset:160 ; 4-byte Folded Spill
	s_nop 0
	buffer_store_dword v78, off, s[20:23], 0 offset:164 ; 4-byte Folded Spill
	buffer_store_dword v79, off, s[20:23], 0 offset:168 ; 4-byte Folded Spill
	buffer_store_dword v80, off, s[20:23], 0 offset:172 ; 4-byte Folded Spill
	ds_read2_b64 v[99:102], v125 offset0:74 offset1:75
	buffer_load_dword v77, off, s[20:23], 0 offset:144 ; 4-byte Folded Reload
	buffer_load_dword v78, off, s[20:23], 0 offset:148 ; 4-byte Folded Reload
	buffer_load_dword v79, off, s[20:23], 0 offset:152 ; 4-byte Folded Reload
	buffer_load_dword v80, off, s[20:23], 0 offset:156 ; 4-byte Folded Reload
	s_waitcnt lgkmcnt(0)
	v_mul_f64 v[103:104], v[101:102], v[109:110]
	v_fma_f64 v[103:104], v[99:100], v[97:98], -v[103:104]
	v_mul_f64 v[99:100], v[99:100], v[109:110]
	v_fma_f64 v[99:100], v[101:102], v[97:98], v[99:100]
	s_waitcnt vmcnt(2)
	v_add_f64 v[77:78], v[77:78], -v[103:104]
	s_waitcnt vmcnt(0)
	v_add_f64 v[79:80], v[79:80], -v[99:100]
	buffer_store_dword v77, off, s[20:23], 0 offset:144 ; 4-byte Folded Spill
	s_nop 0
	buffer_store_dword v78, off, s[20:23], 0 offset:148 ; 4-byte Folded Spill
	buffer_store_dword v79, off, s[20:23], 0 offset:152 ; 4-byte Folded Spill
	buffer_store_dword v80, off, s[20:23], 0 offset:156 ; 4-byte Folded Spill
	ds_read2_b64 v[99:102], v125 offset0:76 offset1:77
	buffer_load_dword v73, off, s[20:23], 0 offset:128 ; 4-byte Folded Reload
	buffer_load_dword v74, off, s[20:23], 0 offset:132 ; 4-byte Folded Reload
	buffer_load_dword v75, off, s[20:23], 0 offset:136 ; 4-byte Folded Reload
	buffer_load_dword v76, off, s[20:23], 0 offset:140 ; 4-byte Folded Reload
	s_waitcnt lgkmcnt(0)
	v_mul_f64 v[103:104], v[101:102], v[109:110]
	v_fma_f64 v[103:104], v[99:100], v[97:98], -v[103:104]
	v_mul_f64 v[99:100], v[99:100], v[109:110]
	v_fma_f64 v[99:100], v[101:102], v[97:98], v[99:100]
	s_waitcnt vmcnt(2)
	v_add_f64 v[73:74], v[73:74], -v[103:104]
	s_waitcnt vmcnt(0)
	v_add_f64 v[75:76], v[75:76], -v[99:100]
	buffer_store_dword v73, off, s[20:23], 0 offset:128 ; 4-byte Folded Spill
	s_nop 0
	buffer_store_dword v74, off, s[20:23], 0 offset:132 ; 4-byte Folded Spill
	buffer_store_dword v75, off, s[20:23], 0 offset:136 ; 4-byte Folded Spill
	buffer_store_dword v76, off, s[20:23], 0 offset:140 ; 4-byte Folded Spill
	ds_read2_b64 v[99:102], v125 offset0:78 offset1:79
	buffer_load_dword v69, off, s[20:23], 0 offset:112 ; 4-byte Folded Reload
	buffer_load_dword v70, off, s[20:23], 0 offset:116 ; 4-byte Folded Reload
	buffer_load_dword v71, off, s[20:23], 0 offset:120 ; 4-byte Folded Reload
	buffer_load_dword v72, off, s[20:23], 0 offset:124 ; 4-byte Folded Reload
	s_waitcnt lgkmcnt(0)
	v_mul_f64 v[103:104], v[101:102], v[109:110]
	v_fma_f64 v[103:104], v[99:100], v[97:98], -v[103:104]
	v_mul_f64 v[99:100], v[99:100], v[109:110]
	v_fma_f64 v[99:100], v[101:102], v[97:98], v[99:100]
	s_waitcnt vmcnt(2)
	v_add_f64 v[69:70], v[69:70], -v[103:104]
	s_waitcnt vmcnt(0)
	v_add_f64 v[71:72], v[71:72], -v[99:100]
	buffer_store_dword v69, off, s[20:23], 0 offset:112 ; 4-byte Folded Spill
	s_nop 0
	buffer_store_dword v70, off, s[20:23], 0 offset:116 ; 4-byte Folded Spill
	buffer_store_dword v71, off, s[20:23], 0 offset:120 ; 4-byte Folded Spill
	buffer_store_dword v72, off, s[20:23], 0 offset:124 ; 4-byte Folded Spill
	ds_read2_b64 v[99:102], v125 offset0:80 offset1:81
	buffer_load_dword v65, off, s[20:23], 0 offset:96 ; 4-byte Folded Reload
	buffer_load_dword v66, off, s[20:23], 0 offset:100 ; 4-byte Folded Reload
	buffer_load_dword v67, off, s[20:23], 0 offset:104 ; 4-byte Folded Reload
	buffer_load_dword v68, off, s[20:23], 0 offset:108 ; 4-byte Folded Reload
	s_waitcnt lgkmcnt(0)
	v_mul_f64 v[103:104], v[101:102], v[109:110]
	v_fma_f64 v[103:104], v[99:100], v[97:98], -v[103:104]
	v_mul_f64 v[99:100], v[99:100], v[109:110]
	v_fma_f64 v[99:100], v[101:102], v[97:98], v[99:100]
	s_waitcnt vmcnt(2)
	v_add_f64 v[65:66], v[65:66], -v[103:104]
	s_waitcnt vmcnt(0)
	v_add_f64 v[67:68], v[67:68], -v[99:100]
	buffer_store_dword v65, off, s[20:23], 0 offset:96 ; 4-byte Folded Spill
	s_nop 0
	buffer_store_dword v66, off, s[20:23], 0 offset:100 ; 4-byte Folded Spill
	buffer_store_dword v67, off, s[20:23], 0 offset:104 ; 4-byte Folded Spill
	buffer_store_dword v68, off, s[20:23], 0 offset:108 ; 4-byte Folded Spill
	ds_read2_b64 v[99:102], v125 offset0:82 offset1:83
	buffer_load_dword v61, off, s[20:23], 0 offset:80 ; 4-byte Folded Reload
	buffer_load_dword v62, off, s[20:23], 0 offset:84 ; 4-byte Folded Reload
	buffer_load_dword v63, off, s[20:23], 0 offset:88 ; 4-byte Folded Reload
	buffer_load_dword v64, off, s[20:23], 0 offset:92 ; 4-byte Folded Reload
	s_waitcnt lgkmcnt(0)
	v_mul_f64 v[103:104], v[101:102], v[109:110]
	v_fma_f64 v[103:104], v[99:100], v[97:98], -v[103:104]
	v_mul_f64 v[99:100], v[99:100], v[109:110]
	v_fma_f64 v[99:100], v[101:102], v[97:98], v[99:100]
	s_waitcnt vmcnt(2)
	v_add_f64 v[61:62], v[61:62], -v[103:104]
	s_waitcnt vmcnt(0)
	v_add_f64 v[63:64], v[63:64], -v[99:100]
	buffer_store_dword v61, off, s[20:23], 0 offset:80 ; 4-byte Folded Spill
	s_nop 0
	buffer_store_dword v62, off, s[20:23], 0 offset:84 ; 4-byte Folded Spill
	buffer_store_dword v63, off, s[20:23], 0 offset:88 ; 4-byte Folded Spill
	buffer_store_dword v64, off, s[20:23], 0 offset:92 ; 4-byte Folded Spill
	ds_read2_b64 v[99:102], v125 offset0:84 offset1:85
	buffer_load_dword v57, off, s[20:23], 0 offset:64 ; 4-byte Folded Reload
	buffer_load_dword v58, off, s[20:23], 0 offset:68 ; 4-byte Folded Reload
	buffer_load_dword v59, off, s[20:23], 0 offset:72 ; 4-byte Folded Reload
	buffer_load_dword v60, off, s[20:23], 0 offset:76 ; 4-byte Folded Reload
	s_waitcnt lgkmcnt(0)
	v_mul_f64 v[103:104], v[101:102], v[109:110]
	v_fma_f64 v[103:104], v[99:100], v[97:98], -v[103:104]
	v_mul_f64 v[99:100], v[99:100], v[109:110]
	v_fma_f64 v[99:100], v[101:102], v[97:98], v[99:100]
	s_waitcnt vmcnt(2)
	v_add_f64 v[57:58], v[57:58], -v[103:104]
	s_waitcnt vmcnt(0)
	v_add_f64 v[59:60], v[59:60], -v[99:100]
	buffer_store_dword v57, off, s[20:23], 0 offset:64 ; 4-byte Folded Spill
	s_nop 0
	buffer_store_dword v58, off, s[20:23], 0 offset:68 ; 4-byte Folded Spill
	buffer_store_dword v59, off, s[20:23], 0 offset:72 ; 4-byte Folded Spill
	buffer_store_dword v60, off, s[20:23], 0 offset:76 ; 4-byte Folded Spill
	ds_read2_b64 v[99:102], v125 offset0:86 offset1:87
	buffer_load_dword v53, off, s[20:23], 0 offset:48 ; 4-byte Folded Reload
	buffer_load_dword v54, off, s[20:23], 0 offset:52 ; 4-byte Folded Reload
	buffer_load_dword v55, off, s[20:23], 0 offset:56 ; 4-byte Folded Reload
	buffer_load_dword v56, off, s[20:23], 0 offset:60 ; 4-byte Folded Reload
	s_waitcnt lgkmcnt(0)
	v_mul_f64 v[103:104], v[101:102], v[109:110]
	v_fma_f64 v[103:104], v[99:100], v[97:98], -v[103:104]
	v_mul_f64 v[99:100], v[99:100], v[109:110]
	v_fma_f64 v[99:100], v[101:102], v[97:98], v[99:100]
	s_waitcnt vmcnt(2)
	v_add_f64 v[53:54], v[53:54], -v[103:104]
	s_waitcnt vmcnt(0)
	v_add_f64 v[55:56], v[55:56], -v[99:100]
	buffer_store_dword v53, off, s[20:23], 0 offset:48 ; 4-byte Folded Spill
	s_nop 0
	buffer_store_dword v54, off, s[20:23], 0 offset:52 ; 4-byte Folded Spill
	buffer_store_dword v55, off, s[20:23], 0 offset:56 ; 4-byte Folded Spill
	buffer_store_dword v56, off, s[20:23], 0 offset:60 ; 4-byte Folded Spill
	ds_read2_b64 v[99:102], v125 offset0:88 offset1:89
	buffer_load_dword v49, off, s[20:23], 0 offset:32 ; 4-byte Folded Reload
	buffer_load_dword v50, off, s[20:23], 0 offset:36 ; 4-byte Folded Reload
	buffer_load_dword v51, off, s[20:23], 0 offset:40 ; 4-byte Folded Reload
	buffer_load_dword v52, off, s[20:23], 0 offset:44 ; 4-byte Folded Reload
	s_waitcnt lgkmcnt(0)
	v_mul_f64 v[103:104], v[101:102], v[109:110]
	v_fma_f64 v[103:104], v[99:100], v[97:98], -v[103:104]
	v_mul_f64 v[99:100], v[99:100], v[109:110]
	v_fma_f64 v[99:100], v[101:102], v[97:98], v[99:100]
	s_waitcnt vmcnt(2)
	v_add_f64 v[49:50], v[49:50], -v[103:104]
	s_waitcnt vmcnt(0)
	v_add_f64 v[51:52], v[51:52], -v[99:100]
	buffer_store_dword v49, off, s[20:23], 0 offset:32 ; 4-byte Folded Spill
	s_nop 0
	buffer_store_dword v50, off, s[20:23], 0 offset:36 ; 4-byte Folded Spill
	buffer_store_dword v51, off, s[20:23], 0 offset:40 ; 4-byte Folded Spill
	buffer_store_dword v52, off, s[20:23], 0 offset:44 ; 4-byte Folded Spill
	ds_read2_b64 v[99:102], v125 offset0:90 offset1:91
	buffer_load_dword v45, off, s[20:23], 0 offset:16 ; 4-byte Folded Reload
	buffer_load_dword v46, off, s[20:23], 0 offset:20 ; 4-byte Folded Reload
	buffer_load_dword v47, off, s[20:23], 0 offset:24 ; 4-byte Folded Reload
	buffer_load_dword v48, off, s[20:23], 0 offset:28 ; 4-byte Folded Reload
	s_waitcnt lgkmcnt(0)
	v_mul_f64 v[103:104], v[101:102], v[109:110]
	v_fma_f64 v[103:104], v[99:100], v[97:98], -v[103:104]
	v_mul_f64 v[99:100], v[99:100], v[109:110]
	v_fma_f64 v[99:100], v[101:102], v[97:98], v[99:100]
	s_waitcnt vmcnt(2)
	v_add_f64 v[45:46], v[45:46], -v[103:104]
	s_waitcnt vmcnt(0)
	v_add_f64 v[47:48], v[47:48], -v[99:100]
	buffer_store_dword v45, off, s[20:23], 0 offset:16 ; 4-byte Folded Spill
	s_nop 0
	buffer_store_dword v46, off, s[20:23], 0 offset:20 ; 4-byte Folded Spill
	buffer_store_dword v47, off, s[20:23], 0 offset:24 ; 4-byte Folded Spill
	buffer_store_dword v48, off, s[20:23], 0 offset:28 ; 4-byte Folded Spill
	ds_read2_b64 v[99:102], v125 offset0:92 offset1:93
	buffer_load_dword v41, off, s[20:23], 0 ; 4-byte Folded Reload
	buffer_load_dword v42, off, s[20:23], 0 offset:4 ; 4-byte Folded Reload
	buffer_load_dword v43, off, s[20:23], 0 offset:8 ; 4-byte Folded Reload
	;; [unrolled: 1-line block ×3, first 2 shown]
	s_waitcnt lgkmcnt(0)
	v_mul_f64 v[103:104], v[101:102], v[109:110]
	v_fma_f64 v[103:104], v[99:100], v[97:98], -v[103:104]
	v_mul_f64 v[99:100], v[99:100], v[109:110]
	v_fma_f64 v[99:100], v[101:102], v[97:98], v[99:100]
	s_waitcnt vmcnt(2)
	v_add_f64 v[41:42], v[41:42], -v[103:104]
	s_waitcnt vmcnt(0)
	v_add_f64 v[43:44], v[43:44], -v[99:100]
	buffer_store_dword v41, off, s[20:23], 0 ; 4-byte Folded Spill
	s_nop 0
	buffer_store_dword v42, off, s[20:23], 0 offset:4 ; 4-byte Folded Spill
	buffer_store_dword v43, off, s[20:23], 0 offset:8 ; 4-byte Folded Spill
	;; [unrolled: 1-line block ×3, first 2 shown]
	ds_read2_b64 v[99:102], v125 offset0:94 offset1:95
	s_waitcnt lgkmcnt(0)
	v_mul_f64 v[103:104], v[101:102], v[109:110]
	v_fma_f64 v[103:104], v[99:100], v[97:98], -v[103:104]
	v_mul_f64 v[99:100], v[99:100], v[109:110]
	v_add_f64 v[37:38], v[37:38], -v[103:104]
	v_fma_f64 v[99:100], v[101:102], v[97:98], v[99:100]
	v_add_f64 v[39:40], v[39:40], -v[99:100]
	ds_read2_b64 v[99:102], v125 offset0:96 offset1:97
	s_waitcnt lgkmcnt(0)
	v_mul_f64 v[103:104], v[101:102], v[109:110]
	v_fma_f64 v[103:104], v[99:100], v[97:98], -v[103:104]
	v_mul_f64 v[99:100], v[99:100], v[109:110]
	v_add_f64 v[33:34], v[33:34], -v[103:104]
	v_fma_f64 v[99:100], v[101:102], v[97:98], v[99:100]
	v_add_f64 v[35:36], v[35:36], -v[99:100]
	;; [unrolled: 8-line block ×9, first 2 shown]
	ds_read2_b64 v[99:102], v125 offset0:112 offset1:113
	s_waitcnt lgkmcnt(0)
	v_mul_f64 v[103:104], v[101:102], v[109:110]
	v_fma_f64 v[103:104], v[99:100], v[97:98], -v[103:104]
	v_mul_f64 v[99:100], v[99:100], v[109:110]
	v_add_f64 v[1:2], v[1:2], -v[103:104]
	v_fma_f64 v[99:100], v[101:102], v[97:98], v[99:100]
	ds_read2_b64 v[101:104], v125 offset0:114 offset1:115
	v_add_f64 v[3:4], v[3:4], -v[99:100]
	s_waitcnt lgkmcnt(0)
	v_mul_f64 v[99:100], v[103:104], v[109:110]
	v_fma_f64 v[99:100], v[101:102], v[97:98], -v[99:100]
	v_mul_f64 v[101:102], v[101:102], v[109:110]
	buffer_store_dword v107, off, s[20:23], 0 offset:640 ; 4-byte Folded Spill
	s_nop 0
	buffer_store_dword v108, off, s[20:23], 0 offset:644 ; 4-byte Folded Spill
	buffer_store_dword v109, off, s[20:23], 0 offset:648 ; 4-byte Folded Spill
	;; [unrolled: 1-line block ×3, first 2 shown]
	v_add_f64 v[121:122], v[121:122], -v[99:100]
	v_fma_f64 v[101:102], v[103:104], v[97:98], v[101:102]
	v_add_f64 v[123:124], v[123:124], -v[101:102]
.LBB115_55:
	s_or_b64 exec, exec, s[2:3]
	v_cmp_eq_u32_e32 vcc, 6, v0
	s_waitcnt vmcnt(0)
	s_barrier
	s_and_saveexec_b64 s[4:5], vcc
	s_cbranch_execz .LBB115_62
; %bb.56:
	buffer_load_dword v95, off, s[20:23], 0 offset:624 ; 4-byte Folded Reload
	buffer_load_dword v96, off, s[20:23], 0 offset:628 ; 4-byte Folded Reload
	;; [unrolled: 1-line block ×4, first 2 shown]
	s_waitcnt vmcnt(0)
	ds_write2_b64 v127, v[95:96], v[97:98] offset1:1
	buffer_load_dword v95, off, s[20:23], 0 offset:608 ; 4-byte Folded Reload
	buffer_load_dword v96, off, s[20:23], 0 offset:612 ; 4-byte Folded Reload
	buffer_load_dword v97, off, s[20:23], 0 offset:616 ; 4-byte Folded Reload
	buffer_load_dword v98, off, s[20:23], 0 offset:620 ; 4-byte Folded Reload
	s_waitcnt vmcnt(0)
	ds_write2_b64 v125, v[95:96], v[97:98] offset0:14 offset1:15
	buffer_load_dword v95, off, s[20:23], 0 offset:592 ; 4-byte Folded Reload
	buffer_load_dword v96, off, s[20:23], 0 offset:596 ; 4-byte Folded Reload
	buffer_load_dword v97, off, s[20:23], 0 offset:600 ; 4-byte Folded Reload
	buffer_load_dword v98, off, s[20:23], 0 offset:604 ; 4-byte Folded Reload
	s_waitcnt vmcnt(0)
	ds_write2_b64 v125, v[95:96], v[97:98] offset0:16 offset1:17
	;; [unrolled: 6-line block ×28, first 2 shown]
	ds_write2_b64 v125, v[91:92], v[93:94] offset0:70 offset1:71
	buffer_load_dword v77, off, s[20:23], 0 offset:160 ; 4-byte Folded Reload
	buffer_load_dword v78, off, s[20:23], 0 offset:164 ; 4-byte Folded Reload
	buffer_load_dword v79, off, s[20:23], 0 offset:168 ; 4-byte Folded Reload
	buffer_load_dword v80, off, s[20:23], 0 offset:172 ; 4-byte Folded Reload
	s_waitcnt vmcnt(0)
	ds_write2_b64 v125, v[77:78], v[79:80] offset0:72 offset1:73
	buffer_load_dword v77, off, s[20:23], 0 offset:144 ; 4-byte Folded Reload
	buffer_load_dword v78, off, s[20:23], 0 offset:148 ; 4-byte Folded Reload
	buffer_load_dword v79, off, s[20:23], 0 offset:152 ; 4-byte Folded Reload
	buffer_load_dword v80, off, s[20:23], 0 offset:156 ; 4-byte Folded Reload
	s_waitcnt vmcnt(0)
	;; [unrolled: 6-line block ×10, first 2 shown]
	ds_write2_b64 v125, v[45:46], v[47:48] offset0:90 offset1:91
	buffer_load_dword v41, off, s[20:23], 0 ; 4-byte Folded Reload
	buffer_load_dword v42, off, s[20:23], 0 offset:4 ; 4-byte Folded Reload
	buffer_load_dword v43, off, s[20:23], 0 offset:8 ; 4-byte Folded Reload
	;; [unrolled: 1-line block ×3, first 2 shown]
	s_waitcnt vmcnt(0)
	ds_write2_b64 v125, v[41:42], v[43:44] offset0:92 offset1:93
	ds_write2_b64 v125, v[37:38], v[39:40] offset0:94 offset1:95
	;; [unrolled: 1-line block ×12, first 2 shown]
	ds_read2_b64 v[97:100], v127 offset1:1
	s_waitcnt lgkmcnt(0)
	v_cmp_neq_f64_e32 vcc, 0, v[97:98]
	v_cmp_neq_f64_e64 s[2:3], 0, v[99:100]
	s_or_b64 s[2:3], vcc, s[2:3]
	s_and_b64 exec, exec, s[2:3]
	s_cbranch_execz .LBB115_62
; %bb.57:
	v_cmp_ngt_f64_e64 s[2:3], |v[97:98]|, |v[99:100]|
                                        ; implicit-def: $vgpr101_vgpr102
	s_and_saveexec_b64 s[6:7], s[2:3]
	s_xor_b64 s[2:3], exec, s[6:7]
                                        ; implicit-def: $vgpr103_vgpr104
	s_cbranch_execz .LBB115_59
; %bb.58:
	v_div_scale_f64 v[101:102], s[6:7], v[99:100], v[99:100], v[97:98]
	v_rcp_f64_e32 v[103:104], v[101:102]
	v_fma_f64 v[105:106], -v[101:102], v[103:104], 1.0
	v_fma_f64 v[103:104], v[103:104], v[105:106], v[103:104]
	v_div_scale_f64 v[105:106], vcc, v[97:98], v[99:100], v[97:98]
	v_fma_f64 v[107:108], -v[101:102], v[103:104], 1.0
	v_fma_f64 v[103:104], v[103:104], v[107:108], v[103:104]
	v_mul_f64 v[107:108], v[105:106], v[103:104]
	v_fma_f64 v[101:102], -v[101:102], v[107:108], v[105:106]
	v_div_fmas_f64 v[101:102], v[101:102], v[103:104], v[107:108]
	v_div_fixup_f64 v[101:102], v[101:102], v[99:100], v[97:98]
	v_fma_f64 v[97:98], v[97:98], v[101:102], v[99:100]
	v_div_scale_f64 v[99:100], s[6:7], v[97:98], v[97:98], 1.0
	v_div_scale_f64 v[107:108], vcc, 1.0, v[97:98], 1.0
	v_rcp_f64_e32 v[103:104], v[99:100]
	v_fma_f64 v[105:106], -v[99:100], v[103:104], 1.0
	v_fma_f64 v[103:104], v[103:104], v[105:106], v[103:104]
	v_fma_f64 v[105:106], -v[99:100], v[103:104], 1.0
	v_fma_f64 v[103:104], v[103:104], v[105:106], v[103:104]
	v_mul_f64 v[105:106], v[107:108], v[103:104]
	v_fma_f64 v[99:100], -v[99:100], v[105:106], v[107:108]
	v_div_fmas_f64 v[99:100], v[99:100], v[103:104], v[105:106]
	v_div_fixup_f64 v[103:104], v[99:100], v[97:98], 1.0
                                        ; implicit-def: $vgpr97_vgpr98
	v_mul_f64 v[101:102], v[101:102], v[103:104]
	v_xor_b32_e32 v104, 0x80000000, v104
.LBB115_59:
	s_andn2_saveexec_b64 s[2:3], s[2:3]
	s_cbranch_execz .LBB115_61
; %bb.60:
	v_div_scale_f64 v[101:102], s[6:7], v[97:98], v[97:98], v[99:100]
	v_rcp_f64_e32 v[103:104], v[101:102]
	v_fma_f64 v[105:106], -v[101:102], v[103:104], 1.0
	v_fma_f64 v[103:104], v[103:104], v[105:106], v[103:104]
	v_div_scale_f64 v[105:106], vcc, v[99:100], v[97:98], v[99:100]
	v_fma_f64 v[107:108], -v[101:102], v[103:104], 1.0
	v_fma_f64 v[103:104], v[103:104], v[107:108], v[103:104]
	v_mul_f64 v[107:108], v[105:106], v[103:104]
	v_fma_f64 v[101:102], -v[101:102], v[107:108], v[105:106]
	v_div_fmas_f64 v[101:102], v[101:102], v[103:104], v[107:108]
	v_div_fixup_f64 v[103:104], v[101:102], v[97:98], v[99:100]
	v_fma_f64 v[97:98], v[99:100], v[103:104], v[97:98]
	v_div_scale_f64 v[99:100], s[6:7], v[97:98], v[97:98], 1.0
	v_div_scale_f64 v[107:108], vcc, 1.0, v[97:98], 1.0
	v_rcp_f64_e32 v[101:102], v[99:100]
	v_fma_f64 v[105:106], -v[99:100], v[101:102], 1.0
	v_fma_f64 v[101:102], v[101:102], v[105:106], v[101:102]
	v_fma_f64 v[105:106], -v[99:100], v[101:102], 1.0
	v_fma_f64 v[101:102], v[101:102], v[105:106], v[101:102]
	v_mul_f64 v[105:106], v[107:108], v[101:102]
	v_fma_f64 v[99:100], -v[99:100], v[105:106], v[107:108]
	v_div_fmas_f64 v[99:100], v[99:100], v[101:102], v[105:106]
	v_div_fixup_f64 v[101:102], v[99:100], v[97:98], 1.0
	v_mul_f64 v[103:104], v[103:104], -v[101:102]
.LBB115_61:
	s_or_b64 exec, exec, s[2:3]
	ds_write2_b64 v127, v[101:102], v[103:104] offset1:1
.LBB115_62:
	s_or_b64 exec, exec, s[4:5]
	s_waitcnt lgkmcnt(0)
	s_barrier
	ds_read2_b64 v[87:90], v127 offset1:1
	v_cmp_lt_u32_e32 vcc, 6, v0
	s_waitcnt lgkmcnt(0)
	buffer_store_dword v87, off, s[20:23], 0 offset:1288 ; 4-byte Folded Spill
	s_nop 0
	buffer_store_dword v88, off, s[20:23], 0 offset:1292 ; 4-byte Folded Spill
	buffer_store_dword v89, off, s[20:23], 0 offset:1296 ; 4-byte Folded Spill
	;; [unrolled: 1-line block ×3, first 2 shown]
	s_and_saveexec_b64 s[2:3], vcc
	s_cbranch_execz .LBB115_64
; %bb.63:
	buffer_load_dword v107, off, s[20:23], 0 offset:624 ; 4-byte Folded Reload
	buffer_load_dword v108, off, s[20:23], 0 offset:628 ; 4-byte Folded Reload
	;; [unrolled: 1-line block ×8, first 2 shown]
	s_waitcnt vmcnt(2)
	v_mul_f64 v[99:100], v[87:88], v[109:110]
	s_waitcnt vmcnt(0)
	v_mul_f64 v[97:98], v[89:90], v[109:110]
	v_fma_f64 v[109:110], v[89:90], v[107:108], v[99:100]
	ds_read2_b64 v[99:102], v125 offset0:14 offset1:15
	v_fma_f64 v[97:98], v[87:88], v[107:108], -v[97:98]
	buffer_load_dword v105, off, s[20:23], 0 offset:608 ; 4-byte Folded Reload
	buffer_load_dword v106, off, s[20:23], 0 offset:612 ; 4-byte Folded Reload
	buffer_load_dword v107, off, s[20:23], 0 offset:616 ; 4-byte Folded Reload
	buffer_load_dword v108, off, s[20:23], 0 offset:620 ; 4-byte Folded Reload
	s_waitcnt lgkmcnt(0)
	v_mul_f64 v[103:104], v[101:102], v[109:110]
	v_fma_f64 v[103:104], v[99:100], v[97:98], -v[103:104]
	v_mul_f64 v[99:100], v[99:100], v[109:110]
	v_fma_f64 v[99:100], v[101:102], v[97:98], v[99:100]
	s_waitcnt vmcnt(2)
	v_add_f64 v[105:106], v[105:106], -v[103:104]
	s_waitcnt vmcnt(0)
	v_add_f64 v[107:108], v[107:108], -v[99:100]
	buffer_store_dword v105, off, s[20:23], 0 offset:608 ; 4-byte Folded Spill
	s_nop 0
	buffer_store_dword v106, off, s[20:23], 0 offset:612 ; 4-byte Folded Spill
	buffer_store_dword v107, off, s[20:23], 0 offset:616 ; 4-byte Folded Spill
	buffer_store_dword v108, off, s[20:23], 0 offset:620 ; 4-byte Folded Spill
	ds_read2_b64 v[99:102], v125 offset0:16 offset1:17
	buffer_load_dword v105, off, s[20:23], 0 offset:592 ; 4-byte Folded Reload
	buffer_load_dword v106, off, s[20:23], 0 offset:596 ; 4-byte Folded Reload
	buffer_load_dword v107, off, s[20:23], 0 offset:600 ; 4-byte Folded Reload
	buffer_load_dword v108, off, s[20:23], 0 offset:604 ; 4-byte Folded Reload
	s_waitcnt lgkmcnt(0)
	v_mul_f64 v[103:104], v[101:102], v[109:110]
	v_fma_f64 v[103:104], v[99:100], v[97:98], -v[103:104]
	v_mul_f64 v[99:100], v[99:100], v[109:110]
	v_fma_f64 v[99:100], v[101:102], v[97:98], v[99:100]
	s_waitcnt vmcnt(2)
	v_add_f64 v[105:106], v[105:106], -v[103:104]
	s_waitcnt vmcnt(0)
	v_add_f64 v[107:108], v[107:108], -v[99:100]
	buffer_store_dword v105, off, s[20:23], 0 offset:592 ; 4-byte Folded Spill
	s_nop 0
	buffer_store_dword v106, off, s[20:23], 0 offset:596 ; 4-byte Folded Spill
	buffer_store_dword v107, off, s[20:23], 0 offset:600 ; 4-byte Folded Spill
	buffer_store_dword v108, off, s[20:23], 0 offset:604 ; 4-byte Folded Spill
	ds_read2_b64 v[99:102], v125 offset0:18 offset1:19
	;; [unrolled: 19-line block ×28, first 2 shown]
	v_mov_b32_e32 v108, v98
	v_mov_b32_e32 v107, v97
	s_waitcnt lgkmcnt(0)
	v_mul_f64 v[103:104], v[101:102], v[109:110]
	v_fma_f64 v[103:104], v[99:100], v[97:98], -v[103:104]
	v_mul_f64 v[99:100], v[99:100], v[109:110]
	v_add_f64 v[91:92], v[91:92], -v[103:104]
	v_fma_f64 v[99:100], v[101:102], v[97:98], v[99:100]
	v_add_f64 v[93:94], v[93:94], -v[99:100]
	ds_read2_b64 v[99:102], v125 offset0:72 offset1:73
	buffer_load_dword v77, off, s[20:23], 0 offset:160 ; 4-byte Folded Reload
	buffer_load_dword v78, off, s[20:23], 0 offset:164 ; 4-byte Folded Reload
	buffer_load_dword v79, off, s[20:23], 0 offset:168 ; 4-byte Folded Reload
	buffer_load_dword v80, off, s[20:23], 0 offset:172 ; 4-byte Folded Reload
	s_waitcnt lgkmcnt(0)
	v_mul_f64 v[103:104], v[101:102], v[109:110]
	v_fma_f64 v[103:104], v[99:100], v[97:98], -v[103:104]
	v_mul_f64 v[99:100], v[99:100], v[109:110]
	v_fma_f64 v[99:100], v[101:102], v[97:98], v[99:100]
	s_waitcnt vmcnt(2)
	v_add_f64 v[77:78], v[77:78], -v[103:104]
	s_waitcnt vmcnt(0)
	v_add_f64 v[79:80], v[79:80], -v[99:100]
	buffer_store_dword v77, off, s[20:23], 0 offset:160 ; 4-byte Folded Spill
	s_nop 0
	buffer_store_dword v78, off, s[20:23], 0 offset:164 ; 4-byte Folded Spill
	buffer_store_dword v79, off, s[20:23], 0 offset:168 ; 4-byte Folded Spill
	buffer_store_dword v80, off, s[20:23], 0 offset:172 ; 4-byte Folded Spill
	ds_read2_b64 v[99:102], v125 offset0:74 offset1:75
	buffer_load_dword v77, off, s[20:23], 0 offset:144 ; 4-byte Folded Reload
	buffer_load_dword v78, off, s[20:23], 0 offset:148 ; 4-byte Folded Reload
	buffer_load_dword v79, off, s[20:23], 0 offset:152 ; 4-byte Folded Reload
	buffer_load_dword v80, off, s[20:23], 0 offset:156 ; 4-byte Folded Reload
	s_waitcnt lgkmcnt(0)
	v_mul_f64 v[103:104], v[101:102], v[109:110]
	v_fma_f64 v[103:104], v[99:100], v[97:98], -v[103:104]
	v_mul_f64 v[99:100], v[99:100], v[109:110]
	v_fma_f64 v[99:100], v[101:102], v[97:98], v[99:100]
	s_waitcnt vmcnt(2)
	v_add_f64 v[77:78], v[77:78], -v[103:104]
	s_waitcnt vmcnt(0)
	v_add_f64 v[79:80], v[79:80], -v[99:100]
	buffer_store_dword v77, off, s[20:23], 0 offset:144 ; 4-byte Folded Spill
	s_nop 0
	buffer_store_dword v78, off, s[20:23], 0 offset:148 ; 4-byte Folded Spill
	buffer_store_dword v79, off, s[20:23], 0 offset:152 ; 4-byte Folded Spill
	buffer_store_dword v80, off, s[20:23], 0 offset:156 ; 4-byte Folded Spill
	;; [unrolled: 19-line block ×10, first 2 shown]
	ds_read2_b64 v[99:102], v125 offset0:92 offset1:93
	buffer_load_dword v41, off, s[20:23], 0 ; 4-byte Folded Reload
	buffer_load_dword v42, off, s[20:23], 0 offset:4 ; 4-byte Folded Reload
	buffer_load_dword v43, off, s[20:23], 0 offset:8 ; 4-byte Folded Reload
	;; [unrolled: 1-line block ×3, first 2 shown]
	s_waitcnt lgkmcnt(0)
	v_mul_f64 v[103:104], v[101:102], v[109:110]
	v_fma_f64 v[103:104], v[99:100], v[97:98], -v[103:104]
	v_mul_f64 v[99:100], v[99:100], v[109:110]
	v_fma_f64 v[99:100], v[101:102], v[97:98], v[99:100]
	s_waitcnt vmcnt(2)
	v_add_f64 v[41:42], v[41:42], -v[103:104]
	s_waitcnt vmcnt(0)
	v_add_f64 v[43:44], v[43:44], -v[99:100]
	buffer_store_dword v41, off, s[20:23], 0 ; 4-byte Folded Spill
	s_nop 0
	buffer_store_dword v42, off, s[20:23], 0 offset:4 ; 4-byte Folded Spill
	buffer_store_dword v43, off, s[20:23], 0 offset:8 ; 4-byte Folded Spill
	buffer_store_dword v44, off, s[20:23], 0 offset:12 ; 4-byte Folded Spill
	ds_read2_b64 v[99:102], v125 offset0:94 offset1:95
	s_waitcnt lgkmcnt(0)
	v_mul_f64 v[103:104], v[101:102], v[109:110]
	v_fma_f64 v[103:104], v[99:100], v[97:98], -v[103:104]
	v_mul_f64 v[99:100], v[99:100], v[109:110]
	v_add_f64 v[37:38], v[37:38], -v[103:104]
	v_fma_f64 v[99:100], v[101:102], v[97:98], v[99:100]
	v_add_f64 v[39:40], v[39:40], -v[99:100]
	ds_read2_b64 v[99:102], v125 offset0:96 offset1:97
	s_waitcnt lgkmcnt(0)
	v_mul_f64 v[103:104], v[101:102], v[109:110]
	v_fma_f64 v[103:104], v[99:100], v[97:98], -v[103:104]
	v_mul_f64 v[99:100], v[99:100], v[109:110]
	v_add_f64 v[33:34], v[33:34], -v[103:104]
	v_fma_f64 v[99:100], v[101:102], v[97:98], v[99:100]
	v_add_f64 v[35:36], v[35:36], -v[99:100]
	;; [unrolled: 8-line block ×9, first 2 shown]
	ds_read2_b64 v[99:102], v125 offset0:112 offset1:113
	s_waitcnt lgkmcnt(0)
	v_mul_f64 v[103:104], v[101:102], v[109:110]
	v_fma_f64 v[103:104], v[99:100], v[97:98], -v[103:104]
	v_mul_f64 v[99:100], v[99:100], v[109:110]
	v_add_f64 v[1:2], v[1:2], -v[103:104]
	v_fma_f64 v[99:100], v[101:102], v[97:98], v[99:100]
	ds_read2_b64 v[101:104], v125 offset0:114 offset1:115
	v_add_f64 v[3:4], v[3:4], -v[99:100]
	s_waitcnt lgkmcnt(0)
	v_mul_f64 v[99:100], v[103:104], v[109:110]
	v_fma_f64 v[99:100], v[101:102], v[97:98], -v[99:100]
	v_mul_f64 v[101:102], v[101:102], v[109:110]
	buffer_store_dword v107, off, s[20:23], 0 offset:624 ; 4-byte Folded Spill
	s_nop 0
	buffer_store_dword v108, off, s[20:23], 0 offset:628 ; 4-byte Folded Spill
	buffer_store_dword v109, off, s[20:23], 0 offset:632 ; 4-byte Folded Spill
	;; [unrolled: 1-line block ×3, first 2 shown]
	v_add_f64 v[121:122], v[121:122], -v[99:100]
	v_fma_f64 v[101:102], v[103:104], v[97:98], v[101:102]
	v_add_f64 v[123:124], v[123:124], -v[101:102]
.LBB115_64:
	s_or_b64 exec, exec, s[2:3]
	v_cmp_eq_u32_e32 vcc, 7, v0
	s_waitcnt vmcnt(0)
	s_barrier
	s_and_saveexec_b64 s[4:5], vcc
	s_cbranch_execz .LBB115_71
; %bb.65:
	buffer_load_dword v95, off, s[20:23], 0 offset:608 ; 4-byte Folded Reload
	buffer_load_dword v96, off, s[20:23], 0 offset:612 ; 4-byte Folded Reload
	;; [unrolled: 1-line block ×4, first 2 shown]
	s_waitcnt vmcnt(0)
	ds_write2_b64 v127, v[95:96], v[97:98] offset1:1
	buffer_load_dword v95, off, s[20:23], 0 offset:592 ; 4-byte Folded Reload
	buffer_load_dword v96, off, s[20:23], 0 offset:596 ; 4-byte Folded Reload
	buffer_load_dword v97, off, s[20:23], 0 offset:600 ; 4-byte Folded Reload
	buffer_load_dword v98, off, s[20:23], 0 offset:604 ; 4-byte Folded Reload
	s_waitcnt vmcnt(0)
	ds_write2_b64 v125, v[95:96], v[97:98] offset0:16 offset1:17
	buffer_load_dword v95, off, s[20:23], 0 offset:576 ; 4-byte Folded Reload
	buffer_load_dword v96, off, s[20:23], 0 offset:580 ; 4-byte Folded Reload
	buffer_load_dword v97, off, s[20:23], 0 offset:584 ; 4-byte Folded Reload
	buffer_load_dword v98, off, s[20:23], 0 offset:588 ; 4-byte Folded Reload
	s_waitcnt vmcnt(0)
	ds_write2_b64 v125, v[95:96], v[97:98] offset0:18 offset1:19
	;; [unrolled: 6-line block ×27, first 2 shown]
	ds_write2_b64 v125, v[91:92], v[93:94] offset0:70 offset1:71
	buffer_load_dword v77, off, s[20:23], 0 offset:160 ; 4-byte Folded Reload
	buffer_load_dword v78, off, s[20:23], 0 offset:164 ; 4-byte Folded Reload
	buffer_load_dword v79, off, s[20:23], 0 offset:168 ; 4-byte Folded Reload
	buffer_load_dword v80, off, s[20:23], 0 offset:172 ; 4-byte Folded Reload
	s_waitcnt vmcnt(0)
	ds_write2_b64 v125, v[77:78], v[79:80] offset0:72 offset1:73
	buffer_load_dword v77, off, s[20:23], 0 offset:144 ; 4-byte Folded Reload
	buffer_load_dword v78, off, s[20:23], 0 offset:148 ; 4-byte Folded Reload
	buffer_load_dword v79, off, s[20:23], 0 offset:152 ; 4-byte Folded Reload
	buffer_load_dword v80, off, s[20:23], 0 offset:156 ; 4-byte Folded Reload
	s_waitcnt vmcnt(0)
	ds_write2_b64 v125, v[77:78], v[79:80] offset0:74 offset1:75
	buffer_load_dword v73, off, s[20:23], 0 offset:128 ; 4-byte Folded Reload
	buffer_load_dword v74, off, s[20:23], 0 offset:132 ; 4-byte Folded Reload
	buffer_load_dword v75, off, s[20:23], 0 offset:136 ; 4-byte Folded Reload
	buffer_load_dword v76, off, s[20:23], 0 offset:140 ; 4-byte Folded Reload
	s_waitcnt vmcnt(0)
	ds_write2_b64 v125, v[73:74], v[75:76] offset0:76 offset1:77
	buffer_load_dword v69, off, s[20:23], 0 offset:112 ; 4-byte Folded Reload
	buffer_load_dword v70, off, s[20:23], 0 offset:116 ; 4-byte Folded Reload
	buffer_load_dword v71, off, s[20:23], 0 offset:120 ; 4-byte Folded Reload
	buffer_load_dword v72, off, s[20:23], 0 offset:124 ; 4-byte Folded Reload
	s_waitcnt vmcnt(0)
	ds_write2_b64 v125, v[69:70], v[71:72] offset0:78 offset1:79
	buffer_load_dword v65, off, s[20:23], 0 offset:96 ; 4-byte Folded Reload
	buffer_load_dword v66, off, s[20:23], 0 offset:100 ; 4-byte Folded Reload
	buffer_load_dword v67, off, s[20:23], 0 offset:104 ; 4-byte Folded Reload
	buffer_load_dword v68, off, s[20:23], 0 offset:108 ; 4-byte Folded Reload
	s_waitcnt vmcnt(0)
	ds_write2_b64 v125, v[65:66], v[67:68] offset0:80 offset1:81
	buffer_load_dword v61, off, s[20:23], 0 offset:80 ; 4-byte Folded Reload
	buffer_load_dword v62, off, s[20:23], 0 offset:84 ; 4-byte Folded Reload
	buffer_load_dword v63, off, s[20:23], 0 offset:88 ; 4-byte Folded Reload
	buffer_load_dword v64, off, s[20:23], 0 offset:92 ; 4-byte Folded Reload
	s_waitcnt vmcnt(0)
	ds_write2_b64 v125, v[61:62], v[63:64] offset0:82 offset1:83
	buffer_load_dword v57, off, s[20:23], 0 offset:64 ; 4-byte Folded Reload
	buffer_load_dword v58, off, s[20:23], 0 offset:68 ; 4-byte Folded Reload
	buffer_load_dword v59, off, s[20:23], 0 offset:72 ; 4-byte Folded Reload
	buffer_load_dword v60, off, s[20:23], 0 offset:76 ; 4-byte Folded Reload
	s_waitcnt vmcnt(0)
	ds_write2_b64 v125, v[57:58], v[59:60] offset0:84 offset1:85
	buffer_load_dword v53, off, s[20:23], 0 offset:48 ; 4-byte Folded Reload
	buffer_load_dword v54, off, s[20:23], 0 offset:52 ; 4-byte Folded Reload
	buffer_load_dword v55, off, s[20:23], 0 offset:56 ; 4-byte Folded Reload
	buffer_load_dword v56, off, s[20:23], 0 offset:60 ; 4-byte Folded Reload
	s_waitcnt vmcnt(0)
	ds_write2_b64 v125, v[53:54], v[55:56] offset0:86 offset1:87
	buffer_load_dword v49, off, s[20:23], 0 offset:32 ; 4-byte Folded Reload
	buffer_load_dword v50, off, s[20:23], 0 offset:36 ; 4-byte Folded Reload
	buffer_load_dword v51, off, s[20:23], 0 offset:40 ; 4-byte Folded Reload
	buffer_load_dword v52, off, s[20:23], 0 offset:44 ; 4-byte Folded Reload
	s_waitcnt vmcnt(0)
	ds_write2_b64 v125, v[49:50], v[51:52] offset0:88 offset1:89
	buffer_load_dword v45, off, s[20:23], 0 offset:16 ; 4-byte Folded Reload
	buffer_load_dword v46, off, s[20:23], 0 offset:20 ; 4-byte Folded Reload
	buffer_load_dword v47, off, s[20:23], 0 offset:24 ; 4-byte Folded Reload
	buffer_load_dword v48, off, s[20:23], 0 offset:28 ; 4-byte Folded Reload
	s_waitcnt vmcnt(0)
	ds_write2_b64 v125, v[45:46], v[47:48] offset0:90 offset1:91
	buffer_load_dword v41, off, s[20:23], 0 ; 4-byte Folded Reload
	buffer_load_dword v42, off, s[20:23], 0 offset:4 ; 4-byte Folded Reload
	buffer_load_dword v43, off, s[20:23], 0 offset:8 ; 4-byte Folded Reload
	;; [unrolled: 1-line block ×3, first 2 shown]
	s_waitcnt vmcnt(0)
	ds_write2_b64 v125, v[41:42], v[43:44] offset0:92 offset1:93
	ds_write2_b64 v125, v[37:38], v[39:40] offset0:94 offset1:95
	;; [unrolled: 1-line block ×12, first 2 shown]
	ds_read2_b64 v[97:100], v127 offset1:1
	s_waitcnt lgkmcnt(0)
	v_cmp_neq_f64_e32 vcc, 0, v[97:98]
	v_cmp_neq_f64_e64 s[2:3], 0, v[99:100]
	s_or_b64 s[2:3], vcc, s[2:3]
	s_and_b64 exec, exec, s[2:3]
	s_cbranch_execz .LBB115_71
; %bb.66:
	v_cmp_ngt_f64_e64 s[2:3], |v[97:98]|, |v[99:100]|
                                        ; implicit-def: $vgpr101_vgpr102
	s_and_saveexec_b64 s[6:7], s[2:3]
	s_xor_b64 s[2:3], exec, s[6:7]
                                        ; implicit-def: $vgpr103_vgpr104
	s_cbranch_execz .LBB115_68
; %bb.67:
	v_div_scale_f64 v[101:102], s[6:7], v[99:100], v[99:100], v[97:98]
	v_rcp_f64_e32 v[103:104], v[101:102]
	v_fma_f64 v[105:106], -v[101:102], v[103:104], 1.0
	v_fma_f64 v[103:104], v[103:104], v[105:106], v[103:104]
	v_div_scale_f64 v[105:106], vcc, v[97:98], v[99:100], v[97:98]
	v_fma_f64 v[107:108], -v[101:102], v[103:104], 1.0
	v_fma_f64 v[103:104], v[103:104], v[107:108], v[103:104]
	v_mul_f64 v[107:108], v[105:106], v[103:104]
	v_fma_f64 v[101:102], -v[101:102], v[107:108], v[105:106]
	v_div_fmas_f64 v[101:102], v[101:102], v[103:104], v[107:108]
	v_div_fixup_f64 v[101:102], v[101:102], v[99:100], v[97:98]
	v_fma_f64 v[97:98], v[97:98], v[101:102], v[99:100]
	v_div_scale_f64 v[99:100], s[6:7], v[97:98], v[97:98], 1.0
	v_div_scale_f64 v[107:108], vcc, 1.0, v[97:98], 1.0
	v_rcp_f64_e32 v[103:104], v[99:100]
	v_fma_f64 v[105:106], -v[99:100], v[103:104], 1.0
	v_fma_f64 v[103:104], v[103:104], v[105:106], v[103:104]
	v_fma_f64 v[105:106], -v[99:100], v[103:104], 1.0
	v_fma_f64 v[103:104], v[103:104], v[105:106], v[103:104]
	v_mul_f64 v[105:106], v[107:108], v[103:104]
	v_fma_f64 v[99:100], -v[99:100], v[105:106], v[107:108]
	v_div_fmas_f64 v[99:100], v[99:100], v[103:104], v[105:106]
	v_div_fixup_f64 v[103:104], v[99:100], v[97:98], 1.0
                                        ; implicit-def: $vgpr97_vgpr98
	v_mul_f64 v[101:102], v[101:102], v[103:104]
	v_xor_b32_e32 v104, 0x80000000, v104
.LBB115_68:
	s_andn2_saveexec_b64 s[2:3], s[2:3]
	s_cbranch_execz .LBB115_70
; %bb.69:
	v_div_scale_f64 v[101:102], s[6:7], v[97:98], v[97:98], v[99:100]
	v_rcp_f64_e32 v[103:104], v[101:102]
	v_fma_f64 v[105:106], -v[101:102], v[103:104], 1.0
	v_fma_f64 v[103:104], v[103:104], v[105:106], v[103:104]
	v_div_scale_f64 v[105:106], vcc, v[99:100], v[97:98], v[99:100]
	v_fma_f64 v[107:108], -v[101:102], v[103:104], 1.0
	v_fma_f64 v[103:104], v[103:104], v[107:108], v[103:104]
	v_mul_f64 v[107:108], v[105:106], v[103:104]
	v_fma_f64 v[101:102], -v[101:102], v[107:108], v[105:106]
	v_div_fmas_f64 v[101:102], v[101:102], v[103:104], v[107:108]
	v_div_fixup_f64 v[103:104], v[101:102], v[97:98], v[99:100]
	v_fma_f64 v[97:98], v[99:100], v[103:104], v[97:98]
	v_div_scale_f64 v[99:100], s[6:7], v[97:98], v[97:98], 1.0
	v_div_scale_f64 v[107:108], vcc, 1.0, v[97:98], 1.0
	v_rcp_f64_e32 v[101:102], v[99:100]
	v_fma_f64 v[105:106], -v[99:100], v[101:102], 1.0
	v_fma_f64 v[101:102], v[101:102], v[105:106], v[101:102]
	v_fma_f64 v[105:106], -v[99:100], v[101:102], 1.0
	v_fma_f64 v[101:102], v[101:102], v[105:106], v[101:102]
	v_mul_f64 v[105:106], v[107:108], v[101:102]
	v_fma_f64 v[99:100], -v[99:100], v[105:106], v[107:108]
	v_div_fmas_f64 v[99:100], v[99:100], v[101:102], v[105:106]
	v_div_fixup_f64 v[101:102], v[99:100], v[97:98], 1.0
	v_mul_f64 v[103:104], v[103:104], -v[101:102]
.LBB115_70:
	s_or_b64 exec, exec, s[2:3]
	ds_write2_b64 v127, v[101:102], v[103:104] offset1:1
.LBB115_71:
	s_or_b64 exec, exec, s[4:5]
	s_waitcnt lgkmcnt(0)
	s_barrier
	ds_read2_b64 v[87:90], v127 offset1:1
	v_cmp_lt_u32_e32 vcc, 7, v0
	s_waitcnt lgkmcnt(0)
	buffer_store_dword v87, off, s[20:23], 0 offset:1304 ; 4-byte Folded Spill
	s_nop 0
	buffer_store_dword v88, off, s[20:23], 0 offset:1308 ; 4-byte Folded Spill
	buffer_store_dword v89, off, s[20:23], 0 offset:1312 ; 4-byte Folded Spill
	;; [unrolled: 1-line block ×3, first 2 shown]
	s_and_saveexec_b64 s[2:3], vcc
	s_cbranch_execz .LBB115_73
; %bb.72:
	buffer_load_dword v107, off, s[20:23], 0 offset:608 ; 4-byte Folded Reload
	buffer_load_dword v108, off, s[20:23], 0 offset:612 ; 4-byte Folded Reload
	;; [unrolled: 1-line block ×8, first 2 shown]
	s_waitcnt vmcnt(2)
	v_mul_f64 v[99:100], v[87:88], v[109:110]
	s_waitcnt vmcnt(0)
	v_mul_f64 v[97:98], v[89:90], v[109:110]
	v_fma_f64 v[109:110], v[89:90], v[107:108], v[99:100]
	ds_read2_b64 v[99:102], v125 offset0:16 offset1:17
	v_fma_f64 v[97:98], v[87:88], v[107:108], -v[97:98]
	buffer_load_dword v105, off, s[20:23], 0 offset:592 ; 4-byte Folded Reload
	buffer_load_dword v106, off, s[20:23], 0 offset:596 ; 4-byte Folded Reload
	buffer_load_dword v107, off, s[20:23], 0 offset:600 ; 4-byte Folded Reload
	buffer_load_dword v108, off, s[20:23], 0 offset:604 ; 4-byte Folded Reload
	s_waitcnt lgkmcnt(0)
	v_mul_f64 v[103:104], v[101:102], v[109:110]
	v_fma_f64 v[103:104], v[99:100], v[97:98], -v[103:104]
	v_mul_f64 v[99:100], v[99:100], v[109:110]
	v_fma_f64 v[99:100], v[101:102], v[97:98], v[99:100]
	s_waitcnt vmcnt(2)
	v_add_f64 v[105:106], v[105:106], -v[103:104]
	s_waitcnt vmcnt(0)
	v_add_f64 v[107:108], v[107:108], -v[99:100]
	buffer_store_dword v105, off, s[20:23], 0 offset:592 ; 4-byte Folded Spill
	s_nop 0
	buffer_store_dword v106, off, s[20:23], 0 offset:596 ; 4-byte Folded Spill
	buffer_store_dword v107, off, s[20:23], 0 offset:600 ; 4-byte Folded Spill
	buffer_store_dword v108, off, s[20:23], 0 offset:604 ; 4-byte Folded Spill
	ds_read2_b64 v[99:102], v125 offset0:18 offset1:19
	buffer_load_dword v105, off, s[20:23], 0 offset:576 ; 4-byte Folded Reload
	buffer_load_dword v106, off, s[20:23], 0 offset:580 ; 4-byte Folded Reload
	buffer_load_dword v107, off, s[20:23], 0 offset:584 ; 4-byte Folded Reload
	buffer_load_dword v108, off, s[20:23], 0 offset:588 ; 4-byte Folded Reload
	s_waitcnt lgkmcnt(0)
	v_mul_f64 v[103:104], v[101:102], v[109:110]
	v_fma_f64 v[103:104], v[99:100], v[97:98], -v[103:104]
	v_mul_f64 v[99:100], v[99:100], v[109:110]
	v_fma_f64 v[99:100], v[101:102], v[97:98], v[99:100]
	s_waitcnt vmcnt(2)
	v_add_f64 v[105:106], v[105:106], -v[103:104]
	s_waitcnt vmcnt(0)
	v_add_f64 v[107:108], v[107:108], -v[99:100]
	buffer_store_dword v105, off, s[20:23], 0 offset:576 ; 4-byte Folded Spill
	s_nop 0
	buffer_store_dword v106, off, s[20:23], 0 offset:580 ; 4-byte Folded Spill
	buffer_store_dword v107, off, s[20:23], 0 offset:584 ; 4-byte Folded Spill
	buffer_store_dword v108, off, s[20:23], 0 offset:588 ; 4-byte Folded Spill
	ds_read2_b64 v[99:102], v125 offset0:20 offset1:21
	buffer_load_dword v105, off, s[20:23], 0 offset:560 ; 4-byte Folded Reload
	buffer_load_dword v106, off, s[20:23], 0 offset:564 ; 4-byte Folded Reload
	buffer_load_dword v107, off, s[20:23], 0 offset:568 ; 4-byte Folded Reload
	buffer_load_dword v108, off, s[20:23], 0 offset:572 ; 4-byte Folded Reload
	s_waitcnt lgkmcnt(0)
	v_mul_f64 v[103:104], v[101:102], v[109:110]
	v_fma_f64 v[103:104], v[99:100], v[97:98], -v[103:104]
	v_mul_f64 v[99:100], v[99:100], v[109:110]
	v_fma_f64 v[99:100], v[101:102], v[97:98], v[99:100]
	s_waitcnt vmcnt(2)
	v_add_f64 v[105:106], v[105:106], -v[103:104]
	s_waitcnt vmcnt(0)
	v_add_f64 v[107:108], v[107:108], -v[99:100]
	buffer_store_dword v105, off, s[20:23], 0 offset:560 ; 4-byte Folded Spill
	s_nop 0
	buffer_store_dword v106, off, s[20:23], 0 offset:564 ; 4-byte Folded Spill
	buffer_store_dword v107, off, s[20:23], 0 offset:568 ; 4-byte Folded Spill
	buffer_store_dword v108, off, s[20:23], 0 offset:572 ; 4-byte Folded Spill
	ds_read2_b64 v[99:102], v125 offset0:22 offset1:23
	buffer_load_dword v105, off, s[20:23], 0 offset:544 ; 4-byte Folded Reload
	buffer_load_dword v106, off, s[20:23], 0 offset:548 ; 4-byte Folded Reload
	buffer_load_dword v107, off, s[20:23], 0 offset:552 ; 4-byte Folded Reload
	buffer_load_dword v108, off, s[20:23], 0 offset:556 ; 4-byte Folded Reload
	s_waitcnt lgkmcnt(0)
	v_mul_f64 v[103:104], v[101:102], v[109:110]
	v_fma_f64 v[103:104], v[99:100], v[97:98], -v[103:104]
	v_mul_f64 v[99:100], v[99:100], v[109:110]
	v_fma_f64 v[99:100], v[101:102], v[97:98], v[99:100]
	s_waitcnt vmcnt(2)
	v_add_f64 v[105:106], v[105:106], -v[103:104]
	s_waitcnt vmcnt(0)
	v_add_f64 v[107:108], v[107:108], -v[99:100]
	buffer_store_dword v105, off, s[20:23], 0 offset:544 ; 4-byte Folded Spill
	s_nop 0
	buffer_store_dword v106, off, s[20:23], 0 offset:548 ; 4-byte Folded Spill
	buffer_store_dword v107, off, s[20:23], 0 offset:552 ; 4-byte Folded Spill
	buffer_store_dword v108, off, s[20:23], 0 offset:556 ; 4-byte Folded Spill
	ds_read2_b64 v[99:102], v125 offset0:24 offset1:25
	buffer_load_dword v105, off, s[20:23], 0 offset:528 ; 4-byte Folded Reload
	buffer_load_dword v106, off, s[20:23], 0 offset:532 ; 4-byte Folded Reload
	buffer_load_dword v107, off, s[20:23], 0 offset:536 ; 4-byte Folded Reload
	buffer_load_dword v108, off, s[20:23], 0 offset:540 ; 4-byte Folded Reload
	s_waitcnt lgkmcnt(0)
	v_mul_f64 v[103:104], v[101:102], v[109:110]
	v_fma_f64 v[103:104], v[99:100], v[97:98], -v[103:104]
	v_mul_f64 v[99:100], v[99:100], v[109:110]
	v_fma_f64 v[99:100], v[101:102], v[97:98], v[99:100]
	s_waitcnt vmcnt(2)
	v_add_f64 v[105:106], v[105:106], -v[103:104]
	s_waitcnt vmcnt(0)
	v_add_f64 v[107:108], v[107:108], -v[99:100]
	buffer_store_dword v105, off, s[20:23], 0 offset:528 ; 4-byte Folded Spill
	s_nop 0
	buffer_store_dword v106, off, s[20:23], 0 offset:532 ; 4-byte Folded Spill
	buffer_store_dword v107, off, s[20:23], 0 offset:536 ; 4-byte Folded Spill
	buffer_store_dword v108, off, s[20:23], 0 offset:540 ; 4-byte Folded Spill
	ds_read2_b64 v[99:102], v125 offset0:26 offset1:27
	buffer_load_dword v105, off, s[20:23], 0 offset:512 ; 4-byte Folded Reload
	buffer_load_dword v106, off, s[20:23], 0 offset:516 ; 4-byte Folded Reload
	buffer_load_dword v107, off, s[20:23], 0 offset:520 ; 4-byte Folded Reload
	buffer_load_dword v108, off, s[20:23], 0 offset:524 ; 4-byte Folded Reload
	s_waitcnt lgkmcnt(0)
	v_mul_f64 v[103:104], v[101:102], v[109:110]
	v_fma_f64 v[103:104], v[99:100], v[97:98], -v[103:104]
	v_mul_f64 v[99:100], v[99:100], v[109:110]
	v_fma_f64 v[99:100], v[101:102], v[97:98], v[99:100]
	s_waitcnt vmcnt(2)
	v_add_f64 v[105:106], v[105:106], -v[103:104]
	s_waitcnt vmcnt(0)
	v_add_f64 v[107:108], v[107:108], -v[99:100]
	buffer_store_dword v105, off, s[20:23], 0 offset:512 ; 4-byte Folded Spill
	s_nop 0
	buffer_store_dword v106, off, s[20:23], 0 offset:516 ; 4-byte Folded Spill
	buffer_store_dword v107, off, s[20:23], 0 offset:520 ; 4-byte Folded Spill
	buffer_store_dword v108, off, s[20:23], 0 offset:524 ; 4-byte Folded Spill
	ds_read2_b64 v[99:102], v125 offset0:28 offset1:29
	buffer_load_dword v105, off, s[20:23], 0 offset:496 ; 4-byte Folded Reload
	buffer_load_dword v106, off, s[20:23], 0 offset:500 ; 4-byte Folded Reload
	buffer_load_dword v107, off, s[20:23], 0 offset:504 ; 4-byte Folded Reload
	buffer_load_dword v108, off, s[20:23], 0 offset:508 ; 4-byte Folded Reload
	s_waitcnt lgkmcnt(0)
	v_mul_f64 v[103:104], v[101:102], v[109:110]
	v_fma_f64 v[103:104], v[99:100], v[97:98], -v[103:104]
	v_mul_f64 v[99:100], v[99:100], v[109:110]
	v_fma_f64 v[99:100], v[101:102], v[97:98], v[99:100]
	s_waitcnt vmcnt(2)
	v_add_f64 v[105:106], v[105:106], -v[103:104]
	s_waitcnt vmcnt(0)
	v_add_f64 v[107:108], v[107:108], -v[99:100]
	buffer_store_dword v105, off, s[20:23], 0 offset:496 ; 4-byte Folded Spill
	s_nop 0
	buffer_store_dword v106, off, s[20:23], 0 offset:500 ; 4-byte Folded Spill
	buffer_store_dword v107, off, s[20:23], 0 offset:504 ; 4-byte Folded Spill
	buffer_store_dword v108, off, s[20:23], 0 offset:508 ; 4-byte Folded Spill
	ds_read2_b64 v[99:102], v125 offset0:30 offset1:31
	buffer_load_dword v105, off, s[20:23], 0 offset:480 ; 4-byte Folded Reload
	buffer_load_dword v106, off, s[20:23], 0 offset:484 ; 4-byte Folded Reload
	buffer_load_dword v107, off, s[20:23], 0 offset:488 ; 4-byte Folded Reload
	buffer_load_dword v108, off, s[20:23], 0 offset:492 ; 4-byte Folded Reload
	s_waitcnt lgkmcnt(0)
	v_mul_f64 v[103:104], v[101:102], v[109:110]
	v_fma_f64 v[103:104], v[99:100], v[97:98], -v[103:104]
	v_mul_f64 v[99:100], v[99:100], v[109:110]
	v_fma_f64 v[99:100], v[101:102], v[97:98], v[99:100]
	s_waitcnt vmcnt(2)
	v_add_f64 v[105:106], v[105:106], -v[103:104]
	s_waitcnt vmcnt(0)
	v_add_f64 v[107:108], v[107:108], -v[99:100]
	buffer_store_dword v105, off, s[20:23], 0 offset:480 ; 4-byte Folded Spill
	s_nop 0
	buffer_store_dword v106, off, s[20:23], 0 offset:484 ; 4-byte Folded Spill
	buffer_store_dword v107, off, s[20:23], 0 offset:488 ; 4-byte Folded Spill
	buffer_store_dword v108, off, s[20:23], 0 offset:492 ; 4-byte Folded Spill
	ds_read2_b64 v[99:102], v125 offset0:32 offset1:33
	buffer_load_dword v105, off, s[20:23], 0 offset:464 ; 4-byte Folded Reload
	buffer_load_dword v106, off, s[20:23], 0 offset:468 ; 4-byte Folded Reload
	buffer_load_dword v107, off, s[20:23], 0 offset:472 ; 4-byte Folded Reload
	buffer_load_dword v108, off, s[20:23], 0 offset:476 ; 4-byte Folded Reload
	s_waitcnt lgkmcnt(0)
	v_mul_f64 v[103:104], v[101:102], v[109:110]
	v_fma_f64 v[103:104], v[99:100], v[97:98], -v[103:104]
	v_mul_f64 v[99:100], v[99:100], v[109:110]
	v_fma_f64 v[99:100], v[101:102], v[97:98], v[99:100]
	s_waitcnt vmcnt(2)
	v_add_f64 v[105:106], v[105:106], -v[103:104]
	s_waitcnt vmcnt(0)
	v_add_f64 v[107:108], v[107:108], -v[99:100]
	buffer_store_dword v105, off, s[20:23], 0 offset:464 ; 4-byte Folded Spill
	s_nop 0
	buffer_store_dword v106, off, s[20:23], 0 offset:468 ; 4-byte Folded Spill
	buffer_store_dword v107, off, s[20:23], 0 offset:472 ; 4-byte Folded Spill
	buffer_store_dword v108, off, s[20:23], 0 offset:476 ; 4-byte Folded Spill
	ds_read2_b64 v[99:102], v125 offset0:34 offset1:35
	buffer_load_dword v105, off, s[20:23], 0 offset:448 ; 4-byte Folded Reload
	buffer_load_dword v106, off, s[20:23], 0 offset:452 ; 4-byte Folded Reload
	buffer_load_dword v107, off, s[20:23], 0 offset:456 ; 4-byte Folded Reload
	buffer_load_dword v108, off, s[20:23], 0 offset:460 ; 4-byte Folded Reload
	s_waitcnt lgkmcnt(0)
	v_mul_f64 v[103:104], v[101:102], v[109:110]
	v_fma_f64 v[103:104], v[99:100], v[97:98], -v[103:104]
	v_mul_f64 v[99:100], v[99:100], v[109:110]
	v_fma_f64 v[99:100], v[101:102], v[97:98], v[99:100]
	s_waitcnt vmcnt(2)
	v_add_f64 v[105:106], v[105:106], -v[103:104]
	s_waitcnt vmcnt(0)
	v_add_f64 v[107:108], v[107:108], -v[99:100]
	buffer_store_dword v105, off, s[20:23], 0 offset:448 ; 4-byte Folded Spill
	s_nop 0
	buffer_store_dword v106, off, s[20:23], 0 offset:452 ; 4-byte Folded Spill
	buffer_store_dword v107, off, s[20:23], 0 offset:456 ; 4-byte Folded Spill
	buffer_store_dword v108, off, s[20:23], 0 offset:460 ; 4-byte Folded Spill
	ds_read2_b64 v[99:102], v125 offset0:36 offset1:37
	buffer_load_dword v105, off, s[20:23], 0 offset:432 ; 4-byte Folded Reload
	buffer_load_dword v106, off, s[20:23], 0 offset:436 ; 4-byte Folded Reload
	buffer_load_dword v107, off, s[20:23], 0 offset:440 ; 4-byte Folded Reload
	buffer_load_dword v108, off, s[20:23], 0 offset:444 ; 4-byte Folded Reload
	s_waitcnt lgkmcnt(0)
	v_mul_f64 v[103:104], v[101:102], v[109:110]
	v_fma_f64 v[103:104], v[99:100], v[97:98], -v[103:104]
	v_mul_f64 v[99:100], v[99:100], v[109:110]
	v_fma_f64 v[99:100], v[101:102], v[97:98], v[99:100]
	s_waitcnt vmcnt(2)
	v_add_f64 v[105:106], v[105:106], -v[103:104]
	s_waitcnt vmcnt(0)
	v_add_f64 v[107:108], v[107:108], -v[99:100]
	buffer_store_dword v105, off, s[20:23], 0 offset:432 ; 4-byte Folded Spill
	s_nop 0
	buffer_store_dword v106, off, s[20:23], 0 offset:436 ; 4-byte Folded Spill
	buffer_store_dword v107, off, s[20:23], 0 offset:440 ; 4-byte Folded Spill
	buffer_store_dword v108, off, s[20:23], 0 offset:444 ; 4-byte Folded Spill
	ds_read2_b64 v[99:102], v125 offset0:38 offset1:39
	buffer_load_dword v105, off, s[20:23], 0 offset:416 ; 4-byte Folded Reload
	buffer_load_dword v106, off, s[20:23], 0 offset:420 ; 4-byte Folded Reload
	buffer_load_dword v107, off, s[20:23], 0 offset:424 ; 4-byte Folded Reload
	buffer_load_dword v108, off, s[20:23], 0 offset:428 ; 4-byte Folded Reload
	s_waitcnt lgkmcnt(0)
	v_mul_f64 v[103:104], v[101:102], v[109:110]
	v_fma_f64 v[103:104], v[99:100], v[97:98], -v[103:104]
	v_mul_f64 v[99:100], v[99:100], v[109:110]
	v_fma_f64 v[99:100], v[101:102], v[97:98], v[99:100]
	s_waitcnt vmcnt(2)
	v_add_f64 v[105:106], v[105:106], -v[103:104]
	s_waitcnt vmcnt(0)
	v_add_f64 v[107:108], v[107:108], -v[99:100]
	buffer_store_dword v105, off, s[20:23], 0 offset:416 ; 4-byte Folded Spill
	s_nop 0
	buffer_store_dword v106, off, s[20:23], 0 offset:420 ; 4-byte Folded Spill
	buffer_store_dword v107, off, s[20:23], 0 offset:424 ; 4-byte Folded Spill
	buffer_store_dword v108, off, s[20:23], 0 offset:428 ; 4-byte Folded Spill
	ds_read2_b64 v[99:102], v125 offset0:40 offset1:41
	buffer_load_dword v105, off, s[20:23], 0 offset:400 ; 4-byte Folded Reload
	buffer_load_dword v106, off, s[20:23], 0 offset:404 ; 4-byte Folded Reload
	buffer_load_dword v107, off, s[20:23], 0 offset:408 ; 4-byte Folded Reload
	buffer_load_dword v108, off, s[20:23], 0 offset:412 ; 4-byte Folded Reload
	s_waitcnt lgkmcnt(0)
	v_mul_f64 v[103:104], v[101:102], v[109:110]
	v_fma_f64 v[103:104], v[99:100], v[97:98], -v[103:104]
	v_mul_f64 v[99:100], v[99:100], v[109:110]
	v_fma_f64 v[99:100], v[101:102], v[97:98], v[99:100]
	s_waitcnt vmcnt(2)
	v_add_f64 v[105:106], v[105:106], -v[103:104]
	s_waitcnt vmcnt(0)
	v_add_f64 v[107:108], v[107:108], -v[99:100]
	buffer_store_dword v105, off, s[20:23], 0 offset:400 ; 4-byte Folded Spill
	s_nop 0
	buffer_store_dword v106, off, s[20:23], 0 offset:404 ; 4-byte Folded Spill
	buffer_store_dword v107, off, s[20:23], 0 offset:408 ; 4-byte Folded Spill
	buffer_store_dword v108, off, s[20:23], 0 offset:412 ; 4-byte Folded Spill
	ds_read2_b64 v[99:102], v125 offset0:42 offset1:43
	buffer_load_dword v105, off, s[20:23], 0 offset:384 ; 4-byte Folded Reload
	buffer_load_dword v106, off, s[20:23], 0 offset:388 ; 4-byte Folded Reload
	buffer_load_dword v107, off, s[20:23], 0 offset:392 ; 4-byte Folded Reload
	buffer_load_dword v108, off, s[20:23], 0 offset:396 ; 4-byte Folded Reload
	s_waitcnt lgkmcnt(0)
	v_mul_f64 v[103:104], v[101:102], v[109:110]
	v_fma_f64 v[103:104], v[99:100], v[97:98], -v[103:104]
	v_mul_f64 v[99:100], v[99:100], v[109:110]
	v_fma_f64 v[99:100], v[101:102], v[97:98], v[99:100]
	s_waitcnt vmcnt(2)
	v_add_f64 v[105:106], v[105:106], -v[103:104]
	s_waitcnt vmcnt(0)
	v_add_f64 v[107:108], v[107:108], -v[99:100]
	buffer_store_dword v105, off, s[20:23], 0 offset:384 ; 4-byte Folded Spill
	s_nop 0
	buffer_store_dword v106, off, s[20:23], 0 offset:388 ; 4-byte Folded Spill
	buffer_store_dword v107, off, s[20:23], 0 offset:392 ; 4-byte Folded Spill
	buffer_store_dword v108, off, s[20:23], 0 offset:396 ; 4-byte Folded Spill
	ds_read2_b64 v[99:102], v125 offset0:44 offset1:45
	buffer_load_dword v105, off, s[20:23], 0 offset:368 ; 4-byte Folded Reload
	buffer_load_dword v106, off, s[20:23], 0 offset:372 ; 4-byte Folded Reload
	buffer_load_dword v107, off, s[20:23], 0 offset:376 ; 4-byte Folded Reload
	buffer_load_dword v108, off, s[20:23], 0 offset:380 ; 4-byte Folded Reload
	s_waitcnt lgkmcnt(0)
	v_mul_f64 v[103:104], v[101:102], v[109:110]
	v_fma_f64 v[103:104], v[99:100], v[97:98], -v[103:104]
	v_mul_f64 v[99:100], v[99:100], v[109:110]
	v_fma_f64 v[99:100], v[101:102], v[97:98], v[99:100]
	s_waitcnt vmcnt(2)
	v_add_f64 v[105:106], v[105:106], -v[103:104]
	s_waitcnt vmcnt(0)
	v_add_f64 v[107:108], v[107:108], -v[99:100]
	buffer_store_dword v105, off, s[20:23], 0 offset:368 ; 4-byte Folded Spill
	s_nop 0
	buffer_store_dword v106, off, s[20:23], 0 offset:372 ; 4-byte Folded Spill
	buffer_store_dword v107, off, s[20:23], 0 offset:376 ; 4-byte Folded Spill
	buffer_store_dword v108, off, s[20:23], 0 offset:380 ; 4-byte Folded Spill
	ds_read2_b64 v[99:102], v125 offset0:46 offset1:47
	buffer_load_dword v105, off, s[20:23], 0 offset:352 ; 4-byte Folded Reload
	buffer_load_dword v106, off, s[20:23], 0 offset:356 ; 4-byte Folded Reload
	buffer_load_dword v107, off, s[20:23], 0 offset:360 ; 4-byte Folded Reload
	buffer_load_dword v108, off, s[20:23], 0 offset:364 ; 4-byte Folded Reload
	s_waitcnt lgkmcnt(0)
	v_mul_f64 v[103:104], v[101:102], v[109:110]
	v_fma_f64 v[103:104], v[99:100], v[97:98], -v[103:104]
	v_mul_f64 v[99:100], v[99:100], v[109:110]
	v_fma_f64 v[99:100], v[101:102], v[97:98], v[99:100]
	s_waitcnt vmcnt(2)
	v_add_f64 v[105:106], v[105:106], -v[103:104]
	s_waitcnt vmcnt(0)
	v_add_f64 v[107:108], v[107:108], -v[99:100]
	buffer_store_dword v105, off, s[20:23], 0 offset:352 ; 4-byte Folded Spill
	s_nop 0
	buffer_store_dword v106, off, s[20:23], 0 offset:356 ; 4-byte Folded Spill
	buffer_store_dword v107, off, s[20:23], 0 offset:360 ; 4-byte Folded Spill
	buffer_store_dword v108, off, s[20:23], 0 offset:364 ; 4-byte Folded Spill
	ds_read2_b64 v[99:102], v125 offset0:48 offset1:49
	buffer_load_dword v105, off, s[20:23], 0 offset:336 ; 4-byte Folded Reload
	buffer_load_dword v106, off, s[20:23], 0 offset:340 ; 4-byte Folded Reload
	buffer_load_dword v107, off, s[20:23], 0 offset:344 ; 4-byte Folded Reload
	buffer_load_dword v108, off, s[20:23], 0 offset:348 ; 4-byte Folded Reload
	s_waitcnt lgkmcnt(0)
	v_mul_f64 v[103:104], v[101:102], v[109:110]
	v_fma_f64 v[103:104], v[99:100], v[97:98], -v[103:104]
	v_mul_f64 v[99:100], v[99:100], v[109:110]
	v_fma_f64 v[99:100], v[101:102], v[97:98], v[99:100]
	s_waitcnt vmcnt(2)
	v_add_f64 v[105:106], v[105:106], -v[103:104]
	s_waitcnt vmcnt(0)
	v_add_f64 v[107:108], v[107:108], -v[99:100]
	buffer_store_dword v105, off, s[20:23], 0 offset:336 ; 4-byte Folded Spill
	s_nop 0
	buffer_store_dword v106, off, s[20:23], 0 offset:340 ; 4-byte Folded Spill
	buffer_store_dword v107, off, s[20:23], 0 offset:344 ; 4-byte Folded Spill
	buffer_store_dword v108, off, s[20:23], 0 offset:348 ; 4-byte Folded Spill
	ds_read2_b64 v[99:102], v125 offset0:50 offset1:51
	buffer_load_dword v105, off, s[20:23], 0 offset:320 ; 4-byte Folded Reload
	buffer_load_dword v106, off, s[20:23], 0 offset:324 ; 4-byte Folded Reload
	buffer_load_dword v107, off, s[20:23], 0 offset:328 ; 4-byte Folded Reload
	buffer_load_dword v108, off, s[20:23], 0 offset:332 ; 4-byte Folded Reload
	s_waitcnt lgkmcnt(0)
	v_mul_f64 v[103:104], v[101:102], v[109:110]
	v_fma_f64 v[103:104], v[99:100], v[97:98], -v[103:104]
	v_mul_f64 v[99:100], v[99:100], v[109:110]
	v_fma_f64 v[99:100], v[101:102], v[97:98], v[99:100]
	s_waitcnt vmcnt(2)
	v_add_f64 v[105:106], v[105:106], -v[103:104]
	s_waitcnt vmcnt(0)
	v_add_f64 v[107:108], v[107:108], -v[99:100]
	buffer_store_dword v105, off, s[20:23], 0 offset:320 ; 4-byte Folded Spill
	s_nop 0
	buffer_store_dword v106, off, s[20:23], 0 offset:324 ; 4-byte Folded Spill
	buffer_store_dword v107, off, s[20:23], 0 offset:328 ; 4-byte Folded Spill
	buffer_store_dword v108, off, s[20:23], 0 offset:332 ; 4-byte Folded Spill
	ds_read2_b64 v[99:102], v125 offset0:52 offset1:53
	buffer_load_dword v105, off, s[20:23], 0 offset:304 ; 4-byte Folded Reload
	buffer_load_dword v106, off, s[20:23], 0 offset:308 ; 4-byte Folded Reload
	buffer_load_dword v107, off, s[20:23], 0 offset:312 ; 4-byte Folded Reload
	buffer_load_dword v108, off, s[20:23], 0 offset:316 ; 4-byte Folded Reload
	s_waitcnt lgkmcnt(0)
	v_mul_f64 v[103:104], v[101:102], v[109:110]
	v_fma_f64 v[103:104], v[99:100], v[97:98], -v[103:104]
	v_mul_f64 v[99:100], v[99:100], v[109:110]
	v_fma_f64 v[99:100], v[101:102], v[97:98], v[99:100]
	s_waitcnt vmcnt(2)
	v_add_f64 v[105:106], v[105:106], -v[103:104]
	s_waitcnt vmcnt(0)
	v_add_f64 v[107:108], v[107:108], -v[99:100]
	buffer_store_dword v105, off, s[20:23], 0 offset:304 ; 4-byte Folded Spill
	s_nop 0
	buffer_store_dword v106, off, s[20:23], 0 offset:308 ; 4-byte Folded Spill
	buffer_store_dword v107, off, s[20:23], 0 offset:312 ; 4-byte Folded Spill
	buffer_store_dword v108, off, s[20:23], 0 offset:316 ; 4-byte Folded Spill
	ds_read2_b64 v[99:102], v125 offset0:54 offset1:55
	buffer_load_dword v105, off, s[20:23], 0 offset:288 ; 4-byte Folded Reload
	buffer_load_dword v106, off, s[20:23], 0 offset:292 ; 4-byte Folded Reload
	buffer_load_dword v107, off, s[20:23], 0 offset:296 ; 4-byte Folded Reload
	buffer_load_dword v108, off, s[20:23], 0 offset:300 ; 4-byte Folded Reload
	s_waitcnt lgkmcnt(0)
	v_mul_f64 v[103:104], v[101:102], v[109:110]
	v_fma_f64 v[103:104], v[99:100], v[97:98], -v[103:104]
	v_mul_f64 v[99:100], v[99:100], v[109:110]
	v_fma_f64 v[99:100], v[101:102], v[97:98], v[99:100]
	s_waitcnt vmcnt(2)
	v_add_f64 v[105:106], v[105:106], -v[103:104]
	s_waitcnt vmcnt(0)
	v_add_f64 v[107:108], v[107:108], -v[99:100]
	buffer_store_dword v105, off, s[20:23], 0 offset:288 ; 4-byte Folded Spill
	s_nop 0
	buffer_store_dword v106, off, s[20:23], 0 offset:292 ; 4-byte Folded Spill
	buffer_store_dword v107, off, s[20:23], 0 offset:296 ; 4-byte Folded Spill
	buffer_store_dword v108, off, s[20:23], 0 offset:300 ; 4-byte Folded Spill
	ds_read2_b64 v[99:102], v125 offset0:56 offset1:57
	buffer_load_dword v105, off, s[20:23], 0 offset:272 ; 4-byte Folded Reload
	buffer_load_dword v106, off, s[20:23], 0 offset:276 ; 4-byte Folded Reload
	buffer_load_dword v107, off, s[20:23], 0 offset:280 ; 4-byte Folded Reload
	buffer_load_dword v108, off, s[20:23], 0 offset:284 ; 4-byte Folded Reload
	s_waitcnt lgkmcnt(0)
	v_mul_f64 v[103:104], v[101:102], v[109:110]
	v_fma_f64 v[103:104], v[99:100], v[97:98], -v[103:104]
	v_mul_f64 v[99:100], v[99:100], v[109:110]
	v_fma_f64 v[99:100], v[101:102], v[97:98], v[99:100]
	s_waitcnt vmcnt(2)
	v_add_f64 v[105:106], v[105:106], -v[103:104]
	s_waitcnt vmcnt(0)
	v_add_f64 v[107:108], v[107:108], -v[99:100]
	buffer_store_dword v105, off, s[20:23], 0 offset:272 ; 4-byte Folded Spill
	s_nop 0
	buffer_store_dword v106, off, s[20:23], 0 offset:276 ; 4-byte Folded Spill
	buffer_store_dword v107, off, s[20:23], 0 offset:280 ; 4-byte Folded Spill
	buffer_store_dword v108, off, s[20:23], 0 offset:284 ; 4-byte Folded Spill
	ds_read2_b64 v[99:102], v125 offset0:58 offset1:59
	buffer_load_dword v105, off, s[20:23], 0 offset:256 ; 4-byte Folded Reload
	buffer_load_dword v106, off, s[20:23], 0 offset:260 ; 4-byte Folded Reload
	buffer_load_dword v107, off, s[20:23], 0 offset:264 ; 4-byte Folded Reload
	buffer_load_dword v108, off, s[20:23], 0 offset:268 ; 4-byte Folded Reload
	s_waitcnt lgkmcnt(0)
	v_mul_f64 v[103:104], v[101:102], v[109:110]
	v_fma_f64 v[103:104], v[99:100], v[97:98], -v[103:104]
	v_mul_f64 v[99:100], v[99:100], v[109:110]
	v_fma_f64 v[99:100], v[101:102], v[97:98], v[99:100]
	s_waitcnt vmcnt(2)
	v_add_f64 v[105:106], v[105:106], -v[103:104]
	s_waitcnt vmcnt(0)
	v_add_f64 v[107:108], v[107:108], -v[99:100]
	buffer_store_dword v105, off, s[20:23], 0 offset:256 ; 4-byte Folded Spill
	s_nop 0
	buffer_store_dword v106, off, s[20:23], 0 offset:260 ; 4-byte Folded Spill
	buffer_store_dword v107, off, s[20:23], 0 offset:264 ; 4-byte Folded Spill
	buffer_store_dword v108, off, s[20:23], 0 offset:268 ; 4-byte Folded Spill
	ds_read2_b64 v[99:102], v125 offset0:60 offset1:61
	buffer_load_dword v105, off, s[20:23], 0 offset:240 ; 4-byte Folded Reload
	buffer_load_dword v106, off, s[20:23], 0 offset:244 ; 4-byte Folded Reload
	buffer_load_dword v107, off, s[20:23], 0 offset:248 ; 4-byte Folded Reload
	buffer_load_dword v108, off, s[20:23], 0 offset:252 ; 4-byte Folded Reload
	s_waitcnt lgkmcnt(0)
	v_mul_f64 v[103:104], v[101:102], v[109:110]
	v_fma_f64 v[103:104], v[99:100], v[97:98], -v[103:104]
	v_mul_f64 v[99:100], v[99:100], v[109:110]
	v_fma_f64 v[99:100], v[101:102], v[97:98], v[99:100]
	s_waitcnt vmcnt(2)
	v_add_f64 v[105:106], v[105:106], -v[103:104]
	s_waitcnt vmcnt(0)
	v_add_f64 v[107:108], v[107:108], -v[99:100]
	buffer_store_dword v105, off, s[20:23], 0 offset:240 ; 4-byte Folded Spill
	s_nop 0
	buffer_store_dword v106, off, s[20:23], 0 offset:244 ; 4-byte Folded Spill
	buffer_store_dword v107, off, s[20:23], 0 offset:248 ; 4-byte Folded Spill
	buffer_store_dword v108, off, s[20:23], 0 offset:252 ; 4-byte Folded Spill
	ds_read2_b64 v[99:102], v125 offset0:62 offset1:63
	buffer_load_dword v105, off, s[20:23], 0 offset:224 ; 4-byte Folded Reload
	buffer_load_dword v106, off, s[20:23], 0 offset:228 ; 4-byte Folded Reload
	buffer_load_dword v107, off, s[20:23], 0 offset:232 ; 4-byte Folded Reload
	buffer_load_dword v108, off, s[20:23], 0 offset:236 ; 4-byte Folded Reload
	s_waitcnt lgkmcnt(0)
	v_mul_f64 v[103:104], v[101:102], v[109:110]
	v_fma_f64 v[103:104], v[99:100], v[97:98], -v[103:104]
	v_mul_f64 v[99:100], v[99:100], v[109:110]
	v_fma_f64 v[99:100], v[101:102], v[97:98], v[99:100]
	s_waitcnt vmcnt(2)
	v_add_f64 v[105:106], v[105:106], -v[103:104]
	s_waitcnt vmcnt(0)
	v_add_f64 v[107:108], v[107:108], -v[99:100]
	buffer_store_dword v105, off, s[20:23], 0 offset:224 ; 4-byte Folded Spill
	s_nop 0
	buffer_store_dword v106, off, s[20:23], 0 offset:228 ; 4-byte Folded Spill
	buffer_store_dword v107, off, s[20:23], 0 offset:232 ; 4-byte Folded Spill
	buffer_store_dword v108, off, s[20:23], 0 offset:236 ; 4-byte Folded Spill
	ds_read2_b64 v[99:102], v125 offset0:64 offset1:65
	buffer_load_dword v105, off, s[20:23], 0 offset:208 ; 4-byte Folded Reload
	buffer_load_dword v106, off, s[20:23], 0 offset:212 ; 4-byte Folded Reload
	buffer_load_dword v107, off, s[20:23], 0 offset:216 ; 4-byte Folded Reload
	buffer_load_dword v108, off, s[20:23], 0 offset:220 ; 4-byte Folded Reload
	s_waitcnt lgkmcnt(0)
	v_mul_f64 v[103:104], v[101:102], v[109:110]
	v_fma_f64 v[103:104], v[99:100], v[97:98], -v[103:104]
	v_mul_f64 v[99:100], v[99:100], v[109:110]
	v_fma_f64 v[99:100], v[101:102], v[97:98], v[99:100]
	s_waitcnt vmcnt(2)
	v_add_f64 v[105:106], v[105:106], -v[103:104]
	s_waitcnt vmcnt(0)
	v_add_f64 v[107:108], v[107:108], -v[99:100]
	buffer_store_dword v105, off, s[20:23], 0 offset:208 ; 4-byte Folded Spill
	s_nop 0
	buffer_store_dword v106, off, s[20:23], 0 offset:212 ; 4-byte Folded Spill
	buffer_store_dword v107, off, s[20:23], 0 offset:216 ; 4-byte Folded Spill
	buffer_store_dword v108, off, s[20:23], 0 offset:220 ; 4-byte Folded Spill
	ds_read2_b64 v[99:102], v125 offset0:66 offset1:67
	buffer_load_dword v105, off, s[20:23], 0 offset:192 ; 4-byte Folded Reload
	buffer_load_dword v106, off, s[20:23], 0 offset:196 ; 4-byte Folded Reload
	buffer_load_dword v107, off, s[20:23], 0 offset:200 ; 4-byte Folded Reload
	buffer_load_dword v108, off, s[20:23], 0 offset:204 ; 4-byte Folded Reload
	s_waitcnt lgkmcnt(0)
	v_mul_f64 v[103:104], v[101:102], v[109:110]
	v_fma_f64 v[103:104], v[99:100], v[97:98], -v[103:104]
	v_mul_f64 v[99:100], v[99:100], v[109:110]
	v_fma_f64 v[99:100], v[101:102], v[97:98], v[99:100]
	s_waitcnt vmcnt(2)
	v_add_f64 v[105:106], v[105:106], -v[103:104]
	s_waitcnt vmcnt(0)
	v_add_f64 v[107:108], v[107:108], -v[99:100]
	buffer_store_dword v105, off, s[20:23], 0 offset:192 ; 4-byte Folded Spill
	s_nop 0
	buffer_store_dword v106, off, s[20:23], 0 offset:196 ; 4-byte Folded Spill
	buffer_store_dword v107, off, s[20:23], 0 offset:200 ; 4-byte Folded Spill
	buffer_store_dword v108, off, s[20:23], 0 offset:204 ; 4-byte Folded Spill
	ds_read2_b64 v[99:102], v125 offset0:68 offset1:69
	buffer_load_dword v105, off, s[20:23], 0 offset:176 ; 4-byte Folded Reload
	buffer_load_dword v106, off, s[20:23], 0 offset:180 ; 4-byte Folded Reload
	buffer_load_dword v107, off, s[20:23], 0 offset:184 ; 4-byte Folded Reload
	buffer_load_dword v108, off, s[20:23], 0 offset:188 ; 4-byte Folded Reload
	s_waitcnt lgkmcnt(0)
	v_mul_f64 v[103:104], v[101:102], v[109:110]
	v_fma_f64 v[103:104], v[99:100], v[97:98], -v[103:104]
	v_mul_f64 v[99:100], v[99:100], v[109:110]
	v_fma_f64 v[99:100], v[101:102], v[97:98], v[99:100]
	s_waitcnt vmcnt(2)
	v_add_f64 v[105:106], v[105:106], -v[103:104]
	s_waitcnt vmcnt(0)
	v_add_f64 v[107:108], v[107:108], -v[99:100]
	buffer_store_dword v105, off, s[20:23], 0 offset:176 ; 4-byte Folded Spill
	s_nop 0
	buffer_store_dword v106, off, s[20:23], 0 offset:180 ; 4-byte Folded Spill
	buffer_store_dword v107, off, s[20:23], 0 offset:184 ; 4-byte Folded Spill
	buffer_store_dword v108, off, s[20:23], 0 offset:188 ; 4-byte Folded Spill
	ds_read2_b64 v[99:102], v125 offset0:70 offset1:71
	v_mov_b32_e32 v108, v98
	v_mov_b32_e32 v107, v97
	s_waitcnt lgkmcnt(0)
	v_mul_f64 v[103:104], v[101:102], v[109:110]
	v_fma_f64 v[103:104], v[99:100], v[97:98], -v[103:104]
	v_mul_f64 v[99:100], v[99:100], v[109:110]
	v_add_f64 v[91:92], v[91:92], -v[103:104]
	v_fma_f64 v[99:100], v[101:102], v[97:98], v[99:100]
	v_add_f64 v[93:94], v[93:94], -v[99:100]
	ds_read2_b64 v[99:102], v125 offset0:72 offset1:73
	buffer_load_dword v77, off, s[20:23], 0 offset:160 ; 4-byte Folded Reload
	buffer_load_dword v78, off, s[20:23], 0 offset:164 ; 4-byte Folded Reload
	buffer_load_dword v79, off, s[20:23], 0 offset:168 ; 4-byte Folded Reload
	buffer_load_dword v80, off, s[20:23], 0 offset:172 ; 4-byte Folded Reload
	s_waitcnt lgkmcnt(0)
	v_mul_f64 v[103:104], v[101:102], v[109:110]
	v_fma_f64 v[103:104], v[99:100], v[97:98], -v[103:104]
	v_mul_f64 v[99:100], v[99:100], v[109:110]
	v_fma_f64 v[99:100], v[101:102], v[97:98], v[99:100]
	s_waitcnt vmcnt(2)
	v_add_f64 v[77:78], v[77:78], -v[103:104]
	s_waitcnt vmcnt(0)
	v_add_f64 v[79:80], v[79:80], -v[99:100]
	buffer_store_dword v77, off, s[20:23], 0 offset:160 ; 4-byte Folded Spill
	s_nop 0
	buffer_store_dword v78, off, s[20:23], 0 offset:164 ; 4-byte Folded Spill
	buffer_store_dword v79, off, s[20:23], 0 offset:168 ; 4-byte Folded Spill
	buffer_store_dword v80, off, s[20:23], 0 offset:172 ; 4-byte Folded Spill
	ds_read2_b64 v[99:102], v125 offset0:74 offset1:75
	buffer_load_dword v77, off, s[20:23], 0 offset:144 ; 4-byte Folded Reload
	buffer_load_dword v78, off, s[20:23], 0 offset:148 ; 4-byte Folded Reload
	buffer_load_dword v79, off, s[20:23], 0 offset:152 ; 4-byte Folded Reload
	buffer_load_dword v80, off, s[20:23], 0 offset:156 ; 4-byte Folded Reload
	s_waitcnt lgkmcnt(0)
	v_mul_f64 v[103:104], v[101:102], v[109:110]
	v_fma_f64 v[103:104], v[99:100], v[97:98], -v[103:104]
	v_mul_f64 v[99:100], v[99:100], v[109:110]
	v_fma_f64 v[99:100], v[101:102], v[97:98], v[99:100]
	s_waitcnt vmcnt(2)
	v_add_f64 v[77:78], v[77:78], -v[103:104]
	s_waitcnt vmcnt(0)
	v_add_f64 v[79:80], v[79:80], -v[99:100]
	buffer_store_dword v77, off, s[20:23], 0 offset:144 ; 4-byte Folded Spill
	s_nop 0
	buffer_store_dword v78, off, s[20:23], 0 offset:148 ; 4-byte Folded Spill
	buffer_store_dword v79, off, s[20:23], 0 offset:152 ; 4-byte Folded Spill
	buffer_store_dword v80, off, s[20:23], 0 offset:156 ; 4-byte Folded Spill
	;; [unrolled: 19-line block ×10, first 2 shown]
	ds_read2_b64 v[99:102], v125 offset0:92 offset1:93
	buffer_load_dword v41, off, s[20:23], 0 ; 4-byte Folded Reload
	buffer_load_dword v42, off, s[20:23], 0 offset:4 ; 4-byte Folded Reload
	buffer_load_dword v43, off, s[20:23], 0 offset:8 ; 4-byte Folded Reload
	;; [unrolled: 1-line block ×3, first 2 shown]
	s_waitcnt lgkmcnt(0)
	v_mul_f64 v[103:104], v[101:102], v[109:110]
	v_fma_f64 v[103:104], v[99:100], v[97:98], -v[103:104]
	v_mul_f64 v[99:100], v[99:100], v[109:110]
	v_fma_f64 v[99:100], v[101:102], v[97:98], v[99:100]
	s_waitcnt vmcnt(2)
	v_add_f64 v[41:42], v[41:42], -v[103:104]
	s_waitcnt vmcnt(0)
	v_add_f64 v[43:44], v[43:44], -v[99:100]
	buffer_store_dword v41, off, s[20:23], 0 ; 4-byte Folded Spill
	s_nop 0
	buffer_store_dword v42, off, s[20:23], 0 offset:4 ; 4-byte Folded Spill
	buffer_store_dword v43, off, s[20:23], 0 offset:8 ; 4-byte Folded Spill
	;; [unrolled: 1-line block ×3, first 2 shown]
	ds_read2_b64 v[99:102], v125 offset0:94 offset1:95
	s_waitcnt lgkmcnt(0)
	v_mul_f64 v[103:104], v[101:102], v[109:110]
	v_fma_f64 v[103:104], v[99:100], v[97:98], -v[103:104]
	v_mul_f64 v[99:100], v[99:100], v[109:110]
	v_add_f64 v[37:38], v[37:38], -v[103:104]
	v_fma_f64 v[99:100], v[101:102], v[97:98], v[99:100]
	v_add_f64 v[39:40], v[39:40], -v[99:100]
	ds_read2_b64 v[99:102], v125 offset0:96 offset1:97
	s_waitcnt lgkmcnt(0)
	v_mul_f64 v[103:104], v[101:102], v[109:110]
	v_fma_f64 v[103:104], v[99:100], v[97:98], -v[103:104]
	v_mul_f64 v[99:100], v[99:100], v[109:110]
	v_add_f64 v[33:34], v[33:34], -v[103:104]
	v_fma_f64 v[99:100], v[101:102], v[97:98], v[99:100]
	v_add_f64 v[35:36], v[35:36], -v[99:100]
	;; [unrolled: 8-line block ×9, first 2 shown]
	ds_read2_b64 v[99:102], v125 offset0:112 offset1:113
	s_waitcnt lgkmcnt(0)
	v_mul_f64 v[103:104], v[101:102], v[109:110]
	v_fma_f64 v[103:104], v[99:100], v[97:98], -v[103:104]
	v_mul_f64 v[99:100], v[99:100], v[109:110]
	v_add_f64 v[1:2], v[1:2], -v[103:104]
	v_fma_f64 v[99:100], v[101:102], v[97:98], v[99:100]
	ds_read2_b64 v[101:104], v125 offset0:114 offset1:115
	v_add_f64 v[3:4], v[3:4], -v[99:100]
	s_waitcnt lgkmcnt(0)
	v_mul_f64 v[99:100], v[103:104], v[109:110]
	v_fma_f64 v[99:100], v[101:102], v[97:98], -v[99:100]
	v_mul_f64 v[101:102], v[101:102], v[109:110]
	buffer_store_dword v107, off, s[20:23], 0 offset:608 ; 4-byte Folded Spill
	s_nop 0
	buffer_store_dword v108, off, s[20:23], 0 offset:612 ; 4-byte Folded Spill
	buffer_store_dword v109, off, s[20:23], 0 offset:616 ; 4-byte Folded Spill
	;; [unrolled: 1-line block ×3, first 2 shown]
	v_add_f64 v[121:122], v[121:122], -v[99:100]
	v_fma_f64 v[101:102], v[103:104], v[97:98], v[101:102]
	v_add_f64 v[123:124], v[123:124], -v[101:102]
.LBB115_73:
	s_or_b64 exec, exec, s[2:3]
	v_cmp_eq_u32_e32 vcc, 8, v0
	s_waitcnt vmcnt(0)
	s_barrier
	s_and_saveexec_b64 s[4:5], vcc
	s_cbranch_execz .LBB115_80
; %bb.74:
	buffer_load_dword v95, off, s[20:23], 0 offset:592 ; 4-byte Folded Reload
	buffer_load_dword v96, off, s[20:23], 0 offset:596 ; 4-byte Folded Reload
	;; [unrolled: 1-line block ×4, first 2 shown]
	s_waitcnt vmcnt(0)
	ds_write2_b64 v127, v[95:96], v[97:98] offset1:1
	buffer_load_dword v95, off, s[20:23], 0 offset:576 ; 4-byte Folded Reload
	buffer_load_dword v96, off, s[20:23], 0 offset:580 ; 4-byte Folded Reload
	buffer_load_dword v97, off, s[20:23], 0 offset:584 ; 4-byte Folded Reload
	buffer_load_dword v98, off, s[20:23], 0 offset:588 ; 4-byte Folded Reload
	s_waitcnt vmcnt(0)
	ds_write2_b64 v125, v[95:96], v[97:98] offset0:18 offset1:19
	buffer_load_dword v95, off, s[20:23], 0 offset:560 ; 4-byte Folded Reload
	buffer_load_dword v96, off, s[20:23], 0 offset:564 ; 4-byte Folded Reload
	buffer_load_dword v97, off, s[20:23], 0 offset:568 ; 4-byte Folded Reload
	buffer_load_dword v98, off, s[20:23], 0 offset:572 ; 4-byte Folded Reload
	s_waitcnt vmcnt(0)
	ds_write2_b64 v125, v[95:96], v[97:98] offset0:20 offset1:21
	;; [unrolled: 6-line block ×26, first 2 shown]
	ds_write2_b64 v125, v[91:92], v[93:94] offset0:70 offset1:71
	buffer_load_dword v77, off, s[20:23], 0 offset:160 ; 4-byte Folded Reload
	buffer_load_dword v78, off, s[20:23], 0 offset:164 ; 4-byte Folded Reload
	buffer_load_dword v79, off, s[20:23], 0 offset:168 ; 4-byte Folded Reload
	buffer_load_dword v80, off, s[20:23], 0 offset:172 ; 4-byte Folded Reload
	s_waitcnt vmcnt(0)
	ds_write2_b64 v125, v[77:78], v[79:80] offset0:72 offset1:73
	buffer_load_dword v77, off, s[20:23], 0 offset:144 ; 4-byte Folded Reload
	buffer_load_dword v78, off, s[20:23], 0 offset:148 ; 4-byte Folded Reload
	buffer_load_dword v79, off, s[20:23], 0 offset:152 ; 4-byte Folded Reload
	buffer_load_dword v80, off, s[20:23], 0 offset:156 ; 4-byte Folded Reload
	s_waitcnt vmcnt(0)
	;; [unrolled: 6-line block ×10, first 2 shown]
	ds_write2_b64 v125, v[45:46], v[47:48] offset0:90 offset1:91
	buffer_load_dword v41, off, s[20:23], 0 ; 4-byte Folded Reload
	buffer_load_dword v42, off, s[20:23], 0 offset:4 ; 4-byte Folded Reload
	buffer_load_dword v43, off, s[20:23], 0 offset:8 ; 4-byte Folded Reload
	;; [unrolled: 1-line block ×3, first 2 shown]
	s_waitcnt vmcnt(0)
	ds_write2_b64 v125, v[41:42], v[43:44] offset0:92 offset1:93
	ds_write2_b64 v125, v[37:38], v[39:40] offset0:94 offset1:95
	;; [unrolled: 1-line block ×12, first 2 shown]
	ds_read2_b64 v[97:100], v127 offset1:1
	s_waitcnt lgkmcnt(0)
	v_cmp_neq_f64_e32 vcc, 0, v[97:98]
	v_cmp_neq_f64_e64 s[2:3], 0, v[99:100]
	s_or_b64 s[2:3], vcc, s[2:3]
	s_and_b64 exec, exec, s[2:3]
	s_cbranch_execz .LBB115_80
; %bb.75:
	v_cmp_ngt_f64_e64 s[2:3], |v[97:98]|, |v[99:100]|
                                        ; implicit-def: $vgpr101_vgpr102
	s_and_saveexec_b64 s[6:7], s[2:3]
	s_xor_b64 s[2:3], exec, s[6:7]
                                        ; implicit-def: $vgpr103_vgpr104
	s_cbranch_execz .LBB115_77
; %bb.76:
	v_div_scale_f64 v[101:102], s[6:7], v[99:100], v[99:100], v[97:98]
	v_rcp_f64_e32 v[103:104], v[101:102]
	v_fma_f64 v[105:106], -v[101:102], v[103:104], 1.0
	v_fma_f64 v[103:104], v[103:104], v[105:106], v[103:104]
	v_div_scale_f64 v[105:106], vcc, v[97:98], v[99:100], v[97:98]
	v_fma_f64 v[107:108], -v[101:102], v[103:104], 1.0
	v_fma_f64 v[103:104], v[103:104], v[107:108], v[103:104]
	v_mul_f64 v[107:108], v[105:106], v[103:104]
	v_fma_f64 v[101:102], -v[101:102], v[107:108], v[105:106]
	v_div_fmas_f64 v[101:102], v[101:102], v[103:104], v[107:108]
	v_div_fixup_f64 v[101:102], v[101:102], v[99:100], v[97:98]
	v_fma_f64 v[97:98], v[97:98], v[101:102], v[99:100]
	v_div_scale_f64 v[99:100], s[6:7], v[97:98], v[97:98], 1.0
	v_div_scale_f64 v[107:108], vcc, 1.0, v[97:98], 1.0
	v_rcp_f64_e32 v[103:104], v[99:100]
	v_fma_f64 v[105:106], -v[99:100], v[103:104], 1.0
	v_fma_f64 v[103:104], v[103:104], v[105:106], v[103:104]
	v_fma_f64 v[105:106], -v[99:100], v[103:104], 1.0
	v_fma_f64 v[103:104], v[103:104], v[105:106], v[103:104]
	v_mul_f64 v[105:106], v[107:108], v[103:104]
	v_fma_f64 v[99:100], -v[99:100], v[105:106], v[107:108]
	v_div_fmas_f64 v[99:100], v[99:100], v[103:104], v[105:106]
	v_div_fixup_f64 v[103:104], v[99:100], v[97:98], 1.0
                                        ; implicit-def: $vgpr97_vgpr98
	v_mul_f64 v[101:102], v[101:102], v[103:104]
	v_xor_b32_e32 v104, 0x80000000, v104
.LBB115_77:
	s_andn2_saveexec_b64 s[2:3], s[2:3]
	s_cbranch_execz .LBB115_79
; %bb.78:
	v_div_scale_f64 v[101:102], s[6:7], v[97:98], v[97:98], v[99:100]
	v_rcp_f64_e32 v[103:104], v[101:102]
	v_fma_f64 v[105:106], -v[101:102], v[103:104], 1.0
	v_fma_f64 v[103:104], v[103:104], v[105:106], v[103:104]
	v_div_scale_f64 v[105:106], vcc, v[99:100], v[97:98], v[99:100]
	v_fma_f64 v[107:108], -v[101:102], v[103:104], 1.0
	v_fma_f64 v[103:104], v[103:104], v[107:108], v[103:104]
	v_mul_f64 v[107:108], v[105:106], v[103:104]
	v_fma_f64 v[101:102], -v[101:102], v[107:108], v[105:106]
	v_div_fmas_f64 v[101:102], v[101:102], v[103:104], v[107:108]
	v_div_fixup_f64 v[103:104], v[101:102], v[97:98], v[99:100]
	v_fma_f64 v[97:98], v[99:100], v[103:104], v[97:98]
	v_div_scale_f64 v[99:100], s[6:7], v[97:98], v[97:98], 1.0
	v_div_scale_f64 v[107:108], vcc, 1.0, v[97:98], 1.0
	v_rcp_f64_e32 v[101:102], v[99:100]
	v_fma_f64 v[105:106], -v[99:100], v[101:102], 1.0
	v_fma_f64 v[101:102], v[101:102], v[105:106], v[101:102]
	v_fma_f64 v[105:106], -v[99:100], v[101:102], 1.0
	v_fma_f64 v[101:102], v[101:102], v[105:106], v[101:102]
	v_mul_f64 v[105:106], v[107:108], v[101:102]
	v_fma_f64 v[99:100], -v[99:100], v[105:106], v[107:108]
	v_div_fmas_f64 v[99:100], v[99:100], v[101:102], v[105:106]
	v_div_fixup_f64 v[101:102], v[99:100], v[97:98], 1.0
	v_mul_f64 v[103:104], v[103:104], -v[101:102]
.LBB115_79:
	s_or_b64 exec, exec, s[2:3]
	ds_write2_b64 v127, v[101:102], v[103:104] offset1:1
.LBB115_80:
	s_or_b64 exec, exec, s[4:5]
	s_waitcnt lgkmcnt(0)
	s_barrier
	ds_read2_b64 v[87:90], v127 offset1:1
	v_cmp_lt_u32_e32 vcc, 8, v0
	s_waitcnt lgkmcnt(0)
	buffer_store_dword v87, off, s[20:23], 0 offset:1320 ; 4-byte Folded Spill
	s_nop 0
	buffer_store_dword v88, off, s[20:23], 0 offset:1324 ; 4-byte Folded Spill
	buffer_store_dword v89, off, s[20:23], 0 offset:1328 ; 4-byte Folded Spill
	;; [unrolled: 1-line block ×3, first 2 shown]
	s_and_saveexec_b64 s[2:3], vcc
	s_cbranch_execz .LBB115_82
; %bb.81:
	buffer_load_dword v107, off, s[20:23], 0 offset:592 ; 4-byte Folded Reload
	buffer_load_dword v108, off, s[20:23], 0 offset:596 ; 4-byte Folded Reload
	;; [unrolled: 1-line block ×8, first 2 shown]
	s_waitcnt vmcnt(2)
	v_mul_f64 v[99:100], v[87:88], v[109:110]
	s_waitcnt vmcnt(0)
	v_mul_f64 v[97:98], v[89:90], v[109:110]
	v_fma_f64 v[109:110], v[89:90], v[107:108], v[99:100]
	ds_read2_b64 v[99:102], v125 offset0:18 offset1:19
	v_fma_f64 v[97:98], v[87:88], v[107:108], -v[97:98]
	buffer_load_dword v105, off, s[20:23], 0 offset:576 ; 4-byte Folded Reload
	buffer_load_dword v106, off, s[20:23], 0 offset:580 ; 4-byte Folded Reload
	buffer_load_dword v107, off, s[20:23], 0 offset:584 ; 4-byte Folded Reload
	buffer_load_dword v108, off, s[20:23], 0 offset:588 ; 4-byte Folded Reload
	s_waitcnt lgkmcnt(0)
	v_mul_f64 v[103:104], v[101:102], v[109:110]
	v_fma_f64 v[103:104], v[99:100], v[97:98], -v[103:104]
	v_mul_f64 v[99:100], v[99:100], v[109:110]
	v_fma_f64 v[99:100], v[101:102], v[97:98], v[99:100]
	s_waitcnt vmcnt(2)
	v_add_f64 v[105:106], v[105:106], -v[103:104]
	s_waitcnt vmcnt(0)
	v_add_f64 v[107:108], v[107:108], -v[99:100]
	buffer_store_dword v105, off, s[20:23], 0 offset:576 ; 4-byte Folded Spill
	s_nop 0
	buffer_store_dword v106, off, s[20:23], 0 offset:580 ; 4-byte Folded Spill
	buffer_store_dword v107, off, s[20:23], 0 offset:584 ; 4-byte Folded Spill
	buffer_store_dword v108, off, s[20:23], 0 offset:588 ; 4-byte Folded Spill
	ds_read2_b64 v[99:102], v125 offset0:20 offset1:21
	buffer_load_dword v105, off, s[20:23], 0 offset:560 ; 4-byte Folded Reload
	buffer_load_dword v106, off, s[20:23], 0 offset:564 ; 4-byte Folded Reload
	buffer_load_dword v107, off, s[20:23], 0 offset:568 ; 4-byte Folded Reload
	buffer_load_dword v108, off, s[20:23], 0 offset:572 ; 4-byte Folded Reload
	s_waitcnt lgkmcnt(0)
	v_mul_f64 v[103:104], v[101:102], v[109:110]
	v_fma_f64 v[103:104], v[99:100], v[97:98], -v[103:104]
	v_mul_f64 v[99:100], v[99:100], v[109:110]
	v_fma_f64 v[99:100], v[101:102], v[97:98], v[99:100]
	s_waitcnt vmcnt(2)
	v_add_f64 v[105:106], v[105:106], -v[103:104]
	s_waitcnt vmcnt(0)
	v_add_f64 v[107:108], v[107:108], -v[99:100]
	buffer_store_dword v105, off, s[20:23], 0 offset:560 ; 4-byte Folded Spill
	s_nop 0
	buffer_store_dword v106, off, s[20:23], 0 offset:564 ; 4-byte Folded Spill
	buffer_store_dword v107, off, s[20:23], 0 offset:568 ; 4-byte Folded Spill
	buffer_store_dword v108, off, s[20:23], 0 offset:572 ; 4-byte Folded Spill
	ds_read2_b64 v[99:102], v125 offset0:22 offset1:23
	;; [unrolled: 19-line block ×26, first 2 shown]
	v_mov_b32_e32 v108, v98
	v_mov_b32_e32 v107, v97
	s_waitcnt lgkmcnt(0)
	v_mul_f64 v[103:104], v[101:102], v[109:110]
	v_fma_f64 v[103:104], v[99:100], v[97:98], -v[103:104]
	v_mul_f64 v[99:100], v[99:100], v[109:110]
	v_add_f64 v[91:92], v[91:92], -v[103:104]
	v_fma_f64 v[99:100], v[101:102], v[97:98], v[99:100]
	v_add_f64 v[93:94], v[93:94], -v[99:100]
	ds_read2_b64 v[99:102], v125 offset0:72 offset1:73
	buffer_load_dword v77, off, s[20:23], 0 offset:160 ; 4-byte Folded Reload
	buffer_load_dword v78, off, s[20:23], 0 offset:164 ; 4-byte Folded Reload
	buffer_load_dword v79, off, s[20:23], 0 offset:168 ; 4-byte Folded Reload
	buffer_load_dword v80, off, s[20:23], 0 offset:172 ; 4-byte Folded Reload
	s_waitcnt lgkmcnt(0)
	v_mul_f64 v[103:104], v[101:102], v[109:110]
	v_fma_f64 v[103:104], v[99:100], v[97:98], -v[103:104]
	v_mul_f64 v[99:100], v[99:100], v[109:110]
	v_fma_f64 v[99:100], v[101:102], v[97:98], v[99:100]
	s_waitcnt vmcnt(2)
	v_add_f64 v[77:78], v[77:78], -v[103:104]
	s_waitcnt vmcnt(0)
	v_add_f64 v[79:80], v[79:80], -v[99:100]
	buffer_store_dword v77, off, s[20:23], 0 offset:160 ; 4-byte Folded Spill
	s_nop 0
	buffer_store_dword v78, off, s[20:23], 0 offset:164 ; 4-byte Folded Spill
	buffer_store_dword v79, off, s[20:23], 0 offset:168 ; 4-byte Folded Spill
	buffer_store_dword v80, off, s[20:23], 0 offset:172 ; 4-byte Folded Spill
	ds_read2_b64 v[99:102], v125 offset0:74 offset1:75
	buffer_load_dword v77, off, s[20:23], 0 offset:144 ; 4-byte Folded Reload
	buffer_load_dword v78, off, s[20:23], 0 offset:148 ; 4-byte Folded Reload
	buffer_load_dword v79, off, s[20:23], 0 offset:152 ; 4-byte Folded Reload
	buffer_load_dword v80, off, s[20:23], 0 offset:156 ; 4-byte Folded Reload
	s_waitcnt lgkmcnt(0)
	v_mul_f64 v[103:104], v[101:102], v[109:110]
	v_fma_f64 v[103:104], v[99:100], v[97:98], -v[103:104]
	v_mul_f64 v[99:100], v[99:100], v[109:110]
	v_fma_f64 v[99:100], v[101:102], v[97:98], v[99:100]
	s_waitcnt vmcnt(2)
	v_add_f64 v[77:78], v[77:78], -v[103:104]
	s_waitcnt vmcnt(0)
	v_add_f64 v[79:80], v[79:80], -v[99:100]
	buffer_store_dword v77, off, s[20:23], 0 offset:144 ; 4-byte Folded Spill
	s_nop 0
	buffer_store_dword v78, off, s[20:23], 0 offset:148 ; 4-byte Folded Spill
	buffer_store_dword v79, off, s[20:23], 0 offset:152 ; 4-byte Folded Spill
	buffer_store_dword v80, off, s[20:23], 0 offset:156 ; 4-byte Folded Spill
	;; [unrolled: 19-line block ×10, first 2 shown]
	ds_read2_b64 v[99:102], v125 offset0:92 offset1:93
	buffer_load_dword v41, off, s[20:23], 0 ; 4-byte Folded Reload
	buffer_load_dword v42, off, s[20:23], 0 offset:4 ; 4-byte Folded Reload
	buffer_load_dword v43, off, s[20:23], 0 offset:8 ; 4-byte Folded Reload
	;; [unrolled: 1-line block ×3, first 2 shown]
	s_waitcnt lgkmcnt(0)
	v_mul_f64 v[103:104], v[101:102], v[109:110]
	v_fma_f64 v[103:104], v[99:100], v[97:98], -v[103:104]
	v_mul_f64 v[99:100], v[99:100], v[109:110]
	v_fma_f64 v[99:100], v[101:102], v[97:98], v[99:100]
	s_waitcnt vmcnt(2)
	v_add_f64 v[41:42], v[41:42], -v[103:104]
	s_waitcnt vmcnt(0)
	v_add_f64 v[43:44], v[43:44], -v[99:100]
	buffer_store_dword v41, off, s[20:23], 0 ; 4-byte Folded Spill
	s_nop 0
	buffer_store_dword v42, off, s[20:23], 0 offset:4 ; 4-byte Folded Spill
	buffer_store_dword v43, off, s[20:23], 0 offset:8 ; 4-byte Folded Spill
	;; [unrolled: 1-line block ×3, first 2 shown]
	ds_read2_b64 v[99:102], v125 offset0:94 offset1:95
	s_waitcnt lgkmcnt(0)
	v_mul_f64 v[103:104], v[101:102], v[109:110]
	v_fma_f64 v[103:104], v[99:100], v[97:98], -v[103:104]
	v_mul_f64 v[99:100], v[99:100], v[109:110]
	v_add_f64 v[37:38], v[37:38], -v[103:104]
	v_fma_f64 v[99:100], v[101:102], v[97:98], v[99:100]
	v_add_f64 v[39:40], v[39:40], -v[99:100]
	ds_read2_b64 v[99:102], v125 offset0:96 offset1:97
	s_waitcnt lgkmcnt(0)
	v_mul_f64 v[103:104], v[101:102], v[109:110]
	v_fma_f64 v[103:104], v[99:100], v[97:98], -v[103:104]
	v_mul_f64 v[99:100], v[99:100], v[109:110]
	v_add_f64 v[33:34], v[33:34], -v[103:104]
	v_fma_f64 v[99:100], v[101:102], v[97:98], v[99:100]
	v_add_f64 v[35:36], v[35:36], -v[99:100]
	;; [unrolled: 8-line block ×9, first 2 shown]
	ds_read2_b64 v[99:102], v125 offset0:112 offset1:113
	s_waitcnt lgkmcnt(0)
	v_mul_f64 v[103:104], v[101:102], v[109:110]
	v_fma_f64 v[103:104], v[99:100], v[97:98], -v[103:104]
	v_mul_f64 v[99:100], v[99:100], v[109:110]
	v_add_f64 v[1:2], v[1:2], -v[103:104]
	v_fma_f64 v[99:100], v[101:102], v[97:98], v[99:100]
	ds_read2_b64 v[101:104], v125 offset0:114 offset1:115
	v_add_f64 v[3:4], v[3:4], -v[99:100]
	s_waitcnt lgkmcnt(0)
	v_mul_f64 v[99:100], v[103:104], v[109:110]
	v_fma_f64 v[99:100], v[101:102], v[97:98], -v[99:100]
	v_mul_f64 v[101:102], v[101:102], v[109:110]
	buffer_store_dword v107, off, s[20:23], 0 offset:592 ; 4-byte Folded Spill
	s_nop 0
	buffer_store_dword v108, off, s[20:23], 0 offset:596 ; 4-byte Folded Spill
	buffer_store_dword v109, off, s[20:23], 0 offset:600 ; 4-byte Folded Spill
	;; [unrolled: 1-line block ×3, first 2 shown]
	v_add_f64 v[121:122], v[121:122], -v[99:100]
	v_fma_f64 v[101:102], v[103:104], v[97:98], v[101:102]
	v_add_f64 v[123:124], v[123:124], -v[101:102]
.LBB115_82:
	s_or_b64 exec, exec, s[2:3]
	v_cmp_eq_u32_e32 vcc, 9, v0
	s_waitcnt vmcnt(0)
	s_barrier
	s_and_saveexec_b64 s[4:5], vcc
	s_cbranch_execz .LBB115_89
; %bb.83:
	buffer_load_dword v95, off, s[20:23], 0 offset:576 ; 4-byte Folded Reload
	buffer_load_dword v96, off, s[20:23], 0 offset:580 ; 4-byte Folded Reload
	;; [unrolled: 1-line block ×4, first 2 shown]
	s_waitcnt vmcnt(0)
	ds_write2_b64 v127, v[95:96], v[97:98] offset1:1
	buffer_load_dword v95, off, s[20:23], 0 offset:560 ; 4-byte Folded Reload
	buffer_load_dword v96, off, s[20:23], 0 offset:564 ; 4-byte Folded Reload
	buffer_load_dword v97, off, s[20:23], 0 offset:568 ; 4-byte Folded Reload
	buffer_load_dword v98, off, s[20:23], 0 offset:572 ; 4-byte Folded Reload
	s_waitcnt vmcnt(0)
	ds_write2_b64 v125, v[95:96], v[97:98] offset0:20 offset1:21
	buffer_load_dword v95, off, s[20:23], 0 offset:544 ; 4-byte Folded Reload
	buffer_load_dword v96, off, s[20:23], 0 offset:548 ; 4-byte Folded Reload
	buffer_load_dword v97, off, s[20:23], 0 offset:552 ; 4-byte Folded Reload
	buffer_load_dword v98, off, s[20:23], 0 offset:556 ; 4-byte Folded Reload
	s_waitcnt vmcnt(0)
	ds_write2_b64 v125, v[95:96], v[97:98] offset0:22 offset1:23
	;; [unrolled: 6-line block ×25, first 2 shown]
	ds_write2_b64 v125, v[91:92], v[93:94] offset0:70 offset1:71
	buffer_load_dword v77, off, s[20:23], 0 offset:160 ; 4-byte Folded Reload
	buffer_load_dword v78, off, s[20:23], 0 offset:164 ; 4-byte Folded Reload
	buffer_load_dword v79, off, s[20:23], 0 offset:168 ; 4-byte Folded Reload
	buffer_load_dword v80, off, s[20:23], 0 offset:172 ; 4-byte Folded Reload
	s_waitcnt vmcnt(0)
	ds_write2_b64 v125, v[77:78], v[79:80] offset0:72 offset1:73
	buffer_load_dword v77, off, s[20:23], 0 offset:144 ; 4-byte Folded Reload
	buffer_load_dword v78, off, s[20:23], 0 offset:148 ; 4-byte Folded Reload
	buffer_load_dword v79, off, s[20:23], 0 offset:152 ; 4-byte Folded Reload
	buffer_load_dword v80, off, s[20:23], 0 offset:156 ; 4-byte Folded Reload
	s_waitcnt vmcnt(0)
	;; [unrolled: 6-line block ×10, first 2 shown]
	ds_write2_b64 v125, v[45:46], v[47:48] offset0:90 offset1:91
	buffer_load_dword v41, off, s[20:23], 0 ; 4-byte Folded Reload
	buffer_load_dword v42, off, s[20:23], 0 offset:4 ; 4-byte Folded Reload
	buffer_load_dword v43, off, s[20:23], 0 offset:8 ; 4-byte Folded Reload
	;; [unrolled: 1-line block ×3, first 2 shown]
	s_waitcnt vmcnt(0)
	ds_write2_b64 v125, v[41:42], v[43:44] offset0:92 offset1:93
	ds_write2_b64 v125, v[37:38], v[39:40] offset0:94 offset1:95
	;; [unrolled: 1-line block ×12, first 2 shown]
	ds_read2_b64 v[97:100], v127 offset1:1
	s_waitcnt lgkmcnt(0)
	v_cmp_neq_f64_e32 vcc, 0, v[97:98]
	v_cmp_neq_f64_e64 s[2:3], 0, v[99:100]
	s_or_b64 s[2:3], vcc, s[2:3]
	s_and_b64 exec, exec, s[2:3]
	s_cbranch_execz .LBB115_89
; %bb.84:
	v_cmp_ngt_f64_e64 s[2:3], |v[97:98]|, |v[99:100]|
                                        ; implicit-def: $vgpr101_vgpr102
	s_and_saveexec_b64 s[6:7], s[2:3]
	s_xor_b64 s[2:3], exec, s[6:7]
                                        ; implicit-def: $vgpr103_vgpr104
	s_cbranch_execz .LBB115_86
; %bb.85:
	v_div_scale_f64 v[101:102], s[6:7], v[99:100], v[99:100], v[97:98]
	v_rcp_f64_e32 v[103:104], v[101:102]
	v_fma_f64 v[105:106], -v[101:102], v[103:104], 1.0
	v_fma_f64 v[103:104], v[103:104], v[105:106], v[103:104]
	v_div_scale_f64 v[105:106], vcc, v[97:98], v[99:100], v[97:98]
	v_fma_f64 v[107:108], -v[101:102], v[103:104], 1.0
	v_fma_f64 v[103:104], v[103:104], v[107:108], v[103:104]
	v_mul_f64 v[107:108], v[105:106], v[103:104]
	v_fma_f64 v[101:102], -v[101:102], v[107:108], v[105:106]
	v_div_fmas_f64 v[101:102], v[101:102], v[103:104], v[107:108]
	v_div_fixup_f64 v[101:102], v[101:102], v[99:100], v[97:98]
	v_fma_f64 v[97:98], v[97:98], v[101:102], v[99:100]
	v_div_scale_f64 v[99:100], s[6:7], v[97:98], v[97:98], 1.0
	v_div_scale_f64 v[107:108], vcc, 1.0, v[97:98], 1.0
	v_rcp_f64_e32 v[103:104], v[99:100]
	v_fma_f64 v[105:106], -v[99:100], v[103:104], 1.0
	v_fma_f64 v[103:104], v[103:104], v[105:106], v[103:104]
	v_fma_f64 v[105:106], -v[99:100], v[103:104], 1.0
	v_fma_f64 v[103:104], v[103:104], v[105:106], v[103:104]
	v_mul_f64 v[105:106], v[107:108], v[103:104]
	v_fma_f64 v[99:100], -v[99:100], v[105:106], v[107:108]
	v_div_fmas_f64 v[99:100], v[99:100], v[103:104], v[105:106]
	v_div_fixup_f64 v[103:104], v[99:100], v[97:98], 1.0
                                        ; implicit-def: $vgpr97_vgpr98
	v_mul_f64 v[101:102], v[101:102], v[103:104]
	v_xor_b32_e32 v104, 0x80000000, v104
.LBB115_86:
	s_andn2_saveexec_b64 s[2:3], s[2:3]
	s_cbranch_execz .LBB115_88
; %bb.87:
	v_div_scale_f64 v[101:102], s[6:7], v[97:98], v[97:98], v[99:100]
	v_rcp_f64_e32 v[103:104], v[101:102]
	v_fma_f64 v[105:106], -v[101:102], v[103:104], 1.0
	v_fma_f64 v[103:104], v[103:104], v[105:106], v[103:104]
	v_div_scale_f64 v[105:106], vcc, v[99:100], v[97:98], v[99:100]
	v_fma_f64 v[107:108], -v[101:102], v[103:104], 1.0
	v_fma_f64 v[103:104], v[103:104], v[107:108], v[103:104]
	v_mul_f64 v[107:108], v[105:106], v[103:104]
	v_fma_f64 v[101:102], -v[101:102], v[107:108], v[105:106]
	v_div_fmas_f64 v[101:102], v[101:102], v[103:104], v[107:108]
	v_div_fixup_f64 v[103:104], v[101:102], v[97:98], v[99:100]
	v_fma_f64 v[97:98], v[99:100], v[103:104], v[97:98]
	v_div_scale_f64 v[99:100], s[6:7], v[97:98], v[97:98], 1.0
	v_div_scale_f64 v[107:108], vcc, 1.0, v[97:98], 1.0
	v_rcp_f64_e32 v[101:102], v[99:100]
	v_fma_f64 v[105:106], -v[99:100], v[101:102], 1.0
	v_fma_f64 v[101:102], v[101:102], v[105:106], v[101:102]
	v_fma_f64 v[105:106], -v[99:100], v[101:102], 1.0
	v_fma_f64 v[101:102], v[101:102], v[105:106], v[101:102]
	v_mul_f64 v[105:106], v[107:108], v[101:102]
	v_fma_f64 v[99:100], -v[99:100], v[105:106], v[107:108]
	v_div_fmas_f64 v[99:100], v[99:100], v[101:102], v[105:106]
	v_div_fixup_f64 v[101:102], v[99:100], v[97:98], 1.0
	v_mul_f64 v[103:104], v[103:104], -v[101:102]
.LBB115_88:
	s_or_b64 exec, exec, s[2:3]
	ds_write2_b64 v127, v[101:102], v[103:104] offset1:1
.LBB115_89:
	s_or_b64 exec, exec, s[4:5]
	s_waitcnt lgkmcnt(0)
	s_barrier
	ds_read2_b64 v[87:90], v127 offset1:1
	v_cmp_lt_u32_e32 vcc, 9, v0
	s_waitcnt lgkmcnt(0)
	buffer_store_dword v87, off, s[20:23], 0 offset:1336 ; 4-byte Folded Spill
	s_nop 0
	buffer_store_dword v88, off, s[20:23], 0 offset:1340 ; 4-byte Folded Spill
	buffer_store_dword v89, off, s[20:23], 0 offset:1344 ; 4-byte Folded Spill
	;; [unrolled: 1-line block ×3, first 2 shown]
	s_and_saveexec_b64 s[2:3], vcc
	s_cbranch_execz .LBB115_91
; %bb.90:
	buffer_load_dword v107, off, s[20:23], 0 offset:576 ; 4-byte Folded Reload
	buffer_load_dword v108, off, s[20:23], 0 offset:580 ; 4-byte Folded Reload
	;; [unrolled: 1-line block ×8, first 2 shown]
	s_waitcnt vmcnt(2)
	v_mul_f64 v[99:100], v[87:88], v[109:110]
	s_waitcnt vmcnt(0)
	v_mul_f64 v[97:98], v[89:90], v[109:110]
	v_fma_f64 v[109:110], v[89:90], v[107:108], v[99:100]
	ds_read2_b64 v[99:102], v125 offset0:20 offset1:21
	v_fma_f64 v[97:98], v[87:88], v[107:108], -v[97:98]
	buffer_load_dword v105, off, s[20:23], 0 offset:560 ; 4-byte Folded Reload
	buffer_load_dword v106, off, s[20:23], 0 offset:564 ; 4-byte Folded Reload
	buffer_load_dword v107, off, s[20:23], 0 offset:568 ; 4-byte Folded Reload
	buffer_load_dword v108, off, s[20:23], 0 offset:572 ; 4-byte Folded Reload
	s_waitcnt lgkmcnt(0)
	v_mul_f64 v[103:104], v[101:102], v[109:110]
	v_fma_f64 v[103:104], v[99:100], v[97:98], -v[103:104]
	v_mul_f64 v[99:100], v[99:100], v[109:110]
	v_fma_f64 v[99:100], v[101:102], v[97:98], v[99:100]
	s_waitcnt vmcnt(2)
	v_add_f64 v[105:106], v[105:106], -v[103:104]
	s_waitcnt vmcnt(0)
	v_add_f64 v[107:108], v[107:108], -v[99:100]
	buffer_store_dword v105, off, s[20:23], 0 offset:560 ; 4-byte Folded Spill
	s_nop 0
	buffer_store_dword v106, off, s[20:23], 0 offset:564 ; 4-byte Folded Spill
	buffer_store_dword v107, off, s[20:23], 0 offset:568 ; 4-byte Folded Spill
	buffer_store_dword v108, off, s[20:23], 0 offset:572 ; 4-byte Folded Spill
	ds_read2_b64 v[99:102], v125 offset0:22 offset1:23
	buffer_load_dword v105, off, s[20:23], 0 offset:544 ; 4-byte Folded Reload
	buffer_load_dword v106, off, s[20:23], 0 offset:548 ; 4-byte Folded Reload
	buffer_load_dword v107, off, s[20:23], 0 offset:552 ; 4-byte Folded Reload
	buffer_load_dword v108, off, s[20:23], 0 offset:556 ; 4-byte Folded Reload
	s_waitcnt lgkmcnt(0)
	v_mul_f64 v[103:104], v[101:102], v[109:110]
	v_fma_f64 v[103:104], v[99:100], v[97:98], -v[103:104]
	v_mul_f64 v[99:100], v[99:100], v[109:110]
	v_fma_f64 v[99:100], v[101:102], v[97:98], v[99:100]
	s_waitcnt vmcnt(2)
	v_add_f64 v[105:106], v[105:106], -v[103:104]
	s_waitcnt vmcnt(0)
	v_add_f64 v[107:108], v[107:108], -v[99:100]
	buffer_store_dword v105, off, s[20:23], 0 offset:544 ; 4-byte Folded Spill
	s_nop 0
	buffer_store_dword v106, off, s[20:23], 0 offset:548 ; 4-byte Folded Spill
	buffer_store_dword v107, off, s[20:23], 0 offset:552 ; 4-byte Folded Spill
	buffer_store_dword v108, off, s[20:23], 0 offset:556 ; 4-byte Folded Spill
	ds_read2_b64 v[99:102], v125 offset0:24 offset1:25
	;; [unrolled: 19-line block ×25, first 2 shown]
	v_mov_b32_e32 v108, v98
	v_mov_b32_e32 v107, v97
	s_waitcnt lgkmcnt(0)
	v_mul_f64 v[103:104], v[101:102], v[109:110]
	v_fma_f64 v[103:104], v[99:100], v[97:98], -v[103:104]
	v_mul_f64 v[99:100], v[99:100], v[109:110]
	v_add_f64 v[91:92], v[91:92], -v[103:104]
	v_fma_f64 v[99:100], v[101:102], v[97:98], v[99:100]
	v_add_f64 v[93:94], v[93:94], -v[99:100]
	ds_read2_b64 v[99:102], v125 offset0:72 offset1:73
	buffer_load_dword v77, off, s[20:23], 0 offset:160 ; 4-byte Folded Reload
	buffer_load_dword v78, off, s[20:23], 0 offset:164 ; 4-byte Folded Reload
	buffer_load_dword v79, off, s[20:23], 0 offset:168 ; 4-byte Folded Reload
	buffer_load_dword v80, off, s[20:23], 0 offset:172 ; 4-byte Folded Reload
	s_waitcnt lgkmcnt(0)
	v_mul_f64 v[103:104], v[101:102], v[109:110]
	v_fma_f64 v[103:104], v[99:100], v[97:98], -v[103:104]
	v_mul_f64 v[99:100], v[99:100], v[109:110]
	v_fma_f64 v[99:100], v[101:102], v[97:98], v[99:100]
	s_waitcnt vmcnt(2)
	v_add_f64 v[77:78], v[77:78], -v[103:104]
	s_waitcnt vmcnt(0)
	v_add_f64 v[79:80], v[79:80], -v[99:100]
	buffer_store_dword v77, off, s[20:23], 0 offset:160 ; 4-byte Folded Spill
	s_nop 0
	buffer_store_dword v78, off, s[20:23], 0 offset:164 ; 4-byte Folded Spill
	buffer_store_dword v79, off, s[20:23], 0 offset:168 ; 4-byte Folded Spill
	buffer_store_dword v80, off, s[20:23], 0 offset:172 ; 4-byte Folded Spill
	ds_read2_b64 v[99:102], v125 offset0:74 offset1:75
	buffer_load_dword v77, off, s[20:23], 0 offset:144 ; 4-byte Folded Reload
	buffer_load_dword v78, off, s[20:23], 0 offset:148 ; 4-byte Folded Reload
	buffer_load_dword v79, off, s[20:23], 0 offset:152 ; 4-byte Folded Reload
	buffer_load_dword v80, off, s[20:23], 0 offset:156 ; 4-byte Folded Reload
	s_waitcnt lgkmcnt(0)
	v_mul_f64 v[103:104], v[101:102], v[109:110]
	v_fma_f64 v[103:104], v[99:100], v[97:98], -v[103:104]
	v_mul_f64 v[99:100], v[99:100], v[109:110]
	v_fma_f64 v[99:100], v[101:102], v[97:98], v[99:100]
	s_waitcnt vmcnt(2)
	v_add_f64 v[77:78], v[77:78], -v[103:104]
	s_waitcnt vmcnt(0)
	v_add_f64 v[79:80], v[79:80], -v[99:100]
	buffer_store_dword v77, off, s[20:23], 0 offset:144 ; 4-byte Folded Spill
	s_nop 0
	buffer_store_dword v78, off, s[20:23], 0 offset:148 ; 4-byte Folded Spill
	buffer_store_dword v79, off, s[20:23], 0 offset:152 ; 4-byte Folded Spill
	buffer_store_dword v80, off, s[20:23], 0 offset:156 ; 4-byte Folded Spill
	;; [unrolled: 19-line block ×10, first 2 shown]
	ds_read2_b64 v[99:102], v125 offset0:92 offset1:93
	buffer_load_dword v41, off, s[20:23], 0 ; 4-byte Folded Reload
	buffer_load_dword v42, off, s[20:23], 0 offset:4 ; 4-byte Folded Reload
	buffer_load_dword v43, off, s[20:23], 0 offset:8 ; 4-byte Folded Reload
	;; [unrolled: 1-line block ×3, first 2 shown]
	s_waitcnt lgkmcnt(0)
	v_mul_f64 v[103:104], v[101:102], v[109:110]
	v_fma_f64 v[103:104], v[99:100], v[97:98], -v[103:104]
	v_mul_f64 v[99:100], v[99:100], v[109:110]
	v_fma_f64 v[99:100], v[101:102], v[97:98], v[99:100]
	s_waitcnt vmcnt(2)
	v_add_f64 v[41:42], v[41:42], -v[103:104]
	s_waitcnt vmcnt(0)
	v_add_f64 v[43:44], v[43:44], -v[99:100]
	buffer_store_dword v41, off, s[20:23], 0 ; 4-byte Folded Spill
	s_nop 0
	buffer_store_dword v42, off, s[20:23], 0 offset:4 ; 4-byte Folded Spill
	buffer_store_dword v43, off, s[20:23], 0 offset:8 ; 4-byte Folded Spill
	;; [unrolled: 1-line block ×3, first 2 shown]
	ds_read2_b64 v[99:102], v125 offset0:94 offset1:95
	s_waitcnt lgkmcnt(0)
	v_mul_f64 v[103:104], v[101:102], v[109:110]
	v_fma_f64 v[103:104], v[99:100], v[97:98], -v[103:104]
	v_mul_f64 v[99:100], v[99:100], v[109:110]
	v_add_f64 v[37:38], v[37:38], -v[103:104]
	v_fma_f64 v[99:100], v[101:102], v[97:98], v[99:100]
	v_add_f64 v[39:40], v[39:40], -v[99:100]
	ds_read2_b64 v[99:102], v125 offset0:96 offset1:97
	s_waitcnt lgkmcnt(0)
	v_mul_f64 v[103:104], v[101:102], v[109:110]
	v_fma_f64 v[103:104], v[99:100], v[97:98], -v[103:104]
	v_mul_f64 v[99:100], v[99:100], v[109:110]
	v_add_f64 v[33:34], v[33:34], -v[103:104]
	v_fma_f64 v[99:100], v[101:102], v[97:98], v[99:100]
	v_add_f64 v[35:36], v[35:36], -v[99:100]
	;; [unrolled: 8-line block ×9, first 2 shown]
	ds_read2_b64 v[99:102], v125 offset0:112 offset1:113
	s_waitcnt lgkmcnt(0)
	v_mul_f64 v[103:104], v[101:102], v[109:110]
	v_fma_f64 v[103:104], v[99:100], v[97:98], -v[103:104]
	v_mul_f64 v[99:100], v[99:100], v[109:110]
	v_add_f64 v[1:2], v[1:2], -v[103:104]
	v_fma_f64 v[99:100], v[101:102], v[97:98], v[99:100]
	ds_read2_b64 v[101:104], v125 offset0:114 offset1:115
	v_add_f64 v[3:4], v[3:4], -v[99:100]
	s_waitcnt lgkmcnt(0)
	v_mul_f64 v[99:100], v[103:104], v[109:110]
	v_fma_f64 v[99:100], v[101:102], v[97:98], -v[99:100]
	v_mul_f64 v[101:102], v[101:102], v[109:110]
	buffer_store_dword v107, off, s[20:23], 0 offset:576 ; 4-byte Folded Spill
	s_nop 0
	buffer_store_dword v108, off, s[20:23], 0 offset:580 ; 4-byte Folded Spill
	buffer_store_dword v109, off, s[20:23], 0 offset:584 ; 4-byte Folded Spill
	buffer_store_dword v110, off, s[20:23], 0 offset:588 ; 4-byte Folded Spill
	v_add_f64 v[121:122], v[121:122], -v[99:100]
	v_fma_f64 v[101:102], v[103:104], v[97:98], v[101:102]
	v_add_f64 v[123:124], v[123:124], -v[101:102]
.LBB115_91:
	s_or_b64 exec, exec, s[2:3]
	v_cmp_eq_u32_e32 vcc, 10, v0
	s_waitcnt vmcnt(0)
	s_barrier
	s_and_saveexec_b64 s[4:5], vcc
	s_cbranch_execz .LBB115_98
; %bb.92:
	buffer_load_dword v95, off, s[20:23], 0 offset:560 ; 4-byte Folded Reload
	buffer_load_dword v96, off, s[20:23], 0 offset:564 ; 4-byte Folded Reload
	;; [unrolled: 1-line block ×4, first 2 shown]
	s_waitcnt vmcnt(0)
	ds_write2_b64 v127, v[95:96], v[97:98] offset1:1
	buffer_load_dword v95, off, s[20:23], 0 offset:544 ; 4-byte Folded Reload
	buffer_load_dword v96, off, s[20:23], 0 offset:548 ; 4-byte Folded Reload
	buffer_load_dword v97, off, s[20:23], 0 offset:552 ; 4-byte Folded Reload
	buffer_load_dword v98, off, s[20:23], 0 offset:556 ; 4-byte Folded Reload
	s_waitcnt vmcnt(0)
	ds_write2_b64 v125, v[95:96], v[97:98] offset0:22 offset1:23
	buffer_load_dword v95, off, s[20:23], 0 offset:528 ; 4-byte Folded Reload
	buffer_load_dword v96, off, s[20:23], 0 offset:532 ; 4-byte Folded Reload
	buffer_load_dword v97, off, s[20:23], 0 offset:536 ; 4-byte Folded Reload
	buffer_load_dword v98, off, s[20:23], 0 offset:540 ; 4-byte Folded Reload
	s_waitcnt vmcnt(0)
	ds_write2_b64 v125, v[95:96], v[97:98] offset0:24 offset1:25
	;; [unrolled: 6-line block ×24, first 2 shown]
	ds_write2_b64 v125, v[91:92], v[93:94] offset0:70 offset1:71
	buffer_load_dword v77, off, s[20:23], 0 offset:160 ; 4-byte Folded Reload
	buffer_load_dword v78, off, s[20:23], 0 offset:164 ; 4-byte Folded Reload
	buffer_load_dword v79, off, s[20:23], 0 offset:168 ; 4-byte Folded Reload
	buffer_load_dword v80, off, s[20:23], 0 offset:172 ; 4-byte Folded Reload
	s_waitcnt vmcnt(0)
	ds_write2_b64 v125, v[77:78], v[79:80] offset0:72 offset1:73
	buffer_load_dword v77, off, s[20:23], 0 offset:144 ; 4-byte Folded Reload
	buffer_load_dword v78, off, s[20:23], 0 offset:148 ; 4-byte Folded Reload
	buffer_load_dword v79, off, s[20:23], 0 offset:152 ; 4-byte Folded Reload
	buffer_load_dword v80, off, s[20:23], 0 offset:156 ; 4-byte Folded Reload
	s_waitcnt vmcnt(0)
	;; [unrolled: 6-line block ×10, first 2 shown]
	ds_write2_b64 v125, v[45:46], v[47:48] offset0:90 offset1:91
	buffer_load_dword v41, off, s[20:23], 0 ; 4-byte Folded Reload
	buffer_load_dword v42, off, s[20:23], 0 offset:4 ; 4-byte Folded Reload
	buffer_load_dword v43, off, s[20:23], 0 offset:8 ; 4-byte Folded Reload
	;; [unrolled: 1-line block ×3, first 2 shown]
	s_waitcnt vmcnt(0)
	ds_write2_b64 v125, v[41:42], v[43:44] offset0:92 offset1:93
	ds_write2_b64 v125, v[37:38], v[39:40] offset0:94 offset1:95
	;; [unrolled: 1-line block ×12, first 2 shown]
	ds_read2_b64 v[97:100], v127 offset1:1
	s_waitcnt lgkmcnt(0)
	v_cmp_neq_f64_e32 vcc, 0, v[97:98]
	v_cmp_neq_f64_e64 s[2:3], 0, v[99:100]
	s_or_b64 s[2:3], vcc, s[2:3]
	s_and_b64 exec, exec, s[2:3]
	s_cbranch_execz .LBB115_98
; %bb.93:
	v_cmp_ngt_f64_e64 s[2:3], |v[97:98]|, |v[99:100]|
                                        ; implicit-def: $vgpr101_vgpr102
	s_and_saveexec_b64 s[6:7], s[2:3]
	s_xor_b64 s[2:3], exec, s[6:7]
                                        ; implicit-def: $vgpr103_vgpr104
	s_cbranch_execz .LBB115_95
; %bb.94:
	v_div_scale_f64 v[101:102], s[6:7], v[99:100], v[99:100], v[97:98]
	v_rcp_f64_e32 v[103:104], v[101:102]
	v_fma_f64 v[105:106], -v[101:102], v[103:104], 1.0
	v_fma_f64 v[103:104], v[103:104], v[105:106], v[103:104]
	v_div_scale_f64 v[105:106], vcc, v[97:98], v[99:100], v[97:98]
	v_fma_f64 v[107:108], -v[101:102], v[103:104], 1.0
	v_fma_f64 v[103:104], v[103:104], v[107:108], v[103:104]
	v_mul_f64 v[107:108], v[105:106], v[103:104]
	v_fma_f64 v[101:102], -v[101:102], v[107:108], v[105:106]
	v_div_fmas_f64 v[101:102], v[101:102], v[103:104], v[107:108]
	v_div_fixup_f64 v[101:102], v[101:102], v[99:100], v[97:98]
	v_fma_f64 v[97:98], v[97:98], v[101:102], v[99:100]
	v_div_scale_f64 v[99:100], s[6:7], v[97:98], v[97:98], 1.0
	v_div_scale_f64 v[107:108], vcc, 1.0, v[97:98], 1.0
	v_rcp_f64_e32 v[103:104], v[99:100]
	v_fma_f64 v[105:106], -v[99:100], v[103:104], 1.0
	v_fma_f64 v[103:104], v[103:104], v[105:106], v[103:104]
	v_fma_f64 v[105:106], -v[99:100], v[103:104], 1.0
	v_fma_f64 v[103:104], v[103:104], v[105:106], v[103:104]
	v_mul_f64 v[105:106], v[107:108], v[103:104]
	v_fma_f64 v[99:100], -v[99:100], v[105:106], v[107:108]
	v_div_fmas_f64 v[99:100], v[99:100], v[103:104], v[105:106]
	v_div_fixup_f64 v[103:104], v[99:100], v[97:98], 1.0
                                        ; implicit-def: $vgpr97_vgpr98
	v_mul_f64 v[101:102], v[101:102], v[103:104]
	v_xor_b32_e32 v104, 0x80000000, v104
.LBB115_95:
	s_andn2_saveexec_b64 s[2:3], s[2:3]
	s_cbranch_execz .LBB115_97
; %bb.96:
	v_div_scale_f64 v[101:102], s[6:7], v[97:98], v[97:98], v[99:100]
	v_rcp_f64_e32 v[103:104], v[101:102]
	v_fma_f64 v[105:106], -v[101:102], v[103:104], 1.0
	v_fma_f64 v[103:104], v[103:104], v[105:106], v[103:104]
	v_div_scale_f64 v[105:106], vcc, v[99:100], v[97:98], v[99:100]
	v_fma_f64 v[107:108], -v[101:102], v[103:104], 1.0
	v_fma_f64 v[103:104], v[103:104], v[107:108], v[103:104]
	v_mul_f64 v[107:108], v[105:106], v[103:104]
	v_fma_f64 v[101:102], -v[101:102], v[107:108], v[105:106]
	v_div_fmas_f64 v[101:102], v[101:102], v[103:104], v[107:108]
	v_div_fixup_f64 v[103:104], v[101:102], v[97:98], v[99:100]
	v_fma_f64 v[97:98], v[99:100], v[103:104], v[97:98]
	v_div_scale_f64 v[99:100], s[6:7], v[97:98], v[97:98], 1.0
	v_div_scale_f64 v[107:108], vcc, 1.0, v[97:98], 1.0
	v_rcp_f64_e32 v[101:102], v[99:100]
	v_fma_f64 v[105:106], -v[99:100], v[101:102], 1.0
	v_fma_f64 v[101:102], v[101:102], v[105:106], v[101:102]
	v_fma_f64 v[105:106], -v[99:100], v[101:102], 1.0
	v_fma_f64 v[101:102], v[101:102], v[105:106], v[101:102]
	v_mul_f64 v[105:106], v[107:108], v[101:102]
	v_fma_f64 v[99:100], -v[99:100], v[105:106], v[107:108]
	v_div_fmas_f64 v[99:100], v[99:100], v[101:102], v[105:106]
	v_div_fixup_f64 v[101:102], v[99:100], v[97:98], 1.0
	v_mul_f64 v[103:104], v[103:104], -v[101:102]
.LBB115_97:
	s_or_b64 exec, exec, s[2:3]
	ds_write2_b64 v127, v[101:102], v[103:104] offset1:1
.LBB115_98:
	s_or_b64 exec, exec, s[4:5]
	s_waitcnt lgkmcnt(0)
	s_barrier
	ds_read2_b64 v[87:90], v127 offset1:1
	v_cmp_lt_u32_e32 vcc, 10, v0
	s_waitcnt lgkmcnt(0)
	buffer_store_dword v87, off, s[20:23], 0 offset:1352 ; 4-byte Folded Spill
	s_nop 0
	buffer_store_dword v88, off, s[20:23], 0 offset:1356 ; 4-byte Folded Spill
	buffer_store_dword v89, off, s[20:23], 0 offset:1360 ; 4-byte Folded Spill
	buffer_store_dword v90, off, s[20:23], 0 offset:1364 ; 4-byte Folded Spill
	s_and_saveexec_b64 s[2:3], vcc
	s_cbranch_execz .LBB115_100
; %bb.99:
	buffer_load_dword v107, off, s[20:23], 0 offset:560 ; 4-byte Folded Reload
	buffer_load_dword v108, off, s[20:23], 0 offset:564 ; 4-byte Folded Reload
	;; [unrolled: 1-line block ×8, first 2 shown]
	s_waitcnt vmcnt(2)
	v_mul_f64 v[99:100], v[87:88], v[109:110]
	s_waitcnt vmcnt(0)
	v_mul_f64 v[97:98], v[89:90], v[109:110]
	v_fma_f64 v[109:110], v[89:90], v[107:108], v[99:100]
	ds_read2_b64 v[99:102], v125 offset0:22 offset1:23
	v_fma_f64 v[97:98], v[87:88], v[107:108], -v[97:98]
	buffer_load_dword v105, off, s[20:23], 0 offset:544 ; 4-byte Folded Reload
	buffer_load_dword v106, off, s[20:23], 0 offset:548 ; 4-byte Folded Reload
	buffer_load_dword v107, off, s[20:23], 0 offset:552 ; 4-byte Folded Reload
	buffer_load_dword v108, off, s[20:23], 0 offset:556 ; 4-byte Folded Reload
	s_waitcnt lgkmcnt(0)
	v_mul_f64 v[103:104], v[101:102], v[109:110]
	v_fma_f64 v[103:104], v[99:100], v[97:98], -v[103:104]
	v_mul_f64 v[99:100], v[99:100], v[109:110]
	v_fma_f64 v[99:100], v[101:102], v[97:98], v[99:100]
	s_waitcnt vmcnt(2)
	v_add_f64 v[105:106], v[105:106], -v[103:104]
	s_waitcnt vmcnt(0)
	v_add_f64 v[107:108], v[107:108], -v[99:100]
	buffer_store_dword v105, off, s[20:23], 0 offset:544 ; 4-byte Folded Spill
	s_nop 0
	buffer_store_dword v106, off, s[20:23], 0 offset:548 ; 4-byte Folded Spill
	buffer_store_dword v107, off, s[20:23], 0 offset:552 ; 4-byte Folded Spill
	buffer_store_dword v108, off, s[20:23], 0 offset:556 ; 4-byte Folded Spill
	ds_read2_b64 v[99:102], v125 offset0:24 offset1:25
	buffer_load_dword v105, off, s[20:23], 0 offset:528 ; 4-byte Folded Reload
	buffer_load_dword v106, off, s[20:23], 0 offset:532 ; 4-byte Folded Reload
	buffer_load_dword v107, off, s[20:23], 0 offset:536 ; 4-byte Folded Reload
	buffer_load_dword v108, off, s[20:23], 0 offset:540 ; 4-byte Folded Reload
	s_waitcnt lgkmcnt(0)
	v_mul_f64 v[103:104], v[101:102], v[109:110]
	v_fma_f64 v[103:104], v[99:100], v[97:98], -v[103:104]
	v_mul_f64 v[99:100], v[99:100], v[109:110]
	v_fma_f64 v[99:100], v[101:102], v[97:98], v[99:100]
	s_waitcnt vmcnt(2)
	v_add_f64 v[105:106], v[105:106], -v[103:104]
	s_waitcnt vmcnt(0)
	v_add_f64 v[107:108], v[107:108], -v[99:100]
	buffer_store_dword v105, off, s[20:23], 0 offset:528 ; 4-byte Folded Spill
	s_nop 0
	buffer_store_dword v106, off, s[20:23], 0 offset:532 ; 4-byte Folded Spill
	buffer_store_dword v107, off, s[20:23], 0 offset:536 ; 4-byte Folded Spill
	buffer_store_dword v108, off, s[20:23], 0 offset:540 ; 4-byte Folded Spill
	ds_read2_b64 v[99:102], v125 offset0:26 offset1:27
	;; [unrolled: 19-line block ×24, first 2 shown]
	v_mov_b32_e32 v108, v98
	v_mov_b32_e32 v107, v97
	s_waitcnt lgkmcnt(0)
	v_mul_f64 v[103:104], v[101:102], v[109:110]
	v_fma_f64 v[103:104], v[99:100], v[97:98], -v[103:104]
	v_mul_f64 v[99:100], v[99:100], v[109:110]
	v_add_f64 v[91:92], v[91:92], -v[103:104]
	v_fma_f64 v[99:100], v[101:102], v[97:98], v[99:100]
	v_add_f64 v[93:94], v[93:94], -v[99:100]
	ds_read2_b64 v[99:102], v125 offset0:72 offset1:73
	buffer_load_dword v77, off, s[20:23], 0 offset:160 ; 4-byte Folded Reload
	buffer_load_dword v78, off, s[20:23], 0 offset:164 ; 4-byte Folded Reload
	buffer_load_dword v79, off, s[20:23], 0 offset:168 ; 4-byte Folded Reload
	buffer_load_dword v80, off, s[20:23], 0 offset:172 ; 4-byte Folded Reload
	s_waitcnt lgkmcnt(0)
	v_mul_f64 v[103:104], v[101:102], v[109:110]
	v_fma_f64 v[103:104], v[99:100], v[97:98], -v[103:104]
	v_mul_f64 v[99:100], v[99:100], v[109:110]
	v_fma_f64 v[99:100], v[101:102], v[97:98], v[99:100]
	s_waitcnt vmcnt(2)
	v_add_f64 v[77:78], v[77:78], -v[103:104]
	s_waitcnt vmcnt(0)
	v_add_f64 v[79:80], v[79:80], -v[99:100]
	buffer_store_dword v77, off, s[20:23], 0 offset:160 ; 4-byte Folded Spill
	s_nop 0
	buffer_store_dword v78, off, s[20:23], 0 offset:164 ; 4-byte Folded Spill
	buffer_store_dword v79, off, s[20:23], 0 offset:168 ; 4-byte Folded Spill
	buffer_store_dword v80, off, s[20:23], 0 offset:172 ; 4-byte Folded Spill
	ds_read2_b64 v[99:102], v125 offset0:74 offset1:75
	buffer_load_dword v77, off, s[20:23], 0 offset:144 ; 4-byte Folded Reload
	buffer_load_dword v78, off, s[20:23], 0 offset:148 ; 4-byte Folded Reload
	buffer_load_dword v79, off, s[20:23], 0 offset:152 ; 4-byte Folded Reload
	buffer_load_dword v80, off, s[20:23], 0 offset:156 ; 4-byte Folded Reload
	s_waitcnt lgkmcnt(0)
	v_mul_f64 v[103:104], v[101:102], v[109:110]
	v_fma_f64 v[103:104], v[99:100], v[97:98], -v[103:104]
	v_mul_f64 v[99:100], v[99:100], v[109:110]
	v_fma_f64 v[99:100], v[101:102], v[97:98], v[99:100]
	s_waitcnt vmcnt(2)
	v_add_f64 v[77:78], v[77:78], -v[103:104]
	s_waitcnt vmcnt(0)
	v_add_f64 v[79:80], v[79:80], -v[99:100]
	buffer_store_dword v77, off, s[20:23], 0 offset:144 ; 4-byte Folded Spill
	s_nop 0
	buffer_store_dword v78, off, s[20:23], 0 offset:148 ; 4-byte Folded Spill
	buffer_store_dword v79, off, s[20:23], 0 offset:152 ; 4-byte Folded Spill
	buffer_store_dword v80, off, s[20:23], 0 offset:156 ; 4-byte Folded Spill
	ds_read2_b64 v[99:102], v125 offset0:76 offset1:77
	buffer_load_dword v73, off, s[20:23], 0 offset:128 ; 4-byte Folded Reload
	buffer_load_dword v74, off, s[20:23], 0 offset:132 ; 4-byte Folded Reload
	buffer_load_dword v75, off, s[20:23], 0 offset:136 ; 4-byte Folded Reload
	buffer_load_dword v76, off, s[20:23], 0 offset:140 ; 4-byte Folded Reload
	s_waitcnt lgkmcnt(0)
	v_mul_f64 v[103:104], v[101:102], v[109:110]
	v_fma_f64 v[103:104], v[99:100], v[97:98], -v[103:104]
	v_mul_f64 v[99:100], v[99:100], v[109:110]
	v_fma_f64 v[99:100], v[101:102], v[97:98], v[99:100]
	s_waitcnt vmcnt(2)
	v_add_f64 v[73:74], v[73:74], -v[103:104]
	s_waitcnt vmcnt(0)
	v_add_f64 v[75:76], v[75:76], -v[99:100]
	buffer_store_dword v73, off, s[20:23], 0 offset:128 ; 4-byte Folded Spill
	s_nop 0
	buffer_store_dword v74, off, s[20:23], 0 offset:132 ; 4-byte Folded Spill
	buffer_store_dword v75, off, s[20:23], 0 offset:136 ; 4-byte Folded Spill
	buffer_store_dword v76, off, s[20:23], 0 offset:140 ; 4-byte Folded Spill
	ds_read2_b64 v[99:102], v125 offset0:78 offset1:79
	buffer_load_dword v69, off, s[20:23], 0 offset:112 ; 4-byte Folded Reload
	buffer_load_dword v70, off, s[20:23], 0 offset:116 ; 4-byte Folded Reload
	buffer_load_dword v71, off, s[20:23], 0 offset:120 ; 4-byte Folded Reload
	buffer_load_dword v72, off, s[20:23], 0 offset:124 ; 4-byte Folded Reload
	s_waitcnt lgkmcnt(0)
	v_mul_f64 v[103:104], v[101:102], v[109:110]
	v_fma_f64 v[103:104], v[99:100], v[97:98], -v[103:104]
	v_mul_f64 v[99:100], v[99:100], v[109:110]
	v_fma_f64 v[99:100], v[101:102], v[97:98], v[99:100]
	s_waitcnt vmcnt(2)
	v_add_f64 v[69:70], v[69:70], -v[103:104]
	s_waitcnt vmcnt(0)
	v_add_f64 v[71:72], v[71:72], -v[99:100]
	buffer_store_dword v69, off, s[20:23], 0 offset:112 ; 4-byte Folded Spill
	s_nop 0
	buffer_store_dword v70, off, s[20:23], 0 offset:116 ; 4-byte Folded Spill
	buffer_store_dword v71, off, s[20:23], 0 offset:120 ; 4-byte Folded Spill
	buffer_store_dword v72, off, s[20:23], 0 offset:124 ; 4-byte Folded Spill
	ds_read2_b64 v[99:102], v125 offset0:80 offset1:81
	buffer_load_dword v65, off, s[20:23], 0 offset:96 ; 4-byte Folded Reload
	buffer_load_dword v66, off, s[20:23], 0 offset:100 ; 4-byte Folded Reload
	buffer_load_dword v67, off, s[20:23], 0 offset:104 ; 4-byte Folded Reload
	buffer_load_dword v68, off, s[20:23], 0 offset:108 ; 4-byte Folded Reload
	s_waitcnt lgkmcnt(0)
	v_mul_f64 v[103:104], v[101:102], v[109:110]
	v_fma_f64 v[103:104], v[99:100], v[97:98], -v[103:104]
	v_mul_f64 v[99:100], v[99:100], v[109:110]
	v_fma_f64 v[99:100], v[101:102], v[97:98], v[99:100]
	s_waitcnt vmcnt(2)
	v_add_f64 v[65:66], v[65:66], -v[103:104]
	s_waitcnt vmcnt(0)
	v_add_f64 v[67:68], v[67:68], -v[99:100]
	buffer_store_dword v65, off, s[20:23], 0 offset:96 ; 4-byte Folded Spill
	s_nop 0
	buffer_store_dword v66, off, s[20:23], 0 offset:100 ; 4-byte Folded Spill
	buffer_store_dword v67, off, s[20:23], 0 offset:104 ; 4-byte Folded Spill
	buffer_store_dword v68, off, s[20:23], 0 offset:108 ; 4-byte Folded Spill
	ds_read2_b64 v[99:102], v125 offset0:82 offset1:83
	buffer_load_dword v61, off, s[20:23], 0 offset:80 ; 4-byte Folded Reload
	buffer_load_dword v62, off, s[20:23], 0 offset:84 ; 4-byte Folded Reload
	buffer_load_dword v63, off, s[20:23], 0 offset:88 ; 4-byte Folded Reload
	buffer_load_dword v64, off, s[20:23], 0 offset:92 ; 4-byte Folded Reload
	s_waitcnt lgkmcnt(0)
	v_mul_f64 v[103:104], v[101:102], v[109:110]
	v_fma_f64 v[103:104], v[99:100], v[97:98], -v[103:104]
	v_mul_f64 v[99:100], v[99:100], v[109:110]
	v_fma_f64 v[99:100], v[101:102], v[97:98], v[99:100]
	s_waitcnt vmcnt(2)
	v_add_f64 v[61:62], v[61:62], -v[103:104]
	s_waitcnt vmcnt(0)
	v_add_f64 v[63:64], v[63:64], -v[99:100]
	buffer_store_dword v61, off, s[20:23], 0 offset:80 ; 4-byte Folded Spill
	s_nop 0
	buffer_store_dword v62, off, s[20:23], 0 offset:84 ; 4-byte Folded Spill
	buffer_store_dword v63, off, s[20:23], 0 offset:88 ; 4-byte Folded Spill
	buffer_store_dword v64, off, s[20:23], 0 offset:92 ; 4-byte Folded Spill
	ds_read2_b64 v[99:102], v125 offset0:84 offset1:85
	buffer_load_dword v57, off, s[20:23], 0 offset:64 ; 4-byte Folded Reload
	buffer_load_dword v58, off, s[20:23], 0 offset:68 ; 4-byte Folded Reload
	buffer_load_dword v59, off, s[20:23], 0 offset:72 ; 4-byte Folded Reload
	buffer_load_dword v60, off, s[20:23], 0 offset:76 ; 4-byte Folded Reload
	s_waitcnt lgkmcnt(0)
	v_mul_f64 v[103:104], v[101:102], v[109:110]
	v_fma_f64 v[103:104], v[99:100], v[97:98], -v[103:104]
	v_mul_f64 v[99:100], v[99:100], v[109:110]
	v_fma_f64 v[99:100], v[101:102], v[97:98], v[99:100]
	s_waitcnt vmcnt(2)
	v_add_f64 v[57:58], v[57:58], -v[103:104]
	s_waitcnt vmcnt(0)
	v_add_f64 v[59:60], v[59:60], -v[99:100]
	buffer_store_dword v57, off, s[20:23], 0 offset:64 ; 4-byte Folded Spill
	s_nop 0
	buffer_store_dword v58, off, s[20:23], 0 offset:68 ; 4-byte Folded Spill
	buffer_store_dword v59, off, s[20:23], 0 offset:72 ; 4-byte Folded Spill
	buffer_store_dword v60, off, s[20:23], 0 offset:76 ; 4-byte Folded Spill
	ds_read2_b64 v[99:102], v125 offset0:86 offset1:87
	buffer_load_dword v53, off, s[20:23], 0 offset:48 ; 4-byte Folded Reload
	buffer_load_dword v54, off, s[20:23], 0 offset:52 ; 4-byte Folded Reload
	buffer_load_dword v55, off, s[20:23], 0 offset:56 ; 4-byte Folded Reload
	buffer_load_dword v56, off, s[20:23], 0 offset:60 ; 4-byte Folded Reload
	s_waitcnt lgkmcnt(0)
	v_mul_f64 v[103:104], v[101:102], v[109:110]
	v_fma_f64 v[103:104], v[99:100], v[97:98], -v[103:104]
	v_mul_f64 v[99:100], v[99:100], v[109:110]
	v_fma_f64 v[99:100], v[101:102], v[97:98], v[99:100]
	s_waitcnt vmcnt(2)
	v_add_f64 v[53:54], v[53:54], -v[103:104]
	s_waitcnt vmcnt(0)
	v_add_f64 v[55:56], v[55:56], -v[99:100]
	buffer_store_dword v53, off, s[20:23], 0 offset:48 ; 4-byte Folded Spill
	s_nop 0
	buffer_store_dword v54, off, s[20:23], 0 offset:52 ; 4-byte Folded Spill
	buffer_store_dword v55, off, s[20:23], 0 offset:56 ; 4-byte Folded Spill
	buffer_store_dword v56, off, s[20:23], 0 offset:60 ; 4-byte Folded Spill
	ds_read2_b64 v[99:102], v125 offset0:88 offset1:89
	buffer_load_dword v49, off, s[20:23], 0 offset:32 ; 4-byte Folded Reload
	buffer_load_dword v50, off, s[20:23], 0 offset:36 ; 4-byte Folded Reload
	buffer_load_dword v51, off, s[20:23], 0 offset:40 ; 4-byte Folded Reload
	buffer_load_dword v52, off, s[20:23], 0 offset:44 ; 4-byte Folded Reload
	s_waitcnt lgkmcnt(0)
	v_mul_f64 v[103:104], v[101:102], v[109:110]
	v_fma_f64 v[103:104], v[99:100], v[97:98], -v[103:104]
	v_mul_f64 v[99:100], v[99:100], v[109:110]
	v_fma_f64 v[99:100], v[101:102], v[97:98], v[99:100]
	s_waitcnt vmcnt(2)
	v_add_f64 v[49:50], v[49:50], -v[103:104]
	s_waitcnt vmcnt(0)
	v_add_f64 v[51:52], v[51:52], -v[99:100]
	buffer_store_dword v49, off, s[20:23], 0 offset:32 ; 4-byte Folded Spill
	s_nop 0
	buffer_store_dword v50, off, s[20:23], 0 offset:36 ; 4-byte Folded Spill
	buffer_store_dword v51, off, s[20:23], 0 offset:40 ; 4-byte Folded Spill
	buffer_store_dword v52, off, s[20:23], 0 offset:44 ; 4-byte Folded Spill
	ds_read2_b64 v[99:102], v125 offset0:90 offset1:91
	buffer_load_dword v45, off, s[20:23], 0 offset:16 ; 4-byte Folded Reload
	buffer_load_dword v46, off, s[20:23], 0 offset:20 ; 4-byte Folded Reload
	buffer_load_dword v47, off, s[20:23], 0 offset:24 ; 4-byte Folded Reload
	buffer_load_dword v48, off, s[20:23], 0 offset:28 ; 4-byte Folded Reload
	s_waitcnt lgkmcnt(0)
	v_mul_f64 v[103:104], v[101:102], v[109:110]
	v_fma_f64 v[103:104], v[99:100], v[97:98], -v[103:104]
	v_mul_f64 v[99:100], v[99:100], v[109:110]
	v_fma_f64 v[99:100], v[101:102], v[97:98], v[99:100]
	s_waitcnt vmcnt(2)
	v_add_f64 v[45:46], v[45:46], -v[103:104]
	s_waitcnt vmcnt(0)
	v_add_f64 v[47:48], v[47:48], -v[99:100]
	buffer_store_dword v45, off, s[20:23], 0 offset:16 ; 4-byte Folded Spill
	s_nop 0
	buffer_store_dword v46, off, s[20:23], 0 offset:20 ; 4-byte Folded Spill
	buffer_store_dword v47, off, s[20:23], 0 offset:24 ; 4-byte Folded Spill
	buffer_store_dword v48, off, s[20:23], 0 offset:28 ; 4-byte Folded Spill
	ds_read2_b64 v[99:102], v125 offset0:92 offset1:93
	buffer_load_dword v41, off, s[20:23], 0 ; 4-byte Folded Reload
	buffer_load_dword v42, off, s[20:23], 0 offset:4 ; 4-byte Folded Reload
	buffer_load_dword v43, off, s[20:23], 0 offset:8 ; 4-byte Folded Reload
	;; [unrolled: 1-line block ×3, first 2 shown]
	s_waitcnt lgkmcnt(0)
	v_mul_f64 v[103:104], v[101:102], v[109:110]
	v_fma_f64 v[103:104], v[99:100], v[97:98], -v[103:104]
	v_mul_f64 v[99:100], v[99:100], v[109:110]
	v_fma_f64 v[99:100], v[101:102], v[97:98], v[99:100]
	s_waitcnt vmcnt(2)
	v_add_f64 v[41:42], v[41:42], -v[103:104]
	s_waitcnt vmcnt(0)
	v_add_f64 v[43:44], v[43:44], -v[99:100]
	buffer_store_dword v41, off, s[20:23], 0 ; 4-byte Folded Spill
	s_nop 0
	buffer_store_dword v42, off, s[20:23], 0 offset:4 ; 4-byte Folded Spill
	buffer_store_dword v43, off, s[20:23], 0 offset:8 ; 4-byte Folded Spill
	;; [unrolled: 1-line block ×3, first 2 shown]
	ds_read2_b64 v[99:102], v125 offset0:94 offset1:95
	s_waitcnt lgkmcnt(0)
	v_mul_f64 v[103:104], v[101:102], v[109:110]
	v_fma_f64 v[103:104], v[99:100], v[97:98], -v[103:104]
	v_mul_f64 v[99:100], v[99:100], v[109:110]
	v_add_f64 v[37:38], v[37:38], -v[103:104]
	v_fma_f64 v[99:100], v[101:102], v[97:98], v[99:100]
	v_add_f64 v[39:40], v[39:40], -v[99:100]
	ds_read2_b64 v[99:102], v125 offset0:96 offset1:97
	s_waitcnt lgkmcnt(0)
	v_mul_f64 v[103:104], v[101:102], v[109:110]
	v_fma_f64 v[103:104], v[99:100], v[97:98], -v[103:104]
	v_mul_f64 v[99:100], v[99:100], v[109:110]
	v_add_f64 v[33:34], v[33:34], -v[103:104]
	v_fma_f64 v[99:100], v[101:102], v[97:98], v[99:100]
	v_add_f64 v[35:36], v[35:36], -v[99:100]
	;; [unrolled: 8-line block ×9, first 2 shown]
	ds_read2_b64 v[99:102], v125 offset0:112 offset1:113
	s_waitcnt lgkmcnt(0)
	v_mul_f64 v[103:104], v[101:102], v[109:110]
	v_fma_f64 v[103:104], v[99:100], v[97:98], -v[103:104]
	v_mul_f64 v[99:100], v[99:100], v[109:110]
	v_add_f64 v[1:2], v[1:2], -v[103:104]
	v_fma_f64 v[99:100], v[101:102], v[97:98], v[99:100]
	ds_read2_b64 v[101:104], v125 offset0:114 offset1:115
	v_add_f64 v[3:4], v[3:4], -v[99:100]
	s_waitcnt lgkmcnt(0)
	v_mul_f64 v[99:100], v[103:104], v[109:110]
	v_fma_f64 v[99:100], v[101:102], v[97:98], -v[99:100]
	v_mul_f64 v[101:102], v[101:102], v[109:110]
	buffer_store_dword v107, off, s[20:23], 0 offset:560 ; 4-byte Folded Spill
	s_nop 0
	buffer_store_dword v108, off, s[20:23], 0 offset:564 ; 4-byte Folded Spill
	buffer_store_dword v109, off, s[20:23], 0 offset:568 ; 4-byte Folded Spill
	;; [unrolled: 1-line block ×3, first 2 shown]
	v_add_f64 v[121:122], v[121:122], -v[99:100]
	v_fma_f64 v[101:102], v[103:104], v[97:98], v[101:102]
	v_add_f64 v[123:124], v[123:124], -v[101:102]
.LBB115_100:
	s_or_b64 exec, exec, s[2:3]
	v_cmp_eq_u32_e32 vcc, 11, v0
	s_waitcnt vmcnt(0)
	s_barrier
	s_and_saveexec_b64 s[4:5], vcc
	s_cbranch_execz .LBB115_107
; %bb.101:
	buffer_load_dword v95, off, s[20:23], 0 offset:544 ; 4-byte Folded Reload
	buffer_load_dword v96, off, s[20:23], 0 offset:548 ; 4-byte Folded Reload
	;; [unrolled: 1-line block ×4, first 2 shown]
	s_waitcnt vmcnt(0)
	ds_write2_b64 v127, v[95:96], v[97:98] offset1:1
	buffer_load_dword v95, off, s[20:23], 0 offset:528 ; 4-byte Folded Reload
	buffer_load_dword v96, off, s[20:23], 0 offset:532 ; 4-byte Folded Reload
	buffer_load_dword v97, off, s[20:23], 0 offset:536 ; 4-byte Folded Reload
	buffer_load_dword v98, off, s[20:23], 0 offset:540 ; 4-byte Folded Reload
	s_waitcnt vmcnt(0)
	ds_write2_b64 v125, v[95:96], v[97:98] offset0:24 offset1:25
	buffer_load_dword v95, off, s[20:23], 0 offset:512 ; 4-byte Folded Reload
	buffer_load_dword v96, off, s[20:23], 0 offset:516 ; 4-byte Folded Reload
	buffer_load_dword v97, off, s[20:23], 0 offset:520 ; 4-byte Folded Reload
	buffer_load_dword v98, off, s[20:23], 0 offset:524 ; 4-byte Folded Reload
	s_waitcnt vmcnt(0)
	ds_write2_b64 v125, v[95:96], v[97:98] offset0:26 offset1:27
	;; [unrolled: 6-line block ×23, first 2 shown]
	ds_write2_b64 v125, v[91:92], v[93:94] offset0:70 offset1:71
	buffer_load_dword v77, off, s[20:23], 0 offset:160 ; 4-byte Folded Reload
	buffer_load_dword v78, off, s[20:23], 0 offset:164 ; 4-byte Folded Reload
	buffer_load_dword v79, off, s[20:23], 0 offset:168 ; 4-byte Folded Reload
	buffer_load_dword v80, off, s[20:23], 0 offset:172 ; 4-byte Folded Reload
	s_waitcnt vmcnt(0)
	ds_write2_b64 v125, v[77:78], v[79:80] offset0:72 offset1:73
	buffer_load_dword v77, off, s[20:23], 0 offset:144 ; 4-byte Folded Reload
	buffer_load_dword v78, off, s[20:23], 0 offset:148 ; 4-byte Folded Reload
	buffer_load_dword v79, off, s[20:23], 0 offset:152 ; 4-byte Folded Reload
	buffer_load_dword v80, off, s[20:23], 0 offset:156 ; 4-byte Folded Reload
	s_waitcnt vmcnt(0)
	;; [unrolled: 6-line block ×10, first 2 shown]
	ds_write2_b64 v125, v[45:46], v[47:48] offset0:90 offset1:91
	buffer_load_dword v41, off, s[20:23], 0 ; 4-byte Folded Reload
	buffer_load_dword v42, off, s[20:23], 0 offset:4 ; 4-byte Folded Reload
	buffer_load_dword v43, off, s[20:23], 0 offset:8 ; 4-byte Folded Reload
	;; [unrolled: 1-line block ×3, first 2 shown]
	s_waitcnt vmcnt(0)
	ds_write2_b64 v125, v[41:42], v[43:44] offset0:92 offset1:93
	ds_write2_b64 v125, v[37:38], v[39:40] offset0:94 offset1:95
	ds_write2_b64 v125, v[33:34], v[35:36] offset0:96 offset1:97
	ds_write2_b64 v125, v[29:30], v[31:32] offset0:98 offset1:99
	ds_write2_b64 v125, v[25:26], v[27:28] offset0:100 offset1:101
	ds_write2_b64 v125, v[21:22], v[23:24] offset0:102 offset1:103
	ds_write2_b64 v125, v[17:18], v[19:20] offset0:104 offset1:105
	ds_write2_b64 v125, v[13:14], v[15:16] offset0:106 offset1:107
	ds_write2_b64 v125, v[9:10], v[11:12] offset0:108 offset1:109
	ds_write2_b64 v125, v[5:6], v[7:8] offset0:110 offset1:111
	ds_write2_b64 v125, v[1:2], v[3:4] offset0:112 offset1:113
	ds_write2_b64 v125, v[121:122], v[123:124] offset0:114 offset1:115
	ds_read2_b64 v[97:100], v127 offset1:1
	s_waitcnt lgkmcnt(0)
	v_cmp_neq_f64_e32 vcc, 0, v[97:98]
	v_cmp_neq_f64_e64 s[2:3], 0, v[99:100]
	s_or_b64 s[2:3], vcc, s[2:3]
	s_and_b64 exec, exec, s[2:3]
	s_cbranch_execz .LBB115_107
; %bb.102:
	v_cmp_ngt_f64_e64 s[2:3], |v[97:98]|, |v[99:100]|
                                        ; implicit-def: $vgpr101_vgpr102
	s_and_saveexec_b64 s[6:7], s[2:3]
	s_xor_b64 s[2:3], exec, s[6:7]
                                        ; implicit-def: $vgpr103_vgpr104
	s_cbranch_execz .LBB115_104
; %bb.103:
	v_div_scale_f64 v[101:102], s[6:7], v[99:100], v[99:100], v[97:98]
	v_rcp_f64_e32 v[103:104], v[101:102]
	v_fma_f64 v[105:106], -v[101:102], v[103:104], 1.0
	v_fma_f64 v[103:104], v[103:104], v[105:106], v[103:104]
	v_div_scale_f64 v[105:106], vcc, v[97:98], v[99:100], v[97:98]
	v_fma_f64 v[107:108], -v[101:102], v[103:104], 1.0
	v_fma_f64 v[103:104], v[103:104], v[107:108], v[103:104]
	v_mul_f64 v[107:108], v[105:106], v[103:104]
	v_fma_f64 v[101:102], -v[101:102], v[107:108], v[105:106]
	v_div_fmas_f64 v[101:102], v[101:102], v[103:104], v[107:108]
	v_div_fixup_f64 v[101:102], v[101:102], v[99:100], v[97:98]
	v_fma_f64 v[97:98], v[97:98], v[101:102], v[99:100]
	v_div_scale_f64 v[99:100], s[6:7], v[97:98], v[97:98], 1.0
	v_div_scale_f64 v[107:108], vcc, 1.0, v[97:98], 1.0
	v_rcp_f64_e32 v[103:104], v[99:100]
	v_fma_f64 v[105:106], -v[99:100], v[103:104], 1.0
	v_fma_f64 v[103:104], v[103:104], v[105:106], v[103:104]
	v_fma_f64 v[105:106], -v[99:100], v[103:104], 1.0
	v_fma_f64 v[103:104], v[103:104], v[105:106], v[103:104]
	v_mul_f64 v[105:106], v[107:108], v[103:104]
	v_fma_f64 v[99:100], -v[99:100], v[105:106], v[107:108]
	v_div_fmas_f64 v[99:100], v[99:100], v[103:104], v[105:106]
	v_div_fixup_f64 v[103:104], v[99:100], v[97:98], 1.0
                                        ; implicit-def: $vgpr97_vgpr98
	v_mul_f64 v[101:102], v[101:102], v[103:104]
	v_xor_b32_e32 v104, 0x80000000, v104
.LBB115_104:
	s_andn2_saveexec_b64 s[2:3], s[2:3]
	s_cbranch_execz .LBB115_106
; %bb.105:
	v_div_scale_f64 v[101:102], s[6:7], v[97:98], v[97:98], v[99:100]
	v_rcp_f64_e32 v[103:104], v[101:102]
	v_fma_f64 v[105:106], -v[101:102], v[103:104], 1.0
	v_fma_f64 v[103:104], v[103:104], v[105:106], v[103:104]
	v_div_scale_f64 v[105:106], vcc, v[99:100], v[97:98], v[99:100]
	v_fma_f64 v[107:108], -v[101:102], v[103:104], 1.0
	v_fma_f64 v[103:104], v[103:104], v[107:108], v[103:104]
	v_mul_f64 v[107:108], v[105:106], v[103:104]
	v_fma_f64 v[101:102], -v[101:102], v[107:108], v[105:106]
	v_div_fmas_f64 v[101:102], v[101:102], v[103:104], v[107:108]
	v_div_fixup_f64 v[103:104], v[101:102], v[97:98], v[99:100]
	v_fma_f64 v[97:98], v[99:100], v[103:104], v[97:98]
	v_div_scale_f64 v[99:100], s[6:7], v[97:98], v[97:98], 1.0
	v_div_scale_f64 v[107:108], vcc, 1.0, v[97:98], 1.0
	v_rcp_f64_e32 v[101:102], v[99:100]
	v_fma_f64 v[105:106], -v[99:100], v[101:102], 1.0
	v_fma_f64 v[101:102], v[101:102], v[105:106], v[101:102]
	v_fma_f64 v[105:106], -v[99:100], v[101:102], 1.0
	v_fma_f64 v[101:102], v[101:102], v[105:106], v[101:102]
	v_mul_f64 v[105:106], v[107:108], v[101:102]
	v_fma_f64 v[99:100], -v[99:100], v[105:106], v[107:108]
	v_div_fmas_f64 v[99:100], v[99:100], v[101:102], v[105:106]
	v_div_fixup_f64 v[101:102], v[99:100], v[97:98], 1.0
	v_mul_f64 v[103:104], v[103:104], -v[101:102]
.LBB115_106:
	s_or_b64 exec, exec, s[2:3]
	ds_write2_b64 v127, v[101:102], v[103:104] offset1:1
.LBB115_107:
	s_or_b64 exec, exec, s[4:5]
	s_waitcnt lgkmcnt(0)
	s_barrier
	ds_read2_b64 v[87:90], v127 offset1:1
	v_cmp_lt_u32_e32 vcc, 11, v0
	s_waitcnt lgkmcnt(0)
	buffer_store_dword v87, off, s[20:23], 0 offset:1368 ; 4-byte Folded Spill
	s_nop 0
	buffer_store_dword v88, off, s[20:23], 0 offset:1372 ; 4-byte Folded Spill
	buffer_store_dword v89, off, s[20:23], 0 offset:1376 ; 4-byte Folded Spill
	;; [unrolled: 1-line block ×3, first 2 shown]
	s_and_saveexec_b64 s[2:3], vcc
	s_cbranch_execz .LBB115_109
; %bb.108:
	buffer_load_dword v107, off, s[20:23], 0 offset:544 ; 4-byte Folded Reload
	buffer_load_dword v108, off, s[20:23], 0 offset:548 ; 4-byte Folded Reload
	;; [unrolled: 1-line block ×8, first 2 shown]
	s_waitcnt vmcnt(2)
	v_mul_f64 v[99:100], v[87:88], v[109:110]
	s_waitcnt vmcnt(0)
	v_mul_f64 v[97:98], v[89:90], v[109:110]
	v_fma_f64 v[109:110], v[89:90], v[107:108], v[99:100]
	ds_read2_b64 v[99:102], v125 offset0:24 offset1:25
	v_fma_f64 v[97:98], v[87:88], v[107:108], -v[97:98]
	buffer_load_dword v105, off, s[20:23], 0 offset:528 ; 4-byte Folded Reload
	buffer_load_dword v106, off, s[20:23], 0 offset:532 ; 4-byte Folded Reload
	buffer_load_dword v107, off, s[20:23], 0 offset:536 ; 4-byte Folded Reload
	buffer_load_dword v108, off, s[20:23], 0 offset:540 ; 4-byte Folded Reload
	s_waitcnt lgkmcnt(0)
	v_mul_f64 v[103:104], v[101:102], v[109:110]
	v_fma_f64 v[103:104], v[99:100], v[97:98], -v[103:104]
	v_mul_f64 v[99:100], v[99:100], v[109:110]
	v_fma_f64 v[99:100], v[101:102], v[97:98], v[99:100]
	s_waitcnt vmcnt(2)
	v_add_f64 v[105:106], v[105:106], -v[103:104]
	s_waitcnt vmcnt(0)
	v_add_f64 v[107:108], v[107:108], -v[99:100]
	buffer_store_dword v105, off, s[20:23], 0 offset:528 ; 4-byte Folded Spill
	s_nop 0
	buffer_store_dword v106, off, s[20:23], 0 offset:532 ; 4-byte Folded Spill
	buffer_store_dword v107, off, s[20:23], 0 offset:536 ; 4-byte Folded Spill
	buffer_store_dword v108, off, s[20:23], 0 offset:540 ; 4-byte Folded Spill
	ds_read2_b64 v[99:102], v125 offset0:26 offset1:27
	buffer_load_dword v105, off, s[20:23], 0 offset:512 ; 4-byte Folded Reload
	buffer_load_dword v106, off, s[20:23], 0 offset:516 ; 4-byte Folded Reload
	buffer_load_dword v107, off, s[20:23], 0 offset:520 ; 4-byte Folded Reload
	buffer_load_dword v108, off, s[20:23], 0 offset:524 ; 4-byte Folded Reload
	s_waitcnt lgkmcnt(0)
	v_mul_f64 v[103:104], v[101:102], v[109:110]
	v_fma_f64 v[103:104], v[99:100], v[97:98], -v[103:104]
	v_mul_f64 v[99:100], v[99:100], v[109:110]
	v_fma_f64 v[99:100], v[101:102], v[97:98], v[99:100]
	s_waitcnt vmcnt(2)
	v_add_f64 v[105:106], v[105:106], -v[103:104]
	s_waitcnt vmcnt(0)
	v_add_f64 v[107:108], v[107:108], -v[99:100]
	buffer_store_dword v105, off, s[20:23], 0 offset:512 ; 4-byte Folded Spill
	s_nop 0
	buffer_store_dword v106, off, s[20:23], 0 offset:516 ; 4-byte Folded Spill
	buffer_store_dword v107, off, s[20:23], 0 offset:520 ; 4-byte Folded Spill
	buffer_store_dword v108, off, s[20:23], 0 offset:524 ; 4-byte Folded Spill
	ds_read2_b64 v[99:102], v125 offset0:28 offset1:29
	;; [unrolled: 19-line block ×23, first 2 shown]
	v_mov_b32_e32 v108, v98
	v_mov_b32_e32 v107, v97
	s_waitcnt lgkmcnt(0)
	v_mul_f64 v[103:104], v[101:102], v[109:110]
	v_fma_f64 v[103:104], v[99:100], v[97:98], -v[103:104]
	v_mul_f64 v[99:100], v[99:100], v[109:110]
	v_add_f64 v[91:92], v[91:92], -v[103:104]
	v_fma_f64 v[99:100], v[101:102], v[97:98], v[99:100]
	v_add_f64 v[93:94], v[93:94], -v[99:100]
	ds_read2_b64 v[99:102], v125 offset0:72 offset1:73
	buffer_load_dword v77, off, s[20:23], 0 offset:160 ; 4-byte Folded Reload
	buffer_load_dword v78, off, s[20:23], 0 offset:164 ; 4-byte Folded Reload
	buffer_load_dword v79, off, s[20:23], 0 offset:168 ; 4-byte Folded Reload
	buffer_load_dword v80, off, s[20:23], 0 offset:172 ; 4-byte Folded Reload
	s_waitcnt lgkmcnt(0)
	v_mul_f64 v[103:104], v[101:102], v[109:110]
	v_fma_f64 v[103:104], v[99:100], v[97:98], -v[103:104]
	v_mul_f64 v[99:100], v[99:100], v[109:110]
	v_fma_f64 v[99:100], v[101:102], v[97:98], v[99:100]
	s_waitcnt vmcnt(2)
	v_add_f64 v[77:78], v[77:78], -v[103:104]
	s_waitcnt vmcnt(0)
	v_add_f64 v[79:80], v[79:80], -v[99:100]
	buffer_store_dword v77, off, s[20:23], 0 offset:160 ; 4-byte Folded Spill
	s_nop 0
	buffer_store_dword v78, off, s[20:23], 0 offset:164 ; 4-byte Folded Spill
	buffer_store_dword v79, off, s[20:23], 0 offset:168 ; 4-byte Folded Spill
	buffer_store_dword v80, off, s[20:23], 0 offset:172 ; 4-byte Folded Spill
	ds_read2_b64 v[99:102], v125 offset0:74 offset1:75
	buffer_load_dword v77, off, s[20:23], 0 offset:144 ; 4-byte Folded Reload
	buffer_load_dword v78, off, s[20:23], 0 offset:148 ; 4-byte Folded Reload
	buffer_load_dword v79, off, s[20:23], 0 offset:152 ; 4-byte Folded Reload
	buffer_load_dword v80, off, s[20:23], 0 offset:156 ; 4-byte Folded Reload
	s_waitcnt lgkmcnt(0)
	v_mul_f64 v[103:104], v[101:102], v[109:110]
	v_fma_f64 v[103:104], v[99:100], v[97:98], -v[103:104]
	v_mul_f64 v[99:100], v[99:100], v[109:110]
	v_fma_f64 v[99:100], v[101:102], v[97:98], v[99:100]
	s_waitcnt vmcnt(2)
	v_add_f64 v[77:78], v[77:78], -v[103:104]
	s_waitcnt vmcnt(0)
	v_add_f64 v[79:80], v[79:80], -v[99:100]
	buffer_store_dword v77, off, s[20:23], 0 offset:144 ; 4-byte Folded Spill
	s_nop 0
	buffer_store_dword v78, off, s[20:23], 0 offset:148 ; 4-byte Folded Spill
	buffer_store_dword v79, off, s[20:23], 0 offset:152 ; 4-byte Folded Spill
	buffer_store_dword v80, off, s[20:23], 0 offset:156 ; 4-byte Folded Spill
	;; [unrolled: 19-line block ×10, first 2 shown]
	ds_read2_b64 v[99:102], v125 offset0:92 offset1:93
	buffer_load_dword v41, off, s[20:23], 0 ; 4-byte Folded Reload
	buffer_load_dword v42, off, s[20:23], 0 offset:4 ; 4-byte Folded Reload
	buffer_load_dword v43, off, s[20:23], 0 offset:8 ; 4-byte Folded Reload
	;; [unrolled: 1-line block ×3, first 2 shown]
	s_waitcnt lgkmcnt(0)
	v_mul_f64 v[103:104], v[101:102], v[109:110]
	v_fma_f64 v[103:104], v[99:100], v[97:98], -v[103:104]
	v_mul_f64 v[99:100], v[99:100], v[109:110]
	v_fma_f64 v[99:100], v[101:102], v[97:98], v[99:100]
	s_waitcnt vmcnt(2)
	v_add_f64 v[41:42], v[41:42], -v[103:104]
	s_waitcnt vmcnt(0)
	v_add_f64 v[43:44], v[43:44], -v[99:100]
	buffer_store_dword v41, off, s[20:23], 0 ; 4-byte Folded Spill
	s_nop 0
	buffer_store_dword v42, off, s[20:23], 0 offset:4 ; 4-byte Folded Spill
	buffer_store_dword v43, off, s[20:23], 0 offset:8 ; 4-byte Folded Spill
	;; [unrolled: 1-line block ×3, first 2 shown]
	ds_read2_b64 v[99:102], v125 offset0:94 offset1:95
	s_waitcnt lgkmcnt(0)
	v_mul_f64 v[103:104], v[101:102], v[109:110]
	v_fma_f64 v[103:104], v[99:100], v[97:98], -v[103:104]
	v_mul_f64 v[99:100], v[99:100], v[109:110]
	v_add_f64 v[37:38], v[37:38], -v[103:104]
	v_fma_f64 v[99:100], v[101:102], v[97:98], v[99:100]
	v_add_f64 v[39:40], v[39:40], -v[99:100]
	ds_read2_b64 v[99:102], v125 offset0:96 offset1:97
	s_waitcnt lgkmcnt(0)
	v_mul_f64 v[103:104], v[101:102], v[109:110]
	v_fma_f64 v[103:104], v[99:100], v[97:98], -v[103:104]
	v_mul_f64 v[99:100], v[99:100], v[109:110]
	v_add_f64 v[33:34], v[33:34], -v[103:104]
	v_fma_f64 v[99:100], v[101:102], v[97:98], v[99:100]
	v_add_f64 v[35:36], v[35:36], -v[99:100]
	;; [unrolled: 8-line block ×9, first 2 shown]
	ds_read2_b64 v[99:102], v125 offset0:112 offset1:113
	s_waitcnt lgkmcnt(0)
	v_mul_f64 v[103:104], v[101:102], v[109:110]
	v_fma_f64 v[103:104], v[99:100], v[97:98], -v[103:104]
	v_mul_f64 v[99:100], v[99:100], v[109:110]
	v_add_f64 v[1:2], v[1:2], -v[103:104]
	v_fma_f64 v[99:100], v[101:102], v[97:98], v[99:100]
	ds_read2_b64 v[101:104], v125 offset0:114 offset1:115
	v_add_f64 v[3:4], v[3:4], -v[99:100]
	s_waitcnt lgkmcnt(0)
	v_mul_f64 v[99:100], v[103:104], v[109:110]
	v_fma_f64 v[99:100], v[101:102], v[97:98], -v[99:100]
	v_mul_f64 v[101:102], v[101:102], v[109:110]
	buffer_store_dword v107, off, s[20:23], 0 offset:544 ; 4-byte Folded Spill
	s_nop 0
	buffer_store_dword v108, off, s[20:23], 0 offset:548 ; 4-byte Folded Spill
	buffer_store_dword v109, off, s[20:23], 0 offset:552 ; 4-byte Folded Spill
	;; [unrolled: 1-line block ×3, first 2 shown]
	v_add_f64 v[121:122], v[121:122], -v[99:100]
	v_fma_f64 v[101:102], v[103:104], v[97:98], v[101:102]
	v_add_f64 v[123:124], v[123:124], -v[101:102]
.LBB115_109:
	s_or_b64 exec, exec, s[2:3]
	v_cmp_eq_u32_e32 vcc, 12, v0
	s_waitcnt vmcnt(0)
	s_barrier
	s_and_saveexec_b64 s[4:5], vcc
	s_cbranch_execz .LBB115_116
; %bb.110:
	buffer_load_dword v95, off, s[20:23], 0 offset:528 ; 4-byte Folded Reload
	buffer_load_dword v96, off, s[20:23], 0 offset:532 ; 4-byte Folded Reload
	;; [unrolled: 1-line block ×4, first 2 shown]
	s_waitcnt vmcnt(0)
	ds_write2_b64 v127, v[95:96], v[97:98] offset1:1
	buffer_load_dword v95, off, s[20:23], 0 offset:512 ; 4-byte Folded Reload
	buffer_load_dword v96, off, s[20:23], 0 offset:516 ; 4-byte Folded Reload
	buffer_load_dword v97, off, s[20:23], 0 offset:520 ; 4-byte Folded Reload
	buffer_load_dword v98, off, s[20:23], 0 offset:524 ; 4-byte Folded Reload
	s_waitcnt vmcnt(0)
	ds_write2_b64 v125, v[95:96], v[97:98] offset0:26 offset1:27
	buffer_load_dword v95, off, s[20:23], 0 offset:496 ; 4-byte Folded Reload
	buffer_load_dword v96, off, s[20:23], 0 offset:500 ; 4-byte Folded Reload
	buffer_load_dword v97, off, s[20:23], 0 offset:504 ; 4-byte Folded Reload
	buffer_load_dword v98, off, s[20:23], 0 offset:508 ; 4-byte Folded Reload
	s_waitcnt vmcnt(0)
	ds_write2_b64 v125, v[95:96], v[97:98] offset0:28 offset1:29
	;; [unrolled: 6-line block ×22, first 2 shown]
	ds_write2_b64 v125, v[91:92], v[93:94] offset0:70 offset1:71
	buffer_load_dword v77, off, s[20:23], 0 offset:160 ; 4-byte Folded Reload
	buffer_load_dword v78, off, s[20:23], 0 offset:164 ; 4-byte Folded Reload
	buffer_load_dword v79, off, s[20:23], 0 offset:168 ; 4-byte Folded Reload
	buffer_load_dword v80, off, s[20:23], 0 offset:172 ; 4-byte Folded Reload
	s_waitcnt vmcnt(0)
	ds_write2_b64 v125, v[77:78], v[79:80] offset0:72 offset1:73
	buffer_load_dword v77, off, s[20:23], 0 offset:144 ; 4-byte Folded Reload
	buffer_load_dword v78, off, s[20:23], 0 offset:148 ; 4-byte Folded Reload
	buffer_load_dword v79, off, s[20:23], 0 offset:152 ; 4-byte Folded Reload
	buffer_load_dword v80, off, s[20:23], 0 offset:156 ; 4-byte Folded Reload
	s_waitcnt vmcnt(0)
	;; [unrolled: 6-line block ×10, first 2 shown]
	ds_write2_b64 v125, v[45:46], v[47:48] offset0:90 offset1:91
	buffer_load_dword v41, off, s[20:23], 0 ; 4-byte Folded Reload
	buffer_load_dword v42, off, s[20:23], 0 offset:4 ; 4-byte Folded Reload
	buffer_load_dword v43, off, s[20:23], 0 offset:8 ; 4-byte Folded Reload
	;; [unrolled: 1-line block ×3, first 2 shown]
	s_waitcnt vmcnt(0)
	ds_write2_b64 v125, v[41:42], v[43:44] offset0:92 offset1:93
	ds_write2_b64 v125, v[37:38], v[39:40] offset0:94 offset1:95
	;; [unrolled: 1-line block ×12, first 2 shown]
	ds_read2_b64 v[97:100], v127 offset1:1
	s_waitcnt lgkmcnt(0)
	v_cmp_neq_f64_e32 vcc, 0, v[97:98]
	v_cmp_neq_f64_e64 s[2:3], 0, v[99:100]
	s_or_b64 s[2:3], vcc, s[2:3]
	s_and_b64 exec, exec, s[2:3]
	s_cbranch_execz .LBB115_116
; %bb.111:
	v_cmp_ngt_f64_e64 s[2:3], |v[97:98]|, |v[99:100]|
                                        ; implicit-def: $vgpr101_vgpr102
	s_and_saveexec_b64 s[6:7], s[2:3]
	s_xor_b64 s[2:3], exec, s[6:7]
                                        ; implicit-def: $vgpr103_vgpr104
	s_cbranch_execz .LBB115_113
; %bb.112:
	v_div_scale_f64 v[101:102], s[6:7], v[99:100], v[99:100], v[97:98]
	v_rcp_f64_e32 v[103:104], v[101:102]
	v_fma_f64 v[105:106], -v[101:102], v[103:104], 1.0
	v_fma_f64 v[103:104], v[103:104], v[105:106], v[103:104]
	v_div_scale_f64 v[105:106], vcc, v[97:98], v[99:100], v[97:98]
	v_fma_f64 v[107:108], -v[101:102], v[103:104], 1.0
	v_fma_f64 v[103:104], v[103:104], v[107:108], v[103:104]
	v_mul_f64 v[107:108], v[105:106], v[103:104]
	v_fma_f64 v[101:102], -v[101:102], v[107:108], v[105:106]
	v_div_fmas_f64 v[101:102], v[101:102], v[103:104], v[107:108]
	v_div_fixup_f64 v[101:102], v[101:102], v[99:100], v[97:98]
	v_fma_f64 v[97:98], v[97:98], v[101:102], v[99:100]
	v_div_scale_f64 v[99:100], s[6:7], v[97:98], v[97:98], 1.0
	v_div_scale_f64 v[107:108], vcc, 1.0, v[97:98], 1.0
	v_rcp_f64_e32 v[103:104], v[99:100]
	v_fma_f64 v[105:106], -v[99:100], v[103:104], 1.0
	v_fma_f64 v[103:104], v[103:104], v[105:106], v[103:104]
	v_fma_f64 v[105:106], -v[99:100], v[103:104], 1.0
	v_fma_f64 v[103:104], v[103:104], v[105:106], v[103:104]
	v_mul_f64 v[105:106], v[107:108], v[103:104]
	v_fma_f64 v[99:100], -v[99:100], v[105:106], v[107:108]
	v_div_fmas_f64 v[99:100], v[99:100], v[103:104], v[105:106]
	v_div_fixup_f64 v[103:104], v[99:100], v[97:98], 1.0
                                        ; implicit-def: $vgpr97_vgpr98
	v_mul_f64 v[101:102], v[101:102], v[103:104]
	v_xor_b32_e32 v104, 0x80000000, v104
.LBB115_113:
	s_andn2_saveexec_b64 s[2:3], s[2:3]
	s_cbranch_execz .LBB115_115
; %bb.114:
	v_div_scale_f64 v[101:102], s[6:7], v[97:98], v[97:98], v[99:100]
	v_rcp_f64_e32 v[103:104], v[101:102]
	v_fma_f64 v[105:106], -v[101:102], v[103:104], 1.0
	v_fma_f64 v[103:104], v[103:104], v[105:106], v[103:104]
	v_div_scale_f64 v[105:106], vcc, v[99:100], v[97:98], v[99:100]
	v_fma_f64 v[107:108], -v[101:102], v[103:104], 1.0
	v_fma_f64 v[103:104], v[103:104], v[107:108], v[103:104]
	v_mul_f64 v[107:108], v[105:106], v[103:104]
	v_fma_f64 v[101:102], -v[101:102], v[107:108], v[105:106]
	v_div_fmas_f64 v[101:102], v[101:102], v[103:104], v[107:108]
	v_div_fixup_f64 v[103:104], v[101:102], v[97:98], v[99:100]
	v_fma_f64 v[97:98], v[99:100], v[103:104], v[97:98]
	v_div_scale_f64 v[99:100], s[6:7], v[97:98], v[97:98], 1.0
	v_div_scale_f64 v[107:108], vcc, 1.0, v[97:98], 1.0
	v_rcp_f64_e32 v[101:102], v[99:100]
	v_fma_f64 v[105:106], -v[99:100], v[101:102], 1.0
	v_fma_f64 v[101:102], v[101:102], v[105:106], v[101:102]
	v_fma_f64 v[105:106], -v[99:100], v[101:102], 1.0
	v_fma_f64 v[101:102], v[101:102], v[105:106], v[101:102]
	v_mul_f64 v[105:106], v[107:108], v[101:102]
	v_fma_f64 v[99:100], -v[99:100], v[105:106], v[107:108]
	v_div_fmas_f64 v[99:100], v[99:100], v[101:102], v[105:106]
	v_div_fixup_f64 v[101:102], v[99:100], v[97:98], 1.0
	v_mul_f64 v[103:104], v[103:104], -v[101:102]
.LBB115_115:
	s_or_b64 exec, exec, s[2:3]
	ds_write2_b64 v127, v[101:102], v[103:104] offset1:1
.LBB115_116:
	s_or_b64 exec, exec, s[4:5]
	s_waitcnt lgkmcnt(0)
	s_barrier
	ds_read2_b64 v[87:90], v127 offset1:1
	v_cmp_lt_u32_e32 vcc, 12, v0
	s_waitcnt lgkmcnt(0)
	buffer_store_dword v87, off, s[20:23], 0 offset:1384 ; 4-byte Folded Spill
	s_nop 0
	buffer_store_dword v88, off, s[20:23], 0 offset:1388 ; 4-byte Folded Spill
	buffer_store_dword v89, off, s[20:23], 0 offset:1392 ; 4-byte Folded Spill
	;; [unrolled: 1-line block ×3, first 2 shown]
	s_and_saveexec_b64 s[2:3], vcc
	s_cbranch_execz .LBB115_118
; %bb.117:
	buffer_load_dword v107, off, s[20:23], 0 offset:528 ; 4-byte Folded Reload
	buffer_load_dword v108, off, s[20:23], 0 offset:532 ; 4-byte Folded Reload
	;; [unrolled: 1-line block ×8, first 2 shown]
	s_waitcnt vmcnt(2)
	v_mul_f64 v[99:100], v[87:88], v[109:110]
	s_waitcnt vmcnt(0)
	v_mul_f64 v[97:98], v[89:90], v[109:110]
	v_fma_f64 v[109:110], v[89:90], v[107:108], v[99:100]
	ds_read2_b64 v[99:102], v125 offset0:26 offset1:27
	v_fma_f64 v[97:98], v[87:88], v[107:108], -v[97:98]
	buffer_load_dword v105, off, s[20:23], 0 offset:512 ; 4-byte Folded Reload
	buffer_load_dword v106, off, s[20:23], 0 offset:516 ; 4-byte Folded Reload
	buffer_load_dword v107, off, s[20:23], 0 offset:520 ; 4-byte Folded Reload
	buffer_load_dword v108, off, s[20:23], 0 offset:524 ; 4-byte Folded Reload
	s_waitcnt lgkmcnt(0)
	v_mul_f64 v[103:104], v[101:102], v[109:110]
	v_fma_f64 v[103:104], v[99:100], v[97:98], -v[103:104]
	v_mul_f64 v[99:100], v[99:100], v[109:110]
	v_fma_f64 v[99:100], v[101:102], v[97:98], v[99:100]
	s_waitcnt vmcnt(2)
	v_add_f64 v[105:106], v[105:106], -v[103:104]
	s_waitcnt vmcnt(0)
	v_add_f64 v[107:108], v[107:108], -v[99:100]
	buffer_store_dword v105, off, s[20:23], 0 offset:512 ; 4-byte Folded Spill
	s_nop 0
	buffer_store_dword v106, off, s[20:23], 0 offset:516 ; 4-byte Folded Spill
	buffer_store_dword v107, off, s[20:23], 0 offset:520 ; 4-byte Folded Spill
	buffer_store_dword v108, off, s[20:23], 0 offset:524 ; 4-byte Folded Spill
	ds_read2_b64 v[99:102], v125 offset0:28 offset1:29
	buffer_load_dword v105, off, s[20:23], 0 offset:496 ; 4-byte Folded Reload
	buffer_load_dword v106, off, s[20:23], 0 offset:500 ; 4-byte Folded Reload
	buffer_load_dword v107, off, s[20:23], 0 offset:504 ; 4-byte Folded Reload
	buffer_load_dword v108, off, s[20:23], 0 offset:508 ; 4-byte Folded Reload
	s_waitcnt lgkmcnt(0)
	v_mul_f64 v[103:104], v[101:102], v[109:110]
	v_fma_f64 v[103:104], v[99:100], v[97:98], -v[103:104]
	v_mul_f64 v[99:100], v[99:100], v[109:110]
	v_fma_f64 v[99:100], v[101:102], v[97:98], v[99:100]
	s_waitcnt vmcnt(2)
	v_add_f64 v[105:106], v[105:106], -v[103:104]
	s_waitcnt vmcnt(0)
	v_add_f64 v[107:108], v[107:108], -v[99:100]
	buffer_store_dword v105, off, s[20:23], 0 offset:496 ; 4-byte Folded Spill
	s_nop 0
	buffer_store_dword v106, off, s[20:23], 0 offset:500 ; 4-byte Folded Spill
	buffer_store_dword v107, off, s[20:23], 0 offset:504 ; 4-byte Folded Spill
	buffer_store_dword v108, off, s[20:23], 0 offset:508 ; 4-byte Folded Spill
	ds_read2_b64 v[99:102], v125 offset0:30 offset1:31
	;; [unrolled: 19-line block ×22, first 2 shown]
	v_mov_b32_e32 v108, v98
	v_mov_b32_e32 v107, v97
	s_waitcnt lgkmcnt(0)
	v_mul_f64 v[103:104], v[101:102], v[109:110]
	v_fma_f64 v[103:104], v[99:100], v[97:98], -v[103:104]
	v_mul_f64 v[99:100], v[99:100], v[109:110]
	v_add_f64 v[91:92], v[91:92], -v[103:104]
	v_fma_f64 v[99:100], v[101:102], v[97:98], v[99:100]
	v_add_f64 v[93:94], v[93:94], -v[99:100]
	ds_read2_b64 v[99:102], v125 offset0:72 offset1:73
	buffer_load_dword v77, off, s[20:23], 0 offset:160 ; 4-byte Folded Reload
	buffer_load_dword v78, off, s[20:23], 0 offset:164 ; 4-byte Folded Reload
	buffer_load_dword v79, off, s[20:23], 0 offset:168 ; 4-byte Folded Reload
	buffer_load_dword v80, off, s[20:23], 0 offset:172 ; 4-byte Folded Reload
	s_waitcnt lgkmcnt(0)
	v_mul_f64 v[103:104], v[101:102], v[109:110]
	v_fma_f64 v[103:104], v[99:100], v[97:98], -v[103:104]
	v_mul_f64 v[99:100], v[99:100], v[109:110]
	v_fma_f64 v[99:100], v[101:102], v[97:98], v[99:100]
	s_waitcnt vmcnt(2)
	v_add_f64 v[77:78], v[77:78], -v[103:104]
	s_waitcnt vmcnt(0)
	v_add_f64 v[79:80], v[79:80], -v[99:100]
	buffer_store_dword v77, off, s[20:23], 0 offset:160 ; 4-byte Folded Spill
	s_nop 0
	buffer_store_dword v78, off, s[20:23], 0 offset:164 ; 4-byte Folded Spill
	buffer_store_dword v79, off, s[20:23], 0 offset:168 ; 4-byte Folded Spill
	buffer_store_dword v80, off, s[20:23], 0 offset:172 ; 4-byte Folded Spill
	ds_read2_b64 v[99:102], v125 offset0:74 offset1:75
	buffer_load_dword v77, off, s[20:23], 0 offset:144 ; 4-byte Folded Reload
	buffer_load_dword v78, off, s[20:23], 0 offset:148 ; 4-byte Folded Reload
	buffer_load_dword v79, off, s[20:23], 0 offset:152 ; 4-byte Folded Reload
	buffer_load_dword v80, off, s[20:23], 0 offset:156 ; 4-byte Folded Reload
	s_waitcnt lgkmcnt(0)
	v_mul_f64 v[103:104], v[101:102], v[109:110]
	v_fma_f64 v[103:104], v[99:100], v[97:98], -v[103:104]
	v_mul_f64 v[99:100], v[99:100], v[109:110]
	v_fma_f64 v[99:100], v[101:102], v[97:98], v[99:100]
	s_waitcnt vmcnt(2)
	v_add_f64 v[77:78], v[77:78], -v[103:104]
	s_waitcnt vmcnt(0)
	v_add_f64 v[79:80], v[79:80], -v[99:100]
	buffer_store_dword v77, off, s[20:23], 0 offset:144 ; 4-byte Folded Spill
	s_nop 0
	buffer_store_dword v78, off, s[20:23], 0 offset:148 ; 4-byte Folded Spill
	buffer_store_dword v79, off, s[20:23], 0 offset:152 ; 4-byte Folded Spill
	buffer_store_dword v80, off, s[20:23], 0 offset:156 ; 4-byte Folded Spill
	;; [unrolled: 19-line block ×10, first 2 shown]
	ds_read2_b64 v[99:102], v125 offset0:92 offset1:93
	buffer_load_dword v41, off, s[20:23], 0 ; 4-byte Folded Reload
	buffer_load_dword v42, off, s[20:23], 0 offset:4 ; 4-byte Folded Reload
	buffer_load_dword v43, off, s[20:23], 0 offset:8 ; 4-byte Folded Reload
	;; [unrolled: 1-line block ×3, first 2 shown]
	s_waitcnt lgkmcnt(0)
	v_mul_f64 v[103:104], v[101:102], v[109:110]
	v_fma_f64 v[103:104], v[99:100], v[97:98], -v[103:104]
	v_mul_f64 v[99:100], v[99:100], v[109:110]
	v_fma_f64 v[99:100], v[101:102], v[97:98], v[99:100]
	s_waitcnt vmcnt(2)
	v_add_f64 v[41:42], v[41:42], -v[103:104]
	s_waitcnt vmcnt(0)
	v_add_f64 v[43:44], v[43:44], -v[99:100]
	buffer_store_dword v41, off, s[20:23], 0 ; 4-byte Folded Spill
	s_nop 0
	buffer_store_dword v42, off, s[20:23], 0 offset:4 ; 4-byte Folded Spill
	buffer_store_dword v43, off, s[20:23], 0 offset:8 ; 4-byte Folded Spill
	;; [unrolled: 1-line block ×3, first 2 shown]
	ds_read2_b64 v[99:102], v125 offset0:94 offset1:95
	s_waitcnt lgkmcnt(0)
	v_mul_f64 v[103:104], v[101:102], v[109:110]
	v_fma_f64 v[103:104], v[99:100], v[97:98], -v[103:104]
	v_mul_f64 v[99:100], v[99:100], v[109:110]
	v_add_f64 v[37:38], v[37:38], -v[103:104]
	v_fma_f64 v[99:100], v[101:102], v[97:98], v[99:100]
	v_add_f64 v[39:40], v[39:40], -v[99:100]
	ds_read2_b64 v[99:102], v125 offset0:96 offset1:97
	s_waitcnt lgkmcnt(0)
	v_mul_f64 v[103:104], v[101:102], v[109:110]
	v_fma_f64 v[103:104], v[99:100], v[97:98], -v[103:104]
	v_mul_f64 v[99:100], v[99:100], v[109:110]
	v_add_f64 v[33:34], v[33:34], -v[103:104]
	v_fma_f64 v[99:100], v[101:102], v[97:98], v[99:100]
	v_add_f64 v[35:36], v[35:36], -v[99:100]
	;; [unrolled: 8-line block ×9, first 2 shown]
	ds_read2_b64 v[99:102], v125 offset0:112 offset1:113
	s_waitcnt lgkmcnt(0)
	v_mul_f64 v[103:104], v[101:102], v[109:110]
	v_fma_f64 v[103:104], v[99:100], v[97:98], -v[103:104]
	v_mul_f64 v[99:100], v[99:100], v[109:110]
	v_add_f64 v[1:2], v[1:2], -v[103:104]
	v_fma_f64 v[99:100], v[101:102], v[97:98], v[99:100]
	ds_read2_b64 v[101:104], v125 offset0:114 offset1:115
	v_add_f64 v[3:4], v[3:4], -v[99:100]
	s_waitcnt lgkmcnt(0)
	v_mul_f64 v[99:100], v[103:104], v[109:110]
	v_fma_f64 v[99:100], v[101:102], v[97:98], -v[99:100]
	v_mul_f64 v[101:102], v[101:102], v[109:110]
	buffer_store_dword v107, off, s[20:23], 0 offset:528 ; 4-byte Folded Spill
	s_nop 0
	buffer_store_dword v108, off, s[20:23], 0 offset:532 ; 4-byte Folded Spill
	buffer_store_dword v109, off, s[20:23], 0 offset:536 ; 4-byte Folded Spill
	;; [unrolled: 1-line block ×3, first 2 shown]
	v_add_f64 v[121:122], v[121:122], -v[99:100]
	v_fma_f64 v[101:102], v[103:104], v[97:98], v[101:102]
	v_add_f64 v[123:124], v[123:124], -v[101:102]
.LBB115_118:
	s_or_b64 exec, exec, s[2:3]
	v_cmp_eq_u32_e32 vcc, 13, v0
	s_waitcnt vmcnt(0)
	s_barrier
	s_and_saveexec_b64 s[4:5], vcc
	s_cbranch_execz .LBB115_125
; %bb.119:
	buffer_load_dword v95, off, s[20:23], 0 offset:512 ; 4-byte Folded Reload
	buffer_load_dword v96, off, s[20:23], 0 offset:516 ; 4-byte Folded Reload
	;; [unrolled: 1-line block ×4, first 2 shown]
	s_waitcnt vmcnt(0)
	ds_write2_b64 v127, v[95:96], v[97:98] offset1:1
	buffer_load_dword v95, off, s[20:23], 0 offset:496 ; 4-byte Folded Reload
	buffer_load_dword v96, off, s[20:23], 0 offset:500 ; 4-byte Folded Reload
	buffer_load_dword v97, off, s[20:23], 0 offset:504 ; 4-byte Folded Reload
	buffer_load_dword v98, off, s[20:23], 0 offset:508 ; 4-byte Folded Reload
	s_waitcnt vmcnt(0)
	ds_write2_b64 v125, v[95:96], v[97:98] offset0:28 offset1:29
	buffer_load_dword v95, off, s[20:23], 0 offset:480 ; 4-byte Folded Reload
	buffer_load_dword v96, off, s[20:23], 0 offset:484 ; 4-byte Folded Reload
	buffer_load_dword v97, off, s[20:23], 0 offset:488 ; 4-byte Folded Reload
	buffer_load_dword v98, off, s[20:23], 0 offset:492 ; 4-byte Folded Reload
	s_waitcnt vmcnt(0)
	ds_write2_b64 v125, v[95:96], v[97:98] offset0:30 offset1:31
	;; [unrolled: 6-line block ×21, first 2 shown]
	ds_write2_b64 v125, v[91:92], v[93:94] offset0:70 offset1:71
	buffer_load_dword v77, off, s[20:23], 0 offset:160 ; 4-byte Folded Reload
	buffer_load_dword v78, off, s[20:23], 0 offset:164 ; 4-byte Folded Reload
	buffer_load_dword v79, off, s[20:23], 0 offset:168 ; 4-byte Folded Reload
	buffer_load_dword v80, off, s[20:23], 0 offset:172 ; 4-byte Folded Reload
	s_waitcnt vmcnt(0)
	ds_write2_b64 v125, v[77:78], v[79:80] offset0:72 offset1:73
	buffer_load_dword v77, off, s[20:23], 0 offset:144 ; 4-byte Folded Reload
	buffer_load_dword v78, off, s[20:23], 0 offset:148 ; 4-byte Folded Reload
	buffer_load_dword v79, off, s[20:23], 0 offset:152 ; 4-byte Folded Reload
	buffer_load_dword v80, off, s[20:23], 0 offset:156 ; 4-byte Folded Reload
	s_waitcnt vmcnt(0)
	;; [unrolled: 6-line block ×10, first 2 shown]
	ds_write2_b64 v125, v[45:46], v[47:48] offset0:90 offset1:91
	buffer_load_dword v41, off, s[20:23], 0 ; 4-byte Folded Reload
	buffer_load_dword v42, off, s[20:23], 0 offset:4 ; 4-byte Folded Reload
	buffer_load_dword v43, off, s[20:23], 0 offset:8 ; 4-byte Folded Reload
	;; [unrolled: 1-line block ×3, first 2 shown]
	s_waitcnt vmcnt(0)
	ds_write2_b64 v125, v[41:42], v[43:44] offset0:92 offset1:93
	ds_write2_b64 v125, v[37:38], v[39:40] offset0:94 offset1:95
	;; [unrolled: 1-line block ×12, first 2 shown]
	ds_read2_b64 v[97:100], v127 offset1:1
	s_waitcnt lgkmcnt(0)
	v_cmp_neq_f64_e32 vcc, 0, v[97:98]
	v_cmp_neq_f64_e64 s[2:3], 0, v[99:100]
	s_or_b64 s[2:3], vcc, s[2:3]
	s_and_b64 exec, exec, s[2:3]
	s_cbranch_execz .LBB115_125
; %bb.120:
	v_cmp_ngt_f64_e64 s[2:3], |v[97:98]|, |v[99:100]|
                                        ; implicit-def: $vgpr101_vgpr102
	s_and_saveexec_b64 s[6:7], s[2:3]
	s_xor_b64 s[2:3], exec, s[6:7]
                                        ; implicit-def: $vgpr103_vgpr104
	s_cbranch_execz .LBB115_122
; %bb.121:
	v_div_scale_f64 v[101:102], s[6:7], v[99:100], v[99:100], v[97:98]
	v_rcp_f64_e32 v[103:104], v[101:102]
	v_fma_f64 v[105:106], -v[101:102], v[103:104], 1.0
	v_fma_f64 v[103:104], v[103:104], v[105:106], v[103:104]
	v_div_scale_f64 v[105:106], vcc, v[97:98], v[99:100], v[97:98]
	v_fma_f64 v[107:108], -v[101:102], v[103:104], 1.0
	v_fma_f64 v[103:104], v[103:104], v[107:108], v[103:104]
	v_mul_f64 v[107:108], v[105:106], v[103:104]
	v_fma_f64 v[101:102], -v[101:102], v[107:108], v[105:106]
	v_div_fmas_f64 v[101:102], v[101:102], v[103:104], v[107:108]
	v_div_fixup_f64 v[101:102], v[101:102], v[99:100], v[97:98]
	v_fma_f64 v[97:98], v[97:98], v[101:102], v[99:100]
	v_div_scale_f64 v[99:100], s[6:7], v[97:98], v[97:98], 1.0
	v_div_scale_f64 v[107:108], vcc, 1.0, v[97:98], 1.0
	v_rcp_f64_e32 v[103:104], v[99:100]
	v_fma_f64 v[105:106], -v[99:100], v[103:104], 1.0
	v_fma_f64 v[103:104], v[103:104], v[105:106], v[103:104]
	v_fma_f64 v[105:106], -v[99:100], v[103:104], 1.0
	v_fma_f64 v[103:104], v[103:104], v[105:106], v[103:104]
	v_mul_f64 v[105:106], v[107:108], v[103:104]
	v_fma_f64 v[99:100], -v[99:100], v[105:106], v[107:108]
	v_div_fmas_f64 v[99:100], v[99:100], v[103:104], v[105:106]
	v_div_fixup_f64 v[103:104], v[99:100], v[97:98], 1.0
                                        ; implicit-def: $vgpr97_vgpr98
	v_mul_f64 v[101:102], v[101:102], v[103:104]
	v_xor_b32_e32 v104, 0x80000000, v104
.LBB115_122:
	s_andn2_saveexec_b64 s[2:3], s[2:3]
	s_cbranch_execz .LBB115_124
; %bb.123:
	v_div_scale_f64 v[101:102], s[6:7], v[97:98], v[97:98], v[99:100]
	v_rcp_f64_e32 v[103:104], v[101:102]
	v_fma_f64 v[105:106], -v[101:102], v[103:104], 1.0
	v_fma_f64 v[103:104], v[103:104], v[105:106], v[103:104]
	v_div_scale_f64 v[105:106], vcc, v[99:100], v[97:98], v[99:100]
	v_fma_f64 v[107:108], -v[101:102], v[103:104], 1.0
	v_fma_f64 v[103:104], v[103:104], v[107:108], v[103:104]
	v_mul_f64 v[107:108], v[105:106], v[103:104]
	v_fma_f64 v[101:102], -v[101:102], v[107:108], v[105:106]
	v_div_fmas_f64 v[101:102], v[101:102], v[103:104], v[107:108]
	v_div_fixup_f64 v[103:104], v[101:102], v[97:98], v[99:100]
	v_fma_f64 v[97:98], v[99:100], v[103:104], v[97:98]
	v_div_scale_f64 v[99:100], s[6:7], v[97:98], v[97:98], 1.0
	v_div_scale_f64 v[107:108], vcc, 1.0, v[97:98], 1.0
	v_rcp_f64_e32 v[101:102], v[99:100]
	v_fma_f64 v[105:106], -v[99:100], v[101:102], 1.0
	v_fma_f64 v[101:102], v[101:102], v[105:106], v[101:102]
	v_fma_f64 v[105:106], -v[99:100], v[101:102], 1.0
	v_fma_f64 v[101:102], v[101:102], v[105:106], v[101:102]
	v_mul_f64 v[105:106], v[107:108], v[101:102]
	v_fma_f64 v[99:100], -v[99:100], v[105:106], v[107:108]
	v_div_fmas_f64 v[99:100], v[99:100], v[101:102], v[105:106]
	v_div_fixup_f64 v[101:102], v[99:100], v[97:98], 1.0
	v_mul_f64 v[103:104], v[103:104], -v[101:102]
.LBB115_124:
	s_or_b64 exec, exec, s[2:3]
	ds_write2_b64 v127, v[101:102], v[103:104] offset1:1
.LBB115_125:
	s_or_b64 exec, exec, s[4:5]
	s_waitcnt lgkmcnt(0)
	s_barrier
	ds_read2_b64 v[87:90], v127 offset1:1
	v_cmp_lt_u32_e32 vcc, 13, v0
	s_waitcnt lgkmcnt(0)
	buffer_store_dword v87, off, s[20:23], 0 offset:1400 ; 4-byte Folded Spill
	s_nop 0
	buffer_store_dword v88, off, s[20:23], 0 offset:1404 ; 4-byte Folded Spill
	buffer_store_dword v89, off, s[20:23], 0 offset:1408 ; 4-byte Folded Spill
	buffer_store_dword v90, off, s[20:23], 0 offset:1412 ; 4-byte Folded Spill
	s_and_saveexec_b64 s[2:3], vcc
	s_cbranch_execz .LBB115_127
; %bb.126:
	buffer_load_dword v107, off, s[20:23], 0 offset:512 ; 4-byte Folded Reload
	buffer_load_dword v108, off, s[20:23], 0 offset:516 ; 4-byte Folded Reload
	buffer_load_dword v109, off, s[20:23], 0 offset:520 ; 4-byte Folded Reload
	buffer_load_dword v110, off, s[20:23], 0 offset:524 ; 4-byte Folded Reload
	buffer_load_dword v87, off, s[20:23], 0 offset:1400 ; 4-byte Folded Reload
	buffer_load_dword v88, off, s[20:23], 0 offset:1404 ; 4-byte Folded Reload
	buffer_load_dword v89, off, s[20:23], 0 offset:1408 ; 4-byte Folded Reload
	buffer_load_dword v90, off, s[20:23], 0 offset:1412 ; 4-byte Folded Reload
	s_waitcnt vmcnt(2)
	v_mul_f64 v[99:100], v[87:88], v[109:110]
	s_waitcnt vmcnt(0)
	v_mul_f64 v[97:98], v[89:90], v[109:110]
	v_fma_f64 v[109:110], v[89:90], v[107:108], v[99:100]
	ds_read2_b64 v[99:102], v125 offset0:28 offset1:29
	v_fma_f64 v[97:98], v[87:88], v[107:108], -v[97:98]
	buffer_load_dword v105, off, s[20:23], 0 offset:496 ; 4-byte Folded Reload
	buffer_load_dword v106, off, s[20:23], 0 offset:500 ; 4-byte Folded Reload
	buffer_load_dword v107, off, s[20:23], 0 offset:504 ; 4-byte Folded Reload
	buffer_load_dword v108, off, s[20:23], 0 offset:508 ; 4-byte Folded Reload
	s_waitcnt lgkmcnt(0)
	v_mul_f64 v[103:104], v[101:102], v[109:110]
	v_fma_f64 v[103:104], v[99:100], v[97:98], -v[103:104]
	v_mul_f64 v[99:100], v[99:100], v[109:110]
	v_fma_f64 v[99:100], v[101:102], v[97:98], v[99:100]
	s_waitcnt vmcnt(2)
	v_add_f64 v[105:106], v[105:106], -v[103:104]
	s_waitcnt vmcnt(0)
	v_add_f64 v[107:108], v[107:108], -v[99:100]
	buffer_store_dword v105, off, s[20:23], 0 offset:496 ; 4-byte Folded Spill
	s_nop 0
	buffer_store_dword v106, off, s[20:23], 0 offset:500 ; 4-byte Folded Spill
	buffer_store_dword v107, off, s[20:23], 0 offset:504 ; 4-byte Folded Spill
	buffer_store_dword v108, off, s[20:23], 0 offset:508 ; 4-byte Folded Spill
	ds_read2_b64 v[99:102], v125 offset0:30 offset1:31
	buffer_load_dword v105, off, s[20:23], 0 offset:480 ; 4-byte Folded Reload
	buffer_load_dword v106, off, s[20:23], 0 offset:484 ; 4-byte Folded Reload
	buffer_load_dword v107, off, s[20:23], 0 offset:488 ; 4-byte Folded Reload
	buffer_load_dword v108, off, s[20:23], 0 offset:492 ; 4-byte Folded Reload
	s_waitcnt lgkmcnt(0)
	v_mul_f64 v[103:104], v[101:102], v[109:110]
	v_fma_f64 v[103:104], v[99:100], v[97:98], -v[103:104]
	v_mul_f64 v[99:100], v[99:100], v[109:110]
	v_fma_f64 v[99:100], v[101:102], v[97:98], v[99:100]
	s_waitcnt vmcnt(2)
	v_add_f64 v[105:106], v[105:106], -v[103:104]
	s_waitcnt vmcnt(0)
	v_add_f64 v[107:108], v[107:108], -v[99:100]
	buffer_store_dword v105, off, s[20:23], 0 offset:480 ; 4-byte Folded Spill
	s_nop 0
	buffer_store_dword v106, off, s[20:23], 0 offset:484 ; 4-byte Folded Spill
	buffer_store_dword v107, off, s[20:23], 0 offset:488 ; 4-byte Folded Spill
	buffer_store_dword v108, off, s[20:23], 0 offset:492 ; 4-byte Folded Spill
	ds_read2_b64 v[99:102], v125 offset0:32 offset1:33
	;; [unrolled: 19-line block ×21, first 2 shown]
	v_mov_b32_e32 v108, v98
	v_mov_b32_e32 v107, v97
	s_waitcnt lgkmcnt(0)
	v_mul_f64 v[103:104], v[101:102], v[109:110]
	v_fma_f64 v[103:104], v[99:100], v[97:98], -v[103:104]
	v_mul_f64 v[99:100], v[99:100], v[109:110]
	v_add_f64 v[91:92], v[91:92], -v[103:104]
	v_fma_f64 v[99:100], v[101:102], v[97:98], v[99:100]
	v_add_f64 v[93:94], v[93:94], -v[99:100]
	ds_read2_b64 v[99:102], v125 offset0:72 offset1:73
	buffer_load_dword v77, off, s[20:23], 0 offset:160 ; 4-byte Folded Reload
	buffer_load_dword v78, off, s[20:23], 0 offset:164 ; 4-byte Folded Reload
	buffer_load_dword v79, off, s[20:23], 0 offset:168 ; 4-byte Folded Reload
	buffer_load_dword v80, off, s[20:23], 0 offset:172 ; 4-byte Folded Reload
	s_waitcnt lgkmcnt(0)
	v_mul_f64 v[103:104], v[101:102], v[109:110]
	v_fma_f64 v[103:104], v[99:100], v[97:98], -v[103:104]
	v_mul_f64 v[99:100], v[99:100], v[109:110]
	v_fma_f64 v[99:100], v[101:102], v[97:98], v[99:100]
	s_waitcnt vmcnt(2)
	v_add_f64 v[77:78], v[77:78], -v[103:104]
	s_waitcnt vmcnt(0)
	v_add_f64 v[79:80], v[79:80], -v[99:100]
	buffer_store_dword v77, off, s[20:23], 0 offset:160 ; 4-byte Folded Spill
	s_nop 0
	buffer_store_dword v78, off, s[20:23], 0 offset:164 ; 4-byte Folded Spill
	buffer_store_dword v79, off, s[20:23], 0 offset:168 ; 4-byte Folded Spill
	buffer_store_dword v80, off, s[20:23], 0 offset:172 ; 4-byte Folded Spill
	ds_read2_b64 v[99:102], v125 offset0:74 offset1:75
	buffer_load_dword v77, off, s[20:23], 0 offset:144 ; 4-byte Folded Reload
	buffer_load_dword v78, off, s[20:23], 0 offset:148 ; 4-byte Folded Reload
	buffer_load_dword v79, off, s[20:23], 0 offset:152 ; 4-byte Folded Reload
	buffer_load_dword v80, off, s[20:23], 0 offset:156 ; 4-byte Folded Reload
	s_waitcnt lgkmcnt(0)
	v_mul_f64 v[103:104], v[101:102], v[109:110]
	v_fma_f64 v[103:104], v[99:100], v[97:98], -v[103:104]
	v_mul_f64 v[99:100], v[99:100], v[109:110]
	v_fma_f64 v[99:100], v[101:102], v[97:98], v[99:100]
	s_waitcnt vmcnt(2)
	v_add_f64 v[77:78], v[77:78], -v[103:104]
	s_waitcnt vmcnt(0)
	v_add_f64 v[79:80], v[79:80], -v[99:100]
	buffer_store_dword v77, off, s[20:23], 0 offset:144 ; 4-byte Folded Spill
	s_nop 0
	buffer_store_dword v78, off, s[20:23], 0 offset:148 ; 4-byte Folded Spill
	buffer_store_dword v79, off, s[20:23], 0 offset:152 ; 4-byte Folded Spill
	buffer_store_dword v80, off, s[20:23], 0 offset:156 ; 4-byte Folded Spill
	;; [unrolled: 19-line block ×10, first 2 shown]
	ds_read2_b64 v[99:102], v125 offset0:92 offset1:93
	buffer_load_dword v41, off, s[20:23], 0 ; 4-byte Folded Reload
	buffer_load_dword v42, off, s[20:23], 0 offset:4 ; 4-byte Folded Reload
	buffer_load_dword v43, off, s[20:23], 0 offset:8 ; 4-byte Folded Reload
	;; [unrolled: 1-line block ×3, first 2 shown]
	s_waitcnt lgkmcnt(0)
	v_mul_f64 v[103:104], v[101:102], v[109:110]
	v_fma_f64 v[103:104], v[99:100], v[97:98], -v[103:104]
	v_mul_f64 v[99:100], v[99:100], v[109:110]
	v_fma_f64 v[99:100], v[101:102], v[97:98], v[99:100]
	s_waitcnt vmcnt(2)
	v_add_f64 v[41:42], v[41:42], -v[103:104]
	s_waitcnt vmcnt(0)
	v_add_f64 v[43:44], v[43:44], -v[99:100]
	buffer_store_dword v41, off, s[20:23], 0 ; 4-byte Folded Spill
	s_nop 0
	buffer_store_dword v42, off, s[20:23], 0 offset:4 ; 4-byte Folded Spill
	buffer_store_dword v43, off, s[20:23], 0 offset:8 ; 4-byte Folded Spill
	buffer_store_dword v44, off, s[20:23], 0 offset:12 ; 4-byte Folded Spill
	ds_read2_b64 v[99:102], v125 offset0:94 offset1:95
	s_waitcnt lgkmcnt(0)
	v_mul_f64 v[103:104], v[101:102], v[109:110]
	v_fma_f64 v[103:104], v[99:100], v[97:98], -v[103:104]
	v_mul_f64 v[99:100], v[99:100], v[109:110]
	v_add_f64 v[37:38], v[37:38], -v[103:104]
	v_fma_f64 v[99:100], v[101:102], v[97:98], v[99:100]
	v_add_f64 v[39:40], v[39:40], -v[99:100]
	ds_read2_b64 v[99:102], v125 offset0:96 offset1:97
	s_waitcnt lgkmcnt(0)
	v_mul_f64 v[103:104], v[101:102], v[109:110]
	v_fma_f64 v[103:104], v[99:100], v[97:98], -v[103:104]
	v_mul_f64 v[99:100], v[99:100], v[109:110]
	v_add_f64 v[33:34], v[33:34], -v[103:104]
	v_fma_f64 v[99:100], v[101:102], v[97:98], v[99:100]
	v_add_f64 v[35:36], v[35:36], -v[99:100]
	ds_read2_b64 v[99:102], v125 offset0:98 offset1:99
	s_waitcnt lgkmcnt(0)
	v_mul_f64 v[103:104], v[101:102], v[109:110]
	v_fma_f64 v[103:104], v[99:100], v[97:98], -v[103:104]
	v_mul_f64 v[99:100], v[99:100], v[109:110]
	v_add_f64 v[29:30], v[29:30], -v[103:104]
	v_fma_f64 v[99:100], v[101:102], v[97:98], v[99:100]
	v_add_f64 v[31:32], v[31:32], -v[99:100]
	ds_read2_b64 v[99:102], v125 offset0:100 offset1:101
	s_waitcnt lgkmcnt(0)
	v_mul_f64 v[103:104], v[101:102], v[109:110]
	v_fma_f64 v[103:104], v[99:100], v[97:98], -v[103:104]
	v_mul_f64 v[99:100], v[99:100], v[109:110]
	v_add_f64 v[25:26], v[25:26], -v[103:104]
	v_fma_f64 v[99:100], v[101:102], v[97:98], v[99:100]
	v_add_f64 v[27:28], v[27:28], -v[99:100]
	ds_read2_b64 v[99:102], v125 offset0:102 offset1:103
	s_waitcnt lgkmcnt(0)
	v_mul_f64 v[103:104], v[101:102], v[109:110]
	v_fma_f64 v[103:104], v[99:100], v[97:98], -v[103:104]
	v_mul_f64 v[99:100], v[99:100], v[109:110]
	v_add_f64 v[21:22], v[21:22], -v[103:104]
	v_fma_f64 v[99:100], v[101:102], v[97:98], v[99:100]
	v_add_f64 v[23:24], v[23:24], -v[99:100]
	ds_read2_b64 v[99:102], v125 offset0:104 offset1:105
	s_waitcnt lgkmcnt(0)
	v_mul_f64 v[103:104], v[101:102], v[109:110]
	v_fma_f64 v[103:104], v[99:100], v[97:98], -v[103:104]
	v_mul_f64 v[99:100], v[99:100], v[109:110]
	v_add_f64 v[17:18], v[17:18], -v[103:104]
	v_fma_f64 v[99:100], v[101:102], v[97:98], v[99:100]
	v_add_f64 v[19:20], v[19:20], -v[99:100]
	ds_read2_b64 v[99:102], v125 offset0:106 offset1:107
	s_waitcnt lgkmcnt(0)
	v_mul_f64 v[103:104], v[101:102], v[109:110]
	v_fma_f64 v[103:104], v[99:100], v[97:98], -v[103:104]
	v_mul_f64 v[99:100], v[99:100], v[109:110]
	v_add_f64 v[13:14], v[13:14], -v[103:104]
	v_fma_f64 v[99:100], v[101:102], v[97:98], v[99:100]
	v_add_f64 v[15:16], v[15:16], -v[99:100]
	ds_read2_b64 v[99:102], v125 offset0:108 offset1:109
	s_waitcnt lgkmcnt(0)
	v_mul_f64 v[103:104], v[101:102], v[109:110]
	v_fma_f64 v[103:104], v[99:100], v[97:98], -v[103:104]
	v_mul_f64 v[99:100], v[99:100], v[109:110]
	v_add_f64 v[9:10], v[9:10], -v[103:104]
	v_fma_f64 v[99:100], v[101:102], v[97:98], v[99:100]
	v_add_f64 v[11:12], v[11:12], -v[99:100]
	ds_read2_b64 v[99:102], v125 offset0:110 offset1:111
	s_waitcnt lgkmcnt(0)
	v_mul_f64 v[103:104], v[101:102], v[109:110]
	v_fma_f64 v[103:104], v[99:100], v[97:98], -v[103:104]
	v_mul_f64 v[99:100], v[99:100], v[109:110]
	v_add_f64 v[5:6], v[5:6], -v[103:104]
	v_fma_f64 v[99:100], v[101:102], v[97:98], v[99:100]
	v_add_f64 v[7:8], v[7:8], -v[99:100]
	ds_read2_b64 v[99:102], v125 offset0:112 offset1:113
	s_waitcnt lgkmcnt(0)
	v_mul_f64 v[103:104], v[101:102], v[109:110]
	v_fma_f64 v[103:104], v[99:100], v[97:98], -v[103:104]
	v_mul_f64 v[99:100], v[99:100], v[109:110]
	v_add_f64 v[1:2], v[1:2], -v[103:104]
	v_fma_f64 v[99:100], v[101:102], v[97:98], v[99:100]
	ds_read2_b64 v[101:104], v125 offset0:114 offset1:115
	v_add_f64 v[3:4], v[3:4], -v[99:100]
	s_waitcnt lgkmcnt(0)
	v_mul_f64 v[99:100], v[103:104], v[109:110]
	v_fma_f64 v[99:100], v[101:102], v[97:98], -v[99:100]
	v_mul_f64 v[101:102], v[101:102], v[109:110]
	buffer_store_dword v107, off, s[20:23], 0 offset:512 ; 4-byte Folded Spill
	s_nop 0
	buffer_store_dword v108, off, s[20:23], 0 offset:516 ; 4-byte Folded Spill
	buffer_store_dword v109, off, s[20:23], 0 offset:520 ; 4-byte Folded Spill
	;; [unrolled: 1-line block ×3, first 2 shown]
	v_add_f64 v[121:122], v[121:122], -v[99:100]
	v_fma_f64 v[101:102], v[103:104], v[97:98], v[101:102]
	v_add_f64 v[123:124], v[123:124], -v[101:102]
.LBB115_127:
	s_or_b64 exec, exec, s[2:3]
	v_cmp_eq_u32_e32 vcc, 14, v0
	s_waitcnt vmcnt(0)
	s_barrier
	s_and_saveexec_b64 s[4:5], vcc
	s_cbranch_execz .LBB115_134
; %bb.128:
	buffer_load_dword v95, off, s[20:23], 0 offset:496 ; 4-byte Folded Reload
	buffer_load_dword v96, off, s[20:23], 0 offset:500 ; 4-byte Folded Reload
	;; [unrolled: 1-line block ×4, first 2 shown]
	s_waitcnt vmcnt(0)
	ds_write2_b64 v127, v[95:96], v[97:98] offset1:1
	buffer_load_dword v95, off, s[20:23], 0 offset:480 ; 4-byte Folded Reload
	buffer_load_dword v96, off, s[20:23], 0 offset:484 ; 4-byte Folded Reload
	buffer_load_dword v97, off, s[20:23], 0 offset:488 ; 4-byte Folded Reload
	buffer_load_dword v98, off, s[20:23], 0 offset:492 ; 4-byte Folded Reload
	s_waitcnt vmcnt(0)
	ds_write2_b64 v125, v[95:96], v[97:98] offset0:30 offset1:31
	buffer_load_dword v95, off, s[20:23], 0 offset:464 ; 4-byte Folded Reload
	buffer_load_dword v96, off, s[20:23], 0 offset:468 ; 4-byte Folded Reload
	buffer_load_dword v97, off, s[20:23], 0 offset:472 ; 4-byte Folded Reload
	buffer_load_dword v98, off, s[20:23], 0 offset:476 ; 4-byte Folded Reload
	s_waitcnt vmcnt(0)
	ds_write2_b64 v125, v[95:96], v[97:98] offset0:32 offset1:33
	;; [unrolled: 6-line block ×20, first 2 shown]
	ds_write2_b64 v125, v[91:92], v[93:94] offset0:70 offset1:71
	buffer_load_dword v77, off, s[20:23], 0 offset:160 ; 4-byte Folded Reload
	buffer_load_dword v78, off, s[20:23], 0 offset:164 ; 4-byte Folded Reload
	buffer_load_dword v79, off, s[20:23], 0 offset:168 ; 4-byte Folded Reload
	buffer_load_dword v80, off, s[20:23], 0 offset:172 ; 4-byte Folded Reload
	s_waitcnt vmcnt(0)
	ds_write2_b64 v125, v[77:78], v[79:80] offset0:72 offset1:73
	buffer_load_dword v77, off, s[20:23], 0 offset:144 ; 4-byte Folded Reload
	buffer_load_dword v78, off, s[20:23], 0 offset:148 ; 4-byte Folded Reload
	buffer_load_dword v79, off, s[20:23], 0 offset:152 ; 4-byte Folded Reload
	buffer_load_dword v80, off, s[20:23], 0 offset:156 ; 4-byte Folded Reload
	s_waitcnt vmcnt(0)
	;; [unrolled: 6-line block ×10, first 2 shown]
	ds_write2_b64 v125, v[45:46], v[47:48] offset0:90 offset1:91
	buffer_load_dword v41, off, s[20:23], 0 ; 4-byte Folded Reload
	buffer_load_dword v42, off, s[20:23], 0 offset:4 ; 4-byte Folded Reload
	buffer_load_dword v43, off, s[20:23], 0 offset:8 ; 4-byte Folded Reload
	;; [unrolled: 1-line block ×3, first 2 shown]
	s_waitcnt vmcnt(0)
	ds_write2_b64 v125, v[41:42], v[43:44] offset0:92 offset1:93
	ds_write2_b64 v125, v[37:38], v[39:40] offset0:94 offset1:95
	;; [unrolled: 1-line block ×12, first 2 shown]
	ds_read2_b64 v[97:100], v127 offset1:1
	s_waitcnt lgkmcnt(0)
	v_cmp_neq_f64_e32 vcc, 0, v[97:98]
	v_cmp_neq_f64_e64 s[2:3], 0, v[99:100]
	s_or_b64 s[2:3], vcc, s[2:3]
	s_and_b64 exec, exec, s[2:3]
	s_cbranch_execz .LBB115_134
; %bb.129:
	v_cmp_ngt_f64_e64 s[2:3], |v[97:98]|, |v[99:100]|
                                        ; implicit-def: $vgpr101_vgpr102
	s_and_saveexec_b64 s[6:7], s[2:3]
	s_xor_b64 s[2:3], exec, s[6:7]
                                        ; implicit-def: $vgpr103_vgpr104
	s_cbranch_execz .LBB115_131
; %bb.130:
	v_div_scale_f64 v[101:102], s[6:7], v[99:100], v[99:100], v[97:98]
	v_rcp_f64_e32 v[103:104], v[101:102]
	v_fma_f64 v[105:106], -v[101:102], v[103:104], 1.0
	v_fma_f64 v[103:104], v[103:104], v[105:106], v[103:104]
	v_div_scale_f64 v[105:106], vcc, v[97:98], v[99:100], v[97:98]
	v_fma_f64 v[107:108], -v[101:102], v[103:104], 1.0
	v_fma_f64 v[103:104], v[103:104], v[107:108], v[103:104]
	v_mul_f64 v[107:108], v[105:106], v[103:104]
	v_fma_f64 v[101:102], -v[101:102], v[107:108], v[105:106]
	v_div_fmas_f64 v[101:102], v[101:102], v[103:104], v[107:108]
	v_div_fixup_f64 v[101:102], v[101:102], v[99:100], v[97:98]
	v_fma_f64 v[97:98], v[97:98], v[101:102], v[99:100]
	v_div_scale_f64 v[99:100], s[6:7], v[97:98], v[97:98], 1.0
	v_div_scale_f64 v[107:108], vcc, 1.0, v[97:98], 1.0
	v_rcp_f64_e32 v[103:104], v[99:100]
	v_fma_f64 v[105:106], -v[99:100], v[103:104], 1.0
	v_fma_f64 v[103:104], v[103:104], v[105:106], v[103:104]
	v_fma_f64 v[105:106], -v[99:100], v[103:104], 1.0
	v_fma_f64 v[103:104], v[103:104], v[105:106], v[103:104]
	v_mul_f64 v[105:106], v[107:108], v[103:104]
	v_fma_f64 v[99:100], -v[99:100], v[105:106], v[107:108]
	v_div_fmas_f64 v[99:100], v[99:100], v[103:104], v[105:106]
	v_div_fixup_f64 v[103:104], v[99:100], v[97:98], 1.0
                                        ; implicit-def: $vgpr97_vgpr98
	v_mul_f64 v[101:102], v[101:102], v[103:104]
	v_xor_b32_e32 v104, 0x80000000, v104
.LBB115_131:
	s_andn2_saveexec_b64 s[2:3], s[2:3]
	s_cbranch_execz .LBB115_133
; %bb.132:
	v_div_scale_f64 v[101:102], s[6:7], v[97:98], v[97:98], v[99:100]
	v_rcp_f64_e32 v[103:104], v[101:102]
	v_fma_f64 v[105:106], -v[101:102], v[103:104], 1.0
	v_fma_f64 v[103:104], v[103:104], v[105:106], v[103:104]
	v_div_scale_f64 v[105:106], vcc, v[99:100], v[97:98], v[99:100]
	v_fma_f64 v[107:108], -v[101:102], v[103:104], 1.0
	v_fma_f64 v[103:104], v[103:104], v[107:108], v[103:104]
	v_mul_f64 v[107:108], v[105:106], v[103:104]
	v_fma_f64 v[101:102], -v[101:102], v[107:108], v[105:106]
	v_div_fmas_f64 v[101:102], v[101:102], v[103:104], v[107:108]
	v_div_fixup_f64 v[103:104], v[101:102], v[97:98], v[99:100]
	v_fma_f64 v[97:98], v[99:100], v[103:104], v[97:98]
	v_div_scale_f64 v[99:100], s[6:7], v[97:98], v[97:98], 1.0
	v_div_scale_f64 v[107:108], vcc, 1.0, v[97:98], 1.0
	v_rcp_f64_e32 v[101:102], v[99:100]
	v_fma_f64 v[105:106], -v[99:100], v[101:102], 1.0
	v_fma_f64 v[101:102], v[101:102], v[105:106], v[101:102]
	v_fma_f64 v[105:106], -v[99:100], v[101:102], 1.0
	v_fma_f64 v[101:102], v[101:102], v[105:106], v[101:102]
	v_mul_f64 v[105:106], v[107:108], v[101:102]
	v_fma_f64 v[99:100], -v[99:100], v[105:106], v[107:108]
	v_div_fmas_f64 v[99:100], v[99:100], v[101:102], v[105:106]
	v_div_fixup_f64 v[101:102], v[99:100], v[97:98], 1.0
	v_mul_f64 v[103:104], v[103:104], -v[101:102]
.LBB115_133:
	s_or_b64 exec, exec, s[2:3]
	ds_write2_b64 v127, v[101:102], v[103:104] offset1:1
.LBB115_134:
	s_or_b64 exec, exec, s[4:5]
	s_waitcnt lgkmcnt(0)
	s_barrier
	ds_read2_b64 v[87:90], v127 offset1:1
	v_cmp_lt_u32_e32 vcc, 14, v0
	s_waitcnt lgkmcnt(0)
	buffer_store_dword v87, off, s[20:23], 0 offset:1416 ; 4-byte Folded Spill
	s_nop 0
	buffer_store_dword v88, off, s[20:23], 0 offset:1420 ; 4-byte Folded Spill
	buffer_store_dword v89, off, s[20:23], 0 offset:1424 ; 4-byte Folded Spill
	;; [unrolled: 1-line block ×3, first 2 shown]
	s_and_saveexec_b64 s[2:3], vcc
	s_cbranch_execz .LBB115_136
; %bb.135:
	buffer_load_dword v107, off, s[20:23], 0 offset:496 ; 4-byte Folded Reload
	buffer_load_dword v108, off, s[20:23], 0 offset:500 ; 4-byte Folded Reload
	;; [unrolled: 1-line block ×8, first 2 shown]
	s_waitcnt vmcnt(2)
	v_mul_f64 v[99:100], v[87:88], v[109:110]
	s_waitcnt vmcnt(0)
	v_mul_f64 v[97:98], v[89:90], v[109:110]
	v_fma_f64 v[109:110], v[89:90], v[107:108], v[99:100]
	ds_read2_b64 v[99:102], v125 offset0:30 offset1:31
	v_fma_f64 v[97:98], v[87:88], v[107:108], -v[97:98]
	buffer_load_dword v105, off, s[20:23], 0 offset:480 ; 4-byte Folded Reload
	buffer_load_dword v106, off, s[20:23], 0 offset:484 ; 4-byte Folded Reload
	buffer_load_dword v107, off, s[20:23], 0 offset:488 ; 4-byte Folded Reload
	buffer_load_dword v108, off, s[20:23], 0 offset:492 ; 4-byte Folded Reload
	s_waitcnt lgkmcnt(0)
	v_mul_f64 v[103:104], v[101:102], v[109:110]
	v_fma_f64 v[103:104], v[99:100], v[97:98], -v[103:104]
	v_mul_f64 v[99:100], v[99:100], v[109:110]
	v_fma_f64 v[99:100], v[101:102], v[97:98], v[99:100]
	s_waitcnt vmcnt(2)
	v_add_f64 v[105:106], v[105:106], -v[103:104]
	s_waitcnt vmcnt(0)
	v_add_f64 v[107:108], v[107:108], -v[99:100]
	buffer_store_dword v105, off, s[20:23], 0 offset:480 ; 4-byte Folded Spill
	s_nop 0
	buffer_store_dword v106, off, s[20:23], 0 offset:484 ; 4-byte Folded Spill
	buffer_store_dword v107, off, s[20:23], 0 offset:488 ; 4-byte Folded Spill
	buffer_store_dword v108, off, s[20:23], 0 offset:492 ; 4-byte Folded Spill
	ds_read2_b64 v[99:102], v125 offset0:32 offset1:33
	buffer_load_dword v105, off, s[20:23], 0 offset:464 ; 4-byte Folded Reload
	buffer_load_dword v106, off, s[20:23], 0 offset:468 ; 4-byte Folded Reload
	buffer_load_dword v107, off, s[20:23], 0 offset:472 ; 4-byte Folded Reload
	buffer_load_dword v108, off, s[20:23], 0 offset:476 ; 4-byte Folded Reload
	s_waitcnt lgkmcnt(0)
	v_mul_f64 v[103:104], v[101:102], v[109:110]
	v_fma_f64 v[103:104], v[99:100], v[97:98], -v[103:104]
	v_mul_f64 v[99:100], v[99:100], v[109:110]
	v_fma_f64 v[99:100], v[101:102], v[97:98], v[99:100]
	s_waitcnt vmcnt(2)
	v_add_f64 v[105:106], v[105:106], -v[103:104]
	s_waitcnt vmcnt(0)
	v_add_f64 v[107:108], v[107:108], -v[99:100]
	buffer_store_dword v105, off, s[20:23], 0 offset:464 ; 4-byte Folded Spill
	s_nop 0
	buffer_store_dword v106, off, s[20:23], 0 offset:468 ; 4-byte Folded Spill
	buffer_store_dword v107, off, s[20:23], 0 offset:472 ; 4-byte Folded Spill
	buffer_store_dword v108, off, s[20:23], 0 offset:476 ; 4-byte Folded Spill
	ds_read2_b64 v[99:102], v125 offset0:34 offset1:35
	;; [unrolled: 19-line block ×20, first 2 shown]
	v_mov_b32_e32 v108, v98
	v_mov_b32_e32 v107, v97
	s_waitcnt lgkmcnt(0)
	v_mul_f64 v[103:104], v[101:102], v[109:110]
	v_fma_f64 v[103:104], v[99:100], v[97:98], -v[103:104]
	v_mul_f64 v[99:100], v[99:100], v[109:110]
	v_add_f64 v[91:92], v[91:92], -v[103:104]
	v_fma_f64 v[99:100], v[101:102], v[97:98], v[99:100]
	v_add_f64 v[93:94], v[93:94], -v[99:100]
	ds_read2_b64 v[99:102], v125 offset0:72 offset1:73
	buffer_load_dword v77, off, s[20:23], 0 offset:160 ; 4-byte Folded Reload
	buffer_load_dword v78, off, s[20:23], 0 offset:164 ; 4-byte Folded Reload
	buffer_load_dword v79, off, s[20:23], 0 offset:168 ; 4-byte Folded Reload
	buffer_load_dword v80, off, s[20:23], 0 offset:172 ; 4-byte Folded Reload
	s_waitcnt lgkmcnt(0)
	v_mul_f64 v[103:104], v[101:102], v[109:110]
	v_fma_f64 v[103:104], v[99:100], v[97:98], -v[103:104]
	v_mul_f64 v[99:100], v[99:100], v[109:110]
	v_fma_f64 v[99:100], v[101:102], v[97:98], v[99:100]
	s_waitcnt vmcnt(2)
	v_add_f64 v[77:78], v[77:78], -v[103:104]
	s_waitcnt vmcnt(0)
	v_add_f64 v[79:80], v[79:80], -v[99:100]
	buffer_store_dword v77, off, s[20:23], 0 offset:160 ; 4-byte Folded Spill
	s_nop 0
	buffer_store_dword v78, off, s[20:23], 0 offset:164 ; 4-byte Folded Spill
	buffer_store_dword v79, off, s[20:23], 0 offset:168 ; 4-byte Folded Spill
	buffer_store_dword v80, off, s[20:23], 0 offset:172 ; 4-byte Folded Spill
	ds_read2_b64 v[99:102], v125 offset0:74 offset1:75
	buffer_load_dword v77, off, s[20:23], 0 offset:144 ; 4-byte Folded Reload
	buffer_load_dword v78, off, s[20:23], 0 offset:148 ; 4-byte Folded Reload
	buffer_load_dword v79, off, s[20:23], 0 offset:152 ; 4-byte Folded Reload
	buffer_load_dword v80, off, s[20:23], 0 offset:156 ; 4-byte Folded Reload
	s_waitcnt lgkmcnt(0)
	v_mul_f64 v[103:104], v[101:102], v[109:110]
	v_fma_f64 v[103:104], v[99:100], v[97:98], -v[103:104]
	v_mul_f64 v[99:100], v[99:100], v[109:110]
	v_fma_f64 v[99:100], v[101:102], v[97:98], v[99:100]
	s_waitcnt vmcnt(2)
	v_add_f64 v[77:78], v[77:78], -v[103:104]
	s_waitcnt vmcnt(0)
	v_add_f64 v[79:80], v[79:80], -v[99:100]
	buffer_store_dword v77, off, s[20:23], 0 offset:144 ; 4-byte Folded Spill
	s_nop 0
	buffer_store_dword v78, off, s[20:23], 0 offset:148 ; 4-byte Folded Spill
	buffer_store_dword v79, off, s[20:23], 0 offset:152 ; 4-byte Folded Spill
	buffer_store_dword v80, off, s[20:23], 0 offset:156 ; 4-byte Folded Spill
	;; [unrolled: 19-line block ×10, first 2 shown]
	ds_read2_b64 v[99:102], v125 offset0:92 offset1:93
	buffer_load_dword v41, off, s[20:23], 0 ; 4-byte Folded Reload
	buffer_load_dword v42, off, s[20:23], 0 offset:4 ; 4-byte Folded Reload
	buffer_load_dword v43, off, s[20:23], 0 offset:8 ; 4-byte Folded Reload
	buffer_load_dword v44, off, s[20:23], 0 offset:12 ; 4-byte Folded Reload
	s_waitcnt lgkmcnt(0)
	v_mul_f64 v[103:104], v[101:102], v[109:110]
	v_fma_f64 v[103:104], v[99:100], v[97:98], -v[103:104]
	v_mul_f64 v[99:100], v[99:100], v[109:110]
	v_fma_f64 v[99:100], v[101:102], v[97:98], v[99:100]
	s_waitcnt vmcnt(2)
	v_add_f64 v[41:42], v[41:42], -v[103:104]
	s_waitcnt vmcnt(0)
	v_add_f64 v[43:44], v[43:44], -v[99:100]
	buffer_store_dword v41, off, s[20:23], 0 ; 4-byte Folded Spill
	s_nop 0
	buffer_store_dword v42, off, s[20:23], 0 offset:4 ; 4-byte Folded Spill
	buffer_store_dword v43, off, s[20:23], 0 offset:8 ; 4-byte Folded Spill
	;; [unrolled: 1-line block ×3, first 2 shown]
	ds_read2_b64 v[99:102], v125 offset0:94 offset1:95
	s_waitcnt lgkmcnt(0)
	v_mul_f64 v[103:104], v[101:102], v[109:110]
	v_fma_f64 v[103:104], v[99:100], v[97:98], -v[103:104]
	v_mul_f64 v[99:100], v[99:100], v[109:110]
	v_add_f64 v[37:38], v[37:38], -v[103:104]
	v_fma_f64 v[99:100], v[101:102], v[97:98], v[99:100]
	v_add_f64 v[39:40], v[39:40], -v[99:100]
	ds_read2_b64 v[99:102], v125 offset0:96 offset1:97
	s_waitcnt lgkmcnt(0)
	v_mul_f64 v[103:104], v[101:102], v[109:110]
	v_fma_f64 v[103:104], v[99:100], v[97:98], -v[103:104]
	v_mul_f64 v[99:100], v[99:100], v[109:110]
	v_add_f64 v[33:34], v[33:34], -v[103:104]
	v_fma_f64 v[99:100], v[101:102], v[97:98], v[99:100]
	v_add_f64 v[35:36], v[35:36], -v[99:100]
	;; [unrolled: 8-line block ×9, first 2 shown]
	ds_read2_b64 v[99:102], v125 offset0:112 offset1:113
	s_waitcnt lgkmcnt(0)
	v_mul_f64 v[103:104], v[101:102], v[109:110]
	v_fma_f64 v[103:104], v[99:100], v[97:98], -v[103:104]
	v_mul_f64 v[99:100], v[99:100], v[109:110]
	v_add_f64 v[1:2], v[1:2], -v[103:104]
	v_fma_f64 v[99:100], v[101:102], v[97:98], v[99:100]
	ds_read2_b64 v[101:104], v125 offset0:114 offset1:115
	v_add_f64 v[3:4], v[3:4], -v[99:100]
	s_waitcnt lgkmcnt(0)
	v_mul_f64 v[99:100], v[103:104], v[109:110]
	v_fma_f64 v[99:100], v[101:102], v[97:98], -v[99:100]
	v_mul_f64 v[101:102], v[101:102], v[109:110]
	buffer_store_dword v107, off, s[20:23], 0 offset:496 ; 4-byte Folded Spill
	s_nop 0
	buffer_store_dword v108, off, s[20:23], 0 offset:500 ; 4-byte Folded Spill
	buffer_store_dword v109, off, s[20:23], 0 offset:504 ; 4-byte Folded Spill
	buffer_store_dword v110, off, s[20:23], 0 offset:508 ; 4-byte Folded Spill
	v_add_f64 v[121:122], v[121:122], -v[99:100]
	v_fma_f64 v[101:102], v[103:104], v[97:98], v[101:102]
	v_add_f64 v[123:124], v[123:124], -v[101:102]
.LBB115_136:
	s_or_b64 exec, exec, s[2:3]
	v_cmp_eq_u32_e32 vcc, 15, v0
	s_waitcnt vmcnt(0)
	s_barrier
	s_and_saveexec_b64 s[4:5], vcc
	s_cbranch_execz .LBB115_143
; %bb.137:
	buffer_load_dword v95, off, s[20:23], 0 offset:480 ; 4-byte Folded Reload
	buffer_load_dword v96, off, s[20:23], 0 offset:484 ; 4-byte Folded Reload
	buffer_load_dword v97, off, s[20:23], 0 offset:488 ; 4-byte Folded Reload
	buffer_load_dword v98, off, s[20:23], 0 offset:492 ; 4-byte Folded Reload
	s_waitcnt vmcnt(0)
	ds_write2_b64 v127, v[95:96], v[97:98] offset1:1
	buffer_load_dword v95, off, s[20:23], 0 offset:464 ; 4-byte Folded Reload
	buffer_load_dword v96, off, s[20:23], 0 offset:468 ; 4-byte Folded Reload
	buffer_load_dword v97, off, s[20:23], 0 offset:472 ; 4-byte Folded Reload
	buffer_load_dword v98, off, s[20:23], 0 offset:476 ; 4-byte Folded Reload
	s_waitcnt vmcnt(0)
	ds_write2_b64 v125, v[95:96], v[97:98] offset0:32 offset1:33
	buffer_load_dword v95, off, s[20:23], 0 offset:448 ; 4-byte Folded Reload
	buffer_load_dword v96, off, s[20:23], 0 offset:452 ; 4-byte Folded Reload
	buffer_load_dword v97, off, s[20:23], 0 offset:456 ; 4-byte Folded Reload
	buffer_load_dword v98, off, s[20:23], 0 offset:460 ; 4-byte Folded Reload
	s_waitcnt vmcnt(0)
	ds_write2_b64 v125, v[95:96], v[97:98] offset0:34 offset1:35
	;; [unrolled: 6-line block ×19, first 2 shown]
	ds_write2_b64 v125, v[91:92], v[93:94] offset0:70 offset1:71
	buffer_load_dword v77, off, s[20:23], 0 offset:160 ; 4-byte Folded Reload
	buffer_load_dword v78, off, s[20:23], 0 offset:164 ; 4-byte Folded Reload
	buffer_load_dword v79, off, s[20:23], 0 offset:168 ; 4-byte Folded Reload
	buffer_load_dword v80, off, s[20:23], 0 offset:172 ; 4-byte Folded Reload
	s_waitcnt vmcnt(0)
	ds_write2_b64 v125, v[77:78], v[79:80] offset0:72 offset1:73
	buffer_load_dword v77, off, s[20:23], 0 offset:144 ; 4-byte Folded Reload
	buffer_load_dword v78, off, s[20:23], 0 offset:148 ; 4-byte Folded Reload
	buffer_load_dword v79, off, s[20:23], 0 offset:152 ; 4-byte Folded Reload
	buffer_load_dword v80, off, s[20:23], 0 offset:156 ; 4-byte Folded Reload
	s_waitcnt vmcnt(0)
	;; [unrolled: 6-line block ×10, first 2 shown]
	ds_write2_b64 v125, v[45:46], v[47:48] offset0:90 offset1:91
	buffer_load_dword v41, off, s[20:23], 0 ; 4-byte Folded Reload
	buffer_load_dword v42, off, s[20:23], 0 offset:4 ; 4-byte Folded Reload
	buffer_load_dword v43, off, s[20:23], 0 offset:8 ; 4-byte Folded Reload
	;; [unrolled: 1-line block ×3, first 2 shown]
	s_waitcnt vmcnt(0)
	ds_write2_b64 v125, v[41:42], v[43:44] offset0:92 offset1:93
	ds_write2_b64 v125, v[37:38], v[39:40] offset0:94 offset1:95
	;; [unrolled: 1-line block ×12, first 2 shown]
	ds_read2_b64 v[97:100], v127 offset1:1
	s_waitcnt lgkmcnt(0)
	v_cmp_neq_f64_e32 vcc, 0, v[97:98]
	v_cmp_neq_f64_e64 s[2:3], 0, v[99:100]
	s_or_b64 s[2:3], vcc, s[2:3]
	s_and_b64 exec, exec, s[2:3]
	s_cbranch_execz .LBB115_143
; %bb.138:
	v_cmp_ngt_f64_e64 s[2:3], |v[97:98]|, |v[99:100]|
                                        ; implicit-def: $vgpr101_vgpr102
	s_and_saveexec_b64 s[6:7], s[2:3]
	s_xor_b64 s[2:3], exec, s[6:7]
                                        ; implicit-def: $vgpr103_vgpr104
	s_cbranch_execz .LBB115_140
; %bb.139:
	v_div_scale_f64 v[101:102], s[6:7], v[99:100], v[99:100], v[97:98]
	v_rcp_f64_e32 v[103:104], v[101:102]
	v_fma_f64 v[105:106], -v[101:102], v[103:104], 1.0
	v_fma_f64 v[103:104], v[103:104], v[105:106], v[103:104]
	v_div_scale_f64 v[105:106], vcc, v[97:98], v[99:100], v[97:98]
	v_fma_f64 v[107:108], -v[101:102], v[103:104], 1.0
	v_fma_f64 v[103:104], v[103:104], v[107:108], v[103:104]
	v_mul_f64 v[107:108], v[105:106], v[103:104]
	v_fma_f64 v[101:102], -v[101:102], v[107:108], v[105:106]
	v_div_fmas_f64 v[101:102], v[101:102], v[103:104], v[107:108]
	v_div_fixup_f64 v[101:102], v[101:102], v[99:100], v[97:98]
	v_fma_f64 v[97:98], v[97:98], v[101:102], v[99:100]
	v_div_scale_f64 v[99:100], s[6:7], v[97:98], v[97:98], 1.0
	v_div_scale_f64 v[107:108], vcc, 1.0, v[97:98], 1.0
	v_rcp_f64_e32 v[103:104], v[99:100]
	v_fma_f64 v[105:106], -v[99:100], v[103:104], 1.0
	v_fma_f64 v[103:104], v[103:104], v[105:106], v[103:104]
	v_fma_f64 v[105:106], -v[99:100], v[103:104], 1.0
	v_fma_f64 v[103:104], v[103:104], v[105:106], v[103:104]
	v_mul_f64 v[105:106], v[107:108], v[103:104]
	v_fma_f64 v[99:100], -v[99:100], v[105:106], v[107:108]
	v_div_fmas_f64 v[99:100], v[99:100], v[103:104], v[105:106]
	v_div_fixup_f64 v[103:104], v[99:100], v[97:98], 1.0
                                        ; implicit-def: $vgpr97_vgpr98
	v_mul_f64 v[101:102], v[101:102], v[103:104]
	v_xor_b32_e32 v104, 0x80000000, v104
.LBB115_140:
	s_andn2_saveexec_b64 s[2:3], s[2:3]
	s_cbranch_execz .LBB115_142
; %bb.141:
	v_div_scale_f64 v[101:102], s[6:7], v[97:98], v[97:98], v[99:100]
	v_rcp_f64_e32 v[103:104], v[101:102]
	v_fma_f64 v[105:106], -v[101:102], v[103:104], 1.0
	v_fma_f64 v[103:104], v[103:104], v[105:106], v[103:104]
	v_div_scale_f64 v[105:106], vcc, v[99:100], v[97:98], v[99:100]
	v_fma_f64 v[107:108], -v[101:102], v[103:104], 1.0
	v_fma_f64 v[103:104], v[103:104], v[107:108], v[103:104]
	v_mul_f64 v[107:108], v[105:106], v[103:104]
	v_fma_f64 v[101:102], -v[101:102], v[107:108], v[105:106]
	v_div_fmas_f64 v[101:102], v[101:102], v[103:104], v[107:108]
	v_div_fixup_f64 v[103:104], v[101:102], v[97:98], v[99:100]
	v_fma_f64 v[97:98], v[99:100], v[103:104], v[97:98]
	v_div_scale_f64 v[99:100], s[6:7], v[97:98], v[97:98], 1.0
	v_div_scale_f64 v[107:108], vcc, 1.0, v[97:98], 1.0
	v_rcp_f64_e32 v[101:102], v[99:100]
	v_fma_f64 v[105:106], -v[99:100], v[101:102], 1.0
	v_fma_f64 v[101:102], v[101:102], v[105:106], v[101:102]
	v_fma_f64 v[105:106], -v[99:100], v[101:102], 1.0
	v_fma_f64 v[101:102], v[101:102], v[105:106], v[101:102]
	v_mul_f64 v[105:106], v[107:108], v[101:102]
	v_fma_f64 v[99:100], -v[99:100], v[105:106], v[107:108]
	v_div_fmas_f64 v[99:100], v[99:100], v[101:102], v[105:106]
	v_div_fixup_f64 v[101:102], v[99:100], v[97:98], 1.0
	v_mul_f64 v[103:104], v[103:104], -v[101:102]
.LBB115_142:
	s_or_b64 exec, exec, s[2:3]
	ds_write2_b64 v127, v[101:102], v[103:104] offset1:1
.LBB115_143:
	s_or_b64 exec, exec, s[4:5]
	s_waitcnt lgkmcnt(0)
	s_barrier
	ds_read2_b64 v[87:90], v127 offset1:1
	v_cmp_lt_u32_e32 vcc, 15, v0
	s_waitcnt lgkmcnt(0)
	buffer_store_dword v87, off, s[20:23], 0 offset:1432 ; 4-byte Folded Spill
	s_nop 0
	buffer_store_dword v88, off, s[20:23], 0 offset:1436 ; 4-byte Folded Spill
	buffer_store_dword v89, off, s[20:23], 0 offset:1440 ; 4-byte Folded Spill
	;; [unrolled: 1-line block ×3, first 2 shown]
	s_and_saveexec_b64 s[2:3], vcc
	s_cbranch_execz .LBB115_145
; %bb.144:
	buffer_load_dword v107, off, s[20:23], 0 offset:480 ; 4-byte Folded Reload
	buffer_load_dword v108, off, s[20:23], 0 offset:484 ; 4-byte Folded Reload
	;; [unrolled: 1-line block ×8, first 2 shown]
	s_waitcnt vmcnt(2)
	v_mul_f64 v[99:100], v[87:88], v[109:110]
	s_waitcnt vmcnt(0)
	v_mul_f64 v[97:98], v[89:90], v[109:110]
	v_fma_f64 v[109:110], v[89:90], v[107:108], v[99:100]
	ds_read2_b64 v[99:102], v125 offset0:32 offset1:33
	v_fma_f64 v[97:98], v[87:88], v[107:108], -v[97:98]
	buffer_load_dword v105, off, s[20:23], 0 offset:464 ; 4-byte Folded Reload
	buffer_load_dword v106, off, s[20:23], 0 offset:468 ; 4-byte Folded Reload
	buffer_load_dword v107, off, s[20:23], 0 offset:472 ; 4-byte Folded Reload
	buffer_load_dword v108, off, s[20:23], 0 offset:476 ; 4-byte Folded Reload
	s_waitcnt lgkmcnt(0)
	v_mul_f64 v[103:104], v[101:102], v[109:110]
	v_fma_f64 v[103:104], v[99:100], v[97:98], -v[103:104]
	v_mul_f64 v[99:100], v[99:100], v[109:110]
	v_fma_f64 v[99:100], v[101:102], v[97:98], v[99:100]
	s_waitcnt vmcnt(2)
	v_add_f64 v[105:106], v[105:106], -v[103:104]
	s_waitcnt vmcnt(0)
	v_add_f64 v[107:108], v[107:108], -v[99:100]
	buffer_store_dword v105, off, s[20:23], 0 offset:464 ; 4-byte Folded Spill
	s_nop 0
	buffer_store_dword v106, off, s[20:23], 0 offset:468 ; 4-byte Folded Spill
	buffer_store_dword v107, off, s[20:23], 0 offset:472 ; 4-byte Folded Spill
	buffer_store_dword v108, off, s[20:23], 0 offset:476 ; 4-byte Folded Spill
	ds_read2_b64 v[99:102], v125 offset0:34 offset1:35
	buffer_load_dword v105, off, s[20:23], 0 offset:448 ; 4-byte Folded Reload
	buffer_load_dword v106, off, s[20:23], 0 offset:452 ; 4-byte Folded Reload
	buffer_load_dword v107, off, s[20:23], 0 offset:456 ; 4-byte Folded Reload
	buffer_load_dword v108, off, s[20:23], 0 offset:460 ; 4-byte Folded Reload
	s_waitcnt lgkmcnt(0)
	v_mul_f64 v[103:104], v[101:102], v[109:110]
	v_fma_f64 v[103:104], v[99:100], v[97:98], -v[103:104]
	v_mul_f64 v[99:100], v[99:100], v[109:110]
	v_fma_f64 v[99:100], v[101:102], v[97:98], v[99:100]
	s_waitcnt vmcnt(2)
	v_add_f64 v[105:106], v[105:106], -v[103:104]
	s_waitcnt vmcnt(0)
	v_add_f64 v[107:108], v[107:108], -v[99:100]
	buffer_store_dword v105, off, s[20:23], 0 offset:448 ; 4-byte Folded Spill
	s_nop 0
	buffer_store_dword v106, off, s[20:23], 0 offset:452 ; 4-byte Folded Spill
	buffer_store_dword v107, off, s[20:23], 0 offset:456 ; 4-byte Folded Spill
	buffer_store_dword v108, off, s[20:23], 0 offset:460 ; 4-byte Folded Spill
	ds_read2_b64 v[99:102], v125 offset0:36 offset1:37
	;; [unrolled: 19-line block ×19, first 2 shown]
	v_mov_b32_e32 v108, v98
	v_mov_b32_e32 v107, v97
	s_waitcnt lgkmcnt(0)
	v_mul_f64 v[103:104], v[101:102], v[109:110]
	v_fma_f64 v[103:104], v[99:100], v[97:98], -v[103:104]
	v_mul_f64 v[99:100], v[99:100], v[109:110]
	v_add_f64 v[91:92], v[91:92], -v[103:104]
	v_fma_f64 v[99:100], v[101:102], v[97:98], v[99:100]
	v_add_f64 v[93:94], v[93:94], -v[99:100]
	ds_read2_b64 v[99:102], v125 offset0:72 offset1:73
	buffer_load_dword v77, off, s[20:23], 0 offset:160 ; 4-byte Folded Reload
	buffer_load_dword v78, off, s[20:23], 0 offset:164 ; 4-byte Folded Reload
	buffer_load_dword v79, off, s[20:23], 0 offset:168 ; 4-byte Folded Reload
	buffer_load_dword v80, off, s[20:23], 0 offset:172 ; 4-byte Folded Reload
	s_waitcnt lgkmcnt(0)
	v_mul_f64 v[103:104], v[101:102], v[109:110]
	v_fma_f64 v[103:104], v[99:100], v[97:98], -v[103:104]
	v_mul_f64 v[99:100], v[99:100], v[109:110]
	v_fma_f64 v[99:100], v[101:102], v[97:98], v[99:100]
	s_waitcnt vmcnt(2)
	v_add_f64 v[77:78], v[77:78], -v[103:104]
	s_waitcnt vmcnt(0)
	v_add_f64 v[79:80], v[79:80], -v[99:100]
	buffer_store_dword v77, off, s[20:23], 0 offset:160 ; 4-byte Folded Spill
	s_nop 0
	buffer_store_dword v78, off, s[20:23], 0 offset:164 ; 4-byte Folded Spill
	buffer_store_dword v79, off, s[20:23], 0 offset:168 ; 4-byte Folded Spill
	buffer_store_dword v80, off, s[20:23], 0 offset:172 ; 4-byte Folded Spill
	ds_read2_b64 v[99:102], v125 offset0:74 offset1:75
	buffer_load_dword v77, off, s[20:23], 0 offset:144 ; 4-byte Folded Reload
	buffer_load_dword v78, off, s[20:23], 0 offset:148 ; 4-byte Folded Reload
	buffer_load_dword v79, off, s[20:23], 0 offset:152 ; 4-byte Folded Reload
	buffer_load_dword v80, off, s[20:23], 0 offset:156 ; 4-byte Folded Reload
	s_waitcnt lgkmcnt(0)
	v_mul_f64 v[103:104], v[101:102], v[109:110]
	v_fma_f64 v[103:104], v[99:100], v[97:98], -v[103:104]
	v_mul_f64 v[99:100], v[99:100], v[109:110]
	v_fma_f64 v[99:100], v[101:102], v[97:98], v[99:100]
	s_waitcnt vmcnt(2)
	v_add_f64 v[77:78], v[77:78], -v[103:104]
	s_waitcnt vmcnt(0)
	v_add_f64 v[79:80], v[79:80], -v[99:100]
	buffer_store_dword v77, off, s[20:23], 0 offset:144 ; 4-byte Folded Spill
	s_nop 0
	buffer_store_dword v78, off, s[20:23], 0 offset:148 ; 4-byte Folded Spill
	buffer_store_dword v79, off, s[20:23], 0 offset:152 ; 4-byte Folded Spill
	buffer_store_dword v80, off, s[20:23], 0 offset:156 ; 4-byte Folded Spill
	;; [unrolled: 19-line block ×10, first 2 shown]
	ds_read2_b64 v[99:102], v125 offset0:92 offset1:93
	buffer_load_dword v41, off, s[20:23], 0 ; 4-byte Folded Reload
	buffer_load_dword v42, off, s[20:23], 0 offset:4 ; 4-byte Folded Reload
	buffer_load_dword v43, off, s[20:23], 0 offset:8 ; 4-byte Folded Reload
	;; [unrolled: 1-line block ×3, first 2 shown]
	s_waitcnt lgkmcnt(0)
	v_mul_f64 v[103:104], v[101:102], v[109:110]
	v_fma_f64 v[103:104], v[99:100], v[97:98], -v[103:104]
	v_mul_f64 v[99:100], v[99:100], v[109:110]
	v_fma_f64 v[99:100], v[101:102], v[97:98], v[99:100]
	s_waitcnt vmcnt(2)
	v_add_f64 v[41:42], v[41:42], -v[103:104]
	s_waitcnt vmcnt(0)
	v_add_f64 v[43:44], v[43:44], -v[99:100]
	buffer_store_dword v41, off, s[20:23], 0 ; 4-byte Folded Spill
	s_nop 0
	buffer_store_dword v42, off, s[20:23], 0 offset:4 ; 4-byte Folded Spill
	buffer_store_dword v43, off, s[20:23], 0 offset:8 ; 4-byte Folded Spill
	;; [unrolled: 1-line block ×3, first 2 shown]
	ds_read2_b64 v[99:102], v125 offset0:94 offset1:95
	s_waitcnt lgkmcnt(0)
	v_mul_f64 v[103:104], v[101:102], v[109:110]
	v_fma_f64 v[103:104], v[99:100], v[97:98], -v[103:104]
	v_mul_f64 v[99:100], v[99:100], v[109:110]
	v_add_f64 v[37:38], v[37:38], -v[103:104]
	v_fma_f64 v[99:100], v[101:102], v[97:98], v[99:100]
	v_add_f64 v[39:40], v[39:40], -v[99:100]
	ds_read2_b64 v[99:102], v125 offset0:96 offset1:97
	s_waitcnt lgkmcnt(0)
	v_mul_f64 v[103:104], v[101:102], v[109:110]
	v_fma_f64 v[103:104], v[99:100], v[97:98], -v[103:104]
	v_mul_f64 v[99:100], v[99:100], v[109:110]
	v_add_f64 v[33:34], v[33:34], -v[103:104]
	v_fma_f64 v[99:100], v[101:102], v[97:98], v[99:100]
	v_add_f64 v[35:36], v[35:36], -v[99:100]
	;; [unrolled: 8-line block ×10, first 2 shown]
	ds_read2_b64 v[99:102], v125 offset0:114 offset1:115
	s_waitcnt lgkmcnt(0)
	v_mul_f64 v[103:104], v[101:102], v[109:110]
	v_fma_f64 v[103:104], v[99:100], v[97:98], -v[103:104]
	v_mul_f64 v[99:100], v[99:100], v[109:110]
	buffer_store_dword v107, off, s[20:23], 0 offset:480 ; 4-byte Folded Spill
	s_nop 0
	buffer_store_dword v108, off, s[20:23], 0 offset:484 ; 4-byte Folded Spill
	buffer_store_dword v109, off, s[20:23], 0 offset:488 ; 4-byte Folded Spill
	;; [unrolled: 1-line block ×3, first 2 shown]
	v_add_f64 v[121:122], v[121:122], -v[103:104]
	v_fma_f64 v[99:100], v[101:102], v[97:98], v[99:100]
	v_add_f64 v[123:124], v[123:124], -v[99:100]
.LBB115_145:
	s_or_b64 exec, exec, s[2:3]
	v_cmp_eq_u32_e32 vcc, 16, v0
	s_waitcnt vmcnt(0)
	s_barrier
	s_and_saveexec_b64 s[4:5], vcc
	s_cbranch_execz .LBB115_152
; %bb.146:
	buffer_load_dword v95, off, s[20:23], 0 offset:464 ; 4-byte Folded Reload
	buffer_load_dword v96, off, s[20:23], 0 offset:468 ; 4-byte Folded Reload
	;; [unrolled: 1-line block ×4, first 2 shown]
	s_waitcnt vmcnt(0)
	ds_write2_b64 v127, v[95:96], v[97:98] offset1:1
	buffer_load_dword v95, off, s[20:23], 0 offset:448 ; 4-byte Folded Reload
	buffer_load_dword v96, off, s[20:23], 0 offset:452 ; 4-byte Folded Reload
	buffer_load_dword v97, off, s[20:23], 0 offset:456 ; 4-byte Folded Reload
	buffer_load_dword v98, off, s[20:23], 0 offset:460 ; 4-byte Folded Reload
	s_waitcnt vmcnt(0)
	ds_write2_b64 v125, v[95:96], v[97:98] offset0:34 offset1:35
	buffer_load_dword v95, off, s[20:23], 0 offset:432 ; 4-byte Folded Reload
	buffer_load_dword v96, off, s[20:23], 0 offset:436 ; 4-byte Folded Reload
	buffer_load_dword v97, off, s[20:23], 0 offset:440 ; 4-byte Folded Reload
	buffer_load_dword v98, off, s[20:23], 0 offset:444 ; 4-byte Folded Reload
	s_waitcnt vmcnt(0)
	ds_write2_b64 v125, v[95:96], v[97:98] offset0:36 offset1:37
	;; [unrolled: 6-line block ×18, first 2 shown]
	ds_write2_b64 v125, v[91:92], v[93:94] offset0:70 offset1:71
	buffer_load_dword v77, off, s[20:23], 0 offset:160 ; 4-byte Folded Reload
	buffer_load_dword v78, off, s[20:23], 0 offset:164 ; 4-byte Folded Reload
	buffer_load_dword v79, off, s[20:23], 0 offset:168 ; 4-byte Folded Reload
	buffer_load_dword v80, off, s[20:23], 0 offset:172 ; 4-byte Folded Reload
	s_waitcnt vmcnt(0)
	ds_write2_b64 v125, v[77:78], v[79:80] offset0:72 offset1:73
	buffer_load_dword v77, off, s[20:23], 0 offset:144 ; 4-byte Folded Reload
	buffer_load_dword v78, off, s[20:23], 0 offset:148 ; 4-byte Folded Reload
	buffer_load_dword v79, off, s[20:23], 0 offset:152 ; 4-byte Folded Reload
	buffer_load_dword v80, off, s[20:23], 0 offset:156 ; 4-byte Folded Reload
	s_waitcnt vmcnt(0)
	;; [unrolled: 6-line block ×10, first 2 shown]
	ds_write2_b64 v125, v[45:46], v[47:48] offset0:90 offset1:91
	buffer_load_dword v41, off, s[20:23], 0 ; 4-byte Folded Reload
	buffer_load_dword v42, off, s[20:23], 0 offset:4 ; 4-byte Folded Reload
	buffer_load_dword v43, off, s[20:23], 0 offset:8 ; 4-byte Folded Reload
	;; [unrolled: 1-line block ×3, first 2 shown]
	s_waitcnt vmcnt(0)
	ds_write2_b64 v125, v[41:42], v[43:44] offset0:92 offset1:93
	ds_write2_b64 v125, v[37:38], v[39:40] offset0:94 offset1:95
	;; [unrolled: 1-line block ×12, first 2 shown]
	ds_read2_b64 v[97:100], v127 offset1:1
	s_waitcnt lgkmcnt(0)
	v_cmp_neq_f64_e32 vcc, 0, v[97:98]
	v_cmp_neq_f64_e64 s[2:3], 0, v[99:100]
	s_or_b64 s[2:3], vcc, s[2:3]
	s_and_b64 exec, exec, s[2:3]
	s_cbranch_execz .LBB115_152
; %bb.147:
	v_cmp_ngt_f64_e64 s[2:3], |v[97:98]|, |v[99:100]|
                                        ; implicit-def: $vgpr101_vgpr102
	s_and_saveexec_b64 s[6:7], s[2:3]
	s_xor_b64 s[2:3], exec, s[6:7]
                                        ; implicit-def: $vgpr103_vgpr104
	s_cbranch_execz .LBB115_149
; %bb.148:
	v_div_scale_f64 v[101:102], s[6:7], v[99:100], v[99:100], v[97:98]
	v_rcp_f64_e32 v[103:104], v[101:102]
	v_fma_f64 v[105:106], -v[101:102], v[103:104], 1.0
	v_fma_f64 v[103:104], v[103:104], v[105:106], v[103:104]
	v_div_scale_f64 v[105:106], vcc, v[97:98], v[99:100], v[97:98]
	v_fma_f64 v[107:108], -v[101:102], v[103:104], 1.0
	v_fma_f64 v[103:104], v[103:104], v[107:108], v[103:104]
	v_mul_f64 v[107:108], v[105:106], v[103:104]
	v_fma_f64 v[101:102], -v[101:102], v[107:108], v[105:106]
	v_div_fmas_f64 v[101:102], v[101:102], v[103:104], v[107:108]
	v_div_fixup_f64 v[101:102], v[101:102], v[99:100], v[97:98]
	v_fma_f64 v[97:98], v[97:98], v[101:102], v[99:100]
	v_div_scale_f64 v[99:100], s[6:7], v[97:98], v[97:98], 1.0
	v_div_scale_f64 v[107:108], vcc, 1.0, v[97:98], 1.0
	v_rcp_f64_e32 v[103:104], v[99:100]
	v_fma_f64 v[105:106], -v[99:100], v[103:104], 1.0
	v_fma_f64 v[103:104], v[103:104], v[105:106], v[103:104]
	v_fma_f64 v[105:106], -v[99:100], v[103:104], 1.0
	v_fma_f64 v[103:104], v[103:104], v[105:106], v[103:104]
	v_mul_f64 v[105:106], v[107:108], v[103:104]
	v_fma_f64 v[99:100], -v[99:100], v[105:106], v[107:108]
	v_div_fmas_f64 v[99:100], v[99:100], v[103:104], v[105:106]
	v_div_fixup_f64 v[103:104], v[99:100], v[97:98], 1.0
                                        ; implicit-def: $vgpr97_vgpr98
	v_mul_f64 v[101:102], v[101:102], v[103:104]
	v_xor_b32_e32 v104, 0x80000000, v104
.LBB115_149:
	s_andn2_saveexec_b64 s[2:3], s[2:3]
	s_cbranch_execz .LBB115_151
; %bb.150:
	v_div_scale_f64 v[101:102], s[6:7], v[97:98], v[97:98], v[99:100]
	v_rcp_f64_e32 v[103:104], v[101:102]
	v_fma_f64 v[105:106], -v[101:102], v[103:104], 1.0
	v_fma_f64 v[103:104], v[103:104], v[105:106], v[103:104]
	v_div_scale_f64 v[105:106], vcc, v[99:100], v[97:98], v[99:100]
	v_fma_f64 v[107:108], -v[101:102], v[103:104], 1.0
	v_fma_f64 v[103:104], v[103:104], v[107:108], v[103:104]
	v_mul_f64 v[107:108], v[105:106], v[103:104]
	v_fma_f64 v[101:102], -v[101:102], v[107:108], v[105:106]
	v_div_fmas_f64 v[101:102], v[101:102], v[103:104], v[107:108]
	v_div_fixup_f64 v[103:104], v[101:102], v[97:98], v[99:100]
	v_fma_f64 v[97:98], v[99:100], v[103:104], v[97:98]
	v_div_scale_f64 v[99:100], s[6:7], v[97:98], v[97:98], 1.0
	v_div_scale_f64 v[107:108], vcc, 1.0, v[97:98], 1.0
	v_rcp_f64_e32 v[101:102], v[99:100]
	v_fma_f64 v[105:106], -v[99:100], v[101:102], 1.0
	v_fma_f64 v[101:102], v[101:102], v[105:106], v[101:102]
	v_fma_f64 v[105:106], -v[99:100], v[101:102], 1.0
	v_fma_f64 v[101:102], v[101:102], v[105:106], v[101:102]
	v_mul_f64 v[105:106], v[107:108], v[101:102]
	v_fma_f64 v[99:100], -v[99:100], v[105:106], v[107:108]
	v_div_fmas_f64 v[99:100], v[99:100], v[101:102], v[105:106]
	v_div_fixup_f64 v[101:102], v[99:100], v[97:98], 1.0
	v_mul_f64 v[103:104], v[103:104], -v[101:102]
.LBB115_151:
	s_or_b64 exec, exec, s[2:3]
	ds_write2_b64 v127, v[101:102], v[103:104] offset1:1
.LBB115_152:
	s_or_b64 exec, exec, s[4:5]
	s_waitcnt lgkmcnt(0)
	s_barrier
	ds_read2_b64 v[87:90], v127 offset1:1
	v_cmp_lt_u32_e32 vcc, 16, v0
	s_waitcnt lgkmcnt(0)
	buffer_store_dword v87, off, s[20:23], 0 offset:1448 ; 4-byte Folded Spill
	s_nop 0
	buffer_store_dword v88, off, s[20:23], 0 offset:1452 ; 4-byte Folded Spill
	buffer_store_dword v89, off, s[20:23], 0 offset:1456 ; 4-byte Folded Spill
	;; [unrolled: 1-line block ×3, first 2 shown]
	s_and_saveexec_b64 s[2:3], vcc
	s_cbranch_execz .LBB115_154
; %bb.153:
	buffer_load_dword v107, off, s[20:23], 0 offset:464 ; 4-byte Folded Reload
	buffer_load_dword v108, off, s[20:23], 0 offset:468 ; 4-byte Folded Reload
	;; [unrolled: 1-line block ×8, first 2 shown]
	s_waitcnt vmcnt(2)
	v_mul_f64 v[99:100], v[87:88], v[109:110]
	s_waitcnt vmcnt(0)
	v_mul_f64 v[97:98], v[89:90], v[109:110]
	v_fma_f64 v[109:110], v[89:90], v[107:108], v[99:100]
	ds_read2_b64 v[99:102], v125 offset0:34 offset1:35
	v_fma_f64 v[97:98], v[87:88], v[107:108], -v[97:98]
	buffer_load_dword v105, off, s[20:23], 0 offset:448 ; 4-byte Folded Reload
	buffer_load_dword v106, off, s[20:23], 0 offset:452 ; 4-byte Folded Reload
	buffer_load_dword v107, off, s[20:23], 0 offset:456 ; 4-byte Folded Reload
	buffer_load_dword v108, off, s[20:23], 0 offset:460 ; 4-byte Folded Reload
	s_waitcnt lgkmcnt(0)
	v_mul_f64 v[103:104], v[101:102], v[109:110]
	v_fma_f64 v[103:104], v[99:100], v[97:98], -v[103:104]
	v_mul_f64 v[99:100], v[99:100], v[109:110]
	v_fma_f64 v[99:100], v[101:102], v[97:98], v[99:100]
	s_waitcnt vmcnt(2)
	v_add_f64 v[105:106], v[105:106], -v[103:104]
	s_waitcnt vmcnt(0)
	v_add_f64 v[107:108], v[107:108], -v[99:100]
	buffer_store_dword v105, off, s[20:23], 0 offset:448 ; 4-byte Folded Spill
	s_nop 0
	buffer_store_dword v106, off, s[20:23], 0 offset:452 ; 4-byte Folded Spill
	buffer_store_dword v107, off, s[20:23], 0 offset:456 ; 4-byte Folded Spill
	buffer_store_dword v108, off, s[20:23], 0 offset:460 ; 4-byte Folded Spill
	ds_read2_b64 v[99:102], v125 offset0:36 offset1:37
	buffer_load_dword v105, off, s[20:23], 0 offset:432 ; 4-byte Folded Reload
	buffer_load_dword v106, off, s[20:23], 0 offset:436 ; 4-byte Folded Reload
	buffer_load_dword v107, off, s[20:23], 0 offset:440 ; 4-byte Folded Reload
	buffer_load_dword v108, off, s[20:23], 0 offset:444 ; 4-byte Folded Reload
	s_waitcnt lgkmcnt(0)
	v_mul_f64 v[103:104], v[101:102], v[109:110]
	v_fma_f64 v[103:104], v[99:100], v[97:98], -v[103:104]
	v_mul_f64 v[99:100], v[99:100], v[109:110]
	v_fma_f64 v[99:100], v[101:102], v[97:98], v[99:100]
	s_waitcnt vmcnt(2)
	v_add_f64 v[105:106], v[105:106], -v[103:104]
	s_waitcnt vmcnt(0)
	v_add_f64 v[107:108], v[107:108], -v[99:100]
	buffer_store_dword v105, off, s[20:23], 0 offset:432 ; 4-byte Folded Spill
	s_nop 0
	buffer_store_dword v106, off, s[20:23], 0 offset:436 ; 4-byte Folded Spill
	buffer_store_dword v107, off, s[20:23], 0 offset:440 ; 4-byte Folded Spill
	buffer_store_dword v108, off, s[20:23], 0 offset:444 ; 4-byte Folded Spill
	ds_read2_b64 v[99:102], v125 offset0:38 offset1:39
	;; [unrolled: 19-line block ×18, first 2 shown]
	v_mov_b32_e32 v108, v98
	v_mov_b32_e32 v107, v97
	s_waitcnt lgkmcnt(0)
	v_mul_f64 v[103:104], v[101:102], v[109:110]
	v_fma_f64 v[103:104], v[99:100], v[97:98], -v[103:104]
	v_mul_f64 v[99:100], v[99:100], v[109:110]
	v_add_f64 v[91:92], v[91:92], -v[103:104]
	v_fma_f64 v[99:100], v[101:102], v[97:98], v[99:100]
	v_add_f64 v[93:94], v[93:94], -v[99:100]
	ds_read2_b64 v[99:102], v125 offset0:72 offset1:73
	buffer_load_dword v77, off, s[20:23], 0 offset:160 ; 4-byte Folded Reload
	buffer_load_dword v78, off, s[20:23], 0 offset:164 ; 4-byte Folded Reload
	buffer_load_dword v79, off, s[20:23], 0 offset:168 ; 4-byte Folded Reload
	buffer_load_dword v80, off, s[20:23], 0 offset:172 ; 4-byte Folded Reload
	s_waitcnt lgkmcnt(0)
	v_mul_f64 v[103:104], v[101:102], v[109:110]
	v_fma_f64 v[103:104], v[99:100], v[97:98], -v[103:104]
	v_mul_f64 v[99:100], v[99:100], v[109:110]
	v_fma_f64 v[99:100], v[101:102], v[97:98], v[99:100]
	s_waitcnt vmcnt(2)
	v_add_f64 v[77:78], v[77:78], -v[103:104]
	s_waitcnt vmcnt(0)
	v_add_f64 v[79:80], v[79:80], -v[99:100]
	buffer_store_dword v77, off, s[20:23], 0 offset:160 ; 4-byte Folded Spill
	s_nop 0
	buffer_store_dword v78, off, s[20:23], 0 offset:164 ; 4-byte Folded Spill
	buffer_store_dword v79, off, s[20:23], 0 offset:168 ; 4-byte Folded Spill
	buffer_store_dword v80, off, s[20:23], 0 offset:172 ; 4-byte Folded Spill
	ds_read2_b64 v[99:102], v125 offset0:74 offset1:75
	buffer_load_dword v77, off, s[20:23], 0 offset:144 ; 4-byte Folded Reload
	buffer_load_dword v78, off, s[20:23], 0 offset:148 ; 4-byte Folded Reload
	buffer_load_dword v79, off, s[20:23], 0 offset:152 ; 4-byte Folded Reload
	buffer_load_dword v80, off, s[20:23], 0 offset:156 ; 4-byte Folded Reload
	s_waitcnt lgkmcnt(0)
	v_mul_f64 v[103:104], v[101:102], v[109:110]
	v_fma_f64 v[103:104], v[99:100], v[97:98], -v[103:104]
	v_mul_f64 v[99:100], v[99:100], v[109:110]
	v_fma_f64 v[99:100], v[101:102], v[97:98], v[99:100]
	s_waitcnt vmcnt(2)
	v_add_f64 v[77:78], v[77:78], -v[103:104]
	s_waitcnt vmcnt(0)
	v_add_f64 v[79:80], v[79:80], -v[99:100]
	buffer_store_dword v77, off, s[20:23], 0 offset:144 ; 4-byte Folded Spill
	s_nop 0
	buffer_store_dword v78, off, s[20:23], 0 offset:148 ; 4-byte Folded Spill
	buffer_store_dword v79, off, s[20:23], 0 offset:152 ; 4-byte Folded Spill
	buffer_store_dword v80, off, s[20:23], 0 offset:156 ; 4-byte Folded Spill
	;; [unrolled: 19-line block ×10, first 2 shown]
	ds_read2_b64 v[99:102], v125 offset0:92 offset1:93
	buffer_load_dword v41, off, s[20:23], 0 ; 4-byte Folded Reload
	buffer_load_dword v42, off, s[20:23], 0 offset:4 ; 4-byte Folded Reload
	buffer_load_dword v43, off, s[20:23], 0 offset:8 ; 4-byte Folded Reload
	;; [unrolled: 1-line block ×3, first 2 shown]
	s_waitcnt lgkmcnt(0)
	v_mul_f64 v[103:104], v[101:102], v[109:110]
	v_fma_f64 v[103:104], v[99:100], v[97:98], -v[103:104]
	v_mul_f64 v[99:100], v[99:100], v[109:110]
	v_fma_f64 v[99:100], v[101:102], v[97:98], v[99:100]
	s_waitcnt vmcnt(2)
	v_add_f64 v[41:42], v[41:42], -v[103:104]
	s_waitcnt vmcnt(0)
	v_add_f64 v[43:44], v[43:44], -v[99:100]
	buffer_store_dword v41, off, s[20:23], 0 ; 4-byte Folded Spill
	s_nop 0
	buffer_store_dword v42, off, s[20:23], 0 offset:4 ; 4-byte Folded Spill
	buffer_store_dword v43, off, s[20:23], 0 offset:8 ; 4-byte Folded Spill
	;; [unrolled: 1-line block ×3, first 2 shown]
	ds_read2_b64 v[99:102], v125 offset0:94 offset1:95
	s_waitcnt lgkmcnt(0)
	v_mul_f64 v[103:104], v[101:102], v[109:110]
	v_fma_f64 v[103:104], v[99:100], v[97:98], -v[103:104]
	v_mul_f64 v[99:100], v[99:100], v[109:110]
	v_add_f64 v[37:38], v[37:38], -v[103:104]
	v_fma_f64 v[99:100], v[101:102], v[97:98], v[99:100]
	v_add_f64 v[39:40], v[39:40], -v[99:100]
	ds_read2_b64 v[99:102], v125 offset0:96 offset1:97
	s_waitcnt lgkmcnt(0)
	v_mul_f64 v[103:104], v[101:102], v[109:110]
	v_fma_f64 v[103:104], v[99:100], v[97:98], -v[103:104]
	v_mul_f64 v[99:100], v[99:100], v[109:110]
	v_add_f64 v[33:34], v[33:34], -v[103:104]
	v_fma_f64 v[99:100], v[101:102], v[97:98], v[99:100]
	v_add_f64 v[35:36], v[35:36], -v[99:100]
	;; [unrolled: 8-line block ×10, first 2 shown]
	ds_read2_b64 v[99:102], v125 offset0:114 offset1:115
	s_waitcnt lgkmcnt(0)
	v_mul_f64 v[103:104], v[101:102], v[109:110]
	v_fma_f64 v[103:104], v[99:100], v[97:98], -v[103:104]
	v_mul_f64 v[99:100], v[99:100], v[109:110]
	buffer_store_dword v107, off, s[20:23], 0 offset:464 ; 4-byte Folded Spill
	s_nop 0
	buffer_store_dword v108, off, s[20:23], 0 offset:468 ; 4-byte Folded Spill
	buffer_store_dword v109, off, s[20:23], 0 offset:472 ; 4-byte Folded Spill
	;; [unrolled: 1-line block ×3, first 2 shown]
	v_add_f64 v[121:122], v[121:122], -v[103:104]
	v_fma_f64 v[99:100], v[101:102], v[97:98], v[99:100]
	v_add_f64 v[123:124], v[123:124], -v[99:100]
.LBB115_154:
	s_or_b64 exec, exec, s[2:3]
	v_cmp_eq_u32_e32 vcc, 17, v0
	s_waitcnt vmcnt(0)
	s_barrier
	s_and_saveexec_b64 s[4:5], vcc
	s_cbranch_execz .LBB115_161
; %bb.155:
	buffer_load_dword v95, off, s[20:23], 0 offset:448 ; 4-byte Folded Reload
	buffer_load_dword v96, off, s[20:23], 0 offset:452 ; 4-byte Folded Reload
	;; [unrolled: 1-line block ×4, first 2 shown]
	s_waitcnt vmcnt(0)
	ds_write2_b64 v127, v[95:96], v[97:98] offset1:1
	buffer_load_dword v95, off, s[20:23], 0 offset:432 ; 4-byte Folded Reload
	buffer_load_dword v96, off, s[20:23], 0 offset:436 ; 4-byte Folded Reload
	buffer_load_dword v97, off, s[20:23], 0 offset:440 ; 4-byte Folded Reload
	buffer_load_dword v98, off, s[20:23], 0 offset:444 ; 4-byte Folded Reload
	s_waitcnt vmcnt(0)
	ds_write2_b64 v125, v[95:96], v[97:98] offset0:36 offset1:37
	buffer_load_dword v95, off, s[20:23], 0 offset:416 ; 4-byte Folded Reload
	buffer_load_dword v96, off, s[20:23], 0 offset:420 ; 4-byte Folded Reload
	buffer_load_dword v97, off, s[20:23], 0 offset:424 ; 4-byte Folded Reload
	buffer_load_dword v98, off, s[20:23], 0 offset:428 ; 4-byte Folded Reload
	s_waitcnt vmcnt(0)
	ds_write2_b64 v125, v[95:96], v[97:98] offset0:38 offset1:39
	;; [unrolled: 6-line block ×17, first 2 shown]
	ds_write2_b64 v125, v[91:92], v[93:94] offset0:70 offset1:71
	buffer_load_dword v77, off, s[20:23], 0 offset:160 ; 4-byte Folded Reload
	buffer_load_dword v78, off, s[20:23], 0 offset:164 ; 4-byte Folded Reload
	buffer_load_dword v79, off, s[20:23], 0 offset:168 ; 4-byte Folded Reload
	buffer_load_dword v80, off, s[20:23], 0 offset:172 ; 4-byte Folded Reload
	s_waitcnt vmcnt(0)
	ds_write2_b64 v125, v[77:78], v[79:80] offset0:72 offset1:73
	buffer_load_dword v77, off, s[20:23], 0 offset:144 ; 4-byte Folded Reload
	buffer_load_dword v78, off, s[20:23], 0 offset:148 ; 4-byte Folded Reload
	buffer_load_dword v79, off, s[20:23], 0 offset:152 ; 4-byte Folded Reload
	buffer_load_dword v80, off, s[20:23], 0 offset:156 ; 4-byte Folded Reload
	s_waitcnt vmcnt(0)
	;; [unrolled: 6-line block ×10, first 2 shown]
	ds_write2_b64 v125, v[45:46], v[47:48] offset0:90 offset1:91
	buffer_load_dword v41, off, s[20:23], 0 ; 4-byte Folded Reload
	buffer_load_dword v42, off, s[20:23], 0 offset:4 ; 4-byte Folded Reload
	buffer_load_dword v43, off, s[20:23], 0 offset:8 ; 4-byte Folded Reload
	;; [unrolled: 1-line block ×3, first 2 shown]
	s_waitcnt vmcnt(0)
	ds_write2_b64 v125, v[41:42], v[43:44] offset0:92 offset1:93
	ds_write2_b64 v125, v[37:38], v[39:40] offset0:94 offset1:95
	;; [unrolled: 1-line block ×12, first 2 shown]
	ds_read2_b64 v[97:100], v127 offset1:1
	s_waitcnt lgkmcnt(0)
	v_cmp_neq_f64_e32 vcc, 0, v[97:98]
	v_cmp_neq_f64_e64 s[2:3], 0, v[99:100]
	s_or_b64 s[2:3], vcc, s[2:3]
	s_and_b64 exec, exec, s[2:3]
	s_cbranch_execz .LBB115_161
; %bb.156:
	v_cmp_ngt_f64_e64 s[2:3], |v[97:98]|, |v[99:100]|
                                        ; implicit-def: $vgpr101_vgpr102
	s_and_saveexec_b64 s[6:7], s[2:3]
	s_xor_b64 s[2:3], exec, s[6:7]
                                        ; implicit-def: $vgpr103_vgpr104
	s_cbranch_execz .LBB115_158
; %bb.157:
	v_div_scale_f64 v[101:102], s[6:7], v[99:100], v[99:100], v[97:98]
	v_rcp_f64_e32 v[103:104], v[101:102]
	v_fma_f64 v[105:106], -v[101:102], v[103:104], 1.0
	v_fma_f64 v[103:104], v[103:104], v[105:106], v[103:104]
	v_div_scale_f64 v[105:106], vcc, v[97:98], v[99:100], v[97:98]
	v_fma_f64 v[107:108], -v[101:102], v[103:104], 1.0
	v_fma_f64 v[103:104], v[103:104], v[107:108], v[103:104]
	v_mul_f64 v[107:108], v[105:106], v[103:104]
	v_fma_f64 v[101:102], -v[101:102], v[107:108], v[105:106]
	v_div_fmas_f64 v[101:102], v[101:102], v[103:104], v[107:108]
	v_div_fixup_f64 v[101:102], v[101:102], v[99:100], v[97:98]
	v_fma_f64 v[97:98], v[97:98], v[101:102], v[99:100]
	v_div_scale_f64 v[99:100], s[6:7], v[97:98], v[97:98], 1.0
	v_div_scale_f64 v[107:108], vcc, 1.0, v[97:98], 1.0
	v_rcp_f64_e32 v[103:104], v[99:100]
	v_fma_f64 v[105:106], -v[99:100], v[103:104], 1.0
	v_fma_f64 v[103:104], v[103:104], v[105:106], v[103:104]
	v_fma_f64 v[105:106], -v[99:100], v[103:104], 1.0
	v_fma_f64 v[103:104], v[103:104], v[105:106], v[103:104]
	v_mul_f64 v[105:106], v[107:108], v[103:104]
	v_fma_f64 v[99:100], -v[99:100], v[105:106], v[107:108]
	v_div_fmas_f64 v[99:100], v[99:100], v[103:104], v[105:106]
	v_div_fixup_f64 v[103:104], v[99:100], v[97:98], 1.0
                                        ; implicit-def: $vgpr97_vgpr98
	v_mul_f64 v[101:102], v[101:102], v[103:104]
	v_xor_b32_e32 v104, 0x80000000, v104
.LBB115_158:
	s_andn2_saveexec_b64 s[2:3], s[2:3]
	s_cbranch_execz .LBB115_160
; %bb.159:
	v_div_scale_f64 v[101:102], s[6:7], v[97:98], v[97:98], v[99:100]
	v_rcp_f64_e32 v[103:104], v[101:102]
	v_fma_f64 v[105:106], -v[101:102], v[103:104], 1.0
	v_fma_f64 v[103:104], v[103:104], v[105:106], v[103:104]
	v_div_scale_f64 v[105:106], vcc, v[99:100], v[97:98], v[99:100]
	v_fma_f64 v[107:108], -v[101:102], v[103:104], 1.0
	v_fma_f64 v[103:104], v[103:104], v[107:108], v[103:104]
	v_mul_f64 v[107:108], v[105:106], v[103:104]
	v_fma_f64 v[101:102], -v[101:102], v[107:108], v[105:106]
	v_div_fmas_f64 v[101:102], v[101:102], v[103:104], v[107:108]
	v_div_fixup_f64 v[103:104], v[101:102], v[97:98], v[99:100]
	v_fma_f64 v[97:98], v[99:100], v[103:104], v[97:98]
	v_div_scale_f64 v[99:100], s[6:7], v[97:98], v[97:98], 1.0
	v_div_scale_f64 v[107:108], vcc, 1.0, v[97:98], 1.0
	v_rcp_f64_e32 v[101:102], v[99:100]
	v_fma_f64 v[105:106], -v[99:100], v[101:102], 1.0
	v_fma_f64 v[101:102], v[101:102], v[105:106], v[101:102]
	v_fma_f64 v[105:106], -v[99:100], v[101:102], 1.0
	v_fma_f64 v[101:102], v[101:102], v[105:106], v[101:102]
	v_mul_f64 v[105:106], v[107:108], v[101:102]
	v_fma_f64 v[99:100], -v[99:100], v[105:106], v[107:108]
	v_div_fmas_f64 v[99:100], v[99:100], v[101:102], v[105:106]
	v_div_fixup_f64 v[101:102], v[99:100], v[97:98], 1.0
	v_mul_f64 v[103:104], v[103:104], -v[101:102]
.LBB115_160:
	s_or_b64 exec, exec, s[2:3]
	ds_write2_b64 v127, v[101:102], v[103:104] offset1:1
.LBB115_161:
	s_or_b64 exec, exec, s[4:5]
	s_waitcnt lgkmcnt(0)
	s_barrier
	ds_read2_b64 v[87:90], v127 offset1:1
	v_cmp_lt_u32_e32 vcc, 17, v0
	s_waitcnt lgkmcnt(0)
	buffer_store_dword v87, off, s[20:23], 0 offset:1464 ; 4-byte Folded Spill
	s_nop 0
	buffer_store_dword v88, off, s[20:23], 0 offset:1468 ; 4-byte Folded Spill
	buffer_store_dword v89, off, s[20:23], 0 offset:1472 ; 4-byte Folded Spill
	;; [unrolled: 1-line block ×3, first 2 shown]
	s_and_saveexec_b64 s[2:3], vcc
	s_cbranch_execz .LBB115_163
; %bb.162:
	buffer_load_dword v107, off, s[20:23], 0 offset:448 ; 4-byte Folded Reload
	buffer_load_dword v108, off, s[20:23], 0 offset:452 ; 4-byte Folded Reload
	;; [unrolled: 1-line block ×8, first 2 shown]
	s_waitcnt vmcnt(2)
	v_mul_f64 v[99:100], v[87:88], v[109:110]
	s_waitcnt vmcnt(0)
	v_mul_f64 v[97:98], v[89:90], v[109:110]
	v_fma_f64 v[109:110], v[89:90], v[107:108], v[99:100]
	ds_read2_b64 v[99:102], v125 offset0:36 offset1:37
	v_fma_f64 v[97:98], v[87:88], v[107:108], -v[97:98]
	buffer_load_dword v105, off, s[20:23], 0 offset:432 ; 4-byte Folded Reload
	buffer_load_dword v106, off, s[20:23], 0 offset:436 ; 4-byte Folded Reload
	buffer_load_dword v107, off, s[20:23], 0 offset:440 ; 4-byte Folded Reload
	buffer_load_dword v108, off, s[20:23], 0 offset:444 ; 4-byte Folded Reload
	s_waitcnt lgkmcnt(0)
	v_mul_f64 v[103:104], v[101:102], v[109:110]
	v_fma_f64 v[103:104], v[99:100], v[97:98], -v[103:104]
	v_mul_f64 v[99:100], v[99:100], v[109:110]
	v_fma_f64 v[99:100], v[101:102], v[97:98], v[99:100]
	s_waitcnt vmcnt(2)
	v_add_f64 v[105:106], v[105:106], -v[103:104]
	s_waitcnt vmcnt(0)
	v_add_f64 v[107:108], v[107:108], -v[99:100]
	buffer_store_dword v105, off, s[20:23], 0 offset:432 ; 4-byte Folded Spill
	s_nop 0
	buffer_store_dword v106, off, s[20:23], 0 offset:436 ; 4-byte Folded Spill
	buffer_store_dword v107, off, s[20:23], 0 offset:440 ; 4-byte Folded Spill
	buffer_store_dword v108, off, s[20:23], 0 offset:444 ; 4-byte Folded Spill
	ds_read2_b64 v[99:102], v125 offset0:38 offset1:39
	buffer_load_dword v105, off, s[20:23], 0 offset:416 ; 4-byte Folded Reload
	buffer_load_dword v106, off, s[20:23], 0 offset:420 ; 4-byte Folded Reload
	buffer_load_dword v107, off, s[20:23], 0 offset:424 ; 4-byte Folded Reload
	buffer_load_dword v108, off, s[20:23], 0 offset:428 ; 4-byte Folded Reload
	s_waitcnt lgkmcnt(0)
	v_mul_f64 v[103:104], v[101:102], v[109:110]
	v_fma_f64 v[103:104], v[99:100], v[97:98], -v[103:104]
	v_mul_f64 v[99:100], v[99:100], v[109:110]
	v_fma_f64 v[99:100], v[101:102], v[97:98], v[99:100]
	s_waitcnt vmcnt(2)
	v_add_f64 v[105:106], v[105:106], -v[103:104]
	s_waitcnt vmcnt(0)
	v_add_f64 v[107:108], v[107:108], -v[99:100]
	buffer_store_dword v105, off, s[20:23], 0 offset:416 ; 4-byte Folded Spill
	s_nop 0
	buffer_store_dword v106, off, s[20:23], 0 offset:420 ; 4-byte Folded Spill
	buffer_store_dword v107, off, s[20:23], 0 offset:424 ; 4-byte Folded Spill
	buffer_store_dword v108, off, s[20:23], 0 offset:428 ; 4-byte Folded Spill
	ds_read2_b64 v[99:102], v125 offset0:40 offset1:41
	;; [unrolled: 19-line block ×17, first 2 shown]
	v_mov_b32_e32 v108, v98
	v_mov_b32_e32 v107, v97
	s_waitcnt lgkmcnt(0)
	v_mul_f64 v[103:104], v[101:102], v[109:110]
	v_fma_f64 v[103:104], v[99:100], v[97:98], -v[103:104]
	v_mul_f64 v[99:100], v[99:100], v[109:110]
	v_add_f64 v[91:92], v[91:92], -v[103:104]
	v_fma_f64 v[99:100], v[101:102], v[97:98], v[99:100]
	v_add_f64 v[93:94], v[93:94], -v[99:100]
	ds_read2_b64 v[99:102], v125 offset0:72 offset1:73
	buffer_load_dword v77, off, s[20:23], 0 offset:160 ; 4-byte Folded Reload
	buffer_load_dword v78, off, s[20:23], 0 offset:164 ; 4-byte Folded Reload
	buffer_load_dword v79, off, s[20:23], 0 offset:168 ; 4-byte Folded Reload
	buffer_load_dword v80, off, s[20:23], 0 offset:172 ; 4-byte Folded Reload
	s_waitcnt lgkmcnt(0)
	v_mul_f64 v[103:104], v[101:102], v[109:110]
	v_fma_f64 v[103:104], v[99:100], v[97:98], -v[103:104]
	v_mul_f64 v[99:100], v[99:100], v[109:110]
	v_fma_f64 v[99:100], v[101:102], v[97:98], v[99:100]
	s_waitcnt vmcnt(2)
	v_add_f64 v[77:78], v[77:78], -v[103:104]
	s_waitcnt vmcnt(0)
	v_add_f64 v[79:80], v[79:80], -v[99:100]
	buffer_store_dword v77, off, s[20:23], 0 offset:160 ; 4-byte Folded Spill
	s_nop 0
	buffer_store_dword v78, off, s[20:23], 0 offset:164 ; 4-byte Folded Spill
	buffer_store_dword v79, off, s[20:23], 0 offset:168 ; 4-byte Folded Spill
	buffer_store_dword v80, off, s[20:23], 0 offset:172 ; 4-byte Folded Spill
	ds_read2_b64 v[99:102], v125 offset0:74 offset1:75
	buffer_load_dword v77, off, s[20:23], 0 offset:144 ; 4-byte Folded Reload
	buffer_load_dword v78, off, s[20:23], 0 offset:148 ; 4-byte Folded Reload
	buffer_load_dword v79, off, s[20:23], 0 offset:152 ; 4-byte Folded Reload
	buffer_load_dword v80, off, s[20:23], 0 offset:156 ; 4-byte Folded Reload
	s_waitcnt lgkmcnt(0)
	v_mul_f64 v[103:104], v[101:102], v[109:110]
	v_fma_f64 v[103:104], v[99:100], v[97:98], -v[103:104]
	v_mul_f64 v[99:100], v[99:100], v[109:110]
	v_fma_f64 v[99:100], v[101:102], v[97:98], v[99:100]
	s_waitcnt vmcnt(2)
	v_add_f64 v[77:78], v[77:78], -v[103:104]
	s_waitcnt vmcnt(0)
	v_add_f64 v[79:80], v[79:80], -v[99:100]
	buffer_store_dword v77, off, s[20:23], 0 offset:144 ; 4-byte Folded Spill
	s_nop 0
	buffer_store_dword v78, off, s[20:23], 0 offset:148 ; 4-byte Folded Spill
	buffer_store_dword v79, off, s[20:23], 0 offset:152 ; 4-byte Folded Spill
	buffer_store_dword v80, off, s[20:23], 0 offset:156 ; 4-byte Folded Spill
	;; [unrolled: 19-line block ×10, first 2 shown]
	ds_read2_b64 v[99:102], v125 offset0:92 offset1:93
	buffer_load_dword v41, off, s[20:23], 0 ; 4-byte Folded Reload
	buffer_load_dword v42, off, s[20:23], 0 offset:4 ; 4-byte Folded Reload
	buffer_load_dword v43, off, s[20:23], 0 offset:8 ; 4-byte Folded Reload
	;; [unrolled: 1-line block ×3, first 2 shown]
	s_waitcnt lgkmcnt(0)
	v_mul_f64 v[103:104], v[101:102], v[109:110]
	v_fma_f64 v[103:104], v[99:100], v[97:98], -v[103:104]
	v_mul_f64 v[99:100], v[99:100], v[109:110]
	v_fma_f64 v[99:100], v[101:102], v[97:98], v[99:100]
	s_waitcnt vmcnt(2)
	v_add_f64 v[41:42], v[41:42], -v[103:104]
	s_waitcnt vmcnt(0)
	v_add_f64 v[43:44], v[43:44], -v[99:100]
	buffer_store_dword v41, off, s[20:23], 0 ; 4-byte Folded Spill
	s_nop 0
	buffer_store_dword v42, off, s[20:23], 0 offset:4 ; 4-byte Folded Spill
	buffer_store_dword v43, off, s[20:23], 0 offset:8 ; 4-byte Folded Spill
	;; [unrolled: 1-line block ×3, first 2 shown]
	ds_read2_b64 v[99:102], v125 offset0:94 offset1:95
	s_waitcnt lgkmcnt(0)
	v_mul_f64 v[103:104], v[101:102], v[109:110]
	v_fma_f64 v[103:104], v[99:100], v[97:98], -v[103:104]
	v_mul_f64 v[99:100], v[99:100], v[109:110]
	v_add_f64 v[37:38], v[37:38], -v[103:104]
	v_fma_f64 v[99:100], v[101:102], v[97:98], v[99:100]
	v_add_f64 v[39:40], v[39:40], -v[99:100]
	ds_read2_b64 v[99:102], v125 offset0:96 offset1:97
	s_waitcnt lgkmcnt(0)
	v_mul_f64 v[103:104], v[101:102], v[109:110]
	v_fma_f64 v[103:104], v[99:100], v[97:98], -v[103:104]
	v_mul_f64 v[99:100], v[99:100], v[109:110]
	v_add_f64 v[33:34], v[33:34], -v[103:104]
	v_fma_f64 v[99:100], v[101:102], v[97:98], v[99:100]
	v_add_f64 v[35:36], v[35:36], -v[99:100]
	;; [unrolled: 8-line block ×10, first 2 shown]
	ds_read2_b64 v[99:102], v125 offset0:114 offset1:115
	s_waitcnt lgkmcnt(0)
	v_mul_f64 v[103:104], v[101:102], v[109:110]
	v_fma_f64 v[103:104], v[99:100], v[97:98], -v[103:104]
	v_mul_f64 v[99:100], v[99:100], v[109:110]
	buffer_store_dword v107, off, s[20:23], 0 offset:448 ; 4-byte Folded Spill
	s_nop 0
	buffer_store_dword v108, off, s[20:23], 0 offset:452 ; 4-byte Folded Spill
	buffer_store_dword v109, off, s[20:23], 0 offset:456 ; 4-byte Folded Spill
	;; [unrolled: 1-line block ×3, first 2 shown]
	v_add_f64 v[121:122], v[121:122], -v[103:104]
	v_fma_f64 v[99:100], v[101:102], v[97:98], v[99:100]
	v_add_f64 v[123:124], v[123:124], -v[99:100]
.LBB115_163:
	s_or_b64 exec, exec, s[2:3]
	v_cmp_eq_u32_e32 vcc, 18, v0
	s_waitcnt vmcnt(0)
	s_barrier
	s_and_saveexec_b64 s[4:5], vcc
	s_cbranch_execz .LBB115_170
; %bb.164:
	buffer_load_dword v95, off, s[20:23], 0 offset:432 ; 4-byte Folded Reload
	buffer_load_dword v96, off, s[20:23], 0 offset:436 ; 4-byte Folded Reload
	;; [unrolled: 1-line block ×4, first 2 shown]
	s_waitcnt vmcnt(0)
	ds_write2_b64 v127, v[95:96], v[97:98] offset1:1
	buffer_load_dword v95, off, s[20:23], 0 offset:416 ; 4-byte Folded Reload
	buffer_load_dword v96, off, s[20:23], 0 offset:420 ; 4-byte Folded Reload
	buffer_load_dword v97, off, s[20:23], 0 offset:424 ; 4-byte Folded Reload
	buffer_load_dword v98, off, s[20:23], 0 offset:428 ; 4-byte Folded Reload
	s_waitcnt vmcnt(0)
	ds_write2_b64 v125, v[95:96], v[97:98] offset0:38 offset1:39
	buffer_load_dword v95, off, s[20:23], 0 offset:400 ; 4-byte Folded Reload
	buffer_load_dword v96, off, s[20:23], 0 offset:404 ; 4-byte Folded Reload
	buffer_load_dword v97, off, s[20:23], 0 offset:408 ; 4-byte Folded Reload
	buffer_load_dword v98, off, s[20:23], 0 offset:412 ; 4-byte Folded Reload
	s_waitcnt vmcnt(0)
	ds_write2_b64 v125, v[95:96], v[97:98] offset0:40 offset1:41
	;; [unrolled: 6-line block ×16, first 2 shown]
	ds_write2_b64 v125, v[91:92], v[93:94] offset0:70 offset1:71
	buffer_load_dword v77, off, s[20:23], 0 offset:160 ; 4-byte Folded Reload
	buffer_load_dword v78, off, s[20:23], 0 offset:164 ; 4-byte Folded Reload
	buffer_load_dword v79, off, s[20:23], 0 offset:168 ; 4-byte Folded Reload
	buffer_load_dword v80, off, s[20:23], 0 offset:172 ; 4-byte Folded Reload
	s_waitcnt vmcnt(0)
	ds_write2_b64 v125, v[77:78], v[79:80] offset0:72 offset1:73
	buffer_load_dword v77, off, s[20:23], 0 offset:144 ; 4-byte Folded Reload
	buffer_load_dword v78, off, s[20:23], 0 offset:148 ; 4-byte Folded Reload
	buffer_load_dword v79, off, s[20:23], 0 offset:152 ; 4-byte Folded Reload
	buffer_load_dword v80, off, s[20:23], 0 offset:156 ; 4-byte Folded Reload
	s_waitcnt vmcnt(0)
	;; [unrolled: 6-line block ×10, first 2 shown]
	ds_write2_b64 v125, v[45:46], v[47:48] offset0:90 offset1:91
	buffer_load_dword v41, off, s[20:23], 0 ; 4-byte Folded Reload
	buffer_load_dword v42, off, s[20:23], 0 offset:4 ; 4-byte Folded Reload
	buffer_load_dword v43, off, s[20:23], 0 offset:8 ; 4-byte Folded Reload
	;; [unrolled: 1-line block ×3, first 2 shown]
	s_waitcnt vmcnt(0)
	ds_write2_b64 v125, v[41:42], v[43:44] offset0:92 offset1:93
	ds_write2_b64 v125, v[37:38], v[39:40] offset0:94 offset1:95
	;; [unrolled: 1-line block ×12, first 2 shown]
	ds_read2_b64 v[97:100], v127 offset1:1
	s_waitcnt lgkmcnt(0)
	v_cmp_neq_f64_e32 vcc, 0, v[97:98]
	v_cmp_neq_f64_e64 s[2:3], 0, v[99:100]
	s_or_b64 s[2:3], vcc, s[2:3]
	s_and_b64 exec, exec, s[2:3]
	s_cbranch_execz .LBB115_170
; %bb.165:
	v_cmp_ngt_f64_e64 s[2:3], |v[97:98]|, |v[99:100]|
                                        ; implicit-def: $vgpr101_vgpr102
	s_and_saveexec_b64 s[6:7], s[2:3]
	s_xor_b64 s[2:3], exec, s[6:7]
                                        ; implicit-def: $vgpr103_vgpr104
	s_cbranch_execz .LBB115_167
; %bb.166:
	v_div_scale_f64 v[101:102], s[6:7], v[99:100], v[99:100], v[97:98]
	v_rcp_f64_e32 v[103:104], v[101:102]
	v_fma_f64 v[105:106], -v[101:102], v[103:104], 1.0
	v_fma_f64 v[103:104], v[103:104], v[105:106], v[103:104]
	v_div_scale_f64 v[105:106], vcc, v[97:98], v[99:100], v[97:98]
	v_fma_f64 v[107:108], -v[101:102], v[103:104], 1.0
	v_fma_f64 v[103:104], v[103:104], v[107:108], v[103:104]
	v_mul_f64 v[107:108], v[105:106], v[103:104]
	v_fma_f64 v[101:102], -v[101:102], v[107:108], v[105:106]
	v_div_fmas_f64 v[101:102], v[101:102], v[103:104], v[107:108]
	v_div_fixup_f64 v[101:102], v[101:102], v[99:100], v[97:98]
	v_fma_f64 v[97:98], v[97:98], v[101:102], v[99:100]
	v_div_scale_f64 v[99:100], s[6:7], v[97:98], v[97:98], 1.0
	v_div_scale_f64 v[107:108], vcc, 1.0, v[97:98], 1.0
	v_rcp_f64_e32 v[103:104], v[99:100]
	v_fma_f64 v[105:106], -v[99:100], v[103:104], 1.0
	v_fma_f64 v[103:104], v[103:104], v[105:106], v[103:104]
	v_fma_f64 v[105:106], -v[99:100], v[103:104], 1.0
	v_fma_f64 v[103:104], v[103:104], v[105:106], v[103:104]
	v_mul_f64 v[105:106], v[107:108], v[103:104]
	v_fma_f64 v[99:100], -v[99:100], v[105:106], v[107:108]
	v_div_fmas_f64 v[99:100], v[99:100], v[103:104], v[105:106]
	v_div_fixup_f64 v[103:104], v[99:100], v[97:98], 1.0
                                        ; implicit-def: $vgpr97_vgpr98
	v_mul_f64 v[101:102], v[101:102], v[103:104]
	v_xor_b32_e32 v104, 0x80000000, v104
.LBB115_167:
	s_andn2_saveexec_b64 s[2:3], s[2:3]
	s_cbranch_execz .LBB115_169
; %bb.168:
	v_div_scale_f64 v[101:102], s[6:7], v[97:98], v[97:98], v[99:100]
	v_rcp_f64_e32 v[103:104], v[101:102]
	v_fma_f64 v[105:106], -v[101:102], v[103:104], 1.0
	v_fma_f64 v[103:104], v[103:104], v[105:106], v[103:104]
	v_div_scale_f64 v[105:106], vcc, v[99:100], v[97:98], v[99:100]
	v_fma_f64 v[107:108], -v[101:102], v[103:104], 1.0
	v_fma_f64 v[103:104], v[103:104], v[107:108], v[103:104]
	v_mul_f64 v[107:108], v[105:106], v[103:104]
	v_fma_f64 v[101:102], -v[101:102], v[107:108], v[105:106]
	v_div_fmas_f64 v[101:102], v[101:102], v[103:104], v[107:108]
	v_div_fixup_f64 v[103:104], v[101:102], v[97:98], v[99:100]
	v_fma_f64 v[97:98], v[99:100], v[103:104], v[97:98]
	v_div_scale_f64 v[99:100], s[6:7], v[97:98], v[97:98], 1.0
	v_div_scale_f64 v[107:108], vcc, 1.0, v[97:98], 1.0
	v_rcp_f64_e32 v[101:102], v[99:100]
	v_fma_f64 v[105:106], -v[99:100], v[101:102], 1.0
	v_fma_f64 v[101:102], v[101:102], v[105:106], v[101:102]
	v_fma_f64 v[105:106], -v[99:100], v[101:102], 1.0
	v_fma_f64 v[101:102], v[101:102], v[105:106], v[101:102]
	v_mul_f64 v[105:106], v[107:108], v[101:102]
	v_fma_f64 v[99:100], -v[99:100], v[105:106], v[107:108]
	v_div_fmas_f64 v[99:100], v[99:100], v[101:102], v[105:106]
	v_div_fixup_f64 v[101:102], v[99:100], v[97:98], 1.0
	v_mul_f64 v[103:104], v[103:104], -v[101:102]
.LBB115_169:
	s_or_b64 exec, exec, s[2:3]
	ds_write2_b64 v127, v[101:102], v[103:104] offset1:1
.LBB115_170:
	s_or_b64 exec, exec, s[4:5]
	s_waitcnt lgkmcnt(0)
	s_barrier
	ds_read2_b64 v[87:90], v127 offset1:1
	v_cmp_lt_u32_e32 vcc, 18, v0
	s_waitcnt lgkmcnt(0)
	buffer_store_dword v87, off, s[20:23], 0 offset:1480 ; 4-byte Folded Spill
	s_nop 0
	buffer_store_dword v88, off, s[20:23], 0 offset:1484 ; 4-byte Folded Spill
	buffer_store_dword v89, off, s[20:23], 0 offset:1488 ; 4-byte Folded Spill
	;; [unrolled: 1-line block ×3, first 2 shown]
	s_and_saveexec_b64 s[2:3], vcc
	s_cbranch_execz .LBB115_172
; %bb.171:
	buffer_load_dword v107, off, s[20:23], 0 offset:432 ; 4-byte Folded Reload
	buffer_load_dword v108, off, s[20:23], 0 offset:436 ; 4-byte Folded Reload
	;; [unrolled: 1-line block ×8, first 2 shown]
	s_waitcnt vmcnt(2)
	v_mul_f64 v[99:100], v[87:88], v[109:110]
	s_waitcnt vmcnt(0)
	v_mul_f64 v[97:98], v[89:90], v[109:110]
	v_fma_f64 v[109:110], v[89:90], v[107:108], v[99:100]
	ds_read2_b64 v[99:102], v125 offset0:38 offset1:39
	v_fma_f64 v[97:98], v[87:88], v[107:108], -v[97:98]
	buffer_load_dword v105, off, s[20:23], 0 offset:416 ; 4-byte Folded Reload
	buffer_load_dword v106, off, s[20:23], 0 offset:420 ; 4-byte Folded Reload
	buffer_load_dword v107, off, s[20:23], 0 offset:424 ; 4-byte Folded Reload
	buffer_load_dword v108, off, s[20:23], 0 offset:428 ; 4-byte Folded Reload
	s_waitcnt lgkmcnt(0)
	v_mul_f64 v[103:104], v[101:102], v[109:110]
	v_fma_f64 v[103:104], v[99:100], v[97:98], -v[103:104]
	v_mul_f64 v[99:100], v[99:100], v[109:110]
	v_fma_f64 v[99:100], v[101:102], v[97:98], v[99:100]
	s_waitcnt vmcnt(2)
	v_add_f64 v[105:106], v[105:106], -v[103:104]
	s_waitcnt vmcnt(0)
	v_add_f64 v[107:108], v[107:108], -v[99:100]
	buffer_store_dword v105, off, s[20:23], 0 offset:416 ; 4-byte Folded Spill
	s_nop 0
	buffer_store_dword v106, off, s[20:23], 0 offset:420 ; 4-byte Folded Spill
	buffer_store_dword v107, off, s[20:23], 0 offset:424 ; 4-byte Folded Spill
	buffer_store_dword v108, off, s[20:23], 0 offset:428 ; 4-byte Folded Spill
	ds_read2_b64 v[99:102], v125 offset0:40 offset1:41
	buffer_load_dword v105, off, s[20:23], 0 offset:400 ; 4-byte Folded Reload
	buffer_load_dword v106, off, s[20:23], 0 offset:404 ; 4-byte Folded Reload
	buffer_load_dword v107, off, s[20:23], 0 offset:408 ; 4-byte Folded Reload
	buffer_load_dword v108, off, s[20:23], 0 offset:412 ; 4-byte Folded Reload
	s_waitcnt lgkmcnt(0)
	v_mul_f64 v[103:104], v[101:102], v[109:110]
	v_fma_f64 v[103:104], v[99:100], v[97:98], -v[103:104]
	v_mul_f64 v[99:100], v[99:100], v[109:110]
	v_fma_f64 v[99:100], v[101:102], v[97:98], v[99:100]
	s_waitcnt vmcnt(2)
	v_add_f64 v[105:106], v[105:106], -v[103:104]
	s_waitcnt vmcnt(0)
	v_add_f64 v[107:108], v[107:108], -v[99:100]
	buffer_store_dword v105, off, s[20:23], 0 offset:400 ; 4-byte Folded Spill
	s_nop 0
	buffer_store_dword v106, off, s[20:23], 0 offset:404 ; 4-byte Folded Spill
	buffer_store_dword v107, off, s[20:23], 0 offset:408 ; 4-byte Folded Spill
	buffer_store_dword v108, off, s[20:23], 0 offset:412 ; 4-byte Folded Spill
	ds_read2_b64 v[99:102], v125 offset0:42 offset1:43
	;; [unrolled: 19-line block ×16, first 2 shown]
	v_mov_b32_e32 v108, v98
	v_mov_b32_e32 v107, v97
	s_waitcnt lgkmcnt(0)
	v_mul_f64 v[103:104], v[101:102], v[109:110]
	v_fma_f64 v[103:104], v[99:100], v[97:98], -v[103:104]
	v_mul_f64 v[99:100], v[99:100], v[109:110]
	v_add_f64 v[91:92], v[91:92], -v[103:104]
	v_fma_f64 v[99:100], v[101:102], v[97:98], v[99:100]
	v_add_f64 v[93:94], v[93:94], -v[99:100]
	ds_read2_b64 v[99:102], v125 offset0:72 offset1:73
	buffer_load_dword v77, off, s[20:23], 0 offset:160 ; 4-byte Folded Reload
	buffer_load_dword v78, off, s[20:23], 0 offset:164 ; 4-byte Folded Reload
	buffer_load_dword v79, off, s[20:23], 0 offset:168 ; 4-byte Folded Reload
	buffer_load_dword v80, off, s[20:23], 0 offset:172 ; 4-byte Folded Reload
	s_waitcnt lgkmcnt(0)
	v_mul_f64 v[103:104], v[101:102], v[109:110]
	v_fma_f64 v[103:104], v[99:100], v[97:98], -v[103:104]
	v_mul_f64 v[99:100], v[99:100], v[109:110]
	v_fma_f64 v[99:100], v[101:102], v[97:98], v[99:100]
	s_waitcnt vmcnt(2)
	v_add_f64 v[77:78], v[77:78], -v[103:104]
	s_waitcnt vmcnt(0)
	v_add_f64 v[79:80], v[79:80], -v[99:100]
	buffer_store_dword v77, off, s[20:23], 0 offset:160 ; 4-byte Folded Spill
	s_nop 0
	buffer_store_dword v78, off, s[20:23], 0 offset:164 ; 4-byte Folded Spill
	buffer_store_dword v79, off, s[20:23], 0 offset:168 ; 4-byte Folded Spill
	buffer_store_dword v80, off, s[20:23], 0 offset:172 ; 4-byte Folded Spill
	ds_read2_b64 v[99:102], v125 offset0:74 offset1:75
	buffer_load_dword v77, off, s[20:23], 0 offset:144 ; 4-byte Folded Reload
	buffer_load_dword v78, off, s[20:23], 0 offset:148 ; 4-byte Folded Reload
	buffer_load_dword v79, off, s[20:23], 0 offset:152 ; 4-byte Folded Reload
	buffer_load_dword v80, off, s[20:23], 0 offset:156 ; 4-byte Folded Reload
	s_waitcnt lgkmcnt(0)
	v_mul_f64 v[103:104], v[101:102], v[109:110]
	v_fma_f64 v[103:104], v[99:100], v[97:98], -v[103:104]
	v_mul_f64 v[99:100], v[99:100], v[109:110]
	v_fma_f64 v[99:100], v[101:102], v[97:98], v[99:100]
	s_waitcnt vmcnt(2)
	v_add_f64 v[77:78], v[77:78], -v[103:104]
	s_waitcnt vmcnt(0)
	v_add_f64 v[79:80], v[79:80], -v[99:100]
	buffer_store_dword v77, off, s[20:23], 0 offset:144 ; 4-byte Folded Spill
	s_nop 0
	buffer_store_dword v78, off, s[20:23], 0 offset:148 ; 4-byte Folded Spill
	buffer_store_dword v79, off, s[20:23], 0 offset:152 ; 4-byte Folded Spill
	buffer_store_dword v80, off, s[20:23], 0 offset:156 ; 4-byte Folded Spill
	;; [unrolled: 19-line block ×10, first 2 shown]
	ds_read2_b64 v[99:102], v125 offset0:92 offset1:93
	buffer_load_dword v41, off, s[20:23], 0 ; 4-byte Folded Reload
	buffer_load_dword v42, off, s[20:23], 0 offset:4 ; 4-byte Folded Reload
	buffer_load_dword v43, off, s[20:23], 0 offset:8 ; 4-byte Folded Reload
	;; [unrolled: 1-line block ×3, first 2 shown]
	s_waitcnt lgkmcnt(0)
	v_mul_f64 v[103:104], v[101:102], v[109:110]
	v_fma_f64 v[103:104], v[99:100], v[97:98], -v[103:104]
	v_mul_f64 v[99:100], v[99:100], v[109:110]
	v_fma_f64 v[99:100], v[101:102], v[97:98], v[99:100]
	s_waitcnt vmcnt(2)
	v_add_f64 v[41:42], v[41:42], -v[103:104]
	s_waitcnt vmcnt(0)
	v_add_f64 v[43:44], v[43:44], -v[99:100]
	buffer_store_dword v41, off, s[20:23], 0 ; 4-byte Folded Spill
	s_nop 0
	buffer_store_dword v42, off, s[20:23], 0 offset:4 ; 4-byte Folded Spill
	buffer_store_dword v43, off, s[20:23], 0 offset:8 ; 4-byte Folded Spill
	;; [unrolled: 1-line block ×3, first 2 shown]
	ds_read2_b64 v[99:102], v125 offset0:94 offset1:95
	s_waitcnt lgkmcnt(0)
	v_mul_f64 v[103:104], v[101:102], v[109:110]
	v_fma_f64 v[103:104], v[99:100], v[97:98], -v[103:104]
	v_mul_f64 v[99:100], v[99:100], v[109:110]
	v_add_f64 v[37:38], v[37:38], -v[103:104]
	v_fma_f64 v[99:100], v[101:102], v[97:98], v[99:100]
	v_add_f64 v[39:40], v[39:40], -v[99:100]
	ds_read2_b64 v[99:102], v125 offset0:96 offset1:97
	s_waitcnt lgkmcnt(0)
	v_mul_f64 v[103:104], v[101:102], v[109:110]
	v_fma_f64 v[103:104], v[99:100], v[97:98], -v[103:104]
	v_mul_f64 v[99:100], v[99:100], v[109:110]
	v_add_f64 v[33:34], v[33:34], -v[103:104]
	v_fma_f64 v[99:100], v[101:102], v[97:98], v[99:100]
	v_add_f64 v[35:36], v[35:36], -v[99:100]
	;; [unrolled: 8-line block ×10, first 2 shown]
	ds_read2_b64 v[99:102], v125 offset0:114 offset1:115
	s_waitcnt lgkmcnt(0)
	v_mul_f64 v[103:104], v[101:102], v[109:110]
	v_fma_f64 v[103:104], v[99:100], v[97:98], -v[103:104]
	v_mul_f64 v[99:100], v[99:100], v[109:110]
	buffer_store_dword v107, off, s[20:23], 0 offset:432 ; 4-byte Folded Spill
	s_nop 0
	buffer_store_dword v108, off, s[20:23], 0 offset:436 ; 4-byte Folded Spill
	buffer_store_dword v109, off, s[20:23], 0 offset:440 ; 4-byte Folded Spill
	;; [unrolled: 1-line block ×3, first 2 shown]
	v_add_f64 v[121:122], v[121:122], -v[103:104]
	v_fma_f64 v[99:100], v[101:102], v[97:98], v[99:100]
	v_add_f64 v[123:124], v[123:124], -v[99:100]
.LBB115_172:
	s_or_b64 exec, exec, s[2:3]
	v_cmp_eq_u32_e32 vcc, 19, v0
	s_waitcnt vmcnt(0)
	s_barrier
	s_and_saveexec_b64 s[4:5], vcc
	s_cbranch_execz .LBB115_179
; %bb.173:
	buffer_load_dword v95, off, s[20:23], 0 offset:416 ; 4-byte Folded Reload
	buffer_load_dword v96, off, s[20:23], 0 offset:420 ; 4-byte Folded Reload
	;; [unrolled: 1-line block ×4, first 2 shown]
	s_waitcnt vmcnt(0)
	ds_write2_b64 v127, v[95:96], v[97:98] offset1:1
	buffer_load_dword v95, off, s[20:23], 0 offset:400 ; 4-byte Folded Reload
	buffer_load_dword v96, off, s[20:23], 0 offset:404 ; 4-byte Folded Reload
	buffer_load_dword v97, off, s[20:23], 0 offset:408 ; 4-byte Folded Reload
	buffer_load_dword v98, off, s[20:23], 0 offset:412 ; 4-byte Folded Reload
	s_waitcnt vmcnt(0)
	ds_write2_b64 v125, v[95:96], v[97:98] offset0:40 offset1:41
	buffer_load_dword v95, off, s[20:23], 0 offset:384 ; 4-byte Folded Reload
	buffer_load_dword v96, off, s[20:23], 0 offset:388 ; 4-byte Folded Reload
	buffer_load_dword v97, off, s[20:23], 0 offset:392 ; 4-byte Folded Reload
	buffer_load_dword v98, off, s[20:23], 0 offset:396 ; 4-byte Folded Reload
	s_waitcnt vmcnt(0)
	ds_write2_b64 v125, v[95:96], v[97:98] offset0:42 offset1:43
	;; [unrolled: 6-line block ×15, first 2 shown]
	ds_write2_b64 v125, v[91:92], v[93:94] offset0:70 offset1:71
	buffer_load_dword v77, off, s[20:23], 0 offset:160 ; 4-byte Folded Reload
	buffer_load_dword v78, off, s[20:23], 0 offset:164 ; 4-byte Folded Reload
	buffer_load_dword v79, off, s[20:23], 0 offset:168 ; 4-byte Folded Reload
	buffer_load_dword v80, off, s[20:23], 0 offset:172 ; 4-byte Folded Reload
	s_waitcnt vmcnt(0)
	ds_write2_b64 v125, v[77:78], v[79:80] offset0:72 offset1:73
	buffer_load_dword v77, off, s[20:23], 0 offset:144 ; 4-byte Folded Reload
	buffer_load_dword v78, off, s[20:23], 0 offset:148 ; 4-byte Folded Reload
	buffer_load_dword v79, off, s[20:23], 0 offset:152 ; 4-byte Folded Reload
	buffer_load_dword v80, off, s[20:23], 0 offset:156 ; 4-byte Folded Reload
	s_waitcnt vmcnt(0)
	;; [unrolled: 6-line block ×10, first 2 shown]
	ds_write2_b64 v125, v[45:46], v[47:48] offset0:90 offset1:91
	buffer_load_dword v41, off, s[20:23], 0 ; 4-byte Folded Reload
	buffer_load_dword v42, off, s[20:23], 0 offset:4 ; 4-byte Folded Reload
	buffer_load_dword v43, off, s[20:23], 0 offset:8 ; 4-byte Folded Reload
	;; [unrolled: 1-line block ×3, first 2 shown]
	s_waitcnt vmcnt(0)
	ds_write2_b64 v125, v[41:42], v[43:44] offset0:92 offset1:93
	ds_write2_b64 v125, v[37:38], v[39:40] offset0:94 offset1:95
	ds_write2_b64 v125, v[33:34], v[35:36] offset0:96 offset1:97
	ds_write2_b64 v125, v[29:30], v[31:32] offset0:98 offset1:99
	ds_write2_b64 v125, v[25:26], v[27:28] offset0:100 offset1:101
	ds_write2_b64 v125, v[21:22], v[23:24] offset0:102 offset1:103
	ds_write2_b64 v125, v[17:18], v[19:20] offset0:104 offset1:105
	ds_write2_b64 v125, v[13:14], v[15:16] offset0:106 offset1:107
	ds_write2_b64 v125, v[9:10], v[11:12] offset0:108 offset1:109
	ds_write2_b64 v125, v[5:6], v[7:8] offset0:110 offset1:111
	ds_write2_b64 v125, v[1:2], v[3:4] offset0:112 offset1:113
	ds_write2_b64 v125, v[121:122], v[123:124] offset0:114 offset1:115
	ds_read2_b64 v[97:100], v127 offset1:1
	s_waitcnt lgkmcnt(0)
	v_cmp_neq_f64_e32 vcc, 0, v[97:98]
	v_cmp_neq_f64_e64 s[2:3], 0, v[99:100]
	s_or_b64 s[2:3], vcc, s[2:3]
	s_and_b64 exec, exec, s[2:3]
	s_cbranch_execz .LBB115_179
; %bb.174:
	v_cmp_ngt_f64_e64 s[2:3], |v[97:98]|, |v[99:100]|
                                        ; implicit-def: $vgpr101_vgpr102
	s_and_saveexec_b64 s[6:7], s[2:3]
	s_xor_b64 s[2:3], exec, s[6:7]
                                        ; implicit-def: $vgpr103_vgpr104
	s_cbranch_execz .LBB115_176
; %bb.175:
	v_div_scale_f64 v[101:102], s[6:7], v[99:100], v[99:100], v[97:98]
	v_rcp_f64_e32 v[103:104], v[101:102]
	v_fma_f64 v[105:106], -v[101:102], v[103:104], 1.0
	v_fma_f64 v[103:104], v[103:104], v[105:106], v[103:104]
	v_div_scale_f64 v[105:106], vcc, v[97:98], v[99:100], v[97:98]
	v_fma_f64 v[107:108], -v[101:102], v[103:104], 1.0
	v_fma_f64 v[103:104], v[103:104], v[107:108], v[103:104]
	v_mul_f64 v[107:108], v[105:106], v[103:104]
	v_fma_f64 v[101:102], -v[101:102], v[107:108], v[105:106]
	v_div_fmas_f64 v[101:102], v[101:102], v[103:104], v[107:108]
	v_div_fixup_f64 v[101:102], v[101:102], v[99:100], v[97:98]
	v_fma_f64 v[97:98], v[97:98], v[101:102], v[99:100]
	v_div_scale_f64 v[99:100], s[6:7], v[97:98], v[97:98], 1.0
	v_div_scale_f64 v[107:108], vcc, 1.0, v[97:98], 1.0
	v_rcp_f64_e32 v[103:104], v[99:100]
	v_fma_f64 v[105:106], -v[99:100], v[103:104], 1.0
	v_fma_f64 v[103:104], v[103:104], v[105:106], v[103:104]
	v_fma_f64 v[105:106], -v[99:100], v[103:104], 1.0
	v_fma_f64 v[103:104], v[103:104], v[105:106], v[103:104]
	v_mul_f64 v[105:106], v[107:108], v[103:104]
	v_fma_f64 v[99:100], -v[99:100], v[105:106], v[107:108]
	v_div_fmas_f64 v[99:100], v[99:100], v[103:104], v[105:106]
	v_div_fixup_f64 v[103:104], v[99:100], v[97:98], 1.0
                                        ; implicit-def: $vgpr97_vgpr98
	v_mul_f64 v[101:102], v[101:102], v[103:104]
	v_xor_b32_e32 v104, 0x80000000, v104
.LBB115_176:
	s_andn2_saveexec_b64 s[2:3], s[2:3]
	s_cbranch_execz .LBB115_178
; %bb.177:
	v_div_scale_f64 v[101:102], s[6:7], v[97:98], v[97:98], v[99:100]
	v_rcp_f64_e32 v[103:104], v[101:102]
	v_fma_f64 v[105:106], -v[101:102], v[103:104], 1.0
	v_fma_f64 v[103:104], v[103:104], v[105:106], v[103:104]
	v_div_scale_f64 v[105:106], vcc, v[99:100], v[97:98], v[99:100]
	v_fma_f64 v[107:108], -v[101:102], v[103:104], 1.0
	v_fma_f64 v[103:104], v[103:104], v[107:108], v[103:104]
	v_mul_f64 v[107:108], v[105:106], v[103:104]
	v_fma_f64 v[101:102], -v[101:102], v[107:108], v[105:106]
	v_div_fmas_f64 v[101:102], v[101:102], v[103:104], v[107:108]
	v_div_fixup_f64 v[103:104], v[101:102], v[97:98], v[99:100]
	v_fma_f64 v[97:98], v[99:100], v[103:104], v[97:98]
	v_div_scale_f64 v[99:100], s[6:7], v[97:98], v[97:98], 1.0
	v_div_scale_f64 v[107:108], vcc, 1.0, v[97:98], 1.0
	v_rcp_f64_e32 v[101:102], v[99:100]
	v_fma_f64 v[105:106], -v[99:100], v[101:102], 1.0
	v_fma_f64 v[101:102], v[101:102], v[105:106], v[101:102]
	v_fma_f64 v[105:106], -v[99:100], v[101:102], 1.0
	v_fma_f64 v[101:102], v[101:102], v[105:106], v[101:102]
	v_mul_f64 v[105:106], v[107:108], v[101:102]
	v_fma_f64 v[99:100], -v[99:100], v[105:106], v[107:108]
	v_div_fmas_f64 v[99:100], v[99:100], v[101:102], v[105:106]
	v_div_fixup_f64 v[101:102], v[99:100], v[97:98], 1.0
	v_mul_f64 v[103:104], v[103:104], -v[101:102]
.LBB115_178:
	s_or_b64 exec, exec, s[2:3]
	ds_write2_b64 v127, v[101:102], v[103:104] offset1:1
.LBB115_179:
	s_or_b64 exec, exec, s[4:5]
	s_waitcnt lgkmcnt(0)
	s_barrier
	ds_read2_b64 v[87:90], v127 offset1:1
	v_cmp_lt_u32_e32 vcc, 19, v0
	s_waitcnt lgkmcnt(0)
	buffer_store_dword v87, off, s[20:23], 0 offset:1496 ; 4-byte Folded Spill
	s_nop 0
	buffer_store_dword v88, off, s[20:23], 0 offset:1500 ; 4-byte Folded Spill
	buffer_store_dword v89, off, s[20:23], 0 offset:1504 ; 4-byte Folded Spill
	;; [unrolled: 1-line block ×3, first 2 shown]
	s_and_saveexec_b64 s[2:3], vcc
	s_cbranch_execz .LBB115_181
; %bb.180:
	buffer_load_dword v107, off, s[20:23], 0 offset:416 ; 4-byte Folded Reload
	buffer_load_dword v108, off, s[20:23], 0 offset:420 ; 4-byte Folded Reload
	;; [unrolled: 1-line block ×8, first 2 shown]
	s_waitcnt vmcnt(2)
	v_mul_f64 v[99:100], v[87:88], v[109:110]
	s_waitcnt vmcnt(0)
	v_mul_f64 v[97:98], v[89:90], v[109:110]
	v_fma_f64 v[109:110], v[89:90], v[107:108], v[99:100]
	ds_read2_b64 v[99:102], v125 offset0:40 offset1:41
	v_fma_f64 v[97:98], v[87:88], v[107:108], -v[97:98]
	buffer_load_dword v105, off, s[20:23], 0 offset:400 ; 4-byte Folded Reload
	buffer_load_dword v106, off, s[20:23], 0 offset:404 ; 4-byte Folded Reload
	buffer_load_dword v107, off, s[20:23], 0 offset:408 ; 4-byte Folded Reload
	buffer_load_dword v108, off, s[20:23], 0 offset:412 ; 4-byte Folded Reload
	s_waitcnt lgkmcnt(0)
	v_mul_f64 v[103:104], v[101:102], v[109:110]
	v_fma_f64 v[103:104], v[99:100], v[97:98], -v[103:104]
	v_mul_f64 v[99:100], v[99:100], v[109:110]
	v_fma_f64 v[99:100], v[101:102], v[97:98], v[99:100]
	s_waitcnt vmcnt(2)
	v_add_f64 v[105:106], v[105:106], -v[103:104]
	s_waitcnt vmcnt(0)
	v_add_f64 v[107:108], v[107:108], -v[99:100]
	buffer_store_dword v105, off, s[20:23], 0 offset:400 ; 4-byte Folded Spill
	s_nop 0
	buffer_store_dword v106, off, s[20:23], 0 offset:404 ; 4-byte Folded Spill
	buffer_store_dword v107, off, s[20:23], 0 offset:408 ; 4-byte Folded Spill
	buffer_store_dword v108, off, s[20:23], 0 offset:412 ; 4-byte Folded Spill
	ds_read2_b64 v[99:102], v125 offset0:42 offset1:43
	buffer_load_dword v105, off, s[20:23], 0 offset:384 ; 4-byte Folded Reload
	buffer_load_dword v106, off, s[20:23], 0 offset:388 ; 4-byte Folded Reload
	buffer_load_dword v107, off, s[20:23], 0 offset:392 ; 4-byte Folded Reload
	buffer_load_dword v108, off, s[20:23], 0 offset:396 ; 4-byte Folded Reload
	s_waitcnt lgkmcnt(0)
	v_mul_f64 v[103:104], v[101:102], v[109:110]
	v_fma_f64 v[103:104], v[99:100], v[97:98], -v[103:104]
	v_mul_f64 v[99:100], v[99:100], v[109:110]
	v_fma_f64 v[99:100], v[101:102], v[97:98], v[99:100]
	s_waitcnt vmcnt(2)
	v_add_f64 v[105:106], v[105:106], -v[103:104]
	s_waitcnt vmcnt(0)
	v_add_f64 v[107:108], v[107:108], -v[99:100]
	buffer_store_dword v105, off, s[20:23], 0 offset:384 ; 4-byte Folded Spill
	s_nop 0
	buffer_store_dword v106, off, s[20:23], 0 offset:388 ; 4-byte Folded Spill
	buffer_store_dword v107, off, s[20:23], 0 offset:392 ; 4-byte Folded Spill
	buffer_store_dword v108, off, s[20:23], 0 offset:396 ; 4-byte Folded Spill
	ds_read2_b64 v[99:102], v125 offset0:44 offset1:45
	;; [unrolled: 19-line block ×15, first 2 shown]
	v_mov_b32_e32 v108, v98
	v_mov_b32_e32 v107, v97
	s_waitcnt lgkmcnt(0)
	v_mul_f64 v[103:104], v[101:102], v[109:110]
	v_fma_f64 v[103:104], v[99:100], v[97:98], -v[103:104]
	v_mul_f64 v[99:100], v[99:100], v[109:110]
	v_add_f64 v[91:92], v[91:92], -v[103:104]
	v_fma_f64 v[99:100], v[101:102], v[97:98], v[99:100]
	v_add_f64 v[93:94], v[93:94], -v[99:100]
	ds_read2_b64 v[99:102], v125 offset0:72 offset1:73
	buffer_load_dword v77, off, s[20:23], 0 offset:160 ; 4-byte Folded Reload
	buffer_load_dword v78, off, s[20:23], 0 offset:164 ; 4-byte Folded Reload
	buffer_load_dword v79, off, s[20:23], 0 offset:168 ; 4-byte Folded Reload
	buffer_load_dword v80, off, s[20:23], 0 offset:172 ; 4-byte Folded Reload
	s_waitcnt lgkmcnt(0)
	v_mul_f64 v[103:104], v[101:102], v[109:110]
	v_fma_f64 v[103:104], v[99:100], v[97:98], -v[103:104]
	v_mul_f64 v[99:100], v[99:100], v[109:110]
	v_fma_f64 v[99:100], v[101:102], v[97:98], v[99:100]
	s_waitcnt vmcnt(2)
	v_add_f64 v[77:78], v[77:78], -v[103:104]
	s_waitcnt vmcnt(0)
	v_add_f64 v[79:80], v[79:80], -v[99:100]
	buffer_store_dword v77, off, s[20:23], 0 offset:160 ; 4-byte Folded Spill
	s_nop 0
	buffer_store_dword v78, off, s[20:23], 0 offset:164 ; 4-byte Folded Spill
	buffer_store_dword v79, off, s[20:23], 0 offset:168 ; 4-byte Folded Spill
	buffer_store_dword v80, off, s[20:23], 0 offset:172 ; 4-byte Folded Spill
	ds_read2_b64 v[99:102], v125 offset0:74 offset1:75
	buffer_load_dword v77, off, s[20:23], 0 offset:144 ; 4-byte Folded Reload
	buffer_load_dword v78, off, s[20:23], 0 offset:148 ; 4-byte Folded Reload
	buffer_load_dword v79, off, s[20:23], 0 offset:152 ; 4-byte Folded Reload
	buffer_load_dword v80, off, s[20:23], 0 offset:156 ; 4-byte Folded Reload
	s_waitcnt lgkmcnt(0)
	v_mul_f64 v[103:104], v[101:102], v[109:110]
	v_fma_f64 v[103:104], v[99:100], v[97:98], -v[103:104]
	v_mul_f64 v[99:100], v[99:100], v[109:110]
	v_fma_f64 v[99:100], v[101:102], v[97:98], v[99:100]
	s_waitcnt vmcnt(2)
	v_add_f64 v[77:78], v[77:78], -v[103:104]
	s_waitcnt vmcnt(0)
	v_add_f64 v[79:80], v[79:80], -v[99:100]
	buffer_store_dword v77, off, s[20:23], 0 offset:144 ; 4-byte Folded Spill
	s_nop 0
	buffer_store_dword v78, off, s[20:23], 0 offset:148 ; 4-byte Folded Spill
	buffer_store_dword v79, off, s[20:23], 0 offset:152 ; 4-byte Folded Spill
	buffer_store_dword v80, off, s[20:23], 0 offset:156 ; 4-byte Folded Spill
	;; [unrolled: 19-line block ×10, first 2 shown]
	ds_read2_b64 v[99:102], v125 offset0:92 offset1:93
	buffer_load_dword v41, off, s[20:23], 0 ; 4-byte Folded Reload
	buffer_load_dword v42, off, s[20:23], 0 offset:4 ; 4-byte Folded Reload
	buffer_load_dword v43, off, s[20:23], 0 offset:8 ; 4-byte Folded Reload
	;; [unrolled: 1-line block ×3, first 2 shown]
	s_waitcnt lgkmcnt(0)
	v_mul_f64 v[103:104], v[101:102], v[109:110]
	v_fma_f64 v[103:104], v[99:100], v[97:98], -v[103:104]
	v_mul_f64 v[99:100], v[99:100], v[109:110]
	v_fma_f64 v[99:100], v[101:102], v[97:98], v[99:100]
	s_waitcnt vmcnt(2)
	v_add_f64 v[41:42], v[41:42], -v[103:104]
	s_waitcnt vmcnt(0)
	v_add_f64 v[43:44], v[43:44], -v[99:100]
	buffer_store_dword v41, off, s[20:23], 0 ; 4-byte Folded Spill
	s_nop 0
	buffer_store_dword v42, off, s[20:23], 0 offset:4 ; 4-byte Folded Spill
	buffer_store_dword v43, off, s[20:23], 0 offset:8 ; 4-byte Folded Spill
	;; [unrolled: 1-line block ×3, first 2 shown]
	ds_read2_b64 v[99:102], v125 offset0:94 offset1:95
	s_waitcnt lgkmcnt(0)
	v_mul_f64 v[103:104], v[101:102], v[109:110]
	v_fma_f64 v[103:104], v[99:100], v[97:98], -v[103:104]
	v_mul_f64 v[99:100], v[99:100], v[109:110]
	v_add_f64 v[37:38], v[37:38], -v[103:104]
	v_fma_f64 v[99:100], v[101:102], v[97:98], v[99:100]
	v_add_f64 v[39:40], v[39:40], -v[99:100]
	ds_read2_b64 v[99:102], v125 offset0:96 offset1:97
	s_waitcnt lgkmcnt(0)
	v_mul_f64 v[103:104], v[101:102], v[109:110]
	v_fma_f64 v[103:104], v[99:100], v[97:98], -v[103:104]
	v_mul_f64 v[99:100], v[99:100], v[109:110]
	v_add_f64 v[33:34], v[33:34], -v[103:104]
	v_fma_f64 v[99:100], v[101:102], v[97:98], v[99:100]
	v_add_f64 v[35:36], v[35:36], -v[99:100]
	;; [unrolled: 8-line block ×10, first 2 shown]
	ds_read2_b64 v[99:102], v125 offset0:114 offset1:115
	s_waitcnt lgkmcnt(0)
	v_mul_f64 v[103:104], v[101:102], v[109:110]
	v_fma_f64 v[103:104], v[99:100], v[97:98], -v[103:104]
	v_mul_f64 v[99:100], v[99:100], v[109:110]
	buffer_store_dword v107, off, s[20:23], 0 offset:416 ; 4-byte Folded Spill
	s_nop 0
	buffer_store_dword v108, off, s[20:23], 0 offset:420 ; 4-byte Folded Spill
	buffer_store_dword v109, off, s[20:23], 0 offset:424 ; 4-byte Folded Spill
	;; [unrolled: 1-line block ×3, first 2 shown]
	v_add_f64 v[121:122], v[121:122], -v[103:104]
	v_fma_f64 v[99:100], v[101:102], v[97:98], v[99:100]
	v_add_f64 v[123:124], v[123:124], -v[99:100]
.LBB115_181:
	s_or_b64 exec, exec, s[2:3]
	v_cmp_eq_u32_e32 vcc, 20, v0
	s_waitcnt vmcnt(0)
	s_barrier
	s_and_saveexec_b64 s[4:5], vcc
	s_cbranch_execz .LBB115_188
; %bb.182:
	buffer_load_dword v95, off, s[20:23], 0 offset:400 ; 4-byte Folded Reload
	buffer_load_dword v96, off, s[20:23], 0 offset:404 ; 4-byte Folded Reload
	;; [unrolled: 1-line block ×4, first 2 shown]
	s_waitcnt vmcnt(0)
	ds_write2_b64 v127, v[95:96], v[97:98] offset1:1
	buffer_load_dword v95, off, s[20:23], 0 offset:384 ; 4-byte Folded Reload
	buffer_load_dword v96, off, s[20:23], 0 offset:388 ; 4-byte Folded Reload
	buffer_load_dword v97, off, s[20:23], 0 offset:392 ; 4-byte Folded Reload
	buffer_load_dword v98, off, s[20:23], 0 offset:396 ; 4-byte Folded Reload
	s_waitcnt vmcnt(0)
	ds_write2_b64 v125, v[95:96], v[97:98] offset0:42 offset1:43
	buffer_load_dword v95, off, s[20:23], 0 offset:368 ; 4-byte Folded Reload
	buffer_load_dword v96, off, s[20:23], 0 offset:372 ; 4-byte Folded Reload
	buffer_load_dword v97, off, s[20:23], 0 offset:376 ; 4-byte Folded Reload
	buffer_load_dword v98, off, s[20:23], 0 offset:380 ; 4-byte Folded Reload
	s_waitcnt vmcnt(0)
	ds_write2_b64 v125, v[95:96], v[97:98] offset0:44 offset1:45
	;; [unrolled: 6-line block ×14, first 2 shown]
	ds_write2_b64 v125, v[91:92], v[93:94] offset0:70 offset1:71
	buffer_load_dword v77, off, s[20:23], 0 offset:160 ; 4-byte Folded Reload
	buffer_load_dword v78, off, s[20:23], 0 offset:164 ; 4-byte Folded Reload
	buffer_load_dword v79, off, s[20:23], 0 offset:168 ; 4-byte Folded Reload
	buffer_load_dword v80, off, s[20:23], 0 offset:172 ; 4-byte Folded Reload
	s_waitcnt vmcnt(0)
	ds_write2_b64 v125, v[77:78], v[79:80] offset0:72 offset1:73
	buffer_load_dword v77, off, s[20:23], 0 offset:144 ; 4-byte Folded Reload
	buffer_load_dword v78, off, s[20:23], 0 offset:148 ; 4-byte Folded Reload
	buffer_load_dword v79, off, s[20:23], 0 offset:152 ; 4-byte Folded Reload
	buffer_load_dword v80, off, s[20:23], 0 offset:156 ; 4-byte Folded Reload
	s_waitcnt vmcnt(0)
	;; [unrolled: 6-line block ×10, first 2 shown]
	ds_write2_b64 v125, v[45:46], v[47:48] offset0:90 offset1:91
	buffer_load_dword v41, off, s[20:23], 0 ; 4-byte Folded Reload
	buffer_load_dword v42, off, s[20:23], 0 offset:4 ; 4-byte Folded Reload
	buffer_load_dword v43, off, s[20:23], 0 offset:8 ; 4-byte Folded Reload
	;; [unrolled: 1-line block ×3, first 2 shown]
	s_waitcnt vmcnt(0)
	ds_write2_b64 v125, v[41:42], v[43:44] offset0:92 offset1:93
	ds_write2_b64 v125, v[37:38], v[39:40] offset0:94 offset1:95
	;; [unrolled: 1-line block ×12, first 2 shown]
	ds_read2_b64 v[97:100], v127 offset1:1
	s_waitcnt lgkmcnt(0)
	v_cmp_neq_f64_e32 vcc, 0, v[97:98]
	v_cmp_neq_f64_e64 s[2:3], 0, v[99:100]
	s_or_b64 s[2:3], vcc, s[2:3]
	s_and_b64 exec, exec, s[2:3]
	s_cbranch_execz .LBB115_188
; %bb.183:
	v_cmp_ngt_f64_e64 s[2:3], |v[97:98]|, |v[99:100]|
                                        ; implicit-def: $vgpr101_vgpr102
	s_and_saveexec_b64 s[6:7], s[2:3]
	s_xor_b64 s[2:3], exec, s[6:7]
                                        ; implicit-def: $vgpr103_vgpr104
	s_cbranch_execz .LBB115_185
; %bb.184:
	v_div_scale_f64 v[101:102], s[6:7], v[99:100], v[99:100], v[97:98]
	v_rcp_f64_e32 v[103:104], v[101:102]
	v_fma_f64 v[105:106], -v[101:102], v[103:104], 1.0
	v_fma_f64 v[103:104], v[103:104], v[105:106], v[103:104]
	v_div_scale_f64 v[105:106], vcc, v[97:98], v[99:100], v[97:98]
	v_fma_f64 v[107:108], -v[101:102], v[103:104], 1.0
	v_fma_f64 v[103:104], v[103:104], v[107:108], v[103:104]
	v_mul_f64 v[107:108], v[105:106], v[103:104]
	v_fma_f64 v[101:102], -v[101:102], v[107:108], v[105:106]
	v_div_fmas_f64 v[101:102], v[101:102], v[103:104], v[107:108]
	v_div_fixup_f64 v[101:102], v[101:102], v[99:100], v[97:98]
	v_fma_f64 v[97:98], v[97:98], v[101:102], v[99:100]
	v_div_scale_f64 v[99:100], s[6:7], v[97:98], v[97:98], 1.0
	v_div_scale_f64 v[107:108], vcc, 1.0, v[97:98], 1.0
	v_rcp_f64_e32 v[103:104], v[99:100]
	v_fma_f64 v[105:106], -v[99:100], v[103:104], 1.0
	v_fma_f64 v[103:104], v[103:104], v[105:106], v[103:104]
	v_fma_f64 v[105:106], -v[99:100], v[103:104], 1.0
	v_fma_f64 v[103:104], v[103:104], v[105:106], v[103:104]
	v_mul_f64 v[105:106], v[107:108], v[103:104]
	v_fma_f64 v[99:100], -v[99:100], v[105:106], v[107:108]
	v_div_fmas_f64 v[99:100], v[99:100], v[103:104], v[105:106]
	v_div_fixup_f64 v[103:104], v[99:100], v[97:98], 1.0
                                        ; implicit-def: $vgpr97_vgpr98
	v_mul_f64 v[101:102], v[101:102], v[103:104]
	v_xor_b32_e32 v104, 0x80000000, v104
.LBB115_185:
	s_andn2_saveexec_b64 s[2:3], s[2:3]
	s_cbranch_execz .LBB115_187
; %bb.186:
	v_div_scale_f64 v[101:102], s[6:7], v[97:98], v[97:98], v[99:100]
	v_rcp_f64_e32 v[103:104], v[101:102]
	v_fma_f64 v[105:106], -v[101:102], v[103:104], 1.0
	v_fma_f64 v[103:104], v[103:104], v[105:106], v[103:104]
	v_div_scale_f64 v[105:106], vcc, v[99:100], v[97:98], v[99:100]
	v_fma_f64 v[107:108], -v[101:102], v[103:104], 1.0
	v_fma_f64 v[103:104], v[103:104], v[107:108], v[103:104]
	v_mul_f64 v[107:108], v[105:106], v[103:104]
	v_fma_f64 v[101:102], -v[101:102], v[107:108], v[105:106]
	v_div_fmas_f64 v[101:102], v[101:102], v[103:104], v[107:108]
	v_div_fixup_f64 v[103:104], v[101:102], v[97:98], v[99:100]
	v_fma_f64 v[97:98], v[99:100], v[103:104], v[97:98]
	v_div_scale_f64 v[99:100], s[6:7], v[97:98], v[97:98], 1.0
	v_div_scale_f64 v[107:108], vcc, 1.0, v[97:98], 1.0
	v_rcp_f64_e32 v[101:102], v[99:100]
	v_fma_f64 v[105:106], -v[99:100], v[101:102], 1.0
	v_fma_f64 v[101:102], v[101:102], v[105:106], v[101:102]
	v_fma_f64 v[105:106], -v[99:100], v[101:102], 1.0
	v_fma_f64 v[101:102], v[101:102], v[105:106], v[101:102]
	v_mul_f64 v[105:106], v[107:108], v[101:102]
	v_fma_f64 v[99:100], -v[99:100], v[105:106], v[107:108]
	v_div_fmas_f64 v[99:100], v[99:100], v[101:102], v[105:106]
	v_div_fixup_f64 v[101:102], v[99:100], v[97:98], 1.0
	v_mul_f64 v[103:104], v[103:104], -v[101:102]
.LBB115_187:
	s_or_b64 exec, exec, s[2:3]
	ds_write2_b64 v127, v[101:102], v[103:104] offset1:1
.LBB115_188:
	s_or_b64 exec, exec, s[4:5]
	s_waitcnt lgkmcnt(0)
	s_barrier
	ds_read2_b64 v[87:90], v127 offset1:1
	v_cmp_lt_u32_e32 vcc, 20, v0
	s_waitcnt lgkmcnt(0)
	buffer_store_dword v87, off, s[20:23], 0 offset:1512 ; 4-byte Folded Spill
	s_nop 0
	buffer_store_dword v88, off, s[20:23], 0 offset:1516 ; 4-byte Folded Spill
	buffer_store_dword v89, off, s[20:23], 0 offset:1520 ; 4-byte Folded Spill
	;; [unrolled: 1-line block ×3, first 2 shown]
	s_and_saveexec_b64 s[2:3], vcc
	s_cbranch_execz .LBB115_190
; %bb.189:
	buffer_load_dword v107, off, s[20:23], 0 offset:400 ; 4-byte Folded Reload
	buffer_load_dword v108, off, s[20:23], 0 offset:404 ; 4-byte Folded Reload
	;; [unrolled: 1-line block ×8, first 2 shown]
	s_waitcnt vmcnt(2)
	v_mul_f64 v[99:100], v[87:88], v[109:110]
	s_waitcnt vmcnt(0)
	v_mul_f64 v[97:98], v[89:90], v[109:110]
	v_fma_f64 v[109:110], v[89:90], v[107:108], v[99:100]
	ds_read2_b64 v[99:102], v125 offset0:42 offset1:43
	v_fma_f64 v[97:98], v[87:88], v[107:108], -v[97:98]
	buffer_load_dword v105, off, s[20:23], 0 offset:384 ; 4-byte Folded Reload
	buffer_load_dword v106, off, s[20:23], 0 offset:388 ; 4-byte Folded Reload
	buffer_load_dword v107, off, s[20:23], 0 offset:392 ; 4-byte Folded Reload
	buffer_load_dword v108, off, s[20:23], 0 offset:396 ; 4-byte Folded Reload
	s_waitcnt lgkmcnt(0)
	v_mul_f64 v[103:104], v[101:102], v[109:110]
	v_fma_f64 v[103:104], v[99:100], v[97:98], -v[103:104]
	v_mul_f64 v[99:100], v[99:100], v[109:110]
	v_fma_f64 v[99:100], v[101:102], v[97:98], v[99:100]
	s_waitcnt vmcnt(2)
	v_add_f64 v[105:106], v[105:106], -v[103:104]
	s_waitcnt vmcnt(0)
	v_add_f64 v[107:108], v[107:108], -v[99:100]
	buffer_store_dword v105, off, s[20:23], 0 offset:384 ; 4-byte Folded Spill
	s_nop 0
	buffer_store_dword v106, off, s[20:23], 0 offset:388 ; 4-byte Folded Spill
	buffer_store_dword v107, off, s[20:23], 0 offset:392 ; 4-byte Folded Spill
	buffer_store_dword v108, off, s[20:23], 0 offset:396 ; 4-byte Folded Spill
	ds_read2_b64 v[99:102], v125 offset0:44 offset1:45
	buffer_load_dword v105, off, s[20:23], 0 offset:368 ; 4-byte Folded Reload
	buffer_load_dword v106, off, s[20:23], 0 offset:372 ; 4-byte Folded Reload
	buffer_load_dword v107, off, s[20:23], 0 offset:376 ; 4-byte Folded Reload
	buffer_load_dword v108, off, s[20:23], 0 offset:380 ; 4-byte Folded Reload
	s_waitcnt lgkmcnt(0)
	v_mul_f64 v[103:104], v[101:102], v[109:110]
	v_fma_f64 v[103:104], v[99:100], v[97:98], -v[103:104]
	v_mul_f64 v[99:100], v[99:100], v[109:110]
	v_fma_f64 v[99:100], v[101:102], v[97:98], v[99:100]
	s_waitcnt vmcnt(2)
	v_add_f64 v[105:106], v[105:106], -v[103:104]
	s_waitcnt vmcnt(0)
	v_add_f64 v[107:108], v[107:108], -v[99:100]
	buffer_store_dword v105, off, s[20:23], 0 offset:368 ; 4-byte Folded Spill
	s_nop 0
	buffer_store_dword v106, off, s[20:23], 0 offset:372 ; 4-byte Folded Spill
	buffer_store_dword v107, off, s[20:23], 0 offset:376 ; 4-byte Folded Spill
	buffer_store_dword v108, off, s[20:23], 0 offset:380 ; 4-byte Folded Spill
	ds_read2_b64 v[99:102], v125 offset0:46 offset1:47
	;; [unrolled: 19-line block ×14, first 2 shown]
	v_mov_b32_e32 v108, v98
	v_mov_b32_e32 v107, v97
	s_waitcnt lgkmcnt(0)
	v_mul_f64 v[103:104], v[101:102], v[109:110]
	v_fma_f64 v[103:104], v[99:100], v[97:98], -v[103:104]
	v_mul_f64 v[99:100], v[99:100], v[109:110]
	v_add_f64 v[91:92], v[91:92], -v[103:104]
	v_fma_f64 v[99:100], v[101:102], v[97:98], v[99:100]
	v_add_f64 v[93:94], v[93:94], -v[99:100]
	ds_read2_b64 v[99:102], v125 offset0:72 offset1:73
	buffer_load_dword v77, off, s[20:23], 0 offset:160 ; 4-byte Folded Reload
	buffer_load_dword v78, off, s[20:23], 0 offset:164 ; 4-byte Folded Reload
	buffer_load_dword v79, off, s[20:23], 0 offset:168 ; 4-byte Folded Reload
	buffer_load_dword v80, off, s[20:23], 0 offset:172 ; 4-byte Folded Reload
	s_waitcnt lgkmcnt(0)
	v_mul_f64 v[103:104], v[101:102], v[109:110]
	v_fma_f64 v[103:104], v[99:100], v[97:98], -v[103:104]
	v_mul_f64 v[99:100], v[99:100], v[109:110]
	v_fma_f64 v[99:100], v[101:102], v[97:98], v[99:100]
	s_waitcnt vmcnt(2)
	v_add_f64 v[77:78], v[77:78], -v[103:104]
	s_waitcnt vmcnt(0)
	v_add_f64 v[79:80], v[79:80], -v[99:100]
	buffer_store_dword v77, off, s[20:23], 0 offset:160 ; 4-byte Folded Spill
	s_nop 0
	buffer_store_dword v78, off, s[20:23], 0 offset:164 ; 4-byte Folded Spill
	buffer_store_dword v79, off, s[20:23], 0 offset:168 ; 4-byte Folded Spill
	buffer_store_dword v80, off, s[20:23], 0 offset:172 ; 4-byte Folded Spill
	ds_read2_b64 v[99:102], v125 offset0:74 offset1:75
	buffer_load_dword v77, off, s[20:23], 0 offset:144 ; 4-byte Folded Reload
	buffer_load_dword v78, off, s[20:23], 0 offset:148 ; 4-byte Folded Reload
	buffer_load_dword v79, off, s[20:23], 0 offset:152 ; 4-byte Folded Reload
	buffer_load_dword v80, off, s[20:23], 0 offset:156 ; 4-byte Folded Reload
	s_waitcnt lgkmcnt(0)
	v_mul_f64 v[103:104], v[101:102], v[109:110]
	v_fma_f64 v[103:104], v[99:100], v[97:98], -v[103:104]
	v_mul_f64 v[99:100], v[99:100], v[109:110]
	v_fma_f64 v[99:100], v[101:102], v[97:98], v[99:100]
	s_waitcnt vmcnt(2)
	v_add_f64 v[77:78], v[77:78], -v[103:104]
	s_waitcnt vmcnt(0)
	v_add_f64 v[79:80], v[79:80], -v[99:100]
	buffer_store_dword v77, off, s[20:23], 0 offset:144 ; 4-byte Folded Spill
	s_nop 0
	buffer_store_dword v78, off, s[20:23], 0 offset:148 ; 4-byte Folded Spill
	buffer_store_dword v79, off, s[20:23], 0 offset:152 ; 4-byte Folded Spill
	buffer_store_dword v80, off, s[20:23], 0 offset:156 ; 4-byte Folded Spill
	;; [unrolled: 19-line block ×10, first 2 shown]
	ds_read2_b64 v[99:102], v125 offset0:92 offset1:93
	buffer_load_dword v41, off, s[20:23], 0 ; 4-byte Folded Reload
	buffer_load_dword v42, off, s[20:23], 0 offset:4 ; 4-byte Folded Reload
	buffer_load_dword v43, off, s[20:23], 0 offset:8 ; 4-byte Folded Reload
	;; [unrolled: 1-line block ×3, first 2 shown]
	s_waitcnt lgkmcnt(0)
	v_mul_f64 v[103:104], v[101:102], v[109:110]
	v_fma_f64 v[103:104], v[99:100], v[97:98], -v[103:104]
	v_mul_f64 v[99:100], v[99:100], v[109:110]
	v_fma_f64 v[99:100], v[101:102], v[97:98], v[99:100]
	s_waitcnt vmcnt(2)
	v_add_f64 v[41:42], v[41:42], -v[103:104]
	s_waitcnt vmcnt(0)
	v_add_f64 v[43:44], v[43:44], -v[99:100]
	buffer_store_dword v41, off, s[20:23], 0 ; 4-byte Folded Spill
	s_nop 0
	buffer_store_dword v42, off, s[20:23], 0 offset:4 ; 4-byte Folded Spill
	buffer_store_dword v43, off, s[20:23], 0 offset:8 ; 4-byte Folded Spill
	;; [unrolled: 1-line block ×3, first 2 shown]
	ds_read2_b64 v[99:102], v125 offset0:94 offset1:95
	s_waitcnt lgkmcnt(0)
	v_mul_f64 v[103:104], v[101:102], v[109:110]
	v_fma_f64 v[103:104], v[99:100], v[97:98], -v[103:104]
	v_mul_f64 v[99:100], v[99:100], v[109:110]
	v_add_f64 v[37:38], v[37:38], -v[103:104]
	v_fma_f64 v[99:100], v[101:102], v[97:98], v[99:100]
	v_add_f64 v[39:40], v[39:40], -v[99:100]
	ds_read2_b64 v[99:102], v125 offset0:96 offset1:97
	s_waitcnt lgkmcnt(0)
	v_mul_f64 v[103:104], v[101:102], v[109:110]
	v_fma_f64 v[103:104], v[99:100], v[97:98], -v[103:104]
	v_mul_f64 v[99:100], v[99:100], v[109:110]
	v_add_f64 v[33:34], v[33:34], -v[103:104]
	v_fma_f64 v[99:100], v[101:102], v[97:98], v[99:100]
	v_add_f64 v[35:36], v[35:36], -v[99:100]
	;; [unrolled: 8-line block ×10, first 2 shown]
	ds_read2_b64 v[99:102], v125 offset0:114 offset1:115
	s_waitcnt lgkmcnt(0)
	v_mul_f64 v[103:104], v[101:102], v[109:110]
	v_fma_f64 v[103:104], v[99:100], v[97:98], -v[103:104]
	v_mul_f64 v[99:100], v[99:100], v[109:110]
	buffer_store_dword v107, off, s[20:23], 0 offset:400 ; 4-byte Folded Spill
	s_nop 0
	buffer_store_dword v108, off, s[20:23], 0 offset:404 ; 4-byte Folded Spill
	buffer_store_dword v109, off, s[20:23], 0 offset:408 ; 4-byte Folded Spill
	;; [unrolled: 1-line block ×3, first 2 shown]
	v_add_f64 v[121:122], v[121:122], -v[103:104]
	v_fma_f64 v[99:100], v[101:102], v[97:98], v[99:100]
	v_add_f64 v[123:124], v[123:124], -v[99:100]
.LBB115_190:
	s_or_b64 exec, exec, s[2:3]
	v_cmp_eq_u32_e32 vcc, 21, v0
	s_waitcnt vmcnt(0)
	s_barrier
	s_and_saveexec_b64 s[4:5], vcc
	s_cbranch_execz .LBB115_197
; %bb.191:
	buffer_load_dword v95, off, s[20:23], 0 offset:384 ; 4-byte Folded Reload
	buffer_load_dword v96, off, s[20:23], 0 offset:388 ; 4-byte Folded Reload
	;; [unrolled: 1-line block ×4, first 2 shown]
	s_waitcnt vmcnt(0)
	ds_write2_b64 v127, v[95:96], v[97:98] offset1:1
	buffer_load_dword v95, off, s[20:23], 0 offset:368 ; 4-byte Folded Reload
	buffer_load_dword v96, off, s[20:23], 0 offset:372 ; 4-byte Folded Reload
	buffer_load_dword v97, off, s[20:23], 0 offset:376 ; 4-byte Folded Reload
	buffer_load_dword v98, off, s[20:23], 0 offset:380 ; 4-byte Folded Reload
	s_waitcnt vmcnt(0)
	ds_write2_b64 v125, v[95:96], v[97:98] offset0:44 offset1:45
	buffer_load_dword v95, off, s[20:23], 0 offset:352 ; 4-byte Folded Reload
	buffer_load_dword v96, off, s[20:23], 0 offset:356 ; 4-byte Folded Reload
	buffer_load_dword v97, off, s[20:23], 0 offset:360 ; 4-byte Folded Reload
	buffer_load_dword v98, off, s[20:23], 0 offset:364 ; 4-byte Folded Reload
	s_waitcnt vmcnt(0)
	ds_write2_b64 v125, v[95:96], v[97:98] offset0:46 offset1:47
	;; [unrolled: 6-line block ×13, first 2 shown]
	ds_write2_b64 v125, v[91:92], v[93:94] offset0:70 offset1:71
	buffer_load_dword v77, off, s[20:23], 0 offset:160 ; 4-byte Folded Reload
	buffer_load_dword v78, off, s[20:23], 0 offset:164 ; 4-byte Folded Reload
	buffer_load_dword v79, off, s[20:23], 0 offset:168 ; 4-byte Folded Reload
	buffer_load_dword v80, off, s[20:23], 0 offset:172 ; 4-byte Folded Reload
	s_waitcnt vmcnt(0)
	ds_write2_b64 v125, v[77:78], v[79:80] offset0:72 offset1:73
	buffer_load_dword v77, off, s[20:23], 0 offset:144 ; 4-byte Folded Reload
	buffer_load_dword v78, off, s[20:23], 0 offset:148 ; 4-byte Folded Reload
	buffer_load_dword v79, off, s[20:23], 0 offset:152 ; 4-byte Folded Reload
	buffer_load_dword v80, off, s[20:23], 0 offset:156 ; 4-byte Folded Reload
	s_waitcnt vmcnt(0)
	;; [unrolled: 6-line block ×10, first 2 shown]
	ds_write2_b64 v125, v[45:46], v[47:48] offset0:90 offset1:91
	buffer_load_dword v41, off, s[20:23], 0 ; 4-byte Folded Reload
	buffer_load_dword v42, off, s[20:23], 0 offset:4 ; 4-byte Folded Reload
	buffer_load_dword v43, off, s[20:23], 0 offset:8 ; 4-byte Folded Reload
	;; [unrolled: 1-line block ×3, first 2 shown]
	s_waitcnt vmcnt(0)
	ds_write2_b64 v125, v[41:42], v[43:44] offset0:92 offset1:93
	ds_write2_b64 v125, v[37:38], v[39:40] offset0:94 offset1:95
	;; [unrolled: 1-line block ×12, first 2 shown]
	ds_read2_b64 v[97:100], v127 offset1:1
	s_waitcnt lgkmcnt(0)
	v_cmp_neq_f64_e32 vcc, 0, v[97:98]
	v_cmp_neq_f64_e64 s[2:3], 0, v[99:100]
	s_or_b64 s[2:3], vcc, s[2:3]
	s_and_b64 exec, exec, s[2:3]
	s_cbranch_execz .LBB115_197
; %bb.192:
	v_cmp_ngt_f64_e64 s[2:3], |v[97:98]|, |v[99:100]|
                                        ; implicit-def: $vgpr101_vgpr102
	s_and_saveexec_b64 s[6:7], s[2:3]
	s_xor_b64 s[2:3], exec, s[6:7]
                                        ; implicit-def: $vgpr103_vgpr104
	s_cbranch_execz .LBB115_194
; %bb.193:
	v_div_scale_f64 v[101:102], s[6:7], v[99:100], v[99:100], v[97:98]
	v_rcp_f64_e32 v[103:104], v[101:102]
	v_fma_f64 v[105:106], -v[101:102], v[103:104], 1.0
	v_fma_f64 v[103:104], v[103:104], v[105:106], v[103:104]
	v_div_scale_f64 v[105:106], vcc, v[97:98], v[99:100], v[97:98]
	v_fma_f64 v[107:108], -v[101:102], v[103:104], 1.0
	v_fma_f64 v[103:104], v[103:104], v[107:108], v[103:104]
	v_mul_f64 v[107:108], v[105:106], v[103:104]
	v_fma_f64 v[101:102], -v[101:102], v[107:108], v[105:106]
	v_div_fmas_f64 v[101:102], v[101:102], v[103:104], v[107:108]
	v_div_fixup_f64 v[101:102], v[101:102], v[99:100], v[97:98]
	v_fma_f64 v[97:98], v[97:98], v[101:102], v[99:100]
	v_div_scale_f64 v[99:100], s[6:7], v[97:98], v[97:98], 1.0
	v_div_scale_f64 v[107:108], vcc, 1.0, v[97:98], 1.0
	v_rcp_f64_e32 v[103:104], v[99:100]
	v_fma_f64 v[105:106], -v[99:100], v[103:104], 1.0
	v_fma_f64 v[103:104], v[103:104], v[105:106], v[103:104]
	v_fma_f64 v[105:106], -v[99:100], v[103:104], 1.0
	v_fma_f64 v[103:104], v[103:104], v[105:106], v[103:104]
	v_mul_f64 v[105:106], v[107:108], v[103:104]
	v_fma_f64 v[99:100], -v[99:100], v[105:106], v[107:108]
	v_div_fmas_f64 v[99:100], v[99:100], v[103:104], v[105:106]
	v_div_fixup_f64 v[103:104], v[99:100], v[97:98], 1.0
                                        ; implicit-def: $vgpr97_vgpr98
	v_mul_f64 v[101:102], v[101:102], v[103:104]
	v_xor_b32_e32 v104, 0x80000000, v104
.LBB115_194:
	s_andn2_saveexec_b64 s[2:3], s[2:3]
	s_cbranch_execz .LBB115_196
; %bb.195:
	v_div_scale_f64 v[101:102], s[6:7], v[97:98], v[97:98], v[99:100]
	v_rcp_f64_e32 v[103:104], v[101:102]
	v_fma_f64 v[105:106], -v[101:102], v[103:104], 1.0
	v_fma_f64 v[103:104], v[103:104], v[105:106], v[103:104]
	v_div_scale_f64 v[105:106], vcc, v[99:100], v[97:98], v[99:100]
	v_fma_f64 v[107:108], -v[101:102], v[103:104], 1.0
	v_fma_f64 v[103:104], v[103:104], v[107:108], v[103:104]
	v_mul_f64 v[107:108], v[105:106], v[103:104]
	v_fma_f64 v[101:102], -v[101:102], v[107:108], v[105:106]
	v_div_fmas_f64 v[101:102], v[101:102], v[103:104], v[107:108]
	v_div_fixup_f64 v[103:104], v[101:102], v[97:98], v[99:100]
	v_fma_f64 v[97:98], v[99:100], v[103:104], v[97:98]
	v_div_scale_f64 v[99:100], s[6:7], v[97:98], v[97:98], 1.0
	v_div_scale_f64 v[107:108], vcc, 1.0, v[97:98], 1.0
	v_rcp_f64_e32 v[101:102], v[99:100]
	v_fma_f64 v[105:106], -v[99:100], v[101:102], 1.0
	v_fma_f64 v[101:102], v[101:102], v[105:106], v[101:102]
	v_fma_f64 v[105:106], -v[99:100], v[101:102], 1.0
	v_fma_f64 v[101:102], v[101:102], v[105:106], v[101:102]
	v_mul_f64 v[105:106], v[107:108], v[101:102]
	v_fma_f64 v[99:100], -v[99:100], v[105:106], v[107:108]
	v_div_fmas_f64 v[99:100], v[99:100], v[101:102], v[105:106]
	v_div_fixup_f64 v[101:102], v[99:100], v[97:98], 1.0
	v_mul_f64 v[103:104], v[103:104], -v[101:102]
.LBB115_196:
	s_or_b64 exec, exec, s[2:3]
	ds_write2_b64 v127, v[101:102], v[103:104] offset1:1
.LBB115_197:
	s_or_b64 exec, exec, s[4:5]
	s_waitcnt lgkmcnt(0)
	s_barrier
	ds_read2_b64 v[87:90], v127 offset1:1
	v_cmp_lt_u32_e32 vcc, 21, v0
	s_waitcnt lgkmcnt(0)
	buffer_store_dword v87, off, s[20:23], 0 offset:1528 ; 4-byte Folded Spill
	s_nop 0
	buffer_store_dword v88, off, s[20:23], 0 offset:1532 ; 4-byte Folded Spill
	buffer_store_dword v89, off, s[20:23], 0 offset:1536 ; 4-byte Folded Spill
	buffer_store_dword v90, off, s[20:23], 0 offset:1540 ; 4-byte Folded Spill
	s_and_saveexec_b64 s[2:3], vcc
	s_cbranch_execz .LBB115_199
; %bb.198:
	buffer_load_dword v107, off, s[20:23], 0 offset:384 ; 4-byte Folded Reload
	buffer_load_dword v108, off, s[20:23], 0 offset:388 ; 4-byte Folded Reload
	;; [unrolled: 1-line block ×8, first 2 shown]
	s_waitcnt vmcnt(2)
	v_mul_f64 v[99:100], v[87:88], v[109:110]
	s_waitcnt vmcnt(0)
	v_mul_f64 v[97:98], v[89:90], v[109:110]
	v_fma_f64 v[109:110], v[89:90], v[107:108], v[99:100]
	ds_read2_b64 v[99:102], v125 offset0:44 offset1:45
	v_fma_f64 v[97:98], v[87:88], v[107:108], -v[97:98]
	buffer_load_dword v105, off, s[20:23], 0 offset:368 ; 4-byte Folded Reload
	buffer_load_dword v106, off, s[20:23], 0 offset:372 ; 4-byte Folded Reload
	buffer_load_dword v107, off, s[20:23], 0 offset:376 ; 4-byte Folded Reload
	buffer_load_dword v108, off, s[20:23], 0 offset:380 ; 4-byte Folded Reload
	s_waitcnt lgkmcnt(0)
	v_mul_f64 v[103:104], v[101:102], v[109:110]
	v_fma_f64 v[103:104], v[99:100], v[97:98], -v[103:104]
	v_mul_f64 v[99:100], v[99:100], v[109:110]
	v_fma_f64 v[99:100], v[101:102], v[97:98], v[99:100]
	s_waitcnt vmcnt(2)
	v_add_f64 v[105:106], v[105:106], -v[103:104]
	s_waitcnt vmcnt(0)
	v_add_f64 v[107:108], v[107:108], -v[99:100]
	buffer_store_dword v105, off, s[20:23], 0 offset:368 ; 4-byte Folded Spill
	s_nop 0
	buffer_store_dword v106, off, s[20:23], 0 offset:372 ; 4-byte Folded Spill
	buffer_store_dword v107, off, s[20:23], 0 offset:376 ; 4-byte Folded Spill
	buffer_store_dword v108, off, s[20:23], 0 offset:380 ; 4-byte Folded Spill
	ds_read2_b64 v[99:102], v125 offset0:46 offset1:47
	buffer_load_dword v105, off, s[20:23], 0 offset:352 ; 4-byte Folded Reload
	buffer_load_dword v106, off, s[20:23], 0 offset:356 ; 4-byte Folded Reload
	buffer_load_dword v107, off, s[20:23], 0 offset:360 ; 4-byte Folded Reload
	buffer_load_dword v108, off, s[20:23], 0 offset:364 ; 4-byte Folded Reload
	s_waitcnt lgkmcnt(0)
	v_mul_f64 v[103:104], v[101:102], v[109:110]
	v_fma_f64 v[103:104], v[99:100], v[97:98], -v[103:104]
	v_mul_f64 v[99:100], v[99:100], v[109:110]
	v_fma_f64 v[99:100], v[101:102], v[97:98], v[99:100]
	s_waitcnt vmcnt(2)
	v_add_f64 v[105:106], v[105:106], -v[103:104]
	s_waitcnt vmcnt(0)
	v_add_f64 v[107:108], v[107:108], -v[99:100]
	buffer_store_dword v105, off, s[20:23], 0 offset:352 ; 4-byte Folded Spill
	s_nop 0
	buffer_store_dword v106, off, s[20:23], 0 offset:356 ; 4-byte Folded Spill
	buffer_store_dword v107, off, s[20:23], 0 offset:360 ; 4-byte Folded Spill
	buffer_store_dword v108, off, s[20:23], 0 offset:364 ; 4-byte Folded Spill
	ds_read2_b64 v[99:102], v125 offset0:48 offset1:49
	;; [unrolled: 19-line block ×13, first 2 shown]
	v_mov_b32_e32 v108, v98
	v_mov_b32_e32 v107, v97
	s_waitcnt lgkmcnt(0)
	v_mul_f64 v[103:104], v[101:102], v[109:110]
	v_fma_f64 v[103:104], v[99:100], v[97:98], -v[103:104]
	v_mul_f64 v[99:100], v[99:100], v[109:110]
	v_add_f64 v[91:92], v[91:92], -v[103:104]
	v_fma_f64 v[99:100], v[101:102], v[97:98], v[99:100]
	v_add_f64 v[93:94], v[93:94], -v[99:100]
	ds_read2_b64 v[99:102], v125 offset0:72 offset1:73
	buffer_load_dword v77, off, s[20:23], 0 offset:160 ; 4-byte Folded Reload
	buffer_load_dword v78, off, s[20:23], 0 offset:164 ; 4-byte Folded Reload
	buffer_load_dword v79, off, s[20:23], 0 offset:168 ; 4-byte Folded Reload
	buffer_load_dword v80, off, s[20:23], 0 offset:172 ; 4-byte Folded Reload
	s_waitcnt lgkmcnt(0)
	v_mul_f64 v[103:104], v[101:102], v[109:110]
	v_fma_f64 v[103:104], v[99:100], v[97:98], -v[103:104]
	v_mul_f64 v[99:100], v[99:100], v[109:110]
	v_fma_f64 v[99:100], v[101:102], v[97:98], v[99:100]
	s_waitcnt vmcnt(2)
	v_add_f64 v[77:78], v[77:78], -v[103:104]
	s_waitcnt vmcnt(0)
	v_add_f64 v[79:80], v[79:80], -v[99:100]
	buffer_store_dword v77, off, s[20:23], 0 offset:160 ; 4-byte Folded Spill
	s_nop 0
	buffer_store_dword v78, off, s[20:23], 0 offset:164 ; 4-byte Folded Spill
	buffer_store_dword v79, off, s[20:23], 0 offset:168 ; 4-byte Folded Spill
	buffer_store_dword v80, off, s[20:23], 0 offset:172 ; 4-byte Folded Spill
	ds_read2_b64 v[99:102], v125 offset0:74 offset1:75
	buffer_load_dword v77, off, s[20:23], 0 offset:144 ; 4-byte Folded Reload
	buffer_load_dword v78, off, s[20:23], 0 offset:148 ; 4-byte Folded Reload
	buffer_load_dword v79, off, s[20:23], 0 offset:152 ; 4-byte Folded Reload
	buffer_load_dword v80, off, s[20:23], 0 offset:156 ; 4-byte Folded Reload
	s_waitcnt lgkmcnt(0)
	v_mul_f64 v[103:104], v[101:102], v[109:110]
	v_fma_f64 v[103:104], v[99:100], v[97:98], -v[103:104]
	v_mul_f64 v[99:100], v[99:100], v[109:110]
	v_fma_f64 v[99:100], v[101:102], v[97:98], v[99:100]
	s_waitcnt vmcnt(2)
	v_add_f64 v[77:78], v[77:78], -v[103:104]
	s_waitcnt vmcnt(0)
	v_add_f64 v[79:80], v[79:80], -v[99:100]
	buffer_store_dword v77, off, s[20:23], 0 offset:144 ; 4-byte Folded Spill
	s_nop 0
	buffer_store_dword v78, off, s[20:23], 0 offset:148 ; 4-byte Folded Spill
	buffer_store_dword v79, off, s[20:23], 0 offset:152 ; 4-byte Folded Spill
	buffer_store_dword v80, off, s[20:23], 0 offset:156 ; 4-byte Folded Spill
	;; [unrolled: 19-line block ×10, first 2 shown]
	ds_read2_b64 v[99:102], v125 offset0:92 offset1:93
	buffer_load_dword v41, off, s[20:23], 0 ; 4-byte Folded Reload
	buffer_load_dword v42, off, s[20:23], 0 offset:4 ; 4-byte Folded Reload
	buffer_load_dword v43, off, s[20:23], 0 offset:8 ; 4-byte Folded Reload
	;; [unrolled: 1-line block ×3, first 2 shown]
	s_waitcnt lgkmcnt(0)
	v_mul_f64 v[103:104], v[101:102], v[109:110]
	v_fma_f64 v[103:104], v[99:100], v[97:98], -v[103:104]
	v_mul_f64 v[99:100], v[99:100], v[109:110]
	v_fma_f64 v[99:100], v[101:102], v[97:98], v[99:100]
	s_waitcnt vmcnt(2)
	v_add_f64 v[41:42], v[41:42], -v[103:104]
	s_waitcnt vmcnt(0)
	v_add_f64 v[43:44], v[43:44], -v[99:100]
	buffer_store_dword v41, off, s[20:23], 0 ; 4-byte Folded Spill
	s_nop 0
	buffer_store_dword v42, off, s[20:23], 0 offset:4 ; 4-byte Folded Spill
	buffer_store_dword v43, off, s[20:23], 0 offset:8 ; 4-byte Folded Spill
	buffer_store_dword v44, off, s[20:23], 0 offset:12 ; 4-byte Folded Spill
	ds_read2_b64 v[99:102], v125 offset0:94 offset1:95
	s_waitcnt lgkmcnt(0)
	v_mul_f64 v[103:104], v[101:102], v[109:110]
	v_fma_f64 v[103:104], v[99:100], v[97:98], -v[103:104]
	v_mul_f64 v[99:100], v[99:100], v[109:110]
	v_add_f64 v[37:38], v[37:38], -v[103:104]
	v_fma_f64 v[99:100], v[101:102], v[97:98], v[99:100]
	v_add_f64 v[39:40], v[39:40], -v[99:100]
	ds_read2_b64 v[99:102], v125 offset0:96 offset1:97
	s_waitcnt lgkmcnt(0)
	v_mul_f64 v[103:104], v[101:102], v[109:110]
	v_fma_f64 v[103:104], v[99:100], v[97:98], -v[103:104]
	v_mul_f64 v[99:100], v[99:100], v[109:110]
	v_add_f64 v[33:34], v[33:34], -v[103:104]
	v_fma_f64 v[99:100], v[101:102], v[97:98], v[99:100]
	v_add_f64 v[35:36], v[35:36], -v[99:100]
	;; [unrolled: 8-line block ×10, first 2 shown]
	ds_read2_b64 v[99:102], v125 offset0:114 offset1:115
	s_waitcnt lgkmcnt(0)
	v_mul_f64 v[103:104], v[101:102], v[109:110]
	v_fma_f64 v[103:104], v[99:100], v[97:98], -v[103:104]
	v_mul_f64 v[99:100], v[99:100], v[109:110]
	buffer_store_dword v107, off, s[20:23], 0 offset:384 ; 4-byte Folded Spill
	s_nop 0
	buffer_store_dword v108, off, s[20:23], 0 offset:388 ; 4-byte Folded Spill
	buffer_store_dword v109, off, s[20:23], 0 offset:392 ; 4-byte Folded Spill
	;; [unrolled: 1-line block ×3, first 2 shown]
	v_add_f64 v[121:122], v[121:122], -v[103:104]
	v_fma_f64 v[99:100], v[101:102], v[97:98], v[99:100]
	v_add_f64 v[123:124], v[123:124], -v[99:100]
.LBB115_199:
	s_or_b64 exec, exec, s[2:3]
	v_cmp_eq_u32_e32 vcc, 22, v0
	s_waitcnt vmcnt(0)
	s_barrier
	s_and_saveexec_b64 s[4:5], vcc
	s_cbranch_execz .LBB115_206
; %bb.200:
	buffer_load_dword v95, off, s[20:23], 0 offset:368 ; 4-byte Folded Reload
	buffer_load_dword v96, off, s[20:23], 0 offset:372 ; 4-byte Folded Reload
	;; [unrolled: 1-line block ×4, first 2 shown]
	s_waitcnt vmcnt(0)
	ds_write2_b64 v127, v[95:96], v[97:98] offset1:1
	buffer_load_dword v95, off, s[20:23], 0 offset:352 ; 4-byte Folded Reload
	buffer_load_dword v96, off, s[20:23], 0 offset:356 ; 4-byte Folded Reload
	buffer_load_dword v97, off, s[20:23], 0 offset:360 ; 4-byte Folded Reload
	buffer_load_dword v98, off, s[20:23], 0 offset:364 ; 4-byte Folded Reload
	s_waitcnt vmcnt(0)
	ds_write2_b64 v125, v[95:96], v[97:98] offset0:46 offset1:47
	buffer_load_dword v95, off, s[20:23], 0 offset:336 ; 4-byte Folded Reload
	buffer_load_dword v96, off, s[20:23], 0 offset:340 ; 4-byte Folded Reload
	buffer_load_dword v97, off, s[20:23], 0 offset:344 ; 4-byte Folded Reload
	buffer_load_dword v98, off, s[20:23], 0 offset:348 ; 4-byte Folded Reload
	s_waitcnt vmcnt(0)
	ds_write2_b64 v125, v[95:96], v[97:98] offset0:48 offset1:49
	;; [unrolled: 6-line block ×12, first 2 shown]
	ds_write2_b64 v125, v[91:92], v[93:94] offset0:70 offset1:71
	buffer_load_dword v77, off, s[20:23], 0 offset:160 ; 4-byte Folded Reload
	buffer_load_dword v78, off, s[20:23], 0 offset:164 ; 4-byte Folded Reload
	buffer_load_dword v79, off, s[20:23], 0 offset:168 ; 4-byte Folded Reload
	buffer_load_dword v80, off, s[20:23], 0 offset:172 ; 4-byte Folded Reload
	s_waitcnt vmcnt(0)
	ds_write2_b64 v125, v[77:78], v[79:80] offset0:72 offset1:73
	buffer_load_dword v77, off, s[20:23], 0 offset:144 ; 4-byte Folded Reload
	buffer_load_dword v78, off, s[20:23], 0 offset:148 ; 4-byte Folded Reload
	buffer_load_dword v79, off, s[20:23], 0 offset:152 ; 4-byte Folded Reload
	buffer_load_dword v80, off, s[20:23], 0 offset:156 ; 4-byte Folded Reload
	s_waitcnt vmcnt(0)
	;; [unrolled: 6-line block ×10, first 2 shown]
	ds_write2_b64 v125, v[45:46], v[47:48] offset0:90 offset1:91
	buffer_load_dword v41, off, s[20:23], 0 ; 4-byte Folded Reload
	buffer_load_dword v42, off, s[20:23], 0 offset:4 ; 4-byte Folded Reload
	buffer_load_dword v43, off, s[20:23], 0 offset:8 ; 4-byte Folded Reload
	;; [unrolled: 1-line block ×3, first 2 shown]
	s_waitcnt vmcnt(0)
	ds_write2_b64 v125, v[41:42], v[43:44] offset0:92 offset1:93
	ds_write2_b64 v125, v[37:38], v[39:40] offset0:94 offset1:95
	ds_write2_b64 v125, v[33:34], v[35:36] offset0:96 offset1:97
	ds_write2_b64 v125, v[29:30], v[31:32] offset0:98 offset1:99
	ds_write2_b64 v125, v[25:26], v[27:28] offset0:100 offset1:101
	ds_write2_b64 v125, v[21:22], v[23:24] offset0:102 offset1:103
	ds_write2_b64 v125, v[17:18], v[19:20] offset0:104 offset1:105
	ds_write2_b64 v125, v[13:14], v[15:16] offset0:106 offset1:107
	ds_write2_b64 v125, v[9:10], v[11:12] offset0:108 offset1:109
	ds_write2_b64 v125, v[5:6], v[7:8] offset0:110 offset1:111
	ds_write2_b64 v125, v[1:2], v[3:4] offset0:112 offset1:113
	ds_write2_b64 v125, v[121:122], v[123:124] offset0:114 offset1:115
	ds_read2_b64 v[97:100], v127 offset1:1
	s_waitcnt lgkmcnt(0)
	v_cmp_neq_f64_e32 vcc, 0, v[97:98]
	v_cmp_neq_f64_e64 s[2:3], 0, v[99:100]
	s_or_b64 s[2:3], vcc, s[2:3]
	s_and_b64 exec, exec, s[2:3]
	s_cbranch_execz .LBB115_206
; %bb.201:
	v_cmp_ngt_f64_e64 s[2:3], |v[97:98]|, |v[99:100]|
                                        ; implicit-def: $vgpr101_vgpr102
	s_and_saveexec_b64 s[6:7], s[2:3]
	s_xor_b64 s[2:3], exec, s[6:7]
                                        ; implicit-def: $vgpr103_vgpr104
	s_cbranch_execz .LBB115_203
; %bb.202:
	v_div_scale_f64 v[101:102], s[6:7], v[99:100], v[99:100], v[97:98]
	v_rcp_f64_e32 v[103:104], v[101:102]
	v_fma_f64 v[105:106], -v[101:102], v[103:104], 1.0
	v_fma_f64 v[103:104], v[103:104], v[105:106], v[103:104]
	v_div_scale_f64 v[105:106], vcc, v[97:98], v[99:100], v[97:98]
	v_fma_f64 v[107:108], -v[101:102], v[103:104], 1.0
	v_fma_f64 v[103:104], v[103:104], v[107:108], v[103:104]
	v_mul_f64 v[107:108], v[105:106], v[103:104]
	v_fma_f64 v[101:102], -v[101:102], v[107:108], v[105:106]
	v_div_fmas_f64 v[101:102], v[101:102], v[103:104], v[107:108]
	v_div_fixup_f64 v[101:102], v[101:102], v[99:100], v[97:98]
	v_fma_f64 v[97:98], v[97:98], v[101:102], v[99:100]
	v_div_scale_f64 v[99:100], s[6:7], v[97:98], v[97:98], 1.0
	v_div_scale_f64 v[107:108], vcc, 1.0, v[97:98], 1.0
	v_rcp_f64_e32 v[103:104], v[99:100]
	v_fma_f64 v[105:106], -v[99:100], v[103:104], 1.0
	v_fma_f64 v[103:104], v[103:104], v[105:106], v[103:104]
	v_fma_f64 v[105:106], -v[99:100], v[103:104], 1.0
	v_fma_f64 v[103:104], v[103:104], v[105:106], v[103:104]
	v_mul_f64 v[105:106], v[107:108], v[103:104]
	v_fma_f64 v[99:100], -v[99:100], v[105:106], v[107:108]
	v_div_fmas_f64 v[99:100], v[99:100], v[103:104], v[105:106]
	v_div_fixup_f64 v[103:104], v[99:100], v[97:98], 1.0
                                        ; implicit-def: $vgpr97_vgpr98
	v_mul_f64 v[101:102], v[101:102], v[103:104]
	v_xor_b32_e32 v104, 0x80000000, v104
.LBB115_203:
	s_andn2_saveexec_b64 s[2:3], s[2:3]
	s_cbranch_execz .LBB115_205
; %bb.204:
	v_div_scale_f64 v[101:102], s[6:7], v[97:98], v[97:98], v[99:100]
	v_rcp_f64_e32 v[103:104], v[101:102]
	v_fma_f64 v[105:106], -v[101:102], v[103:104], 1.0
	v_fma_f64 v[103:104], v[103:104], v[105:106], v[103:104]
	v_div_scale_f64 v[105:106], vcc, v[99:100], v[97:98], v[99:100]
	v_fma_f64 v[107:108], -v[101:102], v[103:104], 1.0
	v_fma_f64 v[103:104], v[103:104], v[107:108], v[103:104]
	v_mul_f64 v[107:108], v[105:106], v[103:104]
	v_fma_f64 v[101:102], -v[101:102], v[107:108], v[105:106]
	v_div_fmas_f64 v[101:102], v[101:102], v[103:104], v[107:108]
	v_div_fixup_f64 v[103:104], v[101:102], v[97:98], v[99:100]
	v_fma_f64 v[97:98], v[99:100], v[103:104], v[97:98]
	v_div_scale_f64 v[99:100], s[6:7], v[97:98], v[97:98], 1.0
	v_div_scale_f64 v[107:108], vcc, 1.0, v[97:98], 1.0
	v_rcp_f64_e32 v[101:102], v[99:100]
	v_fma_f64 v[105:106], -v[99:100], v[101:102], 1.0
	v_fma_f64 v[101:102], v[101:102], v[105:106], v[101:102]
	v_fma_f64 v[105:106], -v[99:100], v[101:102], 1.0
	v_fma_f64 v[101:102], v[101:102], v[105:106], v[101:102]
	v_mul_f64 v[105:106], v[107:108], v[101:102]
	v_fma_f64 v[99:100], -v[99:100], v[105:106], v[107:108]
	v_div_fmas_f64 v[99:100], v[99:100], v[101:102], v[105:106]
	v_div_fixup_f64 v[101:102], v[99:100], v[97:98], 1.0
	v_mul_f64 v[103:104], v[103:104], -v[101:102]
.LBB115_205:
	s_or_b64 exec, exec, s[2:3]
	ds_write2_b64 v127, v[101:102], v[103:104] offset1:1
.LBB115_206:
	s_or_b64 exec, exec, s[4:5]
	s_waitcnt lgkmcnt(0)
	s_barrier
	ds_read2_b64 v[87:90], v127 offset1:1
	v_cmp_lt_u32_e32 vcc, 22, v0
	s_waitcnt lgkmcnt(0)
	buffer_store_dword v87, off, s[20:23], 0 offset:1544 ; 4-byte Folded Spill
	s_nop 0
	buffer_store_dword v88, off, s[20:23], 0 offset:1548 ; 4-byte Folded Spill
	buffer_store_dword v89, off, s[20:23], 0 offset:1552 ; 4-byte Folded Spill
	buffer_store_dword v90, off, s[20:23], 0 offset:1556 ; 4-byte Folded Spill
	s_and_saveexec_b64 s[2:3], vcc
	s_cbranch_execz .LBB115_208
; %bb.207:
	buffer_load_dword v107, off, s[20:23], 0 offset:368 ; 4-byte Folded Reload
	buffer_load_dword v108, off, s[20:23], 0 offset:372 ; 4-byte Folded Reload
	;; [unrolled: 1-line block ×8, first 2 shown]
	s_waitcnt vmcnt(2)
	v_mul_f64 v[99:100], v[87:88], v[109:110]
	s_waitcnt vmcnt(0)
	v_mul_f64 v[97:98], v[89:90], v[109:110]
	v_fma_f64 v[109:110], v[89:90], v[107:108], v[99:100]
	ds_read2_b64 v[99:102], v125 offset0:46 offset1:47
	v_fma_f64 v[97:98], v[87:88], v[107:108], -v[97:98]
	buffer_load_dword v105, off, s[20:23], 0 offset:352 ; 4-byte Folded Reload
	buffer_load_dword v106, off, s[20:23], 0 offset:356 ; 4-byte Folded Reload
	buffer_load_dword v107, off, s[20:23], 0 offset:360 ; 4-byte Folded Reload
	buffer_load_dword v108, off, s[20:23], 0 offset:364 ; 4-byte Folded Reload
	s_waitcnt lgkmcnt(0)
	v_mul_f64 v[103:104], v[101:102], v[109:110]
	v_fma_f64 v[103:104], v[99:100], v[97:98], -v[103:104]
	v_mul_f64 v[99:100], v[99:100], v[109:110]
	v_fma_f64 v[99:100], v[101:102], v[97:98], v[99:100]
	s_waitcnt vmcnt(2)
	v_add_f64 v[105:106], v[105:106], -v[103:104]
	s_waitcnt vmcnt(0)
	v_add_f64 v[107:108], v[107:108], -v[99:100]
	buffer_store_dword v105, off, s[20:23], 0 offset:352 ; 4-byte Folded Spill
	s_nop 0
	buffer_store_dword v106, off, s[20:23], 0 offset:356 ; 4-byte Folded Spill
	buffer_store_dword v107, off, s[20:23], 0 offset:360 ; 4-byte Folded Spill
	buffer_store_dword v108, off, s[20:23], 0 offset:364 ; 4-byte Folded Spill
	ds_read2_b64 v[99:102], v125 offset0:48 offset1:49
	buffer_load_dword v105, off, s[20:23], 0 offset:336 ; 4-byte Folded Reload
	buffer_load_dword v106, off, s[20:23], 0 offset:340 ; 4-byte Folded Reload
	buffer_load_dword v107, off, s[20:23], 0 offset:344 ; 4-byte Folded Reload
	buffer_load_dword v108, off, s[20:23], 0 offset:348 ; 4-byte Folded Reload
	s_waitcnt lgkmcnt(0)
	v_mul_f64 v[103:104], v[101:102], v[109:110]
	v_fma_f64 v[103:104], v[99:100], v[97:98], -v[103:104]
	v_mul_f64 v[99:100], v[99:100], v[109:110]
	v_fma_f64 v[99:100], v[101:102], v[97:98], v[99:100]
	s_waitcnt vmcnt(2)
	v_add_f64 v[105:106], v[105:106], -v[103:104]
	s_waitcnt vmcnt(0)
	v_add_f64 v[107:108], v[107:108], -v[99:100]
	buffer_store_dword v105, off, s[20:23], 0 offset:336 ; 4-byte Folded Spill
	s_nop 0
	buffer_store_dword v106, off, s[20:23], 0 offset:340 ; 4-byte Folded Spill
	buffer_store_dword v107, off, s[20:23], 0 offset:344 ; 4-byte Folded Spill
	buffer_store_dword v108, off, s[20:23], 0 offset:348 ; 4-byte Folded Spill
	ds_read2_b64 v[99:102], v125 offset0:50 offset1:51
	buffer_load_dword v105, off, s[20:23], 0 offset:320 ; 4-byte Folded Reload
	buffer_load_dword v106, off, s[20:23], 0 offset:324 ; 4-byte Folded Reload
	buffer_load_dword v107, off, s[20:23], 0 offset:328 ; 4-byte Folded Reload
	buffer_load_dword v108, off, s[20:23], 0 offset:332 ; 4-byte Folded Reload
	s_waitcnt lgkmcnt(0)
	v_mul_f64 v[103:104], v[101:102], v[109:110]
	v_fma_f64 v[103:104], v[99:100], v[97:98], -v[103:104]
	v_mul_f64 v[99:100], v[99:100], v[109:110]
	v_fma_f64 v[99:100], v[101:102], v[97:98], v[99:100]
	s_waitcnt vmcnt(2)
	v_add_f64 v[105:106], v[105:106], -v[103:104]
	s_waitcnt vmcnt(0)
	v_add_f64 v[107:108], v[107:108], -v[99:100]
	buffer_store_dword v105, off, s[20:23], 0 offset:320 ; 4-byte Folded Spill
	s_nop 0
	buffer_store_dword v106, off, s[20:23], 0 offset:324 ; 4-byte Folded Spill
	buffer_store_dword v107, off, s[20:23], 0 offset:328 ; 4-byte Folded Spill
	buffer_store_dword v108, off, s[20:23], 0 offset:332 ; 4-byte Folded Spill
	ds_read2_b64 v[99:102], v125 offset0:52 offset1:53
	buffer_load_dword v105, off, s[20:23], 0 offset:304 ; 4-byte Folded Reload
	buffer_load_dword v106, off, s[20:23], 0 offset:308 ; 4-byte Folded Reload
	buffer_load_dword v107, off, s[20:23], 0 offset:312 ; 4-byte Folded Reload
	buffer_load_dword v108, off, s[20:23], 0 offset:316 ; 4-byte Folded Reload
	s_waitcnt lgkmcnt(0)
	v_mul_f64 v[103:104], v[101:102], v[109:110]
	v_fma_f64 v[103:104], v[99:100], v[97:98], -v[103:104]
	v_mul_f64 v[99:100], v[99:100], v[109:110]
	v_fma_f64 v[99:100], v[101:102], v[97:98], v[99:100]
	s_waitcnt vmcnt(2)
	v_add_f64 v[105:106], v[105:106], -v[103:104]
	s_waitcnt vmcnt(0)
	v_add_f64 v[107:108], v[107:108], -v[99:100]
	buffer_store_dword v105, off, s[20:23], 0 offset:304 ; 4-byte Folded Spill
	s_nop 0
	buffer_store_dword v106, off, s[20:23], 0 offset:308 ; 4-byte Folded Spill
	buffer_store_dword v107, off, s[20:23], 0 offset:312 ; 4-byte Folded Spill
	buffer_store_dword v108, off, s[20:23], 0 offset:316 ; 4-byte Folded Spill
	ds_read2_b64 v[99:102], v125 offset0:54 offset1:55
	buffer_load_dword v105, off, s[20:23], 0 offset:288 ; 4-byte Folded Reload
	buffer_load_dword v106, off, s[20:23], 0 offset:292 ; 4-byte Folded Reload
	buffer_load_dword v107, off, s[20:23], 0 offset:296 ; 4-byte Folded Reload
	buffer_load_dword v108, off, s[20:23], 0 offset:300 ; 4-byte Folded Reload
	s_waitcnt lgkmcnt(0)
	v_mul_f64 v[103:104], v[101:102], v[109:110]
	v_fma_f64 v[103:104], v[99:100], v[97:98], -v[103:104]
	v_mul_f64 v[99:100], v[99:100], v[109:110]
	v_fma_f64 v[99:100], v[101:102], v[97:98], v[99:100]
	s_waitcnt vmcnt(2)
	v_add_f64 v[105:106], v[105:106], -v[103:104]
	s_waitcnt vmcnt(0)
	v_add_f64 v[107:108], v[107:108], -v[99:100]
	buffer_store_dword v105, off, s[20:23], 0 offset:288 ; 4-byte Folded Spill
	s_nop 0
	buffer_store_dword v106, off, s[20:23], 0 offset:292 ; 4-byte Folded Spill
	buffer_store_dword v107, off, s[20:23], 0 offset:296 ; 4-byte Folded Spill
	buffer_store_dword v108, off, s[20:23], 0 offset:300 ; 4-byte Folded Spill
	ds_read2_b64 v[99:102], v125 offset0:56 offset1:57
	buffer_load_dword v105, off, s[20:23], 0 offset:272 ; 4-byte Folded Reload
	buffer_load_dword v106, off, s[20:23], 0 offset:276 ; 4-byte Folded Reload
	buffer_load_dword v107, off, s[20:23], 0 offset:280 ; 4-byte Folded Reload
	buffer_load_dword v108, off, s[20:23], 0 offset:284 ; 4-byte Folded Reload
	s_waitcnt lgkmcnt(0)
	v_mul_f64 v[103:104], v[101:102], v[109:110]
	v_fma_f64 v[103:104], v[99:100], v[97:98], -v[103:104]
	v_mul_f64 v[99:100], v[99:100], v[109:110]
	v_fma_f64 v[99:100], v[101:102], v[97:98], v[99:100]
	s_waitcnt vmcnt(2)
	v_add_f64 v[105:106], v[105:106], -v[103:104]
	s_waitcnt vmcnt(0)
	v_add_f64 v[107:108], v[107:108], -v[99:100]
	buffer_store_dword v105, off, s[20:23], 0 offset:272 ; 4-byte Folded Spill
	s_nop 0
	buffer_store_dword v106, off, s[20:23], 0 offset:276 ; 4-byte Folded Spill
	buffer_store_dword v107, off, s[20:23], 0 offset:280 ; 4-byte Folded Spill
	buffer_store_dword v108, off, s[20:23], 0 offset:284 ; 4-byte Folded Spill
	ds_read2_b64 v[99:102], v125 offset0:58 offset1:59
	buffer_load_dword v105, off, s[20:23], 0 offset:256 ; 4-byte Folded Reload
	buffer_load_dword v106, off, s[20:23], 0 offset:260 ; 4-byte Folded Reload
	buffer_load_dword v107, off, s[20:23], 0 offset:264 ; 4-byte Folded Reload
	buffer_load_dword v108, off, s[20:23], 0 offset:268 ; 4-byte Folded Reload
	s_waitcnt lgkmcnt(0)
	v_mul_f64 v[103:104], v[101:102], v[109:110]
	v_fma_f64 v[103:104], v[99:100], v[97:98], -v[103:104]
	v_mul_f64 v[99:100], v[99:100], v[109:110]
	v_fma_f64 v[99:100], v[101:102], v[97:98], v[99:100]
	s_waitcnt vmcnt(2)
	v_add_f64 v[105:106], v[105:106], -v[103:104]
	s_waitcnt vmcnt(0)
	v_add_f64 v[107:108], v[107:108], -v[99:100]
	buffer_store_dword v105, off, s[20:23], 0 offset:256 ; 4-byte Folded Spill
	s_nop 0
	buffer_store_dword v106, off, s[20:23], 0 offset:260 ; 4-byte Folded Spill
	buffer_store_dword v107, off, s[20:23], 0 offset:264 ; 4-byte Folded Spill
	buffer_store_dword v108, off, s[20:23], 0 offset:268 ; 4-byte Folded Spill
	ds_read2_b64 v[99:102], v125 offset0:60 offset1:61
	buffer_load_dword v105, off, s[20:23], 0 offset:240 ; 4-byte Folded Reload
	buffer_load_dword v106, off, s[20:23], 0 offset:244 ; 4-byte Folded Reload
	buffer_load_dword v107, off, s[20:23], 0 offset:248 ; 4-byte Folded Reload
	buffer_load_dword v108, off, s[20:23], 0 offset:252 ; 4-byte Folded Reload
	s_waitcnt lgkmcnt(0)
	v_mul_f64 v[103:104], v[101:102], v[109:110]
	v_fma_f64 v[103:104], v[99:100], v[97:98], -v[103:104]
	v_mul_f64 v[99:100], v[99:100], v[109:110]
	v_fma_f64 v[99:100], v[101:102], v[97:98], v[99:100]
	s_waitcnt vmcnt(2)
	v_add_f64 v[105:106], v[105:106], -v[103:104]
	s_waitcnt vmcnt(0)
	v_add_f64 v[107:108], v[107:108], -v[99:100]
	buffer_store_dword v105, off, s[20:23], 0 offset:240 ; 4-byte Folded Spill
	s_nop 0
	buffer_store_dword v106, off, s[20:23], 0 offset:244 ; 4-byte Folded Spill
	buffer_store_dword v107, off, s[20:23], 0 offset:248 ; 4-byte Folded Spill
	buffer_store_dword v108, off, s[20:23], 0 offset:252 ; 4-byte Folded Spill
	ds_read2_b64 v[99:102], v125 offset0:62 offset1:63
	buffer_load_dword v105, off, s[20:23], 0 offset:224 ; 4-byte Folded Reload
	buffer_load_dword v106, off, s[20:23], 0 offset:228 ; 4-byte Folded Reload
	buffer_load_dword v107, off, s[20:23], 0 offset:232 ; 4-byte Folded Reload
	buffer_load_dword v108, off, s[20:23], 0 offset:236 ; 4-byte Folded Reload
	s_waitcnt lgkmcnt(0)
	v_mul_f64 v[103:104], v[101:102], v[109:110]
	v_fma_f64 v[103:104], v[99:100], v[97:98], -v[103:104]
	v_mul_f64 v[99:100], v[99:100], v[109:110]
	v_fma_f64 v[99:100], v[101:102], v[97:98], v[99:100]
	s_waitcnt vmcnt(2)
	v_add_f64 v[105:106], v[105:106], -v[103:104]
	s_waitcnt vmcnt(0)
	v_add_f64 v[107:108], v[107:108], -v[99:100]
	buffer_store_dword v105, off, s[20:23], 0 offset:224 ; 4-byte Folded Spill
	s_nop 0
	buffer_store_dword v106, off, s[20:23], 0 offset:228 ; 4-byte Folded Spill
	buffer_store_dword v107, off, s[20:23], 0 offset:232 ; 4-byte Folded Spill
	buffer_store_dword v108, off, s[20:23], 0 offset:236 ; 4-byte Folded Spill
	ds_read2_b64 v[99:102], v125 offset0:64 offset1:65
	buffer_load_dword v105, off, s[20:23], 0 offset:208 ; 4-byte Folded Reload
	buffer_load_dword v106, off, s[20:23], 0 offset:212 ; 4-byte Folded Reload
	buffer_load_dword v107, off, s[20:23], 0 offset:216 ; 4-byte Folded Reload
	buffer_load_dword v108, off, s[20:23], 0 offset:220 ; 4-byte Folded Reload
	s_waitcnt lgkmcnt(0)
	v_mul_f64 v[103:104], v[101:102], v[109:110]
	v_fma_f64 v[103:104], v[99:100], v[97:98], -v[103:104]
	v_mul_f64 v[99:100], v[99:100], v[109:110]
	v_fma_f64 v[99:100], v[101:102], v[97:98], v[99:100]
	s_waitcnt vmcnt(2)
	v_add_f64 v[105:106], v[105:106], -v[103:104]
	s_waitcnt vmcnt(0)
	v_add_f64 v[107:108], v[107:108], -v[99:100]
	buffer_store_dword v105, off, s[20:23], 0 offset:208 ; 4-byte Folded Spill
	s_nop 0
	buffer_store_dword v106, off, s[20:23], 0 offset:212 ; 4-byte Folded Spill
	buffer_store_dword v107, off, s[20:23], 0 offset:216 ; 4-byte Folded Spill
	buffer_store_dword v108, off, s[20:23], 0 offset:220 ; 4-byte Folded Spill
	ds_read2_b64 v[99:102], v125 offset0:66 offset1:67
	buffer_load_dword v105, off, s[20:23], 0 offset:192 ; 4-byte Folded Reload
	buffer_load_dword v106, off, s[20:23], 0 offset:196 ; 4-byte Folded Reload
	buffer_load_dword v107, off, s[20:23], 0 offset:200 ; 4-byte Folded Reload
	buffer_load_dword v108, off, s[20:23], 0 offset:204 ; 4-byte Folded Reload
	s_waitcnt lgkmcnt(0)
	v_mul_f64 v[103:104], v[101:102], v[109:110]
	v_fma_f64 v[103:104], v[99:100], v[97:98], -v[103:104]
	v_mul_f64 v[99:100], v[99:100], v[109:110]
	v_fma_f64 v[99:100], v[101:102], v[97:98], v[99:100]
	s_waitcnt vmcnt(2)
	v_add_f64 v[105:106], v[105:106], -v[103:104]
	s_waitcnt vmcnt(0)
	v_add_f64 v[107:108], v[107:108], -v[99:100]
	buffer_store_dword v105, off, s[20:23], 0 offset:192 ; 4-byte Folded Spill
	s_nop 0
	buffer_store_dword v106, off, s[20:23], 0 offset:196 ; 4-byte Folded Spill
	buffer_store_dword v107, off, s[20:23], 0 offset:200 ; 4-byte Folded Spill
	buffer_store_dword v108, off, s[20:23], 0 offset:204 ; 4-byte Folded Spill
	ds_read2_b64 v[99:102], v125 offset0:68 offset1:69
	buffer_load_dword v105, off, s[20:23], 0 offset:176 ; 4-byte Folded Reload
	buffer_load_dword v106, off, s[20:23], 0 offset:180 ; 4-byte Folded Reload
	buffer_load_dword v107, off, s[20:23], 0 offset:184 ; 4-byte Folded Reload
	buffer_load_dword v108, off, s[20:23], 0 offset:188 ; 4-byte Folded Reload
	s_waitcnt lgkmcnt(0)
	v_mul_f64 v[103:104], v[101:102], v[109:110]
	v_fma_f64 v[103:104], v[99:100], v[97:98], -v[103:104]
	v_mul_f64 v[99:100], v[99:100], v[109:110]
	v_fma_f64 v[99:100], v[101:102], v[97:98], v[99:100]
	s_waitcnt vmcnt(2)
	v_add_f64 v[105:106], v[105:106], -v[103:104]
	s_waitcnt vmcnt(0)
	v_add_f64 v[107:108], v[107:108], -v[99:100]
	buffer_store_dword v105, off, s[20:23], 0 offset:176 ; 4-byte Folded Spill
	s_nop 0
	buffer_store_dword v106, off, s[20:23], 0 offset:180 ; 4-byte Folded Spill
	buffer_store_dword v107, off, s[20:23], 0 offset:184 ; 4-byte Folded Spill
	buffer_store_dword v108, off, s[20:23], 0 offset:188 ; 4-byte Folded Spill
	ds_read2_b64 v[99:102], v125 offset0:70 offset1:71
	v_mov_b32_e32 v108, v98
	v_mov_b32_e32 v107, v97
	s_waitcnt lgkmcnt(0)
	v_mul_f64 v[103:104], v[101:102], v[109:110]
	v_fma_f64 v[103:104], v[99:100], v[97:98], -v[103:104]
	v_mul_f64 v[99:100], v[99:100], v[109:110]
	v_add_f64 v[91:92], v[91:92], -v[103:104]
	v_fma_f64 v[99:100], v[101:102], v[97:98], v[99:100]
	v_add_f64 v[93:94], v[93:94], -v[99:100]
	ds_read2_b64 v[99:102], v125 offset0:72 offset1:73
	buffer_load_dword v77, off, s[20:23], 0 offset:160 ; 4-byte Folded Reload
	buffer_load_dword v78, off, s[20:23], 0 offset:164 ; 4-byte Folded Reload
	buffer_load_dword v79, off, s[20:23], 0 offset:168 ; 4-byte Folded Reload
	buffer_load_dword v80, off, s[20:23], 0 offset:172 ; 4-byte Folded Reload
	s_waitcnt lgkmcnt(0)
	v_mul_f64 v[103:104], v[101:102], v[109:110]
	v_fma_f64 v[103:104], v[99:100], v[97:98], -v[103:104]
	v_mul_f64 v[99:100], v[99:100], v[109:110]
	v_fma_f64 v[99:100], v[101:102], v[97:98], v[99:100]
	s_waitcnt vmcnt(2)
	v_add_f64 v[77:78], v[77:78], -v[103:104]
	s_waitcnt vmcnt(0)
	v_add_f64 v[79:80], v[79:80], -v[99:100]
	buffer_store_dword v77, off, s[20:23], 0 offset:160 ; 4-byte Folded Spill
	s_nop 0
	buffer_store_dword v78, off, s[20:23], 0 offset:164 ; 4-byte Folded Spill
	buffer_store_dword v79, off, s[20:23], 0 offset:168 ; 4-byte Folded Spill
	buffer_store_dword v80, off, s[20:23], 0 offset:172 ; 4-byte Folded Spill
	ds_read2_b64 v[99:102], v125 offset0:74 offset1:75
	buffer_load_dword v77, off, s[20:23], 0 offset:144 ; 4-byte Folded Reload
	buffer_load_dword v78, off, s[20:23], 0 offset:148 ; 4-byte Folded Reload
	buffer_load_dword v79, off, s[20:23], 0 offset:152 ; 4-byte Folded Reload
	buffer_load_dword v80, off, s[20:23], 0 offset:156 ; 4-byte Folded Reload
	s_waitcnt lgkmcnt(0)
	v_mul_f64 v[103:104], v[101:102], v[109:110]
	v_fma_f64 v[103:104], v[99:100], v[97:98], -v[103:104]
	v_mul_f64 v[99:100], v[99:100], v[109:110]
	v_fma_f64 v[99:100], v[101:102], v[97:98], v[99:100]
	s_waitcnt vmcnt(2)
	v_add_f64 v[77:78], v[77:78], -v[103:104]
	s_waitcnt vmcnt(0)
	v_add_f64 v[79:80], v[79:80], -v[99:100]
	buffer_store_dword v77, off, s[20:23], 0 offset:144 ; 4-byte Folded Spill
	s_nop 0
	buffer_store_dword v78, off, s[20:23], 0 offset:148 ; 4-byte Folded Spill
	buffer_store_dword v79, off, s[20:23], 0 offset:152 ; 4-byte Folded Spill
	buffer_store_dword v80, off, s[20:23], 0 offset:156 ; 4-byte Folded Spill
	;; [unrolled: 19-line block ×10, first 2 shown]
	ds_read2_b64 v[99:102], v125 offset0:92 offset1:93
	buffer_load_dword v41, off, s[20:23], 0 ; 4-byte Folded Reload
	buffer_load_dword v42, off, s[20:23], 0 offset:4 ; 4-byte Folded Reload
	buffer_load_dword v43, off, s[20:23], 0 offset:8 ; 4-byte Folded Reload
	;; [unrolled: 1-line block ×3, first 2 shown]
	s_waitcnt lgkmcnt(0)
	v_mul_f64 v[103:104], v[101:102], v[109:110]
	v_fma_f64 v[103:104], v[99:100], v[97:98], -v[103:104]
	v_mul_f64 v[99:100], v[99:100], v[109:110]
	v_fma_f64 v[99:100], v[101:102], v[97:98], v[99:100]
	s_waitcnt vmcnt(2)
	v_add_f64 v[41:42], v[41:42], -v[103:104]
	s_waitcnt vmcnt(0)
	v_add_f64 v[43:44], v[43:44], -v[99:100]
	buffer_store_dword v41, off, s[20:23], 0 ; 4-byte Folded Spill
	s_nop 0
	buffer_store_dword v42, off, s[20:23], 0 offset:4 ; 4-byte Folded Spill
	buffer_store_dword v43, off, s[20:23], 0 offset:8 ; 4-byte Folded Spill
	;; [unrolled: 1-line block ×3, first 2 shown]
	ds_read2_b64 v[99:102], v125 offset0:94 offset1:95
	s_waitcnt lgkmcnt(0)
	v_mul_f64 v[103:104], v[101:102], v[109:110]
	v_fma_f64 v[103:104], v[99:100], v[97:98], -v[103:104]
	v_mul_f64 v[99:100], v[99:100], v[109:110]
	v_add_f64 v[37:38], v[37:38], -v[103:104]
	v_fma_f64 v[99:100], v[101:102], v[97:98], v[99:100]
	v_add_f64 v[39:40], v[39:40], -v[99:100]
	ds_read2_b64 v[99:102], v125 offset0:96 offset1:97
	s_waitcnt lgkmcnt(0)
	v_mul_f64 v[103:104], v[101:102], v[109:110]
	v_fma_f64 v[103:104], v[99:100], v[97:98], -v[103:104]
	v_mul_f64 v[99:100], v[99:100], v[109:110]
	v_add_f64 v[33:34], v[33:34], -v[103:104]
	v_fma_f64 v[99:100], v[101:102], v[97:98], v[99:100]
	v_add_f64 v[35:36], v[35:36], -v[99:100]
	;; [unrolled: 8-line block ×10, first 2 shown]
	ds_read2_b64 v[99:102], v125 offset0:114 offset1:115
	s_waitcnt lgkmcnt(0)
	v_mul_f64 v[103:104], v[101:102], v[109:110]
	v_fma_f64 v[103:104], v[99:100], v[97:98], -v[103:104]
	v_mul_f64 v[99:100], v[99:100], v[109:110]
	buffer_store_dword v107, off, s[20:23], 0 offset:368 ; 4-byte Folded Spill
	s_nop 0
	buffer_store_dword v108, off, s[20:23], 0 offset:372 ; 4-byte Folded Spill
	buffer_store_dword v109, off, s[20:23], 0 offset:376 ; 4-byte Folded Spill
	buffer_store_dword v110, off, s[20:23], 0 offset:380 ; 4-byte Folded Spill
	v_add_f64 v[121:122], v[121:122], -v[103:104]
	v_fma_f64 v[99:100], v[101:102], v[97:98], v[99:100]
	v_add_f64 v[123:124], v[123:124], -v[99:100]
.LBB115_208:
	s_or_b64 exec, exec, s[2:3]
	v_cmp_eq_u32_e32 vcc, 23, v0
	s_waitcnt vmcnt(0)
	s_barrier
	s_and_saveexec_b64 s[4:5], vcc
	s_cbranch_execz .LBB115_215
; %bb.209:
	buffer_load_dword v95, off, s[20:23], 0 offset:352 ; 4-byte Folded Reload
	buffer_load_dword v96, off, s[20:23], 0 offset:356 ; 4-byte Folded Reload
	;; [unrolled: 1-line block ×4, first 2 shown]
	s_waitcnt vmcnt(0)
	ds_write2_b64 v127, v[95:96], v[97:98] offset1:1
	buffer_load_dword v95, off, s[20:23], 0 offset:336 ; 4-byte Folded Reload
	buffer_load_dword v96, off, s[20:23], 0 offset:340 ; 4-byte Folded Reload
	buffer_load_dword v97, off, s[20:23], 0 offset:344 ; 4-byte Folded Reload
	buffer_load_dword v98, off, s[20:23], 0 offset:348 ; 4-byte Folded Reload
	s_waitcnt vmcnt(0)
	ds_write2_b64 v125, v[95:96], v[97:98] offset0:48 offset1:49
	buffer_load_dword v95, off, s[20:23], 0 offset:320 ; 4-byte Folded Reload
	buffer_load_dword v96, off, s[20:23], 0 offset:324 ; 4-byte Folded Reload
	buffer_load_dword v97, off, s[20:23], 0 offset:328 ; 4-byte Folded Reload
	buffer_load_dword v98, off, s[20:23], 0 offset:332 ; 4-byte Folded Reload
	s_waitcnt vmcnt(0)
	ds_write2_b64 v125, v[95:96], v[97:98] offset0:50 offset1:51
	;; [unrolled: 6-line block ×11, first 2 shown]
	ds_write2_b64 v125, v[91:92], v[93:94] offset0:70 offset1:71
	buffer_load_dword v77, off, s[20:23], 0 offset:160 ; 4-byte Folded Reload
	buffer_load_dword v78, off, s[20:23], 0 offset:164 ; 4-byte Folded Reload
	buffer_load_dword v79, off, s[20:23], 0 offset:168 ; 4-byte Folded Reload
	buffer_load_dword v80, off, s[20:23], 0 offset:172 ; 4-byte Folded Reload
	s_waitcnt vmcnt(0)
	ds_write2_b64 v125, v[77:78], v[79:80] offset0:72 offset1:73
	buffer_load_dword v77, off, s[20:23], 0 offset:144 ; 4-byte Folded Reload
	buffer_load_dword v78, off, s[20:23], 0 offset:148 ; 4-byte Folded Reload
	buffer_load_dword v79, off, s[20:23], 0 offset:152 ; 4-byte Folded Reload
	buffer_load_dword v80, off, s[20:23], 0 offset:156 ; 4-byte Folded Reload
	s_waitcnt vmcnt(0)
	;; [unrolled: 6-line block ×10, first 2 shown]
	ds_write2_b64 v125, v[45:46], v[47:48] offset0:90 offset1:91
	buffer_load_dword v41, off, s[20:23], 0 ; 4-byte Folded Reload
	buffer_load_dword v42, off, s[20:23], 0 offset:4 ; 4-byte Folded Reload
	buffer_load_dword v43, off, s[20:23], 0 offset:8 ; 4-byte Folded Reload
	;; [unrolled: 1-line block ×3, first 2 shown]
	s_waitcnt vmcnt(0)
	ds_write2_b64 v125, v[41:42], v[43:44] offset0:92 offset1:93
	ds_write2_b64 v125, v[37:38], v[39:40] offset0:94 offset1:95
	;; [unrolled: 1-line block ×12, first 2 shown]
	ds_read2_b64 v[97:100], v127 offset1:1
	s_waitcnt lgkmcnt(0)
	v_cmp_neq_f64_e32 vcc, 0, v[97:98]
	v_cmp_neq_f64_e64 s[2:3], 0, v[99:100]
	s_or_b64 s[2:3], vcc, s[2:3]
	s_and_b64 exec, exec, s[2:3]
	s_cbranch_execz .LBB115_215
; %bb.210:
	v_cmp_ngt_f64_e64 s[2:3], |v[97:98]|, |v[99:100]|
                                        ; implicit-def: $vgpr101_vgpr102
	s_and_saveexec_b64 s[6:7], s[2:3]
	s_xor_b64 s[2:3], exec, s[6:7]
                                        ; implicit-def: $vgpr103_vgpr104
	s_cbranch_execz .LBB115_212
; %bb.211:
	v_div_scale_f64 v[101:102], s[6:7], v[99:100], v[99:100], v[97:98]
	v_rcp_f64_e32 v[103:104], v[101:102]
	v_fma_f64 v[105:106], -v[101:102], v[103:104], 1.0
	v_fma_f64 v[103:104], v[103:104], v[105:106], v[103:104]
	v_div_scale_f64 v[105:106], vcc, v[97:98], v[99:100], v[97:98]
	v_fma_f64 v[107:108], -v[101:102], v[103:104], 1.0
	v_fma_f64 v[103:104], v[103:104], v[107:108], v[103:104]
	v_mul_f64 v[107:108], v[105:106], v[103:104]
	v_fma_f64 v[101:102], -v[101:102], v[107:108], v[105:106]
	v_div_fmas_f64 v[101:102], v[101:102], v[103:104], v[107:108]
	v_div_fixup_f64 v[101:102], v[101:102], v[99:100], v[97:98]
	v_fma_f64 v[97:98], v[97:98], v[101:102], v[99:100]
	v_div_scale_f64 v[99:100], s[6:7], v[97:98], v[97:98], 1.0
	v_div_scale_f64 v[107:108], vcc, 1.0, v[97:98], 1.0
	v_rcp_f64_e32 v[103:104], v[99:100]
	v_fma_f64 v[105:106], -v[99:100], v[103:104], 1.0
	v_fma_f64 v[103:104], v[103:104], v[105:106], v[103:104]
	v_fma_f64 v[105:106], -v[99:100], v[103:104], 1.0
	v_fma_f64 v[103:104], v[103:104], v[105:106], v[103:104]
	v_mul_f64 v[105:106], v[107:108], v[103:104]
	v_fma_f64 v[99:100], -v[99:100], v[105:106], v[107:108]
	v_div_fmas_f64 v[99:100], v[99:100], v[103:104], v[105:106]
	v_div_fixup_f64 v[103:104], v[99:100], v[97:98], 1.0
                                        ; implicit-def: $vgpr97_vgpr98
	v_mul_f64 v[101:102], v[101:102], v[103:104]
	v_xor_b32_e32 v104, 0x80000000, v104
.LBB115_212:
	s_andn2_saveexec_b64 s[2:3], s[2:3]
	s_cbranch_execz .LBB115_214
; %bb.213:
	v_div_scale_f64 v[101:102], s[6:7], v[97:98], v[97:98], v[99:100]
	v_rcp_f64_e32 v[103:104], v[101:102]
	v_fma_f64 v[105:106], -v[101:102], v[103:104], 1.0
	v_fma_f64 v[103:104], v[103:104], v[105:106], v[103:104]
	v_div_scale_f64 v[105:106], vcc, v[99:100], v[97:98], v[99:100]
	v_fma_f64 v[107:108], -v[101:102], v[103:104], 1.0
	v_fma_f64 v[103:104], v[103:104], v[107:108], v[103:104]
	v_mul_f64 v[107:108], v[105:106], v[103:104]
	v_fma_f64 v[101:102], -v[101:102], v[107:108], v[105:106]
	v_div_fmas_f64 v[101:102], v[101:102], v[103:104], v[107:108]
	v_div_fixup_f64 v[103:104], v[101:102], v[97:98], v[99:100]
	v_fma_f64 v[97:98], v[99:100], v[103:104], v[97:98]
	v_div_scale_f64 v[99:100], s[6:7], v[97:98], v[97:98], 1.0
	v_div_scale_f64 v[107:108], vcc, 1.0, v[97:98], 1.0
	v_rcp_f64_e32 v[101:102], v[99:100]
	v_fma_f64 v[105:106], -v[99:100], v[101:102], 1.0
	v_fma_f64 v[101:102], v[101:102], v[105:106], v[101:102]
	v_fma_f64 v[105:106], -v[99:100], v[101:102], 1.0
	v_fma_f64 v[101:102], v[101:102], v[105:106], v[101:102]
	v_mul_f64 v[105:106], v[107:108], v[101:102]
	v_fma_f64 v[99:100], -v[99:100], v[105:106], v[107:108]
	v_div_fmas_f64 v[99:100], v[99:100], v[101:102], v[105:106]
	v_div_fixup_f64 v[101:102], v[99:100], v[97:98], 1.0
	v_mul_f64 v[103:104], v[103:104], -v[101:102]
.LBB115_214:
	s_or_b64 exec, exec, s[2:3]
	ds_write2_b64 v127, v[101:102], v[103:104] offset1:1
.LBB115_215:
	s_or_b64 exec, exec, s[4:5]
	s_waitcnt lgkmcnt(0)
	s_barrier
	ds_read2_b64 v[87:90], v127 offset1:1
	v_cmp_lt_u32_e32 vcc, 23, v0
	s_waitcnt lgkmcnt(0)
	buffer_store_dword v87, off, s[20:23], 0 offset:1560 ; 4-byte Folded Spill
	s_nop 0
	buffer_store_dword v88, off, s[20:23], 0 offset:1564 ; 4-byte Folded Spill
	buffer_store_dword v89, off, s[20:23], 0 offset:1568 ; 4-byte Folded Spill
	;; [unrolled: 1-line block ×3, first 2 shown]
	s_and_saveexec_b64 s[2:3], vcc
	s_cbranch_execz .LBB115_217
; %bb.216:
	buffer_load_dword v107, off, s[20:23], 0 offset:352 ; 4-byte Folded Reload
	buffer_load_dword v108, off, s[20:23], 0 offset:356 ; 4-byte Folded Reload
	;; [unrolled: 1-line block ×8, first 2 shown]
	s_waitcnt vmcnt(2)
	v_mul_f64 v[99:100], v[87:88], v[109:110]
	s_waitcnt vmcnt(0)
	v_mul_f64 v[97:98], v[89:90], v[109:110]
	v_fma_f64 v[109:110], v[89:90], v[107:108], v[99:100]
	ds_read2_b64 v[99:102], v125 offset0:48 offset1:49
	v_fma_f64 v[97:98], v[87:88], v[107:108], -v[97:98]
	buffer_load_dword v105, off, s[20:23], 0 offset:336 ; 4-byte Folded Reload
	buffer_load_dword v106, off, s[20:23], 0 offset:340 ; 4-byte Folded Reload
	buffer_load_dword v107, off, s[20:23], 0 offset:344 ; 4-byte Folded Reload
	buffer_load_dword v108, off, s[20:23], 0 offset:348 ; 4-byte Folded Reload
	s_waitcnt lgkmcnt(0)
	v_mul_f64 v[103:104], v[101:102], v[109:110]
	v_fma_f64 v[103:104], v[99:100], v[97:98], -v[103:104]
	v_mul_f64 v[99:100], v[99:100], v[109:110]
	v_fma_f64 v[99:100], v[101:102], v[97:98], v[99:100]
	s_waitcnt vmcnt(2)
	v_add_f64 v[105:106], v[105:106], -v[103:104]
	s_waitcnt vmcnt(0)
	v_add_f64 v[107:108], v[107:108], -v[99:100]
	buffer_store_dword v105, off, s[20:23], 0 offset:336 ; 4-byte Folded Spill
	s_nop 0
	buffer_store_dword v106, off, s[20:23], 0 offset:340 ; 4-byte Folded Spill
	buffer_store_dword v107, off, s[20:23], 0 offset:344 ; 4-byte Folded Spill
	buffer_store_dword v108, off, s[20:23], 0 offset:348 ; 4-byte Folded Spill
	ds_read2_b64 v[99:102], v125 offset0:50 offset1:51
	buffer_load_dword v105, off, s[20:23], 0 offset:320 ; 4-byte Folded Reload
	buffer_load_dword v106, off, s[20:23], 0 offset:324 ; 4-byte Folded Reload
	buffer_load_dword v107, off, s[20:23], 0 offset:328 ; 4-byte Folded Reload
	buffer_load_dword v108, off, s[20:23], 0 offset:332 ; 4-byte Folded Reload
	s_waitcnt lgkmcnt(0)
	v_mul_f64 v[103:104], v[101:102], v[109:110]
	v_fma_f64 v[103:104], v[99:100], v[97:98], -v[103:104]
	v_mul_f64 v[99:100], v[99:100], v[109:110]
	v_fma_f64 v[99:100], v[101:102], v[97:98], v[99:100]
	s_waitcnt vmcnt(2)
	v_add_f64 v[105:106], v[105:106], -v[103:104]
	s_waitcnt vmcnt(0)
	v_add_f64 v[107:108], v[107:108], -v[99:100]
	buffer_store_dword v105, off, s[20:23], 0 offset:320 ; 4-byte Folded Spill
	s_nop 0
	buffer_store_dword v106, off, s[20:23], 0 offset:324 ; 4-byte Folded Spill
	buffer_store_dword v107, off, s[20:23], 0 offset:328 ; 4-byte Folded Spill
	buffer_store_dword v108, off, s[20:23], 0 offset:332 ; 4-byte Folded Spill
	ds_read2_b64 v[99:102], v125 offset0:52 offset1:53
	;; [unrolled: 19-line block ×11, first 2 shown]
	v_mov_b32_e32 v108, v98
	v_mov_b32_e32 v107, v97
	s_waitcnt lgkmcnt(0)
	v_mul_f64 v[103:104], v[101:102], v[109:110]
	v_fma_f64 v[103:104], v[99:100], v[97:98], -v[103:104]
	v_mul_f64 v[99:100], v[99:100], v[109:110]
	v_add_f64 v[91:92], v[91:92], -v[103:104]
	v_fma_f64 v[99:100], v[101:102], v[97:98], v[99:100]
	v_add_f64 v[93:94], v[93:94], -v[99:100]
	ds_read2_b64 v[99:102], v125 offset0:72 offset1:73
	buffer_load_dword v77, off, s[20:23], 0 offset:160 ; 4-byte Folded Reload
	buffer_load_dword v78, off, s[20:23], 0 offset:164 ; 4-byte Folded Reload
	buffer_load_dword v79, off, s[20:23], 0 offset:168 ; 4-byte Folded Reload
	buffer_load_dword v80, off, s[20:23], 0 offset:172 ; 4-byte Folded Reload
	s_waitcnt lgkmcnt(0)
	v_mul_f64 v[103:104], v[101:102], v[109:110]
	v_fma_f64 v[103:104], v[99:100], v[97:98], -v[103:104]
	v_mul_f64 v[99:100], v[99:100], v[109:110]
	v_fma_f64 v[99:100], v[101:102], v[97:98], v[99:100]
	s_waitcnt vmcnt(2)
	v_add_f64 v[77:78], v[77:78], -v[103:104]
	s_waitcnt vmcnt(0)
	v_add_f64 v[79:80], v[79:80], -v[99:100]
	buffer_store_dword v77, off, s[20:23], 0 offset:160 ; 4-byte Folded Spill
	s_nop 0
	buffer_store_dword v78, off, s[20:23], 0 offset:164 ; 4-byte Folded Spill
	buffer_store_dword v79, off, s[20:23], 0 offset:168 ; 4-byte Folded Spill
	buffer_store_dword v80, off, s[20:23], 0 offset:172 ; 4-byte Folded Spill
	ds_read2_b64 v[99:102], v125 offset0:74 offset1:75
	buffer_load_dword v77, off, s[20:23], 0 offset:144 ; 4-byte Folded Reload
	buffer_load_dword v78, off, s[20:23], 0 offset:148 ; 4-byte Folded Reload
	buffer_load_dword v79, off, s[20:23], 0 offset:152 ; 4-byte Folded Reload
	buffer_load_dword v80, off, s[20:23], 0 offset:156 ; 4-byte Folded Reload
	s_waitcnt lgkmcnt(0)
	v_mul_f64 v[103:104], v[101:102], v[109:110]
	v_fma_f64 v[103:104], v[99:100], v[97:98], -v[103:104]
	v_mul_f64 v[99:100], v[99:100], v[109:110]
	v_fma_f64 v[99:100], v[101:102], v[97:98], v[99:100]
	s_waitcnt vmcnt(2)
	v_add_f64 v[77:78], v[77:78], -v[103:104]
	s_waitcnt vmcnt(0)
	v_add_f64 v[79:80], v[79:80], -v[99:100]
	buffer_store_dword v77, off, s[20:23], 0 offset:144 ; 4-byte Folded Spill
	s_nop 0
	buffer_store_dword v78, off, s[20:23], 0 offset:148 ; 4-byte Folded Spill
	buffer_store_dword v79, off, s[20:23], 0 offset:152 ; 4-byte Folded Spill
	buffer_store_dword v80, off, s[20:23], 0 offset:156 ; 4-byte Folded Spill
	;; [unrolled: 19-line block ×10, first 2 shown]
	ds_read2_b64 v[99:102], v125 offset0:92 offset1:93
	buffer_load_dword v41, off, s[20:23], 0 ; 4-byte Folded Reload
	buffer_load_dword v42, off, s[20:23], 0 offset:4 ; 4-byte Folded Reload
	buffer_load_dword v43, off, s[20:23], 0 offset:8 ; 4-byte Folded Reload
	;; [unrolled: 1-line block ×3, first 2 shown]
	s_waitcnt lgkmcnt(0)
	v_mul_f64 v[103:104], v[101:102], v[109:110]
	v_fma_f64 v[103:104], v[99:100], v[97:98], -v[103:104]
	v_mul_f64 v[99:100], v[99:100], v[109:110]
	v_fma_f64 v[99:100], v[101:102], v[97:98], v[99:100]
	s_waitcnt vmcnt(2)
	v_add_f64 v[41:42], v[41:42], -v[103:104]
	s_waitcnt vmcnt(0)
	v_add_f64 v[43:44], v[43:44], -v[99:100]
	buffer_store_dword v41, off, s[20:23], 0 ; 4-byte Folded Spill
	s_nop 0
	buffer_store_dword v42, off, s[20:23], 0 offset:4 ; 4-byte Folded Spill
	buffer_store_dword v43, off, s[20:23], 0 offset:8 ; 4-byte Folded Spill
	;; [unrolled: 1-line block ×3, first 2 shown]
	ds_read2_b64 v[99:102], v125 offset0:94 offset1:95
	s_waitcnt lgkmcnt(0)
	v_mul_f64 v[103:104], v[101:102], v[109:110]
	v_fma_f64 v[103:104], v[99:100], v[97:98], -v[103:104]
	v_mul_f64 v[99:100], v[99:100], v[109:110]
	v_add_f64 v[37:38], v[37:38], -v[103:104]
	v_fma_f64 v[99:100], v[101:102], v[97:98], v[99:100]
	v_add_f64 v[39:40], v[39:40], -v[99:100]
	ds_read2_b64 v[99:102], v125 offset0:96 offset1:97
	s_waitcnt lgkmcnt(0)
	v_mul_f64 v[103:104], v[101:102], v[109:110]
	v_fma_f64 v[103:104], v[99:100], v[97:98], -v[103:104]
	v_mul_f64 v[99:100], v[99:100], v[109:110]
	v_add_f64 v[33:34], v[33:34], -v[103:104]
	v_fma_f64 v[99:100], v[101:102], v[97:98], v[99:100]
	v_add_f64 v[35:36], v[35:36], -v[99:100]
	;; [unrolled: 8-line block ×10, first 2 shown]
	ds_read2_b64 v[99:102], v125 offset0:114 offset1:115
	s_waitcnt lgkmcnt(0)
	v_mul_f64 v[103:104], v[101:102], v[109:110]
	v_fma_f64 v[103:104], v[99:100], v[97:98], -v[103:104]
	v_mul_f64 v[99:100], v[99:100], v[109:110]
	buffer_store_dword v107, off, s[20:23], 0 offset:352 ; 4-byte Folded Spill
	s_nop 0
	buffer_store_dword v108, off, s[20:23], 0 offset:356 ; 4-byte Folded Spill
	buffer_store_dword v109, off, s[20:23], 0 offset:360 ; 4-byte Folded Spill
	;; [unrolled: 1-line block ×3, first 2 shown]
	v_add_f64 v[121:122], v[121:122], -v[103:104]
	v_fma_f64 v[99:100], v[101:102], v[97:98], v[99:100]
	v_add_f64 v[123:124], v[123:124], -v[99:100]
.LBB115_217:
	s_or_b64 exec, exec, s[2:3]
	v_cmp_eq_u32_e32 vcc, 24, v0
	s_waitcnt vmcnt(0)
	s_barrier
	s_and_saveexec_b64 s[4:5], vcc
	s_cbranch_execz .LBB115_224
; %bb.218:
	buffer_load_dword v95, off, s[20:23], 0 offset:336 ; 4-byte Folded Reload
	buffer_load_dword v96, off, s[20:23], 0 offset:340 ; 4-byte Folded Reload
	;; [unrolled: 1-line block ×4, first 2 shown]
	s_waitcnt vmcnt(0)
	ds_write2_b64 v127, v[95:96], v[97:98] offset1:1
	buffer_load_dword v95, off, s[20:23], 0 offset:320 ; 4-byte Folded Reload
	buffer_load_dword v96, off, s[20:23], 0 offset:324 ; 4-byte Folded Reload
	buffer_load_dword v97, off, s[20:23], 0 offset:328 ; 4-byte Folded Reload
	buffer_load_dword v98, off, s[20:23], 0 offset:332 ; 4-byte Folded Reload
	s_waitcnt vmcnt(0)
	ds_write2_b64 v125, v[95:96], v[97:98] offset0:50 offset1:51
	buffer_load_dword v95, off, s[20:23], 0 offset:304 ; 4-byte Folded Reload
	buffer_load_dword v96, off, s[20:23], 0 offset:308 ; 4-byte Folded Reload
	buffer_load_dword v97, off, s[20:23], 0 offset:312 ; 4-byte Folded Reload
	buffer_load_dword v98, off, s[20:23], 0 offset:316 ; 4-byte Folded Reload
	s_waitcnt vmcnt(0)
	ds_write2_b64 v125, v[95:96], v[97:98] offset0:52 offset1:53
	;; [unrolled: 6-line block ×10, first 2 shown]
	ds_write2_b64 v125, v[91:92], v[93:94] offset0:70 offset1:71
	buffer_load_dword v77, off, s[20:23], 0 offset:160 ; 4-byte Folded Reload
	buffer_load_dword v78, off, s[20:23], 0 offset:164 ; 4-byte Folded Reload
	buffer_load_dword v79, off, s[20:23], 0 offset:168 ; 4-byte Folded Reload
	buffer_load_dword v80, off, s[20:23], 0 offset:172 ; 4-byte Folded Reload
	s_waitcnt vmcnt(0)
	ds_write2_b64 v125, v[77:78], v[79:80] offset0:72 offset1:73
	buffer_load_dword v77, off, s[20:23], 0 offset:144 ; 4-byte Folded Reload
	buffer_load_dword v78, off, s[20:23], 0 offset:148 ; 4-byte Folded Reload
	buffer_load_dword v79, off, s[20:23], 0 offset:152 ; 4-byte Folded Reload
	buffer_load_dword v80, off, s[20:23], 0 offset:156 ; 4-byte Folded Reload
	s_waitcnt vmcnt(0)
	;; [unrolled: 6-line block ×10, first 2 shown]
	ds_write2_b64 v125, v[45:46], v[47:48] offset0:90 offset1:91
	buffer_load_dword v41, off, s[20:23], 0 ; 4-byte Folded Reload
	buffer_load_dword v42, off, s[20:23], 0 offset:4 ; 4-byte Folded Reload
	buffer_load_dword v43, off, s[20:23], 0 offset:8 ; 4-byte Folded Reload
	;; [unrolled: 1-line block ×3, first 2 shown]
	s_waitcnt vmcnt(0)
	ds_write2_b64 v125, v[41:42], v[43:44] offset0:92 offset1:93
	ds_write2_b64 v125, v[37:38], v[39:40] offset0:94 offset1:95
	;; [unrolled: 1-line block ×12, first 2 shown]
	ds_read2_b64 v[97:100], v127 offset1:1
	s_waitcnt lgkmcnt(0)
	v_cmp_neq_f64_e32 vcc, 0, v[97:98]
	v_cmp_neq_f64_e64 s[2:3], 0, v[99:100]
	s_or_b64 s[2:3], vcc, s[2:3]
	s_and_b64 exec, exec, s[2:3]
	s_cbranch_execz .LBB115_224
; %bb.219:
	v_cmp_ngt_f64_e64 s[2:3], |v[97:98]|, |v[99:100]|
                                        ; implicit-def: $vgpr101_vgpr102
	s_and_saveexec_b64 s[6:7], s[2:3]
	s_xor_b64 s[2:3], exec, s[6:7]
                                        ; implicit-def: $vgpr103_vgpr104
	s_cbranch_execz .LBB115_221
; %bb.220:
	v_div_scale_f64 v[101:102], s[6:7], v[99:100], v[99:100], v[97:98]
	v_rcp_f64_e32 v[103:104], v[101:102]
	v_fma_f64 v[105:106], -v[101:102], v[103:104], 1.0
	v_fma_f64 v[103:104], v[103:104], v[105:106], v[103:104]
	v_div_scale_f64 v[105:106], vcc, v[97:98], v[99:100], v[97:98]
	v_fma_f64 v[107:108], -v[101:102], v[103:104], 1.0
	v_fma_f64 v[103:104], v[103:104], v[107:108], v[103:104]
	v_mul_f64 v[107:108], v[105:106], v[103:104]
	v_fma_f64 v[101:102], -v[101:102], v[107:108], v[105:106]
	v_div_fmas_f64 v[101:102], v[101:102], v[103:104], v[107:108]
	v_div_fixup_f64 v[101:102], v[101:102], v[99:100], v[97:98]
	v_fma_f64 v[97:98], v[97:98], v[101:102], v[99:100]
	v_div_scale_f64 v[99:100], s[6:7], v[97:98], v[97:98], 1.0
	v_div_scale_f64 v[107:108], vcc, 1.0, v[97:98], 1.0
	v_rcp_f64_e32 v[103:104], v[99:100]
	v_fma_f64 v[105:106], -v[99:100], v[103:104], 1.0
	v_fma_f64 v[103:104], v[103:104], v[105:106], v[103:104]
	v_fma_f64 v[105:106], -v[99:100], v[103:104], 1.0
	v_fma_f64 v[103:104], v[103:104], v[105:106], v[103:104]
	v_mul_f64 v[105:106], v[107:108], v[103:104]
	v_fma_f64 v[99:100], -v[99:100], v[105:106], v[107:108]
	v_div_fmas_f64 v[99:100], v[99:100], v[103:104], v[105:106]
	v_div_fixup_f64 v[103:104], v[99:100], v[97:98], 1.0
                                        ; implicit-def: $vgpr97_vgpr98
	v_mul_f64 v[101:102], v[101:102], v[103:104]
	v_xor_b32_e32 v104, 0x80000000, v104
.LBB115_221:
	s_andn2_saveexec_b64 s[2:3], s[2:3]
	s_cbranch_execz .LBB115_223
; %bb.222:
	v_div_scale_f64 v[101:102], s[6:7], v[97:98], v[97:98], v[99:100]
	v_rcp_f64_e32 v[103:104], v[101:102]
	v_fma_f64 v[105:106], -v[101:102], v[103:104], 1.0
	v_fma_f64 v[103:104], v[103:104], v[105:106], v[103:104]
	v_div_scale_f64 v[105:106], vcc, v[99:100], v[97:98], v[99:100]
	v_fma_f64 v[107:108], -v[101:102], v[103:104], 1.0
	v_fma_f64 v[103:104], v[103:104], v[107:108], v[103:104]
	v_mul_f64 v[107:108], v[105:106], v[103:104]
	v_fma_f64 v[101:102], -v[101:102], v[107:108], v[105:106]
	v_div_fmas_f64 v[101:102], v[101:102], v[103:104], v[107:108]
	v_div_fixup_f64 v[103:104], v[101:102], v[97:98], v[99:100]
	v_fma_f64 v[97:98], v[99:100], v[103:104], v[97:98]
	v_div_scale_f64 v[99:100], s[6:7], v[97:98], v[97:98], 1.0
	v_div_scale_f64 v[107:108], vcc, 1.0, v[97:98], 1.0
	v_rcp_f64_e32 v[101:102], v[99:100]
	v_fma_f64 v[105:106], -v[99:100], v[101:102], 1.0
	v_fma_f64 v[101:102], v[101:102], v[105:106], v[101:102]
	v_fma_f64 v[105:106], -v[99:100], v[101:102], 1.0
	v_fma_f64 v[101:102], v[101:102], v[105:106], v[101:102]
	v_mul_f64 v[105:106], v[107:108], v[101:102]
	v_fma_f64 v[99:100], -v[99:100], v[105:106], v[107:108]
	v_div_fmas_f64 v[99:100], v[99:100], v[101:102], v[105:106]
	v_div_fixup_f64 v[101:102], v[99:100], v[97:98], 1.0
	v_mul_f64 v[103:104], v[103:104], -v[101:102]
.LBB115_223:
	s_or_b64 exec, exec, s[2:3]
	ds_write2_b64 v127, v[101:102], v[103:104] offset1:1
.LBB115_224:
	s_or_b64 exec, exec, s[4:5]
	s_waitcnt lgkmcnt(0)
	s_barrier
	ds_read2_b64 v[87:90], v127 offset1:1
	v_cmp_lt_u32_e32 vcc, 24, v0
	s_waitcnt lgkmcnt(0)
	buffer_store_dword v87, off, s[20:23], 0 offset:1576 ; 4-byte Folded Spill
	s_nop 0
	buffer_store_dword v88, off, s[20:23], 0 offset:1580 ; 4-byte Folded Spill
	buffer_store_dword v89, off, s[20:23], 0 offset:1584 ; 4-byte Folded Spill
	;; [unrolled: 1-line block ×3, first 2 shown]
	s_and_saveexec_b64 s[2:3], vcc
	s_cbranch_execz .LBB115_226
; %bb.225:
	buffer_load_dword v107, off, s[20:23], 0 offset:336 ; 4-byte Folded Reload
	buffer_load_dword v108, off, s[20:23], 0 offset:340 ; 4-byte Folded Reload
	;; [unrolled: 1-line block ×8, first 2 shown]
	s_waitcnt vmcnt(2)
	v_mul_f64 v[99:100], v[87:88], v[109:110]
	s_waitcnt vmcnt(0)
	v_mul_f64 v[97:98], v[89:90], v[109:110]
	v_fma_f64 v[109:110], v[89:90], v[107:108], v[99:100]
	ds_read2_b64 v[99:102], v125 offset0:50 offset1:51
	v_fma_f64 v[97:98], v[87:88], v[107:108], -v[97:98]
	buffer_load_dword v105, off, s[20:23], 0 offset:320 ; 4-byte Folded Reload
	buffer_load_dword v106, off, s[20:23], 0 offset:324 ; 4-byte Folded Reload
	buffer_load_dword v107, off, s[20:23], 0 offset:328 ; 4-byte Folded Reload
	buffer_load_dword v108, off, s[20:23], 0 offset:332 ; 4-byte Folded Reload
	s_waitcnt lgkmcnt(0)
	v_mul_f64 v[103:104], v[101:102], v[109:110]
	v_fma_f64 v[103:104], v[99:100], v[97:98], -v[103:104]
	v_mul_f64 v[99:100], v[99:100], v[109:110]
	v_fma_f64 v[99:100], v[101:102], v[97:98], v[99:100]
	s_waitcnt vmcnt(2)
	v_add_f64 v[105:106], v[105:106], -v[103:104]
	s_waitcnt vmcnt(0)
	v_add_f64 v[107:108], v[107:108], -v[99:100]
	buffer_store_dword v105, off, s[20:23], 0 offset:320 ; 4-byte Folded Spill
	s_nop 0
	buffer_store_dword v106, off, s[20:23], 0 offset:324 ; 4-byte Folded Spill
	buffer_store_dword v107, off, s[20:23], 0 offset:328 ; 4-byte Folded Spill
	buffer_store_dword v108, off, s[20:23], 0 offset:332 ; 4-byte Folded Spill
	ds_read2_b64 v[99:102], v125 offset0:52 offset1:53
	buffer_load_dword v105, off, s[20:23], 0 offset:304 ; 4-byte Folded Reload
	buffer_load_dword v106, off, s[20:23], 0 offset:308 ; 4-byte Folded Reload
	buffer_load_dword v107, off, s[20:23], 0 offset:312 ; 4-byte Folded Reload
	buffer_load_dword v108, off, s[20:23], 0 offset:316 ; 4-byte Folded Reload
	s_waitcnt lgkmcnt(0)
	v_mul_f64 v[103:104], v[101:102], v[109:110]
	v_fma_f64 v[103:104], v[99:100], v[97:98], -v[103:104]
	v_mul_f64 v[99:100], v[99:100], v[109:110]
	v_fma_f64 v[99:100], v[101:102], v[97:98], v[99:100]
	s_waitcnt vmcnt(2)
	v_add_f64 v[105:106], v[105:106], -v[103:104]
	s_waitcnt vmcnt(0)
	v_add_f64 v[107:108], v[107:108], -v[99:100]
	buffer_store_dword v105, off, s[20:23], 0 offset:304 ; 4-byte Folded Spill
	s_nop 0
	buffer_store_dword v106, off, s[20:23], 0 offset:308 ; 4-byte Folded Spill
	buffer_store_dword v107, off, s[20:23], 0 offset:312 ; 4-byte Folded Spill
	buffer_store_dword v108, off, s[20:23], 0 offset:316 ; 4-byte Folded Spill
	ds_read2_b64 v[99:102], v125 offset0:54 offset1:55
	;; [unrolled: 19-line block ×10, first 2 shown]
	v_mov_b32_e32 v108, v98
	v_mov_b32_e32 v107, v97
	s_waitcnt lgkmcnt(0)
	v_mul_f64 v[103:104], v[101:102], v[109:110]
	v_fma_f64 v[103:104], v[99:100], v[97:98], -v[103:104]
	v_mul_f64 v[99:100], v[99:100], v[109:110]
	v_add_f64 v[91:92], v[91:92], -v[103:104]
	v_fma_f64 v[99:100], v[101:102], v[97:98], v[99:100]
	v_add_f64 v[93:94], v[93:94], -v[99:100]
	ds_read2_b64 v[99:102], v125 offset0:72 offset1:73
	buffer_load_dword v77, off, s[20:23], 0 offset:160 ; 4-byte Folded Reload
	buffer_load_dword v78, off, s[20:23], 0 offset:164 ; 4-byte Folded Reload
	buffer_load_dword v79, off, s[20:23], 0 offset:168 ; 4-byte Folded Reload
	buffer_load_dword v80, off, s[20:23], 0 offset:172 ; 4-byte Folded Reload
	s_waitcnt lgkmcnt(0)
	v_mul_f64 v[103:104], v[101:102], v[109:110]
	v_fma_f64 v[103:104], v[99:100], v[97:98], -v[103:104]
	v_mul_f64 v[99:100], v[99:100], v[109:110]
	v_fma_f64 v[99:100], v[101:102], v[97:98], v[99:100]
	s_waitcnt vmcnt(2)
	v_add_f64 v[77:78], v[77:78], -v[103:104]
	s_waitcnt vmcnt(0)
	v_add_f64 v[79:80], v[79:80], -v[99:100]
	buffer_store_dword v77, off, s[20:23], 0 offset:160 ; 4-byte Folded Spill
	s_nop 0
	buffer_store_dword v78, off, s[20:23], 0 offset:164 ; 4-byte Folded Spill
	buffer_store_dword v79, off, s[20:23], 0 offset:168 ; 4-byte Folded Spill
	buffer_store_dword v80, off, s[20:23], 0 offset:172 ; 4-byte Folded Spill
	ds_read2_b64 v[99:102], v125 offset0:74 offset1:75
	buffer_load_dword v77, off, s[20:23], 0 offset:144 ; 4-byte Folded Reload
	buffer_load_dword v78, off, s[20:23], 0 offset:148 ; 4-byte Folded Reload
	buffer_load_dword v79, off, s[20:23], 0 offset:152 ; 4-byte Folded Reload
	buffer_load_dword v80, off, s[20:23], 0 offset:156 ; 4-byte Folded Reload
	s_waitcnt lgkmcnt(0)
	v_mul_f64 v[103:104], v[101:102], v[109:110]
	v_fma_f64 v[103:104], v[99:100], v[97:98], -v[103:104]
	v_mul_f64 v[99:100], v[99:100], v[109:110]
	v_fma_f64 v[99:100], v[101:102], v[97:98], v[99:100]
	s_waitcnt vmcnt(2)
	v_add_f64 v[77:78], v[77:78], -v[103:104]
	s_waitcnt vmcnt(0)
	v_add_f64 v[79:80], v[79:80], -v[99:100]
	buffer_store_dword v77, off, s[20:23], 0 offset:144 ; 4-byte Folded Spill
	s_nop 0
	buffer_store_dword v78, off, s[20:23], 0 offset:148 ; 4-byte Folded Spill
	buffer_store_dword v79, off, s[20:23], 0 offset:152 ; 4-byte Folded Spill
	buffer_store_dword v80, off, s[20:23], 0 offset:156 ; 4-byte Folded Spill
	;; [unrolled: 19-line block ×10, first 2 shown]
	ds_read2_b64 v[99:102], v125 offset0:92 offset1:93
	buffer_load_dword v41, off, s[20:23], 0 ; 4-byte Folded Reload
	buffer_load_dword v42, off, s[20:23], 0 offset:4 ; 4-byte Folded Reload
	buffer_load_dword v43, off, s[20:23], 0 offset:8 ; 4-byte Folded Reload
	;; [unrolled: 1-line block ×3, first 2 shown]
	s_waitcnt lgkmcnt(0)
	v_mul_f64 v[103:104], v[101:102], v[109:110]
	v_fma_f64 v[103:104], v[99:100], v[97:98], -v[103:104]
	v_mul_f64 v[99:100], v[99:100], v[109:110]
	v_fma_f64 v[99:100], v[101:102], v[97:98], v[99:100]
	s_waitcnt vmcnt(2)
	v_add_f64 v[41:42], v[41:42], -v[103:104]
	s_waitcnt vmcnt(0)
	v_add_f64 v[43:44], v[43:44], -v[99:100]
	buffer_store_dword v41, off, s[20:23], 0 ; 4-byte Folded Spill
	s_nop 0
	buffer_store_dword v42, off, s[20:23], 0 offset:4 ; 4-byte Folded Spill
	buffer_store_dword v43, off, s[20:23], 0 offset:8 ; 4-byte Folded Spill
	;; [unrolled: 1-line block ×3, first 2 shown]
	ds_read2_b64 v[99:102], v125 offset0:94 offset1:95
	s_waitcnt lgkmcnt(0)
	v_mul_f64 v[103:104], v[101:102], v[109:110]
	v_fma_f64 v[103:104], v[99:100], v[97:98], -v[103:104]
	v_mul_f64 v[99:100], v[99:100], v[109:110]
	v_add_f64 v[37:38], v[37:38], -v[103:104]
	v_fma_f64 v[99:100], v[101:102], v[97:98], v[99:100]
	v_add_f64 v[39:40], v[39:40], -v[99:100]
	ds_read2_b64 v[99:102], v125 offset0:96 offset1:97
	s_waitcnt lgkmcnt(0)
	v_mul_f64 v[103:104], v[101:102], v[109:110]
	v_fma_f64 v[103:104], v[99:100], v[97:98], -v[103:104]
	v_mul_f64 v[99:100], v[99:100], v[109:110]
	v_add_f64 v[33:34], v[33:34], -v[103:104]
	v_fma_f64 v[99:100], v[101:102], v[97:98], v[99:100]
	v_add_f64 v[35:36], v[35:36], -v[99:100]
	;; [unrolled: 8-line block ×10, first 2 shown]
	ds_read2_b64 v[99:102], v125 offset0:114 offset1:115
	s_waitcnt lgkmcnt(0)
	v_mul_f64 v[103:104], v[101:102], v[109:110]
	v_fma_f64 v[103:104], v[99:100], v[97:98], -v[103:104]
	v_mul_f64 v[99:100], v[99:100], v[109:110]
	buffer_store_dword v107, off, s[20:23], 0 offset:336 ; 4-byte Folded Spill
	s_nop 0
	buffer_store_dword v108, off, s[20:23], 0 offset:340 ; 4-byte Folded Spill
	buffer_store_dword v109, off, s[20:23], 0 offset:344 ; 4-byte Folded Spill
	;; [unrolled: 1-line block ×3, first 2 shown]
	v_add_f64 v[121:122], v[121:122], -v[103:104]
	v_fma_f64 v[99:100], v[101:102], v[97:98], v[99:100]
	v_add_f64 v[123:124], v[123:124], -v[99:100]
.LBB115_226:
	s_or_b64 exec, exec, s[2:3]
	v_cmp_eq_u32_e32 vcc, 25, v0
	s_waitcnt vmcnt(0)
	s_barrier
	s_and_saveexec_b64 s[4:5], vcc
	s_cbranch_execz .LBB115_233
; %bb.227:
	buffer_load_dword v95, off, s[20:23], 0 offset:320 ; 4-byte Folded Reload
	buffer_load_dword v96, off, s[20:23], 0 offset:324 ; 4-byte Folded Reload
	;; [unrolled: 1-line block ×4, first 2 shown]
	s_waitcnt vmcnt(0)
	ds_write2_b64 v127, v[95:96], v[97:98] offset1:1
	buffer_load_dword v95, off, s[20:23], 0 offset:304 ; 4-byte Folded Reload
	buffer_load_dword v96, off, s[20:23], 0 offset:308 ; 4-byte Folded Reload
	buffer_load_dword v97, off, s[20:23], 0 offset:312 ; 4-byte Folded Reload
	buffer_load_dword v98, off, s[20:23], 0 offset:316 ; 4-byte Folded Reload
	s_waitcnt vmcnt(0)
	ds_write2_b64 v125, v[95:96], v[97:98] offset0:52 offset1:53
	buffer_load_dword v95, off, s[20:23], 0 offset:288 ; 4-byte Folded Reload
	buffer_load_dword v96, off, s[20:23], 0 offset:292 ; 4-byte Folded Reload
	buffer_load_dword v97, off, s[20:23], 0 offset:296 ; 4-byte Folded Reload
	buffer_load_dword v98, off, s[20:23], 0 offset:300 ; 4-byte Folded Reload
	s_waitcnt vmcnt(0)
	ds_write2_b64 v125, v[95:96], v[97:98] offset0:54 offset1:55
	;; [unrolled: 6-line block ×9, first 2 shown]
	ds_write2_b64 v125, v[91:92], v[93:94] offset0:70 offset1:71
	buffer_load_dword v77, off, s[20:23], 0 offset:160 ; 4-byte Folded Reload
	buffer_load_dword v78, off, s[20:23], 0 offset:164 ; 4-byte Folded Reload
	buffer_load_dword v79, off, s[20:23], 0 offset:168 ; 4-byte Folded Reload
	buffer_load_dword v80, off, s[20:23], 0 offset:172 ; 4-byte Folded Reload
	s_waitcnt vmcnt(0)
	ds_write2_b64 v125, v[77:78], v[79:80] offset0:72 offset1:73
	buffer_load_dword v77, off, s[20:23], 0 offset:144 ; 4-byte Folded Reload
	buffer_load_dword v78, off, s[20:23], 0 offset:148 ; 4-byte Folded Reload
	buffer_load_dword v79, off, s[20:23], 0 offset:152 ; 4-byte Folded Reload
	buffer_load_dword v80, off, s[20:23], 0 offset:156 ; 4-byte Folded Reload
	s_waitcnt vmcnt(0)
	;; [unrolled: 6-line block ×10, first 2 shown]
	ds_write2_b64 v125, v[45:46], v[47:48] offset0:90 offset1:91
	buffer_load_dword v41, off, s[20:23], 0 ; 4-byte Folded Reload
	buffer_load_dword v42, off, s[20:23], 0 offset:4 ; 4-byte Folded Reload
	buffer_load_dword v43, off, s[20:23], 0 offset:8 ; 4-byte Folded Reload
	;; [unrolled: 1-line block ×3, first 2 shown]
	s_waitcnt vmcnt(0)
	ds_write2_b64 v125, v[41:42], v[43:44] offset0:92 offset1:93
	ds_write2_b64 v125, v[37:38], v[39:40] offset0:94 offset1:95
	;; [unrolled: 1-line block ×12, first 2 shown]
	ds_read2_b64 v[97:100], v127 offset1:1
	s_waitcnt lgkmcnt(0)
	v_cmp_neq_f64_e32 vcc, 0, v[97:98]
	v_cmp_neq_f64_e64 s[2:3], 0, v[99:100]
	s_or_b64 s[2:3], vcc, s[2:3]
	s_and_b64 exec, exec, s[2:3]
	s_cbranch_execz .LBB115_233
; %bb.228:
	v_cmp_ngt_f64_e64 s[2:3], |v[97:98]|, |v[99:100]|
                                        ; implicit-def: $vgpr101_vgpr102
	s_and_saveexec_b64 s[6:7], s[2:3]
	s_xor_b64 s[2:3], exec, s[6:7]
                                        ; implicit-def: $vgpr103_vgpr104
	s_cbranch_execz .LBB115_230
; %bb.229:
	v_div_scale_f64 v[101:102], s[6:7], v[99:100], v[99:100], v[97:98]
	v_rcp_f64_e32 v[103:104], v[101:102]
	v_fma_f64 v[105:106], -v[101:102], v[103:104], 1.0
	v_fma_f64 v[103:104], v[103:104], v[105:106], v[103:104]
	v_div_scale_f64 v[105:106], vcc, v[97:98], v[99:100], v[97:98]
	v_fma_f64 v[107:108], -v[101:102], v[103:104], 1.0
	v_fma_f64 v[103:104], v[103:104], v[107:108], v[103:104]
	v_mul_f64 v[107:108], v[105:106], v[103:104]
	v_fma_f64 v[101:102], -v[101:102], v[107:108], v[105:106]
	v_div_fmas_f64 v[101:102], v[101:102], v[103:104], v[107:108]
	v_div_fixup_f64 v[101:102], v[101:102], v[99:100], v[97:98]
	v_fma_f64 v[97:98], v[97:98], v[101:102], v[99:100]
	v_div_scale_f64 v[99:100], s[6:7], v[97:98], v[97:98], 1.0
	v_div_scale_f64 v[107:108], vcc, 1.0, v[97:98], 1.0
	v_rcp_f64_e32 v[103:104], v[99:100]
	v_fma_f64 v[105:106], -v[99:100], v[103:104], 1.0
	v_fma_f64 v[103:104], v[103:104], v[105:106], v[103:104]
	v_fma_f64 v[105:106], -v[99:100], v[103:104], 1.0
	v_fma_f64 v[103:104], v[103:104], v[105:106], v[103:104]
	v_mul_f64 v[105:106], v[107:108], v[103:104]
	v_fma_f64 v[99:100], -v[99:100], v[105:106], v[107:108]
	v_div_fmas_f64 v[99:100], v[99:100], v[103:104], v[105:106]
	v_div_fixup_f64 v[103:104], v[99:100], v[97:98], 1.0
                                        ; implicit-def: $vgpr97_vgpr98
	v_mul_f64 v[101:102], v[101:102], v[103:104]
	v_xor_b32_e32 v104, 0x80000000, v104
.LBB115_230:
	s_andn2_saveexec_b64 s[2:3], s[2:3]
	s_cbranch_execz .LBB115_232
; %bb.231:
	v_div_scale_f64 v[101:102], s[6:7], v[97:98], v[97:98], v[99:100]
	v_rcp_f64_e32 v[103:104], v[101:102]
	v_fma_f64 v[105:106], -v[101:102], v[103:104], 1.0
	v_fma_f64 v[103:104], v[103:104], v[105:106], v[103:104]
	v_div_scale_f64 v[105:106], vcc, v[99:100], v[97:98], v[99:100]
	v_fma_f64 v[107:108], -v[101:102], v[103:104], 1.0
	v_fma_f64 v[103:104], v[103:104], v[107:108], v[103:104]
	v_mul_f64 v[107:108], v[105:106], v[103:104]
	v_fma_f64 v[101:102], -v[101:102], v[107:108], v[105:106]
	v_div_fmas_f64 v[101:102], v[101:102], v[103:104], v[107:108]
	v_div_fixup_f64 v[103:104], v[101:102], v[97:98], v[99:100]
	v_fma_f64 v[97:98], v[99:100], v[103:104], v[97:98]
	v_div_scale_f64 v[99:100], s[6:7], v[97:98], v[97:98], 1.0
	v_div_scale_f64 v[107:108], vcc, 1.0, v[97:98], 1.0
	v_rcp_f64_e32 v[101:102], v[99:100]
	v_fma_f64 v[105:106], -v[99:100], v[101:102], 1.0
	v_fma_f64 v[101:102], v[101:102], v[105:106], v[101:102]
	v_fma_f64 v[105:106], -v[99:100], v[101:102], 1.0
	v_fma_f64 v[101:102], v[101:102], v[105:106], v[101:102]
	v_mul_f64 v[105:106], v[107:108], v[101:102]
	v_fma_f64 v[99:100], -v[99:100], v[105:106], v[107:108]
	v_div_fmas_f64 v[99:100], v[99:100], v[101:102], v[105:106]
	v_div_fixup_f64 v[101:102], v[99:100], v[97:98], 1.0
	v_mul_f64 v[103:104], v[103:104], -v[101:102]
.LBB115_232:
	s_or_b64 exec, exec, s[2:3]
	ds_write2_b64 v127, v[101:102], v[103:104] offset1:1
.LBB115_233:
	s_or_b64 exec, exec, s[4:5]
	s_waitcnt lgkmcnt(0)
	s_barrier
	ds_read2_b64 v[87:90], v127 offset1:1
	v_cmp_lt_u32_e32 vcc, 25, v0
	s_waitcnt lgkmcnt(0)
	buffer_store_dword v87, off, s[20:23], 0 offset:1592 ; 4-byte Folded Spill
	s_nop 0
	buffer_store_dword v88, off, s[20:23], 0 offset:1596 ; 4-byte Folded Spill
	buffer_store_dword v89, off, s[20:23], 0 offset:1600 ; 4-byte Folded Spill
	;; [unrolled: 1-line block ×3, first 2 shown]
	s_and_saveexec_b64 s[2:3], vcc
	s_cbranch_execz .LBB115_235
; %bb.234:
	buffer_load_dword v107, off, s[20:23], 0 offset:320 ; 4-byte Folded Reload
	buffer_load_dword v108, off, s[20:23], 0 offset:324 ; 4-byte Folded Reload
	;; [unrolled: 1-line block ×8, first 2 shown]
	s_waitcnt vmcnt(2)
	v_mul_f64 v[99:100], v[87:88], v[109:110]
	s_waitcnt vmcnt(0)
	v_mul_f64 v[97:98], v[89:90], v[109:110]
	v_fma_f64 v[109:110], v[89:90], v[107:108], v[99:100]
	ds_read2_b64 v[99:102], v125 offset0:52 offset1:53
	v_fma_f64 v[97:98], v[87:88], v[107:108], -v[97:98]
	buffer_load_dword v105, off, s[20:23], 0 offset:304 ; 4-byte Folded Reload
	buffer_load_dword v106, off, s[20:23], 0 offset:308 ; 4-byte Folded Reload
	buffer_load_dword v107, off, s[20:23], 0 offset:312 ; 4-byte Folded Reload
	buffer_load_dword v108, off, s[20:23], 0 offset:316 ; 4-byte Folded Reload
	s_waitcnt lgkmcnt(0)
	v_mul_f64 v[103:104], v[101:102], v[109:110]
	v_fma_f64 v[103:104], v[99:100], v[97:98], -v[103:104]
	v_mul_f64 v[99:100], v[99:100], v[109:110]
	v_fma_f64 v[99:100], v[101:102], v[97:98], v[99:100]
	s_waitcnt vmcnt(2)
	v_add_f64 v[105:106], v[105:106], -v[103:104]
	s_waitcnt vmcnt(0)
	v_add_f64 v[107:108], v[107:108], -v[99:100]
	buffer_store_dword v105, off, s[20:23], 0 offset:304 ; 4-byte Folded Spill
	s_nop 0
	buffer_store_dword v106, off, s[20:23], 0 offset:308 ; 4-byte Folded Spill
	buffer_store_dword v107, off, s[20:23], 0 offset:312 ; 4-byte Folded Spill
	buffer_store_dword v108, off, s[20:23], 0 offset:316 ; 4-byte Folded Spill
	ds_read2_b64 v[99:102], v125 offset0:54 offset1:55
	buffer_load_dword v105, off, s[20:23], 0 offset:288 ; 4-byte Folded Reload
	buffer_load_dword v106, off, s[20:23], 0 offset:292 ; 4-byte Folded Reload
	buffer_load_dword v107, off, s[20:23], 0 offset:296 ; 4-byte Folded Reload
	buffer_load_dword v108, off, s[20:23], 0 offset:300 ; 4-byte Folded Reload
	s_waitcnt lgkmcnt(0)
	v_mul_f64 v[103:104], v[101:102], v[109:110]
	v_fma_f64 v[103:104], v[99:100], v[97:98], -v[103:104]
	v_mul_f64 v[99:100], v[99:100], v[109:110]
	v_fma_f64 v[99:100], v[101:102], v[97:98], v[99:100]
	s_waitcnt vmcnt(2)
	v_add_f64 v[105:106], v[105:106], -v[103:104]
	s_waitcnt vmcnt(0)
	v_add_f64 v[107:108], v[107:108], -v[99:100]
	buffer_store_dword v105, off, s[20:23], 0 offset:288 ; 4-byte Folded Spill
	s_nop 0
	buffer_store_dword v106, off, s[20:23], 0 offset:292 ; 4-byte Folded Spill
	buffer_store_dword v107, off, s[20:23], 0 offset:296 ; 4-byte Folded Spill
	buffer_store_dword v108, off, s[20:23], 0 offset:300 ; 4-byte Folded Spill
	ds_read2_b64 v[99:102], v125 offset0:56 offset1:57
	;; [unrolled: 19-line block ×9, first 2 shown]
	v_mov_b32_e32 v108, v98
	v_mov_b32_e32 v107, v97
	s_waitcnt lgkmcnt(0)
	v_mul_f64 v[103:104], v[101:102], v[109:110]
	v_fma_f64 v[103:104], v[99:100], v[97:98], -v[103:104]
	v_mul_f64 v[99:100], v[99:100], v[109:110]
	v_add_f64 v[91:92], v[91:92], -v[103:104]
	v_fma_f64 v[99:100], v[101:102], v[97:98], v[99:100]
	v_add_f64 v[93:94], v[93:94], -v[99:100]
	ds_read2_b64 v[99:102], v125 offset0:72 offset1:73
	buffer_load_dword v77, off, s[20:23], 0 offset:160 ; 4-byte Folded Reload
	buffer_load_dword v78, off, s[20:23], 0 offset:164 ; 4-byte Folded Reload
	buffer_load_dword v79, off, s[20:23], 0 offset:168 ; 4-byte Folded Reload
	buffer_load_dword v80, off, s[20:23], 0 offset:172 ; 4-byte Folded Reload
	s_waitcnt lgkmcnt(0)
	v_mul_f64 v[103:104], v[101:102], v[109:110]
	v_fma_f64 v[103:104], v[99:100], v[97:98], -v[103:104]
	v_mul_f64 v[99:100], v[99:100], v[109:110]
	v_fma_f64 v[99:100], v[101:102], v[97:98], v[99:100]
	s_waitcnt vmcnt(2)
	v_add_f64 v[77:78], v[77:78], -v[103:104]
	s_waitcnt vmcnt(0)
	v_add_f64 v[79:80], v[79:80], -v[99:100]
	buffer_store_dword v77, off, s[20:23], 0 offset:160 ; 4-byte Folded Spill
	s_nop 0
	buffer_store_dword v78, off, s[20:23], 0 offset:164 ; 4-byte Folded Spill
	buffer_store_dword v79, off, s[20:23], 0 offset:168 ; 4-byte Folded Spill
	buffer_store_dword v80, off, s[20:23], 0 offset:172 ; 4-byte Folded Spill
	ds_read2_b64 v[99:102], v125 offset0:74 offset1:75
	buffer_load_dword v77, off, s[20:23], 0 offset:144 ; 4-byte Folded Reload
	buffer_load_dword v78, off, s[20:23], 0 offset:148 ; 4-byte Folded Reload
	buffer_load_dword v79, off, s[20:23], 0 offset:152 ; 4-byte Folded Reload
	buffer_load_dword v80, off, s[20:23], 0 offset:156 ; 4-byte Folded Reload
	s_waitcnt lgkmcnt(0)
	v_mul_f64 v[103:104], v[101:102], v[109:110]
	v_fma_f64 v[103:104], v[99:100], v[97:98], -v[103:104]
	v_mul_f64 v[99:100], v[99:100], v[109:110]
	v_fma_f64 v[99:100], v[101:102], v[97:98], v[99:100]
	s_waitcnt vmcnt(2)
	v_add_f64 v[77:78], v[77:78], -v[103:104]
	s_waitcnt vmcnt(0)
	v_add_f64 v[79:80], v[79:80], -v[99:100]
	buffer_store_dword v77, off, s[20:23], 0 offset:144 ; 4-byte Folded Spill
	s_nop 0
	buffer_store_dword v78, off, s[20:23], 0 offset:148 ; 4-byte Folded Spill
	buffer_store_dword v79, off, s[20:23], 0 offset:152 ; 4-byte Folded Spill
	buffer_store_dword v80, off, s[20:23], 0 offset:156 ; 4-byte Folded Spill
	;; [unrolled: 19-line block ×10, first 2 shown]
	ds_read2_b64 v[99:102], v125 offset0:92 offset1:93
	buffer_load_dword v41, off, s[20:23], 0 ; 4-byte Folded Reload
	buffer_load_dword v42, off, s[20:23], 0 offset:4 ; 4-byte Folded Reload
	buffer_load_dword v43, off, s[20:23], 0 offset:8 ; 4-byte Folded Reload
	;; [unrolled: 1-line block ×3, first 2 shown]
	s_waitcnt lgkmcnt(0)
	v_mul_f64 v[103:104], v[101:102], v[109:110]
	v_fma_f64 v[103:104], v[99:100], v[97:98], -v[103:104]
	v_mul_f64 v[99:100], v[99:100], v[109:110]
	v_fma_f64 v[99:100], v[101:102], v[97:98], v[99:100]
	s_waitcnt vmcnt(2)
	v_add_f64 v[41:42], v[41:42], -v[103:104]
	s_waitcnt vmcnt(0)
	v_add_f64 v[43:44], v[43:44], -v[99:100]
	buffer_store_dword v41, off, s[20:23], 0 ; 4-byte Folded Spill
	s_nop 0
	buffer_store_dword v42, off, s[20:23], 0 offset:4 ; 4-byte Folded Spill
	buffer_store_dword v43, off, s[20:23], 0 offset:8 ; 4-byte Folded Spill
	;; [unrolled: 1-line block ×3, first 2 shown]
	ds_read2_b64 v[99:102], v125 offset0:94 offset1:95
	s_waitcnt lgkmcnt(0)
	v_mul_f64 v[103:104], v[101:102], v[109:110]
	v_fma_f64 v[103:104], v[99:100], v[97:98], -v[103:104]
	v_mul_f64 v[99:100], v[99:100], v[109:110]
	v_add_f64 v[37:38], v[37:38], -v[103:104]
	v_fma_f64 v[99:100], v[101:102], v[97:98], v[99:100]
	v_add_f64 v[39:40], v[39:40], -v[99:100]
	ds_read2_b64 v[99:102], v125 offset0:96 offset1:97
	s_waitcnt lgkmcnt(0)
	v_mul_f64 v[103:104], v[101:102], v[109:110]
	v_fma_f64 v[103:104], v[99:100], v[97:98], -v[103:104]
	v_mul_f64 v[99:100], v[99:100], v[109:110]
	v_add_f64 v[33:34], v[33:34], -v[103:104]
	v_fma_f64 v[99:100], v[101:102], v[97:98], v[99:100]
	v_add_f64 v[35:36], v[35:36], -v[99:100]
	;; [unrolled: 8-line block ×10, first 2 shown]
	ds_read2_b64 v[99:102], v125 offset0:114 offset1:115
	s_waitcnt lgkmcnt(0)
	v_mul_f64 v[103:104], v[101:102], v[109:110]
	v_fma_f64 v[103:104], v[99:100], v[97:98], -v[103:104]
	v_mul_f64 v[99:100], v[99:100], v[109:110]
	buffer_store_dword v107, off, s[20:23], 0 offset:320 ; 4-byte Folded Spill
	s_nop 0
	buffer_store_dword v108, off, s[20:23], 0 offset:324 ; 4-byte Folded Spill
	buffer_store_dword v109, off, s[20:23], 0 offset:328 ; 4-byte Folded Spill
	;; [unrolled: 1-line block ×3, first 2 shown]
	v_add_f64 v[121:122], v[121:122], -v[103:104]
	v_fma_f64 v[99:100], v[101:102], v[97:98], v[99:100]
	v_add_f64 v[123:124], v[123:124], -v[99:100]
.LBB115_235:
	s_or_b64 exec, exec, s[2:3]
	v_cmp_eq_u32_e32 vcc, 26, v0
	s_waitcnt vmcnt(0)
	s_barrier
	s_and_saveexec_b64 s[4:5], vcc
	s_cbranch_execz .LBB115_242
; %bb.236:
	buffer_load_dword v95, off, s[20:23], 0 offset:304 ; 4-byte Folded Reload
	buffer_load_dword v96, off, s[20:23], 0 offset:308 ; 4-byte Folded Reload
	;; [unrolled: 1-line block ×4, first 2 shown]
	s_waitcnt vmcnt(0)
	ds_write2_b64 v127, v[95:96], v[97:98] offset1:1
	buffer_load_dword v95, off, s[20:23], 0 offset:288 ; 4-byte Folded Reload
	buffer_load_dword v96, off, s[20:23], 0 offset:292 ; 4-byte Folded Reload
	buffer_load_dword v97, off, s[20:23], 0 offset:296 ; 4-byte Folded Reload
	buffer_load_dword v98, off, s[20:23], 0 offset:300 ; 4-byte Folded Reload
	s_waitcnt vmcnt(0)
	ds_write2_b64 v125, v[95:96], v[97:98] offset0:54 offset1:55
	buffer_load_dword v95, off, s[20:23], 0 offset:272 ; 4-byte Folded Reload
	buffer_load_dword v96, off, s[20:23], 0 offset:276 ; 4-byte Folded Reload
	buffer_load_dword v97, off, s[20:23], 0 offset:280 ; 4-byte Folded Reload
	buffer_load_dword v98, off, s[20:23], 0 offset:284 ; 4-byte Folded Reload
	s_waitcnt vmcnt(0)
	ds_write2_b64 v125, v[95:96], v[97:98] offset0:56 offset1:57
	;; [unrolled: 6-line block ×8, first 2 shown]
	ds_write2_b64 v125, v[91:92], v[93:94] offset0:70 offset1:71
	buffer_load_dword v77, off, s[20:23], 0 offset:160 ; 4-byte Folded Reload
	buffer_load_dword v78, off, s[20:23], 0 offset:164 ; 4-byte Folded Reload
	buffer_load_dword v79, off, s[20:23], 0 offset:168 ; 4-byte Folded Reload
	buffer_load_dword v80, off, s[20:23], 0 offset:172 ; 4-byte Folded Reload
	s_waitcnt vmcnt(0)
	ds_write2_b64 v125, v[77:78], v[79:80] offset0:72 offset1:73
	buffer_load_dword v77, off, s[20:23], 0 offset:144 ; 4-byte Folded Reload
	buffer_load_dword v78, off, s[20:23], 0 offset:148 ; 4-byte Folded Reload
	buffer_load_dword v79, off, s[20:23], 0 offset:152 ; 4-byte Folded Reload
	buffer_load_dword v80, off, s[20:23], 0 offset:156 ; 4-byte Folded Reload
	s_waitcnt vmcnt(0)
	;; [unrolled: 6-line block ×10, first 2 shown]
	ds_write2_b64 v125, v[45:46], v[47:48] offset0:90 offset1:91
	buffer_load_dword v41, off, s[20:23], 0 ; 4-byte Folded Reload
	buffer_load_dword v42, off, s[20:23], 0 offset:4 ; 4-byte Folded Reload
	buffer_load_dword v43, off, s[20:23], 0 offset:8 ; 4-byte Folded Reload
	;; [unrolled: 1-line block ×3, first 2 shown]
	s_waitcnt vmcnt(0)
	ds_write2_b64 v125, v[41:42], v[43:44] offset0:92 offset1:93
	ds_write2_b64 v125, v[37:38], v[39:40] offset0:94 offset1:95
	;; [unrolled: 1-line block ×12, first 2 shown]
	ds_read2_b64 v[97:100], v127 offset1:1
	s_waitcnt lgkmcnt(0)
	v_cmp_neq_f64_e32 vcc, 0, v[97:98]
	v_cmp_neq_f64_e64 s[2:3], 0, v[99:100]
	s_or_b64 s[2:3], vcc, s[2:3]
	s_and_b64 exec, exec, s[2:3]
	s_cbranch_execz .LBB115_242
; %bb.237:
	v_cmp_ngt_f64_e64 s[2:3], |v[97:98]|, |v[99:100]|
                                        ; implicit-def: $vgpr101_vgpr102
	s_and_saveexec_b64 s[6:7], s[2:3]
	s_xor_b64 s[2:3], exec, s[6:7]
                                        ; implicit-def: $vgpr103_vgpr104
	s_cbranch_execz .LBB115_239
; %bb.238:
	v_div_scale_f64 v[101:102], s[6:7], v[99:100], v[99:100], v[97:98]
	v_rcp_f64_e32 v[103:104], v[101:102]
	v_fma_f64 v[105:106], -v[101:102], v[103:104], 1.0
	v_fma_f64 v[103:104], v[103:104], v[105:106], v[103:104]
	v_div_scale_f64 v[105:106], vcc, v[97:98], v[99:100], v[97:98]
	v_fma_f64 v[107:108], -v[101:102], v[103:104], 1.0
	v_fma_f64 v[103:104], v[103:104], v[107:108], v[103:104]
	v_mul_f64 v[107:108], v[105:106], v[103:104]
	v_fma_f64 v[101:102], -v[101:102], v[107:108], v[105:106]
	v_div_fmas_f64 v[101:102], v[101:102], v[103:104], v[107:108]
	v_div_fixup_f64 v[101:102], v[101:102], v[99:100], v[97:98]
	v_fma_f64 v[97:98], v[97:98], v[101:102], v[99:100]
	v_div_scale_f64 v[99:100], s[6:7], v[97:98], v[97:98], 1.0
	v_div_scale_f64 v[107:108], vcc, 1.0, v[97:98], 1.0
	v_rcp_f64_e32 v[103:104], v[99:100]
	v_fma_f64 v[105:106], -v[99:100], v[103:104], 1.0
	v_fma_f64 v[103:104], v[103:104], v[105:106], v[103:104]
	v_fma_f64 v[105:106], -v[99:100], v[103:104], 1.0
	v_fma_f64 v[103:104], v[103:104], v[105:106], v[103:104]
	v_mul_f64 v[105:106], v[107:108], v[103:104]
	v_fma_f64 v[99:100], -v[99:100], v[105:106], v[107:108]
	v_div_fmas_f64 v[99:100], v[99:100], v[103:104], v[105:106]
	v_div_fixup_f64 v[103:104], v[99:100], v[97:98], 1.0
                                        ; implicit-def: $vgpr97_vgpr98
	v_mul_f64 v[101:102], v[101:102], v[103:104]
	v_xor_b32_e32 v104, 0x80000000, v104
.LBB115_239:
	s_andn2_saveexec_b64 s[2:3], s[2:3]
	s_cbranch_execz .LBB115_241
; %bb.240:
	v_div_scale_f64 v[101:102], s[6:7], v[97:98], v[97:98], v[99:100]
	v_rcp_f64_e32 v[103:104], v[101:102]
	v_fma_f64 v[105:106], -v[101:102], v[103:104], 1.0
	v_fma_f64 v[103:104], v[103:104], v[105:106], v[103:104]
	v_div_scale_f64 v[105:106], vcc, v[99:100], v[97:98], v[99:100]
	v_fma_f64 v[107:108], -v[101:102], v[103:104], 1.0
	v_fma_f64 v[103:104], v[103:104], v[107:108], v[103:104]
	v_mul_f64 v[107:108], v[105:106], v[103:104]
	v_fma_f64 v[101:102], -v[101:102], v[107:108], v[105:106]
	v_div_fmas_f64 v[101:102], v[101:102], v[103:104], v[107:108]
	v_div_fixup_f64 v[103:104], v[101:102], v[97:98], v[99:100]
	v_fma_f64 v[97:98], v[99:100], v[103:104], v[97:98]
	v_div_scale_f64 v[99:100], s[6:7], v[97:98], v[97:98], 1.0
	v_div_scale_f64 v[107:108], vcc, 1.0, v[97:98], 1.0
	v_rcp_f64_e32 v[101:102], v[99:100]
	v_fma_f64 v[105:106], -v[99:100], v[101:102], 1.0
	v_fma_f64 v[101:102], v[101:102], v[105:106], v[101:102]
	v_fma_f64 v[105:106], -v[99:100], v[101:102], 1.0
	v_fma_f64 v[101:102], v[101:102], v[105:106], v[101:102]
	v_mul_f64 v[105:106], v[107:108], v[101:102]
	v_fma_f64 v[99:100], -v[99:100], v[105:106], v[107:108]
	v_div_fmas_f64 v[99:100], v[99:100], v[101:102], v[105:106]
	v_div_fixup_f64 v[101:102], v[99:100], v[97:98], 1.0
	v_mul_f64 v[103:104], v[103:104], -v[101:102]
.LBB115_241:
	s_or_b64 exec, exec, s[2:3]
	ds_write2_b64 v127, v[101:102], v[103:104] offset1:1
.LBB115_242:
	s_or_b64 exec, exec, s[4:5]
	s_waitcnt lgkmcnt(0)
	s_barrier
	ds_read2_b64 v[87:90], v127 offset1:1
	v_cmp_lt_u32_e32 vcc, 26, v0
	s_waitcnt lgkmcnt(0)
	buffer_store_dword v87, off, s[20:23], 0 offset:1608 ; 4-byte Folded Spill
	s_nop 0
	buffer_store_dword v88, off, s[20:23], 0 offset:1612 ; 4-byte Folded Spill
	buffer_store_dword v89, off, s[20:23], 0 offset:1616 ; 4-byte Folded Spill
	;; [unrolled: 1-line block ×3, first 2 shown]
	s_and_saveexec_b64 s[2:3], vcc
	s_cbranch_execz .LBB115_244
; %bb.243:
	buffer_load_dword v107, off, s[20:23], 0 offset:304 ; 4-byte Folded Reload
	buffer_load_dword v108, off, s[20:23], 0 offset:308 ; 4-byte Folded Reload
	;; [unrolled: 1-line block ×8, first 2 shown]
	s_waitcnt vmcnt(2)
	v_mul_f64 v[99:100], v[87:88], v[109:110]
	s_waitcnt vmcnt(0)
	v_mul_f64 v[97:98], v[89:90], v[109:110]
	v_fma_f64 v[109:110], v[89:90], v[107:108], v[99:100]
	ds_read2_b64 v[99:102], v125 offset0:54 offset1:55
	v_fma_f64 v[97:98], v[87:88], v[107:108], -v[97:98]
	buffer_load_dword v105, off, s[20:23], 0 offset:288 ; 4-byte Folded Reload
	buffer_load_dword v106, off, s[20:23], 0 offset:292 ; 4-byte Folded Reload
	buffer_load_dword v107, off, s[20:23], 0 offset:296 ; 4-byte Folded Reload
	buffer_load_dword v108, off, s[20:23], 0 offset:300 ; 4-byte Folded Reload
	s_waitcnt lgkmcnt(0)
	v_mul_f64 v[103:104], v[101:102], v[109:110]
	v_fma_f64 v[103:104], v[99:100], v[97:98], -v[103:104]
	v_mul_f64 v[99:100], v[99:100], v[109:110]
	v_fma_f64 v[99:100], v[101:102], v[97:98], v[99:100]
	s_waitcnt vmcnt(2)
	v_add_f64 v[105:106], v[105:106], -v[103:104]
	s_waitcnt vmcnt(0)
	v_add_f64 v[107:108], v[107:108], -v[99:100]
	buffer_store_dword v105, off, s[20:23], 0 offset:288 ; 4-byte Folded Spill
	s_nop 0
	buffer_store_dword v106, off, s[20:23], 0 offset:292 ; 4-byte Folded Spill
	buffer_store_dword v107, off, s[20:23], 0 offset:296 ; 4-byte Folded Spill
	buffer_store_dword v108, off, s[20:23], 0 offset:300 ; 4-byte Folded Spill
	ds_read2_b64 v[99:102], v125 offset0:56 offset1:57
	buffer_load_dword v105, off, s[20:23], 0 offset:272 ; 4-byte Folded Reload
	buffer_load_dword v106, off, s[20:23], 0 offset:276 ; 4-byte Folded Reload
	buffer_load_dword v107, off, s[20:23], 0 offset:280 ; 4-byte Folded Reload
	buffer_load_dword v108, off, s[20:23], 0 offset:284 ; 4-byte Folded Reload
	s_waitcnt lgkmcnt(0)
	v_mul_f64 v[103:104], v[101:102], v[109:110]
	v_fma_f64 v[103:104], v[99:100], v[97:98], -v[103:104]
	v_mul_f64 v[99:100], v[99:100], v[109:110]
	v_fma_f64 v[99:100], v[101:102], v[97:98], v[99:100]
	s_waitcnt vmcnt(2)
	v_add_f64 v[105:106], v[105:106], -v[103:104]
	s_waitcnt vmcnt(0)
	v_add_f64 v[107:108], v[107:108], -v[99:100]
	buffer_store_dword v105, off, s[20:23], 0 offset:272 ; 4-byte Folded Spill
	s_nop 0
	buffer_store_dword v106, off, s[20:23], 0 offset:276 ; 4-byte Folded Spill
	buffer_store_dword v107, off, s[20:23], 0 offset:280 ; 4-byte Folded Spill
	buffer_store_dword v108, off, s[20:23], 0 offset:284 ; 4-byte Folded Spill
	ds_read2_b64 v[99:102], v125 offset0:58 offset1:59
	;; [unrolled: 19-line block ×8, first 2 shown]
	v_mov_b32_e32 v108, v98
	v_mov_b32_e32 v107, v97
	s_waitcnt lgkmcnt(0)
	v_mul_f64 v[103:104], v[101:102], v[109:110]
	v_fma_f64 v[103:104], v[99:100], v[97:98], -v[103:104]
	v_mul_f64 v[99:100], v[99:100], v[109:110]
	v_add_f64 v[91:92], v[91:92], -v[103:104]
	v_fma_f64 v[99:100], v[101:102], v[97:98], v[99:100]
	v_add_f64 v[93:94], v[93:94], -v[99:100]
	ds_read2_b64 v[99:102], v125 offset0:72 offset1:73
	buffer_load_dword v77, off, s[20:23], 0 offset:160 ; 4-byte Folded Reload
	buffer_load_dword v78, off, s[20:23], 0 offset:164 ; 4-byte Folded Reload
	buffer_load_dword v79, off, s[20:23], 0 offset:168 ; 4-byte Folded Reload
	buffer_load_dword v80, off, s[20:23], 0 offset:172 ; 4-byte Folded Reload
	s_waitcnt lgkmcnt(0)
	v_mul_f64 v[103:104], v[101:102], v[109:110]
	v_fma_f64 v[103:104], v[99:100], v[97:98], -v[103:104]
	v_mul_f64 v[99:100], v[99:100], v[109:110]
	v_fma_f64 v[99:100], v[101:102], v[97:98], v[99:100]
	s_waitcnt vmcnt(2)
	v_add_f64 v[77:78], v[77:78], -v[103:104]
	s_waitcnt vmcnt(0)
	v_add_f64 v[79:80], v[79:80], -v[99:100]
	buffer_store_dword v77, off, s[20:23], 0 offset:160 ; 4-byte Folded Spill
	s_nop 0
	buffer_store_dword v78, off, s[20:23], 0 offset:164 ; 4-byte Folded Spill
	buffer_store_dword v79, off, s[20:23], 0 offset:168 ; 4-byte Folded Spill
	buffer_store_dword v80, off, s[20:23], 0 offset:172 ; 4-byte Folded Spill
	ds_read2_b64 v[99:102], v125 offset0:74 offset1:75
	buffer_load_dword v77, off, s[20:23], 0 offset:144 ; 4-byte Folded Reload
	buffer_load_dword v78, off, s[20:23], 0 offset:148 ; 4-byte Folded Reload
	buffer_load_dword v79, off, s[20:23], 0 offset:152 ; 4-byte Folded Reload
	buffer_load_dword v80, off, s[20:23], 0 offset:156 ; 4-byte Folded Reload
	s_waitcnt lgkmcnt(0)
	v_mul_f64 v[103:104], v[101:102], v[109:110]
	v_fma_f64 v[103:104], v[99:100], v[97:98], -v[103:104]
	v_mul_f64 v[99:100], v[99:100], v[109:110]
	v_fma_f64 v[99:100], v[101:102], v[97:98], v[99:100]
	s_waitcnt vmcnt(2)
	v_add_f64 v[77:78], v[77:78], -v[103:104]
	s_waitcnt vmcnt(0)
	v_add_f64 v[79:80], v[79:80], -v[99:100]
	buffer_store_dword v77, off, s[20:23], 0 offset:144 ; 4-byte Folded Spill
	s_nop 0
	buffer_store_dword v78, off, s[20:23], 0 offset:148 ; 4-byte Folded Spill
	buffer_store_dword v79, off, s[20:23], 0 offset:152 ; 4-byte Folded Spill
	buffer_store_dword v80, off, s[20:23], 0 offset:156 ; 4-byte Folded Spill
	;; [unrolled: 19-line block ×10, first 2 shown]
	ds_read2_b64 v[99:102], v125 offset0:92 offset1:93
	buffer_load_dword v41, off, s[20:23], 0 ; 4-byte Folded Reload
	buffer_load_dword v42, off, s[20:23], 0 offset:4 ; 4-byte Folded Reload
	buffer_load_dword v43, off, s[20:23], 0 offset:8 ; 4-byte Folded Reload
	;; [unrolled: 1-line block ×3, first 2 shown]
	s_waitcnt lgkmcnt(0)
	v_mul_f64 v[103:104], v[101:102], v[109:110]
	v_fma_f64 v[103:104], v[99:100], v[97:98], -v[103:104]
	v_mul_f64 v[99:100], v[99:100], v[109:110]
	v_fma_f64 v[99:100], v[101:102], v[97:98], v[99:100]
	s_waitcnt vmcnt(2)
	v_add_f64 v[41:42], v[41:42], -v[103:104]
	s_waitcnt vmcnt(0)
	v_add_f64 v[43:44], v[43:44], -v[99:100]
	buffer_store_dword v41, off, s[20:23], 0 ; 4-byte Folded Spill
	s_nop 0
	buffer_store_dword v42, off, s[20:23], 0 offset:4 ; 4-byte Folded Spill
	buffer_store_dword v43, off, s[20:23], 0 offset:8 ; 4-byte Folded Spill
	;; [unrolled: 1-line block ×3, first 2 shown]
	ds_read2_b64 v[99:102], v125 offset0:94 offset1:95
	s_waitcnt lgkmcnt(0)
	v_mul_f64 v[103:104], v[101:102], v[109:110]
	v_fma_f64 v[103:104], v[99:100], v[97:98], -v[103:104]
	v_mul_f64 v[99:100], v[99:100], v[109:110]
	v_add_f64 v[37:38], v[37:38], -v[103:104]
	v_fma_f64 v[99:100], v[101:102], v[97:98], v[99:100]
	v_add_f64 v[39:40], v[39:40], -v[99:100]
	ds_read2_b64 v[99:102], v125 offset0:96 offset1:97
	s_waitcnt lgkmcnt(0)
	v_mul_f64 v[103:104], v[101:102], v[109:110]
	v_fma_f64 v[103:104], v[99:100], v[97:98], -v[103:104]
	v_mul_f64 v[99:100], v[99:100], v[109:110]
	v_add_f64 v[33:34], v[33:34], -v[103:104]
	v_fma_f64 v[99:100], v[101:102], v[97:98], v[99:100]
	v_add_f64 v[35:36], v[35:36], -v[99:100]
	ds_read2_b64 v[99:102], v125 offset0:98 offset1:99
	s_waitcnt lgkmcnt(0)
	v_mul_f64 v[103:104], v[101:102], v[109:110]
	v_fma_f64 v[103:104], v[99:100], v[97:98], -v[103:104]
	v_mul_f64 v[99:100], v[99:100], v[109:110]
	v_add_f64 v[29:30], v[29:30], -v[103:104]
	v_fma_f64 v[99:100], v[101:102], v[97:98], v[99:100]
	v_add_f64 v[31:32], v[31:32], -v[99:100]
	ds_read2_b64 v[99:102], v125 offset0:100 offset1:101
	s_waitcnt lgkmcnt(0)
	v_mul_f64 v[103:104], v[101:102], v[109:110]
	v_fma_f64 v[103:104], v[99:100], v[97:98], -v[103:104]
	v_mul_f64 v[99:100], v[99:100], v[109:110]
	v_add_f64 v[25:26], v[25:26], -v[103:104]
	v_fma_f64 v[99:100], v[101:102], v[97:98], v[99:100]
	v_add_f64 v[27:28], v[27:28], -v[99:100]
	ds_read2_b64 v[99:102], v125 offset0:102 offset1:103
	s_waitcnt lgkmcnt(0)
	v_mul_f64 v[103:104], v[101:102], v[109:110]
	v_fma_f64 v[103:104], v[99:100], v[97:98], -v[103:104]
	v_mul_f64 v[99:100], v[99:100], v[109:110]
	v_add_f64 v[21:22], v[21:22], -v[103:104]
	v_fma_f64 v[99:100], v[101:102], v[97:98], v[99:100]
	v_add_f64 v[23:24], v[23:24], -v[99:100]
	ds_read2_b64 v[99:102], v125 offset0:104 offset1:105
	s_waitcnt lgkmcnt(0)
	v_mul_f64 v[103:104], v[101:102], v[109:110]
	v_fma_f64 v[103:104], v[99:100], v[97:98], -v[103:104]
	v_mul_f64 v[99:100], v[99:100], v[109:110]
	v_add_f64 v[17:18], v[17:18], -v[103:104]
	v_fma_f64 v[99:100], v[101:102], v[97:98], v[99:100]
	v_add_f64 v[19:20], v[19:20], -v[99:100]
	ds_read2_b64 v[99:102], v125 offset0:106 offset1:107
	s_waitcnt lgkmcnt(0)
	v_mul_f64 v[103:104], v[101:102], v[109:110]
	v_fma_f64 v[103:104], v[99:100], v[97:98], -v[103:104]
	v_mul_f64 v[99:100], v[99:100], v[109:110]
	v_add_f64 v[13:14], v[13:14], -v[103:104]
	v_fma_f64 v[99:100], v[101:102], v[97:98], v[99:100]
	v_add_f64 v[15:16], v[15:16], -v[99:100]
	ds_read2_b64 v[99:102], v125 offset0:108 offset1:109
	s_waitcnt lgkmcnt(0)
	v_mul_f64 v[103:104], v[101:102], v[109:110]
	v_fma_f64 v[103:104], v[99:100], v[97:98], -v[103:104]
	v_mul_f64 v[99:100], v[99:100], v[109:110]
	v_add_f64 v[9:10], v[9:10], -v[103:104]
	v_fma_f64 v[99:100], v[101:102], v[97:98], v[99:100]
	v_add_f64 v[11:12], v[11:12], -v[99:100]
	ds_read2_b64 v[99:102], v125 offset0:110 offset1:111
	s_waitcnt lgkmcnt(0)
	v_mul_f64 v[103:104], v[101:102], v[109:110]
	v_fma_f64 v[103:104], v[99:100], v[97:98], -v[103:104]
	v_mul_f64 v[99:100], v[99:100], v[109:110]
	v_add_f64 v[5:6], v[5:6], -v[103:104]
	v_fma_f64 v[99:100], v[101:102], v[97:98], v[99:100]
	v_add_f64 v[7:8], v[7:8], -v[99:100]
	ds_read2_b64 v[99:102], v125 offset0:112 offset1:113
	s_waitcnt lgkmcnt(0)
	v_mul_f64 v[103:104], v[101:102], v[109:110]
	v_fma_f64 v[103:104], v[99:100], v[97:98], -v[103:104]
	v_mul_f64 v[99:100], v[99:100], v[109:110]
	v_add_f64 v[1:2], v[1:2], -v[103:104]
	v_fma_f64 v[99:100], v[101:102], v[97:98], v[99:100]
	v_add_f64 v[3:4], v[3:4], -v[99:100]
	ds_read2_b64 v[99:102], v125 offset0:114 offset1:115
	s_waitcnt lgkmcnt(0)
	v_mul_f64 v[103:104], v[101:102], v[109:110]
	v_fma_f64 v[103:104], v[99:100], v[97:98], -v[103:104]
	v_mul_f64 v[99:100], v[99:100], v[109:110]
	buffer_store_dword v107, off, s[20:23], 0 offset:304 ; 4-byte Folded Spill
	s_nop 0
	buffer_store_dword v108, off, s[20:23], 0 offset:308 ; 4-byte Folded Spill
	buffer_store_dword v109, off, s[20:23], 0 offset:312 ; 4-byte Folded Spill
	;; [unrolled: 1-line block ×3, first 2 shown]
	v_add_f64 v[121:122], v[121:122], -v[103:104]
	v_fma_f64 v[99:100], v[101:102], v[97:98], v[99:100]
	v_add_f64 v[123:124], v[123:124], -v[99:100]
.LBB115_244:
	s_or_b64 exec, exec, s[2:3]
	v_cmp_eq_u32_e32 vcc, 27, v0
	s_waitcnt vmcnt(0)
	s_barrier
	s_and_saveexec_b64 s[4:5], vcc
	s_cbranch_execz .LBB115_251
; %bb.245:
	buffer_load_dword v95, off, s[20:23], 0 offset:288 ; 4-byte Folded Reload
	buffer_load_dword v96, off, s[20:23], 0 offset:292 ; 4-byte Folded Reload
	;; [unrolled: 1-line block ×4, first 2 shown]
	s_waitcnt vmcnt(0)
	ds_write2_b64 v127, v[95:96], v[97:98] offset1:1
	buffer_load_dword v95, off, s[20:23], 0 offset:272 ; 4-byte Folded Reload
	buffer_load_dword v96, off, s[20:23], 0 offset:276 ; 4-byte Folded Reload
	buffer_load_dword v97, off, s[20:23], 0 offset:280 ; 4-byte Folded Reload
	buffer_load_dword v98, off, s[20:23], 0 offset:284 ; 4-byte Folded Reload
	s_waitcnt vmcnt(0)
	ds_write2_b64 v125, v[95:96], v[97:98] offset0:56 offset1:57
	buffer_load_dword v95, off, s[20:23], 0 offset:256 ; 4-byte Folded Reload
	buffer_load_dword v96, off, s[20:23], 0 offset:260 ; 4-byte Folded Reload
	buffer_load_dword v97, off, s[20:23], 0 offset:264 ; 4-byte Folded Reload
	buffer_load_dword v98, off, s[20:23], 0 offset:268 ; 4-byte Folded Reload
	s_waitcnt vmcnt(0)
	ds_write2_b64 v125, v[95:96], v[97:98] offset0:58 offset1:59
	;; [unrolled: 6-line block ×7, first 2 shown]
	ds_write2_b64 v125, v[91:92], v[93:94] offset0:70 offset1:71
	buffer_load_dword v77, off, s[20:23], 0 offset:160 ; 4-byte Folded Reload
	buffer_load_dword v78, off, s[20:23], 0 offset:164 ; 4-byte Folded Reload
	buffer_load_dword v79, off, s[20:23], 0 offset:168 ; 4-byte Folded Reload
	buffer_load_dword v80, off, s[20:23], 0 offset:172 ; 4-byte Folded Reload
	s_waitcnt vmcnt(0)
	ds_write2_b64 v125, v[77:78], v[79:80] offset0:72 offset1:73
	buffer_load_dword v77, off, s[20:23], 0 offset:144 ; 4-byte Folded Reload
	buffer_load_dword v78, off, s[20:23], 0 offset:148 ; 4-byte Folded Reload
	buffer_load_dword v79, off, s[20:23], 0 offset:152 ; 4-byte Folded Reload
	buffer_load_dword v80, off, s[20:23], 0 offset:156 ; 4-byte Folded Reload
	s_waitcnt vmcnt(0)
	;; [unrolled: 6-line block ×10, first 2 shown]
	ds_write2_b64 v125, v[45:46], v[47:48] offset0:90 offset1:91
	buffer_load_dword v41, off, s[20:23], 0 ; 4-byte Folded Reload
	buffer_load_dword v42, off, s[20:23], 0 offset:4 ; 4-byte Folded Reload
	buffer_load_dword v43, off, s[20:23], 0 offset:8 ; 4-byte Folded Reload
	;; [unrolled: 1-line block ×3, first 2 shown]
	s_waitcnt vmcnt(0)
	ds_write2_b64 v125, v[41:42], v[43:44] offset0:92 offset1:93
	ds_write2_b64 v125, v[37:38], v[39:40] offset0:94 offset1:95
	;; [unrolled: 1-line block ×12, first 2 shown]
	ds_read2_b64 v[97:100], v127 offset1:1
	s_waitcnt lgkmcnt(0)
	v_cmp_neq_f64_e32 vcc, 0, v[97:98]
	v_cmp_neq_f64_e64 s[2:3], 0, v[99:100]
	s_or_b64 s[2:3], vcc, s[2:3]
	s_and_b64 exec, exec, s[2:3]
	s_cbranch_execz .LBB115_251
; %bb.246:
	v_cmp_ngt_f64_e64 s[2:3], |v[97:98]|, |v[99:100]|
                                        ; implicit-def: $vgpr101_vgpr102
	s_and_saveexec_b64 s[6:7], s[2:3]
	s_xor_b64 s[2:3], exec, s[6:7]
                                        ; implicit-def: $vgpr103_vgpr104
	s_cbranch_execz .LBB115_248
; %bb.247:
	v_div_scale_f64 v[101:102], s[6:7], v[99:100], v[99:100], v[97:98]
	v_rcp_f64_e32 v[103:104], v[101:102]
	v_fma_f64 v[105:106], -v[101:102], v[103:104], 1.0
	v_fma_f64 v[103:104], v[103:104], v[105:106], v[103:104]
	v_div_scale_f64 v[105:106], vcc, v[97:98], v[99:100], v[97:98]
	v_fma_f64 v[107:108], -v[101:102], v[103:104], 1.0
	v_fma_f64 v[103:104], v[103:104], v[107:108], v[103:104]
	v_mul_f64 v[107:108], v[105:106], v[103:104]
	v_fma_f64 v[101:102], -v[101:102], v[107:108], v[105:106]
	v_div_fmas_f64 v[101:102], v[101:102], v[103:104], v[107:108]
	v_div_fixup_f64 v[101:102], v[101:102], v[99:100], v[97:98]
	v_fma_f64 v[97:98], v[97:98], v[101:102], v[99:100]
	v_div_scale_f64 v[99:100], s[6:7], v[97:98], v[97:98], 1.0
	v_div_scale_f64 v[107:108], vcc, 1.0, v[97:98], 1.0
	v_rcp_f64_e32 v[103:104], v[99:100]
	v_fma_f64 v[105:106], -v[99:100], v[103:104], 1.0
	v_fma_f64 v[103:104], v[103:104], v[105:106], v[103:104]
	v_fma_f64 v[105:106], -v[99:100], v[103:104], 1.0
	v_fma_f64 v[103:104], v[103:104], v[105:106], v[103:104]
	v_mul_f64 v[105:106], v[107:108], v[103:104]
	v_fma_f64 v[99:100], -v[99:100], v[105:106], v[107:108]
	v_div_fmas_f64 v[99:100], v[99:100], v[103:104], v[105:106]
	v_div_fixup_f64 v[103:104], v[99:100], v[97:98], 1.0
                                        ; implicit-def: $vgpr97_vgpr98
	v_mul_f64 v[101:102], v[101:102], v[103:104]
	v_xor_b32_e32 v104, 0x80000000, v104
.LBB115_248:
	s_andn2_saveexec_b64 s[2:3], s[2:3]
	s_cbranch_execz .LBB115_250
; %bb.249:
	v_div_scale_f64 v[101:102], s[6:7], v[97:98], v[97:98], v[99:100]
	v_rcp_f64_e32 v[103:104], v[101:102]
	v_fma_f64 v[105:106], -v[101:102], v[103:104], 1.0
	v_fma_f64 v[103:104], v[103:104], v[105:106], v[103:104]
	v_div_scale_f64 v[105:106], vcc, v[99:100], v[97:98], v[99:100]
	v_fma_f64 v[107:108], -v[101:102], v[103:104], 1.0
	v_fma_f64 v[103:104], v[103:104], v[107:108], v[103:104]
	v_mul_f64 v[107:108], v[105:106], v[103:104]
	v_fma_f64 v[101:102], -v[101:102], v[107:108], v[105:106]
	v_div_fmas_f64 v[101:102], v[101:102], v[103:104], v[107:108]
	v_div_fixup_f64 v[103:104], v[101:102], v[97:98], v[99:100]
	v_fma_f64 v[97:98], v[99:100], v[103:104], v[97:98]
	v_div_scale_f64 v[99:100], s[6:7], v[97:98], v[97:98], 1.0
	v_div_scale_f64 v[107:108], vcc, 1.0, v[97:98], 1.0
	v_rcp_f64_e32 v[101:102], v[99:100]
	v_fma_f64 v[105:106], -v[99:100], v[101:102], 1.0
	v_fma_f64 v[101:102], v[101:102], v[105:106], v[101:102]
	v_fma_f64 v[105:106], -v[99:100], v[101:102], 1.0
	v_fma_f64 v[101:102], v[101:102], v[105:106], v[101:102]
	v_mul_f64 v[105:106], v[107:108], v[101:102]
	v_fma_f64 v[99:100], -v[99:100], v[105:106], v[107:108]
	v_div_fmas_f64 v[99:100], v[99:100], v[101:102], v[105:106]
	v_div_fixup_f64 v[101:102], v[99:100], v[97:98], 1.0
	v_mul_f64 v[103:104], v[103:104], -v[101:102]
.LBB115_250:
	s_or_b64 exec, exec, s[2:3]
	ds_write2_b64 v127, v[101:102], v[103:104] offset1:1
.LBB115_251:
	s_or_b64 exec, exec, s[4:5]
	s_waitcnt lgkmcnt(0)
	s_barrier
	ds_read2_b64 v[87:90], v127 offset1:1
	v_cmp_lt_u32_e32 vcc, 27, v0
	s_waitcnt lgkmcnt(0)
	buffer_store_dword v87, off, s[20:23], 0 offset:1624 ; 4-byte Folded Spill
	s_nop 0
	buffer_store_dword v88, off, s[20:23], 0 offset:1628 ; 4-byte Folded Spill
	buffer_store_dword v89, off, s[20:23], 0 offset:1632 ; 4-byte Folded Spill
	;; [unrolled: 1-line block ×3, first 2 shown]
	s_and_saveexec_b64 s[2:3], vcc
	s_cbranch_execz .LBB115_253
; %bb.252:
	buffer_load_dword v107, off, s[20:23], 0 offset:288 ; 4-byte Folded Reload
	buffer_load_dword v108, off, s[20:23], 0 offset:292 ; 4-byte Folded Reload
	;; [unrolled: 1-line block ×8, first 2 shown]
	s_waitcnt vmcnt(2)
	v_mul_f64 v[99:100], v[87:88], v[109:110]
	s_waitcnt vmcnt(0)
	v_mul_f64 v[97:98], v[89:90], v[109:110]
	v_fma_f64 v[109:110], v[89:90], v[107:108], v[99:100]
	ds_read2_b64 v[99:102], v125 offset0:56 offset1:57
	v_fma_f64 v[97:98], v[87:88], v[107:108], -v[97:98]
	buffer_load_dword v105, off, s[20:23], 0 offset:272 ; 4-byte Folded Reload
	buffer_load_dword v106, off, s[20:23], 0 offset:276 ; 4-byte Folded Reload
	buffer_load_dword v107, off, s[20:23], 0 offset:280 ; 4-byte Folded Reload
	buffer_load_dword v108, off, s[20:23], 0 offset:284 ; 4-byte Folded Reload
	s_waitcnt lgkmcnt(0)
	v_mul_f64 v[103:104], v[101:102], v[109:110]
	v_fma_f64 v[103:104], v[99:100], v[97:98], -v[103:104]
	v_mul_f64 v[99:100], v[99:100], v[109:110]
	v_fma_f64 v[99:100], v[101:102], v[97:98], v[99:100]
	s_waitcnt vmcnt(2)
	v_add_f64 v[105:106], v[105:106], -v[103:104]
	s_waitcnt vmcnt(0)
	v_add_f64 v[107:108], v[107:108], -v[99:100]
	buffer_store_dword v105, off, s[20:23], 0 offset:272 ; 4-byte Folded Spill
	s_nop 0
	buffer_store_dword v106, off, s[20:23], 0 offset:276 ; 4-byte Folded Spill
	buffer_store_dword v107, off, s[20:23], 0 offset:280 ; 4-byte Folded Spill
	buffer_store_dword v108, off, s[20:23], 0 offset:284 ; 4-byte Folded Spill
	ds_read2_b64 v[99:102], v125 offset0:58 offset1:59
	buffer_load_dword v105, off, s[20:23], 0 offset:256 ; 4-byte Folded Reload
	buffer_load_dword v106, off, s[20:23], 0 offset:260 ; 4-byte Folded Reload
	buffer_load_dword v107, off, s[20:23], 0 offset:264 ; 4-byte Folded Reload
	buffer_load_dword v108, off, s[20:23], 0 offset:268 ; 4-byte Folded Reload
	s_waitcnt lgkmcnt(0)
	v_mul_f64 v[103:104], v[101:102], v[109:110]
	v_fma_f64 v[103:104], v[99:100], v[97:98], -v[103:104]
	v_mul_f64 v[99:100], v[99:100], v[109:110]
	v_fma_f64 v[99:100], v[101:102], v[97:98], v[99:100]
	s_waitcnt vmcnt(2)
	v_add_f64 v[105:106], v[105:106], -v[103:104]
	s_waitcnt vmcnt(0)
	v_add_f64 v[107:108], v[107:108], -v[99:100]
	buffer_store_dword v105, off, s[20:23], 0 offset:256 ; 4-byte Folded Spill
	s_nop 0
	buffer_store_dword v106, off, s[20:23], 0 offset:260 ; 4-byte Folded Spill
	buffer_store_dword v107, off, s[20:23], 0 offset:264 ; 4-byte Folded Spill
	buffer_store_dword v108, off, s[20:23], 0 offset:268 ; 4-byte Folded Spill
	ds_read2_b64 v[99:102], v125 offset0:60 offset1:61
	;; [unrolled: 19-line block ×7, first 2 shown]
	v_mov_b32_e32 v108, v98
	v_mov_b32_e32 v107, v97
	s_waitcnt lgkmcnt(0)
	v_mul_f64 v[103:104], v[101:102], v[109:110]
	v_fma_f64 v[103:104], v[99:100], v[97:98], -v[103:104]
	v_mul_f64 v[99:100], v[99:100], v[109:110]
	v_add_f64 v[91:92], v[91:92], -v[103:104]
	v_fma_f64 v[99:100], v[101:102], v[97:98], v[99:100]
	v_add_f64 v[93:94], v[93:94], -v[99:100]
	ds_read2_b64 v[99:102], v125 offset0:72 offset1:73
	buffer_load_dword v77, off, s[20:23], 0 offset:160 ; 4-byte Folded Reload
	buffer_load_dword v78, off, s[20:23], 0 offset:164 ; 4-byte Folded Reload
	buffer_load_dword v79, off, s[20:23], 0 offset:168 ; 4-byte Folded Reload
	buffer_load_dword v80, off, s[20:23], 0 offset:172 ; 4-byte Folded Reload
	s_waitcnt lgkmcnt(0)
	v_mul_f64 v[103:104], v[101:102], v[109:110]
	v_fma_f64 v[103:104], v[99:100], v[97:98], -v[103:104]
	v_mul_f64 v[99:100], v[99:100], v[109:110]
	v_fma_f64 v[99:100], v[101:102], v[97:98], v[99:100]
	s_waitcnt vmcnt(2)
	v_add_f64 v[77:78], v[77:78], -v[103:104]
	s_waitcnt vmcnt(0)
	v_add_f64 v[79:80], v[79:80], -v[99:100]
	buffer_store_dword v77, off, s[20:23], 0 offset:160 ; 4-byte Folded Spill
	s_nop 0
	buffer_store_dword v78, off, s[20:23], 0 offset:164 ; 4-byte Folded Spill
	buffer_store_dword v79, off, s[20:23], 0 offset:168 ; 4-byte Folded Spill
	buffer_store_dword v80, off, s[20:23], 0 offset:172 ; 4-byte Folded Spill
	ds_read2_b64 v[99:102], v125 offset0:74 offset1:75
	buffer_load_dword v77, off, s[20:23], 0 offset:144 ; 4-byte Folded Reload
	buffer_load_dword v78, off, s[20:23], 0 offset:148 ; 4-byte Folded Reload
	buffer_load_dword v79, off, s[20:23], 0 offset:152 ; 4-byte Folded Reload
	buffer_load_dword v80, off, s[20:23], 0 offset:156 ; 4-byte Folded Reload
	s_waitcnt lgkmcnt(0)
	v_mul_f64 v[103:104], v[101:102], v[109:110]
	v_fma_f64 v[103:104], v[99:100], v[97:98], -v[103:104]
	v_mul_f64 v[99:100], v[99:100], v[109:110]
	v_fma_f64 v[99:100], v[101:102], v[97:98], v[99:100]
	s_waitcnt vmcnt(2)
	v_add_f64 v[77:78], v[77:78], -v[103:104]
	s_waitcnt vmcnt(0)
	v_add_f64 v[79:80], v[79:80], -v[99:100]
	buffer_store_dword v77, off, s[20:23], 0 offset:144 ; 4-byte Folded Spill
	s_nop 0
	buffer_store_dword v78, off, s[20:23], 0 offset:148 ; 4-byte Folded Spill
	buffer_store_dword v79, off, s[20:23], 0 offset:152 ; 4-byte Folded Spill
	buffer_store_dword v80, off, s[20:23], 0 offset:156 ; 4-byte Folded Spill
	;; [unrolled: 19-line block ×10, first 2 shown]
	ds_read2_b64 v[99:102], v125 offset0:92 offset1:93
	buffer_load_dword v41, off, s[20:23], 0 ; 4-byte Folded Reload
	buffer_load_dword v42, off, s[20:23], 0 offset:4 ; 4-byte Folded Reload
	buffer_load_dword v43, off, s[20:23], 0 offset:8 ; 4-byte Folded Reload
	buffer_load_dword v44, off, s[20:23], 0 offset:12 ; 4-byte Folded Reload
	s_waitcnt lgkmcnt(0)
	v_mul_f64 v[103:104], v[101:102], v[109:110]
	v_fma_f64 v[103:104], v[99:100], v[97:98], -v[103:104]
	v_mul_f64 v[99:100], v[99:100], v[109:110]
	v_fma_f64 v[99:100], v[101:102], v[97:98], v[99:100]
	s_waitcnt vmcnt(2)
	v_add_f64 v[41:42], v[41:42], -v[103:104]
	s_waitcnt vmcnt(0)
	v_add_f64 v[43:44], v[43:44], -v[99:100]
	buffer_store_dword v41, off, s[20:23], 0 ; 4-byte Folded Spill
	s_nop 0
	buffer_store_dword v42, off, s[20:23], 0 offset:4 ; 4-byte Folded Spill
	buffer_store_dword v43, off, s[20:23], 0 offset:8 ; 4-byte Folded Spill
	;; [unrolled: 1-line block ×3, first 2 shown]
	ds_read2_b64 v[99:102], v125 offset0:94 offset1:95
	s_waitcnt lgkmcnt(0)
	v_mul_f64 v[103:104], v[101:102], v[109:110]
	v_fma_f64 v[103:104], v[99:100], v[97:98], -v[103:104]
	v_mul_f64 v[99:100], v[99:100], v[109:110]
	v_add_f64 v[37:38], v[37:38], -v[103:104]
	v_fma_f64 v[99:100], v[101:102], v[97:98], v[99:100]
	v_add_f64 v[39:40], v[39:40], -v[99:100]
	ds_read2_b64 v[99:102], v125 offset0:96 offset1:97
	s_waitcnt lgkmcnt(0)
	v_mul_f64 v[103:104], v[101:102], v[109:110]
	v_fma_f64 v[103:104], v[99:100], v[97:98], -v[103:104]
	v_mul_f64 v[99:100], v[99:100], v[109:110]
	v_add_f64 v[33:34], v[33:34], -v[103:104]
	v_fma_f64 v[99:100], v[101:102], v[97:98], v[99:100]
	v_add_f64 v[35:36], v[35:36], -v[99:100]
	;; [unrolled: 8-line block ×10, first 2 shown]
	ds_read2_b64 v[99:102], v125 offset0:114 offset1:115
	s_waitcnt lgkmcnt(0)
	v_mul_f64 v[103:104], v[101:102], v[109:110]
	v_fma_f64 v[103:104], v[99:100], v[97:98], -v[103:104]
	v_mul_f64 v[99:100], v[99:100], v[109:110]
	buffer_store_dword v107, off, s[20:23], 0 offset:288 ; 4-byte Folded Spill
	s_nop 0
	buffer_store_dword v108, off, s[20:23], 0 offset:292 ; 4-byte Folded Spill
	buffer_store_dword v109, off, s[20:23], 0 offset:296 ; 4-byte Folded Spill
	;; [unrolled: 1-line block ×3, first 2 shown]
	v_add_f64 v[121:122], v[121:122], -v[103:104]
	v_fma_f64 v[99:100], v[101:102], v[97:98], v[99:100]
	v_add_f64 v[123:124], v[123:124], -v[99:100]
.LBB115_253:
	s_or_b64 exec, exec, s[2:3]
	v_cmp_eq_u32_e32 vcc, 28, v0
	s_waitcnt vmcnt(0)
	s_barrier
	s_and_saveexec_b64 s[4:5], vcc
	s_cbranch_execz .LBB115_260
; %bb.254:
	buffer_load_dword v95, off, s[20:23], 0 offset:272 ; 4-byte Folded Reload
	buffer_load_dword v96, off, s[20:23], 0 offset:276 ; 4-byte Folded Reload
	;; [unrolled: 1-line block ×4, first 2 shown]
	s_waitcnt vmcnt(0)
	ds_write2_b64 v127, v[95:96], v[97:98] offset1:1
	buffer_load_dword v95, off, s[20:23], 0 offset:256 ; 4-byte Folded Reload
	buffer_load_dword v96, off, s[20:23], 0 offset:260 ; 4-byte Folded Reload
	buffer_load_dword v97, off, s[20:23], 0 offset:264 ; 4-byte Folded Reload
	buffer_load_dword v98, off, s[20:23], 0 offset:268 ; 4-byte Folded Reload
	s_waitcnt vmcnt(0)
	ds_write2_b64 v125, v[95:96], v[97:98] offset0:58 offset1:59
	buffer_load_dword v95, off, s[20:23], 0 offset:240 ; 4-byte Folded Reload
	buffer_load_dword v96, off, s[20:23], 0 offset:244 ; 4-byte Folded Reload
	buffer_load_dword v97, off, s[20:23], 0 offset:248 ; 4-byte Folded Reload
	buffer_load_dword v98, off, s[20:23], 0 offset:252 ; 4-byte Folded Reload
	s_waitcnt vmcnt(0)
	ds_write2_b64 v125, v[95:96], v[97:98] offset0:60 offset1:61
	;; [unrolled: 6-line block ×6, first 2 shown]
	ds_write2_b64 v125, v[91:92], v[93:94] offset0:70 offset1:71
	buffer_load_dword v77, off, s[20:23], 0 offset:160 ; 4-byte Folded Reload
	buffer_load_dword v78, off, s[20:23], 0 offset:164 ; 4-byte Folded Reload
	buffer_load_dword v79, off, s[20:23], 0 offset:168 ; 4-byte Folded Reload
	buffer_load_dword v80, off, s[20:23], 0 offset:172 ; 4-byte Folded Reload
	s_waitcnt vmcnt(0)
	ds_write2_b64 v125, v[77:78], v[79:80] offset0:72 offset1:73
	buffer_load_dword v77, off, s[20:23], 0 offset:144 ; 4-byte Folded Reload
	buffer_load_dword v78, off, s[20:23], 0 offset:148 ; 4-byte Folded Reload
	buffer_load_dword v79, off, s[20:23], 0 offset:152 ; 4-byte Folded Reload
	buffer_load_dword v80, off, s[20:23], 0 offset:156 ; 4-byte Folded Reload
	s_waitcnt vmcnt(0)
	;; [unrolled: 6-line block ×10, first 2 shown]
	ds_write2_b64 v125, v[45:46], v[47:48] offset0:90 offset1:91
	buffer_load_dword v41, off, s[20:23], 0 ; 4-byte Folded Reload
	buffer_load_dword v42, off, s[20:23], 0 offset:4 ; 4-byte Folded Reload
	buffer_load_dword v43, off, s[20:23], 0 offset:8 ; 4-byte Folded Reload
	;; [unrolled: 1-line block ×3, first 2 shown]
	s_waitcnt vmcnt(0)
	ds_write2_b64 v125, v[41:42], v[43:44] offset0:92 offset1:93
	ds_write2_b64 v125, v[37:38], v[39:40] offset0:94 offset1:95
	;; [unrolled: 1-line block ×12, first 2 shown]
	ds_read2_b64 v[97:100], v127 offset1:1
	s_waitcnt lgkmcnt(0)
	v_cmp_neq_f64_e32 vcc, 0, v[97:98]
	v_cmp_neq_f64_e64 s[2:3], 0, v[99:100]
	s_or_b64 s[2:3], vcc, s[2:3]
	s_and_b64 exec, exec, s[2:3]
	s_cbranch_execz .LBB115_260
; %bb.255:
	v_cmp_ngt_f64_e64 s[2:3], |v[97:98]|, |v[99:100]|
                                        ; implicit-def: $vgpr101_vgpr102
	s_and_saveexec_b64 s[6:7], s[2:3]
	s_xor_b64 s[2:3], exec, s[6:7]
                                        ; implicit-def: $vgpr103_vgpr104
	s_cbranch_execz .LBB115_257
; %bb.256:
	v_div_scale_f64 v[101:102], s[6:7], v[99:100], v[99:100], v[97:98]
	v_rcp_f64_e32 v[103:104], v[101:102]
	v_fma_f64 v[105:106], -v[101:102], v[103:104], 1.0
	v_fma_f64 v[103:104], v[103:104], v[105:106], v[103:104]
	v_div_scale_f64 v[105:106], vcc, v[97:98], v[99:100], v[97:98]
	v_fma_f64 v[107:108], -v[101:102], v[103:104], 1.0
	v_fma_f64 v[103:104], v[103:104], v[107:108], v[103:104]
	v_mul_f64 v[107:108], v[105:106], v[103:104]
	v_fma_f64 v[101:102], -v[101:102], v[107:108], v[105:106]
	v_div_fmas_f64 v[101:102], v[101:102], v[103:104], v[107:108]
	v_div_fixup_f64 v[101:102], v[101:102], v[99:100], v[97:98]
	v_fma_f64 v[97:98], v[97:98], v[101:102], v[99:100]
	v_div_scale_f64 v[99:100], s[6:7], v[97:98], v[97:98], 1.0
	v_div_scale_f64 v[107:108], vcc, 1.0, v[97:98], 1.0
	v_rcp_f64_e32 v[103:104], v[99:100]
	v_fma_f64 v[105:106], -v[99:100], v[103:104], 1.0
	v_fma_f64 v[103:104], v[103:104], v[105:106], v[103:104]
	v_fma_f64 v[105:106], -v[99:100], v[103:104], 1.0
	v_fma_f64 v[103:104], v[103:104], v[105:106], v[103:104]
	v_mul_f64 v[105:106], v[107:108], v[103:104]
	v_fma_f64 v[99:100], -v[99:100], v[105:106], v[107:108]
	v_div_fmas_f64 v[99:100], v[99:100], v[103:104], v[105:106]
	v_div_fixup_f64 v[103:104], v[99:100], v[97:98], 1.0
                                        ; implicit-def: $vgpr97_vgpr98
	v_mul_f64 v[101:102], v[101:102], v[103:104]
	v_xor_b32_e32 v104, 0x80000000, v104
.LBB115_257:
	s_andn2_saveexec_b64 s[2:3], s[2:3]
	s_cbranch_execz .LBB115_259
; %bb.258:
	v_div_scale_f64 v[101:102], s[6:7], v[97:98], v[97:98], v[99:100]
	v_rcp_f64_e32 v[103:104], v[101:102]
	v_fma_f64 v[105:106], -v[101:102], v[103:104], 1.0
	v_fma_f64 v[103:104], v[103:104], v[105:106], v[103:104]
	v_div_scale_f64 v[105:106], vcc, v[99:100], v[97:98], v[99:100]
	v_fma_f64 v[107:108], -v[101:102], v[103:104], 1.0
	v_fma_f64 v[103:104], v[103:104], v[107:108], v[103:104]
	v_mul_f64 v[107:108], v[105:106], v[103:104]
	v_fma_f64 v[101:102], -v[101:102], v[107:108], v[105:106]
	v_div_fmas_f64 v[101:102], v[101:102], v[103:104], v[107:108]
	v_div_fixup_f64 v[103:104], v[101:102], v[97:98], v[99:100]
	v_fma_f64 v[97:98], v[99:100], v[103:104], v[97:98]
	v_div_scale_f64 v[99:100], s[6:7], v[97:98], v[97:98], 1.0
	v_div_scale_f64 v[107:108], vcc, 1.0, v[97:98], 1.0
	v_rcp_f64_e32 v[101:102], v[99:100]
	v_fma_f64 v[105:106], -v[99:100], v[101:102], 1.0
	v_fma_f64 v[101:102], v[101:102], v[105:106], v[101:102]
	v_fma_f64 v[105:106], -v[99:100], v[101:102], 1.0
	v_fma_f64 v[101:102], v[101:102], v[105:106], v[101:102]
	v_mul_f64 v[105:106], v[107:108], v[101:102]
	v_fma_f64 v[99:100], -v[99:100], v[105:106], v[107:108]
	v_div_fmas_f64 v[99:100], v[99:100], v[101:102], v[105:106]
	v_div_fixup_f64 v[101:102], v[99:100], v[97:98], 1.0
	v_mul_f64 v[103:104], v[103:104], -v[101:102]
.LBB115_259:
	s_or_b64 exec, exec, s[2:3]
	ds_write2_b64 v127, v[101:102], v[103:104] offset1:1
.LBB115_260:
	s_or_b64 exec, exec, s[4:5]
	s_waitcnt lgkmcnt(0)
	s_barrier
	ds_read2_b64 v[87:90], v127 offset1:1
	v_cmp_lt_u32_e32 vcc, 28, v0
	s_waitcnt lgkmcnt(0)
	buffer_store_dword v87, off, s[20:23], 0 offset:1640 ; 4-byte Folded Spill
	s_nop 0
	buffer_store_dword v88, off, s[20:23], 0 offset:1644 ; 4-byte Folded Spill
	buffer_store_dword v89, off, s[20:23], 0 offset:1648 ; 4-byte Folded Spill
	;; [unrolled: 1-line block ×3, first 2 shown]
	s_and_saveexec_b64 s[2:3], vcc
	s_cbranch_execz .LBB115_262
; %bb.261:
	buffer_load_dword v107, off, s[20:23], 0 offset:272 ; 4-byte Folded Reload
	buffer_load_dword v108, off, s[20:23], 0 offset:276 ; 4-byte Folded Reload
	;; [unrolled: 1-line block ×8, first 2 shown]
	s_waitcnt vmcnt(2)
	v_mul_f64 v[99:100], v[87:88], v[109:110]
	s_waitcnt vmcnt(0)
	v_mul_f64 v[97:98], v[89:90], v[109:110]
	v_fma_f64 v[109:110], v[89:90], v[107:108], v[99:100]
	ds_read2_b64 v[99:102], v125 offset0:58 offset1:59
	v_fma_f64 v[97:98], v[87:88], v[107:108], -v[97:98]
	buffer_load_dword v105, off, s[20:23], 0 offset:256 ; 4-byte Folded Reload
	buffer_load_dword v106, off, s[20:23], 0 offset:260 ; 4-byte Folded Reload
	buffer_load_dword v107, off, s[20:23], 0 offset:264 ; 4-byte Folded Reload
	buffer_load_dword v108, off, s[20:23], 0 offset:268 ; 4-byte Folded Reload
	s_waitcnt lgkmcnt(0)
	v_mul_f64 v[103:104], v[101:102], v[109:110]
	v_fma_f64 v[103:104], v[99:100], v[97:98], -v[103:104]
	v_mul_f64 v[99:100], v[99:100], v[109:110]
	v_fma_f64 v[99:100], v[101:102], v[97:98], v[99:100]
	s_waitcnt vmcnt(2)
	v_add_f64 v[105:106], v[105:106], -v[103:104]
	s_waitcnt vmcnt(0)
	v_add_f64 v[107:108], v[107:108], -v[99:100]
	buffer_store_dword v105, off, s[20:23], 0 offset:256 ; 4-byte Folded Spill
	s_nop 0
	buffer_store_dword v106, off, s[20:23], 0 offset:260 ; 4-byte Folded Spill
	buffer_store_dword v107, off, s[20:23], 0 offset:264 ; 4-byte Folded Spill
	buffer_store_dword v108, off, s[20:23], 0 offset:268 ; 4-byte Folded Spill
	ds_read2_b64 v[99:102], v125 offset0:60 offset1:61
	buffer_load_dword v105, off, s[20:23], 0 offset:240 ; 4-byte Folded Reload
	buffer_load_dword v106, off, s[20:23], 0 offset:244 ; 4-byte Folded Reload
	buffer_load_dword v107, off, s[20:23], 0 offset:248 ; 4-byte Folded Reload
	buffer_load_dword v108, off, s[20:23], 0 offset:252 ; 4-byte Folded Reload
	s_waitcnt lgkmcnt(0)
	v_mul_f64 v[103:104], v[101:102], v[109:110]
	v_fma_f64 v[103:104], v[99:100], v[97:98], -v[103:104]
	v_mul_f64 v[99:100], v[99:100], v[109:110]
	v_fma_f64 v[99:100], v[101:102], v[97:98], v[99:100]
	s_waitcnt vmcnt(2)
	v_add_f64 v[105:106], v[105:106], -v[103:104]
	s_waitcnt vmcnt(0)
	v_add_f64 v[107:108], v[107:108], -v[99:100]
	buffer_store_dword v105, off, s[20:23], 0 offset:240 ; 4-byte Folded Spill
	s_nop 0
	buffer_store_dword v106, off, s[20:23], 0 offset:244 ; 4-byte Folded Spill
	buffer_store_dword v107, off, s[20:23], 0 offset:248 ; 4-byte Folded Spill
	buffer_store_dword v108, off, s[20:23], 0 offset:252 ; 4-byte Folded Spill
	ds_read2_b64 v[99:102], v125 offset0:62 offset1:63
	buffer_load_dword v105, off, s[20:23], 0 offset:224 ; 4-byte Folded Reload
	buffer_load_dword v106, off, s[20:23], 0 offset:228 ; 4-byte Folded Reload
	buffer_load_dword v107, off, s[20:23], 0 offset:232 ; 4-byte Folded Reload
	buffer_load_dword v108, off, s[20:23], 0 offset:236 ; 4-byte Folded Reload
	s_waitcnt lgkmcnt(0)
	v_mul_f64 v[103:104], v[101:102], v[109:110]
	v_fma_f64 v[103:104], v[99:100], v[97:98], -v[103:104]
	v_mul_f64 v[99:100], v[99:100], v[109:110]
	v_fma_f64 v[99:100], v[101:102], v[97:98], v[99:100]
	s_waitcnt vmcnt(2)
	v_add_f64 v[105:106], v[105:106], -v[103:104]
	s_waitcnt vmcnt(0)
	v_add_f64 v[107:108], v[107:108], -v[99:100]
	buffer_store_dword v105, off, s[20:23], 0 offset:224 ; 4-byte Folded Spill
	s_nop 0
	buffer_store_dword v106, off, s[20:23], 0 offset:228 ; 4-byte Folded Spill
	buffer_store_dword v107, off, s[20:23], 0 offset:232 ; 4-byte Folded Spill
	buffer_store_dword v108, off, s[20:23], 0 offset:236 ; 4-byte Folded Spill
	ds_read2_b64 v[99:102], v125 offset0:64 offset1:65
	buffer_load_dword v105, off, s[20:23], 0 offset:208 ; 4-byte Folded Reload
	buffer_load_dword v106, off, s[20:23], 0 offset:212 ; 4-byte Folded Reload
	buffer_load_dword v107, off, s[20:23], 0 offset:216 ; 4-byte Folded Reload
	buffer_load_dword v108, off, s[20:23], 0 offset:220 ; 4-byte Folded Reload
	s_waitcnt lgkmcnt(0)
	v_mul_f64 v[103:104], v[101:102], v[109:110]
	v_fma_f64 v[103:104], v[99:100], v[97:98], -v[103:104]
	v_mul_f64 v[99:100], v[99:100], v[109:110]
	v_fma_f64 v[99:100], v[101:102], v[97:98], v[99:100]
	s_waitcnt vmcnt(2)
	v_add_f64 v[105:106], v[105:106], -v[103:104]
	s_waitcnt vmcnt(0)
	v_add_f64 v[107:108], v[107:108], -v[99:100]
	buffer_store_dword v105, off, s[20:23], 0 offset:208 ; 4-byte Folded Spill
	s_nop 0
	buffer_store_dword v106, off, s[20:23], 0 offset:212 ; 4-byte Folded Spill
	buffer_store_dword v107, off, s[20:23], 0 offset:216 ; 4-byte Folded Spill
	buffer_store_dword v108, off, s[20:23], 0 offset:220 ; 4-byte Folded Spill
	ds_read2_b64 v[99:102], v125 offset0:66 offset1:67
	buffer_load_dword v105, off, s[20:23], 0 offset:192 ; 4-byte Folded Reload
	buffer_load_dword v106, off, s[20:23], 0 offset:196 ; 4-byte Folded Reload
	buffer_load_dword v107, off, s[20:23], 0 offset:200 ; 4-byte Folded Reload
	buffer_load_dword v108, off, s[20:23], 0 offset:204 ; 4-byte Folded Reload
	s_waitcnt lgkmcnt(0)
	v_mul_f64 v[103:104], v[101:102], v[109:110]
	v_fma_f64 v[103:104], v[99:100], v[97:98], -v[103:104]
	v_mul_f64 v[99:100], v[99:100], v[109:110]
	v_fma_f64 v[99:100], v[101:102], v[97:98], v[99:100]
	s_waitcnt vmcnt(2)
	v_add_f64 v[105:106], v[105:106], -v[103:104]
	s_waitcnt vmcnt(0)
	v_add_f64 v[107:108], v[107:108], -v[99:100]
	buffer_store_dword v105, off, s[20:23], 0 offset:192 ; 4-byte Folded Spill
	s_nop 0
	buffer_store_dword v106, off, s[20:23], 0 offset:196 ; 4-byte Folded Spill
	buffer_store_dword v107, off, s[20:23], 0 offset:200 ; 4-byte Folded Spill
	buffer_store_dword v108, off, s[20:23], 0 offset:204 ; 4-byte Folded Spill
	ds_read2_b64 v[99:102], v125 offset0:68 offset1:69
	buffer_load_dword v105, off, s[20:23], 0 offset:176 ; 4-byte Folded Reload
	buffer_load_dword v106, off, s[20:23], 0 offset:180 ; 4-byte Folded Reload
	buffer_load_dword v107, off, s[20:23], 0 offset:184 ; 4-byte Folded Reload
	buffer_load_dword v108, off, s[20:23], 0 offset:188 ; 4-byte Folded Reload
	s_waitcnt lgkmcnt(0)
	v_mul_f64 v[103:104], v[101:102], v[109:110]
	v_fma_f64 v[103:104], v[99:100], v[97:98], -v[103:104]
	v_mul_f64 v[99:100], v[99:100], v[109:110]
	v_fma_f64 v[99:100], v[101:102], v[97:98], v[99:100]
	s_waitcnt vmcnt(2)
	v_add_f64 v[105:106], v[105:106], -v[103:104]
	s_waitcnt vmcnt(0)
	v_add_f64 v[107:108], v[107:108], -v[99:100]
	buffer_store_dword v105, off, s[20:23], 0 offset:176 ; 4-byte Folded Spill
	s_nop 0
	buffer_store_dword v106, off, s[20:23], 0 offset:180 ; 4-byte Folded Spill
	buffer_store_dword v107, off, s[20:23], 0 offset:184 ; 4-byte Folded Spill
	buffer_store_dword v108, off, s[20:23], 0 offset:188 ; 4-byte Folded Spill
	ds_read2_b64 v[99:102], v125 offset0:70 offset1:71
	v_mov_b32_e32 v108, v98
	v_mov_b32_e32 v107, v97
	s_waitcnt lgkmcnt(0)
	v_mul_f64 v[103:104], v[101:102], v[109:110]
	v_fma_f64 v[103:104], v[99:100], v[97:98], -v[103:104]
	v_mul_f64 v[99:100], v[99:100], v[109:110]
	v_add_f64 v[91:92], v[91:92], -v[103:104]
	v_fma_f64 v[99:100], v[101:102], v[97:98], v[99:100]
	v_add_f64 v[93:94], v[93:94], -v[99:100]
	ds_read2_b64 v[99:102], v125 offset0:72 offset1:73
	buffer_load_dword v77, off, s[20:23], 0 offset:160 ; 4-byte Folded Reload
	buffer_load_dword v78, off, s[20:23], 0 offset:164 ; 4-byte Folded Reload
	buffer_load_dword v79, off, s[20:23], 0 offset:168 ; 4-byte Folded Reload
	buffer_load_dword v80, off, s[20:23], 0 offset:172 ; 4-byte Folded Reload
	s_waitcnt lgkmcnt(0)
	v_mul_f64 v[103:104], v[101:102], v[109:110]
	v_fma_f64 v[103:104], v[99:100], v[97:98], -v[103:104]
	v_mul_f64 v[99:100], v[99:100], v[109:110]
	v_fma_f64 v[99:100], v[101:102], v[97:98], v[99:100]
	s_waitcnt vmcnt(2)
	v_add_f64 v[77:78], v[77:78], -v[103:104]
	s_waitcnt vmcnt(0)
	v_add_f64 v[79:80], v[79:80], -v[99:100]
	buffer_store_dword v77, off, s[20:23], 0 offset:160 ; 4-byte Folded Spill
	s_nop 0
	buffer_store_dword v78, off, s[20:23], 0 offset:164 ; 4-byte Folded Spill
	buffer_store_dword v79, off, s[20:23], 0 offset:168 ; 4-byte Folded Spill
	buffer_store_dword v80, off, s[20:23], 0 offset:172 ; 4-byte Folded Spill
	ds_read2_b64 v[99:102], v125 offset0:74 offset1:75
	buffer_load_dword v77, off, s[20:23], 0 offset:144 ; 4-byte Folded Reload
	buffer_load_dword v78, off, s[20:23], 0 offset:148 ; 4-byte Folded Reload
	buffer_load_dword v79, off, s[20:23], 0 offset:152 ; 4-byte Folded Reload
	buffer_load_dword v80, off, s[20:23], 0 offset:156 ; 4-byte Folded Reload
	s_waitcnt lgkmcnt(0)
	v_mul_f64 v[103:104], v[101:102], v[109:110]
	v_fma_f64 v[103:104], v[99:100], v[97:98], -v[103:104]
	v_mul_f64 v[99:100], v[99:100], v[109:110]
	v_fma_f64 v[99:100], v[101:102], v[97:98], v[99:100]
	s_waitcnt vmcnt(2)
	v_add_f64 v[77:78], v[77:78], -v[103:104]
	s_waitcnt vmcnt(0)
	v_add_f64 v[79:80], v[79:80], -v[99:100]
	buffer_store_dword v77, off, s[20:23], 0 offset:144 ; 4-byte Folded Spill
	s_nop 0
	buffer_store_dword v78, off, s[20:23], 0 offset:148 ; 4-byte Folded Spill
	buffer_store_dword v79, off, s[20:23], 0 offset:152 ; 4-byte Folded Spill
	buffer_store_dword v80, off, s[20:23], 0 offset:156 ; 4-byte Folded Spill
	;; [unrolled: 19-line block ×10, first 2 shown]
	ds_read2_b64 v[99:102], v125 offset0:92 offset1:93
	buffer_load_dword v41, off, s[20:23], 0 ; 4-byte Folded Reload
	buffer_load_dword v42, off, s[20:23], 0 offset:4 ; 4-byte Folded Reload
	buffer_load_dword v43, off, s[20:23], 0 offset:8 ; 4-byte Folded Reload
	;; [unrolled: 1-line block ×3, first 2 shown]
	s_waitcnt lgkmcnt(0)
	v_mul_f64 v[103:104], v[101:102], v[109:110]
	v_fma_f64 v[103:104], v[99:100], v[97:98], -v[103:104]
	v_mul_f64 v[99:100], v[99:100], v[109:110]
	v_fma_f64 v[99:100], v[101:102], v[97:98], v[99:100]
	s_waitcnt vmcnt(2)
	v_add_f64 v[41:42], v[41:42], -v[103:104]
	s_waitcnt vmcnt(0)
	v_add_f64 v[43:44], v[43:44], -v[99:100]
	buffer_store_dword v41, off, s[20:23], 0 ; 4-byte Folded Spill
	s_nop 0
	buffer_store_dword v42, off, s[20:23], 0 offset:4 ; 4-byte Folded Spill
	buffer_store_dword v43, off, s[20:23], 0 offset:8 ; 4-byte Folded Spill
	buffer_store_dword v44, off, s[20:23], 0 offset:12 ; 4-byte Folded Spill
	ds_read2_b64 v[99:102], v125 offset0:94 offset1:95
	s_waitcnt lgkmcnt(0)
	v_mul_f64 v[103:104], v[101:102], v[109:110]
	v_fma_f64 v[103:104], v[99:100], v[97:98], -v[103:104]
	v_mul_f64 v[99:100], v[99:100], v[109:110]
	v_add_f64 v[37:38], v[37:38], -v[103:104]
	v_fma_f64 v[99:100], v[101:102], v[97:98], v[99:100]
	v_add_f64 v[39:40], v[39:40], -v[99:100]
	ds_read2_b64 v[99:102], v125 offset0:96 offset1:97
	s_waitcnt lgkmcnt(0)
	v_mul_f64 v[103:104], v[101:102], v[109:110]
	v_fma_f64 v[103:104], v[99:100], v[97:98], -v[103:104]
	v_mul_f64 v[99:100], v[99:100], v[109:110]
	v_add_f64 v[33:34], v[33:34], -v[103:104]
	v_fma_f64 v[99:100], v[101:102], v[97:98], v[99:100]
	v_add_f64 v[35:36], v[35:36], -v[99:100]
	ds_read2_b64 v[99:102], v125 offset0:98 offset1:99
	s_waitcnt lgkmcnt(0)
	v_mul_f64 v[103:104], v[101:102], v[109:110]
	v_fma_f64 v[103:104], v[99:100], v[97:98], -v[103:104]
	v_mul_f64 v[99:100], v[99:100], v[109:110]
	v_add_f64 v[29:30], v[29:30], -v[103:104]
	v_fma_f64 v[99:100], v[101:102], v[97:98], v[99:100]
	v_add_f64 v[31:32], v[31:32], -v[99:100]
	ds_read2_b64 v[99:102], v125 offset0:100 offset1:101
	s_waitcnt lgkmcnt(0)
	v_mul_f64 v[103:104], v[101:102], v[109:110]
	v_fma_f64 v[103:104], v[99:100], v[97:98], -v[103:104]
	v_mul_f64 v[99:100], v[99:100], v[109:110]
	v_add_f64 v[25:26], v[25:26], -v[103:104]
	v_fma_f64 v[99:100], v[101:102], v[97:98], v[99:100]
	v_add_f64 v[27:28], v[27:28], -v[99:100]
	ds_read2_b64 v[99:102], v125 offset0:102 offset1:103
	s_waitcnt lgkmcnt(0)
	v_mul_f64 v[103:104], v[101:102], v[109:110]
	v_fma_f64 v[103:104], v[99:100], v[97:98], -v[103:104]
	v_mul_f64 v[99:100], v[99:100], v[109:110]
	v_add_f64 v[21:22], v[21:22], -v[103:104]
	v_fma_f64 v[99:100], v[101:102], v[97:98], v[99:100]
	v_add_f64 v[23:24], v[23:24], -v[99:100]
	ds_read2_b64 v[99:102], v125 offset0:104 offset1:105
	s_waitcnt lgkmcnt(0)
	v_mul_f64 v[103:104], v[101:102], v[109:110]
	v_fma_f64 v[103:104], v[99:100], v[97:98], -v[103:104]
	v_mul_f64 v[99:100], v[99:100], v[109:110]
	v_add_f64 v[17:18], v[17:18], -v[103:104]
	v_fma_f64 v[99:100], v[101:102], v[97:98], v[99:100]
	v_add_f64 v[19:20], v[19:20], -v[99:100]
	ds_read2_b64 v[99:102], v125 offset0:106 offset1:107
	s_waitcnt lgkmcnt(0)
	v_mul_f64 v[103:104], v[101:102], v[109:110]
	v_fma_f64 v[103:104], v[99:100], v[97:98], -v[103:104]
	v_mul_f64 v[99:100], v[99:100], v[109:110]
	v_add_f64 v[13:14], v[13:14], -v[103:104]
	v_fma_f64 v[99:100], v[101:102], v[97:98], v[99:100]
	v_add_f64 v[15:16], v[15:16], -v[99:100]
	ds_read2_b64 v[99:102], v125 offset0:108 offset1:109
	s_waitcnt lgkmcnt(0)
	v_mul_f64 v[103:104], v[101:102], v[109:110]
	v_fma_f64 v[103:104], v[99:100], v[97:98], -v[103:104]
	v_mul_f64 v[99:100], v[99:100], v[109:110]
	v_add_f64 v[9:10], v[9:10], -v[103:104]
	v_fma_f64 v[99:100], v[101:102], v[97:98], v[99:100]
	v_add_f64 v[11:12], v[11:12], -v[99:100]
	ds_read2_b64 v[99:102], v125 offset0:110 offset1:111
	s_waitcnt lgkmcnt(0)
	v_mul_f64 v[103:104], v[101:102], v[109:110]
	v_fma_f64 v[103:104], v[99:100], v[97:98], -v[103:104]
	v_mul_f64 v[99:100], v[99:100], v[109:110]
	v_add_f64 v[5:6], v[5:6], -v[103:104]
	v_fma_f64 v[99:100], v[101:102], v[97:98], v[99:100]
	v_add_f64 v[7:8], v[7:8], -v[99:100]
	ds_read2_b64 v[99:102], v125 offset0:112 offset1:113
	s_waitcnt lgkmcnt(0)
	v_mul_f64 v[103:104], v[101:102], v[109:110]
	v_fma_f64 v[103:104], v[99:100], v[97:98], -v[103:104]
	v_mul_f64 v[99:100], v[99:100], v[109:110]
	v_add_f64 v[1:2], v[1:2], -v[103:104]
	v_fma_f64 v[99:100], v[101:102], v[97:98], v[99:100]
	v_add_f64 v[3:4], v[3:4], -v[99:100]
	ds_read2_b64 v[99:102], v125 offset0:114 offset1:115
	s_waitcnt lgkmcnt(0)
	v_mul_f64 v[103:104], v[101:102], v[109:110]
	v_fma_f64 v[103:104], v[99:100], v[97:98], -v[103:104]
	v_mul_f64 v[99:100], v[99:100], v[109:110]
	buffer_store_dword v107, off, s[20:23], 0 offset:272 ; 4-byte Folded Spill
	s_nop 0
	buffer_store_dword v108, off, s[20:23], 0 offset:276 ; 4-byte Folded Spill
	buffer_store_dword v109, off, s[20:23], 0 offset:280 ; 4-byte Folded Spill
	;; [unrolled: 1-line block ×3, first 2 shown]
	v_add_f64 v[121:122], v[121:122], -v[103:104]
	v_fma_f64 v[99:100], v[101:102], v[97:98], v[99:100]
	v_add_f64 v[123:124], v[123:124], -v[99:100]
.LBB115_262:
	s_or_b64 exec, exec, s[2:3]
	v_cmp_eq_u32_e32 vcc, 29, v0
	s_waitcnt vmcnt(0)
	s_barrier
	s_and_saveexec_b64 s[4:5], vcc
	s_cbranch_execz .LBB115_269
; %bb.263:
	buffer_load_dword v95, off, s[20:23], 0 offset:256 ; 4-byte Folded Reload
	buffer_load_dword v96, off, s[20:23], 0 offset:260 ; 4-byte Folded Reload
	;; [unrolled: 1-line block ×4, first 2 shown]
	s_waitcnt vmcnt(0)
	ds_write2_b64 v127, v[95:96], v[97:98] offset1:1
	buffer_load_dword v95, off, s[20:23], 0 offset:240 ; 4-byte Folded Reload
	buffer_load_dword v96, off, s[20:23], 0 offset:244 ; 4-byte Folded Reload
	buffer_load_dword v97, off, s[20:23], 0 offset:248 ; 4-byte Folded Reload
	buffer_load_dword v98, off, s[20:23], 0 offset:252 ; 4-byte Folded Reload
	s_waitcnt vmcnt(0)
	ds_write2_b64 v125, v[95:96], v[97:98] offset0:60 offset1:61
	buffer_load_dword v95, off, s[20:23], 0 offset:224 ; 4-byte Folded Reload
	buffer_load_dword v96, off, s[20:23], 0 offset:228 ; 4-byte Folded Reload
	buffer_load_dword v97, off, s[20:23], 0 offset:232 ; 4-byte Folded Reload
	buffer_load_dword v98, off, s[20:23], 0 offset:236 ; 4-byte Folded Reload
	s_waitcnt vmcnt(0)
	ds_write2_b64 v125, v[95:96], v[97:98] offset0:62 offset1:63
	;; [unrolled: 6-line block ×5, first 2 shown]
	ds_write2_b64 v125, v[91:92], v[93:94] offset0:70 offset1:71
	buffer_load_dword v77, off, s[20:23], 0 offset:160 ; 4-byte Folded Reload
	buffer_load_dword v78, off, s[20:23], 0 offset:164 ; 4-byte Folded Reload
	buffer_load_dword v79, off, s[20:23], 0 offset:168 ; 4-byte Folded Reload
	buffer_load_dword v80, off, s[20:23], 0 offset:172 ; 4-byte Folded Reload
	s_waitcnt vmcnt(0)
	ds_write2_b64 v125, v[77:78], v[79:80] offset0:72 offset1:73
	buffer_load_dword v77, off, s[20:23], 0 offset:144 ; 4-byte Folded Reload
	buffer_load_dword v78, off, s[20:23], 0 offset:148 ; 4-byte Folded Reload
	buffer_load_dword v79, off, s[20:23], 0 offset:152 ; 4-byte Folded Reload
	buffer_load_dword v80, off, s[20:23], 0 offset:156 ; 4-byte Folded Reload
	s_waitcnt vmcnt(0)
	;; [unrolled: 6-line block ×10, first 2 shown]
	ds_write2_b64 v125, v[45:46], v[47:48] offset0:90 offset1:91
	buffer_load_dword v41, off, s[20:23], 0 ; 4-byte Folded Reload
	buffer_load_dword v42, off, s[20:23], 0 offset:4 ; 4-byte Folded Reload
	buffer_load_dword v43, off, s[20:23], 0 offset:8 ; 4-byte Folded Reload
	;; [unrolled: 1-line block ×3, first 2 shown]
	s_waitcnt vmcnt(0)
	ds_write2_b64 v125, v[41:42], v[43:44] offset0:92 offset1:93
	ds_write2_b64 v125, v[37:38], v[39:40] offset0:94 offset1:95
	;; [unrolled: 1-line block ×12, first 2 shown]
	ds_read2_b64 v[97:100], v127 offset1:1
	s_waitcnt lgkmcnt(0)
	v_cmp_neq_f64_e32 vcc, 0, v[97:98]
	v_cmp_neq_f64_e64 s[2:3], 0, v[99:100]
	s_or_b64 s[2:3], vcc, s[2:3]
	s_and_b64 exec, exec, s[2:3]
	s_cbranch_execz .LBB115_269
; %bb.264:
	v_cmp_ngt_f64_e64 s[2:3], |v[97:98]|, |v[99:100]|
                                        ; implicit-def: $vgpr101_vgpr102
	s_and_saveexec_b64 s[6:7], s[2:3]
	s_xor_b64 s[2:3], exec, s[6:7]
                                        ; implicit-def: $vgpr103_vgpr104
	s_cbranch_execz .LBB115_266
; %bb.265:
	v_div_scale_f64 v[101:102], s[6:7], v[99:100], v[99:100], v[97:98]
	v_rcp_f64_e32 v[103:104], v[101:102]
	v_fma_f64 v[105:106], -v[101:102], v[103:104], 1.0
	v_fma_f64 v[103:104], v[103:104], v[105:106], v[103:104]
	v_div_scale_f64 v[105:106], vcc, v[97:98], v[99:100], v[97:98]
	v_fma_f64 v[107:108], -v[101:102], v[103:104], 1.0
	v_fma_f64 v[103:104], v[103:104], v[107:108], v[103:104]
	v_mul_f64 v[107:108], v[105:106], v[103:104]
	v_fma_f64 v[101:102], -v[101:102], v[107:108], v[105:106]
	v_div_fmas_f64 v[101:102], v[101:102], v[103:104], v[107:108]
	v_div_fixup_f64 v[101:102], v[101:102], v[99:100], v[97:98]
	v_fma_f64 v[97:98], v[97:98], v[101:102], v[99:100]
	v_div_scale_f64 v[99:100], s[6:7], v[97:98], v[97:98], 1.0
	v_div_scale_f64 v[107:108], vcc, 1.0, v[97:98], 1.0
	v_rcp_f64_e32 v[103:104], v[99:100]
	v_fma_f64 v[105:106], -v[99:100], v[103:104], 1.0
	v_fma_f64 v[103:104], v[103:104], v[105:106], v[103:104]
	v_fma_f64 v[105:106], -v[99:100], v[103:104], 1.0
	v_fma_f64 v[103:104], v[103:104], v[105:106], v[103:104]
	v_mul_f64 v[105:106], v[107:108], v[103:104]
	v_fma_f64 v[99:100], -v[99:100], v[105:106], v[107:108]
	v_div_fmas_f64 v[99:100], v[99:100], v[103:104], v[105:106]
	v_div_fixup_f64 v[103:104], v[99:100], v[97:98], 1.0
                                        ; implicit-def: $vgpr97_vgpr98
	v_mul_f64 v[101:102], v[101:102], v[103:104]
	v_xor_b32_e32 v104, 0x80000000, v104
.LBB115_266:
	s_andn2_saveexec_b64 s[2:3], s[2:3]
	s_cbranch_execz .LBB115_268
; %bb.267:
	v_div_scale_f64 v[101:102], s[6:7], v[97:98], v[97:98], v[99:100]
	v_rcp_f64_e32 v[103:104], v[101:102]
	v_fma_f64 v[105:106], -v[101:102], v[103:104], 1.0
	v_fma_f64 v[103:104], v[103:104], v[105:106], v[103:104]
	v_div_scale_f64 v[105:106], vcc, v[99:100], v[97:98], v[99:100]
	v_fma_f64 v[107:108], -v[101:102], v[103:104], 1.0
	v_fma_f64 v[103:104], v[103:104], v[107:108], v[103:104]
	v_mul_f64 v[107:108], v[105:106], v[103:104]
	v_fma_f64 v[101:102], -v[101:102], v[107:108], v[105:106]
	v_div_fmas_f64 v[101:102], v[101:102], v[103:104], v[107:108]
	v_div_fixup_f64 v[103:104], v[101:102], v[97:98], v[99:100]
	v_fma_f64 v[97:98], v[99:100], v[103:104], v[97:98]
	v_div_scale_f64 v[99:100], s[6:7], v[97:98], v[97:98], 1.0
	v_div_scale_f64 v[107:108], vcc, 1.0, v[97:98], 1.0
	v_rcp_f64_e32 v[101:102], v[99:100]
	v_fma_f64 v[105:106], -v[99:100], v[101:102], 1.0
	v_fma_f64 v[101:102], v[101:102], v[105:106], v[101:102]
	v_fma_f64 v[105:106], -v[99:100], v[101:102], 1.0
	v_fma_f64 v[101:102], v[101:102], v[105:106], v[101:102]
	v_mul_f64 v[105:106], v[107:108], v[101:102]
	v_fma_f64 v[99:100], -v[99:100], v[105:106], v[107:108]
	v_div_fmas_f64 v[99:100], v[99:100], v[101:102], v[105:106]
	v_div_fixup_f64 v[101:102], v[99:100], v[97:98], 1.0
	v_mul_f64 v[103:104], v[103:104], -v[101:102]
.LBB115_268:
	s_or_b64 exec, exec, s[2:3]
	ds_write2_b64 v127, v[101:102], v[103:104] offset1:1
.LBB115_269:
	s_or_b64 exec, exec, s[4:5]
	s_waitcnt lgkmcnt(0)
	s_barrier
	ds_read2_b64 v[87:90], v127 offset1:1
	v_cmp_lt_u32_e32 vcc, 29, v0
	s_waitcnt lgkmcnt(0)
	buffer_store_dword v87, off, s[20:23], 0 offset:1656 ; 4-byte Folded Spill
	s_nop 0
	buffer_store_dword v88, off, s[20:23], 0 offset:1660 ; 4-byte Folded Spill
	buffer_store_dword v89, off, s[20:23], 0 offset:1664 ; 4-byte Folded Spill
	;; [unrolled: 1-line block ×3, first 2 shown]
	s_and_saveexec_b64 s[2:3], vcc
	s_cbranch_execz .LBB115_271
; %bb.270:
	buffer_load_dword v107, off, s[20:23], 0 offset:256 ; 4-byte Folded Reload
	buffer_load_dword v108, off, s[20:23], 0 offset:260 ; 4-byte Folded Reload
	;; [unrolled: 1-line block ×8, first 2 shown]
	s_waitcnt vmcnt(2)
	v_mul_f64 v[99:100], v[87:88], v[109:110]
	s_waitcnt vmcnt(0)
	v_mul_f64 v[97:98], v[89:90], v[109:110]
	v_fma_f64 v[109:110], v[89:90], v[107:108], v[99:100]
	ds_read2_b64 v[99:102], v125 offset0:60 offset1:61
	v_fma_f64 v[97:98], v[87:88], v[107:108], -v[97:98]
	buffer_load_dword v105, off, s[20:23], 0 offset:240 ; 4-byte Folded Reload
	buffer_load_dword v106, off, s[20:23], 0 offset:244 ; 4-byte Folded Reload
	buffer_load_dword v107, off, s[20:23], 0 offset:248 ; 4-byte Folded Reload
	buffer_load_dword v108, off, s[20:23], 0 offset:252 ; 4-byte Folded Reload
	s_waitcnt lgkmcnt(0)
	v_mul_f64 v[103:104], v[101:102], v[109:110]
	v_fma_f64 v[103:104], v[99:100], v[97:98], -v[103:104]
	v_mul_f64 v[99:100], v[99:100], v[109:110]
	v_fma_f64 v[99:100], v[101:102], v[97:98], v[99:100]
	s_waitcnt vmcnt(2)
	v_add_f64 v[105:106], v[105:106], -v[103:104]
	s_waitcnt vmcnt(0)
	v_add_f64 v[107:108], v[107:108], -v[99:100]
	buffer_store_dword v105, off, s[20:23], 0 offset:240 ; 4-byte Folded Spill
	s_nop 0
	buffer_store_dword v106, off, s[20:23], 0 offset:244 ; 4-byte Folded Spill
	buffer_store_dword v107, off, s[20:23], 0 offset:248 ; 4-byte Folded Spill
	buffer_store_dword v108, off, s[20:23], 0 offset:252 ; 4-byte Folded Spill
	ds_read2_b64 v[99:102], v125 offset0:62 offset1:63
	buffer_load_dword v105, off, s[20:23], 0 offset:224 ; 4-byte Folded Reload
	buffer_load_dword v106, off, s[20:23], 0 offset:228 ; 4-byte Folded Reload
	buffer_load_dword v107, off, s[20:23], 0 offset:232 ; 4-byte Folded Reload
	buffer_load_dword v108, off, s[20:23], 0 offset:236 ; 4-byte Folded Reload
	s_waitcnt lgkmcnt(0)
	v_mul_f64 v[103:104], v[101:102], v[109:110]
	v_fma_f64 v[103:104], v[99:100], v[97:98], -v[103:104]
	v_mul_f64 v[99:100], v[99:100], v[109:110]
	v_fma_f64 v[99:100], v[101:102], v[97:98], v[99:100]
	s_waitcnt vmcnt(2)
	v_add_f64 v[105:106], v[105:106], -v[103:104]
	s_waitcnt vmcnt(0)
	v_add_f64 v[107:108], v[107:108], -v[99:100]
	buffer_store_dword v105, off, s[20:23], 0 offset:224 ; 4-byte Folded Spill
	s_nop 0
	buffer_store_dword v106, off, s[20:23], 0 offset:228 ; 4-byte Folded Spill
	buffer_store_dword v107, off, s[20:23], 0 offset:232 ; 4-byte Folded Spill
	buffer_store_dword v108, off, s[20:23], 0 offset:236 ; 4-byte Folded Spill
	ds_read2_b64 v[99:102], v125 offset0:64 offset1:65
	;; [unrolled: 19-line block ×5, first 2 shown]
	v_mov_b32_e32 v108, v98
	v_mov_b32_e32 v107, v97
	s_waitcnt lgkmcnt(0)
	v_mul_f64 v[103:104], v[101:102], v[109:110]
	v_fma_f64 v[103:104], v[99:100], v[97:98], -v[103:104]
	v_mul_f64 v[99:100], v[99:100], v[109:110]
	v_add_f64 v[91:92], v[91:92], -v[103:104]
	v_fma_f64 v[99:100], v[101:102], v[97:98], v[99:100]
	v_add_f64 v[93:94], v[93:94], -v[99:100]
	ds_read2_b64 v[99:102], v125 offset0:72 offset1:73
	buffer_load_dword v77, off, s[20:23], 0 offset:160 ; 4-byte Folded Reload
	buffer_load_dword v78, off, s[20:23], 0 offset:164 ; 4-byte Folded Reload
	buffer_load_dword v79, off, s[20:23], 0 offset:168 ; 4-byte Folded Reload
	buffer_load_dword v80, off, s[20:23], 0 offset:172 ; 4-byte Folded Reload
	s_waitcnt lgkmcnt(0)
	v_mul_f64 v[103:104], v[101:102], v[109:110]
	v_fma_f64 v[103:104], v[99:100], v[97:98], -v[103:104]
	v_mul_f64 v[99:100], v[99:100], v[109:110]
	v_fma_f64 v[99:100], v[101:102], v[97:98], v[99:100]
	s_waitcnt vmcnt(2)
	v_add_f64 v[77:78], v[77:78], -v[103:104]
	s_waitcnt vmcnt(0)
	v_add_f64 v[79:80], v[79:80], -v[99:100]
	buffer_store_dword v77, off, s[20:23], 0 offset:160 ; 4-byte Folded Spill
	s_nop 0
	buffer_store_dword v78, off, s[20:23], 0 offset:164 ; 4-byte Folded Spill
	buffer_store_dword v79, off, s[20:23], 0 offset:168 ; 4-byte Folded Spill
	buffer_store_dword v80, off, s[20:23], 0 offset:172 ; 4-byte Folded Spill
	ds_read2_b64 v[99:102], v125 offset0:74 offset1:75
	buffer_load_dword v77, off, s[20:23], 0 offset:144 ; 4-byte Folded Reload
	buffer_load_dword v78, off, s[20:23], 0 offset:148 ; 4-byte Folded Reload
	buffer_load_dword v79, off, s[20:23], 0 offset:152 ; 4-byte Folded Reload
	buffer_load_dword v80, off, s[20:23], 0 offset:156 ; 4-byte Folded Reload
	s_waitcnt lgkmcnt(0)
	v_mul_f64 v[103:104], v[101:102], v[109:110]
	v_fma_f64 v[103:104], v[99:100], v[97:98], -v[103:104]
	v_mul_f64 v[99:100], v[99:100], v[109:110]
	v_fma_f64 v[99:100], v[101:102], v[97:98], v[99:100]
	s_waitcnt vmcnt(2)
	v_add_f64 v[77:78], v[77:78], -v[103:104]
	s_waitcnt vmcnt(0)
	v_add_f64 v[79:80], v[79:80], -v[99:100]
	buffer_store_dword v77, off, s[20:23], 0 offset:144 ; 4-byte Folded Spill
	s_nop 0
	buffer_store_dword v78, off, s[20:23], 0 offset:148 ; 4-byte Folded Spill
	buffer_store_dword v79, off, s[20:23], 0 offset:152 ; 4-byte Folded Spill
	buffer_store_dword v80, off, s[20:23], 0 offset:156 ; 4-byte Folded Spill
	;; [unrolled: 19-line block ×10, first 2 shown]
	ds_read2_b64 v[99:102], v125 offset0:92 offset1:93
	buffer_load_dword v41, off, s[20:23], 0 ; 4-byte Folded Reload
	buffer_load_dword v42, off, s[20:23], 0 offset:4 ; 4-byte Folded Reload
	buffer_load_dword v43, off, s[20:23], 0 offset:8 ; 4-byte Folded Reload
	;; [unrolled: 1-line block ×3, first 2 shown]
	s_waitcnt lgkmcnt(0)
	v_mul_f64 v[103:104], v[101:102], v[109:110]
	v_fma_f64 v[103:104], v[99:100], v[97:98], -v[103:104]
	v_mul_f64 v[99:100], v[99:100], v[109:110]
	v_fma_f64 v[99:100], v[101:102], v[97:98], v[99:100]
	s_waitcnt vmcnt(2)
	v_add_f64 v[41:42], v[41:42], -v[103:104]
	s_waitcnt vmcnt(0)
	v_add_f64 v[43:44], v[43:44], -v[99:100]
	buffer_store_dword v41, off, s[20:23], 0 ; 4-byte Folded Spill
	s_nop 0
	buffer_store_dword v42, off, s[20:23], 0 offset:4 ; 4-byte Folded Spill
	buffer_store_dword v43, off, s[20:23], 0 offset:8 ; 4-byte Folded Spill
	;; [unrolled: 1-line block ×3, first 2 shown]
	ds_read2_b64 v[99:102], v125 offset0:94 offset1:95
	s_waitcnt lgkmcnt(0)
	v_mul_f64 v[103:104], v[101:102], v[109:110]
	v_fma_f64 v[103:104], v[99:100], v[97:98], -v[103:104]
	v_mul_f64 v[99:100], v[99:100], v[109:110]
	v_add_f64 v[37:38], v[37:38], -v[103:104]
	v_fma_f64 v[99:100], v[101:102], v[97:98], v[99:100]
	v_add_f64 v[39:40], v[39:40], -v[99:100]
	ds_read2_b64 v[99:102], v125 offset0:96 offset1:97
	s_waitcnt lgkmcnt(0)
	v_mul_f64 v[103:104], v[101:102], v[109:110]
	v_fma_f64 v[103:104], v[99:100], v[97:98], -v[103:104]
	v_mul_f64 v[99:100], v[99:100], v[109:110]
	v_add_f64 v[33:34], v[33:34], -v[103:104]
	v_fma_f64 v[99:100], v[101:102], v[97:98], v[99:100]
	v_add_f64 v[35:36], v[35:36], -v[99:100]
	;; [unrolled: 8-line block ×10, first 2 shown]
	ds_read2_b64 v[99:102], v125 offset0:114 offset1:115
	s_waitcnt lgkmcnt(0)
	v_mul_f64 v[103:104], v[101:102], v[109:110]
	v_fma_f64 v[103:104], v[99:100], v[97:98], -v[103:104]
	v_mul_f64 v[99:100], v[99:100], v[109:110]
	buffer_store_dword v107, off, s[20:23], 0 offset:256 ; 4-byte Folded Spill
	s_nop 0
	buffer_store_dword v108, off, s[20:23], 0 offset:260 ; 4-byte Folded Spill
	buffer_store_dword v109, off, s[20:23], 0 offset:264 ; 4-byte Folded Spill
	;; [unrolled: 1-line block ×3, first 2 shown]
	v_add_f64 v[121:122], v[121:122], -v[103:104]
	v_fma_f64 v[99:100], v[101:102], v[97:98], v[99:100]
	v_add_f64 v[123:124], v[123:124], -v[99:100]
.LBB115_271:
	s_or_b64 exec, exec, s[2:3]
	v_cmp_eq_u32_e32 vcc, 30, v0
	s_waitcnt vmcnt(0)
	s_barrier
	s_and_saveexec_b64 s[4:5], vcc
	s_cbranch_execz .LBB115_278
; %bb.272:
	buffer_load_dword v95, off, s[20:23], 0 offset:240 ; 4-byte Folded Reload
	buffer_load_dword v96, off, s[20:23], 0 offset:244 ; 4-byte Folded Reload
	;; [unrolled: 1-line block ×4, first 2 shown]
	s_waitcnt vmcnt(0)
	ds_write2_b64 v127, v[95:96], v[97:98] offset1:1
	buffer_load_dword v95, off, s[20:23], 0 offset:224 ; 4-byte Folded Reload
	buffer_load_dword v96, off, s[20:23], 0 offset:228 ; 4-byte Folded Reload
	buffer_load_dword v97, off, s[20:23], 0 offset:232 ; 4-byte Folded Reload
	buffer_load_dword v98, off, s[20:23], 0 offset:236 ; 4-byte Folded Reload
	s_waitcnt vmcnt(0)
	ds_write2_b64 v125, v[95:96], v[97:98] offset0:62 offset1:63
	buffer_load_dword v95, off, s[20:23], 0 offset:208 ; 4-byte Folded Reload
	buffer_load_dword v96, off, s[20:23], 0 offset:212 ; 4-byte Folded Reload
	buffer_load_dword v97, off, s[20:23], 0 offset:216 ; 4-byte Folded Reload
	buffer_load_dword v98, off, s[20:23], 0 offset:220 ; 4-byte Folded Reload
	s_waitcnt vmcnt(0)
	ds_write2_b64 v125, v[95:96], v[97:98] offset0:64 offset1:65
	;; [unrolled: 6-line block ×4, first 2 shown]
	ds_write2_b64 v125, v[91:92], v[93:94] offset0:70 offset1:71
	buffer_load_dword v77, off, s[20:23], 0 offset:160 ; 4-byte Folded Reload
	buffer_load_dword v78, off, s[20:23], 0 offset:164 ; 4-byte Folded Reload
	buffer_load_dword v79, off, s[20:23], 0 offset:168 ; 4-byte Folded Reload
	buffer_load_dword v80, off, s[20:23], 0 offset:172 ; 4-byte Folded Reload
	s_waitcnt vmcnt(0)
	ds_write2_b64 v125, v[77:78], v[79:80] offset0:72 offset1:73
	buffer_load_dword v77, off, s[20:23], 0 offset:144 ; 4-byte Folded Reload
	buffer_load_dword v78, off, s[20:23], 0 offset:148 ; 4-byte Folded Reload
	buffer_load_dword v79, off, s[20:23], 0 offset:152 ; 4-byte Folded Reload
	buffer_load_dword v80, off, s[20:23], 0 offset:156 ; 4-byte Folded Reload
	s_waitcnt vmcnt(0)
	ds_write2_b64 v125, v[77:78], v[79:80] offset0:74 offset1:75
	buffer_load_dword v73, off, s[20:23], 0 offset:128 ; 4-byte Folded Reload
	buffer_load_dword v74, off, s[20:23], 0 offset:132 ; 4-byte Folded Reload
	buffer_load_dword v75, off, s[20:23], 0 offset:136 ; 4-byte Folded Reload
	buffer_load_dword v76, off, s[20:23], 0 offset:140 ; 4-byte Folded Reload
	s_waitcnt vmcnt(0)
	ds_write2_b64 v125, v[73:74], v[75:76] offset0:76 offset1:77
	buffer_load_dword v69, off, s[20:23], 0 offset:112 ; 4-byte Folded Reload
	buffer_load_dword v70, off, s[20:23], 0 offset:116 ; 4-byte Folded Reload
	buffer_load_dword v71, off, s[20:23], 0 offset:120 ; 4-byte Folded Reload
	buffer_load_dword v72, off, s[20:23], 0 offset:124 ; 4-byte Folded Reload
	s_waitcnt vmcnt(0)
	ds_write2_b64 v125, v[69:70], v[71:72] offset0:78 offset1:79
	buffer_load_dword v65, off, s[20:23], 0 offset:96 ; 4-byte Folded Reload
	buffer_load_dword v66, off, s[20:23], 0 offset:100 ; 4-byte Folded Reload
	buffer_load_dword v67, off, s[20:23], 0 offset:104 ; 4-byte Folded Reload
	buffer_load_dword v68, off, s[20:23], 0 offset:108 ; 4-byte Folded Reload
	s_waitcnt vmcnt(0)
	ds_write2_b64 v125, v[65:66], v[67:68] offset0:80 offset1:81
	buffer_load_dword v61, off, s[20:23], 0 offset:80 ; 4-byte Folded Reload
	buffer_load_dword v62, off, s[20:23], 0 offset:84 ; 4-byte Folded Reload
	buffer_load_dword v63, off, s[20:23], 0 offset:88 ; 4-byte Folded Reload
	buffer_load_dword v64, off, s[20:23], 0 offset:92 ; 4-byte Folded Reload
	s_waitcnt vmcnt(0)
	ds_write2_b64 v125, v[61:62], v[63:64] offset0:82 offset1:83
	buffer_load_dword v57, off, s[20:23], 0 offset:64 ; 4-byte Folded Reload
	buffer_load_dword v58, off, s[20:23], 0 offset:68 ; 4-byte Folded Reload
	buffer_load_dword v59, off, s[20:23], 0 offset:72 ; 4-byte Folded Reload
	buffer_load_dword v60, off, s[20:23], 0 offset:76 ; 4-byte Folded Reload
	s_waitcnt vmcnt(0)
	ds_write2_b64 v125, v[57:58], v[59:60] offset0:84 offset1:85
	buffer_load_dword v53, off, s[20:23], 0 offset:48 ; 4-byte Folded Reload
	buffer_load_dword v54, off, s[20:23], 0 offset:52 ; 4-byte Folded Reload
	buffer_load_dword v55, off, s[20:23], 0 offset:56 ; 4-byte Folded Reload
	buffer_load_dword v56, off, s[20:23], 0 offset:60 ; 4-byte Folded Reload
	s_waitcnt vmcnt(0)
	ds_write2_b64 v125, v[53:54], v[55:56] offset0:86 offset1:87
	buffer_load_dword v49, off, s[20:23], 0 offset:32 ; 4-byte Folded Reload
	buffer_load_dword v50, off, s[20:23], 0 offset:36 ; 4-byte Folded Reload
	buffer_load_dword v51, off, s[20:23], 0 offset:40 ; 4-byte Folded Reload
	buffer_load_dword v52, off, s[20:23], 0 offset:44 ; 4-byte Folded Reload
	s_waitcnt vmcnt(0)
	ds_write2_b64 v125, v[49:50], v[51:52] offset0:88 offset1:89
	buffer_load_dword v45, off, s[20:23], 0 offset:16 ; 4-byte Folded Reload
	buffer_load_dword v46, off, s[20:23], 0 offset:20 ; 4-byte Folded Reload
	buffer_load_dword v47, off, s[20:23], 0 offset:24 ; 4-byte Folded Reload
	buffer_load_dword v48, off, s[20:23], 0 offset:28 ; 4-byte Folded Reload
	s_waitcnt vmcnt(0)
	ds_write2_b64 v125, v[45:46], v[47:48] offset0:90 offset1:91
	buffer_load_dword v41, off, s[20:23], 0 ; 4-byte Folded Reload
	buffer_load_dword v42, off, s[20:23], 0 offset:4 ; 4-byte Folded Reload
	buffer_load_dword v43, off, s[20:23], 0 offset:8 ; 4-byte Folded Reload
	;; [unrolled: 1-line block ×3, first 2 shown]
	s_waitcnt vmcnt(0)
	ds_write2_b64 v125, v[41:42], v[43:44] offset0:92 offset1:93
	ds_write2_b64 v125, v[37:38], v[39:40] offset0:94 offset1:95
	;; [unrolled: 1-line block ×12, first 2 shown]
	ds_read2_b64 v[97:100], v127 offset1:1
	s_waitcnt lgkmcnt(0)
	v_cmp_neq_f64_e32 vcc, 0, v[97:98]
	v_cmp_neq_f64_e64 s[2:3], 0, v[99:100]
	s_or_b64 s[2:3], vcc, s[2:3]
	s_and_b64 exec, exec, s[2:3]
	s_cbranch_execz .LBB115_278
; %bb.273:
	v_cmp_ngt_f64_e64 s[2:3], |v[97:98]|, |v[99:100]|
                                        ; implicit-def: $vgpr101_vgpr102
	s_and_saveexec_b64 s[6:7], s[2:3]
	s_xor_b64 s[2:3], exec, s[6:7]
                                        ; implicit-def: $vgpr103_vgpr104
	s_cbranch_execz .LBB115_275
; %bb.274:
	v_div_scale_f64 v[101:102], s[6:7], v[99:100], v[99:100], v[97:98]
	v_rcp_f64_e32 v[103:104], v[101:102]
	v_fma_f64 v[105:106], -v[101:102], v[103:104], 1.0
	v_fma_f64 v[103:104], v[103:104], v[105:106], v[103:104]
	v_div_scale_f64 v[105:106], vcc, v[97:98], v[99:100], v[97:98]
	v_fma_f64 v[107:108], -v[101:102], v[103:104], 1.0
	v_fma_f64 v[103:104], v[103:104], v[107:108], v[103:104]
	v_mul_f64 v[107:108], v[105:106], v[103:104]
	v_fma_f64 v[101:102], -v[101:102], v[107:108], v[105:106]
	v_div_fmas_f64 v[101:102], v[101:102], v[103:104], v[107:108]
	v_div_fixup_f64 v[101:102], v[101:102], v[99:100], v[97:98]
	v_fma_f64 v[97:98], v[97:98], v[101:102], v[99:100]
	v_div_scale_f64 v[99:100], s[6:7], v[97:98], v[97:98], 1.0
	v_div_scale_f64 v[107:108], vcc, 1.0, v[97:98], 1.0
	v_rcp_f64_e32 v[103:104], v[99:100]
	v_fma_f64 v[105:106], -v[99:100], v[103:104], 1.0
	v_fma_f64 v[103:104], v[103:104], v[105:106], v[103:104]
	v_fma_f64 v[105:106], -v[99:100], v[103:104], 1.0
	v_fma_f64 v[103:104], v[103:104], v[105:106], v[103:104]
	v_mul_f64 v[105:106], v[107:108], v[103:104]
	v_fma_f64 v[99:100], -v[99:100], v[105:106], v[107:108]
	v_div_fmas_f64 v[99:100], v[99:100], v[103:104], v[105:106]
	v_div_fixup_f64 v[103:104], v[99:100], v[97:98], 1.0
                                        ; implicit-def: $vgpr97_vgpr98
	v_mul_f64 v[101:102], v[101:102], v[103:104]
	v_xor_b32_e32 v104, 0x80000000, v104
.LBB115_275:
	s_andn2_saveexec_b64 s[2:3], s[2:3]
	s_cbranch_execz .LBB115_277
; %bb.276:
	v_div_scale_f64 v[101:102], s[6:7], v[97:98], v[97:98], v[99:100]
	v_rcp_f64_e32 v[103:104], v[101:102]
	v_fma_f64 v[105:106], -v[101:102], v[103:104], 1.0
	v_fma_f64 v[103:104], v[103:104], v[105:106], v[103:104]
	v_div_scale_f64 v[105:106], vcc, v[99:100], v[97:98], v[99:100]
	v_fma_f64 v[107:108], -v[101:102], v[103:104], 1.0
	v_fma_f64 v[103:104], v[103:104], v[107:108], v[103:104]
	v_mul_f64 v[107:108], v[105:106], v[103:104]
	v_fma_f64 v[101:102], -v[101:102], v[107:108], v[105:106]
	v_div_fmas_f64 v[101:102], v[101:102], v[103:104], v[107:108]
	v_div_fixup_f64 v[103:104], v[101:102], v[97:98], v[99:100]
	v_fma_f64 v[97:98], v[99:100], v[103:104], v[97:98]
	v_div_scale_f64 v[99:100], s[6:7], v[97:98], v[97:98], 1.0
	v_div_scale_f64 v[107:108], vcc, 1.0, v[97:98], 1.0
	v_rcp_f64_e32 v[101:102], v[99:100]
	v_fma_f64 v[105:106], -v[99:100], v[101:102], 1.0
	v_fma_f64 v[101:102], v[101:102], v[105:106], v[101:102]
	v_fma_f64 v[105:106], -v[99:100], v[101:102], 1.0
	v_fma_f64 v[101:102], v[101:102], v[105:106], v[101:102]
	v_mul_f64 v[105:106], v[107:108], v[101:102]
	v_fma_f64 v[99:100], -v[99:100], v[105:106], v[107:108]
	v_div_fmas_f64 v[99:100], v[99:100], v[101:102], v[105:106]
	v_div_fixup_f64 v[101:102], v[99:100], v[97:98], 1.0
	v_mul_f64 v[103:104], v[103:104], -v[101:102]
.LBB115_277:
	s_or_b64 exec, exec, s[2:3]
	ds_write2_b64 v127, v[101:102], v[103:104] offset1:1
.LBB115_278:
	s_or_b64 exec, exec, s[4:5]
	s_waitcnt lgkmcnt(0)
	s_barrier
	ds_read2_b64 v[87:90], v127 offset1:1
	v_cmp_lt_u32_e32 vcc, 30, v0
	s_waitcnt lgkmcnt(0)
	buffer_store_dword v87, off, s[20:23], 0 offset:1672 ; 4-byte Folded Spill
	s_nop 0
	buffer_store_dword v88, off, s[20:23], 0 offset:1676 ; 4-byte Folded Spill
	buffer_store_dword v89, off, s[20:23], 0 offset:1680 ; 4-byte Folded Spill
	buffer_store_dword v90, off, s[20:23], 0 offset:1684 ; 4-byte Folded Spill
	s_and_saveexec_b64 s[2:3], vcc
	s_cbranch_execz .LBB115_280
; %bb.279:
	buffer_load_dword v107, off, s[20:23], 0 offset:240 ; 4-byte Folded Reload
	buffer_load_dword v108, off, s[20:23], 0 offset:244 ; 4-byte Folded Reload
	buffer_load_dword v109, off, s[20:23], 0 offset:248 ; 4-byte Folded Reload
	buffer_load_dword v110, off, s[20:23], 0 offset:252 ; 4-byte Folded Reload
	buffer_load_dword v87, off, s[20:23], 0 offset:1672 ; 4-byte Folded Reload
	buffer_load_dword v88, off, s[20:23], 0 offset:1676 ; 4-byte Folded Reload
	buffer_load_dword v89, off, s[20:23], 0 offset:1680 ; 4-byte Folded Reload
	buffer_load_dword v90, off, s[20:23], 0 offset:1684 ; 4-byte Folded Reload
	s_waitcnt vmcnt(2)
	v_mul_f64 v[99:100], v[87:88], v[109:110]
	s_waitcnt vmcnt(0)
	v_mul_f64 v[97:98], v[89:90], v[109:110]
	v_fma_f64 v[109:110], v[89:90], v[107:108], v[99:100]
	ds_read2_b64 v[99:102], v125 offset0:62 offset1:63
	v_fma_f64 v[97:98], v[87:88], v[107:108], -v[97:98]
	buffer_load_dword v105, off, s[20:23], 0 offset:224 ; 4-byte Folded Reload
	buffer_load_dword v106, off, s[20:23], 0 offset:228 ; 4-byte Folded Reload
	buffer_load_dword v107, off, s[20:23], 0 offset:232 ; 4-byte Folded Reload
	buffer_load_dword v108, off, s[20:23], 0 offset:236 ; 4-byte Folded Reload
	s_waitcnt lgkmcnt(0)
	v_mul_f64 v[103:104], v[101:102], v[109:110]
	v_fma_f64 v[103:104], v[99:100], v[97:98], -v[103:104]
	v_mul_f64 v[99:100], v[99:100], v[109:110]
	v_fma_f64 v[99:100], v[101:102], v[97:98], v[99:100]
	s_waitcnt vmcnt(2)
	v_add_f64 v[105:106], v[105:106], -v[103:104]
	s_waitcnt vmcnt(0)
	v_add_f64 v[107:108], v[107:108], -v[99:100]
	buffer_store_dword v105, off, s[20:23], 0 offset:224 ; 4-byte Folded Spill
	s_nop 0
	buffer_store_dword v106, off, s[20:23], 0 offset:228 ; 4-byte Folded Spill
	buffer_store_dword v107, off, s[20:23], 0 offset:232 ; 4-byte Folded Spill
	buffer_store_dword v108, off, s[20:23], 0 offset:236 ; 4-byte Folded Spill
	ds_read2_b64 v[99:102], v125 offset0:64 offset1:65
	buffer_load_dword v105, off, s[20:23], 0 offset:208 ; 4-byte Folded Reload
	buffer_load_dword v106, off, s[20:23], 0 offset:212 ; 4-byte Folded Reload
	buffer_load_dword v107, off, s[20:23], 0 offset:216 ; 4-byte Folded Reload
	buffer_load_dword v108, off, s[20:23], 0 offset:220 ; 4-byte Folded Reload
	s_waitcnt lgkmcnt(0)
	v_mul_f64 v[103:104], v[101:102], v[109:110]
	v_fma_f64 v[103:104], v[99:100], v[97:98], -v[103:104]
	v_mul_f64 v[99:100], v[99:100], v[109:110]
	v_fma_f64 v[99:100], v[101:102], v[97:98], v[99:100]
	s_waitcnt vmcnt(2)
	v_add_f64 v[105:106], v[105:106], -v[103:104]
	s_waitcnt vmcnt(0)
	v_add_f64 v[107:108], v[107:108], -v[99:100]
	buffer_store_dword v105, off, s[20:23], 0 offset:208 ; 4-byte Folded Spill
	s_nop 0
	buffer_store_dword v106, off, s[20:23], 0 offset:212 ; 4-byte Folded Spill
	buffer_store_dword v107, off, s[20:23], 0 offset:216 ; 4-byte Folded Spill
	buffer_store_dword v108, off, s[20:23], 0 offset:220 ; 4-byte Folded Spill
	ds_read2_b64 v[99:102], v125 offset0:66 offset1:67
	;; [unrolled: 19-line block ×4, first 2 shown]
	v_mov_b32_e32 v108, v98
	v_mov_b32_e32 v107, v97
	s_waitcnt lgkmcnt(0)
	v_mul_f64 v[103:104], v[101:102], v[109:110]
	v_fma_f64 v[103:104], v[99:100], v[97:98], -v[103:104]
	v_mul_f64 v[99:100], v[99:100], v[109:110]
	v_add_f64 v[91:92], v[91:92], -v[103:104]
	v_fma_f64 v[99:100], v[101:102], v[97:98], v[99:100]
	v_add_f64 v[93:94], v[93:94], -v[99:100]
	ds_read2_b64 v[99:102], v125 offset0:72 offset1:73
	buffer_load_dword v77, off, s[20:23], 0 offset:160 ; 4-byte Folded Reload
	buffer_load_dword v78, off, s[20:23], 0 offset:164 ; 4-byte Folded Reload
	buffer_load_dword v79, off, s[20:23], 0 offset:168 ; 4-byte Folded Reload
	buffer_load_dword v80, off, s[20:23], 0 offset:172 ; 4-byte Folded Reload
	s_waitcnt lgkmcnt(0)
	v_mul_f64 v[103:104], v[101:102], v[109:110]
	v_fma_f64 v[103:104], v[99:100], v[97:98], -v[103:104]
	v_mul_f64 v[99:100], v[99:100], v[109:110]
	v_fma_f64 v[99:100], v[101:102], v[97:98], v[99:100]
	s_waitcnt vmcnt(2)
	v_add_f64 v[77:78], v[77:78], -v[103:104]
	s_waitcnt vmcnt(0)
	v_add_f64 v[79:80], v[79:80], -v[99:100]
	buffer_store_dword v77, off, s[20:23], 0 offset:160 ; 4-byte Folded Spill
	s_nop 0
	buffer_store_dword v78, off, s[20:23], 0 offset:164 ; 4-byte Folded Spill
	buffer_store_dword v79, off, s[20:23], 0 offset:168 ; 4-byte Folded Spill
	buffer_store_dword v80, off, s[20:23], 0 offset:172 ; 4-byte Folded Spill
	ds_read2_b64 v[99:102], v125 offset0:74 offset1:75
	buffer_load_dword v77, off, s[20:23], 0 offset:144 ; 4-byte Folded Reload
	buffer_load_dword v78, off, s[20:23], 0 offset:148 ; 4-byte Folded Reload
	buffer_load_dword v79, off, s[20:23], 0 offset:152 ; 4-byte Folded Reload
	buffer_load_dword v80, off, s[20:23], 0 offset:156 ; 4-byte Folded Reload
	s_waitcnt lgkmcnt(0)
	v_mul_f64 v[103:104], v[101:102], v[109:110]
	v_fma_f64 v[103:104], v[99:100], v[97:98], -v[103:104]
	v_mul_f64 v[99:100], v[99:100], v[109:110]
	v_fma_f64 v[99:100], v[101:102], v[97:98], v[99:100]
	s_waitcnt vmcnt(2)
	v_add_f64 v[77:78], v[77:78], -v[103:104]
	s_waitcnt vmcnt(0)
	v_add_f64 v[79:80], v[79:80], -v[99:100]
	buffer_store_dword v77, off, s[20:23], 0 offset:144 ; 4-byte Folded Spill
	s_nop 0
	buffer_store_dword v78, off, s[20:23], 0 offset:148 ; 4-byte Folded Spill
	buffer_store_dword v79, off, s[20:23], 0 offset:152 ; 4-byte Folded Spill
	buffer_store_dword v80, off, s[20:23], 0 offset:156 ; 4-byte Folded Spill
	ds_read2_b64 v[99:102], v125 offset0:76 offset1:77
	buffer_load_dword v73, off, s[20:23], 0 offset:128 ; 4-byte Folded Reload
	buffer_load_dword v74, off, s[20:23], 0 offset:132 ; 4-byte Folded Reload
	buffer_load_dword v75, off, s[20:23], 0 offset:136 ; 4-byte Folded Reload
	buffer_load_dword v76, off, s[20:23], 0 offset:140 ; 4-byte Folded Reload
	s_waitcnt lgkmcnt(0)
	v_mul_f64 v[103:104], v[101:102], v[109:110]
	v_fma_f64 v[103:104], v[99:100], v[97:98], -v[103:104]
	v_mul_f64 v[99:100], v[99:100], v[109:110]
	v_fma_f64 v[99:100], v[101:102], v[97:98], v[99:100]
	s_waitcnt vmcnt(2)
	v_add_f64 v[73:74], v[73:74], -v[103:104]
	s_waitcnt vmcnt(0)
	v_add_f64 v[75:76], v[75:76], -v[99:100]
	buffer_store_dword v73, off, s[20:23], 0 offset:128 ; 4-byte Folded Spill
	s_nop 0
	buffer_store_dword v74, off, s[20:23], 0 offset:132 ; 4-byte Folded Spill
	buffer_store_dword v75, off, s[20:23], 0 offset:136 ; 4-byte Folded Spill
	buffer_store_dword v76, off, s[20:23], 0 offset:140 ; 4-byte Folded Spill
	ds_read2_b64 v[99:102], v125 offset0:78 offset1:79
	buffer_load_dword v69, off, s[20:23], 0 offset:112 ; 4-byte Folded Reload
	buffer_load_dword v70, off, s[20:23], 0 offset:116 ; 4-byte Folded Reload
	buffer_load_dword v71, off, s[20:23], 0 offset:120 ; 4-byte Folded Reload
	buffer_load_dword v72, off, s[20:23], 0 offset:124 ; 4-byte Folded Reload
	s_waitcnt lgkmcnt(0)
	v_mul_f64 v[103:104], v[101:102], v[109:110]
	v_fma_f64 v[103:104], v[99:100], v[97:98], -v[103:104]
	v_mul_f64 v[99:100], v[99:100], v[109:110]
	v_fma_f64 v[99:100], v[101:102], v[97:98], v[99:100]
	s_waitcnt vmcnt(2)
	v_add_f64 v[69:70], v[69:70], -v[103:104]
	s_waitcnt vmcnt(0)
	v_add_f64 v[71:72], v[71:72], -v[99:100]
	buffer_store_dword v69, off, s[20:23], 0 offset:112 ; 4-byte Folded Spill
	s_nop 0
	buffer_store_dword v70, off, s[20:23], 0 offset:116 ; 4-byte Folded Spill
	buffer_store_dword v71, off, s[20:23], 0 offset:120 ; 4-byte Folded Spill
	buffer_store_dword v72, off, s[20:23], 0 offset:124 ; 4-byte Folded Spill
	ds_read2_b64 v[99:102], v125 offset0:80 offset1:81
	buffer_load_dword v65, off, s[20:23], 0 offset:96 ; 4-byte Folded Reload
	buffer_load_dword v66, off, s[20:23], 0 offset:100 ; 4-byte Folded Reload
	buffer_load_dword v67, off, s[20:23], 0 offset:104 ; 4-byte Folded Reload
	buffer_load_dword v68, off, s[20:23], 0 offset:108 ; 4-byte Folded Reload
	s_waitcnt lgkmcnt(0)
	v_mul_f64 v[103:104], v[101:102], v[109:110]
	v_fma_f64 v[103:104], v[99:100], v[97:98], -v[103:104]
	v_mul_f64 v[99:100], v[99:100], v[109:110]
	v_fma_f64 v[99:100], v[101:102], v[97:98], v[99:100]
	s_waitcnt vmcnt(2)
	v_add_f64 v[65:66], v[65:66], -v[103:104]
	s_waitcnt vmcnt(0)
	v_add_f64 v[67:68], v[67:68], -v[99:100]
	buffer_store_dword v65, off, s[20:23], 0 offset:96 ; 4-byte Folded Spill
	s_nop 0
	buffer_store_dword v66, off, s[20:23], 0 offset:100 ; 4-byte Folded Spill
	buffer_store_dword v67, off, s[20:23], 0 offset:104 ; 4-byte Folded Spill
	buffer_store_dword v68, off, s[20:23], 0 offset:108 ; 4-byte Folded Spill
	ds_read2_b64 v[99:102], v125 offset0:82 offset1:83
	buffer_load_dword v61, off, s[20:23], 0 offset:80 ; 4-byte Folded Reload
	buffer_load_dword v62, off, s[20:23], 0 offset:84 ; 4-byte Folded Reload
	buffer_load_dword v63, off, s[20:23], 0 offset:88 ; 4-byte Folded Reload
	buffer_load_dword v64, off, s[20:23], 0 offset:92 ; 4-byte Folded Reload
	s_waitcnt lgkmcnt(0)
	v_mul_f64 v[103:104], v[101:102], v[109:110]
	v_fma_f64 v[103:104], v[99:100], v[97:98], -v[103:104]
	v_mul_f64 v[99:100], v[99:100], v[109:110]
	v_fma_f64 v[99:100], v[101:102], v[97:98], v[99:100]
	s_waitcnt vmcnt(2)
	v_add_f64 v[61:62], v[61:62], -v[103:104]
	s_waitcnt vmcnt(0)
	v_add_f64 v[63:64], v[63:64], -v[99:100]
	buffer_store_dword v61, off, s[20:23], 0 offset:80 ; 4-byte Folded Spill
	s_nop 0
	buffer_store_dword v62, off, s[20:23], 0 offset:84 ; 4-byte Folded Spill
	buffer_store_dword v63, off, s[20:23], 0 offset:88 ; 4-byte Folded Spill
	buffer_store_dword v64, off, s[20:23], 0 offset:92 ; 4-byte Folded Spill
	ds_read2_b64 v[99:102], v125 offset0:84 offset1:85
	buffer_load_dword v57, off, s[20:23], 0 offset:64 ; 4-byte Folded Reload
	buffer_load_dword v58, off, s[20:23], 0 offset:68 ; 4-byte Folded Reload
	buffer_load_dword v59, off, s[20:23], 0 offset:72 ; 4-byte Folded Reload
	buffer_load_dword v60, off, s[20:23], 0 offset:76 ; 4-byte Folded Reload
	s_waitcnt lgkmcnt(0)
	v_mul_f64 v[103:104], v[101:102], v[109:110]
	v_fma_f64 v[103:104], v[99:100], v[97:98], -v[103:104]
	v_mul_f64 v[99:100], v[99:100], v[109:110]
	v_fma_f64 v[99:100], v[101:102], v[97:98], v[99:100]
	s_waitcnt vmcnt(2)
	v_add_f64 v[57:58], v[57:58], -v[103:104]
	s_waitcnt vmcnt(0)
	v_add_f64 v[59:60], v[59:60], -v[99:100]
	buffer_store_dword v57, off, s[20:23], 0 offset:64 ; 4-byte Folded Spill
	s_nop 0
	buffer_store_dword v58, off, s[20:23], 0 offset:68 ; 4-byte Folded Spill
	buffer_store_dword v59, off, s[20:23], 0 offset:72 ; 4-byte Folded Spill
	buffer_store_dword v60, off, s[20:23], 0 offset:76 ; 4-byte Folded Spill
	ds_read2_b64 v[99:102], v125 offset0:86 offset1:87
	buffer_load_dword v53, off, s[20:23], 0 offset:48 ; 4-byte Folded Reload
	buffer_load_dword v54, off, s[20:23], 0 offset:52 ; 4-byte Folded Reload
	buffer_load_dword v55, off, s[20:23], 0 offset:56 ; 4-byte Folded Reload
	buffer_load_dword v56, off, s[20:23], 0 offset:60 ; 4-byte Folded Reload
	s_waitcnt lgkmcnt(0)
	v_mul_f64 v[103:104], v[101:102], v[109:110]
	v_fma_f64 v[103:104], v[99:100], v[97:98], -v[103:104]
	v_mul_f64 v[99:100], v[99:100], v[109:110]
	v_fma_f64 v[99:100], v[101:102], v[97:98], v[99:100]
	s_waitcnt vmcnt(2)
	v_add_f64 v[53:54], v[53:54], -v[103:104]
	s_waitcnt vmcnt(0)
	v_add_f64 v[55:56], v[55:56], -v[99:100]
	buffer_store_dword v53, off, s[20:23], 0 offset:48 ; 4-byte Folded Spill
	s_nop 0
	buffer_store_dword v54, off, s[20:23], 0 offset:52 ; 4-byte Folded Spill
	buffer_store_dword v55, off, s[20:23], 0 offset:56 ; 4-byte Folded Spill
	buffer_store_dword v56, off, s[20:23], 0 offset:60 ; 4-byte Folded Spill
	ds_read2_b64 v[99:102], v125 offset0:88 offset1:89
	buffer_load_dword v49, off, s[20:23], 0 offset:32 ; 4-byte Folded Reload
	buffer_load_dword v50, off, s[20:23], 0 offset:36 ; 4-byte Folded Reload
	buffer_load_dword v51, off, s[20:23], 0 offset:40 ; 4-byte Folded Reload
	buffer_load_dword v52, off, s[20:23], 0 offset:44 ; 4-byte Folded Reload
	s_waitcnt lgkmcnt(0)
	v_mul_f64 v[103:104], v[101:102], v[109:110]
	v_fma_f64 v[103:104], v[99:100], v[97:98], -v[103:104]
	v_mul_f64 v[99:100], v[99:100], v[109:110]
	v_fma_f64 v[99:100], v[101:102], v[97:98], v[99:100]
	s_waitcnt vmcnt(2)
	v_add_f64 v[49:50], v[49:50], -v[103:104]
	s_waitcnt vmcnt(0)
	v_add_f64 v[51:52], v[51:52], -v[99:100]
	buffer_store_dword v49, off, s[20:23], 0 offset:32 ; 4-byte Folded Spill
	s_nop 0
	buffer_store_dword v50, off, s[20:23], 0 offset:36 ; 4-byte Folded Spill
	buffer_store_dword v51, off, s[20:23], 0 offset:40 ; 4-byte Folded Spill
	buffer_store_dword v52, off, s[20:23], 0 offset:44 ; 4-byte Folded Spill
	ds_read2_b64 v[99:102], v125 offset0:90 offset1:91
	buffer_load_dword v45, off, s[20:23], 0 offset:16 ; 4-byte Folded Reload
	buffer_load_dword v46, off, s[20:23], 0 offset:20 ; 4-byte Folded Reload
	buffer_load_dword v47, off, s[20:23], 0 offset:24 ; 4-byte Folded Reload
	buffer_load_dword v48, off, s[20:23], 0 offset:28 ; 4-byte Folded Reload
	s_waitcnt lgkmcnt(0)
	v_mul_f64 v[103:104], v[101:102], v[109:110]
	v_fma_f64 v[103:104], v[99:100], v[97:98], -v[103:104]
	v_mul_f64 v[99:100], v[99:100], v[109:110]
	v_fma_f64 v[99:100], v[101:102], v[97:98], v[99:100]
	s_waitcnt vmcnt(2)
	v_add_f64 v[45:46], v[45:46], -v[103:104]
	s_waitcnt vmcnt(0)
	v_add_f64 v[47:48], v[47:48], -v[99:100]
	buffer_store_dword v45, off, s[20:23], 0 offset:16 ; 4-byte Folded Spill
	s_nop 0
	buffer_store_dword v46, off, s[20:23], 0 offset:20 ; 4-byte Folded Spill
	buffer_store_dword v47, off, s[20:23], 0 offset:24 ; 4-byte Folded Spill
	buffer_store_dword v48, off, s[20:23], 0 offset:28 ; 4-byte Folded Spill
	ds_read2_b64 v[99:102], v125 offset0:92 offset1:93
	buffer_load_dword v41, off, s[20:23], 0 ; 4-byte Folded Reload
	buffer_load_dword v42, off, s[20:23], 0 offset:4 ; 4-byte Folded Reload
	buffer_load_dword v43, off, s[20:23], 0 offset:8 ; 4-byte Folded Reload
	;; [unrolled: 1-line block ×3, first 2 shown]
	s_waitcnt lgkmcnt(0)
	v_mul_f64 v[103:104], v[101:102], v[109:110]
	v_fma_f64 v[103:104], v[99:100], v[97:98], -v[103:104]
	v_mul_f64 v[99:100], v[99:100], v[109:110]
	v_fma_f64 v[99:100], v[101:102], v[97:98], v[99:100]
	s_waitcnt vmcnt(2)
	v_add_f64 v[41:42], v[41:42], -v[103:104]
	s_waitcnt vmcnt(0)
	v_add_f64 v[43:44], v[43:44], -v[99:100]
	buffer_store_dword v41, off, s[20:23], 0 ; 4-byte Folded Spill
	s_nop 0
	buffer_store_dword v42, off, s[20:23], 0 offset:4 ; 4-byte Folded Spill
	buffer_store_dword v43, off, s[20:23], 0 offset:8 ; 4-byte Folded Spill
	;; [unrolled: 1-line block ×3, first 2 shown]
	ds_read2_b64 v[99:102], v125 offset0:94 offset1:95
	s_waitcnt lgkmcnt(0)
	v_mul_f64 v[103:104], v[101:102], v[109:110]
	v_fma_f64 v[103:104], v[99:100], v[97:98], -v[103:104]
	v_mul_f64 v[99:100], v[99:100], v[109:110]
	v_add_f64 v[37:38], v[37:38], -v[103:104]
	v_fma_f64 v[99:100], v[101:102], v[97:98], v[99:100]
	v_add_f64 v[39:40], v[39:40], -v[99:100]
	ds_read2_b64 v[99:102], v125 offset0:96 offset1:97
	s_waitcnt lgkmcnt(0)
	v_mul_f64 v[103:104], v[101:102], v[109:110]
	v_fma_f64 v[103:104], v[99:100], v[97:98], -v[103:104]
	v_mul_f64 v[99:100], v[99:100], v[109:110]
	v_add_f64 v[33:34], v[33:34], -v[103:104]
	v_fma_f64 v[99:100], v[101:102], v[97:98], v[99:100]
	v_add_f64 v[35:36], v[35:36], -v[99:100]
	ds_read2_b64 v[99:102], v125 offset0:98 offset1:99
	s_waitcnt lgkmcnt(0)
	v_mul_f64 v[103:104], v[101:102], v[109:110]
	v_fma_f64 v[103:104], v[99:100], v[97:98], -v[103:104]
	v_mul_f64 v[99:100], v[99:100], v[109:110]
	v_add_f64 v[29:30], v[29:30], -v[103:104]
	v_fma_f64 v[99:100], v[101:102], v[97:98], v[99:100]
	v_add_f64 v[31:32], v[31:32], -v[99:100]
	ds_read2_b64 v[99:102], v125 offset0:100 offset1:101
	s_waitcnt lgkmcnt(0)
	v_mul_f64 v[103:104], v[101:102], v[109:110]
	v_fma_f64 v[103:104], v[99:100], v[97:98], -v[103:104]
	v_mul_f64 v[99:100], v[99:100], v[109:110]
	v_add_f64 v[25:26], v[25:26], -v[103:104]
	v_fma_f64 v[99:100], v[101:102], v[97:98], v[99:100]
	v_add_f64 v[27:28], v[27:28], -v[99:100]
	ds_read2_b64 v[99:102], v125 offset0:102 offset1:103
	s_waitcnt lgkmcnt(0)
	v_mul_f64 v[103:104], v[101:102], v[109:110]
	v_fma_f64 v[103:104], v[99:100], v[97:98], -v[103:104]
	v_mul_f64 v[99:100], v[99:100], v[109:110]
	v_add_f64 v[21:22], v[21:22], -v[103:104]
	v_fma_f64 v[99:100], v[101:102], v[97:98], v[99:100]
	v_add_f64 v[23:24], v[23:24], -v[99:100]
	ds_read2_b64 v[99:102], v125 offset0:104 offset1:105
	s_waitcnt lgkmcnt(0)
	v_mul_f64 v[103:104], v[101:102], v[109:110]
	v_fma_f64 v[103:104], v[99:100], v[97:98], -v[103:104]
	v_mul_f64 v[99:100], v[99:100], v[109:110]
	v_add_f64 v[17:18], v[17:18], -v[103:104]
	v_fma_f64 v[99:100], v[101:102], v[97:98], v[99:100]
	v_add_f64 v[19:20], v[19:20], -v[99:100]
	ds_read2_b64 v[99:102], v125 offset0:106 offset1:107
	s_waitcnt lgkmcnt(0)
	v_mul_f64 v[103:104], v[101:102], v[109:110]
	v_fma_f64 v[103:104], v[99:100], v[97:98], -v[103:104]
	v_mul_f64 v[99:100], v[99:100], v[109:110]
	v_add_f64 v[13:14], v[13:14], -v[103:104]
	v_fma_f64 v[99:100], v[101:102], v[97:98], v[99:100]
	v_add_f64 v[15:16], v[15:16], -v[99:100]
	ds_read2_b64 v[99:102], v125 offset0:108 offset1:109
	s_waitcnt lgkmcnt(0)
	v_mul_f64 v[103:104], v[101:102], v[109:110]
	v_fma_f64 v[103:104], v[99:100], v[97:98], -v[103:104]
	v_mul_f64 v[99:100], v[99:100], v[109:110]
	v_add_f64 v[9:10], v[9:10], -v[103:104]
	v_fma_f64 v[99:100], v[101:102], v[97:98], v[99:100]
	v_add_f64 v[11:12], v[11:12], -v[99:100]
	ds_read2_b64 v[99:102], v125 offset0:110 offset1:111
	s_waitcnt lgkmcnt(0)
	v_mul_f64 v[103:104], v[101:102], v[109:110]
	v_fma_f64 v[103:104], v[99:100], v[97:98], -v[103:104]
	v_mul_f64 v[99:100], v[99:100], v[109:110]
	v_add_f64 v[5:6], v[5:6], -v[103:104]
	v_fma_f64 v[99:100], v[101:102], v[97:98], v[99:100]
	v_add_f64 v[7:8], v[7:8], -v[99:100]
	ds_read2_b64 v[99:102], v125 offset0:112 offset1:113
	s_waitcnt lgkmcnt(0)
	v_mul_f64 v[103:104], v[101:102], v[109:110]
	v_fma_f64 v[103:104], v[99:100], v[97:98], -v[103:104]
	v_mul_f64 v[99:100], v[99:100], v[109:110]
	v_add_f64 v[1:2], v[1:2], -v[103:104]
	v_fma_f64 v[99:100], v[101:102], v[97:98], v[99:100]
	v_add_f64 v[3:4], v[3:4], -v[99:100]
	ds_read2_b64 v[99:102], v125 offset0:114 offset1:115
	s_waitcnt lgkmcnt(0)
	v_mul_f64 v[103:104], v[101:102], v[109:110]
	v_fma_f64 v[103:104], v[99:100], v[97:98], -v[103:104]
	v_mul_f64 v[99:100], v[99:100], v[109:110]
	buffer_store_dword v107, off, s[20:23], 0 offset:240 ; 4-byte Folded Spill
	s_nop 0
	buffer_store_dword v108, off, s[20:23], 0 offset:244 ; 4-byte Folded Spill
	buffer_store_dword v109, off, s[20:23], 0 offset:248 ; 4-byte Folded Spill
	;; [unrolled: 1-line block ×3, first 2 shown]
	v_add_f64 v[121:122], v[121:122], -v[103:104]
	v_fma_f64 v[99:100], v[101:102], v[97:98], v[99:100]
	v_add_f64 v[123:124], v[123:124], -v[99:100]
.LBB115_280:
	s_or_b64 exec, exec, s[2:3]
	v_cmp_eq_u32_e32 vcc, 31, v0
	s_waitcnt vmcnt(0)
	s_barrier
	s_and_saveexec_b64 s[4:5], vcc
	s_cbranch_execz .LBB115_287
; %bb.281:
	buffer_load_dword v95, off, s[20:23], 0 offset:224 ; 4-byte Folded Reload
	buffer_load_dword v96, off, s[20:23], 0 offset:228 ; 4-byte Folded Reload
	buffer_load_dword v97, off, s[20:23], 0 offset:232 ; 4-byte Folded Reload
	buffer_load_dword v98, off, s[20:23], 0 offset:236 ; 4-byte Folded Reload
	s_waitcnt vmcnt(0)
	ds_write2_b64 v127, v[95:96], v[97:98] offset1:1
	buffer_load_dword v95, off, s[20:23], 0 offset:208 ; 4-byte Folded Reload
	buffer_load_dword v96, off, s[20:23], 0 offset:212 ; 4-byte Folded Reload
	buffer_load_dword v97, off, s[20:23], 0 offset:216 ; 4-byte Folded Reload
	buffer_load_dword v98, off, s[20:23], 0 offset:220 ; 4-byte Folded Reload
	s_waitcnt vmcnt(0)
	ds_write2_b64 v125, v[95:96], v[97:98] offset0:64 offset1:65
	buffer_load_dword v95, off, s[20:23], 0 offset:192 ; 4-byte Folded Reload
	buffer_load_dword v96, off, s[20:23], 0 offset:196 ; 4-byte Folded Reload
	buffer_load_dword v97, off, s[20:23], 0 offset:200 ; 4-byte Folded Reload
	buffer_load_dword v98, off, s[20:23], 0 offset:204 ; 4-byte Folded Reload
	s_waitcnt vmcnt(0)
	ds_write2_b64 v125, v[95:96], v[97:98] offset0:66 offset1:67
	buffer_load_dword v95, off, s[20:23], 0 offset:176 ; 4-byte Folded Reload
	buffer_load_dword v96, off, s[20:23], 0 offset:180 ; 4-byte Folded Reload
	buffer_load_dword v97, off, s[20:23], 0 offset:184 ; 4-byte Folded Reload
	buffer_load_dword v98, off, s[20:23], 0 offset:188 ; 4-byte Folded Reload
	s_waitcnt vmcnt(0)
	ds_write2_b64 v125, v[95:96], v[97:98] offset0:68 offset1:69
	ds_write2_b64 v125, v[91:92], v[93:94] offset0:70 offset1:71
	buffer_load_dword v77, off, s[20:23], 0 offset:160 ; 4-byte Folded Reload
	buffer_load_dword v78, off, s[20:23], 0 offset:164 ; 4-byte Folded Reload
	buffer_load_dword v79, off, s[20:23], 0 offset:168 ; 4-byte Folded Reload
	buffer_load_dword v80, off, s[20:23], 0 offset:172 ; 4-byte Folded Reload
	s_waitcnt vmcnt(0)
	ds_write2_b64 v125, v[77:78], v[79:80] offset0:72 offset1:73
	buffer_load_dword v77, off, s[20:23], 0 offset:144 ; 4-byte Folded Reload
	buffer_load_dword v78, off, s[20:23], 0 offset:148 ; 4-byte Folded Reload
	buffer_load_dword v79, off, s[20:23], 0 offset:152 ; 4-byte Folded Reload
	buffer_load_dword v80, off, s[20:23], 0 offset:156 ; 4-byte Folded Reload
	s_waitcnt vmcnt(0)
	;; [unrolled: 6-line block ×10, first 2 shown]
	ds_write2_b64 v125, v[45:46], v[47:48] offset0:90 offset1:91
	buffer_load_dword v41, off, s[20:23], 0 ; 4-byte Folded Reload
	buffer_load_dword v42, off, s[20:23], 0 offset:4 ; 4-byte Folded Reload
	buffer_load_dword v43, off, s[20:23], 0 offset:8 ; 4-byte Folded Reload
	;; [unrolled: 1-line block ×3, first 2 shown]
	s_waitcnt vmcnt(0)
	ds_write2_b64 v125, v[41:42], v[43:44] offset0:92 offset1:93
	ds_write2_b64 v125, v[37:38], v[39:40] offset0:94 offset1:95
	;; [unrolled: 1-line block ×12, first 2 shown]
	ds_read2_b64 v[97:100], v127 offset1:1
	s_waitcnt lgkmcnt(0)
	v_cmp_neq_f64_e32 vcc, 0, v[97:98]
	v_cmp_neq_f64_e64 s[2:3], 0, v[99:100]
	s_or_b64 s[2:3], vcc, s[2:3]
	s_and_b64 exec, exec, s[2:3]
	s_cbranch_execz .LBB115_287
; %bb.282:
	v_cmp_ngt_f64_e64 s[2:3], |v[97:98]|, |v[99:100]|
                                        ; implicit-def: $vgpr101_vgpr102
	s_and_saveexec_b64 s[6:7], s[2:3]
	s_xor_b64 s[2:3], exec, s[6:7]
                                        ; implicit-def: $vgpr103_vgpr104
	s_cbranch_execz .LBB115_284
; %bb.283:
	v_div_scale_f64 v[101:102], s[6:7], v[99:100], v[99:100], v[97:98]
	v_rcp_f64_e32 v[103:104], v[101:102]
	v_fma_f64 v[105:106], -v[101:102], v[103:104], 1.0
	v_fma_f64 v[103:104], v[103:104], v[105:106], v[103:104]
	v_div_scale_f64 v[105:106], vcc, v[97:98], v[99:100], v[97:98]
	v_fma_f64 v[107:108], -v[101:102], v[103:104], 1.0
	v_fma_f64 v[103:104], v[103:104], v[107:108], v[103:104]
	v_mul_f64 v[107:108], v[105:106], v[103:104]
	v_fma_f64 v[101:102], -v[101:102], v[107:108], v[105:106]
	v_div_fmas_f64 v[101:102], v[101:102], v[103:104], v[107:108]
	v_div_fixup_f64 v[101:102], v[101:102], v[99:100], v[97:98]
	v_fma_f64 v[97:98], v[97:98], v[101:102], v[99:100]
	v_div_scale_f64 v[99:100], s[6:7], v[97:98], v[97:98], 1.0
	v_div_scale_f64 v[107:108], vcc, 1.0, v[97:98], 1.0
	v_rcp_f64_e32 v[103:104], v[99:100]
	v_fma_f64 v[105:106], -v[99:100], v[103:104], 1.0
	v_fma_f64 v[103:104], v[103:104], v[105:106], v[103:104]
	v_fma_f64 v[105:106], -v[99:100], v[103:104], 1.0
	v_fma_f64 v[103:104], v[103:104], v[105:106], v[103:104]
	v_mul_f64 v[105:106], v[107:108], v[103:104]
	v_fma_f64 v[99:100], -v[99:100], v[105:106], v[107:108]
	v_div_fmas_f64 v[99:100], v[99:100], v[103:104], v[105:106]
	v_div_fixup_f64 v[103:104], v[99:100], v[97:98], 1.0
                                        ; implicit-def: $vgpr97_vgpr98
	v_mul_f64 v[101:102], v[101:102], v[103:104]
	v_xor_b32_e32 v104, 0x80000000, v104
.LBB115_284:
	s_andn2_saveexec_b64 s[2:3], s[2:3]
	s_cbranch_execz .LBB115_286
; %bb.285:
	v_div_scale_f64 v[101:102], s[6:7], v[97:98], v[97:98], v[99:100]
	v_rcp_f64_e32 v[103:104], v[101:102]
	v_fma_f64 v[105:106], -v[101:102], v[103:104], 1.0
	v_fma_f64 v[103:104], v[103:104], v[105:106], v[103:104]
	v_div_scale_f64 v[105:106], vcc, v[99:100], v[97:98], v[99:100]
	v_fma_f64 v[107:108], -v[101:102], v[103:104], 1.0
	v_fma_f64 v[103:104], v[103:104], v[107:108], v[103:104]
	v_mul_f64 v[107:108], v[105:106], v[103:104]
	v_fma_f64 v[101:102], -v[101:102], v[107:108], v[105:106]
	v_div_fmas_f64 v[101:102], v[101:102], v[103:104], v[107:108]
	v_div_fixup_f64 v[103:104], v[101:102], v[97:98], v[99:100]
	v_fma_f64 v[97:98], v[99:100], v[103:104], v[97:98]
	v_div_scale_f64 v[99:100], s[6:7], v[97:98], v[97:98], 1.0
	v_div_scale_f64 v[107:108], vcc, 1.0, v[97:98], 1.0
	v_rcp_f64_e32 v[101:102], v[99:100]
	v_fma_f64 v[105:106], -v[99:100], v[101:102], 1.0
	v_fma_f64 v[101:102], v[101:102], v[105:106], v[101:102]
	v_fma_f64 v[105:106], -v[99:100], v[101:102], 1.0
	v_fma_f64 v[101:102], v[101:102], v[105:106], v[101:102]
	v_mul_f64 v[105:106], v[107:108], v[101:102]
	v_fma_f64 v[99:100], -v[99:100], v[105:106], v[107:108]
	v_div_fmas_f64 v[99:100], v[99:100], v[101:102], v[105:106]
	v_div_fixup_f64 v[101:102], v[99:100], v[97:98], 1.0
	v_mul_f64 v[103:104], v[103:104], -v[101:102]
.LBB115_286:
	s_or_b64 exec, exec, s[2:3]
	ds_write2_b64 v127, v[101:102], v[103:104] offset1:1
.LBB115_287:
	s_or_b64 exec, exec, s[4:5]
	s_waitcnt lgkmcnt(0)
	s_barrier
	ds_read2_b64 v[87:90], v127 offset1:1
	v_cmp_lt_u32_e32 vcc, 31, v0
	s_waitcnt lgkmcnt(0)
	buffer_store_dword v87, off, s[20:23], 0 offset:1688 ; 4-byte Folded Spill
	s_nop 0
	buffer_store_dword v88, off, s[20:23], 0 offset:1692 ; 4-byte Folded Spill
	buffer_store_dword v89, off, s[20:23], 0 offset:1696 ; 4-byte Folded Spill
	;; [unrolled: 1-line block ×3, first 2 shown]
	s_and_saveexec_b64 s[2:3], vcc
	s_cbranch_execz .LBB115_289
; %bb.288:
	buffer_load_dword v107, off, s[20:23], 0 offset:224 ; 4-byte Folded Reload
	buffer_load_dword v108, off, s[20:23], 0 offset:228 ; 4-byte Folded Reload
	;; [unrolled: 1-line block ×8, first 2 shown]
	s_waitcnt vmcnt(2)
	v_mul_f64 v[99:100], v[87:88], v[109:110]
	s_waitcnt vmcnt(0)
	v_mul_f64 v[97:98], v[89:90], v[109:110]
	v_fma_f64 v[109:110], v[89:90], v[107:108], v[99:100]
	ds_read2_b64 v[99:102], v125 offset0:64 offset1:65
	v_fma_f64 v[97:98], v[87:88], v[107:108], -v[97:98]
	buffer_load_dword v105, off, s[20:23], 0 offset:208 ; 4-byte Folded Reload
	buffer_load_dword v106, off, s[20:23], 0 offset:212 ; 4-byte Folded Reload
	buffer_load_dword v107, off, s[20:23], 0 offset:216 ; 4-byte Folded Reload
	buffer_load_dword v108, off, s[20:23], 0 offset:220 ; 4-byte Folded Reload
	s_waitcnt lgkmcnt(0)
	v_mul_f64 v[103:104], v[101:102], v[109:110]
	v_fma_f64 v[103:104], v[99:100], v[97:98], -v[103:104]
	v_mul_f64 v[99:100], v[99:100], v[109:110]
	v_fma_f64 v[99:100], v[101:102], v[97:98], v[99:100]
	s_waitcnt vmcnt(2)
	v_add_f64 v[105:106], v[105:106], -v[103:104]
	s_waitcnt vmcnt(0)
	v_add_f64 v[107:108], v[107:108], -v[99:100]
	buffer_store_dword v105, off, s[20:23], 0 offset:208 ; 4-byte Folded Spill
	s_nop 0
	buffer_store_dword v106, off, s[20:23], 0 offset:212 ; 4-byte Folded Spill
	buffer_store_dword v107, off, s[20:23], 0 offset:216 ; 4-byte Folded Spill
	buffer_store_dword v108, off, s[20:23], 0 offset:220 ; 4-byte Folded Spill
	ds_read2_b64 v[99:102], v125 offset0:66 offset1:67
	buffer_load_dword v105, off, s[20:23], 0 offset:192 ; 4-byte Folded Reload
	buffer_load_dword v106, off, s[20:23], 0 offset:196 ; 4-byte Folded Reload
	buffer_load_dword v107, off, s[20:23], 0 offset:200 ; 4-byte Folded Reload
	buffer_load_dword v108, off, s[20:23], 0 offset:204 ; 4-byte Folded Reload
	s_waitcnt lgkmcnt(0)
	v_mul_f64 v[103:104], v[101:102], v[109:110]
	v_fma_f64 v[103:104], v[99:100], v[97:98], -v[103:104]
	v_mul_f64 v[99:100], v[99:100], v[109:110]
	v_fma_f64 v[99:100], v[101:102], v[97:98], v[99:100]
	s_waitcnt vmcnt(2)
	v_add_f64 v[105:106], v[105:106], -v[103:104]
	s_waitcnt vmcnt(0)
	v_add_f64 v[107:108], v[107:108], -v[99:100]
	buffer_store_dword v105, off, s[20:23], 0 offset:192 ; 4-byte Folded Spill
	s_nop 0
	buffer_store_dword v106, off, s[20:23], 0 offset:196 ; 4-byte Folded Spill
	buffer_store_dword v107, off, s[20:23], 0 offset:200 ; 4-byte Folded Spill
	buffer_store_dword v108, off, s[20:23], 0 offset:204 ; 4-byte Folded Spill
	ds_read2_b64 v[99:102], v125 offset0:68 offset1:69
	;; [unrolled: 19-line block ×3, first 2 shown]
	v_mov_b32_e32 v108, v98
	v_mov_b32_e32 v107, v97
	s_waitcnt lgkmcnt(0)
	v_mul_f64 v[103:104], v[101:102], v[109:110]
	v_fma_f64 v[103:104], v[99:100], v[97:98], -v[103:104]
	v_mul_f64 v[99:100], v[99:100], v[109:110]
	v_add_f64 v[91:92], v[91:92], -v[103:104]
	v_fma_f64 v[99:100], v[101:102], v[97:98], v[99:100]
	v_add_f64 v[93:94], v[93:94], -v[99:100]
	ds_read2_b64 v[99:102], v125 offset0:72 offset1:73
	buffer_load_dword v77, off, s[20:23], 0 offset:160 ; 4-byte Folded Reload
	buffer_load_dword v78, off, s[20:23], 0 offset:164 ; 4-byte Folded Reload
	buffer_load_dword v79, off, s[20:23], 0 offset:168 ; 4-byte Folded Reload
	buffer_load_dword v80, off, s[20:23], 0 offset:172 ; 4-byte Folded Reload
	s_waitcnt lgkmcnt(0)
	v_mul_f64 v[103:104], v[101:102], v[109:110]
	v_fma_f64 v[103:104], v[99:100], v[97:98], -v[103:104]
	v_mul_f64 v[99:100], v[99:100], v[109:110]
	v_fma_f64 v[99:100], v[101:102], v[97:98], v[99:100]
	s_waitcnt vmcnt(2)
	v_add_f64 v[77:78], v[77:78], -v[103:104]
	s_waitcnt vmcnt(0)
	v_add_f64 v[79:80], v[79:80], -v[99:100]
	buffer_store_dword v77, off, s[20:23], 0 offset:160 ; 4-byte Folded Spill
	s_nop 0
	buffer_store_dword v78, off, s[20:23], 0 offset:164 ; 4-byte Folded Spill
	buffer_store_dword v79, off, s[20:23], 0 offset:168 ; 4-byte Folded Spill
	buffer_store_dword v80, off, s[20:23], 0 offset:172 ; 4-byte Folded Spill
	ds_read2_b64 v[99:102], v125 offset0:74 offset1:75
	buffer_load_dword v77, off, s[20:23], 0 offset:144 ; 4-byte Folded Reload
	buffer_load_dword v78, off, s[20:23], 0 offset:148 ; 4-byte Folded Reload
	buffer_load_dword v79, off, s[20:23], 0 offset:152 ; 4-byte Folded Reload
	buffer_load_dword v80, off, s[20:23], 0 offset:156 ; 4-byte Folded Reload
	s_waitcnt lgkmcnt(0)
	v_mul_f64 v[103:104], v[101:102], v[109:110]
	v_fma_f64 v[103:104], v[99:100], v[97:98], -v[103:104]
	v_mul_f64 v[99:100], v[99:100], v[109:110]
	v_fma_f64 v[99:100], v[101:102], v[97:98], v[99:100]
	s_waitcnt vmcnt(2)
	v_add_f64 v[77:78], v[77:78], -v[103:104]
	s_waitcnt vmcnt(0)
	v_add_f64 v[79:80], v[79:80], -v[99:100]
	buffer_store_dword v77, off, s[20:23], 0 offset:144 ; 4-byte Folded Spill
	s_nop 0
	buffer_store_dword v78, off, s[20:23], 0 offset:148 ; 4-byte Folded Spill
	buffer_store_dword v79, off, s[20:23], 0 offset:152 ; 4-byte Folded Spill
	buffer_store_dword v80, off, s[20:23], 0 offset:156 ; 4-byte Folded Spill
	;; [unrolled: 19-line block ×10, first 2 shown]
	ds_read2_b64 v[99:102], v125 offset0:92 offset1:93
	buffer_load_dword v41, off, s[20:23], 0 ; 4-byte Folded Reload
	buffer_load_dword v42, off, s[20:23], 0 offset:4 ; 4-byte Folded Reload
	buffer_load_dword v43, off, s[20:23], 0 offset:8 ; 4-byte Folded Reload
	;; [unrolled: 1-line block ×3, first 2 shown]
	s_waitcnt lgkmcnt(0)
	v_mul_f64 v[103:104], v[101:102], v[109:110]
	v_fma_f64 v[103:104], v[99:100], v[97:98], -v[103:104]
	v_mul_f64 v[99:100], v[99:100], v[109:110]
	v_fma_f64 v[99:100], v[101:102], v[97:98], v[99:100]
	s_waitcnt vmcnt(2)
	v_add_f64 v[41:42], v[41:42], -v[103:104]
	s_waitcnt vmcnt(0)
	v_add_f64 v[43:44], v[43:44], -v[99:100]
	buffer_store_dword v41, off, s[20:23], 0 ; 4-byte Folded Spill
	s_nop 0
	buffer_store_dword v42, off, s[20:23], 0 offset:4 ; 4-byte Folded Spill
	buffer_store_dword v43, off, s[20:23], 0 offset:8 ; 4-byte Folded Spill
	;; [unrolled: 1-line block ×3, first 2 shown]
	ds_read2_b64 v[99:102], v125 offset0:94 offset1:95
	s_waitcnt lgkmcnt(0)
	v_mul_f64 v[103:104], v[101:102], v[109:110]
	v_fma_f64 v[103:104], v[99:100], v[97:98], -v[103:104]
	v_mul_f64 v[99:100], v[99:100], v[109:110]
	v_add_f64 v[37:38], v[37:38], -v[103:104]
	v_fma_f64 v[99:100], v[101:102], v[97:98], v[99:100]
	v_add_f64 v[39:40], v[39:40], -v[99:100]
	ds_read2_b64 v[99:102], v125 offset0:96 offset1:97
	s_waitcnt lgkmcnt(0)
	v_mul_f64 v[103:104], v[101:102], v[109:110]
	v_fma_f64 v[103:104], v[99:100], v[97:98], -v[103:104]
	v_mul_f64 v[99:100], v[99:100], v[109:110]
	v_add_f64 v[33:34], v[33:34], -v[103:104]
	v_fma_f64 v[99:100], v[101:102], v[97:98], v[99:100]
	v_add_f64 v[35:36], v[35:36], -v[99:100]
	;; [unrolled: 8-line block ×10, first 2 shown]
	ds_read2_b64 v[99:102], v125 offset0:114 offset1:115
	s_waitcnt lgkmcnt(0)
	v_mul_f64 v[103:104], v[101:102], v[109:110]
	v_fma_f64 v[103:104], v[99:100], v[97:98], -v[103:104]
	v_mul_f64 v[99:100], v[99:100], v[109:110]
	buffer_store_dword v107, off, s[20:23], 0 offset:224 ; 4-byte Folded Spill
	s_nop 0
	buffer_store_dword v108, off, s[20:23], 0 offset:228 ; 4-byte Folded Spill
	buffer_store_dword v109, off, s[20:23], 0 offset:232 ; 4-byte Folded Spill
	;; [unrolled: 1-line block ×3, first 2 shown]
	v_add_f64 v[121:122], v[121:122], -v[103:104]
	v_fma_f64 v[99:100], v[101:102], v[97:98], v[99:100]
	v_add_f64 v[123:124], v[123:124], -v[99:100]
.LBB115_289:
	s_or_b64 exec, exec, s[2:3]
	v_cmp_eq_u32_e32 vcc, 32, v0
	s_waitcnt vmcnt(0)
	s_barrier
	s_and_saveexec_b64 s[4:5], vcc
	s_cbranch_execz .LBB115_296
; %bb.290:
	buffer_load_dword v95, off, s[20:23], 0 offset:208 ; 4-byte Folded Reload
	buffer_load_dword v96, off, s[20:23], 0 offset:212 ; 4-byte Folded Reload
	buffer_load_dword v97, off, s[20:23], 0 offset:216 ; 4-byte Folded Reload
	buffer_load_dword v98, off, s[20:23], 0 offset:220 ; 4-byte Folded Reload
	s_waitcnt vmcnt(0)
	ds_write2_b64 v127, v[95:96], v[97:98] offset1:1
	buffer_load_dword v95, off, s[20:23], 0 offset:192 ; 4-byte Folded Reload
	buffer_load_dword v96, off, s[20:23], 0 offset:196 ; 4-byte Folded Reload
	buffer_load_dword v97, off, s[20:23], 0 offset:200 ; 4-byte Folded Reload
	buffer_load_dword v98, off, s[20:23], 0 offset:204 ; 4-byte Folded Reload
	s_waitcnt vmcnt(0)
	ds_write2_b64 v125, v[95:96], v[97:98] offset0:66 offset1:67
	buffer_load_dword v95, off, s[20:23], 0 offset:176 ; 4-byte Folded Reload
	buffer_load_dword v96, off, s[20:23], 0 offset:180 ; 4-byte Folded Reload
	;; [unrolled: 1-line block ×4, first 2 shown]
	s_waitcnt vmcnt(0)
	ds_write2_b64 v125, v[95:96], v[97:98] offset0:68 offset1:69
	ds_write2_b64 v125, v[91:92], v[93:94] offset0:70 offset1:71
	buffer_load_dword v77, off, s[20:23], 0 offset:160 ; 4-byte Folded Reload
	buffer_load_dword v78, off, s[20:23], 0 offset:164 ; 4-byte Folded Reload
	buffer_load_dword v79, off, s[20:23], 0 offset:168 ; 4-byte Folded Reload
	buffer_load_dword v80, off, s[20:23], 0 offset:172 ; 4-byte Folded Reload
	s_waitcnt vmcnt(0)
	ds_write2_b64 v125, v[77:78], v[79:80] offset0:72 offset1:73
	buffer_load_dword v77, off, s[20:23], 0 offset:144 ; 4-byte Folded Reload
	buffer_load_dword v78, off, s[20:23], 0 offset:148 ; 4-byte Folded Reload
	buffer_load_dword v79, off, s[20:23], 0 offset:152 ; 4-byte Folded Reload
	buffer_load_dword v80, off, s[20:23], 0 offset:156 ; 4-byte Folded Reload
	s_waitcnt vmcnt(0)
	;; [unrolled: 6-line block ×10, first 2 shown]
	ds_write2_b64 v125, v[45:46], v[47:48] offset0:90 offset1:91
	buffer_load_dword v41, off, s[20:23], 0 ; 4-byte Folded Reload
	buffer_load_dword v42, off, s[20:23], 0 offset:4 ; 4-byte Folded Reload
	buffer_load_dword v43, off, s[20:23], 0 offset:8 ; 4-byte Folded Reload
	;; [unrolled: 1-line block ×3, first 2 shown]
	s_waitcnt vmcnt(0)
	ds_write2_b64 v125, v[41:42], v[43:44] offset0:92 offset1:93
	ds_write2_b64 v125, v[37:38], v[39:40] offset0:94 offset1:95
	ds_write2_b64 v125, v[33:34], v[35:36] offset0:96 offset1:97
	ds_write2_b64 v125, v[29:30], v[31:32] offset0:98 offset1:99
	ds_write2_b64 v125, v[25:26], v[27:28] offset0:100 offset1:101
	ds_write2_b64 v125, v[21:22], v[23:24] offset0:102 offset1:103
	ds_write2_b64 v125, v[17:18], v[19:20] offset0:104 offset1:105
	ds_write2_b64 v125, v[13:14], v[15:16] offset0:106 offset1:107
	ds_write2_b64 v125, v[9:10], v[11:12] offset0:108 offset1:109
	ds_write2_b64 v125, v[5:6], v[7:8] offset0:110 offset1:111
	ds_write2_b64 v125, v[1:2], v[3:4] offset0:112 offset1:113
	ds_write2_b64 v125, v[121:122], v[123:124] offset0:114 offset1:115
	ds_read2_b64 v[97:100], v127 offset1:1
	s_waitcnt lgkmcnt(0)
	v_cmp_neq_f64_e32 vcc, 0, v[97:98]
	v_cmp_neq_f64_e64 s[2:3], 0, v[99:100]
	s_or_b64 s[2:3], vcc, s[2:3]
	s_and_b64 exec, exec, s[2:3]
	s_cbranch_execz .LBB115_296
; %bb.291:
	v_cmp_ngt_f64_e64 s[2:3], |v[97:98]|, |v[99:100]|
                                        ; implicit-def: $vgpr101_vgpr102
	s_and_saveexec_b64 s[6:7], s[2:3]
	s_xor_b64 s[2:3], exec, s[6:7]
                                        ; implicit-def: $vgpr103_vgpr104
	s_cbranch_execz .LBB115_293
; %bb.292:
	v_div_scale_f64 v[101:102], s[6:7], v[99:100], v[99:100], v[97:98]
	v_rcp_f64_e32 v[103:104], v[101:102]
	v_fma_f64 v[105:106], -v[101:102], v[103:104], 1.0
	v_fma_f64 v[103:104], v[103:104], v[105:106], v[103:104]
	v_div_scale_f64 v[105:106], vcc, v[97:98], v[99:100], v[97:98]
	v_fma_f64 v[107:108], -v[101:102], v[103:104], 1.0
	v_fma_f64 v[103:104], v[103:104], v[107:108], v[103:104]
	v_mul_f64 v[107:108], v[105:106], v[103:104]
	v_fma_f64 v[101:102], -v[101:102], v[107:108], v[105:106]
	v_div_fmas_f64 v[101:102], v[101:102], v[103:104], v[107:108]
	v_div_fixup_f64 v[101:102], v[101:102], v[99:100], v[97:98]
	v_fma_f64 v[97:98], v[97:98], v[101:102], v[99:100]
	v_div_scale_f64 v[99:100], s[6:7], v[97:98], v[97:98], 1.0
	v_div_scale_f64 v[107:108], vcc, 1.0, v[97:98], 1.0
	v_rcp_f64_e32 v[103:104], v[99:100]
	v_fma_f64 v[105:106], -v[99:100], v[103:104], 1.0
	v_fma_f64 v[103:104], v[103:104], v[105:106], v[103:104]
	v_fma_f64 v[105:106], -v[99:100], v[103:104], 1.0
	v_fma_f64 v[103:104], v[103:104], v[105:106], v[103:104]
	v_mul_f64 v[105:106], v[107:108], v[103:104]
	v_fma_f64 v[99:100], -v[99:100], v[105:106], v[107:108]
	v_div_fmas_f64 v[99:100], v[99:100], v[103:104], v[105:106]
	v_div_fixup_f64 v[103:104], v[99:100], v[97:98], 1.0
                                        ; implicit-def: $vgpr97_vgpr98
	v_mul_f64 v[101:102], v[101:102], v[103:104]
	v_xor_b32_e32 v104, 0x80000000, v104
.LBB115_293:
	s_andn2_saveexec_b64 s[2:3], s[2:3]
	s_cbranch_execz .LBB115_295
; %bb.294:
	v_div_scale_f64 v[101:102], s[6:7], v[97:98], v[97:98], v[99:100]
	v_rcp_f64_e32 v[103:104], v[101:102]
	v_fma_f64 v[105:106], -v[101:102], v[103:104], 1.0
	v_fma_f64 v[103:104], v[103:104], v[105:106], v[103:104]
	v_div_scale_f64 v[105:106], vcc, v[99:100], v[97:98], v[99:100]
	v_fma_f64 v[107:108], -v[101:102], v[103:104], 1.0
	v_fma_f64 v[103:104], v[103:104], v[107:108], v[103:104]
	v_mul_f64 v[107:108], v[105:106], v[103:104]
	v_fma_f64 v[101:102], -v[101:102], v[107:108], v[105:106]
	v_div_fmas_f64 v[101:102], v[101:102], v[103:104], v[107:108]
	v_div_fixup_f64 v[103:104], v[101:102], v[97:98], v[99:100]
	v_fma_f64 v[97:98], v[99:100], v[103:104], v[97:98]
	v_div_scale_f64 v[99:100], s[6:7], v[97:98], v[97:98], 1.0
	v_div_scale_f64 v[107:108], vcc, 1.0, v[97:98], 1.0
	v_rcp_f64_e32 v[101:102], v[99:100]
	v_fma_f64 v[105:106], -v[99:100], v[101:102], 1.0
	v_fma_f64 v[101:102], v[101:102], v[105:106], v[101:102]
	v_fma_f64 v[105:106], -v[99:100], v[101:102], 1.0
	v_fma_f64 v[101:102], v[101:102], v[105:106], v[101:102]
	v_mul_f64 v[105:106], v[107:108], v[101:102]
	v_fma_f64 v[99:100], -v[99:100], v[105:106], v[107:108]
	v_div_fmas_f64 v[99:100], v[99:100], v[101:102], v[105:106]
	v_div_fixup_f64 v[101:102], v[99:100], v[97:98], 1.0
	v_mul_f64 v[103:104], v[103:104], -v[101:102]
.LBB115_295:
	s_or_b64 exec, exec, s[2:3]
	ds_write2_b64 v127, v[101:102], v[103:104] offset1:1
.LBB115_296:
	s_or_b64 exec, exec, s[4:5]
	s_waitcnt lgkmcnt(0)
	s_barrier
	ds_read2_b64 v[87:90], v127 offset1:1
	v_cmp_lt_u32_e32 vcc, 32, v0
	s_waitcnt lgkmcnt(0)
	buffer_store_dword v87, off, s[20:23], 0 offset:1704 ; 4-byte Folded Spill
	s_nop 0
	buffer_store_dword v88, off, s[20:23], 0 offset:1708 ; 4-byte Folded Spill
	buffer_store_dword v89, off, s[20:23], 0 offset:1712 ; 4-byte Folded Spill
	;; [unrolled: 1-line block ×3, first 2 shown]
	s_and_saveexec_b64 s[2:3], vcc
	s_cbranch_execz .LBB115_298
; %bb.297:
	buffer_load_dword v107, off, s[20:23], 0 offset:208 ; 4-byte Folded Reload
	buffer_load_dword v108, off, s[20:23], 0 offset:212 ; 4-byte Folded Reload
	;; [unrolled: 1-line block ×8, first 2 shown]
	s_waitcnt vmcnt(2)
	v_mul_f64 v[99:100], v[87:88], v[109:110]
	s_waitcnt vmcnt(0)
	v_mul_f64 v[97:98], v[89:90], v[109:110]
	v_fma_f64 v[109:110], v[89:90], v[107:108], v[99:100]
	ds_read2_b64 v[99:102], v125 offset0:66 offset1:67
	v_fma_f64 v[97:98], v[87:88], v[107:108], -v[97:98]
	buffer_load_dword v105, off, s[20:23], 0 offset:192 ; 4-byte Folded Reload
	buffer_load_dword v106, off, s[20:23], 0 offset:196 ; 4-byte Folded Reload
	;; [unrolled: 1-line block ×4, first 2 shown]
	s_waitcnt lgkmcnt(0)
	v_mul_f64 v[103:104], v[101:102], v[109:110]
	v_fma_f64 v[103:104], v[99:100], v[97:98], -v[103:104]
	v_mul_f64 v[99:100], v[99:100], v[109:110]
	v_fma_f64 v[99:100], v[101:102], v[97:98], v[99:100]
	s_waitcnt vmcnt(2)
	v_add_f64 v[105:106], v[105:106], -v[103:104]
	s_waitcnt vmcnt(0)
	v_add_f64 v[107:108], v[107:108], -v[99:100]
	buffer_store_dword v105, off, s[20:23], 0 offset:192 ; 4-byte Folded Spill
	s_nop 0
	buffer_store_dword v106, off, s[20:23], 0 offset:196 ; 4-byte Folded Spill
	buffer_store_dword v107, off, s[20:23], 0 offset:200 ; 4-byte Folded Spill
	;; [unrolled: 1-line block ×3, first 2 shown]
	ds_read2_b64 v[99:102], v125 offset0:68 offset1:69
	buffer_load_dword v105, off, s[20:23], 0 offset:176 ; 4-byte Folded Reload
	buffer_load_dword v106, off, s[20:23], 0 offset:180 ; 4-byte Folded Reload
	;; [unrolled: 1-line block ×4, first 2 shown]
	s_waitcnt lgkmcnt(0)
	v_mul_f64 v[103:104], v[101:102], v[109:110]
	v_fma_f64 v[103:104], v[99:100], v[97:98], -v[103:104]
	v_mul_f64 v[99:100], v[99:100], v[109:110]
	v_fma_f64 v[99:100], v[101:102], v[97:98], v[99:100]
	s_waitcnt vmcnt(2)
	v_add_f64 v[105:106], v[105:106], -v[103:104]
	s_waitcnt vmcnt(0)
	v_add_f64 v[107:108], v[107:108], -v[99:100]
	buffer_store_dword v105, off, s[20:23], 0 offset:176 ; 4-byte Folded Spill
	s_nop 0
	buffer_store_dword v106, off, s[20:23], 0 offset:180 ; 4-byte Folded Spill
	buffer_store_dword v107, off, s[20:23], 0 offset:184 ; 4-byte Folded Spill
	;; [unrolled: 1-line block ×3, first 2 shown]
	ds_read2_b64 v[99:102], v125 offset0:70 offset1:71
	v_mov_b32_e32 v108, v98
	v_mov_b32_e32 v107, v97
	s_waitcnt lgkmcnt(0)
	v_mul_f64 v[103:104], v[101:102], v[109:110]
	v_fma_f64 v[103:104], v[99:100], v[97:98], -v[103:104]
	v_mul_f64 v[99:100], v[99:100], v[109:110]
	v_add_f64 v[91:92], v[91:92], -v[103:104]
	v_fma_f64 v[99:100], v[101:102], v[97:98], v[99:100]
	v_add_f64 v[93:94], v[93:94], -v[99:100]
	ds_read2_b64 v[99:102], v125 offset0:72 offset1:73
	buffer_load_dword v77, off, s[20:23], 0 offset:160 ; 4-byte Folded Reload
	buffer_load_dword v78, off, s[20:23], 0 offset:164 ; 4-byte Folded Reload
	buffer_load_dword v79, off, s[20:23], 0 offset:168 ; 4-byte Folded Reload
	buffer_load_dword v80, off, s[20:23], 0 offset:172 ; 4-byte Folded Reload
	s_waitcnt lgkmcnt(0)
	v_mul_f64 v[103:104], v[101:102], v[109:110]
	v_fma_f64 v[103:104], v[99:100], v[97:98], -v[103:104]
	v_mul_f64 v[99:100], v[99:100], v[109:110]
	v_fma_f64 v[99:100], v[101:102], v[97:98], v[99:100]
	s_waitcnt vmcnt(2)
	v_add_f64 v[77:78], v[77:78], -v[103:104]
	s_waitcnt vmcnt(0)
	v_add_f64 v[79:80], v[79:80], -v[99:100]
	buffer_store_dword v77, off, s[20:23], 0 offset:160 ; 4-byte Folded Spill
	s_nop 0
	buffer_store_dword v78, off, s[20:23], 0 offset:164 ; 4-byte Folded Spill
	buffer_store_dword v79, off, s[20:23], 0 offset:168 ; 4-byte Folded Spill
	buffer_store_dword v80, off, s[20:23], 0 offset:172 ; 4-byte Folded Spill
	ds_read2_b64 v[99:102], v125 offset0:74 offset1:75
	buffer_load_dword v77, off, s[20:23], 0 offset:144 ; 4-byte Folded Reload
	buffer_load_dword v78, off, s[20:23], 0 offset:148 ; 4-byte Folded Reload
	buffer_load_dword v79, off, s[20:23], 0 offset:152 ; 4-byte Folded Reload
	buffer_load_dword v80, off, s[20:23], 0 offset:156 ; 4-byte Folded Reload
	s_waitcnt lgkmcnt(0)
	v_mul_f64 v[103:104], v[101:102], v[109:110]
	v_fma_f64 v[103:104], v[99:100], v[97:98], -v[103:104]
	v_mul_f64 v[99:100], v[99:100], v[109:110]
	v_fma_f64 v[99:100], v[101:102], v[97:98], v[99:100]
	s_waitcnt vmcnt(2)
	v_add_f64 v[77:78], v[77:78], -v[103:104]
	s_waitcnt vmcnt(0)
	v_add_f64 v[79:80], v[79:80], -v[99:100]
	buffer_store_dword v77, off, s[20:23], 0 offset:144 ; 4-byte Folded Spill
	s_nop 0
	buffer_store_dword v78, off, s[20:23], 0 offset:148 ; 4-byte Folded Spill
	buffer_store_dword v79, off, s[20:23], 0 offset:152 ; 4-byte Folded Spill
	buffer_store_dword v80, off, s[20:23], 0 offset:156 ; 4-byte Folded Spill
	;; [unrolled: 19-line block ×10, first 2 shown]
	ds_read2_b64 v[99:102], v125 offset0:92 offset1:93
	buffer_load_dword v41, off, s[20:23], 0 ; 4-byte Folded Reload
	buffer_load_dword v42, off, s[20:23], 0 offset:4 ; 4-byte Folded Reload
	buffer_load_dword v43, off, s[20:23], 0 offset:8 ; 4-byte Folded Reload
	;; [unrolled: 1-line block ×3, first 2 shown]
	s_waitcnt lgkmcnt(0)
	v_mul_f64 v[103:104], v[101:102], v[109:110]
	v_fma_f64 v[103:104], v[99:100], v[97:98], -v[103:104]
	v_mul_f64 v[99:100], v[99:100], v[109:110]
	v_fma_f64 v[99:100], v[101:102], v[97:98], v[99:100]
	s_waitcnt vmcnt(2)
	v_add_f64 v[41:42], v[41:42], -v[103:104]
	s_waitcnt vmcnt(0)
	v_add_f64 v[43:44], v[43:44], -v[99:100]
	buffer_store_dword v41, off, s[20:23], 0 ; 4-byte Folded Spill
	s_nop 0
	buffer_store_dword v42, off, s[20:23], 0 offset:4 ; 4-byte Folded Spill
	buffer_store_dword v43, off, s[20:23], 0 offset:8 ; 4-byte Folded Spill
	;; [unrolled: 1-line block ×3, first 2 shown]
	ds_read2_b64 v[99:102], v125 offset0:94 offset1:95
	s_waitcnt lgkmcnt(0)
	v_mul_f64 v[103:104], v[101:102], v[109:110]
	v_fma_f64 v[103:104], v[99:100], v[97:98], -v[103:104]
	v_mul_f64 v[99:100], v[99:100], v[109:110]
	v_add_f64 v[37:38], v[37:38], -v[103:104]
	v_fma_f64 v[99:100], v[101:102], v[97:98], v[99:100]
	v_add_f64 v[39:40], v[39:40], -v[99:100]
	ds_read2_b64 v[99:102], v125 offset0:96 offset1:97
	s_waitcnt lgkmcnt(0)
	v_mul_f64 v[103:104], v[101:102], v[109:110]
	v_fma_f64 v[103:104], v[99:100], v[97:98], -v[103:104]
	v_mul_f64 v[99:100], v[99:100], v[109:110]
	v_add_f64 v[33:34], v[33:34], -v[103:104]
	v_fma_f64 v[99:100], v[101:102], v[97:98], v[99:100]
	v_add_f64 v[35:36], v[35:36], -v[99:100]
	;; [unrolled: 8-line block ×10, first 2 shown]
	ds_read2_b64 v[99:102], v125 offset0:114 offset1:115
	s_waitcnt lgkmcnt(0)
	v_mul_f64 v[103:104], v[101:102], v[109:110]
	v_fma_f64 v[103:104], v[99:100], v[97:98], -v[103:104]
	v_mul_f64 v[99:100], v[99:100], v[109:110]
	buffer_store_dword v107, off, s[20:23], 0 offset:208 ; 4-byte Folded Spill
	s_nop 0
	buffer_store_dword v108, off, s[20:23], 0 offset:212 ; 4-byte Folded Spill
	buffer_store_dword v109, off, s[20:23], 0 offset:216 ; 4-byte Folded Spill
	;; [unrolled: 1-line block ×3, first 2 shown]
	v_add_f64 v[121:122], v[121:122], -v[103:104]
	v_fma_f64 v[99:100], v[101:102], v[97:98], v[99:100]
	v_add_f64 v[123:124], v[123:124], -v[99:100]
.LBB115_298:
	s_or_b64 exec, exec, s[2:3]
	v_cmp_eq_u32_e32 vcc, 33, v0
	s_waitcnt vmcnt(0)
	s_barrier
	s_and_saveexec_b64 s[4:5], vcc
	s_cbranch_execz .LBB115_305
; %bb.299:
	buffer_load_dword v95, off, s[20:23], 0 offset:192 ; 4-byte Folded Reload
	buffer_load_dword v96, off, s[20:23], 0 offset:196 ; 4-byte Folded Reload
	;; [unrolled: 1-line block ×4, first 2 shown]
	s_waitcnt vmcnt(0)
	ds_write2_b64 v127, v[95:96], v[97:98] offset1:1
	buffer_load_dword v95, off, s[20:23], 0 offset:176 ; 4-byte Folded Reload
	buffer_load_dword v96, off, s[20:23], 0 offset:180 ; 4-byte Folded Reload
	;; [unrolled: 1-line block ×4, first 2 shown]
	s_waitcnt vmcnt(0)
	ds_write2_b64 v125, v[95:96], v[97:98] offset0:68 offset1:69
	ds_write2_b64 v125, v[91:92], v[93:94] offset0:70 offset1:71
	buffer_load_dword v77, off, s[20:23], 0 offset:160 ; 4-byte Folded Reload
	buffer_load_dword v78, off, s[20:23], 0 offset:164 ; 4-byte Folded Reload
	buffer_load_dword v79, off, s[20:23], 0 offset:168 ; 4-byte Folded Reload
	buffer_load_dword v80, off, s[20:23], 0 offset:172 ; 4-byte Folded Reload
	s_waitcnt vmcnt(0)
	ds_write2_b64 v125, v[77:78], v[79:80] offset0:72 offset1:73
	buffer_load_dword v77, off, s[20:23], 0 offset:144 ; 4-byte Folded Reload
	buffer_load_dword v78, off, s[20:23], 0 offset:148 ; 4-byte Folded Reload
	buffer_load_dword v79, off, s[20:23], 0 offset:152 ; 4-byte Folded Reload
	buffer_load_dword v80, off, s[20:23], 0 offset:156 ; 4-byte Folded Reload
	s_waitcnt vmcnt(0)
	;; [unrolled: 6-line block ×10, first 2 shown]
	ds_write2_b64 v125, v[45:46], v[47:48] offset0:90 offset1:91
	buffer_load_dword v41, off, s[20:23], 0 ; 4-byte Folded Reload
	buffer_load_dword v42, off, s[20:23], 0 offset:4 ; 4-byte Folded Reload
	buffer_load_dword v43, off, s[20:23], 0 offset:8 ; 4-byte Folded Reload
	;; [unrolled: 1-line block ×3, first 2 shown]
	s_waitcnt vmcnt(0)
	ds_write2_b64 v125, v[41:42], v[43:44] offset0:92 offset1:93
	ds_write2_b64 v125, v[37:38], v[39:40] offset0:94 offset1:95
	;; [unrolled: 1-line block ×12, first 2 shown]
	ds_read2_b64 v[97:100], v127 offset1:1
	s_waitcnt lgkmcnt(0)
	v_cmp_neq_f64_e32 vcc, 0, v[97:98]
	v_cmp_neq_f64_e64 s[2:3], 0, v[99:100]
	s_or_b64 s[2:3], vcc, s[2:3]
	s_and_b64 exec, exec, s[2:3]
	s_cbranch_execz .LBB115_305
; %bb.300:
	v_cmp_ngt_f64_e64 s[2:3], |v[97:98]|, |v[99:100]|
                                        ; implicit-def: $vgpr101_vgpr102
	s_and_saveexec_b64 s[6:7], s[2:3]
	s_xor_b64 s[2:3], exec, s[6:7]
                                        ; implicit-def: $vgpr103_vgpr104
	s_cbranch_execz .LBB115_302
; %bb.301:
	v_div_scale_f64 v[101:102], s[6:7], v[99:100], v[99:100], v[97:98]
	v_rcp_f64_e32 v[103:104], v[101:102]
	v_fma_f64 v[105:106], -v[101:102], v[103:104], 1.0
	v_fma_f64 v[103:104], v[103:104], v[105:106], v[103:104]
	v_div_scale_f64 v[105:106], vcc, v[97:98], v[99:100], v[97:98]
	v_fma_f64 v[107:108], -v[101:102], v[103:104], 1.0
	v_fma_f64 v[103:104], v[103:104], v[107:108], v[103:104]
	v_mul_f64 v[107:108], v[105:106], v[103:104]
	v_fma_f64 v[101:102], -v[101:102], v[107:108], v[105:106]
	v_div_fmas_f64 v[101:102], v[101:102], v[103:104], v[107:108]
	v_div_fixup_f64 v[101:102], v[101:102], v[99:100], v[97:98]
	v_fma_f64 v[97:98], v[97:98], v[101:102], v[99:100]
	v_div_scale_f64 v[99:100], s[6:7], v[97:98], v[97:98], 1.0
	v_div_scale_f64 v[107:108], vcc, 1.0, v[97:98], 1.0
	v_rcp_f64_e32 v[103:104], v[99:100]
	v_fma_f64 v[105:106], -v[99:100], v[103:104], 1.0
	v_fma_f64 v[103:104], v[103:104], v[105:106], v[103:104]
	v_fma_f64 v[105:106], -v[99:100], v[103:104], 1.0
	v_fma_f64 v[103:104], v[103:104], v[105:106], v[103:104]
	v_mul_f64 v[105:106], v[107:108], v[103:104]
	v_fma_f64 v[99:100], -v[99:100], v[105:106], v[107:108]
	v_div_fmas_f64 v[99:100], v[99:100], v[103:104], v[105:106]
	v_div_fixup_f64 v[103:104], v[99:100], v[97:98], 1.0
                                        ; implicit-def: $vgpr97_vgpr98
	v_mul_f64 v[101:102], v[101:102], v[103:104]
	v_xor_b32_e32 v104, 0x80000000, v104
.LBB115_302:
	s_andn2_saveexec_b64 s[2:3], s[2:3]
	s_cbranch_execz .LBB115_304
; %bb.303:
	v_div_scale_f64 v[101:102], s[6:7], v[97:98], v[97:98], v[99:100]
	v_rcp_f64_e32 v[103:104], v[101:102]
	v_fma_f64 v[105:106], -v[101:102], v[103:104], 1.0
	v_fma_f64 v[103:104], v[103:104], v[105:106], v[103:104]
	v_div_scale_f64 v[105:106], vcc, v[99:100], v[97:98], v[99:100]
	v_fma_f64 v[107:108], -v[101:102], v[103:104], 1.0
	v_fma_f64 v[103:104], v[103:104], v[107:108], v[103:104]
	v_mul_f64 v[107:108], v[105:106], v[103:104]
	v_fma_f64 v[101:102], -v[101:102], v[107:108], v[105:106]
	v_div_fmas_f64 v[101:102], v[101:102], v[103:104], v[107:108]
	v_div_fixup_f64 v[103:104], v[101:102], v[97:98], v[99:100]
	v_fma_f64 v[97:98], v[99:100], v[103:104], v[97:98]
	v_div_scale_f64 v[99:100], s[6:7], v[97:98], v[97:98], 1.0
	v_div_scale_f64 v[107:108], vcc, 1.0, v[97:98], 1.0
	v_rcp_f64_e32 v[101:102], v[99:100]
	v_fma_f64 v[105:106], -v[99:100], v[101:102], 1.0
	v_fma_f64 v[101:102], v[101:102], v[105:106], v[101:102]
	v_fma_f64 v[105:106], -v[99:100], v[101:102], 1.0
	v_fma_f64 v[101:102], v[101:102], v[105:106], v[101:102]
	v_mul_f64 v[105:106], v[107:108], v[101:102]
	v_fma_f64 v[99:100], -v[99:100], v[105:106], v[107:108]
	v_div_fmas_f64 v[99:100], v[99:100], v[101:102], v[105:106]
	v_div_fixup_f64 v[101:102], v[99:100], v[97:98], 1.0
	v_mul_f64 v[103:104], v[103:104], -v[101:102]
.LBB115_304:
	s_or_b64 exec, exec, s[2:3]
	ds_write2_b64 v127, v[101:102], v[103:104] offset1:1
.LBB115_305:
	s_or_b64 exec, exec, s[4:5]
	s_waitcnt lgkmcnt(0)
	s_barrier
	ds_read2_b64 v[87:90], v127 offset1:1
	v_cmp_lt_u32_e32 vcc, 33, v0
	s_waitcnt lgkmcnt(0)
	buffer_store_dword v87, off, s[20:23], 0 offset:1720 ; 4-byte Folded Spill
	s_nop 0
	buffer_store_dword v88, off, s[20:23], 0 offset:1724 ; 4-byte Folded Spill
	buffer_store_dword v89, off, s[20:23], 0 offset:1728 ; 4-byte Folded Spill
	;; [unrolled: 1-line block ×3, first 2 shown]
	s_and_saveexec_b64 s[2:3], vcc
	s_cbranch_execz .LBB115_307
; %bb.306:
	buffer_load_dword v109, off, s[20:23], 0 offset:192 ; 4-byte Folded Reload
	buffer_load_dword v110, off, s[20:23], 0 offset:196 ; 4-byte Folded Reload
	;; [unrolled: 1-line block ×8, first 2 shown]
	ds_read2_b64 v[99:102], v125 offset0:68 offset1:69
	v_mov_b32_e32 v106, v94
	v_mov_b32_e32 v105, v93
	;; [unrolled: 1-line block ×4, first 2 shown]
	s_waitcnt vmcnt(2)
	v_mul_f64 v[95:96], v[87:88], v[111:112]
	s_waitcnt vmcnt(0)
	v_mul_f64 v[97:98], v[89:90], v[111:112]
	v_fma_f64 v[111:112], v[89:90], v[109:110], v[95:96]
	v_fma_f64 v[97:98], v[87:88], v[109:110], -v[97:98]
	buffer_load_dword v107, off, s[20:23], 0 offset:176 ; 4-byte Folded Reload
	buffer_load_dword v108, off, s[20:23], 0 offset:180 ; 4-byte Folded Reload
	;; [unrolled: 1-line block ×4, first 2 shown]
	s_waitcnt lgkmcnt(0)
	v_mul_f64 v[93:94], v[101:102], v[111:112]
	v_fma_f64 v[93:94], v[99:100], v[97:98], -v[93:94]
	v_mul_f64 v[99:100], v[99:100], v[111:112]
	v_fma_f64 v[99:100], v[101:102], v[97:98], v[99:100]
	s_waitcnt vmcnt(2)
	v_add_f64 v[107:108], v[107:108], -v[93:94]
	s_waitcnt vmcnt(0)
	v_add_f64 v[109:110], v[109:110], -v[99:100]
	buffer_store_dword v107, off, s[20:23], 0 offset:176 ; 4-byte Folded Spill
	s_nop 0
	buffer_store_dword v108, off, s[20:23], 0 offset:180 ; 4-byte Folded Spill
	buffer_store_dword v109, off, s[20:23], 0 offset:184 ; 4-byte Folded Spill
	;; [unrolled: 1-line block ×3, first 2 shown]
	ds_read2_b64 v[99:102], v125 offset0:70 offset1:71
	v_mov_b32_e32 v110, v98
	v_mov_b32_e32 v109, v97
	s_waitcnt lgkmcnt(0)
	v_mul_f64 v[93:94], v[101:102], v[111:112]
	v_fma_f64 v[93:94], v[99:100], v[97:98], -v[93:94]
	v_mul_f64 v[99:100], v[99:100], v[111:112]
	v_add_f64 v[103:104], v[103:104], -v[93:94]
	v_fma_f64 v[99:100], v[101:102], v[97:98], v[99:100]
	v_add_f64 v[105:106], v[105:106], -v[99:100]
	ds_read2_b64 v[99:102], v125 offset0:72 offset1:73
	buffer_load_dword v77, off, s[20:23], 0 offset:160 ; 4-byte Folded Reload
	buffer_load_dword v78, off, s[20:23], 0 offset:164 ; 4-byte Folded Reload
	buffer_load_dword v79, off, s[20:23], 0 offset:168 ; 4-byte Folded Reload
	buffer_load_dword v80, off, s[20:23], 0 offset:172 ; 4-byte Folded Reload
	s_waitcnt lgkmcnt(0)
	v_mul_f64 v[93:94], v[101:102], v[111:112]
	v_fma_f64 v[93:94], v[99:100], v[97:98], -v[93:94]
	v_mul_f64 v[99:100], v[99:100], v[111:112]
	v_fma_f64 v[99:100], v[101:102], v[97:98], v[99:100]
	s_waitcnt vmcnt(2)
	v_add_f64 v[77:78], v[77:78], -v[93:94]
	s_waitcnt vmcnt(0)
	v_add_f64 v[79:80], v[79:80], -v[99:100]
	buffer_store_dword v77, off, s[20:23], 0 offset:160 ; 4-byte Folded Spill
	s_nop 0
	buffer_store_dword v78, off, s[20:23], 0 offset:164 ; 4-byte Folded Spill
	buffer_store_dword v79, off, s[20:23], 0 offset:168 ; 4-byte Folded Spill
	buffer_store_dword v80, off, s[20:23], 0 offset:172 ; 4-byte Folded Spill
	ds_read2_b64 v[99:102], v125 offset0:74 offset1:75
	buffer_load_dword v77, off, s[20:23], 0 offset:144 ; 4-byte Folded Reload
	buffer_load_dword v78, off, s[20:23], 0 offset:148 ; 4-byte Folded Reload
	buffer_load_dword v79, off, s[20:23], 0 offset:152 ; 4-byte Folded Reload
	buffer_load_dword v80, off, s[20:23], 0 offset:156 ; 4-byte Folded Reload
	s_waitcnt lgkmcnt(0)
	v_mul_f64 v[93:94], v[101:102], v[111:112]
	v_fma_f64 v[93:94], v[99:100], v[97:98], -v[93:94]
	v_mul_f64 v[99:100], v[99:100], v[111:112]
	v_fma_f64 v[99:100], v[101:102], v[97:98], v[99:100]
	s_waitcnt vmcnt(2)
	v_add_f64 v[77:78], v[77:78], -v[93:94]
	s_waitcnt vmcnt(0)
	v_add_f64 v[79:80], v[79:80], -v[99:100]
	buffer_store_dword v77, off, s[20:23], 0 offset:144 ; 4-byte Folded Spill
	s_nop 0
	buffer_store_dword v78, off, s[20:23], 0 offset:148 ; 4-byte Folded Spill
	buffer_store_dword v79, off, s[20:23], 0 offset:152 ; 4-byte Folded Spill
	buffer_store_dword v80, off, s[20:23], 0 offset:156 ; 4-byte Folded Spill
	;; [unrolled: 19-line block ×10, first 2 shown]
	ds_read2_b64 v[99:102], v125 offset0:92 offset1:93
	buffer_load_dword v41, off, s[20:23], 0 ; 4-byte Folded Reload
	buffer_load_dword v42, off, s[20:23], 0 offset:4 ; 4-byte Folded Reload
	buffer_load_dword v43, off, s[20:23], 0 offset:8 ; 4-byte Folded Reload
	;; [unrolled: 1-line block ×3, first 2 shown]
	s_waitcnt lgkmcnt(0)
	v_mul_f64 v[93:94], v[101:102], v[111:112]
	v_fma_f64 v[93:94], v[99:100], v[97:98], -v[93:94]
	v_mul_f64 v[99:100], v[99:100], v[111:112]
	v_fma_f64 v[99:100], v[101:102], v[97:98], v[99:100]
	s_waitcnt vmcnt(2)
	v_add_f64 v[41:42], v[41:42], -v[93:94]
	s_waitcnt vmcnt(0)
	v_add_f64 v[43:44], v[43:44], -v[99:100]
	buffer_store_dword v41, off, s[20:23], 0 ; 4-byte Folded Spill
	s_nop 0
	buffer_store_dword v42, off, s[20:23], 0 offset:4 ; 4-byte Folded Spill
	buffer_store_dword v43, off, s[20:23], 0 offset:8 ; 4-byte Folded Spill
	;; [unrolled: 1-line block ×3, first 2 shown]
	ds_read2_b64 v[99:102], v125 offset0:94 offset1:95
	s_waitcnt lgkmcnt(0)
	v_mul_f64 v[93:94], v[101:102], v[111:112]
	v_fma_f64 v[93:94], v[99:100], v[97:98], -v[93:94]
	v_mul_f64 v[99:100], v[99:100], v[111:112]
	v_add_f64 v[37:38], v[37:38], -v[93:94]
	v_fma_f64 v[99:100], v[101:102], v[97:98], v[99:100]
	v_add_f64 v[39:40], v[39:40], -v[99:100]
	ds_read2_b64 v[99:102], v125 offset0:96 offset1:97
	s_waitcnt lgkmcnt(0)
	v_mul_f64 v[93:94], v[101:102], v[111:112]
	v_fma_f64 v[93:94], v[99:100], v[97:98], -v[93:94]
	v_mul_f64 v[99:100], v[99:100], v[111:112]
	v_add_f64 v[33:34], v[33:34], -v[93:94]
	v_fma_f64 v[99:100], v[101:102], v[97:98], v[99:100]
	v_add_f64 v[35:36], v[35:36], -v[99:100]
	;; [unrolled: 8-line block ×10, first 2 shown]
	ds_read2_b64 v[99:102], v125 offset0:114 offset1:115
	s_waitcnt lgkmcnt(0)
	v_mul_f64 v[93:94], v[101:102], v[111:112]
	v_fma_f64 v[93:94], v[99:100], v[97:98], -v[93:94]
	v_mul_f64 v[99:100], v[99:100], v[111:112]
	buffer_store_dword v109, off, s[20:23], 0 offset:192 ; 4-byte Folded Spill
	s_nop 0
	buffer_store_dword v110, off, s[20:23], 0 offset:196 ; 4-byte Folded Spill
	buffer_store_dword v111, off, s[20:23], 0 offset:200 ; 4-byte Folded Spill
	;; [unrolled: 1-line block ×3, first 2 shown]
	v_add_f64 v[121:122], v[121:122], -v[93:94]
	v_fma_f64 v[99:100], v[101:102], v[97:98], v[99:100]
	v_mov_b32_e32 v91, v103
	v_mov_b32_e32 v92, v104
	v_mov_b32_e32 v93, v105
	v_mov_b32_e32 v94, v106
	v_add_f64 v[123:124], v[123:124], -v[99:100]
.LBB115_307:
	s_or_b64 exec, exec, s[2:3]
	v_cmp_eq_u32_e32 vcc, 34, v0
	s_waitcnt vmcnt(0)
	s_barrier
	s_and_saveexec_b64 s[4:5], vcc
	s_cbranch_execz .LBB115_314
; %bb.308:
	buffer_load_dword v95, off, s[20:23], 0 offset:176 ; 4-byte Folded Reload
	buffer_load_dword v96, off, s[20:23], 0 offset:180 ; 4-byte Folded Reload
	;; [unrolled: 1-line block ×4, first 2 shown]
	s_waitcnt vmcnt(0)
	ds_write2_b64 v127, v[95:96], v[97:98] offset1:1
	ds_write2_b64 v125, v[91:92], v[93:94] offset0:70 offset1:71
	buffer_load_dword v77, off, s[20:23], 0 offset:160 ; 4-byte Folded Reload
	buffer_load_dword v78, off, s[20:23], 0 offset:164 ; 4-byte Folded Reload
	buffer_load_dword v79, off, s[20:23], 0 offset:168 ; 4-byte Folded Reload
	buffer_load_dword v80, off, s[20:23], 0 offset:172 ; 4-byte Folded Reload
	s_waitcnt vmcnt(0)
	ds_write2_b64 v125, v[77:78], v[79:80] offset0:72 offset1:73
	buffer_load_dword v77, off, s[20:23], 0 offset:144 ; 4-byte Folded Reload
	buffer_load_dword v78, off, s[20:23], 0 offset:148 ; 4-byte Folded Reload
	buffer_load_dword v79, off, s[20:23], 0 offset:152 ; 4-byte Folded Reload
	buffer_load_dword v80, off, s[20:23], 0 offset:156 ; 4-byte Folded Reload
	s_waitcnt vmcnt(0)
	;; [unrolled: 6-line block ×10, first 2 shown]
	ds_write2_b64 v125, v[45:46], v[47:48] offset0:90 offset1:91
	buffer_load_dword v41, off, s[20:23], 0 ; 4-byte Folded Reload
	buffer_load_dword v42, off, s[20:23], 0 offset:4 ; 4-byte Folded Reload
	buffer_load_dword v43, off, s[20:23], 0 offset:8 ; 4-byte Folded Reload
	;; [unrolled: 1-line block ×3, first 2 shown]
	s_waitcnt vmcnt(0)
	ds_write2_b64 v125, v[41:42], v[43:44] offset0:92 offset1:93
	ds_write2_b64 v125, v[37:38], v[39:40] offset0:94 offset1:95
	;; [unrolled: 1-line block ×12, first 2 shown]
	ds_read2_b64 v[97:100], v127 offset1:1
	s_waitcnt lgkmcnt(0)
	v_cmp_neq_f64_e32 vcc, 0, v[97:98]
	v_cmp_neq_f64_e64 s[2:3], 0, v[99:100]
	s_or_b64 s[2:3], vcc, s[2:3]
	s_and_b64 exec, exec, s[2:3]
	s_cbranch_execz .LBB115_314
; %bb.309:
	v_cmp_ngt_f64_e64 s[2:3], |v[97:98]|, |v[99:100]|
                                        ; implicit-def: $vgpr101_vgpr102
	s_and_saveexec_b64 s[6:7], s[2:3]
	s_xor_b64 s[2:3], exec, s[6:7]
                                        ; implicit-def: $vgpr103_vgpr104
	s_cbranch_execz .LBB115_311
; %bb.310:
	v_div_scale_f64 v[101:102], s[6:7], v[99:100], v[99:100], v[97:98]
	v_rcp_f64_e32 v[103:104], v[101:102]
	v_fma_f64 v[105:106], -v[101:102], v[103:104], 1.0
	v_fma_f64 v[103:104], v[103:104], v[105:106], v[103:104]
	v_div_scale_f64 v[105:106], vcc, v[97:98], v[99:100], v[97:98]
	v_fma_f64 v[107:108], -v[101:102], v[103:104], 1.0
	v_fma_f64 v[103:104], v[103:104], v[107:108], v[103:104]
	v_mul_f64 v[107:108], v[105:106], v[103:104]
	v_fma_f64 v[101:102], -v[101:102], v[107:108], v[105:106]
	v_div_fmas_f64 v[101:102], v[101:102], v[103:104], v[107:108]
	v_div_fixup_f64 v[101:102], v[101:102], v[99:100], v[97:98]
	v_fma_f64 v[97:98], v[97:98], v[101:102], v[99:100]
	v_div_scale_f64 v[99:100], s[6:7], v[97:98], v[97:98], 1.0
	v_div_scale_f64 v[107:108], vcc, 1.0, v[97:98], 1.0
	v_rcp_f64_e32 v[103:104], v[99:100]
	v_fma_f64 v[105:106], -v[99:100], v[103:104], 1.0
	v_fma_f64 v[103:104], v[103:104], v[105:106], v[103:104]
	v_fma_f64 v[105:106], -v[99:100], v[103:104], 1.0
	v_fma_f64 v[103:104], v[103:104], v[105:106], v[103:104]
	v_mul_f64 v[105:106], v[107:108], v[103:104]
	v_fma_f64 v[99:100], -v[99:100], v[105:106], v[107:108]
	v_div_fmas_f64 v[99:100], v[99:100], v[103:104], v[105:106]
	v_div_fixup_f64 v[103:104], v[99:100], v[97:98], 1.0
                                        ; implicit-def: $vgpr97_vgpr98
	v_mul_f64 v[101:102], v[101:102], v[103:104]
	v_xor_b32_e32 v104, 0x80000000, v104
.LBB115_311:
	s_andn2_saveexec_b64 s[2:3], s[2:3]
	s_cbranch_execz .LBB115_313
; %bb.312:
	v_div_scale_f64 v[101:102], s[6:7], v[97:98], v[97:98], v[99:100]
	v_rcp_f64_e32 v[103:104], v[101:102]
	v_fma_f64 v[105:106], -v[101:102], v[103:104], 1.0
	v_fma_f64 v[103:104], v[103:104], v[105:106], v[103:104]
	v_div_scale_f64 v[105:106], vcc, v[99:100], v[97:98], v[99:100]
	v_fma_f64 v[107:108], -v[101:102], v[103:104], 1.0
	v_fma_f64 v[103:104], v[103:104], v[107:108], v[103:104]
	v_mul_f64 v[107:108], v[105:106], v[103:104]
	v_fma_f64 v[101:102], -v[101:102], v[107:108], v[105:106]
	v_div_fmas_f64 v[101:102], v[101:102], v[103:104], v[107:108]
	v_div_fixup_f64 v[103:104], v[101:102], v[97:98], v[99:100]
	v_fma_f64 v[97:98], v[99:100], v[103:104], v[97:98]
	v_div_scale_f64 v[99:100], s[6:7], v[97:98], v[97:98], 1.0
	v_div_scale_f64 v[107:108], vcc, 1.0, v[97:98], 1.0
	v_rcp_f64_e32 v[101:102], v[99:100]
	v_fma_f64 v[105:106], -v[99:100], v[101:102], 1.0
	v_fma_f64 v[101:102], v[101:102], v[105:106], v[101:102]
	v_fma_f64 v[105:106], -v[99:100], v[101:102], 1.0
	v_fma_f64 v[101:102], v[101:102], v[105:106], v[101:102]
	v_mul_f64 v[105:106], v[107:108], v[101:102]
	v_fma_f64 v[99:100], -v[99:100], v[105:106], v[107:108]
	v_div_fmas_f64 v[99:100], v[99:100], v[101:102], v[105:106]
	v_div_fixup_f64 v[101:102], v[99:100], v[97:98], 1.0
	v_mul_f64 v[103:104], v[103:104], -v[101:102]
.LBB115_313:
	s_or_b64 exec, exec, s[2:3]
	ds_write2_b64 v127, v[101:102], v[103:104] offset1:1
.LBB115_314:
	s_or_b64 exec, exec, s[4:5]
	s_waitcnt lgkmcnt(0)
	s_barrier
	ds_read2_b64 v[87:90], v127 offset1:1
	v_cmp_lt_u32_e32 vcc, 34, v0
	s_waitcnt lgkmcnt(0)
	buffer_store_dword v87, off, s[20:23], 0 offset:1736 ; 4-byte Folded Spill
	s_nop 0
	buffer_store_dword v88, off, s[20:23], 0 offset:1740 ; 4-byte Folded Spill
	buffer_store_dword v89, off, s[20:23], 0 offset:1744 ; 4-byte Folded Spill
	;; [unrolled: 1-line block ×3, first 2 shown]
	s_and_saveexec_b64 s[2:3], vcc
	s_cbranch_execz .LBB115_316
; %bb.315:
	buffer_load_dword v107, off, s[20:23], 0 offset:176 ; 4-byte Folded Reload
	buffer_load_dword v108, off, s[20:23], 0 offset:180 ; 4-byte Folded Reload
	;; [unrolled: 1-line block ×8, first 2 shown]
	v_mov_b32_e32 v106, v94
	v_mov_b32_e32 v105, v93
	;; [unrolled: 1-line block ×4, first 2 shown]
	ds_read2_b64 v[99:102], v125 offset0:70 offset1:71
	s_waitcnt vmcnt(2)
	v_mul_f64 v[91:92], v[87:88], v[109:110]
	s_waitcnt vmcnt(0)
	v_mul_f64 v[97:98], v[89:90], v[109:110]
	v_fma_f64 v[109:110], v[89:90], v[107:108], v[91:92]
	v_fma_f64 v[97:98], v[87:88], v[107:108], -v[97:98]
	s_waitcnt lgkmcnt(0)
	v_mul_f64 v[89:90], v[101:102], v[109:110]
	v_mov_b32_e32 v108, v98
	v_mov_b32_e32 v107, v97
	v_fma_f64 v[89:90], v[99:100], v[97:98], -v[89:90]
	v_mul_f64 v[99:100], v[99:100], v[109:110]
	v_add_f64 v[103:104], v[103:104], -v[89:90]
	v_fma_f64 v[99:100], v[101:102], v[97:98], v[99:100]
	v_add_f64 v[105:106], v[105:106], -v[99:100]
	ds_read2_b64 v[99:102], v125 offset0:72 offset1:73
	buffer_load_dword v77, off, s[20:23], 0 offset:160 ; 4-byte Folded Reload
	buffer_load_dword v78, off, s[20:23], 0 offset:164 ; 4-byte Folded Reload
	;; [unrolled: 1-line block ×4, first 2 shown]
	v_mov_b32_e32 v91, v103
	v_mov_b32_e32 v92, v104
	s_waitcnt lgkmcnt(0)
	v_mul_f64 v[89:90], v[101:102], v[109:110]
	v_mov_b32_e32 v93, v105
	v_mov_b32_e32 v94, v106
	v_fma_f64 v[89:90], v[99:100], v[97:98], -v[89:90]
	v_mul_f64 v[99:100], v[99:100], v[109:110]
	v_fma_f64 v[99:100], v[101:102], v[97:98], v[99:100]
	s_waitcnt vmcnt(2)
	v_add_f64 v[77:78], v[77:78], -v[89:90]
	s_waitcnt vmcnt(0)
	v_add_f64 v[79:80], v[79:80], -v[99:100]
	buffer_store_dword v77, off, s[20:23], 0 offset:160 ; 4-byte Folded Spill
	s_nop 0
	buffer_store_dword v78, off, s[20:23], 0 offset:164 ; 4-byte Folded Spill
	buffer_store_dword v79, off, s[20:23], 0 offset:168 ; 4-byte Folded Spill
	buffer_store_dword v80, off, s[20:23], 0 offset:172 ; 4-byte Folded Spill
	ds_read2_b64 v[99:102], v125 offset0:74 offset1:75
	buffer_load_dword v77, off, s[20:23], 0 offset:144 ; 4-byte Folded Reload
	buffer_load_dword v78, off, s[20:23], 0 offset:148 ; 4-byte Folded Reload
	buffer_load_dword v79, off, s[20:23], 0 offset:152 ; 4-byte Folded Reload
	buffer_load_dword v80, off, s[20:23], 0 offset:156 ; 4-byte Folded Reload
	s_waitcnt lgkmcnt(0)
	v_mul_f64 v[89:90], v[101:102], v[109:110]
	v_fma_f64 v[89:90], v[99:100], v[97:98], -v[89:90]
	v_mul_f64 v[99:100], v[99:100], v[109:110]
	v_fma_f64 v[99:100], v[101:102], v[97:98], v[99:100]
	s_waitcnt vmcnt(2)
	v_add_f64 v[77:78], v[77:78], -v[89:90]
	s_waitcnt vmcnt(0)
	v_add_f64 v[79:80], v[79:80], -v[99:100]
	buffer_store_dword v77, off, s[20:23], 0 offset:144 ; 4-byte Folded Spill
	s_nop 0
	buffer_store_dword v78, off, s[20:23], 0 offset:148 ; 4-byte Folded Spill
	buffer_store_dword v79, off, s[20:23], 0 offset:152 ; 4-byte Folded Spill
	buffer_store_dword v80, off, s[20:23], 0 offset:156 ; 4-byte Folded Spill
	ds_read2_b64 v[99:102], v125 offset0:76 offset1:77
	buffer_load_dword v73, off, s[20:23], 0 offset:128 ; 4-byte Folded Reload
	buffer_load_dword v74, off, s[20:23], 0 offset:132 ; 4-byte Folded Reload
	buffer_load_dword v75, off, s[20:23], 0 offset:136 ; 4-byte Folded Reload
	buffer_load_dword v76, off, s[20:23], 0 offset:140 ; 4-byte Folded Reload
	s_waitcnt lgkmcnt(0)
	v_mul_f64 v[89:90], v[101:102], v[109:110]
	;; [unrolled: 19-line block ×9, first 2 shown]
	v_fma_f64 v[89:90], v[99:100], v[97:98], -v[89:90]
	v_mul_f64 v[99:100], v[99:100], v[109:110]
	v_fma_f64 v[99:100], v[101:102], v[97:98], v[99:100]
	s_waitcnt vmcnt(2)
	v_add_f64 v[45:46], v[45:46], -v[89:90]
	s_waitcnt vmcnt(0)
	v_add_f64 v[47:48], v[47:48], -v[99:100]
	buffer_store_dword v45, off, s[20:23], 0 offset:16 ; 4-byte Folded Spill
	s_nop 0
	buffer_store_dword v46, off, s[20:23], 0 offset:20 ; 4-byte Folded Spill
	buffer_store_dword v47, off, s[20:23], 0 offset:24 ; 4-byte Folded Spill
	;; [unrolled: 1-line block ×3, first 2 shown]
	ds_read2_b64 v[99:102], v125 offset0:92 offset1:93
	buffer_load_dword v41, off, s[20:23], 0 ; 4-byte Folded Reload
	buffer_load_dword v42, off, s[20:23], 0 offset:4 ; 4-byte Folded Reload
	buffer_load_dword v43, off, s[20:23], 0 offset:8 ; 4-byte Folded Reload
	;; [unrolled: 1-line block ×3, first 2 shown]
	s_waitcnt lgkmcnt(0)
	v_mul_f64 v[89:90], v[101:102], v[109:110]
	v_fma_f64 v[89:90], v[99:100], v[97:98], -v[89:90]
	v_mul_f64 v[99:100], v[99:100], v[109:110]
	v_fma_f64 v[99:100], v[101:102], v[97:98], v[99:100]
	s_waitcnt vmcnt(2)
	v_add_f64 v[41:42], v[41:42], -v[89:90]
	s_waitcnt vmcnt(0)
	v_add_f64 v[43:44], v[43:44], -v[99:100]
	buffer_store_dword v41, off, s[20:23], 0 ; 4-byte Folded Spill
	s_nop 0
	buffer_store_dword v42, off, s[20:23], 0 offset:4 ; 4-byte Folded Spill
	buffer_store_dword v43, off, s[20:23], 0 offset:8 ; 4-byte Folded Spill
	;; [unrolled: 1-line block ×3, first 2 shown]
	ds_read2_b64 v[99:102], v125 offset0:94 offset1:95
	s_waitcnt lgkmcnt(0)
	v_mul_f64 v[89:90], v[101:102], v[109:110]
	v_fma_f64 v[89:90], v[99:100], v[97:98], -v[89:90]
	v_mul_f64 v[99:100], v[99:100], v[109:110]
	v_add_f64 v[37:38], v[37:38], -v[89:90]
	v_fma_f64 v[99:100], v[101:102], v[97:98], v[99:100]
	v_add_f64 v[39:40], v[39:40], -v[99:100]
	ds_read2_b64 v[99:102], v125 offset0:96 offset1:97
	s_waitcnt lgkmcnt(0)
	v_mul_f64 v[89:90], v[101:102], v[109:110]
	v_fma_f64 v[89:90], v[99:100], v[97:98], -v[89:90]
	v_mul_f64 v[99:100], v[99:100], v[109:110]
	v_add_f64 v[33:34], v[33:34], -v[89:90]
	v_fma_f64 v[99:100], v[101:102], v[97:98], v[99:100]
	v_add_f64 v[35:36], v[35:36], -v[99:100]
	;; [unrolled: 8-line block ×10, first 2 shown]
	ds_read2_b64 v[99:102], v125 offset0:114 offset1:115
	s_waitcnt lgkmcnt(0)
	v_mul_f64 v[89:90], v[101:102], v[109:110]
	v_fma_f64 v[89:90], v[99:100], v[97:98], -v[89:90]
	v_mul_f64 v[99:100], v[99:100], v[109:110]
	buffer_store_dword v107, off, s[20:23], 0 offset:176 ; 4-byte Folded Spill
	s_nop 0
	buffer_store_dword v108, off, s[20:23], 0 offset:180 ; 4-byte Folded Spill
	buffer_store_dword v109, off, s[20:23], 0 offset:184 ; 4-byte Folded Spill
	;; [unrolled: 1-line block ×3, first 2 shown]
	v_add_f64 v[121:122], v[121:122], -v[89:90]
	v_fma_f64 v[99:100], v[101:102], v[97:98], v[99:100]
	v_add_f64 v[123:124], v[123:124], -v[99:100]
.LBB115_316:
	s_or_b64 exec, exec, s[2:3]
	v_cmp_eq_u32_e32 vcc, 35, v0
	s_waitcnt vmcnt(0)
	s_barrier
	s_and_saveexec_b64 s[4:5], vcc
	s_cbranch_execz .LBB115_323
; %bb.317:
	ds_write2_b64 v127, v[91:92], v[93:94] offset1:1
	buffer_load_dword v77, off, s[20:23], 0 offset:160 ; 4-byte Folded Reload
	buffer_load_dword v78, off, s[20:23], 0 offset:164 ; 4-byte Folded Reload
	buffer_load_dword v79, off, s[20:23], 0 offset:168 ; 4-byte Folded Reload
	buffer_load_dword v80, off, s[20:23], 0 offset:172 ; 4-byte Folded Reload
	s_waitcnt vmcnt(0)
	ds_write2_b64 v125, v[77:78], v[79:80] offset0:72 offset1:73
	buffer_load_dword v77, off, s[20:23], 0 offset:144 ; 4-byte Folded Reload
	buffer_load_dword v78, off, s[20:23], 0 offset:148 ; 4-byte Folded Reload
	buffer_load_dword v79, off, s[20:23], 0 offset:152 ; 4-byte Folded Reload
	buffer_load_dword v80, off, s[20:23], 0 offset:156 ; 4-byte Folded Reload
	s_waitcnt vmcnt(0)
	ds_write2_b64 v125, v[77:78], v[79:80] offset0:74 offset1:75
	;; [unrolled: 6-line block ×10, first 2 shown]
	buffer_load_dword v41, off, s[20:23], 0 ; 4-byte Folded Reload
	buffer_load_dword v42, off, s[20:23], 0 offset:4 ; 4-byte Folded Reload
	buffer_load_dword v43, off, s[20:23], 0 offset:8 ; 4-byte Folded Reload
	;; [unrolled: 1-line block ×3, first 2 shown]
	s_waitcnt vmcnt(0)
	ds_write2_b64 v125, v[41:42], v[43:44] offset0:92 offset1:93
	ds_write2_b64 v125, v[37:38], v[39:40] offset0:94 offset1:95
	ds_write2_b64 v125, v[33:34], v[35:36] offset0:96 offset1:97
	ds_write2_b64 v125, v[29:30], v[31:32] offset0:98 offset1:99
	ds_write2_b64 v125, v[25:26], v[27:28] offset0:100 offset1:101
	ds_write2_b64 v125, v[21:22], v[23:24] offset0:102 offset1:103
	ds_write2_b64 v125, v[17:18], v[19:20] offset0:104 offset1:105
	ds_write2_b64 v125, v[13:14], v[15:16] offset0:106 offset1:107
	ds_write2_b64 v125, v[9:10], v[11:12] offset0:108 offset1:109
	ds_write2_b64 v125, v[5:6], v[7:8] offset0:110 offset1:111
	ds_write2_b64 v125, v[1:2], v[3:4] offset0:112 offset1:113
	ds_write2_b64 v125, v[121:122], v[123:124] offset0:114 offset1:115
	ds_read2_b64 v[97:100], v127 offset1:1
	s_waitcnt lgkmcnt(0)
	v_cmp_neq_f64_e32 vcc, 0, v[97:98]
	v_cmp_neq_f64_e64 s[2:3], 0, v[99:100]
	s_or_b64 s[2:3], vcc, s[2:3]
	s_and_b64 exec, exec, s[2:3]
	s_cbranch_execz .LBB115_323
; %bb.318:
	v_cmp_ngt_f64_e64 s[2:3], |v[97:98]|, |v[99:100]|
                                        ; implicit-def: $vgpr101_vgpr102
	s_and_saveexec_b64 s[6:7], s[2:3]
	s_xor_b64 s[2:3], exec, s[6:7]
                                        ; implicit-def: $vgpr103_vgpr104
	s_cbranch_execz .LBB115_320
; %bb.319:
	v_div_scale_f64 v[101:102], s[6:7], v[99:100], v[99:100], v[97:98]
	v_rcp_f64_e32 v[103:104], v[101:102]
	v_fma_f64 v[105:106], -v[101:102], v[103:104], 1.0
	v_fma_f64 v[103:104], v[103:104], v[105:106], v[103:104]
	v_div_scale_f64 v[105:106], vcc, v[97:98], v[99:100], v[97:98]
	v_fma_f64 v[107:108], -v[101:102], v[103:104], 1.0
	v_fma_f64 v[103:104], v[103:104], v[107:108], v[103:104]
	v_mul_f64 v[107:108], v[105:106], v[103:104]
	v_fma_f64 v[101:102], -v[101:102], v[107:108], v[105:106]
	v_div_fmas_f64 v[101:102], v[101:102], v[103:104], v[107:108]
	v_div_fixup_f64 v[101:102], v[101:102], v[99:100], v[97:98]
	v_fma_f64 v[97:98], v[97:98], v[101:102], v[99:100]
	v_div_scale_f64 v[99:100], s[6:7], v[97:98], v[97:98], 1.0
	v_div_scale_f64 v[107:108], vcc, 1.0, v[97:98], 1.0
	v_rcp_f64_e32 v[103:104], v[99:100]
	v_fma_f64 v[105:106], -v[99:100], v[103:104], 1.0
	v_fma_f64 v[103:104], v[103:104], v[105:106], v[103:104]
	v_fma_f64 v[105:106], -v[99:100], v[103:104], 1.0
	v_fma_f64 v[103:104], v[103:104], v[105:106], v[103:104]
	v_mul_f64 v[105:106], v[107:108], v[103:104]
	v_fma_f64 v[99:100], -v[99:100], v[105:106], v[107:108]
	v_div_fmas_f64 v[99:100], v[99:100], v[103:104], v[105:106]
	v_div_fixup_f64 v[103:104], v[99:100], v[97:98], 1.0
                                        ; implicit-def: $vgpr97_vgpr98
	v_mul_f64 v[101:102], v[101:102], v[103:104]
	v_xor_b32_e32 v104, 0x80000000, v104
.LBB115_320:
	s_andn2_saveexec_b64 s[2:3], s[2:3]
	s_cbranch_execz .LBB115_322
; %bb.321:
	v_div_scale_f64 v[101:102], s[6:7], v[97:98], v[97:98], v[99:100]
	v_rcp_f64_e32 v[103:104], v[101:102]
	v_fma_f64 v[105:106], -v[101:102], v[103:104], 1.0
	v_fma_f64 v[103:104], v[103:104], v[105:106], v[103:104]
	v_div_scale_f64 v[105:106], vcc, v[99:100], v[97:98], v[99:100]
	v_fma_f64 v[107:108], -v[101:102], v[103:104], 1.0
	v_fma_f64 v[103:104], v[103:104], v[107:108], v[103:104]
	v_mul_f64 v[107:108], v[105:106], v[103:104]
	v_fma_f64 v[101:102], -v[101:102], v[107:108], v[105:106]
	v_div_fmas_f64 v[101:102], v[101:102], v[103:104], v[107:108]
	v_div_fixup_f64 v[103:104], v[101:102], v[97:98], v[99:100]
	v_fma_f64 v[97:98], v[99:100], v[103:104], v[97:98]
	v_div_scale_f64 v[99:100], s[6:7], v[97:98], v[97:98], 1.0
	v_div_scale_f64 v[107:108], vcc, 1.0, v[97:98], 1.0
	v_rcp_f64_e32 v[101:102], v[99:100]
	v_fma_f64 v[105:106], -v[99:100], v[101:102], 1.0
	v_fma_f64 v[101:102], v[101:102], v[105:106], v[101:102]
	v_fma_f64 v[105:106], -v[99:100], v[101:102], 1.0
	v_fma_f64 v[101:102], v[101:102], v[105:106], v[101:102]
	v_mul_f64 v[105:106], v[107:108], v[101:102]
	v_fma_f64 v[99:100], -v[99:100], v[105:106], v[107:108]
	v_div_fmas_f64 v[99:100], v[99:100], v[101:102], v[105:106]
	v_div_fixup_f64 v[101:102], v[99:100], v[97:98], 1.0
	v_mul_f64 v[103:104], v[103:104], -v[101:102]
.LBB115_322:
	s_or_b64 exec, exec, s[2:3]
	ds_write2_b64 v127, v[101:102], v[103:104] offset1:1
.LBB115_323:
	s_or_b64 exec, exec, s[4:5]
	s_waitcnt lgkmcnt(0)
	s_barrier
	ds_read2_b64 v[87:90], v127 offset1:1
	v_cmp_lt_u32_e32 vcc, 35, v0
	s_waitcnt lgkmcnt(0)
	buffer_store_dword v87, off, s[20:23], 0 offset:1752 ; 4-byte Folded Spill
	s_nop 0
	buffer_store_dword v88, off, s[20:23], 0 offset:1756 ; 4-byte Folded Spill
	buffer_store_dword v89, off, s[20:23], 0 offset:1760 ; 4-byte Folded Spill
	;; [unrolled: 1-line block ×3, first 2 shown]
	s_and_saveexec_b64 s[2:3], vcc
	s_cbranch_execz .LBB115_325
; %bb.324:
	buffer_load_dword v87, off, s[20:23], 0 offset:1752 ; 4-byte Folded Reload
	buffer_load_dword v88, off, s[20:23], 0 offset:1756 ; 4-byte Folded Reload
	;; [unrolled: 1-line block ×4, first 2 shown]
	v_mov_b32_e32 v104, v94
	v_mov_b32_e32 v103, v93
	;; [unrolled: 1-line block ×4, first 2 shown]
	s_waitcnt vmcnt(0)
	v_mul_f64 v[97:98], v[89:90], v[93:94]
	v_fma_f64 v[97:98], v[87:88], v[91:92], -v[97:98]
	v_mul_f64 v[87:88], v[87:88], v[103:104]
	v_mov_b32_e32 v91, v97
	v_fma_f64 v[103:104], v[89:90], v[101:102], v[87:88]
	ds_read2_b64 v[99:102], v125 offset0:72 offset1:73
	buffer_load_dword v77, off, s[20:23], 0 offset:160 ; 4-byte Folded Reload
	buffer_load_dword v78, off, s[20:23], 0 offset:164 ; 4-byte Folded Reload
	;; [unrolled: 1-line block ×4, first 2 shown]
	v_mov_b32_e32 v92, v98
	s_waitcnt lgkmcnt(0)
	v_mul_f64 v[85:86], v[101:102], v[103:104]
	v_mov_b32_e32 v93, v103
	v_mov_b32_e32 v94, v104
	v_fma_f64 v[85:86], v[99:100], v[97:98], -v[85:86]
	v_mul_f64 v[99:100], v[99:100], v[103:104]
	v_fma_f64 v[99:100], v[101:102], v[97:98], v[99:100]
	s_waitcnt vmcnt(2)
	v_add_f64 v[77:78], v[77:78], -v[85:86]
	s_waitcnt vmcnt(0)
	v_add_f64 v[79:80], v[79:80], -v[99:100]
	buffer_store_dword v77, off, s[20:23], 0 offset:160 ; 4-byte Folded Spill
	s_nop 0
	buffer_store_dword v78, off, s[20:23], 0 offset:164 ; 4-byte Folded Spill
	buffer_store_dword v79, off, s[20:23], 0 offset:168 ; 4-byte Folded Spill
	buffer_store_dword v80, off, s[20:23], 0 offset:172 ; 4-byte Folded Spill
	ds_read2_b64 v[99:102], v125 offset0:74 offset1:75
	buffer_load_dword v77, off, s[20:23], 0 offset:144 ; 4-byte Folded Reload
	buffer_load_dword v78, off, s[20:23], 0 offset:148 ; 4-byte Folded Reload
	buffer_load_dword v79, off, s[20:23], 0 offset:152 ; 4-byte Folded Reload
	buffer_load_dword v80, off, s[20:23], 0 offset:156 ; 4-byte Folded Reload
	s_waitcnt lgkmcnt(0)
	v_mul_f64 v[85:86], v[101:102], v[103:104]
	v_fma_f64 v[85:86], v[99:100], v[97:98], -v[85:86]
	v_mul_f64 v[99:100], v[99:100], v[103:104]
	v_fma_f64 v[99:100], v[101:102], v[97:98], v[99:100]
	s_waitcnt vmcnt(2)
	v_add_f64 v[77:78], v[77:78], -v[85:86]
	s_waitcnt vmcnt(0)
	v_add_f64 v[79:80], v[79:80], -v[99:100]
	buffer_store_dword v77, off, s[20:23], 0 offset:144 ; 4-byte Folded Spill
	s_nop 0
	buffer_store_dword v78, off, s[20:23], 0 offset:148 ; 4-byte Folded Spill
	buffer_store_dword v79, off, s[20:23], 0 offset:152 ; 4-byte Folded Spill
	buffer_store_dword v80, off, s[20:23], 0 offset:156 ; 4-byte Folded Spill
	ds_read2_b64 v[99:102], v125 offset0:76 offset1:77
	buffer_load_dword v73, off, s[20:23], 0 offset:128 ; 4-byte Folded Reload
	buffer_load_dword v74, off, s[20:23], 0 offset:132 ; 4-byte Folded Reload
	buffer_load_dword v75, off, s[20:23], 0 offset:136 ; 4-byte Folded Reload
	buffer_load_dword v76, off, s[20:23], 0 offset:140 ; 4-byte Folded Reload
	s_waitcnt lgkmcnt(0)
	v_mul_f64 v[85:86], v[101:102], v[103:104]
	v_fma_f64 v[85:86], v[99:100], v[97:98], -v[85:86]
	v_mul_f64 v[99:100], v[99:100], v[103:104]
	v_fma_f64 v[99:100], v[101:102], v[97:98], v[99:100]
	s_waitcnt vmcnt(2)
	v_add_f64 v[73:74], v[73:74], -v[85:86]
	s_waitcnt vmcnt(0)
	v_add_f64 v[75:76], v[75:76], -v[99:100]
	buffer_store_dword v73, off, s[20:23], 0 offset:128 ; 4-byte Folded Spill
	s_nop 0
	buffer_store_dword v74, off, s[20:23], 0 offset:132 ; 4-byte Folded Spill
	buffer_store_dword v75, off, s[20:23], 0 offset:136 ; 4-byte Folded Spill
	buffer_store_dword v76, off, s[20:23], 0 offset:140 ; 4-byte Folded Spill
	ds_read2_b64 v[99:102], v125 offset0:78 offset1:79
	buffer_load_dword v69, off, s[20:23], 0 offset:112 ; 4-byte Folded Reload
	buffer_load_dword v70, off, s[20:23], 0 offset:116 ; 4-byte Folded Reload
	buffer_load_dword v71, off, s[20:23], 0 offset:120 ; 4-byte Folded Reload
	buffer_load_dword v72, off, s[20:23], 0 offset:124 ; 4-byte Folded Reload
	s_waitcnt lgkmcnt(0)
	v_mul_f64 v[85:86], v[101:102], v[103:104]
	v_fma_f64 v[85:86], v[99:100], v[97:98], -v[85:86]
	v_mul_f64 v[99:100], v[99:100], v[103:104]
	v_fma_f64 v[99:100], v[101:102], v[97:98], v[99:100]
	s_waitcnt vmcnt(2)
	v_add_f64 v[69:70], v[69:70], -v[85:86]
	s_waitcnt vmcnt(0)
	v_add_f64 v[71:72], v[71:72], -v[99:100]
	buffer_store_dword v69, off, s[20:23], 0 offset:112 ; 4-byte Folded Spill
	s_nop 0
	buffer_store_dword v70, off, s[20:23], 0 offset:116 ; 4-byte Folded Spill
	buffer_store_dword v71, off, s[20:23], 0 offset:120 ; 4-byte Folded Spill
	buffer_store_dword v72, off, s[20:23], 0 offset:124 ; 4-byte Folded Spill
	ds_read2_b64 v[99:102], v125 offset0:80 offset1:81
	buffer_load_dword v65, off, s[20:23], 0 offset:96 ; 4-byte Folded Reload
	buffer_load_dword v66, off, s[20:23], 0 offset:100 ; 4-byte Folded Reload
	buffer_load_dword v67, off, s[20:23], 0 offset:104 ; 4-byte Folded Reload
	buffer_load_dword v68, off, s[20:23], 0 offset:108 ; 4-byte Folded Reload
	s_waitcnt lgkmcnt(0)
	v_mul_f64 v[85:86], v[101:102], v[103:104]
	v_fma_f64 v[85:86], v[99:100], v[97:98], -v[85:86]
	v_mul_f64 v[99:100], v[99:100], v[103:104]
	v_fma_f64 v[99:100], v[101:102], v[97:98], v[99:100]
	s_waitcnt vmcnt(2)
	v_add_f64 v[65:66], v[65:66], -v[85:86]
	s_waitcnt vmcnt(0)
	v_add_f64 v[67:68], v[67:68], -v[99:100]
	buffer_store_dword v65, off, s[20:23], 0 offset:96 ; 4-byte Folded Spill
	s_nop 0
	buffer_store_dword v66, off, s[20:23], 0 offset:100 ; 4-byte Folded Spill
	buffer_store_dword v67, off, s[20:23], 0 offset:104 ; 4-byte Folded Spill
	buffer_store_dword v68, off, s[20:23], 0 offset:108 ; 4-byte Folded Spill
	ds_read2_b64 v[99:102], v125 offset0:82 offset1:83
	buffer_load_dword v61, off, s[20:23], 0 offset:80 ; 4-byte Folded Reload
	buffer_load_dword v62, off, s[20:23], 0 offset:84 ; 4-byte Folded Reload
	buffer_load_dword v63, off, s[20:23], 0 offset:88 ; 4-byte Folded Reload
	buffer_load_dword v64, off, s[20:23], 0 offset:92 ; 4-byte Folded Reload
	s_waitcnt lgkmcnt(0)
	v_mul_f64 v[85:86], v[101:102], v[103:104]
	v_fma_f64 v[85:86], v[99:100], v[97:98], -v[85:86]
	v_mul_f64 v[99:100], v[99:100], v[103:104]
	v_fma_f64 v[99:100], v[101:102], v[97:98], v[99:100]
	s_waitcnt vmcnt(2)
	v_add_f64 v[61:62], v[61:62], -v[85:86]
	s_waitcnt vmcnt(0)
	v_add_f64 v[63:64], v[63:64], -v[99:100]
	buffer_store_dword v61, off, s[20:23], 0 offset:80 ; 4-byte Folded Spill
	s_nop 0
	buffer_store_dword v62, off, s[20:23], 0 offset:84 ; 4-byte Folded Spill
	buffer_store_dword v63, off, s[20:23], 0 offset:88 ; 4-byte Folded Spill
	buffer_store_dword v64, off, s[20:23], 0 offset:92 ; 4-byte Folded Spill
	ds_read2_b64 v[99:102], v125 offset0:84 offset1:85
	buffer_load_dword v57, off, s[20:23], 0 offset:64 ; 4-byte Folded Reload
	buffer_load_dword v58, off, s[20:23], 0 offset:68 ; 4-byte Folded Reload
	buffer_load_dword v59, off, s[20:23], 0 offset:72 ; 4-byte Folded Reload
	buffer_load_dword v60, off, s[20:23], 0 offset:76 ; 4-byte Folded Reload
	s_waitcnt lgkmcnt(0)
	v_mul_f64 v[85:86], v[101:102], v[103:104]
	v_fma_f64 v[85:86], v[99:100], v[97:98], -v[85:86]
	v_mul_f64 v[99:100], v[99:100], v[103:104]
	v_fma_f64 v[99:100], v[101:102], v[97:98], v[99:100]
	s_waitcnt vmcnt(2)
	v_add_f64 v[57:58], v[57:58], -v[85:86]
	s_waitcnt vmcnt(0)
	v_add_f64 v[59:60], v[59:60], -v[99:100]
	buffer_store_dword v57, off, s[20:23], 0 offset:64 ; 4-byte Folded Spill
	s_nop 0
	buffer_store_dword v58, off, s[20:23], 0 offset:68 ; 4-byte Folded Spill
	buffer_store_dword v59, off, s[20:23], 0 offset:72 ; 4-byte Folded Spill
	buffer_store_dword v60, off, s[20:23], 0 offset:76 ; 4-byte Folded Spill
	ds_read2_b64 v[99:102], v125 offset0:86 offset1:87
	buffer_load_dword v53, off, s[20:23], 0 offset:48 ; 4-byte Folded Reload
	buffer_load_dword v54, off, s[20:23], 0 offset:52 ; 4-byte Folded Reload
	buffer_load_dword v55, off, s[20:23], 0 offset:56 ; 4-byte Folded Reload
	buffer_load_dword v56, off, s[20:23], 0 offset:60 ; 4-byte Folded Reload
	s_waitcnt lgkmcnt(0)
	v_mul_f64 v[85:86], v[101:102], v[103:104]
	v_fma_f64 v[85:86], v[99:100], v[97:98], -v[85:86]
	v_mul_f64 v[99:100], v[99:100], v[103:104]
	v_fma_f64 v[99:100], v[101:102], v[97:98], v[99:100]
	s_waitcnt vmcnt(2)
	v_add_f64 v[53:54], v[53:54], -v[85:86]
	s_waitcnt vmcnt(0)
	v_add_f64 v[55:56], v[55:56], -v[99:100]
	buffer_store_dword v53, off, s[20:23], 0 offset:48 ; 4-byte Folded Spill
	s_nop 0
	buffer_store_dword v54, off, s[20:23], 0 offset:52 ; 4-byte Folded Spill
	buffer_store_dword v55, off, s[20:23], 0 offset:56 ; 4-byte Folded Spill
	buffer_store_dword v56, off, s[20:23], 0 offset:60 ; 4-byte Folded Spill
	ds_read2_b64 v[99:102], v125 offset0:88 offset1:89
	buffer_load_dword v49, off, s[20:23], 0 offset:32 ; 4-byte Folded Reload
	buffer_load_dword v50, off, s[20:23], 0 offset:36 ; 4-byte Folded Reload
	buffer_load_dword v51, off, s[20:23], 0 offset:40 ; 4-byte Folded Reload
	buffer_load_dword v52, off, s[20:23], 0 offset:44 ; 4-byte Folded Reload
	s_waitcnt lgkmcnt(0)
	v_mul_f64 v[85:86], v[101:102], v[103:104]
	v_fma_f64 v[85:86], v[99:100], v[97:98], -v[85:86]
	v_mul_f64 v[99:100], v[99:100], v[103:104]
	v_fma_f64 v[99:100], v[101:102], v[97:98], v[99:100]
	s_waitcnt vmcnt(2)
	v_add_f64 v[49:50], v[49:50], -v[85:86]
	s_waitcnt vmcnt(0)
	v_add_f64 v[51:52], v[51:52], -v[99:100]
	buffer_store_dword v49, off, s[20:23], 0 offset:32 ; 4-byte Folded Spill
	s_nop 0
	buffer_store_dword v50, off, s[20:23], 0 offset:36 ; 4-byte Folded Spill
	buffer_store_dword v51, off, s[20:23], 0 offset:40 ; 4-byte Folded Spill
	buffer_store_dword v52, off, s[20:23], 0 offset:44 ; 4-byte Folded Spill
	ds_read2_b64 v[99:102], v125 offset0:90 offset1:91
	buffer_load_dword v45, off, s[20:23], 0 offset:16 ; 4-byte Folded Reload
	buffer_load_dword v46, off, s[20:23], 0 offset:20 ; 4-byte Folded Reload
	buffer_load_dword v47, off, s[20:23], 0 offset:24 ; 4-byte Folded Reload
	buffer_load_dword v48, off, s[20:23], 0 offset:28 ; 4-byte Folded Reload
	s_waitcnt lgkmcnt(0)
	v_mul_f64 v[85:86], v[101:102], v[103:104]
	v_fma_f64 v[85:86], v[99:100], v[97:98], -v[85:86]
	v_mul_f64 v[99:100], v[99:100], v[103:104]
	v_fma_f64 v[99:100], v[101:102], v[97:98], v[99:100]
	s_waitcnt vmcnt(2)
	v_add_f64 v[45:46], v[45:46], -v[85:86]
	s_waitcnt vmcnt(0)
	v_add_f64 v[47:48], v[47:48], -v[99:100]
	buffer_store_dword v45, off, s[20:23], 0 offset:16 ; 4-byte Folded Spill
	s_nop 0
	buffer_store_dword v46, off, s[20:23], 0 offset:20 ; 4-byte Folded Spill
	buffer_store_dword v47, off, s[20:23], 0 offset:24 ; 4-byte Folded Spill
	;; [unrolled: 1-line block ×3, first 2 shown]
	ds_read2_b64 v[99:102], v125 offset0:92 offset1:93
	buffer_load_dword v41, off, s[20:23], 0 ; 4-byte Folded Reload
	buffer_load_dword v42, off, s[20:23], 0 offset:4 ; 4-byte Folded Reload
	buffer_load_dword v43, off, s[20:23], 0 offset:8 ; 4-byte Folded Reload
	;; [unrolled: 1-line block ×3, first 2 shown]
	s_waitcnt lgkmcnt(0)
	v_mul_f64 v[85:86], v[101:102], v[103:104]
	v_fma_f64 v[85:86], v[99:100], v[97:98], -v[85:86]
	v_mul_f64 v[99:100], v[99:100], v[103:104]
	v_fma_f64 v[99:100], v[101:102], v[97:98], v[99:100]
	s_waitcnt vmcnt(2)
	v_add_f64 v[41:42], v[41:42], -v[85:86]
	s_waitcnt vmcnt(0)
	v_add_f64 v[43:44], v[43:44], -v[99:100]
	buffer_store_dword v41, off, s[20:23], 0 ; 4-byte Folded Spill
	s_nop 0
	buffer_store_dword v42, off, s[20:23], 0 offset:4 ; 4-byte Folded Spill
	buffer_store_dword v43, off, s[20:23], 0 offset:8 ; 4-byte Folded Spill
	;; [unrolled: 1-line block ×3, first 2 shown]
	ds_read2_b64 v[99:102], v125 offset0:94 offset1:95
	s_waitcnt lgkmcnt(0)
	v_mul_f64 v[85:86], v[101:102], v[103:104]
	v_fma_f64 v[85:86], v[99:100], v[97:98], -v[85:86]
	v_mul_f64 v[99:100], v[99:100], v[103:104]
	v_add_f64 v[37:38], v[37:38], -v[85:86]
	v_fma_f64 v[99:100], v[101:102], v[97:98], v[99:100]
	v_add_f64 v[39:40], v[39:40], -v[99:100]
	ds_read2_b64 v[99:102], v125 offset0:96 offset1:97
	s_waitcnt lgkmcnt(0)
	v_mul_f64 v[85:86], v[101:102], v[103:104]
	v_fma_f64 v[85:86], v[99:100], v[97:98], -v[85:86]
	v_mul_f64 v[99:100], v[99:100], v[103:104]
	v_add_f64 v[33:34], v[33:34], -v[85:86]
	v_fma_f64 v[99:100], v[101:102], v[97:98], v[99:100]
	v_add_f64 v[35:36], v[35:36], -v[99:100]
	;; [unrolled: 8-line block ×11, first 2 shown]
.LBB115_325:
	s_or_b64 exec, exec, s[2:3]
	v_cmp_eq_u32_e32 vcc, 36, v0
	s_waitcnt vmcnt(0)
	s_barrier
	s_and_saveexec_b64 s[4:5], vcc
	s_cbranch_execz .LBB115_332
; %bb.326:
	buffer_load_dword v77, off, s[20:23], 0 offset:160 ; 4-byte Folded Reload
	buffer_load_dword v78, off, s[20:23], 0 offset:164 ; 4-byte Folded Reload
	buffer_load_dword v79, off, s[20:23], 0 offset:168 ; 4-byte Folded Reload
	buffer_load_dword v80, off, s[20:23], 0 offset:172 ; 4-byte Folded Reload
	s_waitcnt vmcnt(0)
	ds_write2_b64 v127, v[77:78], v[79:80] offset1:1
	buffer_load_dword v77, off, s[20:23], 0 offset:144 ; 4-byte Folded Reload
	buffer_load_dword v78, off, s[20:23], 0 offset:148 ; 4-byte Folded Reload
	buffer_load_dword v79, off, s[20:23], 0 offset:152 ; 4-byte Folded Reload
	buffer_load_dword v80, off, s[20:23], 0 offset:156 ; 4-byte Folded Reload
	s_waitcnt vmcnt(0)
	ds_write2_b64 v125, v[77:78], v[79:80] offset0:74 offset1:75
	buffer_load_dword v73, off, s[20:23], 0 offset:128 ; 4-byte Folded Reload
	buffer_load_dword v74, off, s[20:23], 0 offset:132 ; 4-byte Folded Reload
	buffer_load_dword v75, off, s[20:23], 0 offset:136 ; 4-byte Folded Reload
	buffer_load_dword v76, off, s[20:23], 0 offset:140 ; 4-byte Folded Reload
	s_waitcnt vmcnt(0)
	ds_write2_b64 v125, v[73:74], v[75:76] offset0:76 offset1:77
	;; [unrolled: 6-line block ×9, first 2 shown]
	buffer_load_dword v41, off, s[20:23], 0 ; 4-byte Folded Reload
	buffer_load_dword v42, off, s[20:23], 0 offset:4 ; 4-byte Folded Reload
	buffer_load_dword v43, off, s[20:23], 0 offset:8 ; 4-byte Folded Reload
	;; [unrolled: 1-line block ×3, first 2 shown]
	s_waitcnt vmcnt(0)
	ds_write2_b64 v125, v[41:42], v[43:44] offset0:92 offset1:93
	ds_write2_b64 v125, v[37:38], v[39:40] offset0:94 offset1:95
	;; [unrolled: 1-line block ×12, first 2 shown]
	ds_read2_b64 v[97:100], v127 offset1:1
	s_waitcnt lgkmcnt(0)
	v_cmp_neq_f64_e32 vcc, 0, v[97:98]
	v_cmp_neq_f64_e64 s[2:3], 0, v[99:100]
	s_or_b64 s[2:3], vcc, s[2:3]
	s_and_b64 exec, exec, s[2:3]
	s_cbranch_execz .LBB115_332
; %bb.327:
	v_cmp_ngt_f64_e64 s[2:3], |v[97:98]|, |v[99:100]|
                                        ; implicit-def: $vgpr101_vgpr102
	s_and_saveexec_b64 s[6:7], s[2:3]
	s_xor_b64 s[2:3], exec, s[6:7]
                                        ; implicit-def: $vgpr103_vgpr104
	s_cbranch_execz .LBB115_329
; %bb.328:
	v_div_scale_f64 v[101:102], s[6:7], v[99:100], v[99:100], v[97:98]
	v_rcp_f64_e32 v[103:104], v[101:102]
	v_fma_f64 v[105:106], -v[101:102], v[103:104], 1.0
	v_fma_f64 v[103:104], v[103:104], v[105:106], v[103:104]
	v_div_scale_f64 v[105:106], vcc, v[97:98], v[99:100], v[97:98]
	v_fma_f64 v[107:108], -v[101:102], v[103:104], 1.0
	v_fma_f64 v[103:104], v[103:104], v[107:108], v[103:104]
	v_mul_f64 v[107:108], v[105:106], v[103:104]
	v_fma_f64 v[101:102], -v[101:102], v[107:108], v[105:106]
	v_div_fmas_f64 v[101:102], v[101:102], v[103:104], v[107:108]
	v_div_fixup_f64 v[101:102], v[101:102], v[99:100], v[97:98]
	v_fma_f64 v[97:98], v[97:98], v[101:102], v[99:100]
	v_div_scale_f64 v[99:100], s[6:7], v[97:98], v[97:98], 1.0
	v_div_scale_f64 v[107:108], vcc, 1.0, v[97:98], 1.0
	v_rcp_f64_e32 v[103:104], v[99:100]
	v_fma_f64 v[105:106], -v[99:100], v[103:104], 1.0
	v_fma_f64 v[103:104], v[103:104], v[105:106], v[103:104]
	v_fma_f64 v[105:106], -v[99:100], v[103:104], 1.0
	v_fma_f64 v[103:104], v[103:104], v[105:106], v[103:104]
	v_mul_f64 v[105:106], v[107:108], v[103:104]
	v_fma_f64 v[99:100], -v[99:100], v[105:106], v[107:108]
	v_div_fmas_f64 v[99:100], v[99:100], v[103:104], v[105:106]
	v_div_fixup_f64 v[103:104], v[99:100], v[97:98], 1.0
                                        ; implicit-def: $vgpr97_vgpr98
	v_mul_f64 v[101:102], v[101:102], v[103:104]
	v_xor_b32_e32 v104, 0x80000000, v104
.LBB115_329:
	s_andn2_saveexec_b64 s[2:3], s[2:3]
	s_cbranch_execz .LBB115_331
; %bb.330:
	v_div_scale_f64 v[101:102], s[6:7], v[97:98], v[97:98], v[99:100]
	v_rcp_f64_e32 v[103:104], v[101:102]
	v_fma_f64 v[105:106], -v[101:102], v[103:104], 1.0
	v_fma_f64 v[103:104], v[103:104], v[105:106], v[103:104]
	v_div_scale_f64 v[105:106], vcc, v[99:100], v[97:98], v[99:100]
	v_fma_f64 v[107:108], -v[101:102], v[103:104], 1.0
	v_fma_f64 v[103:104], v[103:104], v[107:108], v[103:104]
	v_mul_f64 v[107:108], v[105:106], v[103:104]
	v_fma_f64 v[101:102], -v[101:102], v[107:108], v[105:106]
	v_div_fmas_f64 v[101:102], v[101:102], v[103:104], v[107:108]
	v_div_fixup_f64 v[103:104], v[101:102], v[97:98], v[99:100]
	v_fma_f64 v[97:98], v[99:100], v[103:104], v[97:98]
	v_div_scale_f64 v[99:100], s[6:7], v[97:98], v[97:98], 1.0
	v_div_scale_f64 v[107:108], vcc, 1.0, v[97:98], 1.0
	v_rcp_f64_e32 v[101:102], v[99:100]
	v_fma_f64 v[105:106], -v[99:100], v[101:102], 1.0
	v_fma_f64 v[101:102], v[101:102], v[105:106], v[101:102]
	v_fma_f64 v[105:106], -v[99:100], v[101:102], 1.0
	v_fma_f64 v[101:102], v[101:102], v[105:106], v[101:102]
	v_mul_f64 v[105:106], v[107:108], v[101:102]
	v_fma_f64 v[99:100], -v[99:100], v[105:106], v[107:108]
	v_div_fmas_f64 v[99:100], v[99:100], v[101:102], v[105:106]
	v_div_fixup_f64 v[101:102], v[99:100], v[97:98], 1.0
	v_mul_f64 v[103:104], v[103:104], -v[101:102]
.LBB115_331:
	s_or_b64 exec, exec, s[2:3]
	ds_write2_b64 v127, v[101:102], v[103:104] offset1:1
.LBB115_332:
	s_or_b64 exec, exec, s[4:5]
	s_waitcnt lgkmcnt(0)
	s_barrier
	ds_read2_b64 v[85:88], v127 offset1:1
	v_cmp_lt_u32_e32 vcc, 36, v0
	s_waitcnt lgkmcnt(0)
	buffer_store_dword v85, off, s[20:23], 0 offset:1792 ; 4-byte Folded Spill
	s_nop 0
	buffer_store_dword v86, off, s[20:23], 0 offset:1796 ; 4-byte Folded Spill
	buffer_store_dword v87, off, s[20:23], 0 offset:1800 ; 4-byte Folded Spill
	;; [unrolled: 1-line block ×3, first 2 shown]
	s_and_saveexec_b64 s[2:3], vcc
	s_cbranch_execz .LBB115_334
; %bb.333:
	buffer_load_dword v85, off, s[20:23], 0 offset:1792 ; 4-byte Folded Reload
	buffer_load_dword v86, off, s[20:23], 0 offset:1796 ; 4-byte Folded Reload
	;; [unrolled: 1-line block ×8, first 2 shown]
	ds_read2_b64 v[99:102], v125 offset0:74 offset1:75
	buffer_load_dword v77, off, s[20:23], 0 offset:144 ; 4-byte Folded Reload
	buffer_load_dword v78, off, s[20:23], 0 offset:148 ; 4-byte Folded Reload
	;; [unrolled: 1-line block ×4, first 2 shown]
	s_waitcnt vmcnt(4)
	v_mul_f64 v[97:98], v[87:88], v[83:84]
	v_mul_f64 v[83:84], v[85:86], v[83:84]
	v_fma_f64 v[97:98], v[85:86], v[81:82], -v[97:98]
	v_fma_f64 v[83:84], v[87:88], v[81:82], v[83:84]
	s_waitcnt lgkmcnt(0)
	v_mul_f64 v[81:82], v[101:102], v[83:84]
	v_fma_f64 v[81:82], v[99:100], v[97:98], -v[81:82]
	v_mul_f64 v[99:100], v[99:100], v[83:84]
	s_waitcnt vmcnt(2)
	v_add_f64 v[77:78], v[77:78], -v[81:82]
	v_fma_f64 v[99:100], v[101:102], v[97:98], v[99:100]
	s_waitcnt vmcnt(0)
	v_add_f64 v[79:80], v[79:80], -v[99:100]
	buffer_store_dword v77, off, s[20:23], 0 offset:144 ; 4-byte Folded Spill
	s_nop 0
	buffer_store_dword v78, off, s[20:23], 0 offset:148 ; 4-byte Folded Spill
	buffer_store_dword v79, off, s[20:23], 0 offset:152 ; 4-byte Folded Spill
	buffer_store_dword v80, off, s[20:23], 0 offset:156 ; 4-byte Folded Spill
	ds_read2_b64 v[99:102], v125 offset0:76 offset1:77
	buffer_load_dword v73, off, s[20:23], 0 offset:128 ; 4-byte Folded Reload
	buffer_load_dword v74, off, s[20:23], 0 offset:132 ; 4-byte Folded Reload
	buffer_load_dword v75, off, s[20:23], 0 offset:136 ; 4-byte Folded Reload
	buffer_load_dword v76, off, s[20:23], 0 offset:140 ; 4-byte Folded Reload
	s_waitcnt lgkmcnt(0)
	v_mul_f64 v[81:82], v[101:102], v[83:84]
	v_fma_f64 v[81:82], v[99:100], v[97:98], -v[81:82]
	v_mul_f64 v[99:100], v[99:100], v[83:84]
	v_fma_f64 v[99:100], v[101:102], v[97:98], v[99:100]
	s_waitcnt vmcnt(2)
	v_add_f64 v[73:74], v[73:74], -v[81:82]
	s_waitcnt vmcnt(0)
	v_add_f64 v[75:76], v[75:76], -v[99:100]
	buffer_store_dword v73, off, s[20:23], 0 offset:128 ; 4-byte Folded Spill
	s_nop 0
	buffer_store_dword v74, off, s[20:23], 0 offset:132 ; 4-byte Folded Spill
	buffer_store_dword v75, off, s[20:23], 0 offset:136 ; 4-byte Folded Spill
	buffer_store_dword v76, off, s[20:23], 0 offset:140 ; 4-byte Folded Spill
	ds_read2_b64 v[99:102], v125 offset0:78 offset1:79
	buffer_load_dword v69, off, s[20:23], 0 offset:112 ; 4-byte Folded Reload
	buffer_load_dword v70, off, s[20:23], 0 offset:116 ; 4-byte Folded Reload
	buffer_load_dword v71, off, s[20:23], 0 offset:120 ; 4-byte Folded Reload
	buffer_load_dword v72, off, s[20:23], 0 offset:124 ; 4-byte Folded Reload
	s_waitcnt lgkmcnt(0)
	v_mul_f64 v[81:82], v[101:102], v[83:84]
	v_fma_f64 v[81:82], v[99:100], v[97:98], -v[81:82]
	v_mul_f64 v[99:100], v[99:100], v[83:84]
	v_fma_f64 v[99:100], v[101:102], v[97:98], v[99:100]
	s_waitcnt vmcnt(2)
	v_add_f64 v[69:70], v[69:70], -v[81:82]
	;; [unrolled: 19-line block ×8, first 2 shown]
	s_waitcnt vmcnt(0)
	v_add_f64 v[47:48], v[47:48], -v[99:100]
	buffer_store_dword v45, off, s[20:23], 0 offset:16 ; 4-byte Folded Spill
	s_nop 0
	buffer_store_dword v46, off, s[20:23], 0 offset:20 ; 4-byte Folded Spill
	buffer_store_dword v47, off, s[20:23], 0 offset:24 ; 4-byte Folded Spill
	;; [unrolled: 1-line block ×3, first 2 shown]
	ds_read2_b64 v[99:102], v125 offset0:92 offset1:93
	buffer_load_dword v41, off, s[20:23], 0 ; 4-byte Folded Reload
	buffer_load_dword v42, off, s[20:23], 0 offset:4 ; 4-byte Folded Reload
	buffer_load_dword v43, off, s[20:23], 0 offset:8 ; 4-byte Folded Reload
	;; [unrolled: 1-line block ×3, first 2 shown]
	s_waitcnt lgkmcnt(0)
	v_mul_f64 v[81:82], v[101:102], v[83:84]
	v_fma_f64 v[81:82], v[99:100], v[97:98], -v[81:82]
	v_mul_f64 v[99:100], v[99:100], v[83:84]
	v_fma_f64 v[99:100], v[101:102], v[97:98], v[99:100]
	s_waitcnt vmcnt(2)
	v_add_f64 v[41:42], v[41:42], -v[81:82]
	s_waitcnt vmcnt(0)
	v_add_f64 v[43:44], v[43:44], -v[99:100]
	buffer_store_dword v41, off, s[20:23], 0 ; 4-byte Folded Spill
	s_nop 0
	buffer_store_dword v42, off, s[20:23], 0 offset:4 ; 4-byte Folded Spill
	buffer_store_dword v43, off, s[20:23], 0 offset:8 ; 4-byte Folded Spill
	;; [unrolled: 1-line block ×3, first 2 shown]
	ds_read2_b64 v[99:102], v125 offset0:94 offset1:95
	s_waitcnt lgkmcnt(0)
	v_mul_f64 v[81:82], v[101:102], v[83:84]
	v_fma_f64 v[81:82], v[99:100], v[97:98], -v[81:82]
	v_mul_f64 v[99:100], v[99:100], v[83:84]
	v_add_f64 v[37:38], v[37:38], -v[81:82]
	v_fma_f64 v[99:100], v[101:102], v[97:98], v[99:100]
	v_add_f64 v[39:40], v[39:40], -v[99:100]
	ds_read2_b64 v[99:102], v125 offset0:96 offset1:97
	s_waitcnt lgkmcnt(0)
	v_mul_f64 v[81:82], v[101:102], v[83:84]
	v_fma_f64 v[81:82], v[99:100], v[97:98], -v[81:82]
	v_mul_f64 v[99:100], v[99:100], v[83:84]
	v_add_f64 v[33:34], v[33:34], -v[81:82]
	v_fma_f64 v[99:100], v[101:102], v[97:98], v[99:100]
	v_add_f64 v[35:36], v[35:36], -v[99:100]
	;; [unrolled: 8-line block ×10, first 2 shown]
	ds_read2_b64 v[99:102], v125 offset0:114 offset1:115
	s_waitcnt lgkmcnt(0)
	v_mul_f64 v[81:82], v[101:102], v[83:84]
	v_fma_f64 v[81:82], v[99:100], v[97:98], -v[81:82]
	v_mul_f64 v[99:100], v[99:100], v[83:84]
	v_add_f64 v[121:122], v[121:122], -v[81:82]
	v_fma_f64 v[99:100], v[101:102], v[97:98], v[99:100]
	v_mov_b32_e32 v81, v97
	v_mov_b32_e32 v82, v98
	buffer_store_dword v81, off, s[20:23], 0 offset:160 ; 4-byte Folded Spill
	s_nop 0
	buffer_store_dword v82, off, s[20:23], 0 offset:164 ; 4-byte Folded Spill
	buffer_store_dword v83, off, s[20:23], 0 offset:168 ; 4-byte Folded Spill
	;; [unrolled: 1-line block ×3, first 2 shown]
	v_add_f64 v[123:124], v[123:124], -v[99:100]
.LBB115_334:
	s_or_b64 exec, exec, s[2:3]
	v_cmp_eq_u32_e32 vcc, 37, v0
	s_waitcnt vmcnt(0)
	s_barrier
	s_and_saveexec_b64 s[4:5], vcc
	s_cbranch_execz .LBB115_341
; %bb.335:
	buffer_load_dword v77, off, s[20:23], 0 offset:144 ; 4-byte Folded Reload
	buffer_load_dword v78, off, s[20:23], 0 offset:148 ; 4-byte Folded Reload
	;; [unrolled: 1-line block ×4, first 2 shown]
	s_waitcnt vmcnt(0)
	ds_write2_b64 v127, v[77:78], v[79:80] offset1:1
	buffer_load_dword v73, off, s[20:23], 0 offset:128 ; 4-byte Folded Reload
	buffer_load_dword v74, off, s[20:23], 0 offset:132 ; 4-byte Folded Reload
	buffer_load_dword v75, off, s[20:23], 0 offset:136 ; 4-byte Folded Reload
	buffer_load_dword v76, off, s[20:23], 0 offset:140 ; 4-byte Folded Reload
	s_waitcnt vmcnt(0)
	ds_write2_b64 v125, v[73:74], v[75:76] offset0:76 offset1:77
	buffer_load_dword v69, off, s[20:23], 0 offset:112 ; 4-byte Folded Reload
	buffer_load_dword v70, off, s[20:23], 0 offset:116 ; 4-byte Folded Reload
	buffer_load_dword v71, off, s[20:23], 0 offset:120 ; 4-byte Folded Reload
	buffer_load_dword v72, off, s[20:23], 0 offset:124 ; 4-byte Folded Reload
	s_waitcnt vmcnt(0)
	ds_write2_b64 v125, v[69:70], v[71:72] offset0:78 offset1:79
	buffer_load_dword v65, off, s[20:23], 0 offset:96 ; 4-byte Folded Reload
	buffer_load_dword v66, off, s[20:23], 0 offset:100 ; 4-byte Folded Reload
	buffer_load_dword v67, off, s[20:23], 0 offset:104 ; 4-byte Folded Reload
	buffer_load_dword v68, off, s[20:23], 0 offset:108 ; 4-byte Folded Reload
	s_waitcnt vmcnt(0)
	ds_write2_b64 v125, v[65:66], v[67:68] offset0:80 offset1:81
	buffer_load_dword v61, off, s[20:23], 0 offset:80 ; 4-byte Folded Reload
	buffer_load_dword v62, off, s[20:23], 0 offset:84 ; 4-byte Folded Reload
	buffer_load_dword v63, off, s[20:23], 0 offset:88 ; 4-byte Folded Reload
	buffer_load_dword v64, off, s[20:23], 0 offset:92 ; 4-byte Folded Reload
	s_waitcnt vmcnt(0)
	ds_write2_b64 v125, v[61:62], v[63:64] offset0:82 offset1:83
	buffer_load_dword v57, off, s[20:23], 0 offset:64 ; 4-byte Folded Reload
	buffer_load_dword v58, off, s[20:23], 0 offset:68 ; 4-byte Folded Reload
	buffer_load_dword v59, off, s[20:23], 0 offset:72 ; 4-byte Folded Reload
	buffer_load_dword v60, off, s[20:23], 0 offset:76 ; 4-byte Folded Reload
	s_waitcnt vmcnt(0)
	ds_write2_b64 v125, v[57:58], v[59:60] offset0:84 offset1:85
	buffer_load_dword v53, off, s[20:23], 0 offset:48 ; 4-byte Folded Reload
	buffer_load_dword v54, off, s[20:23], 0 offset:52 ; 4-byte Folded Reload
	buffer_load_dword v55, off, s[20:23], 0 offset:56 ; 4-byte Folded Reload
	buffer_load_dword v56, off, s[20:23], 0 offset:60 ; 4-byte Folded Reload
	s_waitcnt vmcnt(0)
	ds_write2_b64 v125, v[53:54], v[55:56] offset0:86 offset1:87
	buffer_load_dword v49, off, s[20:23], 0 offset:32 ; 4-byte Folded Reload
	buffer_load_dword v50, off, s[20:23], 0 offset:36 ; 4-byte Folded Reload
	buffer_load_dword v51, off, s[20:23], 0 offset:40 ; 4-byte Folded Reload
	buffer_load_dword v52, off, s[20:23], 0 offset:44 ; 4-byte Folded Reload
	s_waitcnt vmcnt(0)
	ds_write2_b64 v125, v[49:50], v[51:52] offset0:88 offset1:89
	buffer_load_dword v45, off, s[20:23], 0 offset:16 ; 4-byte Folded Reload
	buffer_load_dword v46, off, s[20:23], 0 offset:20 ; 4-byte Folded Reload
	buffer_load_dword v47, off, s[20:23], 0 offset:24 ; 4-byte Folded Reload
	buffer_load_dword v48, off, s[20:23], 0 offset:28 ; 4-byte Folded Reload
	s_waitcnt vmcnt(0)
	ds_write2_b64 v125, v[45:46], v[47:48] offset0:90 offset1:91
	buffer_load_dword v41, off, s[20:23], 0 ; 4-byte Folded Reload
	buffer_load_dword v42, off, s[20:23], 0 offset:4 ; 4-byte Folded Reload
	buffer_load_dword v43, off, s[20:23], 0 offset:8 ; 4-byte Folded Reload
	;; [unrolled: 1-line block ×3, first 2 shown]
	s_waitcnt vmcnt(0)
	ds_write2_b64 v125, v[41:42], v[43:44] offset0:92 offset1:93
	ds_write2_b64 v125, v[37:38], v[39:40] offset0:94 offset1:95
	;; [unrolled: 1-line block ×12, first 2 shown]
	ds_read2_b64 v[97:100], v127 offset1:1
	s_waitcnt lgkmcnt(0)
	v_cmp_neq_f64_e32 vcc, 0, v[97:98]
	v_cmp_neq_f64_e64 s[2:3], 0, v[99:100]
	s_or_b64 s[2:3], vcc, s[2:3]
	s_and_b64 exec, exec, s[2:3]
	s_cbranch_execz .LBB115_341
; %bb.336:
	v_cmp_ngt_f64_e64 s[2:3], |v[97:98]|, |v[99:100]|
                                        ; implicit-def: $vgpr101_vgpr102
	s_and_saveexec_b64 s[6:7], s[2:3]
	s_xor_b64 s[2:3], exec, s[6:7]
                                        ; implicit-def: $vgpr103_vgpr104
	s_cbranch_execz .LBB115_338
; %bb.337:
	v_div_scale_f64 v[101:102], s[6:7], v[99:100], v[99:100], v[97:98]
	v_rcp_f64_e32 v[103:104], v[101:102]
	v_fma_f64 v[105:106], -v[101:102], v[103:104], 1.0
	v_fma_f64 v[103:104], v[103:104], v[105:106], v[103:104]
	v_div_scale_f64 v[105:106], vcc, v[97:98], v[99:100], v[97:98]
	v_fma_f64 v[107:108], -v[101:102], v[103:104], 1.0
	v_fma_f64 v[103:104], v[103:104], v[107:108], v[103:104]
	v_mul_f64 v[107:108], v[105:106], v[103:104]
	v_fma_f64 v[101:102], -v[101:102], v[107:108], v[105:106]
	v_div_fmas_f64 v[101:102], v[101:102], v[103:104], v[107:108]
	v_div_fixup_f64 v[101:102], v[101:102], v[99:100], v[97:98]
	v_fma_f64 v[97:98], v[97:98], v[101:102], v[99:100]
	v_div_scale_f64 v[99:100], s[6:7], v[97:98], v[97:98], 1.0
	v_div_scale_f64 v[107:108], vcc, 1.0, v[97:98], 1.0
	v_rcp_f64_e32 v[103:104], v[99:100]
	v_fma_f64 v[105:106], -v[99:100], v[103:104], 1.0
	v_fma_f64 v[103:104], v[103:104], v[105:106], v[103:104]
	v_fma_f64 v[105:106], -v[99:100], v[103:104], 1.0
	v_fma_f64 v[103:104], v[103:104], v[105:106], v[103:104]
	v_mul_f64 v[105:106], v[107:108], v[103:104]
	v_fma_f64 v[99:100], -v[99:100], v[105:106], v[107:108]
	v_div_fmas_f64 v[99:100], v[99:100], v[103:104], v[105:106]
	v_div_fixup_f64 v[103:104], v[99:100], v[97:98], 1.0
                                        ; implicit-def: $vgpr97_vgpr98
	v_mul_f64 v[101:102], v[101:102], v[103:104]
	v_xor_b32_e32 v104, 0x80000000, v104
.LBB115_338:
	s_andn2_saveexec_b64 s[2:3], s[2:3]
	s_cbranch_execz .LBB115_340
; %bb.339:
	v_div_scale_f64 v[101:102], s[6:7], v[97:98], v[97:98], v[99:100]
	v_rcp_f64_e32 v[103:104], v[101:102]
	v_fma_f64 v[105:106], -v[101:102], v[103:104], 1.0
	v_fma_f64 v[103:104], v[103:104], v[105:106], v[103:104]
	v_div_scale_f64 v[105:106], vcc, v[99:100], v[97:98], v[99:100]
	v_fma_f64 v[107:108], -v[101:102], v[103:104], 1.0
	v_fma_f64 v[103:104], v[103:104], v[107:108], v[103:104]
	v_mul_f64 v[107:108], v[105:106], v[103:104]
	v_fma_f64 v[101:102], -v[101:102], v[107:108], v[105:106]
	v_div_fmas_f64 v[101:102], v[101:102], v[103:104], v[107:108]
	v_div_fixup_f64 v[103:104], v[101:102], v[97:98], v[99:100]
	v_fma_f64 v[97:98], v[99:100], v[103:104], v[97:98]
	v_div_scale_f64 v[99:100], s[6:7], v[97:98], v[97:98], 1.0
	v_div_scale_f64 v[107:108], vcc, 1.0, v[97:98], 1.0
	v_rcp_f64_e32 v[101:102], v[99:100]
	v_fma_f64 v[105:106], -v[99:100], v[101:102], 1.0
	v_fma_f64 v[101:102], v[101:102], v[105:106], v[101:102]
	v_fma_f64 v[105:106], -v[99:100], v[101:102], 1.0
	v_fma_f64 v[101:102], v[101:102], v[105:106], v[101:102]
	v_mul_f64 v[105:106], v[107:108], v[101:102]
	v_fma_f64 v[99:100], -v[99:100], v[105:106], v[107:108]
	v_div_fmas_f64 v[99:100], v[99:100], v[101:102], v[105:106]
	v_div_fixup_f64 v[101:102], v[99:100], v[97:98], 1.0
	v_mul_f64 v[103:104], v[103:104], -v[101:102]
.LBB115_340:
	s_or_b64 exec, exec, s[2:3]
	ds_write2_b64 v127, v[101:102], v[103:104] offset1:1
.LBB115_341:
	s_or_b64 exec, exec, s[4:5]
	s_waitcnt lgkmcnt(0)
	s_barrier
	ds_read2_b64 v[117:120], v127 offset1:1
	v_cmp_lt_u32_e32 vcc, 37, v0
	s_and_saveexec_b64 s[2:3], vcc
	s_cbranch_execz .LBB115_343
; %bb.342:
	buffer_load_dword v77, off, s[20:23], 0 offset:144 ; 4-byte Folded Reload
	buffer_load_dword v78, off, s[20:23], 0 offset:148 ; 4-byte Folded Reload
	;; [unrolled: 1-line block ×4, first 2 shown]
	ds_read2_b64 v[99:102], v125 offset0:76 offset1:77
	buffer_load_dword v73, off, s[20:23], 0 offset:128 ; 4-byte Folded Reload
	buffer_load_dword v74, off, s[20:23], 0 offset:132 ; 4-byte Folded Reload
	;; [unrolled: 1-line block ×4, first 2 shown]
	s_waitcnt vmcnt(4) lgkmcnt(1)
	v_mul_f64 v[97:98], v[119:120], v[79:80]
	v_mul_f64 v[79:80], v[117:118], v[79:80]
	v_fma_f64 v[97:98], v[117:118], v[77:78], -v[97:98]
	v_fma_f64 v[79:80], v[119:120], v[77:78], v[79:80]
	s_waitcnt lgkmcnt(0)
	v_mul_f64 v[77:78], v[101:102], v[79:80]
	v_fma_f64 v[77:78], v[99:100], v[97:98], -v[77:78]
	v_mul_f64 v[99:100], v[99:100], v[79:80]
	s_waitcnt vmcnt(2)
	v_add_f64 v[73:74], v[73:74], -v[77:78]
	v_fma_f64 v[99:100], v[101:102], v[97:98], v[99:100]
	s_waitcnt vmcnt(0)
	v_add_f64 v[75:76], v[75:76], -v[99:100]
	buffer_store_dword v73, off, s[20:23], 0 offset:128 ; 4-byte Folded Spill
	s_nop 0
	buffer_store_dword v74, off, s[20:23], 0 offset:132 ; 4-byte Folded Spill
	buffer_store_dword v75, off, s[20:23], 0 offset:136 ; 4-byte Folded Spill
	buffer_store_dword v76, off, s[20:23], 0 offset:140 ; 4-byte Folded Spill
	ds_read2_b64 v[99:102], v125 offset0:78 offset1:79
	buffer_load_dword v69, off, s[20:23], 0 offset:112 ; 4-byte Folded Reload
	buffer_load_dword v70, off, s[20:23], 0 offset:116 ; 4-byte Folded Reload
	buffer_load_dword v71, off, s[20:23], 0 offset:120 ; 4-byte Folded Reload
	buffer_load_dword v72, off, s[20:23], 0 offset:124 ; 4-byte Folded Reload
	s_waitcnt lgkmcnt(0)
	v_mul_f64 v[77:78], v[101:102], v[79:80]
	v_fma_f64 v[77:78], v[99:100], v[97:98], -v[77:78]
	v_mul_f64 v[99:100], v[99:100], v[79:80]
	v_fma_f64 v[99:100], v[101:102], v[97:98], v[99:100]
	s_waitcnt vmcnt(2)
	v_add_f64 v[69:70], v[69:70], -v[77:78]
	s_waitcnt vmcnt(0)
	v_add_f64 v[71:72], v[71:72], -v[99:100]
	buffer_store_dword v69, off, s[20:23], 0 offset:112 ; 4-byte Folded Spill
	s_nop 0
	buffer_store_dword v70, off, s[20:23], 0 offset:116 ; 4-byte Folded Spill
	buffer_store_dword v71, off, s[20:23], 0 offset:120 ; 4-byte Folded Spill
	buffer_store_dword v72, off, s[20:23], 0 offset:124 ; 4-byte Folded Spill
	ds_read2_b64 v[99:102], v125 offset0:80 offset1:81
	buffer_load_dword v65, off, s[20:23], 0 offset:96 ; 4-byte Folded Reload
	buffer_load_dword v66, off, s[20:23], 0 offset:100 ; 4-byte Folded Reload
	buffer_load_dword v67, off, s[20:23], 0 offset:104 ; 4-byte Folded Reload
	buffer_load_dword v68, off, s[20:23], 0 offset:108 ; 4-byte Folded Reload
	s_waitcnt lgkmcnt(0)
	v_mul_f64 v[77:78], v[101:102], v[79:80]
	v_fma_f64 v[77:78], v[99:100], v[97:98], -v[77:78]
	v_mul_f64 v[99:100], v[99:100], v[79:80]
	v_fma_f64 v[99:100], v[101:102], v[97:98], v[99:100]
	s_waitcnt vmcnt(2)
	v_add_f64 v[65:66], v[65:66], -v[77:78]
	;; [unrolled: 19-line block ×7, first 2 shown]
	s_waitcnt vmcnt(0)
	v_add_f64 v[47:48], v[47:48], -v[99:100]
	buffer_store_dword v45, off, s[20:23], 0 offset:16 ; 4-byte Folded Spill
	s_nop 0
	buffer_store_dword v46, off, s[20:23], 0 offset:20 ; 4-byte Folded Spill
	buffer_store_dword v47, off, s[20:23], 0 offset:24 ; 4-byte Folded Spill
	;; [unrolled: 1-line block ×3, first 2 shown]
	ds_read2_b64 v[99:102], v125 offset0:92 offset1:93
	buffer_load_dword v41, off, s[20:23], 0 ; 4-byte Folded Reload
	buffer_load_dword v42, off, s[20:23], 0 offset:4 ; 4-byte Folded Reload
	buffer_load_dword v43, off, s[20:23], 0 offset:8 ; 4-byte Folded Reload
	;; [unrolled: 1-line block ×3, first 2 shown]
	s_waitcnt lgkmcnt(0)
	v_mul_f64 v[77:78], v[101:102], v[79:80]
	v_fma_f64 v[77:78], v[99:100], v[97:98], -v[77:78]
	v_mul_f64 v[99:100], v[99:100], v[79:80]
	v_fma_f64 v[99:100], v[101:102], v[97:98], v[99:100]
	s_waitcnt vmcnt(2)
	v_add_f64 v[41:42], v[41:42], -v[77:78]
	s_waitcnt vmcnt(0)
	v_add_f64 v[43:44], v[43:44], -v[99:100]
	buffer_store_dword v41, off, s[20:23], 0 ; 4-byte Folded Spill
	s_nop 0
	buffer_store_dword v42, off, s[20:23], 0 offset:4 ; 4-byte Folded Spill
	buffer_store_dword v43, off, s[20:23], 0 offset:8 ; 4-byte Folded Spill
	;; [unrolled: 1-line block ×3, first 2 shown]
	ds_read2_b64 v[99:102], v125 offset0:94 offset1:95
	s_waitcnt lgkmcnt(0)
	v_mul_f64 v[77:78], v[101:102], v[79:80]
	v_fma_f64 v[77:78], v[99:100], v[97:98], -v[77:78]
	v_mul_f64 v[99:100], v[99:100], v[79:80]
	v_add_f64 v[37:38], v[37:38], -v[77:78]
	v_fma_f64 v[99:100], v[101:102], v[97:98], v[99:100]
	v_add_f64 v[39:40], v[39:40], -v[99:100]
	ds_read2_b64 v[99:102], v125 offset0:96 offset1:97
	s_waitcnt lgkmcnt(0)
	v_mul_f64 v[77:78], v[101:102], v[79:80]
	v_fma_f64 v[77:78], v[99:100], v[97:98], -v[77:78]
	v_mul_f64 v[99:100], v[99:100], v[79:80]
	v_add_f64 v[33:34], v[33:34], -v[77:78]
	v_fma_f64 v[99:100], v[101:102], v[97:98], v[99:100]
	v_add_f64 v[35:36], v[35:36], -v[99:100]
	;; [unrolled: 8-line block ×10, first 2 shown]
	ds_read2_b64 v[99:102], v125 offset0:114 offset1:115
	s_waitcnt lgkmcnt(0)
	v_mul_f64 v[77:78], v[101:102], v[79:80]
	v_fma_f64 v[77:78], v[99:100], v[97:98], -v[77:78]
	v_mul_f64 v[99:100], v[99:100], v[79:80]
	v_add_f64 v[121:122], v[121:122], -v[77:78]
	v_fma_f64 v[99:100], v[101:102], v[97:98], v[99:100]
	v_mov_b32_e32 v77, v97
	v_mov_b32_e32 v78, v98
	buffer_store_dword v77, off, s[20:23], 0 offset:144 ; 4-byte Folded Spill
	s_nop 0
	buffer_store_dword v78, off, s[20:23], 0 offset:148 ; 4-byte Folded Spill
	buffer_store_dword v79, off, s[20:23], 0 offset:152 ; 4-byte Folded Spill
	;; [unrolled: 1-line block ×3, first 2 shown]
	v_add_f64 v[123:124], v[123:124], -v[99:100]
.LBB115_343:
	s_or_b64 exec, exec, s[2:3]
	v_cmp_eq_u32_e32 vcc, 38, v0
	s_waitcnt vmcnt(0) lgkmcnt(0)
	s_barrier
	s_and_saveexec_b64 s[4:5], vcc
	s_cbranch_execz .LBB115_350
; %bb.344:
	buffer_load_dword v73, off, s[20:23], 0 offset:128 ; 4-byte Folded Reload
	buffer_load_dword v74, off, s[20:23], 0 offset:132 ; 4-byte Folded Reload
	;; [unrolled: 1-line block ×4, first 2 shown]
	s_waitcnt vmcnt(0)
	ds_write2_b64 v127, v[73:74], v[75:76] offset1:1
	buffer_load_dword v69, off, s[20:23], 0 offset:112 ; 4-byte Folded Reload
	buffer_load_dword v70, off, s[20:23], 0 offset:116 ; 4-byte Folded Reload
	buffer_load_dword v71, off, s[20:23], 0 offset:120 ; 4-byte Folded Reload
	buffer_load_dword v72, off, s[20:23], 0 offset:124 ; 4-byte Folded Reload
	s_waitcnt vmcnt(0)
	ds_write2_b64 v125, v[69:70], v[71:72] offset0:78 offset1:79
	buffer_load_dword v65, off, s[20:23], 0 offset:96 ; 4-byte Folded Reload
	buffer_load_dword v66, off, s[20:23], 0 offset:100 ; 4-byte Folded Reload
	buffer_load_dword v67, off, s[20:23], 0 offset:104 ; 4-byte Folded Reload
	buffer_load_dword v68, off, s[20:23], 0 offset:108 ; 4-byte Folded Reload
	s_waitcnt vmcnt(0)
	ds_write2_b64 v125, v[65:66], v[67:68] offset0:80 offset1:81
	buffer_load_dword v61, off, s[20:23], 0 offset:80 ; 4-byte Folded Reload
	buffer_load_dword v62, off, s[20:23], 0 offset:84 ; 4-byte Folded Reload
	buffer_load_dword v63, off, s[20:23], 0 offset:88 ; 4-byte Folded Reload
	buffer_load_dword v64, off, s[20:23], 0 offset:92 ; 4-byte Folded Reload
	s_waitcnt vmcnt(0)
	ds_write2_b64 v125, v[61:62], v[63:64] offset0:82 offset1:83
	buffer_load_dword v57, off, s[20:23], 0 offset:64 ; 4-byte Folded Reload
	buffer_load_dword v58, off, s[20:23], 0 offset:68 ; 4-byte Folded Reload
	buffer_load_dword v59, off, s[20:23], 0 offset:72 ; 4-byte Folded Reload
	buffer_load_dword v60, off, s[20:23], 0 offset:76 ; 4-byte Folded Reload
	s_waitcnt vmcnt(0)
	ds_write2_b64 v125, v[57:58], v[59:60] offset0:84 offset1:85
	buffer_load_dword v53, off, s[20:23], 0 offset:48 ; 4-byte Folded Reload
	buffer_load_dword v54, off, s[20:23], 0 offset:52 ; 4-byte Folded Reload
	buffer_load_dword v55, off, s[20:23], 0 offset:56 ; 4-byte Folded Reload
	buffer_load_dword v56, off, s[20:23], 0 offset:60 ; 4-byte Folded Reload
	s_waitcnt vmcnt(0)
	ds_write2_b64 v125, v[53:54], v[55:56] offset0:86 offset1:87
	buffer_load_dword v49, off, s[20:23], 0 offset:32 ; 4-byte Folded Reload
	buffer_load_dword v50, off, s[20:23], 0 offset:36 ; 4-byte Folded Reload
	buffer_load_dword v51, off, s[20:23], 0 offset:40 ; 4-byte Folded Reload
	buffer_load_dword v52, off, s[20:23], 0 offset:44 ; 4-byte Folded Reload
	s_waitcnt vmcnt(0)
	ds_write2_b64 v125, v[49:50], v[51:52] offset0:88 offset1:89
	buffer_load_dword v45, off, s[20:23], 0 offset:16 ; 4-byte Folded Reload
	buffer_load_dword v46, off, s[20:23], 0 offset:20 ; 4-byte Folded Reload
	buffer_load_dword v47, off, s[20:23], 0 offset:24 ; 4-byte Folded Reload
	buffer_load_dword v48, off, s[20:23], 0 offset:28 ; 4-byte Folded Reload
	s_waitcnt vmcnt(0)
	ds_write2_b64 v125, v[45:46], v[47:48] offset0:90 offset1:91
	buffer_load_dword v41, off, s[20:23], 0 ; 4-byte Folded Reload
	buffer_load_dword v42, off, s[20:23], 0 offset:4 ; 4-byte Folded Reload
	buffer_load_dword v43, off, s[20:23], 0 offset:8 ; 4-byte Folded Reload
	;; [unrolled: 1-line block ×3, first 2 shown]
	s_waitcnt vmcnt(0)
	ds_write2_b64 v125, v[41:42], v[43:44] offset0:92 offset1:93
	ds_write2_b64 v125, v[37:38], v[39:40] offset0:94 offset1:95
	;; [unrolled: 1-line block ×12, first 2 shown]
	ds_read2_b64 v[97:100], v127 offset1:1
	s_waitcnt lgkmcnt(0)
	v_cmp_neq_f64_e32 vcc, 0, v[97:98]
	v_cmp_neq_f64_e64 s[2:3], 0, v[99:100]
	s_or_b64 s[2:3], vcc, s[2:3]
	s_and_b64 exec, exec, s[2:3]
	s_cbranch_execz .LBB115_350
; %bb.345:
	v_cmp_ngt_f64_e64 s[2:3], |v[97:98]|, |v[99:100]|
                                        ; implicit-def: $vgpr101_vgpr102
	s_and_saveexec_b64 s[6:7], s[2:3]
	s_xor_b64 s[2:3], exec, s[6:7]
                                        ; implicit-def: $vgpr103_vgpr104
	s_cbranch_execz .LBB115_347
; %bb.346:
	v_div_scale_f64 v[101:102], s[6:7], v[99:100], v[99:100], v[97:98]
	v_rcp_f64_e32 v[103:104], v[101:102]
	v_fma_f64 v[105:106], -v[101:102], v[103:104], 1.0
	v_fma_f64 v[103:104], v[103:104], v[105:106], v[103:104]
	v_div_scale_f64 v[105:106], vcc, v[97:98], v[99:100], v[97:98]
	v_fma_f64 v[107:108], -v[101:102], v[103:104], 1.0
	v_fma_f64 v[103:104], v[103:104], v[107:108], v[103:104]
	v_mul_f64 v[107:108], v[105:106], v[103:104]
	v_fma_f64 v[101:102], -v[101:102], v[107:108], v[105:106]
	v_div_fmas_f64 v[101:102], v[101:102], v[103:104], v[107:108]
	v_div_fixup_f64 v[101:102], v[101:102], v[99:100], v[97:98]
	v_fma_f64 v[97:98], v[97:98], v[101:102], v[99:100]
	v_div_scale_f64 v[99:100], s[6:7], v[97:98], v[97:98], 1.0
	v_div_scale_f64 v[107:108], vcc, 1.0, v[97:98], 1.0
	v_rcp_f64_e32 v[103:104], v[99:100]
	v_fma_f64 v[105:106], -v[99:100], v[103:104], 1.0
	v_fma_f64 v[103:104], v[103:104], v[105:106], v[103:104]
	v_fma_f64 v[105:106], -v[99:100], v[103:104], 1.0
	v_fma_f64 v[103:104], v[103:104], v[105:106], v[103:104]
	v_mul_f64 v[105:106], v[107:108], v[103:104]
	v_fma_f64 v[99:100], -v[99:100], v[105:106], v[107:108]
	v_div_fmas_f64 v[99:100], v[99:100], v[103:104], v[105:106]
	v_div_fixup_f64 v[103:104], v[99:100], v[97:98], 1.0
                                        ; implicit-def: $vgpr97_vgpr98
	v_mul_f64 v[101:102], v[101:102], v[103:104]
	v_xor_b32_e32 v104, 0x80000000, v104
.LBB115_347:
	s_andn2_saveexec_b64 s[2:3], s[2:3]
	s_cbranch_execz .LBB115_349
; %bb.348:
	v_div_scale_f64 v[101:102], s[6:7], v[97:98], v[97:98], v[99:100]
	v_rcp_f64_e32 v[103:104], v[101:102]
	v_fma_f64 v[105:106], -v[101:102], v[103:104], 1.0
	v_fma_f64 v[103:104], v[103:104], v[105:106], v[103:104]
	v_div_scale_f64 v[105:106], vcc, v[99:100], v[97:98], v[99:100]
	v_fma_f64 v[107:108], -v[101:102], v[103:104], 1.0
	v_fma_f64 v[103:104], v[103:104], v[107:108], v[103:104]
	v_mul_f64 v[107:108], v[105:106], v[103:104]
	v_fma_f64 v[101:102], -v[101:102], v[107:108], v[105:106]
	v_div_fmas_f64 v[101:102], v[101:102], v[103:104], v[107:108]
	v_div_fixup_f64 v[103:104], v[101:102], v[97:98], v[99:100]
	v_fma_f64 v[97:98], v[99:100], v[103:104], v[97:98]
	v_div_scale_f64 v[99:100], s[6:7], v[97:98], v[97:98], 1.0
	v_div_scale_f64 v[107:108], vcc, 1.0, v[97:98], 1.0
	v_rcp_f64_e32 v[101:102], v[99:100]
	v_fma_f64 v[105:106], -v[99:100], v[101:102], 1.0
	v_fma_f64 v[101:102], v[101:102], v[105:106], v[101:102]
	v_fma_f64 v[105:106], -v[99:100], v[101:102], 1.0
	v_fma_f64 v[101:102], v[101:102], v[105:106], v[101:102]
	v_mul_f64 v[105:106], v[107:108], v[101:102]
	v_fma_f64 v[99:100], -v[99:100], v[105:106], v[107:108]
	v_div_fmas_f64 v[99:100], v[99:100], v[101:102], v[105:106]
	v_div_fixup_f64 v[101:102], v[99:100], v[97:98], 1.0
	v_mul_f64 v[103:104], v[103:104], -v[101:102]
.LBB115_349:
	s_or_b64 exec, exec, s[2:3]
	ds_write2_b64 v127, v[101:102], v[103:104] offset1:1
.LBB115_350:
	s_or_b64 exec, exec, s[4:5]
	s_waitcnt lgkmcnt(0)
	s_barrier
	ds_read2_b64 v[85:88], v127 offset1:1
	v_cmp_lt_u32_e32 vcc, 38, v0
	s_and_saveexec_b64 s[2:3], vcc
	s_cbranch_execz .LBB115_352
; %bb.351:
	buffer_load_dword v73, off, s[20:23], 0 offset:128 ; 4-byte Folded Reload
	buffer_load_dword v74, off, s[20:23], 0 offset:132 ; 4-byte Folded Reload
	;; [unrolled: 1-line block ×4, first 2 shown]
	ds_read2_b64 v[99:102], v125 offset0:78 offset1:79
	buffer_load_dword v69, off, s[20:23], 0 offset:112 ; 4-byte Folded Reload
	buffer_load_dword v70, off, s[20:23], 0 offset:116 ; 4-byte Folded Reload
	;; [unrolled: 1-line block ×4, first 2 shown]
	s_waitcnt vmcnt(4) lgkmcnt(1)
	v_mul_f64 v[97:98], v[87:88], v[75:76]
	v_mul_f64 v[75:76], v[85:86], v[75:76]
	v_fma_f64 v[97:98], v[85:86], v[73:74], -v[97:98]
	v_fma_f64 v[75:76], v[87:88], v[73:74], v[75:76]
	s_waitcnt lgkmcnt(0)
	v_mul_f64 v[73:74], v[101:102], v[75:76]
	v_fma_f64 v[73:74], v[99:100], v[97:98], -v[73:74]
	v_mul_f64 v[99:100], v[99:100], v[75:76]
	s_waitcnt vmcnt(2)
	v_add_f64 v[69:70], v[69:70], -v[73:74]
	v_fma_f64 v[99:100], v[101:102], v[97:98], v[99:100]
	s_waitcnt vmcnt(0)
	v_add_f64 v[71:72], v[71:72], -v[99:100]
	buffer_store_dword v69, off, s[20:23], 0 offset:112 ; 4-byte Folded Spill
	s_nop 0
	buffer_store_dword v70, off, s[20:23], 0 offset:116 ; 4-byte Folded Spill
	buffer_store_dword v71, off, s[20:23], 0 offset:120 ; 4-byte Folded Spill
	buffer_store_dword v72, off, s[20:23], 0 offset:124 ; 4-byte Folded Spill
	ds_read2_b64 v[99:102], v125 offset0:80 offset1:81
	buffer_load_dword v65, off, s[20:23], 0 offset:96 ; 4-byte Folded Reload
	buffer_load_dword v66, off, s[20:23], 0 offset:100 ; 4-byte Folded Reload
	buffer_load_dword v67, off, s[20:23], 0 offset:104 ; 4-byte Folded Reload
	buffer_load_dword v68, off, s[20:23], 0 offset:108 ; 4-byte Folded Reload
	s_waitcnt lgkmcnt(0)
	v_mul_f64 v[73:74], v[101:102], v[75:76]
	v_fma_f64 v[73:74], v[99:100], v[97:98], -v[73:74]
	v_mul_f64 v[99:100], v[99:100], v[75:76]
	v_fma_f64 v[99:100], v[101:102], v[97:98], v[99:100]
	s_waitcnt vmcnt(2)
	v_add_f64 v[65:66], v[65:66], -v[73:74]
	s_waitcnt vmcnt(0)
	v_add_f64 v[67:68], v[67:68], -v[99:100]
	buffer_store_dword v65, off, s[20:23], 0 offset:96 ; 4-byte Folded Spill
	s_nop 0
	buffer_store_dword v66, off, s[20:23], 0 offset:100 ; 4-byte Folded Spill
	buffer_store_dword v67, off, s[20:23], 0 offset:104 ; 4-byte Folded Spill
	buffer_store_dword v68, off, s[20:23], 0 offset:108 ; 4-byte Folded Spill
	ds_read2_b64 v[99:102], v125 offset0:82 offset1:83
	buffer_load_dword v61, off, s[20:23], 0 offset:80 ; 4-byte Folded Reload
	buffer_load_dword v62, off, s[20:23], 0 offset:84 ; 4-byte Folded Reload
	buffer_load_dword v63, off, s[20:23], 0 offset:88 ; 4-byte Folded Reload
	buffer_load_dword v64, off, s[20:23], 0 offset:92 ; 4-byte Folded Reload
	s_waitcnt lgkmcnt(0)
	v_mul_f64 v[73:74], v[101:102], v[75:76]
	v_fma_f64 v[73:74], v[99:100], v[97:98], -v[73:74]
	v_mul_f64 v[99:100], v[99:100], v[75:76]
	v_fma_f64 v[99:100], v[101:102], v[97:98], v[99:100]
	s_waitcnt vmcnt(2)
	v_add_f64 v[61:62], v[61:62], -v[73:74]
	;; [unrolled: 19-line block ×6, first 2 shown]
	s_waitcnt vmcnt(0)
	v_add_f64 v[47:48], v[47:48], -v[99:100]
	buffer_store_dword v45, off, s[20:23], 0 offset:16 ; 4-byte Folded Spill
	s_nop 0
	buffer_store_dword v46, off, s[20:23], 0 offset:20 ; 4-byte Folded Spill
	buffer_store_dword v47, off, s[20:23], 0 offset:24 ; 4-byte Folded Spill
	;; [unrolled: 1-line block ×3, first 2 shown]
	ds_read2_b64 v[99:102], v125 offset0:92 offset1:93
	buffer_load_dword v41, off, s[20:23], 0 ; 4-byte Folded Reload
	buffer_load_dword v42, off, s[20:23], 0 offset:4 ; 4-byte Folded Reload
	buffer_load_dword v43, off, s[20:23], 0 offset:8 ; 4-byte Folded Reload
	;; [unrolled: 1-line block ×3, first 2 shown]
	s_waitcnt lgkmcnt(0)
	v_mul_f64 v[73:74], v[101:102], v[75:76]
	v_fma_f64 v[73:74], v[99:100], v[97:98], -v[73:74]
	v_mul_f64 v[99:100], v[99:100], v[75:76]
	v_fma_f64 v[99:100], v[101:102], v[97:98], v[99:100]
	s_waitcnt vmcnt(2)
	v_add_f64 v[41:42], v[41:42], -v[73:74]
	s_waitcnt vmcnt(0)
	v_add_f64 v[43:44], v[43:44], -v[99:100]
	buffer_store_dword v41, off, s[20:23], 0 ; 4-byte Folded Spill
	s_nop 0
	buffer_store_dword v42, off, s[20:23], 0 offset:4 ; 4-byte Folded Spill
	buffer_store_dword v43, off, s[20:23], 0 offset:8 ; 4-byte Folded Spill
	;; [unrolled: 1-line block ×3, first 2 shown]
	ds_read2_b64 v[99:102], v125 offset0:94 offset1:95
	s_waitcnt lgkmcnt(0)
	v_mul_f64 v[73:74], v[101:102], v[75:76]
	v_fma_f64 v[73:74], v[99:100], v[97:98], -v[73:74]
	v_mul_f64 v[99:100], v[99:100], v[75:76]
	v_add_f64 v[37:38], v[37:38], -v[73:74]
	v_fma_f64 v[99:100], v[101:102], v[97:98], v[99:100]
	v_add_f64 v[39:40], v[39:40], -v[99:100]
	ds_read2_b64 v[99:102], v125 offset0:96 offset1:97
	s_waitcnt lgkmcnt(0)
	v_mul_f64 v[73:74], v[101:102], v[75:76]
	v_fma_f64 v[73:74], v[99:100], v[97:98], -v[73:74]
	v_mul_f64 v[99:100], v[99:100], v[75:76]
	v_add_f64 v[33:34], v[33:34], -v[73:74]
	v_fma_f64 v[99:100], v[101:102], v[97:98], v[99:100]
	v_add_f64 v[35:36], v[35:36], -v[99:100]
	;; [unrolled: 8-line block ×10, first 2 shown]
	ds_read2_b64 v[99:102], v125 offset0:114 offset1:115
	s_waitcnt lgkmcnt(0)
	v_mul_f64 v[73:74], v[101:102], v[75:76]
	v_fma_f64 v[73:74], v[99:100], v[97:98], -v[73:74]
	v_mul_f64 v[99:100], v[99:100], v[75:76]
	v_add_f64 v[121:122], v[121:122], -v[73:74]
	v_fma_f64 v[99:100], v[101:102], v[97:98], v[99:100]
	v_mov_b32_e32 v73, v97
	v_mov_b32_e32 v74, v98
	buffer_store_dword v73, off, s[20:23], 0 offset:128 ; 4-byte Folded Spill
	s_nop 0
	buffer_store_dword v74, off, s[20:23], 0 offset:132 ; 4-byte Folded Spill
	buffer_store_dword v75, off, s[20:23], 0 offset:136 ; 4-byte Folded Spill
	;; [unrolled: 1-line block ×3, first 2 shown]
	v_add_f64 v[123:124], v[123:124], -v[99:100]
.LBB115_352:
	s_or_b64 exec, exec, s[2:3]
	v_cmp_eq_u32_e32 vcc, 39, v0
	s_waitcnt vmcnt(0) lgkmcnt(0)
	s_barrier
	s_and_saveexec_b64 s[4:5], vcc
	s_cbranch_execz .LBB115_359
; %bb.353:
	buffer_load_dword v69, off, s[20:23], 0 offset:112 ; 4-byte Folded Reload
	buffer_load_dword v70, off, s[20:23], 0 offset:116 ; 4-byte Folded Reload
	;; [unrolled: 1-line block ×4, first 2 shown]
	s_waitcnt vmcnt(0)
	ds_write2_b64 v127, v[69:70], v[71:72] offset1:1
	buffer_load_dword v65, off, s[20:23], 0 offset:96 ; 4-byte Folded Reload
	buffer_load_dword v66, off, s[20:23], 0 offset:100 ; 4-byte Folded Reload
	buffer_load_dword v67, off, s[20:23], 0 offset:104 ; 4-byte Folded Reload
	buffer_load_dword v68, off, s[20:23], 0 offset:108 ; 4-byte Folded Reload
	s_waitcnt vmcnt(0)
	ds_write2_b64 v125, v[65:66], v[67:68] offset0:80 offset1:81
	buffer_load_dword v61, off, s[20:23], 0 offset:80 ; 4-byte Folded Reload
	buffer_load_dword v62, off, s[20:23], 0 offset:84 ; 4-byte Folded Reload
	buffer_load_dword v63, off, s[20:23], 0 offset:88 ; 4-byte Folded Reload
	buffer_load_dword v64, off, s[20:23], 0 offset:92 ; 4-byte Folded Reload
	s_waitcnt vmcnt(0)
	ds_write2_b64 v125, v[61:62], v[63:64] offset0:82 offset1:83
	;; [unrolled: 6-line block ×6, first 2 shown]
	buffer_load_dword v41, off, s[20:23], 0 ; 4-byte Folded Reload
	buffer_load_dword v42, off, s[20:23], 0 offset:4 ; 4-byte Folded Reload
	buffer_load_dword v43, off, s[20:23], 0 offset:8 ; 4-byte Folded Reload
	;; [unrolled: 1-line block ×3, first 2 shown]
	s_waitcnt vmcnt(0)
	ds_write2_b64 v125, v[41:42], v[43:44] offset0:92 offset1:93
	ds_write2_b64 v125, v[37:38], v[39:40] offset0:94 offset1:95
	;; [unrolled: 1-line block ×12, first 2 shown]
	ds_read2_b64 v[97:100], v127 offset1:1
	s_waitcnt lgkmcnt(0)
	v_cmp_neq_f64_e32 vcc, 0, v[97:98]
	v_cmp_neq_f64_e64 s[2:3], 0, v[99:100]
	s_or_b64 s[2:3], vcc, s[2:3]
	s_and_b64 exec, exec, s[2:3]
	s_cbranch_execz .LBB115_359
; %bb.354:
	v_cmp_ngt_f64_e64 s[2:3], |v[97:98]|, |v[99:100]|
                                        ; implicit-def: $vgpr101_vgpr102
	s_and_saveexec_b64 s[6:7], s[2:3]
	s_xor_b64 s[2:3], exec, s[6:7]
                                        ; implicit-def: $vgpr103_vgpr104
	s_cbranch_execz .LBB115_356
; %bb.355:
	v_div_scale_f64 v[101:102], s[6:7], v[99:100], v[99:100], v[97:98]
	v_rcp_f64_e32 v[103:104], v[101:102]
	v_fma_f64 v[105:106], -v[101:102], v[103:104], 1.0
	v_fma_f64 v[103:104], v[103:104], v[105:106], v[103:104]
	v_div_scale_f64 v[105:106], vcc, v[97:98], v[99:100], v[97:98]
	v_fma_f64 v[107:108], -v[101:102], v[103:104], 1.0
	v_fma_f64 v[103:104], v[103:104], v[107:108], v[103:104]
	v_mul_f64 v[107:108], v[105:106], v[103:104]
	v_fma_f64 v[101:102], -v[101:102], v[107:108], v[105:106]
	v_div_fmas_f64 v[101:102], v[101:102], v[103:104], v[107:108]
	v_div_fixup_f64 v[101:102], v[101:102], v[99:100], v[97:98]
	v_fma_f64 v[97:98], v[97:98], v[101:102], v[99:100]
	v_div_scale_f64 v[99:100], s[6:7], v[97:98], v[97:98], 1.0
	v_div_scale_f64 v[107:108], vcc, 1.0, v[97:98], 1.0
	v_rcp_f64_e32 v[103:104], v[99:100]
	v_fma_f64 v[105:106], -v[99:100], v[103:104], 1.0
	v_fma_f64 v[103:104], v[103:104], v[105:106], v[103:104]
	v_fma_f64 v[105:106], -v[99:100], v[103:104], 1.0
	v_fma_f64 v[103:104], v[103:104], v[105:106], v[103:104]
	v_mul_f64 v[105:106], v[107:108], v[103:104]
	v_fma_f64 v[99:100], -v[99:100], v[105:106], v[107:108]
	v_div_fmas_f64 v[99:100], v[99:100], v[103:104], v[105:106]
	v_div_fixup_f64 v[103:104], v[99:100], v[97:98], 1.0
                                        ; implicit-def: $vgpr97_vgpr98
	v_mul_f64 v[101:102], v[101:102], v[103:104]
	v_xor_b32_e32 v104, 0x80000000, v104
.LBB115_356:
	s_andn2_saveexec_b64 s[2:3], s[2:3]
	s_cbranch_execz .LBB115_358
; %bb.357:
	v_div_scale_f64 v[101:102], s[6:7], v[97:98], v[97:98], v[99:100]
	v_rcp_f64_e32 v[103:104], v[101:102]
	v_fma_f64 v[105:106], -v[101:102], v[103:104], 1.0
	v_fma_f64 v[103:104], v[103:104], v[105:106], v[103:104]
	v_div_scale_f64 v[105:106], vcc, v[99:100], v[97:98], v[99:100]
	v_fma_f64 v[107:108], -v[101:102], v[103:104], 1.0
	v_fma_f64 v[103:104], v[103:104], v[107:108], v[103:104]
	v_mul_f64 v[107:108], v[105:106], v[103:104]
	v_fma_f64 v[101:102], -v[101:102], v[107:108], v[105:106]
	v_div_fmas_f64 v[101:102], v[101:102], v[103:104], v[107:108]
	v_div_fixup_f64 v[103:104], v[101:102], v[97:98], v[99:100]
	v_fma_f64 v[97:98], v[99:100], v[103:104], v[97:98]
	v_div_scale_f64 v[99:100], s[6:7], v[97:98], v[97:98], 1.0
	v_div_scale_f64 v[107:108], vcc, 1.0, v[97:98], 1.0
	v_rcp_f64_e32 v[101:102], v[99:100]
	v_fma_f64 v[105:106], -v[99:100], v[101:102], 1.0
	v_fma_f64 v[101:102], v[101:102], v[105:106], v[101:102]
	v_fma_f64 v[105:106], -v[99:100], v[101:102], 1.0
	v_fma_f64 v[101:102], v[101:102], v[105:106], v[101:102]
	v_mul_f64 v[105:106], v[107:108], v[101:102]
	v_fma_f64 v[99:100], -v[99:100], v[105:106], v[107:108]
	v_div_fmas_f64 v[99:100], v[99:100], v[101:102], v[105:106]
	v_div_fixup_f64 v[101:102], v[99:100], v[97:98], 1.0
	v_mul_f64 v[103:104], v[103:104], -v[101:102]
.LBB115_358:
	s_or_b64 exec, exec, s[2:3]
	ds_write2_b64 v127, v[101:102], v[103:104] offset1:1
.LBB115_359:
	s_or_b64 exec, exec, s[4:5]
	s_waitcnt lgkmcnt(0)
	s_barrier
	ds_read2_b64 v[73:76], v127 offset1:1
	v_cmp_lt_u32_e32 vcc, 39, v0
	s_waitcnt lgkmcnt(0)
	buffer_store_dword v73, off, s[20:23], 0 offset:1808 ; 4-byte Folded Spill
	s_nop 0
	buffer_store_dword v74, off, s[20:23], 0 offset:1812 ; 4-byte Folded Spill
	buffer_store_dword v75, off, s[20:23], 0 offset:1816 ; 4-byte Folded Spill
	;; [unrolled: 1-line block ×3, first 2 shown]
	s_and_saveexec_b64 s[2:3], vcc
	s_cbranch_execz .LBB115_361
; %bb.360:
	buffer_load_dword v73, off, s[20:23], 0 offset:1808 ; 4-byte Folded Reload
	buffer_load_dword v74, off, s[20:23], 0 offset:1812 ; 4-byte Folded Reload
	;; [unrolled: 1-line block ×8, first 2 shown]
	ds_read2_b64 v[99:102], v125 offset0:80 offset1:81
	buffer_load_dword v65, off, s[20:23], 0 offset:96 ; 4-byte Folded Reload
	buffer_load_dword v66, off, s[20:23], 0 offset:100 ; 4-byte Folded Reload
	;; [unrolled: 1-line block ×4, first 2 shown]
	s_waitcnt vmcnt(4)
	v_mul_f64 v[97:98], v[75:76], v[71:72]
	v_mul_f64 v[71:72], v[73:74], v[71:72]
	v_fma_f64 v[97:98], v[73:74], v[69:70], -v[97:98]
	v_fma_f64 v[71:72], v[75:76], v[69:70], v[71:72]
	s_waitcnt lgkmcnt(0)
	v_mul_f64 v[69:70], v[101:102], v[71:72]
	v_fma_f64 v[69:70], v[99:100], v[97:98], -v[69:70]
	v_mul_f64 v[99:100], v[99:100], v[71:72]
	s_waitcnt vmcnt(2)
	v_add_f64 v[65:66], v[65:66], -v[69:70]
	v_fma_f64 v[99:100], v[101:102], v[97:98], v[99:100]
	s_waitcnt vmcnt(0)
	v_add_f64 v[67:68], v[67:68], -v[99:100]
	buffer_store_dword v65, off, s[20:23], 0 offset:96 ; 4-byte Folded Spill
	s_nop 0
	buffer_store_dword v66, off, s[20:23], 0 offset:100 ; 4-byte Folded Spill
	buffer_store_dword v67, off, s[20:23], 0 offset:104 ; 4-byte Folded Spill
	buffer_store_dword v68, off, s[20:23], 0 offset:108 ; 4-byte Folded Spill
	ds_read2_b64 v[99:102], v125 offset0:82 offset1:83
	buffer_load_dword v61, off, s[20:23], 0 offset:80 ; 4-byte Folded Reload
	buffer_load_dword v62, off, s[20:23], 0 offset:84 ; 4-byte Folded Reload
	buffer_load_dword v63, off, s[20:23], 0 offset:88 ; 4-byte Folded Reload
	buffer_load_dword v64, off, s[20:23], 0 offset:92 ; 4-byte Folded Reload
	s_waitcnt lgkmcnt(0)
	v_mul_f64 v[69:70], v[101:102], v[71:72]
	v_fma_f64 v[69:70], v[99:100], v[97:98], -v[69:70]
	v_mul_f64 v[99:100], v[99:100], v[71:72]
	v_fma_f64 v[99:100], v[101:102], v[97:98], v[99:100]
	s_waitcnt vmcnt(2)
	v_add_f64 v[61:62], v[61:62], -v[69:70]
	s_waitcnt vmcnt(0)
	v_add_f64 v[63:64], v[63:64], -v[99:100]
	buffer_store_dword v61, off, s[20:23], 0 offset:80 ; 4-byte Folded Spill
	s_nop 0
	buffer_store_dword v62, off, s[20:23], 0 offset:84 ; 4-byte Folded Spill
	buffer_store_dword v63, off, s[20:23], 0 offset:88 ; 4-byte Folded Spill
	buffer_store_dword v64, off, s[20:23], 0 offset:92 ; 4-byte Folded Spill
	ds_read2_b64 v[99:102], v125 offset0:84 offset1:85
	buffer_load_dword v57, off, s[20:23], 0 offset:64 ; 4-byte Folded Reload
	buffer_load_dword v58, off, s[20:23], 0 offset:68 ; 4-byte Folded Reload
	buffer_load_dword v59, off, s[20:23], 0 offset:72 ; 4-byte Folded Reload
	buffer_load_dword v60, off, s[20:23], 0 offset:76 ; 4-byte Folded Reload
	s_waitcnt lgkmcnt(0)
	v_mul_f64 v[69:70], v[101:102], v[71:72]
	v_fma_f64 v[69:70], v[99:100], v[97:98], -v[69:70]
	v_mul_f64 v[99:100], v[99:100], v[71:72]
	v_fma_f64 v[99:100], v[101:102], v[97:98], v[99:100]
	s_waitcnt vmcnt(2)
	v_add_f64 v[57:58], v[57:58], -v[69:70]
	;; [unrolled: 19-line block ×5, first 2 shown]
	s_waitcnt vmcnt(0)
	v_add_f64 v[47:48], v[47:48], -v[99:100]
	buffer_store_dword v45, off, s[20:23], 0 offset:16 ; 4-byte Folded Spill
	s_nop 0
	buffer_store_dword v46, off, s[20:23], 0 offset:20 ; 4-byte Folded Spill
	buffer_store_dword v47, off, s[20:23], 0 offset:24 ; 4-byte Folded Spill
	;; [unrolled: 1-line block ×3, first 2 shown]
	ds_read2_b64 v[99:102], v125 offset0:92 offset1:93
	buffer_load_dword v41, off, s[20:23], 0 ; 4-byte Folded Reload
	buffer_load_dword v42, off, s[20:23], 0 offset:4 ; 4-byte Folded Reload
	buffer_load_dword v43, off, s[20:23], 0 offset:8 ; 4-byte Folded Reload
	;; [unrolled: 1-line block ×3, first 2 shown]
	s_waitcnt lgkmcnt(0)
	v_mul_f64 v[69:70], v[101:102], v[71:72]
	v_fma_f64 v[69:70], v[99:100], v[97:98], -v[69:70]
	v_mul_f64 v[99:100], v[99:100], v[71:72]
	v_fma_f64 v[99:100], v[101:102], v[97:98], v[99:100]
	s_waitcnt vmcnt(2)
	v_add_f64 v[41:42], v[41:42], -v[69:70]
	s_waitcnt vmcnt(0)
	v_add_f64 v[43:44], v[43:44], -v[99:100]
	buffer_store_dword v41, off, s[20:23], 0 ; 4-byte Folded Spill
	s_nop 0
	buffer_store_dword v42, off, s[20:23], 0 offset:4 ; 4-byte Folded Spill
	buffer_store_dword v43, off, s[20:23], 0 offset:8 ; 4-byte Folded Spill
	;; [unrolled: 1-line block ×3, first 2 shown]
	ds_read2_b64 v[99:102], v125 offset0:94 offset1:95
	s_waitcnt lgkmcnt(0)
	v_mul_f64 v[69:70], v[101:102], v[71:72]
	v_fma_f64 v[69:70], v[99:100], v[97:98], -v[69:70]
	v_mul_f64 v[99:100], v[99:100], v[71:72]
	v_add_f64 v[37:38], v[37:38], -v[69:70]
	v_fma_f64 v[99:100], v[101:102], v[97:98], v[99:100]
	v_add_f64 v[39:40], v[39:40], -v[99:100]
	ds_read2_b64 v[99:102], v125 offset0:96 offset1:97
	s_waitcnt lgkmcnt(0)
	v_mul_f64 v[69:70], v[101:102], v[71:72]
	v_fma_f64 v[69:70], v[99:100], v[97:98], -v[69:70]
	v_mul_f64 v[99:100], v[99:100], v[71:72]
	v_add_f64 v[33:34], v[33:34], -v[69:70]
	v_fma_f64 v[99:100], v[101:102], v[97:98], v[99:100]
	v_add_f64 v[35:36], v[35:36], -v[99:100]
	;; [unrolled: 8-line block ×10, first 2 shown]
	ds_read2_b64 v[99:102], v125 offset0:114 offset1:115
	s_waitcnt lgkmcnt(0)
	v_mul_f64 v[69:70], v[101:102], v[71:72]
	v_fma_f64 v[69:70], v[99:100], v[97:98], -v[69:70]
	v_mul_f64 v[99:100], v[99:100], v[71:72]
	v_add_f64 v[121:122], v[121:122], -v[69:70]
	v_fma_f64 v[99:100], v[101:102], v[97:98], v[99:100]
	v_mov_b32_e32 v69, v97
	v_mov_b32_e32 v70, v98
	buffer_store_dword v69, off, s[20:23], 0 offset:112 ; 4-byte Folded Spill
	s_nop 0
	buffer_store_dword v70, off, s[20:23], 0 offset:116 ; 4-byte Folded Spill
	buffer_store_dword v71, off, s[20:23], 0 offset:120 ; 4-byte Folded Spill
	;; [unrolled: 1-line block ×3, first 2 shown]
	v_add_f64 v[123:124], v[123:124], -v[99:100]
.LBB115_361:
	s_or_b64 exec, exec, s[2:3]
	v_cmp_eq_u32_e32 vcc, 40, v0
	s_waitcnt vmcnt(0)
	s_barrier
	s_and_saveexec_b64 s[4:5], vcc
	s_cbranch_execz .LBB115_368
; %bb.362:
	buffer_load_dword v65, off, s[20:23], 0 offset:96 ; 4-byte Folded Reload
	buffer_load_dword v66, off, s[20:23], 0 offset:100 ; 4-byte Folded Reload
	;; [unrolled: 1-line block ×4, first 2 shown]
	s_waitcnt vmcnt(0)
	ds_write2_b64 v127, v[65:66], v[67:68] offset1:1
	buffer_load_dword v61, off, s[20:23], 0 offset:80 ; 4-byte Folded Reload
	buffer_load_dword v62, off, s[20:23], 0 offset:84 ; 4-byte Folded Reload
	buffer_load_dword v63, off, s[20:23], 0 offset:88 ; 4-byte Folded Reload
	buffer_load_dword v64, off, s[20:23], 0 offset:92 ; 4-byte Folded Reload
	s_waitcnt vmcnt(0)
	ds_write2_b64 v125, v[61:62], v[63:64] offset0:82 offset1:83
	buffer_load_dword v57, off, s[20:23], 0 offset:64 ; 4-byte Folded Reload
	buffer_load_dword v58, off, s[20:23], 0 offset:68 ; 4-byte Folded Reload
	buffer_load_dword v59, off, s[20:23], 0 offset:72 ; 4-byte Folded Reload
	buffer_load_dword v60, off, s[20:23], 0 offset:76 ; 4-byte Folded Reload
	s_waitcnt vmcnt(0)
	ds_write2_b64 v125, v[57:58], v[59:60] offset0:84 offset1:85
	buffer_load_dword v53, off, s[20:23], 0 offset:48 ; 4-byte Folded Reload
	buffer_load_dword v54, off, s[20:23], 0 offset:52 ; 4-byte Folded Reload
	buffer_load_dword v55, off, s[20:23], 0 offset:56 ; 4-byte Folded Reload
	buffer_load_dword v56, off, s[20:23], 0 offset:60 ; 4-byte Folded Reload
	s_waitcnt vmcnt(0)
	ds_write2_b64 v125, v[53:54], v[55:56] offset0:86 offset1:87
	buffer_load_dword v49, off, s[20:23], 0 offset:32 ; 4-byte Folded Reload
	buffer_load_dword v50, off, s[20:23], 0 offset:36 ; 4-byte Folded Reload
	buffer_load_dword v51, off, s[20:23], 0 offset:40 ; 4-byte Folded Reload
	buffer_load_dword v52, off, s[20:23], 0 offset:44 ; 4-byte Folded Reload
	s_waitcnt vmcnt(0)
	ds_write2_b64 v125, v[49:50], v[51:52] offset0:88 offset1:89
	buffer_load_dword v45, off, s[20:23], 0 offset:16 ; 4-byte Folded Reload
	buffer_load_dword v46, off, s[20:23], 0 offset:20 ; 4-byte Folded Reload
	buffer_load_dword v47, off, s[20:23], 0 offset:24 ; 4-byte Folded Reload
	buffer_load_dword v48, off, s[20:23], 0 offset:28 ; 4-byte Folded Reload
	s_waitcnt vmcnt(0)
	ds_write2_b64 v125, v[45:46], v[47:48] offset0:90 offset1:91
	buffer_load_dword v41, off, s[20:23], 0 ; 4-byte Folded Reload
	buffer_load_dword v42, off, s[20:23], 0 offset:4 ; 4-byte Folded Reload
	buffer_load_dword v43, off, s[20:23], 0 offset:8 ; 4-byte Folded Reload
	;; [unrolled: 1-line block ×3, first 2 shown]
	s_waitcnt vmcnt(0)
	ds_write2_b64 v125, v[41:42], v[43:44] offset0:92 offset1:93
	ds_write2_b64 v125, v[37:38], v[39:40] offset0:94 offset1:95
	;; [unrolled: 1-line block ×12, first 2 shown]
	ds_read2_b64 v[97:100], v127 offset1:1
	s_waitcnt lgkmcnt(0)
	v_cmp_neq_f64_e32 vcc, 0, v[97:98]
	v_cmp_neq_f64_e64 s[2:3], 0, v[99:100]
	s_or_b64 s[2:3], vcc, s[2:3]
	s_and_b64 exec, exec, s[2:3]
	s_cbranch_execz .LBB115_368
; %bb.363:
	v_cmp_ngt_f64_e64 s[2:3], |v[97:98]|, |v[99:100]|
                                        ; implicit-def: $vgpr101_vgpr102
	s_and_saveexec_b64 s[6:7], s[2:3]
	s_xor_b64 s[2:3], exec, s[6:7]
                                        ; implicit-def: $vgpr103_vgpr104
	s_cbranch_execz .LBB115_365
; %bb.364:
	v_div_scale_f64 v[101:102], s[6:7], v[99:100], v[99:100], v[97:98]
	v_rcp_f64_e32 v[103:104], v[101:102]
	v_fma_f64 v[105:106], -v[101:102], v[103:104], 1.0
	v_fma_f64 v[103:104], v[103:104], v[105:106], v[103:104]
	v_div_scale_f64 v[105:106], vcc, v[97:98], v[99:100], v[97:98]
	v_fma_f64 v[107:108], -v[101:102], v[103:104], 1.0
	v_fma_f64 v[103:104], v[103:104], v[107:108], v[103:104]
	v_mul_f64 v[107:108], v[105:106], v[103:104]
	v_fma_f64 v[101:102], -v[101:102], v[107:108], v[105:106]
	v_div_fmas_f64 v[101:102], v[101:102], v[103:104], v[107:108]
	v_div_fixup_f64 v[101:102], v[101:102], v[99:100], v[97:98]
	v_fma_f64 v[97:98], v[97:98], v[101:102], v[99:100]
	v_div_scale_f64 v[99:100], s[6:7], v[97:98], v[97:98], 1.0
	v_div_scale_f64 v[107:108], vcc, 1.0, v[97:98], 1.0
	v_rcp_f64_e32 v[103:104], v[99:100]
	v_fma_f64 v[105:106], -v[99:100], v[103:104], 1.0
	v_fma_f64 v[103:104], v[103:104], v[105:106], v[103:104]
	v_fma_f64 v[105:106], -v[99:100], v[103:104], 1.0
	v_fma_f64 v[103:104], v[103:104], v[105:106], v[103:104]
	v_mul_f64 v[105:106], v[107:108], v[103:104]
	v_fma_f64 v[99:100], -v[99:100], v[105:106], v[107:108]
	v_div_fmas_f64 v[99:100], v[99:100], v[103:104], v[105:106]
	v_div_fixup_f64 v[103:104], v[99:100], v[97:98], 1.0
                                        ; implicit-def: $vgpr97_vgpr98
	v_mul_f64 v[101:102], v[101:102], v[103:104]
	v_xor_b32_e32 v104, 0x80000000, v104
.LBB115_365:
	s_andn2_saveexec_b64 s[2:3], s[2:3]
	s_cbranch_execz .LBB115_367
; %bb.366:
	v_div_scale_f64 v[101:102], s[6:7], v[97:98], v[97:98], v[99:100]
	v_rcp_f64_e32 v[103:104], v[101:102]
	v_fma_f64 v[105:106], -v[101:102], v[103:104], 1.0
	v_fma_f64 v[103:104], v[103:104], v[105:106], v[103:104]
	v_div_scale_f64 v[105:106], vcc, v[99:100], v[97:98], v[99:100]
	v_fma_f64 v[107:108], -v[101:102], v[103:104], 1.0
	v_fma_f64 v[103:104], v[103:104], v[107:108], v[103:104]
	v_mul_f64 v[107:108], v[105:106], v[103:104]
	v_fma_f64 v[101:102], -v[101:102], v[107:108], v[105:106]
	v_div_fmas_f64 v[101:102], v[101:102], v[103:104], v[107:108]
	v_div_fixup_f64 v[103:104], v[101:102], v[97:98], v[99:100]
	v_fma_f64 v[97:98], v[99:100], v[103:104], v[97:98]
	v_div_scale_f64 v[99:100], s[6:7], v[97:98], v[97:98], 1.0
	v_div_scale_f64 v[107:108], vcc, 1.0, v[97:98], 1.0
	v_rcp_f64_e32 v[101:102], v[99:100]
	v_fma_f64 v[105:106], -v[99:100], v[101:102], 1.0
	v_fma_f64 v[101:102], v[101:102], v[105:106], v[101:102]
	v_fma_f64 v[105:106], -v[99:100], v[101:102], 1.0
	v_fma_f64 v[101:102], v[101:102], v[105:106], v[101:102]
	v_mul_f64 v[105:106], v[107:108], v[101:102]
	v_fma_f64 v[99:100], -v[99:100], v[105:106], v[107:108]
	v_div_fmas_f64 v[99:100], v[99:100], v[101:102], v[105:106]
	v_div_fixup_f64 v[101:102], v[99:100], v[97:98], 1.0
	v_mul_f64 v[103:104], v[103:104], -v[101:102]
.LBB115_367:
	s_or_b64 exec, exec, s[2:3]
	ds_write2_b64 v127, v[101:102], v[103:104] offset1:1
.LBB115_368:
	s_or_b64 exec, exec, s[4:5]
	s_waitcnt lgkmcnt(0)
	s_barrier
	ds_read2_b64 v[41:44], v127 offset1:1
	v_cmp_lt_u32_e32 vcc, 40, v0
	s_waitcnt lgkmcnt(0)
	buffer_store_dword v41, off, s[20:23], 0 offset:1840 ; 4-byte Folded Spill
	s_nop 0
	buffer_store_dword v42, off, s[20:23], 0 offset:1844 ; 4-byte Folded Spill
	buffer_store_dword v43, off, s[20:23], 0 offset:1848 ; 4-byte Folded Spill
	;; [unrolled: 1-line block ×3, first 2 shown]
	s_and_saveexec_b64 s[2:3], vcc
	s_cbranch_execz .LBB115_370
; %bb.369:
	buffer_load_dword v65, off, s[20:23], 0 offset:96 ; 4-byte Folded Reload
	buffer_load_dword v66, off, s[20:23], 0 offset:100 ; 4-byte Folded Reload
	;; [unrolled: 1-line block ×8, first 2 shown]
	ds_read2_b64 v[99:102], v125 offset0:82 offset1:83
	buffer_load_dword v61, off, s[20:23], 0 offset:80 ; 4-byte Folded Reload
	buffer_load_dword v62, off, s[20:23], 0 offset:84 ; 4-byte Folded Reload
	;; [unrolled: 1-line block ×4, first 2 shown]
	s_waitcnt vmcnt(4)
	v_mul_f64 v[97:98], v[43:44], v[67:68]
	v_mul_f64 v[67:68], v[41:42], v[67:68]
	v_fma_f64 v[97:98], v[41:42], v[65:66], -v[97:98]
	v_fma_f64 v[67:68], v[43:44], v[65:66], v[67:68]
	s_waitcnt lgkmcnt(0)
	v_mul_f64 v[65:66], v[101:102], v[67:68]
	v_fma_f64 v[65:66], v[99:100], v[97:98], -v[65:66]
	v_mul_f64 v[99:100], v[99:100], v[67:68]
	s_waitcnt vmcnt(2)
	v_add_f64 v[61:62], v[61:62], -v[65:66]
	v_fma_f64 v[99:100], v[101:102], v[97:98], v[99:100]
	s_waitcnt vmcnt(0)
	v_add_f64 v[63:64], v[63:64], -v[99:100]
	buffer_store_dword v61, off, s[20:23], 0 offset:80 ; 4-byte Folded Spill
	s_nop 0
	buffer_store_dword v62, off, s[20:23], 0 offset:84 ; 4-byte Folded Spill
	buffer_store_dword v63, off, s[20:23], 0 offset:88 ; 4-byte Folded Spill
	buffer_store_dword v64, off, s[20:23], 0 offset:92 ; 4-byte Folded Spill
	ds_read2_b64 v[99:102], v125 offset0:84 offset1:85
	buffer_load_dword v57, off, s[20:23], 0 offset:64 ; 4-byte Folded Reload
	buffer_load_dword v58, off, s[20:23], 0 offset:68 ; 4-byte Folded Reload
	buffer_load_dword v59, off, s[20:23], 0 offset:72 ; 4-byte Folded Reload
	buffer_load_dword v60, off, s[20:23], 0 offset:76 ; 4-byte Folded Reload
	s_waitcnt lgkmcnt(0)
	v_mul_f64 v[65:66], v[101:102], v[67:68]
	v_fma_f64 v[65:66], v[99:100], v[97:98], -v[65:66]
	v_mul_f64 v[99:100], v[99:100], v[67:68]
	v_fma_f64 v[99:100], v[101:102], v[97:98], v[99:100]
	s_waitcnt vmcnt(2)
	v_add_f64 v[57:58], v[57:58], -v[65:66]
	s_waitcnt vmcnt(0)
	v_add_f64 v[59:60], v[59:60], -v[99:100]
	buffer_store_dword v57, off, s[20:23], 0 offset:64 ; 4-byte Folded Spill
	s_nop 0
	buffer_store_dword v58, off, s[20:23], 0 offset:68 ; 4-byte Folded Spill
	buffer_store_dword v59, off, s[20:23], 0 offset:72 ; 4-byte Folded Spill
	buffer_store_dword v60, off, s[20:23], 0 offset:76 ; 4-byte Folded Spill
	ds_read2_b64 v[99:102], v125 offset0:86 offset1:87
	buffer_load_dword v53, off, s[20:23], 0 offset:48 ; 4-byte Folded Reload
	buffer_load_dword v54, off, s[20:23], 0 offset:52 ; 4-byte Folded Reload
	buffer_load_dword v55, off, s[20:23], 0 offset:56 ; 4-byte Folded Reload
	buffer_load_dword v56, off, s[20:23], 0 offset:60 ; 4-byte Folded Reload
	s_waitcnt lgkmcnt(0)
	v_mul_f64 v[65:66], v[101:102], v[67:68]
	v_fma_f64 v[65:66], v[99:100], v[97:98], -v[65:66]
	v_mul_f64 v[99:100], v[99:100], v[67:68]
	v_fma_f64 v[99:100], v[101:102], v[97:98], v[99:100]
	s_waitcnt vmcnt(2)
	v_add_f64 v[53:54], v[53:54], -v[65:66]
	;; [unrolled: 19-line block ×4, first 2 shown]
	s_waitcnt vmcnt(0)
	v_add_f64 v[47:48], v[47:48], -v[99:100]
	buffer_store_dword v45, off, s[20:23], 0 offset:16 ; 4-byte Folded Spill
	s_nop 0
	buffer_store_dword v46, off, s[20:23], 0 offset:20 ; 4-byte Folded Spill
	buffer_store_dword v47, off, s[20:23], 0 offset:24 ; 4-byte Folded Spill
	;; [unrolled: 1-line block ×3, first 2 shown]
	ds_read2_b64 v[99:102], v125 offset0:92 offset1:93
	buffer_load_dword v41, off, s[20:23], 0 ; 4-byte Folded Reload
	buffer_load_dword v42, off, s[20:23], 0 offset:4 ; 4-byte Folded Reload
	buffer_load_dword v43, off, s[20:23], 0 offset:8 ; 4-byte Folded Reload
	buffer_load_dword v44, off, s[20:23], 0 offset:12 ; 4-byte Folded Reload
	s_waitcnt lgkmcnt(0)
	v_mul_f64 v[65:66], v[101:102], v[67:68]
	v_fma_f64 v[65:66], v[99:100], v[97:98], -v[65:66]
	v_mul_f64 v[99:100], v[99:100], v[67:68]
	v_fma_f64 v[99:100], v[101:102], v[97:98], v[99:100]
	s_waitcnt vmcnt(2)
	v_add_f64 v[41:42], v[41:42], -v[65:66]
	s_waitcnt vmcnt(0)
	v_add_f64 v[43:44], v[43:44], -v[99:100]
	buffer_store_dword v41, off, s[20:23], 0 ; 4-byte Folded Spill
	s_nop 0
	buffer_store_dword v42, off, s[20:23], 0 offset:4 ; 4-byte Folded Spill
	buffer_store_dword v43, off, s[20:23], 0 offset:8 ; 4-byte Folded Spill
	;; [unrolled: 1-line block ×3, first 2 shown]
	ds_read2_b64 v[99:102], v125 offset0:94 offset1:95
	s_waitcnt lgkmcnt(0)
	v_mul_f64 v[65:66], v[101:102], v[67:68]
	v_fma_f64 v[65:66], v[99:100], v[97:98], -v[65:66]
	v_mul_f64 v[99:100], v[99:100], v[67:68]
	v_add_f64 v[37:38], v[37:38], -v[65:66]
	v_fma_f64 v[99:100], v[101:102], v[97:98], v[99:100]
	v_add_f64 v[39:40], v[39:40], -v[99:100]
	ds_read2_b64 v[99:102], v125 offset0:96 offset1:97
	s_waitcnt lgkmcnt(0)
	v_mul_f64 v[65:66], v[101:102], v[67:68]
	v_fma_f64 v[65:66], v[99:100], v[97:98], -v[65:66]
	v_mul_f64 v[99:100], v[99:100], v[67:68]
	v_add_f64 v[33:34], v[33:34], -v[65:66]
	v_fma_f64 v[99:100], v[101:102], v[97:98], v[99:100]
	v_add_f64 v[35:36], v[35:36], -v[99:100]
	ds_read2_b64 v[99:102], v125 offset0:98 offset1:99
	s_waitcnt lgkmcnt(0)
	v_mul_f64 v[65:66], v[101:102], v[67:68]
	v_fma_f64 v[65:66], v[99:100], v[97:98], -v[65:66]
	v_mul_f64 v[99:100], v[99:100], v[67:68]
	v_add_f64 v[29:30], v[29:30], -v[65:66]
	v_fma_f64 v[99:100], v[101:102], v[97:98], v[99:100]
	v_add_f64 v[31:32], v[31:32], -v[99:100]
	ds_read2_b64 v[99:102], v125 offset0:100 offset1:101
	s_waitcnt lgkmcnt(0)
	v_mul_f64 v[65:66], v[101:102], v[67:68]
	v_fma_f64 v[65:66], v[99:100], v[97:98], -v[65:66]
	v_mul_f64 v[99:100], v[99:100], v[67:68]
	v_add_f64 v[25:26], v[25:26], -v[65:66]
	v_fma_f64 v[99:100], v[101:102], v[97:98], v[99:100]
	v_add_f64 v[27:28], v[27:28], -v[99:100]
	ds_read2_b64 v[99:102], v125 offset0:102 offset1:103
	s_waitcnt lgkmcnt(0)
	v_mul_f64 v[65:66], v[101:102], v[67:68]
	v_fma_f64 v[65:66], v[99:100], v[97:98], -v[65:66]
	v_mul_f64 v[99:100], v[99:100], v[67:68]
	v_add_f64 v[21:22], v[21:22], -v[65:66]
	v_fma_f64 v[99:100], v[101:102], v[97:98], v[99:100]
	v_add_f64 v[23:24], v[23:24], -v[99:100]
	ds_read2_b64 v[99:102], v125 offset0:104 offset1:105
	s_waitcnt lgkmcnt(0)
	v_mul_f64 v[65:66], v[101:102], v[67:68]
	v_fma_f64 v[65:66], v[99:100], v[97:98], -v[65:66]
	v_mul_f64 v[99:100], v[99:100], v[67:68]
	v_add_f64 v[17:18], v[17:18], -v[65:66]
	v_fma_f64 v[99:100], v[101:102], v[97:98], v[99:100]
	v_add_f64 v[19:20], v[19:20], -v[99:100]
	ds_read2_b64 v[99:102], v125 offset0:106 offset1:107
	s_waitcnt lgkmcnt(0)
	v_mul_f64 v[65:66], v[101:102], v[67:68]
	v_fma_f64 v[65:66], v[99:100], v[97:98], -v[65:66]
	v_mul_f64 v[99:100], v[99:100], v[67:68]
	v_add_f64 v[13:14], v[13:14], -v[65:66]
	v_fma_f64 v[99:100], v[101:102], v[97:98], v[99:100]
	v_add_f64 v[15:16], v[15:16], -v[99:100]
	ds_read2_b64 v[99:102], v125 offset0:108 offset1:109
	s_waitcnt lgkmcnt(0)
	v_mul_f64 v[65:66], v[101:102], v[67:68]
	v_fma_f64 v[65:66], v[99:100], v[97:98], -v[65:66]
	v_mul_f64 v[99:100], v[99:100], v[67:68]
	v_add_f64 v[9:10], v[9:10], -v[65:66]
	v_fma_f64 v[99:100], v[101:102], v[97:98], v[99:100]
	v_add_f64 v[11:12], v[11:12], -v[99:100]
	ds_read2_b64 v[99:102], v125 offset0:110 offset1:111
	s_waitcnt lgkmcnt(0)
	v_mul_f64 v[65:66], v[101:102], v[67:68]
	v_fma_f64 v[65:66], v[99:100], v[97:98], -v[65:66]
	v_mul_f64 v[99:100], v[99:100], v[67:68]
	v_add_f64 v[5:6], v[5:6], -v[65:66]
	v_fma_f64 v[99:100], v[101:102], v[97:98], v[99:100]
	v_add_f64 v[7:8], v[7:8], -v[99:100]
	ds_read2_b64 v[99:102], v125 offset0:112 offset1:113
	s_waitcnt lgkmcnt(0)
	v_mul_f64 v[65:66], v[101:102], v[67:68]
	v_fma_f64 v[65:66], v[99:100], v[97:98], -v[65:66]
	v_mul_f64 v[99:100], v[99:100], v[67:68]
	v_add_f64 v[1:2], v[1:2], -v[65:66]
	v_fma_f64 v[99:100], v[101:102], v[97:98], v[99:100]
	v_add_f64 v[3:4], v[3:4], -v[99:100]
	ds_read2_b64 v[99:102], v125 offset0:114 offset1:115
	s_waitcnt lgkmcnt(0)
	v_mul_f64 v[65:66], v[101:102], v[67:68]
	v_fma_f64 v[65:66], v[99:100], v[97:98], -v[65:66]
	v_mul_f64 v[99:100], v[99:100], v[67:68]
	v_add_f64 v[121:122], v[121:122], -v[65:66]
	v_fma_f64 v[99:100], v[101:102], v[97:98], v[99:100]
	v_mov_b32_e32 v65, v97
	v_mov_b32_e32 v66, v98
	buffer_store_dword v65, off, s[20:23], 0 offset:96 ; 4-byte Folded Spill
	s_nop 0
	buffer_store_dword v66, off, s[20:23], 0 offset:100 ; 4-byte Folded Spill
	buffer_store_dword v67, off, s[20:23], 0 offset:104 ; 4-byte Folded Spill
	;; [unrolled: 1-line block ×3, first 2 shown]
	v_add_f64 v[123:124], v[123:124], -v[99:100]
.LBB115_370:
	s_or_b64 exec, exec, s[2:3]
	v_cmp_eq_u32_e32 vcc, 41, v0
	s_waitcnt vmcnt(0)
	s_barrier
	s_and_saveexec_b64 s[4:5], vcc
	s_cbranch_execz .LBB115_377
; %bb.371:
	buffer_load_dword v61, off, s[20:23], 0 offset:80 ; 4-byte Folded Reload
	buffer_load_dword v62, off, s[20:23], 0 offset:84 ; 4-byte Folded Reload
	buffer_load_dword v63, off, s[20:23], 0 offset:88 ; 4-byte Folded Reload
	buffer_load_dword v64, off, s[20:23], 0 offset:92 ; 4-byte Folded Reload
	s_waitcnt vmcnt(0)
	ds_write2_b64 v127, v[61:62], v[63:64] offset1:1
	buffer_load_dword v57, off, s[20:23], 0 offset:64 ; 4-byte Folded Reload
	buffer_load_dword v58, off, s[20:23], 0 offset:68 ; 4-byte Folded Reload
	buffer_load_dword v59, off, s[20:23], 0 offset:72 ; 4-byte Folded Reload
	buffer_load_dword v60, off, s[20:23], 0 offset:76 ; 4-byte Folded Reload
	s_waitcnt vmcnt(0)
	ds_write2_b64 v125, v[57:58], v[59:60] offset0:84 offset1:85
	buffer_load_dword v53, off, s[20:23], 0 offset:48 ; 4-byte Folded Reload
	buffer_load_dword v54, off, s[20:23], 0 offset:52 ; 4-byte Folded Reload
	buffer_load_dword v55, off, s[20:23], 0 offset:56 ; 4-byte Folded Reload
	buffer_load_dword v56, off, s[20:23], 0 offset:60 ; 4-byte Folded Reload
	s_waitcnt vmcnt(0)
	ds_write2_b64 v125, v[53:54], v[55:56] offset0:86 offset1:87
	;; [unrolled: 6-line block ×4, first 2 shown]
	buffer_load_dword v41, off, s[20:23], 0 ; 4-byte Folded Reload
	buffer_load_dword v42, off, s[20:23], 0 offset:4 ; 4-byte Folded Reload
	buffer_load_dword v43, off, s[20:23], 0 offset:8 ; 4-byte Folded Reload
	;; [unrolled: 1-line block ×3, first 2 shown]
	s_waitcnt vmcnt(0)
	ds_write2_b64 v125, v[41:42], v[43:44] offset0:92 offset1:93
	ds_write2_b64 v125, v[37:38], v[39:40] offset0:94 offset1:95
	;; [unrolled: 1-line block ×12, first 2 shown]
	ds_read2_b64 v[97:100], v127 offset1:1
	s_waitcnt lgkmcnt(0)
	v_cmp_neq_f64_e32 vcc, 0, v[97:98]
	v_cmp_neq_f64_e64 s[2:3], 0, v[99:100]
	s_or_b64 s[2:3], vcc, s[2:3]
	s_and_b64 exec, exec, s[2:3]
	s_cbranch_execz .LBB115_377
; %bb.372:
	v_cmp_ngt_f64_e64 s[2:3], |v[97:98]|, |v[99:100]|
                                        ; implicit-def: $vgpr101_vgpr102
	s_and_saveexec_b64 s[6:7], s[2:3]
	s_xor_b64 s[2:3], exec, s[6:7]
                                        ; implicit-def: $vgpr103_vgpr104
	s_cbranch_execz .LBB115_374
; %bb.373:
	v_div_scale_f64 v[101:102], s[6:7], v[99:100], v[99:100], v[97:98]
	v_rcp_f64_e32 v[103:104], v[101:102]
	v_fma_f64 v[105:106], -v[101:102], v[103:104], 1.0
	v_fma_f64 v[103:104], v[103:104], v[105:106], v[103:104]
	v_div_scale_f64 v[105:106], vcc, v[97:98], v[99:100], v[97:98]
	v_fma_f64 v[107:108], -v[101:102], v[103:104], 1.0
	v_fma_f64 v[103:104], v[103:104], v[107:108], v[103:104]
	v_mul_f64 v[107:108], v[105:106], v[103:104]
	v_fma_f64 v[101:102], -v[101:102], v[107:108], v[105:106]
	v_div_fmas_f64 v[101:102], v[101:102], v[103:104], v[107:108]
	v_div_fixup_f64 v[101:102], v[101:102], v[99:100], v[97:98]
	v_fma_f64 v[97:98], v[97:98], v[101:102], v[99:100]
	v_div_scale_f64 v[99:100], s[6:7], v[97:98], v[97:98], 1.0
	v_div_scale_f64 v[107:108], vcc, 1.0, v[97:98], 1.0
	v_rcp_f64_e32 v[103:104], v[99:100]
	v_fma_f64 v[105:106], -v[99:100], v[103:104], 1.0
	v_fma_f64 v[103:104], v[103:104], v[105:106], v[103:104]
	v_fma_f64 v[105:106], -v[99:100], v[103:104], 1.0
	v_fma_f64 v[103:104], v[103:104], v[105:106], v[103:104]
	v_mul_f64 v[105:106], v[107:108], v[103:104]
	v_fma_f64 v[99:100], -v[99:100], v[105:106], v[107:108]
	v_div_fmas_f64 v[99:100], v[99:100], v[103:104], v[105:106]
	v_div_fixup_f64 v[103:104], v[99:100], v[97:98], 1.0
                                        ; implicit-def: $vgpr97_vgpr98
	v_mul_f64 v[101:102], v[101:102], v[103:104]
	v_xor_b32_e32 v104, 0x80000000, v104
.LBB115_374:
	s_andn2_saveexec_b64 s[2:3], s[2:3]
	s_cbranch_execz .LBB115_376
; %bb.375:
	v_div_scale_f64 v[101:102], s[6:7], v[97:98], v[97:98], v[99:100]
	v_rcp_f64_e32 v[103:104], v[101:102]
	v_fma_f64 v[105:106], -v[101:102], v[103:104], 1.0
	v_fma_f64 v[103:104], v[103:104], v[105:106], v[103:104]
	v_div_scale_f64 v[105:106], vcc, v[99:100], v[97:98], v[99:100]
	v_fma_f64 v[107:108], -v[101:102], v[103:104], 1.0
	v_fma_f64 v[103:104], v[103:104], v[107:108], v[103:104]
	v_mul_f64 v[107:108], v[105:106], v[103:104]
	v_fma_f64 v[101:102], -v[101:102], v[107:108], v[105:106]
	v_div_fmas_f64 v[101:102], v[101:102], v[103:104], v[107:108]
	v_div_fixup_f64 v[103:104], v[101:102], v[97:98], v[99:100]
	v_fma_f64 v[97:98], v[99:100], v[103:104], v[97:98]
	v_div_scale_f64 v[99:100], s[6:7], v[97:98], v[97:98], 1.0
	v_div_scale_f64 v[107:108], vcc, 1.0, v[97:98], 1.0
	v_rcp_f64_e32 v[101:102], v[99:100]
	v_fma_f64 v[105:106], -v[99:100], v[101:102], 1.0
	v_fma_f64 v[101:102], v[101:102], v[105:106], v[101:102]
	v_fma_f64 v[105:106], -v[99:100], v[101:102], 1.0
	v_fma_f64 v[101:102], v[101:102], v[105:106], v[101:102]
	v_mul_f64 v[105:106], v[107:108], v[101:102]
	v_fma_f64 v[99:100], -v[99:100], v[105:106], v[107:108]
	v_div_fmas_f64 v[99:100], v[99:100], v[101:102], v[105:106]
	v_div_fixup_f64 v[101:102], v[99:100], v[97:98], 1.0
	v_mul_f64 v[103:104], v[103:104], -v[101:102]
.LBB115_376:
	s_or_b64 exec, exec, s[2:3]
	ds_write2_b64 v127, v[101:102], v[103:104] offset1:1
.LBB115_377:
	s_or_b64 exec, exec, s[4:5]
	s_waitcnt lgkmcnt(0)
	s_barrier
	ds_read2_b64 v[73:76], v127 offset1:1
	v_cmp_lt_u32_e32 vcc, 41, v0
	s_waitcnt lgkmcnt(0)
	buffer_store_dword v73, off, s[20:23], 0 offset:1824 ; 4-byte Folded Spill
	s_nop 0
	buffer_store_dword v74, off, s[20:23], 0 offset:1828 ; 4-byte Folded Spill
	buffer_store_dword v75, off, s[20:23], 0 offset:1832 ; 4-byte Folded Spill
	;; [unrolled: 1-line block ×3, first 2 shown]
	s_and_saveexec_b64 s[2:3], vcc
	s_cbranch_execz .LBB115_379
; %bb.378:
	buffer_load_dword v73, off, s[20:23], 0 offset:1824 ; 4-byte Folded Reload
	buffer_load_dword v74, off, s[20:23], 0 offset:1828 ; 4-byte Folded Reload
	;; [unrolled: 1-line block ×8, first 2 shown]
	ds_read2_b64 v[99:102], v125 offset0:84 offset1:85
	buffer_load_dword v57, off, s[20:23], 0 offset:64 ; 4-byte Folded Reload
	buffer_load_dword v58, off, s[20:23], 0 offset:68 ; 4-byte Folded Reload
	;; [unrolled: 1-line block ×4, first 2 shown]
	s_waitcnt vmcnt(4)
	v_mul_f64 v[97:98], v[73:74], v[63:64]
	v_mul_f64 v[63:64], v[75:76], v[63:64]
	v_fma_f64 v[97:98], v[75:76], v[61:62], v[97:98]
	v_fma_f64 v[61:62], v[73:74], v[61:62], -v[63:64]
	s_waitcnt lgkmcnt(0)
	v_mul_f64 v[63:64], v[101:102], v[97:98]
	v_fma_f64 v[63:64], v[99:100], v[61:62], -v[63:64]
	v_mul_f64 v[99:100], v[99:100], v[97:98]
	s_waitcnt vmcnt(2)
	v_add_f64 v[57:58], v[57:58], -v[63:64]
	v_fma_f64 v[99:100], v[101:102], v[61:62], v[99:100]
	s_waitcnt vmcnt(0)
	v_add_f64 v[59:60], v[59:60], -v[99:100]
	buffer_store_dword v57, off, s[20:23], 0 offset:64 ; 4-byte Folded Spill
	s_nop 0
	buffer_store_dword v58, off, s[20:23], 0 offset:68 ; 4-byte Folded Spill
	buffer_store_dword v59, off, s[20:23], 0 offset:72 ; 4-byte Folded Spill
	buffer_store_dword v60, off, s[20:23], 0 offset:76 ; 4-byte Folded Spill
	ds_read2_b64 v[99:102], v125 offset0:86 offset1:87
	buffer_load_dword v53, off, s[20:23], 0 offset:48 ; 4-byte Folded Reload
	buffer_load_dword v54, off, s[20:23], 0 offset:52 ; 4-byte Folded Reload
	buffer_load_dword v55, off, s[20:23], 0 offset:56 ; 4-byte Folded Reload
	buffer_load_dword v56, off, s[20:23], 0 offset:60 ; 4-byte Folded Reload
	s_waitcnt lgkmcnt(0)
	v_mul_f64 v[63:64], v[101:102], v[97:98]
	v_fma_f64 v[63:64], v[99:100], v[61:62], -v[63:64]
	v_mul_f64 v[99:100], v[99:100], v[97:98]
	v_fma_f64 v[99:100], v[101:102], v[61:62], v[99:100]
	s_waitcnt vmcnt(2)
	v_add_f64 v[53:54], v[53:54], -v[63:64]
	s_waitcnt vmcnt(0)
	v_add_f64 v[55:56], v[55:56], -v[99:100]
	buffer_store_dword v53, off, s[20:23], 0 offset:48 ; 4-byte Folded Spill
	s_nop 0
	buffer_store_dword v54, off, s[20:23], 0 offset:52 ; 4-byte Folded Spill
	buffer_store_dword v55, off, s[20:23], 0 offset:56 ; 4-byte Folded Spill
	buffer_store_dword v56, off, s[20:23], 0 offset:60 ; 4-byte Folded Spill
	ds_read2_b64 v[99:102], v125 offset0:88 offset1:89
	buffer_load_dword v49, off, s[20:23], 0 offset:32 ; 4-byte Folded Reload
	buffer_load_dword v50, off, s[20:23], 0 offset:36 ; 4-byte Folded Reload
	buffer_load_dword v51, off, s[20:23], 0 offset:40 ; 4-byte Folded Reload
	buffer_load_dword v52, off, s[20:23], 0 offset:44 ; 4-byte Folded Reload
	s_waitcnt lgkmcnt(0)
	v_mul_f64 v[63:64], v[101:102], v[97:98]
	v_fma_f64 v[63:64], v[99:100], v[61:62], -v[63:64]
	v_mul_f64 v[99:100], v[99:100], v[97:98]
	v_fma_f64 v[99:100], v[101:102], v[61:62], v[99:100]
	s_waitcnt vmcnt(2)
	v_add_f64 v[49:50], v[49:50], -v[63:64]
	;; [unrolled: 19-line block ×3, first 2 shown]
	s_waitcnt vmcnt(0)
	v_add_f64 v[47:48], v[47:48], -v[99:100]
	buffer_store_dword v45, off, s[20:23], 0 offset:16 ; 4-byte Folded Spill
	s_nop 0
	buffer_store_dword v46, off, s[20:23], 0 offset:20 ; 4-byte Folded Spill
	buffer_store_dword v47, off, s[20:23], 0 offset:24 ; 4-byte Folded Spill
	;; [unrolled: 1-line block ×3, first 2 shown]
	ds_read2_b64 v[99:102], v125 offset0:92 offset1:93
	buffer_load_dword v41, off, s[20:23], 0 ; 4-byte Folded Reload
	buffer_load_dword v42, off, s[20:23], 0 offset:4 ; 4-byte Folded Reload
	buffer_load_dword v43, off, s[20:23], 0 offset:8 ; 4-byte Folded Reload
	;; [unrolled: 1-line block ×3, first 2 shown]
	s_waitcnt lgkmcnt(0)
	v_mul_f64 v[63:64], v[101:102], v[97:98]
	v_fma_f64 v[63:64], v[99:100], v[61:62], -v[63:64]
	v_mul_f64 v[99:100], v[99:100], v[97:98]
	v_fma_f64 v[99:100], v[101:102], v[61:62], v[99:100]
	s_waitcnt vmcnt(2)
	v_add_f64 v[41:42], v[41:42], -v[63:64]
	s_waitcnt vmcnt(0)
	v_add_f64 v[43:44], v[43:44], -v[99:100]
	buffer_store_dword v41, off, s[20:23], 0 ; 4-byte Folded Spill
	s_nop 0
	buffer_store_dword v42, off, s[20:23], 0 offset:4 ; 4-byte Folded Spill
	buffer_store_dword v43, off, s[20:23], 0 offset:8 ; 4-byte Folded Spill
	;; [unrolled: 1-line block ×3, first 2 shown]
	ds_read2_b64 v[99:102], v125 offset0:94 offset1:95
	s_waitcnt lgkmcnt(0)
	v_mul_f64 v[63:64], v[101:102], v[97:98]
	v_fma_f64 v[63:64], v[99:100], v[61:62], -v[63:64]
	v_mul_f64 v[99:100], v[99:100], v[97:98]
	v_add_f64 v[37:38], v[37:38], -v[63:64]
	v_fma_f64 v[99:100], v[101:102], v[61:62], v[99:100]
	v_add_f64 v[39:40], v[39:40], -v[99:100]
	ds_read2_b64 v[99:102], v125 offset0:96 offset1:97
	s_waitcnt lgkmcnt(0)
	v_mul_f64 v[63:64], v[101:102], v[97:98]
	v_fma_f64 v[63:64], v[99:100], v[61:62], -v[63:64]
	v_mul_f64 v[99:100], v[99:100], v[97:98]
	v_add_f64 v[33:34], v[33:34], -v[63:64]
	v_fma_f64 v[99:100], v[101:102], v[61:62], v[99:100]
	v_add_f64 v[35:36], v[35:36], -v[99:100]
	;; [unrolled: 8-line block ×10, first 2 shown]
	ds_read2_b64 v[99:102], v125 offset0:114 offset1:115
	s_waitcnt lgkmcnt(0)
	v_mul_f64 v[63:64], v[101:102], v[97:98]
	v_fma_f64 v[63:64], v[99:100], v[61:62], -v[63:64]
	v_mul_f64 v[99:100], v[99:100], v[97:98]
	v_add_f64 v[121:122], v[121:122], -v[63:64]
	v_fma_f64 v[99:100], v[101:102], v[61:62], v[99:100]
	v_mov_b32_e32 v63, v97
	v_mov_b32_e32 v64, v98
	buffer_store_dword v61, off, s[20:23], 0 offset:80 ; 4-byte Folded Spill
	s_nop 0
	buffer_store_dword v62, off, s[20:23], 0 offset:84 ; 4-byte Folded Spill
	buffer_store_dword v63, off, s[20:23], 0 offset:88 ; 4-byte Folded Spill
	;; [unrolled: 1-line block ×3, first 2 shown]
	v_add_f64 v[123:124], v[123:124], -v[99:100]
.LBB115_379:
	s_or_b64 exec, exec, s[2:3]
	v_cmp_eq_u32_e32 vcc, 42, v0
	s_waitcnt vmcnt(0)
	s_barrier
	s_and_saveexec_b64 s[4:5], vcc
	s_cbranch_execz .LBB115_386
; %bb.380:
	buffer_load_dword v57, off, s[20:23], 0 offset:64 ; 4-byte Folded Reload
	buffer_load_dword v58, off, s[20:23], 0 offset:68 ; 4-byte Folded Reload
	buffer_load_dword v59, off, s[20:23], 0 offset:72 ; 4-byte Folded Reload
	buffer_load_dword v60, off, s[20:23], 0 offset:76 ; 4-byte Folded Reload
	s_waitcnt vmcnt(0)
	ds_write2_b64 v127, v[57:58], v[59:60] offset1:1
	buffer_load_dword v53, off, s[20:23], 0 offset:48 ; 4-byte Folded Reload
	buffer_load_dword v54, off, s[20:23], 0 offset:52 ; 4-byte Folded Reload
	buffer_load_dword v55, off, s[20:23], 0 offset:56 ; 4-byte Folded Reload
	buffer_load_dword v56, off, s[20:23], 0 offset:60 ; 4-byte Folded Reload
	s_waitcnt vmcnt(0)
	ds_write2_b64 v125, v[53:54], v[55:56] offset0:86 offset1:87
	buffer_load_dword v49, off, s[20:23], 0 offset:32 ; 4-byte Folded Reload
	buffer_load_dword v50, off, s[20:23], 0 offset:36 ; 4-byte Folded Reload
	buffer_load_dword v51, off, s[20:23], 0 offset:40 ; 4-byte Folded Reload
	buffer_load_dword v52, off, s[20:23], 0 offset:44 ; 4-byte Folded Reload
	s_waitcnt vmcnt(0)
	ds_write2_b64 v125, v[49:50], v[51:52] offset0:88 offset1:89
	;; [unrolled: 6-line block ×3, first 2 shown]
	buffer_load_dword v41, off, s[20:23], 0 ; 4-byte Folded Reload
	buffer_load_dword v42, off, s[20:23], 0 offset:4 ; 4-byte Folded Reload
	buffer_load_dword v43, off, s[20:23], 0 offset:8 ; 4-byte Folded Reload
	;; [unrolled: 1-line block ×3, first 2 shown]
	s_waitcnt vmcnt(0)
	ds_write2_b64 v125, v[41:42], v[43:44] offset0:92 offset1:93
	ds_write2_b64 v125, v[37:38], v[39:40] offset0:94 offset1:95
	;; [unrolled: 1-line block ×12, first 2 shown]
	ds_read2_b64 v[97:100], v127 offset1:1
	s_waitcnt lgkmcnt(0)
	v_cmp_neq_f64_e32 vcc, 0, v[97:98]
	v_cmp_neq_f64_e64 s[2:3], 0, v[99:100]
	s_or_b64 s[2:3], vcc, s[2:3]
	s_and_b64 exec, exec, s[2:3]
	s_cbranch_execz .LBB115_386
; %bb.381:
	v_cmp_ngt_f64_e64 s[2:3], |v[97:98]|, |v[99:100]|
                                        ; implicit-def: $vgpr101_vgpr102
	s_and_saveexec_b64 s[6:7], s[2:3]
	s_xor_b64 s[2:3], exec, s[6:7]
                                        ; implicit-def: $vgpr103_vgpr104
	s_cbranch_execz .LBB115_383
; %bb.382:
	v_div_scale_f64 v[101:102], s[6:7], v[99:100], v[99:100], v[97:98]
	v_rcp_f64_e32 v[103:104], v[101:102]
	v_fma_f64 v[105:106], -v[101:102], v[103:104], 1.0
	v_fma_f64 v[103:104], v[103:104], v[105:106], v[103:104]
	v_div_scale_f64 v[105:106], vcc, v[97:98], v[99:100], v[97:98]
	v_fma_f64 v[107:108], -v[101:102], v[103:104], 1.0
	v_fma_f64 v[103:104], v[103:104], v[107:108], v[103:104]
	v_mul_f64 v[107:108], v[105:106], v[103:104]
	v_fma_f64 v[101:102], -v[101:102], v[107:108], v[105:106]
	v_div_fmas_f64 v[101:102], v[101:102], v[103:104], v[107:108]
	v_div_fixup_f64 v[101:102], v[101:102], v[99:100], v[97:98]
	v_fma_f64 v[97:98], v[97:98], v[101:102], v[99:100]
	v_div_scale_f64 v[99:100], s[6:7], v[97:98], v[97:98], 1.0
	v_div_scale_f64 v[107:108], vcc, 1.0, v[97:98], 1.0
	v_rcp_f64_e32 v[103:104], v[99:100]
	v_fma_f64 v[105:106], -v[99:100], v[103:104], 1.0
	v_fma_f64 v[103:104], v[103:104], v[105:106], v[103:104]
	v_fma_f64 v[105:106], -v[99:100], v[103:104], 1.0
	v_fma_f64 v[103:104], v[103:104], v[105:106], v[103:104]
	v_mul_f64 v[105:106], v[107:108], v[103:104]
	v_fma_f64 v[99:100], -v[99:100], v[105:106], v[107:108]
	v_div_fmas_f64 v[99:100], v[99:100], v[103:104], v[105:106]
	v_div_fixup_f64 v[103:104], v[99:100], v[97:98], 1.0
                                        ; implicit-def: $vgpr97_vgpr98
	v_mul_f64 v[101:102], v[101:102], v[103:104]
	v_xor_b32_e32 v104, 0x80000000, v104
.LBB115_383:
	s_andn2_saveexec_b64 s[2:3], s[2:3]
	s_cbranch_execz .LBB115_385
; %bb.384:
	v_div_scale_f64 v[101:102], s[6:7], v[97:98], v[97:98], v[99:100]
	v_rcp_f64_e32 v[103:104], v[101:102]
	v_fma_f64 v[105:106], -v[101:102], v[103:104], 1.0
	v_fma_f64 v[103:104], v[103:104], v[105:106], v[103:104]
	v_div_scale_f64 v[105:106], vcc, v[99:100], v[97:98], v[99:100]
	v_fma_f64 v[107:108], -v[101:102], v[103:104], 1.0
	v_fma_f64 v[103:104], v[103:104], v[107:108], v[103:104]
	v_mul_f64 v[107:108], v[105:106], v[103:104]
	v_fma_f64 v[101:102], -v[101:102], v[107:108], v[105:106]
	v_div_fmas_f64 v[101:102], v[101:102], v[103:104], v[107:108]
	v_div_fixup_f64 v[103:104], v[101:102], v[97:98], v[99:100]
	v_fma_f64 v[97:98], v[99:100], v[103:104], v[97:98]
	v_div_scale_f64 v[99:100], s[6:7], v[97:98], v[97:98], 1.0
	v_div_scale_f64 v[107:108], vcc, 1.0, v[97:98], 1.0
	v_rcp_f64_e32 v[101:102], v[99:100]
	v_fma_f64 v[105:106], -v[99:100], v[101:102], 1.0
	v_fma_f64 v[101:102], v[101:102], v[105:106], v[101:102]
	v_fma_f64 v[105:106], -v[99:100], v[101:102], 1.0
	v_fma_f64 v[101:102], v[101:102], v[105:106], v[101:102]
	v_mul_f64 v[105:106], v[107:108], v[101:102]
	v_fma_f64 v[99:100], -v[99:100], v[105:106], v[107:108]
	v_div_fmas_f64 v[99:100], v[99:100], v[101:102], v[105:106]
	v_div_fixup_f64 v[101:102], v[99:100], v[97:98], 1.0
	v_mul_f64 v[103:104], v[103:104], -v[101:102]
.LBB115_385:
	s_or_b64 exec, exec, s[2:3]
	ds_write2_b64 v127, v[101:102], v[103:104] offset1:1
.LBB115_386:
	s_or_b64 exec, exec, s[4:5]
	s_waitcnt lgkmcnt(0)
	s_barrier
	ds_read2_b64 v[41:44], v127 offset1:1
	v_cmp_lt_u32_e32 vcc, 42, v0
	s_waitcnt lgkmcnt(0)
	buffer_store_dword v41, off, s[20:23], 0 offset:1872 ; 4-byte Folded Spill
	s_nop 0
	buffer_store_dword v42, off, s[20:23], 0 offset:1876 ; 4-byte Folded Spill
	buffer_store_dword v43, off, s[20:23], 0 offset:1880 ; 4-byte Folded Spill
	;; [unrolled: 1-line block ×3, first 2 shown]
	s_and_saveexec_b64 s[2:3], vcc
	s_cbranch_execz .LBB115_388
; %bb.387:
	buffer_load_dword v57, off, s[20:23], 0 offset:64 ; 4-byte Folded Reload
	buffer_load_dword v58, off, s[20:23], 0 offset:68 ; 4-byte Folded Reload
	;; [unrolled: 1-line block ×8, first 2 shown]
	ds_read2_b64 v[99:102], v125 offset0:86 offset1:87
	buffer_load_dword v53, off, s[20:23], 0 offset:48 ; 4-byte Folded Reload
	buffer_load_dword v54, off, s[20:23], 0 offset:52 ; 4-byte Folded Reload
	;; [unrolled: 1-line block ×4, first 2 shown]
	s_waitcnt vmcnt(6)
	v_mul_f64 v[97:98], v[41:42], v[59:60]
	s_waitcnt vmcnt(4)
	v_mul_f64 v[59:60], v[43:44], v[59:60]
	v_fma_f64 v[97:98], v[43:44], v[57:58], v[97:98]
	v_fma_f64 v[57:58], v[41:42], v[57:58], -v[59:60]
	s_waitcnt lgkmcnt(0)
	v_mul_f64 v[59:60], v[101:102], v[97:98]
	v_fma_f64 v[59:60], v[99:100], v[57:58], -v[59:60]
	v_mul_f64 v[99:100], v[99:100], v[97:98]
	s_waitcnt vmcnt(2)
	v_add_f64 v[53:54], v[53:54], -v[59:60]
	v_fma_f64 v[99:100], v[101:102], v[57:58], v[99:100]
	s_waitcnt vmcnt(0)
	v_add_f64 v[55:56], v[55:56], -v[99:100]
	buffer_store_dword v53, off, s[20:23], 0 offset:48 ; 4-byte Folded Spill
	s_nop 0
	buffer_store_dword v54, off, s[20:23], 0 offset:52 ; 4-byte Folded Spill
	buffer_store_dword v55, off, s[20:23], 0 offset:56 ; 4-byte Folded Spill
	buffer_store_dword v56, off, s[20:23], 0 offset:60 ; 4-byte Folded Spill
	ds_read2_b64 v[99:102], v125 offset0:88 offset1:89
	buffer_load_dword v49, off, s[20:23], 0 offset:32 ; 4-byte Folded Reload
	buffer_load_dword v50, off, s[20:23], 0 offset:36 ; 4-byte Folded Reload
	;; [unrolled: 1-line block ×4, first 2 shown]
	s_waitcnt lgkmcnt(0)
	v_mul_f64 v[59:60], v[101:102], v[97:98]
	v_fma_f64 v[59:60], v[99:100], v[57:58], -v[59:60]
	v_mul_f64 v[99:100], v[99:100], v[97:98]
	v_fma_f64 v[99:100], v[101:102], v[57:58], v[99:100]
	s_waitcnt vmcnt(2)
	v_add_f64 v[49:50], v[49:50], -v[59:60]
	s_waitcnt vmcnt(0)
	v_add_f64 v[51:52], v[51:52], -v[99:100]
	buffer_store_dword v49, off, s[20:23], 0 offset:32 ; 4-byte Folded Spill
	s_nop 0
	buffer_store_dword v50, off, s[20:23], 0 offset:36 ; 4-byte Folded Spill
	buffer_store_dword v51, off, s[20:23], 0 offset:40 ; 4-byte Folded Spill
	;; [unrolled: 1-line block ×3, first 2 shown]
	ds_read2_b64 v[99:102], v125 offset0:90 offset1:91
	buffer_load_dword v45, off, s[20:23], 0 offset:16 ; 4-byte Folded Reload
	buffer_load_dword v46, off, s[20:23], 0 offset:20 ; 4-byte Folded Reload
	;; [unrolled: 1-line block ×4, first 2 shown]
	s_waitcnt lgkmcnt(0)
	v_mul_f64 v[59:60], v[101:102], v[97:98]
	v_fma_f64 v[59:60], v[99:100], v[57:58], -v[59:60]
	v_mul_f64 v[99:100], v[99:100], v[97:98]
	v_fma_f64 v[99:100], v[101:102], v[57:58], v[99:100]
	s_waitcnt vmcnt(2)
	v_add_f64 v[45:46], v[45:46], -v[59:60]
	s_waitcnt vmcnt(0)
	v_add_f64 v[47:48], v[47:48], -v[99:100]
	buffer_store_dword v45, off, s[20:23], 0 offset:16 ; 4-byte Folded Spill
	s_nop 0
	buffer_store_dword v46, off, s[20:23], 0 offset:20 ; 4-byte Folded Spill
	buffer_store_dword v47, off, s[20:23], 0 offset:24 ; 4-byte Folded Spill
	;; [unrolled: 1-line block ×3, first 2 shown]
	ds_read2_b64 v[99:102], v125 offset0:92 offset1:93
	buffer_load_dword v41, off, s[20:23], 0 ; 4-byte Folded Reload
	buffer_load_dword v42, off, s[20:23], 0 offset:4 ; 4-byte Folded Reload
	buffer_load_dword v43, off, s[20:23], 0 offset:8 ; 4-byte Folded Reload
	;; [unrolled: 1-line block ×3, first 2 shown]
	s_waitcnt lgkmcnt(0)
	v_mul_f64 v[59:60], v[101:102], v[97:98]
	v_fma_f64 v[59:60], v[99:100], v[57:58], -v[59:60]
	v_mul_f64 v[99:100], v[99:100], v[97:98]
	v_fma_f64 v[99:100], v[101:102], v[57:58], v[99:100]
	s_waitcnt vmcnt(2)
	v_add_f64 v[41:42], v[41:42], -v[59:60]
	s_waitcnt vmcnt(0)
	v_add_f64 v[43:44], v[43:44], -v[99:100]
	buffer_store_dword v41, off, s[20:23], 0 ; 4-byte Folded Spill
	s_nop 0
	buffer_store_dword v42, off, s[20:23], 0 offset:4 ; 4-byte Folded Spill
	buffer_store_dword v43, off, s[20:23], 0 offset:8 ; 4-byte Folded Spill
	;; [unrolled: 1-line block ×3, first 2 shown]
	ds_read2_b64 v[99:102], v125 offset0:94 offset1:95
	s_waitcnt lgkmcnt(0)
	v_mul_f64 v[59:60], v[101:102], v[97:98]
	v_fma_f64 v[59:60], v[99:100], v[57:58], -v[59:60]
	v_mul_f64 v[99:100], v[99:100], v[97:98]
	v_add_f64 v[37:38], v[37:38], -v[59:60]
	v_fma_f64 v[99:100], v[101:102], v[57:58], v[99:100]
	v_add_f64 v[39:40], v[39:40], -v[99:100]
	ds_read2_b64 v[99:102], v125 offset0:96 offset1:97
	s_waitcnt lgkmcnt(0)
	v_mul_f64 v[59:60], v[101:102], v[97:98]
	v_fma_f64 v[59:60], v[99:100], v[57:58], -v[59:60]
	v_mul_f64 v[99:100], v[99:100], v[97:98]
	v_add_f64 v[33:34], v[33:34], -v[59:60]
	v_fma_f64 v[99:100], v[101:102], v[57:58], v[99:100]
	v_add_f64 v[35:36], v[35:36], -v[99:100]
	;; [unrolled: 8-line block ×10, first 2 shown]
	ds_read2_b64 v[99:102], v125 offset0:114 offset1:115
	s_waitcnt lgkmcnt(0)
	v_mul_f64 v[59:60], v[101:102], v[97:98]
	v_fma_f64 v[59:60], v[99:100], v[57:58], -v[59:60]
	v_mul_f64 v[99:100], v[99:100], v[97:98]
	v_add_f64 v[121:122], v[121:122], -v[59:60]
	v_fma_f64 v[99:100], v[101:102], v[57:58], v[99:100]
	v_mov_b32_e32 v59, v97
	v_mov_b32_e32 v60, v98
	buffer_store_dword v57, off, s[20:23], 0 offset:64 ; 4-byte Folded Spill
	s_nop 0
	buffer_store_dword v58, off, s[20:23], 0 offset:68 ; 4-byte Folded Spill
	buffer_store_dword v59, off, s[20:23], 0 offset:72 ; 4-byte Folded Spill
	;; [unrolled: 1-line block ×3, first 2 shown]
	v_add_f64 v[123:124], v[123:124], -v[99:100]
.LBB115_388:
	s_or_b64 exec, exec, s[2:3]
	v_cmp_eq_u32_e32 vcc, 43, v0
	s_waitcnt vmcnt(0)
	s_barrier
	s_and_saveexec_b64 s[4:5], vcc
	s_cbranch_execz .LBB115_395
; %bb.389:
	buffer_load_dword v53, off, s[20:23], 0 offset:48 ; 4-byte Folded Reload
	buffer_load_dword v54, off, s[20:23], 0 offset:52 ; 4-byte Folded Reload
	;; [unrolled: 1-line block ×4, first 2 shown]
	s_waitcnt vmcnt(0)
	ds_write2_b64 v127, v[53:54], v[55:56] offset1:1
	buffer_load_dword v49, off, s[20:23], 0 offset:32 ; 4-byte Folded Reload
	buffer_load_dword v50, off, s[20:23], 0 offset:36 ; 4-byte Folded Reload
	buffer_load_dword v51, off, s[20:23], 0 offset:40 ; 4-byte Folded Reload
	buffer_load_dword v52, off, s[20:23], 0 offset:44 ; 4-byte Folded Reload
	s_waitcnt vmcnt(0)
	ds_write2_b64 v125, v[49:50], v[51:52] offset0:88 offset1:89
	buffer_load_dword v45, off, s[20:23], 0 offset:16 ; 4-byte Folded Reload
	buffer_load_dword v46, off, s[20:23], 0 offset:20 ; 4-byte Folded Reload
	;; [unrolled: 1-line block ×4, first 2 shown]
	s_waitcnt vmcnt(0)
	ds_write2_b64 v125, v[45:46], v[47:48] offset0:90 offset1:91
	buffer_load_dword v41, off, s[20:23], 0 ; 4-byte Folded Reload
	buffer_load_dword v42, off, s[20:23], 0 offset:4 ; 4-byte Folded Reload
	buffer_load_dword v43, off, s[20:23], 0 offset:8 ; 4-byte Folded Reload
	;; [unrolled: 1-line block ×3, first 2 shown]
	s_waitcnt vmcnt(0)
	ds_write2_b64 v125, v[41:42], v[43:44] offset0:92 offset1:93
	ds_write2_b64 v125, v[37:38], v[39:40] offset0:94 offset1:95
	;; [unrolled: 1-line block ×12, first 2 shown]
	ds_read2_b64 v[97:100], v127 offset1:1
	s_waitcnt lgkmcnt(0)
	v_cmp_neq_f64_e32 vcc, 0, v[97:98]
	v_cmp_neq_f64_e64 s[2:3], 0, v[99:100]
	s_or_b64 s[2:3], vcc, s[2:3]
	s_and_b64 exec, exec, s[2:3]
	s_cbranch_execz .LBB115_395
; %bb.390:
	v_cmp_ngt_f64_e64 s[2:3], |v[97:98]|, |v[99:100]|
                                        ; implicit-def: $vgpr101_vgpr102
	s_and_saveexec_b64 s[6:7], s[2:3]
	s_xor_b64 s[2:3], exec, s[6:7]
                                        ; implicit-def: $vgpr103_vgpr104
	s_cbranch_execz .LBB115_392
; %bb.391:
	v_div_scale_f64 v[101:102], s[6:7], v[99:100], v[99:100], v[97:98]
	v_rcp_f64_e32 v[103:104], v[101:102]
	v_fma_f64 v[105:106], -v[101:102], v[103:104], 1.0
	v_fma_f64 v[103:104], v[103:104], v[105:106], v[103:104]
	v_div_scale_f64 v[105:106], vcc, v[97:98], v[99:100], v[97:98]
	v_fma_f64 v[107:108], -v[101:102], v[103:104], 1.0
	v_fma_f64 v[103:104], v[103:104], v[107:108], v[103:104]
	v_mul_f64 v[107:108], v[105:106], v[103:104]
	v_fma_f64 v[101:102], -v[101:102], v[107:108], v[105:106]
	v_div_fmas_f64 v[101:102], v[101:102], v[103:104], v[107:108]
	v_div_fixup_f64 v[101:102], v[101:102], v[99:100], v[97:98]
	v_fma_f64 v[97:98], v[97:98], v[101:102], v[99:100]
	v_div_scale_f64 v[99:100], s[6:7], v[97:98], v[97:98], 1.0
	v_div_scale_f64 v[107:108], vcc, 1.0, v[97:98], 1.0
	v_rcp_f64_e32 v[103:104], v[99:100]
	v_fma_f64 v[105:106], -v[99:100], v[103:104], 1.0
	v_fma_f64 v[103:104], v[103:104], v[105:106], v[103:104]
	v_fma_f64 v[105:106], -v[99:100], v[103:104], 1.0
	v_fma_f64 v[103:104], v[103:104], v[105:106], v[103:104]
	v_mul_f64 v[105:106], v[107:108], v[103:104]
	v_fma_f64 v[99:100], -v[99:100], v[105:106], v[107:108]
	v_div_fmas_f64 v[99:100], v[99:100], v[103:104], v[105:106]
	v_div_fixup_f64 v[103:104], v[99:100], v[97:98], 1.0
                                        ; implicit-def: $vgpr97_vgpr98
	v_mul_f64 v[101:102], v[101:102], v[103:104]
	v_xor_b32_e32 v104, 0x80000000, v104
.LBB115_392:
	s_andn2_saveexec_b64 s[2:3], s[2:3]
	s_cbranch_execz .LBB115_394
; %bb.393:
	v_div_scale_f64 v[101:102], s[6:7], v[97:98], v[97:98], v[99:100]
	v_rcp_f64_e32 v[103:104], v[101:102]
	v_fma_f64 v[105:106], -v[101:102], v[103:104], 1.0
	v_fma_f64 v[103:104], v[103:104], v[105:106], v[103:104]
	v_div_scale_f64 v[105:106], vcc, v[99:100], v[97:98], v[99:100]
	v_fma_f64 v[107:108], -v[101:102], v[103:104], 1.0
	v_fma_f64 v[103:104], v[103:104], v[107:108], v[103:104]
	v_mul_f64 v[107:108], v[105:106], v[103:104]
	v_fma_f64 v[101:102], -v[101:102], v[107:108], v[105:106]
	v_div_fmas_f64 v[101:102], v[101:102], v[103:104], v[107:108]
	v_div_fixup_f64 v[103:104], v[101:102], v[97:98], v[99:100]
	v_fma_f64 v[97:98], v[99:100], v[103:104], v[97:98]
	v_div_scale_f64 v[99:100], s[6:7], v[97:98], v[97:98], 1.0
	v_div_scale_f64 v[107:108], vcc, 1.0, v[97:98], 1.0
	v_rcp_f64_e32 v[101:102], v[99:100]
	v_fma_f64 v[105:106], -v[99:100], v[101:102], 1.0
	v_fma_f64 v[101:102], v[101:102], v[105:106], v[101:102]
	v_fma_f64 v[105:106], -v[99:100], v[101:102], 1.0
	v_fma_f64 v[101:102], v[101:102], v[105:106], v[101:102]
	v_mul_f64 v[105:106], v[107:108], v[101:102]
	v_fma_f64 v[99:100], -v[99:100], v[105:106], v[107:108]
	v_div_fmas_f64 v[99:100], v[99:100], v[101:102], v[105:106]
	v_div_fixup_f64 v[101:102], v[99:100], v[97:98], 1.0
	v_mul_f64 v[103:104], v[103:104], -v[101:102]
.LBB115_394:
	s_or_b64 exec, exec, s[2:3]
	ds_write2_b64 v127, v[101:102], v[103:104] offset1:1
.LBB115_395:
	s_or_b64 exec, exec, s[4:5]
	s_waitcnt lgkmcnt(0)
	s_barrier
	ds_read2_b64 v[69:72], v127 offset1:1
	v_cmp_lt_u32_e32 vcc, 43, v0
	s_and_saveexec_b64 s[2:3], vcc
	s_cbranch_execz .LBB115_397
; %bb.396:
	buffer_load_dword v53, off, s[20:23], 0 offset:48 ; 4-byte Folded Reload
	buffer_load_dword v54, off, s[20:23], 0 offset:52 ; 4-byte Folded Reload
	;; [unrolled: 1-line block ×4, first 2 shown]
	ds_read2_b64 v[99:102], v125 offset0:88 offset1:89
	buffer_load_dword v49, off, s[20:23], 0 offset:32 ; 4-byte Folded Reload
	buffer_load_dword v50, off, s[20:23], 0 offset:36 ; 4-byte Folded Reload
	;; [unrolled: 1-line block ×4, first 2 shown]
	s_waitcnt vmcnt(4) lgkmcnt(1)
	v_mul_f64 v[97:98], v[69:70], v[55:56]
	v_mul_f64 v[55:56], v[71:72], v[55:56]
	v_fma_f64 v[97:98], v[71:72], v[53:54], v[97:98]
	v_fma_f64 v[53:54], v[69:70], v[53:54], -v[55:56]
	s_waitcnt lgkmcnt(0)
	v_mul_f64 v[55:56], v[101:102], v[97:98]
	v_fma_f64 v[55:56], v[99:100], v[53:54], -v[55:56]
	v_mul_f64 v[99:100], v[99:100], v[97:98]
	s_waitcnt vmcnt(2)
	v_add_f64 v[49:50], v[49:50], -v[55:56]
	v_fma_f64 v[99:100], v[101:102], v[53:54], v[99:100]
	s_waitcnt vmcnt(0)
	v_add_f64 v[51:52], v[51:52], -v[99:100]
	buffer_store_dword v49, off, s[20:23], 0 offset:32 ; 4-byte Folded Spill
	s_nop 0
	buffer_store_dword v50, off, s[20:23], 0 offset:36 ; 4-byte Folded Spill
	buffer_store_dword v51, off, s[20:23], 0 offset:40 ; 4-byte Folded Spill
	;; [unrolled: 1-line block ×3, first 2 shown]
	ds_read2_b64 v[99:102], v125 offset0:90 offset1:91
	buffer_load_dword v45, off, s[20:23], 0 offset:16 ; 4-byte Folded Reload
	buffer_load_dword v46, off, s[20:23], 0 offset:20 ; 4-byte Folded Reload
	;; [unrolled: 1-line block ×4, first 2 shown]
	s_waitcnt lgkmcnt(0)
	v_mul_f64 v[55:56], v[101:102], v[97:98]
	v_fma_f64 v[55:56], v[99:100], v[53:54], -v[55:56]
	v_mul_f64 v[99:100], v[99:100], v[97:98]
	v_fma_f64 v[99:100], v[101:102], v[53:54], v[99:100]
	s_waitcnt vmcnt(2)
	v_add_f64 v[45:46], v[45:46], -v[55:56]
	s_waitcnt vmcnt(0)
	v_add_f64 v[47:48], v[47:48], -v[99:100]
	buffer_store_dword v45, off, s[20:23], 0 offset:16 ; 4-byte Folded Spill
	s_nop 0
	buffer_store_dword v46, off, s[20:23], 0 offset:20 ; 4-byte Folded Spill
	buffer_store_dword v47, off, s[20:23], 0 offset:24 ; 4-byte Folded Spill
	;; [unrolled: 1-line block ×3, first 2 shown]
	ds_read2_b64 v[99:102], v125 offset0:92 offset1:93
	buffer_load_dword v41, off, s[20:23], 0 ; 4-byte Folded Reload
	buffer_load_dword v42, off, s[20:23], 0 offset:4 ; 4-byte Folded Reload
	buffer_load_dword v43, off, s[20:23], 0 offset:8 ; 4-byte Folded Reload
	;; [unrolled: 1-line block ×3, first 2 shown]
	s_waitcnt lgkmcnt(0)
	v_mul_f64 v[55:56], v[101:102], v[97:98]
	v_fma_f64 v[55:56], v[99:100], v[53:54], -v[55:56]
	v_mul_f64 v[99:100], v[99:100], v[97:98]
	v_fma_f64 v[99:100], v[101:102], v[53:54], v[99:100]
	s_waitcnt vmcnt(2)
	v_add_f64 v[41:42], v[41:42], -v[55:56]
	s_waitcnt vmcnt(0)
	v_add_f64 v[43:44], v[43:44], -v[99:100]
	buffer_store_dword v41, off, s[20:23], 0 ; 4-byte Folded Spill
	s_nop 0
	buffer_store_dword v42, off, s[20:23], 0 offset:4 ; 4-byte Folded Spill
	buffer_store_dword v43, off, s[20:23], 0 offset:8 ; 4-byte Folded Spill
	;; [unrolled: 1-line block ×3, first 2 shown]
	ds_read2_b64 v[99:102], v125 offset0:94 offset1:95
	s_waitcnt lgkmcnt(0)
	v_mul_f64 v[55:56], v[101:102], v[97:98]
	v_fma_f64 v[55:56], v[99:100], v[53:54], -v[55:56]
	v_mul_f64 v[99:100], v[99:100], v[97:98]
	v_add_f64 v[37:38], v[37:38], -v[55:56]
	v_fma_f64 v[99:100], v[101:102], v[53:54], v[99:100]
	v_add_f64 v[39:40], v[39:40], -v[99:100]
	ds_read2_b64 v[99:102], v125 offset0:96 offset1:97
	s_waitcnt lgkmcnt(0)
	v_mul_f64 v[55:56], v[101:102], v[97:98]
	v_fma_f64 v[55:56], v[99:100], v[53:54], -v[55:56]
	v_mul_f64 v[99:100], v[99:100], v[97:98]
	v_add_f64 v[33:34], v[33:34], -v[55:56]
	v_fma_f64 v[99:100], v[101:102], v[53:54], v[99:100]
	v_add_f64 v[35:36], v[35:36], -v[99:100]
	;; [unrolled: 8-line block ×10, first 2 shown]
	ds_read2_b64 v[99:102], v125 offset0:114 offset1:115
	s_waitcnt lgkmcnt(0)
	v_mul_f64 v[55:56], v[101:102], v[97:98]
	v_fma_f64 v[55:56], v[99:100], v[53:54], -v[55:56]
	v_mul_f64 v[99:100], v[99:100], v[97:98]
	v_add_f64 v[121:122], v[121:122], -v[55:56]
	v_fma_f64 v[99:100], v[101:102], v[53:54], v[99:100]
	v_mov_b32_e32 v55, v97
	v_mov_b32_e32 v56, v98
	buffer_store_dword v53, off, s[20:23], 0 offset:48 ; 4-byte Folded Spill
	s_nop 0
	buffer_store_dword v54, off, s[20:23], 0 offset:52 ; 4-byte Folded Spill
	buffer_store_dword v55, off, s[20:23], 0 offset:56 ; 4-byte Folded Spill
	;; [unrolled: 1-line block ×3, first 2 shown]
	v_add_f64 v[123:124], v[123:124], -v[99:100]
.LBB115_397:
	s_or_b64 exec, exec, s[2:3]
	v_cmp_eq_u32_e32 vcc, 44, v0
	s_waitcnt vmcnt(0) lgkmcnt(0)
	s_barrier
	s_and_saveexec_b64 s[4:5], vcc
	s_cbranch_execz .LBB115_404
; %bb.398:
	buffer_load_dword v49, off, s[20:23], 0 offset:32 ; 4-byte Folded Reload
	buffer_load_dword v50, off, s[20:23], 0 offset:36 ; 4-byte Folded Reload
	;; [unrolled: 1-line block ×4, first 2 shown]
	s_waitcnt vmcnt(0)
	ds_write2_b64 v127, v[49:50], v[51:52] offset1:1
	buffer_load_dword v45, off, s[20:23], 0 offset:16 ; 4-byte Folded Reload
	buffer_load_dword v46, off, s[20:23], 0 offset:20 ; 4-byte Folded Reload
	;; [unrolled: 1-line block ×4, first 2 shown]
	s_waitcnt vmcnt(0)
	ds_write2_b64 v125, v[45:46], v[47:48] offset0:90 offset1:91
	buffer_load_dword v41, off, s[20:23], 0 ; 4-byte Folded Reload
	buffer_load_dword v42, off, s[20:23], 0 offset:4 ; 4-byte Folded Reload
	buffer_load_dword v43, off, s[20:23], 0 offset:8 ; 4-byte Folded Reload
	;; [unrolled: 1-line block ×3, first 2 shown]
	s_waitcnt vmcnt(0)
	ds_write2_b64 v125, v[41:42], v[43:44] offset0:92 offset1:93
	ds_write2_b64 v125, v[37:38], v[39:40] offset0:94 offset1:95
	;; [unrolled: 1-line block ×12, first 2 shown]
	ds_read2_b64 v[97:100], v127 offset1:1
	s_waitcnt lgkmcnt(0)
	v_cmp_neq_f64_e32 vcc, 0, v[97:98]
	v_cmp_neq_f64_e64 s[2:3], 0, v[99:100]
	s_or_b64 s[2:3], vcc, s[2:3]
	s_and_b64 exec, exec, s[2:3]
	s_cbranch_execz .LBB115_404
; %bb.399:
	v_cmp_ngt_f64_e64 s[2:3], |v[97:98]|, |v[99:100]|
                                        ; implicit-def: $vgpr101_vgpr102
	s_and_saveexec_b64 s[6:7], s[2:3]
	s_xor_b64 s[2:3], exec, s[6:7]
                                        ; implicit-def: $vgpr103_vgpr104
	s_cbranch_execz .LBB115_401
; %bb.400:
	v_div_scale_f64 v[101:102], s[6:7], v[99:100], v[99:100], v[97:98]
	v_rcp_f64_e32 v[103:104], v[101:102]
	v_fma_f64 v[105:106], -v[101:102], v[103:104], 1.0
	v_fma_f64 v[103:104], v[103:104], v[105:106], v[103:104]
	v_div_scale_f64 v[105:106], vcc, v[97:98], v[99:100], v[97:98]
	v_fma_f64 v[107:108], -v[101:102], v[103:104], 1.0
	v_fma_f64 v[103:104], v[103:104], v[107:108], v[103:104]
	v_mul_f64 v[107:108], v[105:106], v[103:104]
	v_fma_f64 v[101:102], -v[101:102], v[107:108], v[105:106]
	v_div_fmas_f64 v[101:102], v[101:102], v[103:104], v[107:108]
	v_div_fixup_f64 v[101:102], v[101:102], v[99:100], v[97:98]
	v_fma_f64 v[97:98], v[97:98], v[101:102], v[99:100]
	v_div_scale_f64 v[99:100], s[6:7], v[97:98], v[97:98], 1.0
	v_div_scale_f64 v[107:108], vcc, 1.0, v[97:98], 1.0
	v_rcp_f64_e32 v[103:104], v[99:100]
	v_fma_f64 v[105:106], -v[99:100], v[103:104], 1.0
	v_fma_f64 v[103:104], v[103:104], v[105:106], v[103:104]
	v_fma_f64 v[105:106], -v[99:100], v[103:104], 1.0
	v_fma_f64 v[103:104], v[103:104], v[105:106], v[103:104]
	v_mul_f64 v[105:106], v[107:108], v[103:104]
	v_fma_f64 v[99:100], -v[99:100], v[105:106], v[107:108]
	v_div_fmas_f64 v[99:100], v[99:100], v[103:104], v[105:106]
	v_div_fixup_f64 v[103:104], v[99:100], v[97:98], 1.0
                                        ; implicit-def: $vgpr97_vgpr98
	v_mul_f64 v[101:102], v[101:102], v[103:104]
	v_xor_b32_e32 v104, 0x80000000, v104
.LBB115_401:
	s_andn2_saveexec_b64 s[2:3], s[2:3]
	s_cbranch_execz .LBB115_403
; %bb.402:
	v_div_scale_f64 v[101:102], s[6:7], v[97:98], v[97:98], v[99:100]
	v_rcp_f64_e32 v[103:104], v[101:102]
	v_fma_f64 v[105:106], -v[101:102], v[103:104], 1.0
	v_fma_f64 v[103:104], v[103:104], v[105:106], v[103:104]
	v_div_scale_f64 v[105:106], vcc, v[99:100], v[97:98], v[99:100]
	v_fma_f64 v[107:108], -v[101:102], v[103:104], 1.0
	v_fma_f64 v[103:104], v[103:104], v[107:108], v[103:104]
	v_mul_f64 v[107:108], v[105:106], v[103:104]
	v_fma_f64 v[101:102], -v[101:102], v[107:108], v[105:106]
	v_div_fmas_f64 v[101:102], v[101:102], v[103:104], v[107:108]
	v_div_fixup_f64 v[103:104], v[101:102], v[97:98], v[99:100]
	v_fma_f64 v[97:98], v[99:100], v[103:104], v[97:98]
	v_div_scale_f64 v[99:100], s[6:7], v[97:98], v[97:98], 1.0
	v_div_scale_f64 v[107:108], vcc, 1.0, v[97:98], 1.0
	v_rcp_f64_e32 v[101:102], v[99:100]
	v_fma_f64 v[105:106], -v[99:100], v[101:102], 1.0
	v_fma_f64 v[101:102], v[101:102], v[105:106], v[101:102]
	v_fma_f64 v[105:106], -v[99:100], v[101:102], 1.0
	v_fma_f64 v[101:102], v[101:102], v[105:106], v[101:102]
	v_mul_f64 v[105:106], v[107:108], v[101:102]
	v_fma_f64 v[99:100], -v[99:100], v[105:106], v[107:108]
	v_div_fmas_f64 v[99:100], v[99:100], v[101:102], v[105:106]
	v_div_fixup_f64 v[101:102], v[99:100], v[97:98], 1.0
	v_mul_f64 v[103:104], v[103:104], -v[101:102]
.LBB115_403:
	s_or_b64 exec, exec, s[2:3]
	ds_write2_b64 v127, v[101:102], v[103:104] offset1:1
.LBB115_404:
	s_or_b64 exec, exec, s[4:5]
	s_waitcnt lgkmcnt(0)
	s_barrier
	ds_read2_b64 v[41:44], v127 offset1:1
	v_cmp_lt_u32_e32 vcc, 44, v0
	s_waitcnt lgkmcnt(0)
	buffer_store_dword v41, off, s[20:23], 0 offset:1856 ; 4-byte Folded Spill
	s_nop 0
	buffer_store_dword v42, off, s[20:23], 0 offset:1860 ; 4-byte Folded Spill
	buffer_store_dword v43, off, s[20:23], 0 offset:1864 ; 4-byte Folded Spill
	;; [unrolled: 1-line block ×3, first 2 shown]
	s_and_saveexec_b64 s[2:3], vcc
	s_cbranch_execz .LBB115_406
; %bb.405:
	buffer_load_dword v49, off, s[20:23], 0 offset:32 ; 4-byte Folded Reload
	buffer_load_dword v50, off, s[20:23], 0 offset:36 ; 4-byte Folded Reload
	;; [unrolled: 1-line block ×8, first 2 shown]
	ds_read2_b64 v[99:102], v125 offset0:90 offset1:91
	buffer_load_dword v45, off, s[20:23], 0 offset:16 ; 4-byte Folded Reload
	buffer_load_dword v46, off, s[20:23], 0 offset:20 ; 4-byte Folded Reload
	;; [unrolled: 1-line block ×4, first 2 shown]
	s_waitcnt vmcnt(6)
	v_mul_f64 v[97:98], v[41:42], v[51:52]
	s_waitcnt vmcnt(4)
	v_mul_f64 v[51:52], v[43:44], v[51:52]
	v_fma_f64 v[97:98], v[43:44], v[49:50], v[97:98]
	v_fma_f64 v[49:50], v[41:42], v[49:50], -v[51:52]
	s_waitcnt lgkmcnt(0)
	v_mul_f64 v[51:52], v[101:102], v[97:98]
	v_fma_f64 v[51:52], v[99:100], v[49:50], -v[51:52]
	v_mul_f64 v[99:100], v[99:100], v[97:98]
	s_waitcnt vmcnt(2)
	v_add_f64 v[45:46], v[45:46], -v[51:52]
	v_fma_f64 v[99:100], v[101:102], v[49:50], v[99:100]
	s_waitcnt vmcnt(0)
	v_add_f64 v[47:48], v[47:48], -v[99:100]
	buffer_store_dword v45, off, s[20:23], 0 offset:16 ; 4-byte Folded Spill
	s_nop 0
	buffer_store_dword v46, off, s[20:23], 0 offset:20 ; 4-byte Folded Spill
	buffer_store_dword v47, off, s[20:23], 0 offset:24 ; 4-byte Folded Spill
	;; [unrolled: 1-line block ×3, first 2 shown]
	ds_read2_b64 v[99:102], v125 offset0:92 offset1:93
	buffer_load_dword v41, off, s[20:23], 0 ; 4-byte Folded Reload
	buffer_load_dword v42, off, s[20:23], 0 offset:4 ; 4-byte Folded Reload
	buffer_load_dword v43, off, s[20:23], 0 offset:8 ; 4-byte Folded Reload
	buffer_load_dword v44, off, s[20:23], 0 offset:12 ; 4-byte Folded Reload
	s_waitcnt lgkmcnt(0)
	v_mul_f64 v[51:52], v[101:102], v[97:98]
	v_fma_f64 v[51:52], v[99:100], v[49:50], -v[51:52]
	v_mul_f64 v[99:100], v[99:100], v[97:98]
	v_fma_f64 v[99:100], v[101:102], v[49:50], v[99:100]
	s_waitcnt vmcnt(2)
	v_add_f64 v[41:42], v[41:42], -v[51:52]
	s_waitcnt vmcnt(0)
	v_add_f64 v[43:44], v[43:44], -v[99:100]
	buffer_store_dword v41, off, s[20:23], 0 ; 4-byte Folded Spill
	s_nop 0
	buffer_store_dword v42, off, s[20:23], 0 offset:4 ; 4-byte Folded Spill
	buffer_store_dword v43, off, s[20:23], 0 offset:8 ; 4-byte Folded Spill
	;; [unrolled: 1-line block ×3, first 2 shown]
	ds_read2_b64 v[99:102], v125 offset0:94 offset1:95
	s_waitcnt lgkmcnt(0)
	v_mul_f64 v[51:52], v[101:102], v[97:98]
	v_fma_f64 v[51:52], v[99:100], v[49:50], -v[51:52]
	v_mul_f64 v[99:100], v[99:100], v[97:98]
	v_add_f64 v[37:38], v[37:38], -v[51:52]
	v_fma_f64 v[99:100], v[101:102], v[49:50], v[99:100]
	v_add_f64 v[39:40], v[39:40], -v[99:100]
	ds_read2_b64 v[99:102], v125 offset0:96 offset1:97
	s_waitcnt lgkmcnt(0)
	v_mul_f64 v[51:52], v[101:102], v[97:98]
	v_fma_f64 v[51:52], v[99:100], v[49:50], -v[51:52]
	v_mul_f64 v[99:100], v[99:100], v[97:98]
	v_add_f64 v[33:34], v[33:34], -v[51:52]
	v_fma_f64 v[99:100], v[101:102], v[49:50], v[99:100]
	v_add_f64 v[35:36], v[35:36], -v[99:100]
	;; [unrolled: 8-line block ×10, first 2 shown]
	ds_read2_b64 v[99:102], v125 offset0:114 offset1:115
	s_waitcnt lgkmcnt(0)
	v_mul_f64 v[51:52], v[101:102], v[97:98]
	v_fma_f64 v[51:52], v[99:100], v[49:50], -v[51:52]
	v_mul_f64 v[99:100], v[99:100], v[97:98]
	v_add_f64 v[121:122], v[121:122], -v[51:52]
	v_fma_f64 v[99:100], v[101:102], v[49:50], v[99:100]
	v_mov_b32_e32 v51, v97
	v_mov_b32_e32 v52, v98
	buffer_store_dword v49, off, s[20:23], 0 offset:32 ; 4-byte Folded Spill
	s_nop 0
	buffer_store_dword v50, off, s[20:23], 0 offset:36 ; 4-byte Folded Spill
	buffer_store_dword v51, off, s[20:23], 0 offset:40 ; 4-byte Folded Spill
	;; [unrolled: 1-line block ×3, first 2 shown]
	v_add_f64 v[123:124], v[123:124], -v[99:100]
.LBB115_406:
	s_or_b64 exec, exec, s[2:3]
	v_cmp_eq_u32_e32 vcc, 45, v0
	s_waitcnt vmcnt(0)
	s_barrier
	s_and_saveexec_b64 s[4:5], vcc
	s_cbranch_execz .LBB115_413
; %bb.407:
	buffer_load_dword v45, off, s[20:23], 0 offset:16 ; 4-byte Folded Reload
	buffer_load_dword v46, off, s[20:23], 0 offset:20 ; 4-byte Folded Reload
	;; [unrolled: 1-line block ×4, first 2 shown]
	s_waitcnt vmcnt(0)
	ds_write2_b64 v127, v[45:46], v[47:48] offset1:1
	buffer_load_dword v41, off, s[20:23], 0 ; 4-byte Folded Reload
	buffer_load_dword v42, off, s[20:23], 0 offset:4 ; 4-byte Folded Reload
	buffer_load_dword v43, off, s[20:23], 0 offset:8 ; 4-byte Folded Reload
	;; [unrolled: 1-line block ×3, first 2 shown]
	s_waitcnt vmcnt(0)
	ds_write2_b64 v125, v[41:42], v[43:44] offset0:92 offset1:93
	ds_write2_b64 v125, v[37:38], v[39:40] offset0:94 offset1:95
	;; [unrolled: 1-line block ×12, first 2 shown]
	ds_read2_b64 v[97:100], v127 offset1:1
	s_waitcnt lgkmcnt(0)
	v_cmp_neq_f64_e32 vcc, 0, v[97:98]
	v_cmp_neq_f64_e64 s[2:3], 0, v[99:100]
	s_or_b64 s[2:3], vcc, s[2:3]
	s_and_b64 exec, exec, s[2:3]
	s_cbranch_execz .LBB115_413
; %bb.408:
	v_cmp_ngt_f64_e64 s[2:3], |v[97:98]|, |v[99:100]|
                                        ; implicit-def: $vgpr101_vgpr102
	s_and_saveexec_b64 s[6:7], s[2:3]
	s_xor_b64 s[2:3], exec, s[6:7]
                                        ; implicit-def: $vgpr103_vgpr104
	s_cbranch_execz .LBB115_410
; %bb.409:
	v_div_scale_f64 v[101:102], s[6:7], v[99:100], v[99:100], v[97:98]
	v_rcp_f64_e32 v[103:104], v[101:102]
	v_fma_f64 v[105:106], -v[101:102], v[103:104], 1.0
	v_fma_f64 v[103:104], v[103:104], v[105:106], v[103:104]
	v_div_scale_f64 v[105:106], vcc, v[97:98], v[99:100], v[97:98]
	v_fma_f64 v[107:108], -v[101:102], v[103:104], 1.0
	v_fma_f64 v[103:104], v[103:104], v[107:108], v[103:104]
	v_mul_f64 v[107:108], v[105:106], v[103:104]
	v_fma_f64 v[101:102], -v[101:102], v[107:108], v[105:106]
	v_div_fmas_f64 v[101:102], v[101:102], v[103:104], v[107:108]
	v_div_fixup_f64 v[101:102], v[101:102], v[99:100], v[97:98]
	v_fma_f64 v[97:98], v[97:98], v[101:102], v[99:100]
	v_div_scale_f64 v[99:100], s[6:7], v[97:98], v[97:98], 1.0
	v_div_scale_f64 v[107:108], vcc, 1.0, v[97:98], 1.0
	v_rcp_f64_e32 v[103:104], v[99:100]
	v_fma_f64 v[105:106], -v[99:100], v[103:104], 1.0
	v_fma_f64 v[103:104], v[103:104], v[105:106], v[103:104]
	v_fma_f64 v[105:106], -v[99:100], v[103:104], 1.0
	v_fma_f64 v[103:104], v[103:104], v[105:106], v[103:104]
	v_mul_f64 v[105:106], v[107:108], v[103:104]
	v_fma_f64 v[99:100], -v[99:100], v[105:106], v[107:108]
	v_div_fmas_f64 v[99:100], v[99:100], v[103:104], v[105:106]
	v_div_fixup_f64 v[103:104], v[99:100], v[97:98], 1.0
                                        ; implicit-def: $vgpr97_vgpr98
	v_mul_f64 v[101:102], v[101:102], v[103:104]
	v_xor_b32_e32 v104, 0x80000000, v104
.LBB115_410:
	s_andn2_saveexec_b64 s[2:3], s[2:3]
	s_cbranch_execz .LBB115_412
; %bb.411:
	v_div_scale_f64 v[101:102], s[6:7], v[97:98], v[97:98], v[99:100]
	v_rcp_f64_e32 v[103:104], v[101:102]
	v_fma_f64 v[105:106], -v[101:102], v[103:104], 1.0
	v_fma_f64 v[103:104], v[103:104], v[105:106], v[103:104]
	v_div_scale_f64 v[105:106], vcc, v[99:100], v[97:98], v[99:100]
	v_fma_f64 v[107:108], -v[101:102], v[103:104], 1.0
	v_fma_f64 v[103:104], v[103:104], v[107:108], v[103:104]
	v_mul_f64 v[107:108], v[105:106], v[103:104]
	v_fma_f64 v[101:102], -v[101:102], v[107:108], v[105:106]
	v_div_fmas_f64 v[101:102], v[101:102], v[103:104], v[107:108]
	v_div_fixup_f64 v[103:104], v[101:102], v[97:98], v[99:100]
	v_fma_f64 v[97:98], v[99:100], v[103:104], v[97:98]
	v_div_scale_f64 v[99:100], s[6:7], v[97:98], v[97:98], 1.0
	v_div_scale_f64 v[107:108], vcc, 1.0, v[97:98], 1.0
	v_rcp_f64_e32 v[101:102], v[99:100]
	v_fma_f64 v[105:106], -v[99:100], v[101:102], 1.0
	v_fma_f64 v[101:102], v[101:102], v[105:106], v[101:102]
	v_fma_f64 v[105:106], -v[99:100], v[101:102], 1.0
	v_fma_f64 v[101:102], v[101:102], v[105:106], v[101:102]
	v_mul_f64 v[105:106], v[107:108], v[101:102]
	v_fma_f64 v[99:100], -v[99:100], v[105:106], v[107:108]
	v_div_fmas_f64 v[99:100], v[99:100], v[101:102], v[105:106]
	v_div_fixup_f64 v[101:102], v[99:100], v[97:98], 1.0
	v_mul_f64 v[103:104], v[103:104], -v[101:102]
.LBB115_412:
	s_or_b64 exec, exec, s[2:3]
	ds_write2_b64 v127, v[101:102], v[103:104] offset1:1
.LBB115_413:
	s_or_b64 exec, exec, s[4:5]
	s_waitcnt lgkmcnt(0)
	s_barrier
	ds_read2_b64 v[41:44], v127 offset1:1
	v_cmp_lt_u32_e32 vcc, 45, v0
	s_waitcnt lgkmcnt(0)
	buffer_store_dword v41, off, s[20:23], 0 offset:1888 ; 4-byte Folded Spill
	s_nop 0
	buffer_store_dword v42, off, s[20:23], 0 offset:1892 ; 4-byte Folded Spill
	buffer_store_dword v43, off, s[20:23], 0 offset:1896 ; 4-byte Folded Spill
	buffer_store_dword v44, off, s[20:23], 0 offset:1900 ; 4-byte Folded Spill
	s_and_saveexec_b64 s[2:3], vcc
	s_cbranch_execz .LBB115_415
; %bb.414:
	buffer_load_dword v45, off, s[20:23], 0 offset:16 ; 4-byte Folded Reload
	buffer_load_dword v46, off, s[20:23], 0 offset:20 ; 4-byte Folded Reload
	;; [unrolled: 1-line block ×8, first 2 shown]
	ds_read2_b64 v[99:102], v125 offset0:92 offset1:93
	s_waitcnt vmcnt(2)
	v_mul_f64 v[97:98], v[41:42], v[47:48]
	s_waitcnt vmcnt(0)
	v_mul_f64 v[47:48], v[43:44], v[47:48]
	v_fma_f64 v[97:98], v[43:44], v[45:46], v[97:98]
	v_fma_f64 v[45:46], v[41:42], v[45:46], -v[47:48]
	buffer_load_dword v41, off, s[20:23], 0 ; 4-byte Folded Reload
	buffer_load_dword v42, off, s[20:23], 0 offset:4 ; 4-byte Folded Reload
	buffer_load_dword v43, off, s[20:23], 0 offset:8 ; 4-byte Folded Reload
	;; [unrolled: 1-line block ×3, first 2 shown]
	s_waitcnt lgkmcnt(0)
	v_mul_f64 v[47:48], v[101:102], v[97:98]
	v_fma_f64 v[47:48], v[99:100], v[45:46], -v[47:48]
	v_mul_f64 v[99:100], v[99:100], v[97:98]
	v_fma_f64 v[99:100], v[101:102], v[45:46], v[99:100]
	s_waitcnt vmcnt(2)
	v_add_f64 v[41:42], v[41:42], -v[47:48]
	s_waitcnt vmcnt(0)
	v_add_f64 v[43:44], v[43:44], -v[99:100]
	buffer_store_dword v41, off, s[20:23], 0 ; 4-byte Folded Spill
	s_nop 0
	buffer_store_dword v42, off, s[20:23], 0 offset:4 ; 4-byte Folded Spill
	buffer_store_dword v43, off, s[20:23], 0 offset:8 ; 4-byte Folded Spill
	;; [unrolled: 1-line block ×3, first 2 shown]
	ds_read2_b64 v[99:102], v125 offset0:94 offset1:95
	s_waitcnt lgkmcnt(0)
	v_mul_f64 v[47:48], v[101:102], v[97:98]
	v_fma_f64 v[47:48], v[99:100], v[45:46], -v[47:48]
	v_mul_f64 v[99:100], v[99:100], v[97:98]
	v_add_f64 v[37:38], v[37:38], -v[47:48]
	v_fma_f64 v[99:100], v[101:102], v[45:46], v[99:100]
	v_add_f64 v[39:40], v[39:40], -v[99:100]
	ds_read2_b64 v[99:102], v125 offset0:96 offset1:97
	s_waitcnt lgkmcnt(0)
	v_mul_f64 v[47:48], v[101:102], v[97:98]
	v_fma_f64 v[47:48], v[99:100], v[45:46], -v[47:48]
	v_mul_f64 v[99:100], v[99:100], v[97:98]
	v_add_f64 v[33:34], v[33:34], -v[47:48]
	v_fma_f64 v[99:100], v[101:102], v[45:46], v[99:100]
	v_add_f64 v[35:36], v[35:36], -v[99:100]
	;; [unrolled: 8-line block ×10, first 2 shown]
	ds_read2_b64 v[99:102], v125 offset0:114 offset1:115
	s_waitcnt lgkmcnt(0)
	v_mul_f64 v[47:48], v[101:102], v[97:98]
	v_fma_f64 v[47:48], v[99:100], v[45:46], -v[47:48]
	v_mul_f64 v[99:100], v[99:100], v[97:98]
	v_add_f64 v[121:122], v[121:122], -v[47:48]
	v_fma_f64 v[99:100], v[101:102], v[45:46], v[99:100]
	v_mov_b32_e32 v47, v97
	v_mov_b32_e32 v48, v98
	buffer_store_dword v45, off, s[20:23], 0 offset:16 ; 4-byte Folded Spill
	s_nop 0
	buffer_store_dword v46, off, s[20:23], 0 offset:20 ; 4-byte Folded Spill
	buffer_store_dword v47, off, s[20:23], 0 offset:24 ; 4-byte Folded Spill
	;; [unrolled: 1-line block ×3, first 2 shown]
	v_add_f64 v[123:124], v[123:124], -v[99:100]
.LBB115_415:
	s_or_b64 exec, exec, s[2:3]
	v_cmp_eq_u32_e32 vcc, 46, v0
	s_waitcnt vmcnt(0)
	s_barrier
	s_and_saveexec_b64 s[4:5], vcc
	s_cbranch_execz .LBB115_422
; %bb.416:
	buffer_load_dword v41, off, s[20:23], 0 ; 4-byte Folded Reload
	buffer_load_dword v42, off, s[20:23], 0 offset:4 ; 4-byte Folded Reload
	buffer_load_dword v43, off, s[20:23], 0 offset:8 ; 4-byte Folded Reload
	;; [unrolled: 1-line block ×3, first 2 shown]
	s_waitcnt vmcnt(0)
	ds_write2_b64 v127, v[41:42], v[43:44] offset1:1
	ds_write2_b64 v125, v[37:38], v[39:40] offset0:94 offset1:95
	ds_write2_b64 v125, v[33:34], v[35:36] offset0:96 offset1:97
	;; [unrolled: 1-line block ×11, first 2 shown]
	ds_read2_b64 v[97:100], v127 offset1:1
	s_waitcnt lgkmcnt(0)
	v_cmp_neq_f64_e32 vcc, 0, v[97:98]
	v_cmp_neq_f64_e64 s[2:3], 0, v[99:100]
	s_or_b64 s[2:3], vcc, s[2:3]
	s_and_b64 exec, exec, s[2:3]
	s_cbranch_execz .LBB115_422
; %bb.417:
	v_cmp_ngt_f64_e64 s[2:3], |v[97:98]|, |v[99:100]|
                                        ; implicit-def: $vgpr101_vgpr102
	s_and_saveexec_b64 s[6:7], s[2:3]
	s_xor_b64 s[2:3], exec, s[6:7]
                                        ; implicit-def: $vgpr103_vgpr104
	s_cbranch_execz .LBB115_419
; %bb.418:
	v_div_scale_f64 v[101:102], s[6:7], v[99:100], v[99:100], v[97:98]
	v_rcp_f64_e32 v[103:104], v[101:102]
	v_fma_f64 v[105:106], -v[101:102], v[103:104], 1.0
	v_fma_f64 v[103:104], v[103:104], v[105:106], v[103:104]
	v_div_scale_f64 v[105:106], vcc, v[97:98], v[99:100], v[97:98]
	v_fma_f64 v[107:108], -v[101:102], v[103:104], 1.0
	v_fma_f64 v[103:104], v[103:104], v[107:108], v[103:104]
	v_mul_f64 v[107:108], v[105:106], v[103:104]
	v_fma_f64 v[101:102], -v[101:102], v[107:108], v[105:106]
	v_div_fmas_f64 v[101:102], v[101:102], v[103:104], v[107:108]
	v_div_fixup_f64 v[101:102], v[101:102], v[99:100], v[97:98]
	v_fma_f64 v[97:98], v[97:98], v[101:102], v[99:100]
	v_div_scale_f64 v[99:100], s[6:7], v[97:98], v[97:98], 1.0
	v_div_scale_f64 v[107:108], vcc, 1.0, v[97:98], 1.0
	v_rcp_f64_e32 v[103:104], v[99:100]
	v_fma_f64 v[105:106], -v[99:100], v[103:104], 1.0
	v_fma_f64 v[103:104], v[103:104], v[105:106], v[103:104]
	v_fma_f64 v[105:106], -v[99:100], v[103:104], 1.0
	v_fma_f64 v[103:104], v[103:104], v[105:106], v[103:104]
	v_mul_f64 v[105:106], v[107:108], v[103:104]
	v_fma_f64 v[99:100], -v[99:100], v[105:106], v[107:108]
	v_div_fmas_f64 v[99:100], v[99:100], v[103:104], v[105:106]
	v_div_fixup_f64 v[103:104], v[99:100], v[97:98], 1.0
                                        ; implicit-def: $vgpr97_vgpr98
	v_mul_f64 v[101:102], v[101:102], v[103:104]
	v_xor_b32_e32 v104, 0x80000000, v104
.LBB115_419:
	s_andn2_saveexec_b64 s[2:3], s[2:3]
	s_cbranch_execz .LBB115_421
; %bb.420:
	v_div_scale_f64 v[101:102], s[6:7], v[97:98], v[97:98], v[99:100]
	v_rcp_f64_e32 v[103:104], v[101:102]
	v_fma_f64 v[105:106], -v[101:102], v[103:104], 1.0
	v_fma_f64 v[103:104], v[103:104], v[105:106], v[103:104]
	v_div_scale_f64 v[105:106], vcc, v[99:100], v[97:98], v[99:100]
	v_fma_f64 v[107:108], -v[101:102], v[103:104], 1.0
	v_fma_f64 v[103:104], v[103:104], v[107:108], v[103:104]
	v_mul_f64 v[107:108], v[105:106], v[103:104]
	v_fma_f64 v[101:102], -v[101:102], v[107:108], v[105:106]
	v_div_fmas_f64 v[101:102], v[101:102], v[103:104], v[107:108]
	v_div_fixup_f64 v[103:104], v[101:102], v[97:98], v[99:100]
	v_fma_f64 v[97:98], v[99:100], v[103:104], v[97:98]
	v_div_scale_f64 v[99:100], s[6:7], v[97:98], v[97:98], 1.0
	v_div_scale_f64 v[107:108], vcc, 1.0, v[97:98], 1.0
	v_rcp_f64_e32 v[101:102], v[99:100]
	v_fma_f64 v[105:106], -v[99:100], v[101:102], 1.0
	v_fma_f64 v[101:102], v[101:102], v[105:106], v[101:102]
	v_fma_f64 v[105:106], -v[99:100], v[101:102], 1.0
	v_fma_f64 v[101:102], v[101:102], v[105:106], v[101:102]
	v_mul_f64 v[105:106], v[107:108], v[101:102]
	v_fma_f64 v[99:100], -v[99:100], v[105:106], v[107:108]
	v_div_fmas_f64 v[99:100], v[99:100], v[101:102], v[105:106]
	v_div_fixup_f64 v[101:102], v[99:100], v[97:98], 1.0
	v_mul_f64 v[103:104], v[103:104], -v[101:102]
.LBB115_421:
	s_or_b64 exec, exec, s[2:3]
	ds_write2_b64 v127, v[101:102], v[103:104] offset1:1
.LBB115_422:
	s_or_b64 exec, exec, s[4:5]
	s_waitcnt lgkmcnt(0)
	s_barrier
	ds_read2_b64 v[41:44], v127 offset1:1
	v_cmp_lt_u32_e32 vcc, 46, v0
	s_waitcnt lgkmcnt(0)
	buffer_store_dword v41, off, s[20:23], 0 offset:1904 ; 4-byte Folded Spill
	s_nop 0
	buffer_store_dword v42, off, s[20:23], 0 offset:1908 ; 4-byte Folded Spill
	buffer_store_dword v43, off, s[20:23], 0 offset:1912 ; 4-byte Folded Spill
	;; [unrolled: 1-line block ×3, first 2 shown]
	s_and_saveexec_b64 s[2:3], vcc
	s_cbranch_execz .LBB115_424
; %bb.423:
	buffer_load_dword v41, off, s[20:23], 0 ; 4-byte Folded Reload
	buffer_load_dword v42, off, s[20:23], 0 offset:4 ; 4-byte Folded Reload
	buffer_load_dword v43, off, s[20:23], 0 offset:8 ; 4-byte Folded Reload
	;; [unrolled: 1-line block ×7, first 2 shown]
	ds_read2_b64 v[99:102], v125 offset0:94 offset1:95
	s_waitcnt vmcnt(2)
	v_mul_f64 v[97:98], v[45:46], v[43:44]
	s_waitcnt vmcnt(0)
	v_mul_f64 v[43:44], v[47:48], v[43:44]
	v_fma_f64 v[97:98], v[47:48], v[41:42], v[97:98]
	v_fma_f64 v[41:42], v[45:46], v[41:42], -v[43:44]
	s_waitcnt lgkmcnt(0)
	v_mul_f64 v[43:44], v[101:102], v[97:98]
	v_fma_f64 v[43:44], v[99:100], v[41:42], -v[43:44]
	v_mul_f64 v[99:100], v[99:100], v[97:98]
	v_add_f64 v[37:38], v[37:38], -v[43:44]
	v_fma_f64 v[99:100], v[101:102], v[41:42], v[99:100]
	v_add_f64 v[39:40], v[39:40], -v[99:100]
	ds_read2_b64 v[99:102], v125 offset0:96 offset1:97
	s_waitcnt lgkmcnt(0)
	v_mul_f64 v[43:44], v[101:102], v[97:98]
	v_fma_f64 v[43:44], v[99:100], v[41:42], -v[43:44]
	v_mul_f64 v[99:100], v[99:100], v[97:98]
	v_add_f64 v[33:34], v[33:34], -v[43:44]
	v_fma_f64 v[99:100], v[101:102], v[41:42], v[99:100]
	v_add_f64 v[35:36], v[35:36], -v[99:100]
	ds_read2_b64 v[99:102], v125 offset0:98 offset1:99
	;; [unrolled: 8-line block ×10, first 2 shown]
	s_waitcnt lgkmcnt(0)
	v_mul_f64 v[43:44], v[101:102], v[97:98]
	v_fma_f64 v[43:44], v[99:100], v[41:42], -v[43:44]
	v_mul_f64 v[99:100], v[99:100], v[97:98]
	v_add_f64 v[121:122], v[121:122], -v[43:44]
	v_fma_f64 v[99:100], v[101:102], v[41:42], v[99:100]
	v_mov_b32_e32 v43, v97
	v_mov_b32_e32 v44, v98
	buffer_store_dword v41, off, s[20:23], 0 ; 4-byte Folded Spill
	s_nop 0
	buffer_store_dword v42, off, s[20:23], 0 offset:4 ; 4-byte Folded Spill
	buffer_store_dword v43, off, s[20:23], 0 offset:8 ; 4-byte Folded Spill
	;; [unrolled: 1-line block ×3, first 2 shown]
	v_add_f64 v[123:124], v[123:124], -v[99:100]
.LBB115_424:
	s_or_b64 exec, exec, s[2:3]
	v_cmp_eq_u32_e32 vcc, 47, v0
	s_waitcnt vmcnt(0)
	s_barrier
	s_and_saveexec_b64 s[4:5], vcc
	s_cbranch_execz .LBB115_431
; %bb.425:
	ds_write2_b64 v127, v[37:38], v[39:40] offset1:1
	ds_write2_b64 v125, v[33:34], v[35:36] offset0:96 offset1:97
	ds_write2_b64 v125, v[29:30], v[31:32] offset0:98 offset1:99
	;; [unrolled: 1-line block ×10, first 2 shown]
	ds_read2_b64 v[97:100], v127 offset1:1
	s_waitcnt lgkmcnt(0)
	v_cmp_neq_f64_e32 vcc, 0, v[97:98]
	v_cmp_neq_f64_e64 s[2:3], 0, v[99:100]
	s_or_b64 s[2:3], vcc, s[2:3]
	s_and_b64 exec, exec, s[2:3]
	s_cbranch_execz .LBB115_431
; %bb.426:
	v_cmp_ngt_f64_e64 s[2:3], |v[97:98]|, |v[99:100]|
                                        ; implicit-def: $vgpr101_vgpr102
	s_and_saveexec_b64 s[6:7], s[2:3]
	s_xor_b64 s[2:3], exec, s[6:7]
                                        ; implicit-def: $vgpr103_vgpr104
	s_cbranch_execz .LBB115_428
; %bb.427:
	v_div_scale_f64 v[101:102], s[6:7], v[99:100], v[99:100], v[97:98]
	v_rcp_f64_e32 v[103:104], v[101:102]
	v_fma_f64 v[105:106], -v[101:102], v[103:104], 1.0
	v_fma_f64 v[103:104], v[103:104], v[105:106], v[103:104]
	v_div_scale_f64 v[105:106], vcc, v[97:98], v[99:100], v[97:98]
	v_fma_f64 v[107:108], -v[101:102], v[103:104], 1.0
	v_fma_f64 v[103:104], v[103:104], v[107:108], v[103:104]
	v_mul_f64 v[107:108], v[105:106], v[103:104]
	v_fma_f64 v[101:102], -v[101:102], v[107:108], v[105:106]
	v_div_fmas_f64 v[101:102], v[101:102], v[103:104], v[107:108]
	v_div_fixup_f64 v[101:102], v[101:102], v[99:100], v[97:98]
	v_fma_f64 v[97:98], v[97:98], v[101:102], v[99:100]
	v_div_scale_f64 v[99:100], s[6:7], v[97:98], v[97:98], 1.0
	v_div_scale_f64 v[107:108], vcc, 1.0, v[97:98], 1.0
	v_rcp_f64_e32 v[103:104], v[99:100]
	v_fma_f64 v[105:106], -v[99:100], v[103:104], 1.0
	v_fma_f64 v[103:104], v[103:104], v[105:106], v[103:104]
	v_fma_f64 v[105:106], -v[99:100], v[103:104], 1.0
	v_fma_f64 v[103:104], v[103:104], v[105:106], v[103:104]
	v_mul_f64 v[105:106], v[107:108], v[103:104]
	v_fma_f64 v[99:100], -v[99:100], v[105:106], v[107:108]
	v_div_fmas_f64 v[99:100], v[99:100], v[103:104], v[105:106]
	v_div_fixup_f64 v[103:104], v[99:100], v[97:98], 1.0
                                        ; implicit-def: $vgpr97_vgpr98
	v_mul_f64 v[101:102], v[101:102], v[103:104]
	v_xor_b32_e32 v104, 0x80000000, v104
.LBB115_428:
	s_andn2_saveexec_b64 s[2:3], s[2:3]
	s_cbranch_execz .LBB115_430
; %bb.429:
	v_div_scale_f64 v[101:102], s[6:7], v[97:98], v[97:98], v[99:100]
	v_rcp_f64_e32 v[103:104], v[101:102]
	v_fma_f64 v[105:106], -v[101:102], v[103:104], 1.0
	v_fma_f64 v[103:104], v[103:104], v[105:106], v[103:104]
	v_div_scale_f64 v[105:106], vcc, v[99:100], v[97:98], v[99:100]
	v_fma_f64 v[107:108], -v[101:102], v[103:104], 1.0
	v_fma_f64 v[103:104], v[103:104], v[107:108], v[103:104]
	v_mul_f64 v[107:108], v[105:106], v[103:104]
	v_fma_f64 v[101:102], -v[101:102], v[107:108], v[105:106]
	v_div_fmas_f64 v[101:102], v[101:102], v[103:104], v[107:108]
	v_div_fixup_f64 v[103:104], v[101:102], v[97:98], v[99:100]
	v_fma_f64 v[97:98], v[99:100], v[103:104], v[97:98]
	v_div_scale_f64 v[99:100], s[6:7], v[97:98], v[97:98], 1.0
	v_div_scale_f64 v[107:108], vcc, 1.0, v[97:98], 1.0
	v_rcp_f64_e32 v[101:102], v[99:100]
	v_fma_f64 v[105:106], -v[99:100], v[101:102], 1.0
	v_fma_f64 v[101:102], v[101:102], v[105:106], v[101:102]
	v_fma_f64 v[105:106], -v[99:100], v[101:102], 1.0
	v_fma_f64 v[101:102], v[101:102], v[105:106], v[101:102]
	v_mul_f64 v[105:106], v[107:108], v[101:102]
	v_fma_f64 v[99:100], -v[99:100], v[105:106], v[107:108]
	v_div_fmas_f64 v[99:100], v[99:100], v[101:102], v[105:106]
	v_div_fixup_f64 v[101:102], v[99:100], v[97:98], 1.0
	v_mul_f64 v[103:104], v[103:104], -v[101:102]
.LBB115_430:
	s_or_b64 exec, exec, s[2:3]
	ds_write2_b64 v127, v[101:102], v[103:104] offset1:1
.LBB115_431:
	s_or_b64 exec, exec, s[4:5]
	s_waitcnt lgkmcnt(0)
	s_barrier
	ds_read2_b64 v[41:44], v127 offset1:1
	v_cmp_lt_u32_e32 vcc, 47, v0
	s_waitcnt lgkmcnt(0)
	buffer_store_dword v41, off, s[20:23], 0 offset:1920 ; 4-byte Folded Spill
	s_nop 0
	buffer_store_dword v42, off, s[20:23], 0 offset:1924 ; 4-byte Folded Spill
	buffer_store_dword v43, off, s[20:23], 0 offset:1928 ; 4-byte Folded Spill
	;; [unrolled: 1-line block ×3, first 2 shown]
	s_and_saveexec_b64 s[2:3], vcc
	s_cbranch_execz .LBB115_433
; %bb.432:
	buffer_load_dword v41, off, s[20:23], 0 offset:1920 ; 4-byte Folded Reload
	buffer_load_dword v42, off, s[20:23], 0 offset:1924 ; 4-byte Folded Reload
	;; [unrolled: 1-line block ×4, first 2 shown]
	ds_read2_b64 v[99:102], v125 offset0:96 offset1:97
	s_waitcnt vmcnt(2)
	v_mul_f64 v[97:98], v[41:42], v[39:40]
	s_waitcnt vmcnt(0)
	v_mul_f64 v[39:40], v[43:44], v[39:40]
	v_fma_f64 v[97:98], v[43:44], v[37:38], v[97:98]
	v_fma_f64 v[37:38], v[41:42], v[37:38], -v[39:40]
	s_waitcnt lgkmcnt(0)
	v_mul_f64 v[39:40], v[101:102], v[97:98]
	v_fma_f64 v[39:40], v[99:100], v[37:38], -v[39:40]
	v_mul_f64 v[99:100], v[99:100], v[97:98]
	v_add_f64 v[33:34], v[33:34], -v[39:40]
	v_fma_f64 v[99:100], v[101:102], v[37:38], v[99:100]
	v_add_f64 v[35:36], v[35:36], -v[99:100]
	ds_read2_b64 v[99:102], v125 offset0:98 offset1:99
	s_waitcnt lgkmcnt(0)
	v_mul_f64 v[39:40], v[101:102], v[97:98]
	v_fma_f64 v[39:40], v[99:100], v[37:38], -v[39:40]
	v_mul_f64 v[99:100], v[99:100], v[97:98]
	v_add_f64 v[29:30], v[29:30], -v[39:40]
	v_fma_f64 v[99:100], v[101:102], v[37:38], v[99:100]
	v_add_f64 v[31:32], v[31:32], -v[99:100]
	ds_read2_b64 v[99:102], v125 offset0:100 offset1:101
	;; [unrolled: 8-line block ×9, first 2 shown]
	s_waitcnt lgkmcnt(0)
	v_mul_f64 v[39:40], v[101:102], v[97:98]
	v_fma_f64 v[39:40], v[99:100], v[37:38], -v[39:40]
	v_mul_f64 v[99:100], v[99:100], v[97:98]
	v_add_f64 v[121:122], v[121:122], -v[39:40]
	v_fma_f64 v[99:100], v[101:102], v[37:38], v[99:100]
	v_mov_b32_e32 v39, v97
	v_mov_b32_e32 v40, v98
	v_add_f64 v[123:124], v[123:124], -v[99:100]
.LBB115_433:
	s_or_b64 exec, exec, s[2:3]
	v_cmp_eq_u32_e32 vcc, 48, v0
	s_waitcnt vmcnt(0)
	s_barrier
	s_and_saveexec_b64 s[4:5], vcc
	s_cbranch_execz .LBB115_440
; %bb.434:
	ds_write2_b64 v127, v[33:34], v[35:36] offset1:1
	ds_write2_b64 v125, v[29:30], v[31:32] offset0:98 offset1:99
	ds_write2_b64 v125, v[25:26], v[27:28] offset0:100 offset1:101
	;; [unrolled: 1-line block ×9, first 2 shown]
	ds_read2_b64 v[97:100], v127 offset1:1
	s_waitcnt lgkmcnt(0)
	v_cmp_neq_f64_e32 vcc, 0, v[97:98]
	v_cmp_neq_f64_e64 s[2:3], 0, v[99:100]
	s_or_b64 s[2:3], vcc, s[2:3]
	s_and_b64 exec, exec, s[2:3]
	s_cbranch_execz .LBB115_440
; %bb.435:
	v_cmp_ngt_f64_e64 s[2:3], |v[97:98]|, |v[99:100]|
                                        ; implicit-def: $vgpr101_vgpr102
	s_and_saveexec_b64 s[6:7], s[2:3]
	s_xor_b64 s[2:3], exec, s[6:7]
                                        ; implicit-def: $vgpr103_vgpr104
	s_cbranch_execz .LBB115_437
; %bb.436:
	v_div_scale_f64 v[101:102], s[6:7], v[99:100], v[99:100], v[97:98]
	v_rcp_f64_e32 v[103:104], v[101:102]
	v_fma_f64 v[105:106], -v[101:102], v[103:104], 1.0
	v_fma_f64 v[103:104], v[103:104], v[105:106], v[103:104]
	v_div_scale_f64 v[105:106], vcc, v[97:98], v[99:100], v[97:98]
	v_fma_f64 v[107:108], -v[101:102], v[103:104], 1.0
	v_fma_f64 v[103:104], v[103:104], v[107:108], v[103:104]
	v_mul_f64 v[107:108], v[105:106], v[103:104]
	v_fma_f64 v[101:102], -v[101:102], v[107:108], v[105:106]
	v_div_fmas_f64 v[101:102], v[101:102], v[103:104], v[107:108]
	v_div_fixup_f64 v[101:102], v[101:102], v[99:100], v[97:98]
	v_fma_f64 v[97:98], v[97:98], v[101:102], v[99:100]
	v_div_scale_f64 v[99:100], s[6:7], v[97:98], v[97:98], 1.0
	v_div_scale_f64 v[107:108], vcc, 1.0, v[97:98], 1.0
	v_rcp_f64_e32 v[103:104], v[99:100]
	v_fma_f64 v[105:106], -v[99:100], v[103:104], 1.0
	v_fma_f64 v[103:104], v[103:104], v[105:106], v[103:104]
	v_fma_f64 v[105:106], -v[99:100], v[103:104], 1.0
	v_fma_f64 v[103:104], v[103:104], v[105:106], v[103:104]
	v_mul_f64 v[105:106], v[107:108], v[103:104]
	v_fma_f64 v[99:100], -v[99:100], v[105:106], v[107:108]
	v_div_fmas_f64 v[99:100], v[99:100], v[103:104], v[105:106]
	v_div_fixup_f64 v[103:104], v[99:100], v[97:98], 1.0
                                        ; implicit-def: $vgpr97_vgpr98
	v_mul_f64 v[101:102], v[101:102], v[103:104]
	v_xor_b32_e32 v104, 0x80000000, v104
.LBB115_437:
	s_andn2_saveexec_b64 s[2:3], s[2:3]
	s_cbranch_execz .LBB115_439
; %bb.438:
	v_div_scale_f64 v[101:102], s[6:7], v[97:98], v[97:98], v[99:100]
	v_rcp_f64_e32 v[103:104], v[101:102]
	v_fma_f64 v[105:106], -v[101:102], v[103:104], 1.0
	v_fma_f64 v[103:104], v[103:104], v[105:106], v[103:104]
	v_div_scale_f64 v[105:106], vcc, v[99:100], v[97:98], v[99:100]
	v_fma_f64 v[107:108], -v[101:102], v[103:104], 1.0
	v_fma_f64 v[103:104], v[103:104], v[107:108], v[103:104]
	v_mul_f64 v[107:108], v[105:106], v[103:104]
	v_fma_f64 v[101:102], -v[101:102], v[107:108], v[105:106]
	v_div_fmas_f64 v[101:102], v[101:102], v[103:104], v[107:108]
	v_div_fixup_f64 v[103:104], v[101:102], v[97:98], v[99:100]
	v_fma_f64 v[97:98], v[99:100], v[103:104], v[97:98]
	v_div_scale_f64 v[99:100], s[6:7], v[97:98], v[97:98], 1.0
	v_div_scale_f64 v[107:108], vcc, 1.0, v[97:98], 1.0
	v_rcp_f64_e32 v[101:102], v[99:100]
	v_fma_f64 v[105:106], -v[99:100], v[101:102], 1.0
	v_fma_f64 v[101:102], v[101:102], v[105:106], v[101:102]
	v_fma_f64 v[105:106], -v[99:100], v[101:102], 1.0
	v_fma_f64 v[101:102], v[101:102], v[105:106], v[101:102]
	v_mul_f64 v[105:106], v[107:108], v[101:102]
	v_fma_f64 v[99:100], -v[99:100], v[105:106], v[107:108]
	v_div_fmas_f64 v[99:100], v[99:100], v[101:102], v[105:106]
	v_div_fixup_f64 v[101:102], v[99:100], v[97:98], 1.0
	v_mul_f64 v[103:104], v[103:104], -v[101:102]
.LBB115_439:
	s_or_b64 exec, exec, s[2:3]
	ds_write2_b64 v127, v[101:102], v[103:104] offset1:1
.LBB115_440:
	s_or_b64 exec, exec, s[4:5]
	s_waitcnt lgkmcnt(0)
	s_barrier
	ds_read2_b64 v[41:44], v127 offset1:1
	v_cmp_lt_u32_e32 vcc, 48, v0
	s_waitcnt lgkmcnt(0)
	buffer_store_dword v41, off, s[20:23], 0 offset:1936 ; 4-byte Folded Spill
	s_nop 0
	buffer_store_dword v42, off, s[20:23], 0 offset:1940 ; 4-byte Folded Spill
	buffer_store_dword v43, off, s[20:23], 0 offset:1944 ; 4-byte Folded Spill
	;; [unrolled: 1-line block ×3, first 2 shown]
	s_and_saveexec_b64 s[2:3], vcc
	s_cbranch_execz .LBB115_442
; %bb.441:
	buffer_load_dword v41, off, s[20:23], 0 offset:1936 ; 4-byte Folded Reload
	buffer_load_dword v42, off, s[20:23], 0 offset:1940 ; 4-byte Folded Reload
	;; [unrolled: 1-line block ×4, first 2 shown]
	ds_read2_b64 v[99:102], v125 offset0:98 offset1:99
	s_waitcnt vmcnt(2)
	v_mul_f64 v[97:98], v[41:42], v[35:36]
	s_waitcnt vmcnt(0)
	v_mul_f64 v[35:36], v[43:44], v[35:36]
	v_fma_f64 v[97:98], v[43:44], v[33:34], v[97:98]
	v_fma_f64 v[33:34], v[41:42], v[33:34], -v[35:36]
	s_waitcnt lgkmcnt(0)
	v_mul_f64 v[35:36], v[101:102], v[97:98]
	v_fma_f64 v[35:36], v[99:100], v[33:34], -v[35:36]
	v_mul_f64 v[99:100], v[99:100], v[97:98]
	v_add_f64 v[29:30], v[29:30], -v[35:36]
	v_fma_f64 v[99:100], v[101:102], v[33:34], v[99:100]
	v_add_f64 v[31:32], v[31:32], -v[99:100]
	ds_read2_b64 v[99:102], v125 offset0:100 offset1:101
	s_waitcnt lgkmcnt(0)
	v_mul_f64 v[35:36], v[101:102], v[97:98]
	v_fma_f64 v[35:36], v[99:100], v[33:34], -v[35:36]
	v_mul_f64 v[99:100], v[99:100], v[97:98]
	v_add_f64 v[25:26], v[25:26], -v[35:36]
	v_fma_f64 v[99:100], v[101:102], v[33:34], v[99:100]
	v_add_f64 v[27:28], v[27:28], -v[99:100]
	ds_read2_b64 v[99:102], v125 offset0:102 offset1:103
	s_waitcnt lgkmcnt(0)
	v_mul_f64 v[35:36], v[101:102], v[97:98]
	v_fma_f64 v[35:36], v[99:100], v[33:34], -v[35:36]
	v_mul_f64 v[99:100], v[99:100], v[97:98]
	v_add_f64 v[21:22], v[21:22], -v[35:36]
	v_fma_f64 v[99:100], v[101:102], v[33:34], v[99:100]
	v_add_f64 v[23:24], v[23:24], -v[99:100]
	ds_read2_b64 v[99:102], v125 offset0:104 offset1:105
	s_waitcnt lgkmcnt(0)
	v_mul_f64 v[35:36], v[101:102], v[97:98]
	v_fma_f64 v[35:36], v[99:100], v[33:34], -v[35:36]
	v_mul_f64 v[99:100], v[99:100], v[97:98]
	v_add_f64 v[17:18], v[17:18], -v[35:36]
	v_fma_f64 v[99:100], v[101:102], v[33:34], v[99:100]
	v_add_f64 v[19:20], v[19:20], -v[99:100]
	ds_read2_b64 v[99:102], v125 offset0:106 offset1:107
	s_waitcnt lgkmcnt(0)
	v_mul_f64 v[35:36], v[101:102], v[97:98]
	v_fma_f64 v[35:36], v[99:100], v[33:34], -v[35:36]
	v_mul_f64 v[99:100], v[99:100], v[97:98]
	v_add_f64 v[13:14], v[13:14], -v[35:36]
	v_fma_f64 v[99:100], v[101:102], v[33:34], v[99:100]
	v_add_f64 v[15:16], v[15:16], -v[99:100]
	ds_read2_b64 v[99:102], v125 offset0:108 offset1:109
	s_waitcnt lgkmcnt(0)
	v_mul_f64 v[35:36], v[101:102], v[97:98]
	v_fma_f64 v[35:36], v[99:100], v[33:34], -v[35:36]
	v_mul_f64 v[99:100], v[99:100], v[97:98]
	v_add_f64 v[9:10], v[9:10], -v[35:36]
	v_fma_f64 v[99:100], v[101:102], v[33:34], v[99:100]
	v_add_f64 v[11:12], v[11:12], -v[99:100]
	ds_read2_b64 v[99:102], v125 offset0:110 offset1:111
	s_waitcnt lgkmcnt(0)
	v_mul_f64 v[35:36], v[101:102], v[97:98]
	v_fma_f64 v[35:36], v[99:100], v[33:34], -v[35:36]
	v_mul_f64 v[99:100], v[99:100], v[97:98]
	v_add_f64 v[5:6], v[5:6], -v[35:36]
	v_fma_f64 v[99:100], v[101:102], v[33:34], v[99:100]
	v_add_f64 v[7:8], v[7:8], -v[99:100]
	ds_read2_b64 v[99:102], v125 offset0:112 offset1:113
	s_waitcnt lgkmcnt(0)
	v_mul_f64 v[35:36], v[101:102], v[97:98]
	v_fma_f64 v[35:36], v[99:100], v[33:34], -v[35:36]
	v_mul_f64 v[99:100], v[99:100], v[97:98]
	v_add_f64 v[1:2], v[1:2], -v[35:36]
	v_fma_f64 v[99:100], v[101:102], v[33:34], v[99:100]
	v_add_f64 v[3:4], v[3:4], -v[99:100]
	ds_read2_b64 v[99:102], v125 offset0:114 offset1:115
	s_waitcnt lgkmcnt(0)
	v_mul_f64 v[35:36], v[101:102], v[97:98]
	v_fma_f64 v[35:36], v[99:100], v[33:34], -v[35:36]
	v_mul_f64 v[99:100], v[99:100], v[97:98]
	v_add_f64 v[121:122], v[121:122], -v[35:36]
	v_fma_f64 v[99:100], v[101:102], v[33:34], v[99:100]
	v_mov_b32_e32 v35, v97
	v_mov_b32_e32 v36, v98
	v_add_f64 v[123:124], v[123:124], -v[99:100]
.LBB115_442:
	s_or_b64 exec, exec, s[2:3]
	v_cmp_eq_u32_e32 vcc, 49, v0
	s_waitcnt vmcnt(0)
	s_barrier
	s_and_saveexec_b64 s[4:5], vcc
	s_cbranch_execz .LBB115_449
; %bb.443:
	ds_write2_b64 v127, v[29:30], v[31:32] offset1:1
	ds_write2_b64 v125, v[25:26], v[27:28] offset0:100 offset1:101
	ds_write2_b64 v125, v[21:22], v[23:24] offset0:102 offset1:103
	;; [unrolled: 1-line block ×8, first 2 shown]
	ds_read2_b64 v[97:100], v127 offset1:1
	s_waitcnt lgkmcnt(0)
	v_cmp_neq_f64_e32 vcc, 0, v[97:98]
	v_cmp_neq_f64_e64 s[2:3], 0, v[99:100]
	s_or_b64 s[2:3], vcc, s[2:3]
	s_and_b64 exec, exec, s[2:3]
	s_cbranch_execz .LBB115_449
; %bb.444:
	v_cmp_ngt_f64_e64 s[2:3], |v[97:98]|, |v[99:100]|
                                        ; implicit-def: $vgpr101_vgpr102
	s_and_saveexec_b64 s[6:7], s[2:3]
	s_xor_b64 s[2:3], exec, s[6:7]
                                        ; implicit-def: $vgpr103_vgpr104
	s_cbranch_execz .LBB115_446
; %bb.445:
	v_div_scale_f64 v[101:102], s[6:7], v[99:100], v[99:100], v[97:98]
	v_rcp_f64_e32 v[103:104], v[101:102]
	v_fma_f64 v[105:106], -v[101:102], v[103:104], 1.0
	v_fma_f64 v[103:104], v[103:104], v[105:106], v[103:104]
	v_div_scale_f64 v[105:106], vcc, v[97:98], v[99:100], v[97:98]
	v_fma_f64 v[107:108], -v[101:102], v[103:104], 1.0
	v_fma_f64 v[103:104], v[103:104], v[107:108], v[103:104]
	v_mul_f64 v[107:108], v[105:106], v[103:104]
	v_fma_f64 v[101:102], -v[101:102], v[107:108], v[105:106]
	v_div_fmas_f64 v[101:102], v[101:102], v[103:104], v[107:108]
	v_div_fixup_f64 v[101:102], v[101:102], v[99:100], v[97:98]
	v_fma_f64 v[97:98], v[97:98], v[101:102], v[99:100]
	v_div_scale_f64 v[99:100], s[6:7], v[97:98], v[97:98], 1.0
	v_div_scale_f64 v[107:108], vcc, 1.0, v[97:98], 1.0
	v_rcp_f64_e32 v[103:104], v[99:100]
	v_fma_f64 v[105:106], -v[99:100], v[103:104], 1.0
	v_fma_f64 v[103:104], v[103:104], v[105:106], v[103:104]
	v_fma_f64 v[105:106], -v[99:100], v[103:104], 1.0
	v_fma_f64 v[103:104], v[103:104], v[105:106], v[103:104]
	v_mul_f64 v[105:106], v[107:108], v[103:104]
	v_fma_f64 v[99:100], -v[99:100], v[105:106], v[107:108]
	v_div_fmas_f64 v[99:100], v[99:100], v[103:104], v[105:106]
	v_div_fixup_f64 v[103:104], v[99:100], v[97:98], 1.0
                                        ; implicit-def: $vgpr97_vgpr98
	v_mul_f64 v[101:102], v[101:102], v[103:104]
	v_xor_b32_e32 v104, 0x80000000, v104
.LBB115_446:
	s_andn2_saveexec_b64 s[2:3], s[2:3]
	s_cbranch_execz .LBB115_448
; %bb.447:
	v_div_scale_f64 v[101:102], s[6:7], v[97:98], v[97:98], v[99:100]
	v_rcp_f64_e32 v[103:104], v[101:102]
	v_fma_f64 v[105:106], -v[101:102], v[103:104], 1.0
	v_fma_f64 v[103:104], v[103:104], v[105:106], v[103:104]
	v_div_scale_f64 v[105:106], vcc, v[99:100], v[97:98], v[99:100]
	v_fma_f64 v[107:108], -v[101:102], v[103:104], 1.0
	v_fma_f64 v[103:104], v[103:104], v[107:108], v[103:104]
	v_mul_f64 v[107:108], v[105:106], v[103:104]
	v_fma_f64 v[101:102], -v[101:102], v[107:108], v[105:106]
	v_div_fmas_f64 v[101:102], v[101:102], v[103:104], v[107:108]
	v_div_fixup_f64 v[103:104], v[101:102], v[97:98], v[99:100]
	v_fma_f64 v[97:98], v[99:100], v[103:104], v[97:98]
	v_div_scale_f64 v[99:100], s[6:7], v[97:98], v[97:98], 1.0
	v_div_scale_f64 v[107:108], vcc, 1.0, v[97:98], 1.0
	v_rcp_f64_e32 v[101:102], v[99:100]
	v_fma_f64 v[105:106], -v[99:100], v[101:102], 1.0
	v_fma_f64 v[101:102], v[101:102], v[105:106], v[101:102]
	v_fma_f64 v[105:106], -v[99:100], v[101:102], 1.0
	v_fma_f64 v[101:102], v[101:102], v[105:106], v[101:102]
	v_mul_f64 v[105:106], v[107:108], v[101:102]
	v_fma_f64 v[99:100], -v[99:100], v[105:106], v[107:108]
	v_div_fmas_f64 v[99:100], v[99:100], v[101:102], v[105:106]
	v_div_fixup_f64 v[101:102], v[99:100], v[97:98], 1.0
	v_mul_f64 v[103:104], v[103:104], -v[101:102]
.LBB115_448:
	s_or_b64 exec, exec, s[2:3]
	ds_write2_b64 v127, v[101:102], v[103:104] offset1:1
.LBB115_449:
	s_or_b64 exec, exec, s[4:5]
	s_waitcnt lgkmcnt(0)
	s_barrier
	ds_read2_b64 v[53:56], v127 offset1:1
	v_cmp_lt_u32_e32 vcc, 49, v0
	s_and_saveexec_b64 s[2:3], vcc
	s_cbranch_execz .LBB115_451
; %bb.450:
	s_waitcnt lgkmcnt(0)
	v_mul_f64 v[97:98], v[53:54], v[31:32]
	v_mul_f64 v[31:32], v[55:56], v[31:32]
	ds_read2_b64 v[99:102], v125 offset0:100 offset1:101
	v_fma_f64 v[97:98], v[55:56], v[29:30], v[97:98]
	v_fma_f64 v[29:30], v[53:54], v[29:30], -v[31:32]
	s_waitcnt lgkmcnt(0)
	v_mul_f64 v[31:32], v[101:102], v[97:98]
	v_fma_f64 v[31:32], v[99:100], v[29:30], -v[31:32]
	v_mul_f64 v[99:100], v[99:100], v[97:98]
	v_add_f64 v[25:26], v[25:26], -v[31:32]
	v_fma_f64 v[99:100], v[101:102], v[29:30], v[99:100]
	v_add_f64 v[27:28], v[27:28], -v[99:100]
	ds_read2_b64 v[99:102], v125 offset0:102 offset1:103
	s_waitcnt lgkmcnt(0)
	v_mul_f64 v[31:32], v[101:102], v[97:98]
	v_fma_f64 v[31:32], v[99:100], v[29:30], -v[31:32]
	v_mul_f64 v[99:100], v[99:100], v[97:98]
	v_add_f64 v[21:22], v[21:22], -v[31:32]
	v_fma_f64 v[99:100], v[101:102], v[29:30], v[99:100]
	v_add_f64 v[23:24], v[23:24], -v[99:100]
	ds_read2_b64 v[99:102], v125 offset0:104 offset1:105
	;; [unrolled: 8-line block ×7, first 2 shown]
	s_waitcnt lgkmcnt(0)
	v_mul_f64 v[31:32], v[101:102], v[97:98]
	v_fma_f64 v[31:32], v[99:100], v[29:30], -v[31:32]
	v_mul_f64 v[99:100], v[99:100], v[97:98]
	v_add_f64 v[121:122], v[121:122], -v[31:32]
	v_fma_f64 v[99:100], v[101:102], v[29:30], v[99:100]
	v_mov_b32_e32 v31, v97
	v_mov_b32_e32 v32, v98
	v_add_f64 v[123:124], v[123:124], -v[99:100]
.LBB115_451:
	s_or_b64 exec, exec, s[2:3]
	v_cmp_eq_u32_e32 vcc, 50, v0
	s_waitcnt lgkmcnt(0)
	s_barrier
	s_and_saveexec_b64 s[4:5], vcc
	s_cbranch_execz .LBB115_458
; %bb.452:
	ds_write2_b64 v127, v[25:26], v[27:28] offset1:1
	ds_write2_b64 v125, v[21:22], v[23:24] offset0:102 offset1:103
	ds_write2_b64 v125, v[17:18], v[19:20] offset0:104 offset1:105
	;; [unrolled: 1-line block ×7, first 2 shown]
	ds_read2_b64 v[97:100], v127 offset1:1
	s_waitcnt lgkmcnt(0)
	v_cmp_neq_f64_e32 vcc, 0, v[97:98]
	v_cmp_neq_f64_e64 s[2:3], 0, v[99:100]
	s_or_b64 s[2:3], vcc, s[2:3]
	s_and_b64 exec, exec, s[2:3]
	s_cbranch_execz .LBB115_458
; %bb.453:
	v_cmp_ngt_f64_e64 s[2:3], |v[97:98]|, |v[99:100]|
                                        ; implicit-def: $vgpr101_vgpr102
	s_and_saveexec_b64 s[6:7], s[2:3]
	s_xor_b64 s[2:3], exec, s[6:7]
                                        ; implicit-def: $vgpr103_vgpr104
	s_cbranch_execz .LBB115_455
; %bb.454:
	v_div_scale_f64 v[101:102], s[6:7], v[99:100], v[99:100], v[97:98]
	v_rcp_f64_e32 v[103:104], v[101:102]
	v_fma_f64 v[105:106], -v[101:102], v[103:104], 1.0
	v_fma_f64 v[103:104], v[103:104], v[105:106], v[103:104]
	v_div_scale_f64 v[105:106], vcc, v[97:98], v[99:100], v[97:98]
	v_fma_f64 v[107:108], -v[101:102], v[103:104], 1.0
	v_fma_f64 v[103:104], v[103:104], v[107:108], v[103:104]
	v_mul_f64 v[107:108], v[105:106], v[103:104]
	v_fma_f64 v[101:102], -v[101:102], v[107:108], v[105:106]
	v_div_fmas_f64 v[101:102], v[101:102], v[103:104], v[107:108]
	v_div_fixup_f64 v[101:102], v[101:102], v[99:100], v[97:98]
	v_fma_f64 v[97:98], v[97:98], v[101:102], v[99:100]
	v_div_scale_f64 v[99:100], s[6:7], v[97:98], v[97:98], 1.0
	v_div_scale_f64 v[107:108], vcc, 1.0, v[97:98], 1.0
	v_rcp_f64_e32 v[103:104], v[99:100]
	v_fma_f64 v[105:106], -v[99:100], v[103:104], 1.0
	v_fma_f64 v[103:104], v[103:104], v[105:106], v[103:104]
	v_fma_f64 v[105:106], -v[99:100], v[103:104], 1.0
	v_fma_f64 v[103:104], v[103:104], v[105:106], v[103:104]
	v_mul_f64 v[105:106], v[107:108], v[103:104]
	v_fma_f64 v[99:100], -v[99:100], v[105:106], v[107:108]
	v_div_fmas_f64 v[99:100], v[99:100], v[103:104], v[105:106]
	v_div_fixup_f64 v[103:104], v[99:100], v[97:98], 1.0
                                        ; implicit-def: $vgpr97_vgpr98
	v_mul_f64 v[101:102], v[101:102], v[103:104]
	v_xor_b32_e32 v104, 0x80000000, v104
.LBB115_455:
	s_andn2_saveexec_b64 s[2:3], s[2:3]
	s_cbranch_execz .LBB115_457
; %bb.456:
	v_div_scale_f64 v[101:102], s[6:7], v[97:98], v[97:98], v[99:100]
	v_rcp_f64_e32 v[103:104], v[101:102]
	v_fma_f64 v[105:106], -v[101:102], v[103:104], 1.0
	v_fma_f64 v[103:104], v[103:104], v[105:106], v[103:104]
	v_div_scale_f64 v[105:106], vcc, v[99:100], v[97:98], v[99:100]
	v_fma_f64 v[107:108], -v[101:102], v[103:104], 1.0
	v_fma_f64 v[103:104], v[103:104], v[107:108], v[103:104]
	v_mul_f64 v[107:108], v[105:106], v[103:104]
	v_fma_f64 v[101:102], -v[101:102], v[107:108], v[105:106]
	v_div_fmas_f64 v[101:102], v[101:102], v[103:104], v[107:108]
	v_div_fixup_f64 v[103:104], v[101:102], v[97:98], v[99:100]
	v_fma_f64 v[97:98], v[99:100], v[103:104], v[97:98]
	v_div_scale_f64 v[99:100], s[6:7], v[97:98], v[97:98], 1.0
	v_div_scale_f64 v[107:108], vcc, 1.0, v[97:98], 1.0
	v_rcp_f64_e32 v[101:102], v[99:100]
	v_fma_f64 v[105:106], -v[99:100], v[101:102], 1.0
	v_fma_f64 v[101:102], v[101:102], v[105:106], v[101:102]
	v_fma_f64 v[105:106], -v[99:100], v[101:102], 1.0
	v_fma_f64 v[101:102], v[101:102], v[105:106], v[101:102]
	v_mul_f64 v[105:106], v[107:108], v[101:102]
	v_fma_f64 v[99:100], -v[99:100], v[105:106], v[107:108]
	v_div_fmas_f64 v[99:100], v[99:100], v[101:102], v[105:106]
	v_div_fixup_f64 v[101:102], v[99:100], v[97:98], 1.0
	v_mul_f64 v[103:104], v[103:104], -v[101:102]
.LBB115_457:
	s_or_b64 exec, exec, s[2:3]
	ds_write2_b64 v127, v[101:102], v[103:104] offset1:1
.LBB115_458:
	s_or_b64 exec, exec, s[4:5]
	s_waitcnt lgkmcnt(0)
	s_barrier
	ds_read2_b64 v[49:52], v127 offset1:1
	v_cmp_lt_u32_e32 vcc, 50, v0
	s_and_saveexec_b64 s[2:3], vcc
	s_cbranch_execz .LBB115_460
; %bb.459:
	s_waitcnt lgkmcnt(0)
	v_mul_f64 v[97:98], v[49:50], v[27:28]
	v_mul_f64 v[27:28], v[51:52], v[27:28]
	ds_read2_b64 v[99:102], v125 offset0:102 offset1:103
	v_fma_f64 v[97:98], v[51:52], v[25:26], v[97:98]
	v_fma_f64 v[25:26], v[49:50], v[25:26], -v[27:28]
	s_waitcnt lgkmcnt(0)
	v_mul_f64 v[27:28], v[101:102], v[97:98]
	v_fma_f64 v[27:28], v[99:100], v[25:26], -v[27:28]
	v_mul_f64 v[99:100], v[99:100], v[97:98]
	v_add_f64 v[21:22], v[21:22], -v[27:28]
	v_fma_f64 v[99:100], v[101:102], v[25:26], v[99:100]
	v_add_f64 v[23:24], v[23:24], -v[99:100]
	ds_read2_b64 v[99:102], v125 offset0:104 offset1:105
	s_waitcnt lgkmcnt(0)
	v_mul_f64 v[27:28], v[101:102], v[97:98]
	v_fma_f64 v[27:28], v[99:100], v[25:26], -v[27:28]
	v_mul_f64 v[99:100], v[99:100], v[97:98]
	v_add_f64 v[17:18], v[17:18], -v[27:28]
	v_fma_f64 v[99:100], v[101:102], v[25:26], v[99:100]
	v_add_f64 v[19:20], v[19:20], -v[99:100]
	ds_read2_b64 v[99:102], v125 offset0:106 offset1:107
	;; [unrolled: 8-line block ×6, first 2 shown]
	s_waitcnt lgkmcnt(0)
	v_mul_f64 v[27:28], v[101:102], v[97:98]
	v_fma_f64 v[27:28], v[99:100], v[25:26], -v[27:28]
	v_mul_f64 v[99:100], v[99:100], v[97:98]
	v_add_f64 v[121:122], v[121:122], -v[27:28]
	v_fma_f64 v[99:100], v[101:102], v[25:26], v[99:100]
	v_mov_b32_e32 v27, v97
	v_mov_b32_e32 v28, v98
	v_add_f64 v[123:124], v[123:124], -v[99:100]
.LBB115_460:
	s_or_b64 exec, exec, s[2:3]
	v_cmp_eq_u32_e32 vcc, 51, v0
	s_waitcnt lgkmcnt(0)
	s_barrier
	s_and_saveexec_b64 s[4:5], vcc
	s_cbranch_execz .LBB115_467
; %bb.461:
	ds_write2_b64 v127, v[21:22], v[23:24] offset1:1
	ds_write2_b64 v125, v[17:18], v[19:20] offset0:104 offset1:105
	ds_write2_b64 v125, v[13:14], v[15:16] offset0:106 offset1:107
	;; [unrolled: 1-line block ×6, first 2 shown]
	ds_read2_b64 v[97:100], v127 offset1:1
	s_waitcnt lgkmcnt(0)
	v_cmp_neq_f64_e32 vcc, 0, v[97:98]
	v_cmp_neq_f64_e64 s[2:3], 0, v[99:100]
	s_or_b64 s[2:3], vcc, s[2:3]
	s_and_b64 exec, exec, s[2:3]
	s_cbranch_execz .LBB115_467
; %bb.462:
	v_cmp_ngt_f64_e64 s[2:3], |v[97:98]|, |v[99:100]|
                                        ; implicit-def: $vgpr101_vgpr102
	s_and_saveexec_b64 s[6:7], s[2:3]
	s_xor_b64 s[2:3], exec, s[6:7]
                                        ; implicit-def: $vgpr103_vgpr104
	s_cbranch_execz .LBB115_464
; %bb.463:
	v_div_scale_f64 v[101:102], s[6:7], v[99:100], v[99:100], v[97:98]
	v_rcp_f64_e32 v[103:104], v[101:102]
	v_fma_f64 v[105:106], -v[101:102], v[103:104], 1.0
	v_fma_f64 v[103:104], v[103:104], v[105:106], v[103:104]
	v_div_scale_f64 v[105:106], vcc, v[97:98], v[99:100], v[97:98]
	v_fma_f64 v[107:108], -v[101:102], v[103:104], 1.0
	v_fma_f64 v[103:104], v[103:104], v[107:108], v[103:104]
	v_mul_f64 v[107:108], v[105:106], v[103:104]
	v_fma_f64 v[101:102], -v[101:102], v[107:108], v[105:106]
	v_div_fmas_f64 v[101:102], v[101:102], v[103:104], v[107:108]
	v_div_fixup_f64 v[101:102], v[101:102], v[99:100], v[97:98]
	v_fma_f64 v[97:98], v[97:98], v[101:102], v[99:100]
	v_div_scale_f64 v[99:100], s[6:7], v[97:98], v[97:98], 1.0
	v_div_scale_f64 v[107:108], vcc, 1.0, v[97:98], 1.0
	v_rcp_f64_e32 v[103:104], v[99:100]
	v_fma_f64 v[105:106], -v[99:100], v[103:104], 1.0
	v_fma_f64 v[103:104], v[103:104], v[105:106], v[103:104]
	v_fma_f64 v[105:106], -v[99:100], v[103:104], 1.0
	v_fma_f64 v[103:104], v[103:104], v[105:106], v[103:104]
	v_mul_f64 v[105:106], v[107:108], v[103:104]
	v_fma_f64 v[99:100], -v[99:100], v[105:106], v[107:108]
	v_div_fmas_f64 v[99:100], v[99:100], v[103:104], v[105:106]
	v_div_fixup_f64 v[103:104], v[99:100], v[97:98], 1.0
                                        ; implicit-def: $vgpr97_vgpr98
	v_mul_f64 v[101:102], v[101:102], v[103:104]
	v_xor_b32_e32 v104, 0x80000000, v104
.LBB115_464:
	s_andn2_saveexec_b64 s[2:3], s[2:3]
	s_cbranch_execz .LBB115_466
; %bb.465:
	v_div_scale_f64 v[101:102], s[6:7], v[97:98], v[97:98], v[99:100]
	v_rcp_f64_e32 v[103:104], v[101:102]
	v_fma_f64 v[105:106], -v[101:102], v[103:104], 1.0
	v_fma_f64 v[103:104], v[103:104], v[105:106], v[103:104]
	v_div_scale_f64 v[105:106], vcc, v[99:100], v[97:98], v[99:100]
	v_fma_f64 v[107:108], -v[101:102], v[103:104], 1.0
	v_fma_f64 v[103:104], v[103:104], v[107:108], v[103:104]
	v_mul_f64 v[107:108], v[105:106], v[103:104]
	v_fma_f64 v[101:102], -v[101:102], v[107:108], v[105:106]
	v_div_fmas_f64 v[101:102], v[101:102], v[103:104], v[107:108]
	v_div_fixup_f64 v[103:104], v[101:102], v[97:98], v[99:100]
	v_fma_f64 v[97:98], v[99:100], v[103:104], v[97:98]
	v_div_scale_f64 v[99:100], s[6:7], v[97:98], v[97:98], 1.0
	v_div_scale_f64 v[107:108], vcc, 1.0, v[97:98], 1.0
	v_rcp_f64_e32 v[101:102], v[99:100]
	v_fma_f64 v[105:106], -v[99:100], v[101:102], 1.0
	v_fma_f64 v[101:102], v[101:102], v[105:106], v[101:102]
	v_fma_f64 v[105:106], -v[99:100], v[101:102], 1.0
	v_fma_f64 v[101:102], v[101:102], v[105:106], v[101:102]
	v_mul_f64 v[105:106], v[107:108], v[101:102]
	v_fma_f64 v[99:100], -v[99:100], v[105:106], v[107:108]
	v_div_fmas_f64 v[99:100], v[99:100], v[101:102], v[105:106]
	v_div_fixup_f64 v[101:102], v[99:100], v[97:98], 1.0
	v_mul_f64 v[103:104], v[103:104], -v[101:102]
.LBB115_466:
	s_or_b64 exec, exec, s[2:3]
	ds_write2_b64 v127, v[101:102], v[103:104] offset1:1
.LBB115_467:
	s_or_b64 exec, exec, s[4:5]
	s_waitcnt lgkmcnt(0)
	s_barrier
	ds_read2_b64 v[45:48], v127 offset1:1
	v_cmp_lt_u32_e32 vcc, 51, v0
	s_and_saveexec_b64 s[2:3], vcc
	s_cbranch_execz .LBB115_469
; %bb.468:
	s_waitcnt lgkmcnt(0)
	v_mul_f64 v[97:98], v[45:46], v[23:24]
	v_mul_f64 v[23:24], v[47:48], v[23:24]
	ds_read2_b64 v[99:102], v125 offset0:104 offset1:105
	v_fma_f64 v[97:98], v[47:48], v[21:22], v[97:98]
	v_fma_f64 v[21:22], v[45:46], v[21:22], -v[23:24]
	s_waitcnt lgkmcnt(0)
	v_mul_f64 v[23:24], v[101:102], v[97:98]
	v_fma_f64 v[23:24], v[99:100], v[21:22], -v[23:24]
	v_mul_f64 v[99:100], v[99:100], v[97:98]
	v_add_f64 v[17:18], v[17:18], -v[23:24]
	v_fma_f64 v[99:100], v[101:102], v[21:22], v[99:100]
	v_add_f64 v[19:20], v[19:20], -v[99:100]
	ds_read2_b64 v[99:102], v125 offset0:106 offset1:107
	s_waitcnt lgkmcnt(0)
	v_mul_f64 v[23:24], v[101:102], v[97:98]
	v_fma_f64 v[23:24], v[99:100], v[21:22], -v[23:24]
	v_mul_f64 v[99:100], v[99:100], v[97:98]
	v_add_f64 v[13:14], v[13:14], -v[23:24]
	v_fma_f64 v[99:100], v[101:102], v[21:22], v[99:100]
	v_add_f64 v[15:16], v[15:16], -v[99:100]
	ds_read2_b64 v[99:102], v125 offset0:108 offset1:109
	;; [unrolled: 8-line block ×5, first 2 shown]
	s_waitcnt lgkmcnt(0)
	v_mul_f64 v[23:24], v[101:102], v[97:98]
	v_fma_f64 v[23:24], v[99:100], v[21:22], -v[23:24]
	v_mul_f64 v[99:100], v[99:100], v[97:98]
	v_add_f64 v[121:122], v[121:122], -v[23:24]
	v_fma_f64 v[99:100], v[101:102], v[21:22], v[99:100]
	v_mov_b32_e32 v23, v97
	v_mov_b32_e32 v24, v98
	v_add_f64 v[123:124], v[123:124], -v[99:100]
.LBB115_469:
	s_or_b64 exec, exec, s[2:3]
	v_cmp_eq_u32_e32 vcc, 52, v0
	s_waitcnt lgkmcnt(0)
	s_barrier
	s_and_saveexec_b64 s[4:5], vcc
	s_cbranch_execz .LBB115_476
; %bb.470:
	ds_write2_b64 v127, v[17:18], v[19:20] offset1:1
	ds_write2_b64 v125, v[13:14], v[15:16] offset0:106 offset1:107
	ds_write2_b64 v125, v[9:10], v[11:12] offset0:108 offset1:109
	;; [unrolled: 1-line block ×5, first 2 shown]
	ds_read2_b64 v[97:100], v127 offset1:1
	s_waitcnt lgkmcnt(0)
	v_cmp_neq_f64_e32 vcc, 0, v[97:98]
	v_cmp_neq_f64_e64 s[2:3], 0, v[99:100]
	s_or_b64 s[2:3], vcc, s[2:3]
	s_and_b64 exec, exec, s[2:3]
	s_cbranch_execz .LBB115_476
; %bb.471:
	v_cmp_ngt_f64_e64 s[2:3], |v[97:98]|, |v[99:100]|
                                        ; implicit-def: $vgpr101_vgpr102
	s_and_saveexec_b64 s[6:7], s[2:3]
	s_xor_b64 s[2:3], exec, s[6:7]
                                        ; implicit-def: $vgpr103_vgpr104
	s_cbranch_execz .LBB115_473
; %bb.472:
	v_div_scale_f64 v[101:102], s[6:7], v[99:100], v[99:100], v[97:98]
	v_rcp_f64_e32 v[103:104], v[101:102]
	v_fma_f64 v[105:106], -v[101:102], v[103:104], 1.0
	v_fma_f64 v[103:104], v[103:104], v[105:106], v[103:104]
	v_div_scale_f64 v[105:106], vcc, v[97:98], v[99:100], v[97:98]
	v_fma_f64 v[107:108], -v[101:102], v[103:104], 1.0
	v_fma_f64 v[103:104], v[103:104], v[107:108], v[103:104]
	v_mul_f64 v[107:108], v[105:106], v[103:104]
	v_fma_f64 v[101:102], -v[101:102], v[107:108], v[105:106]
	v_div_fmas_f64 v[101:102], v[101:102], v[103:104], v[107:108]
	v_div_fixup_f64 v[101:102], v[101:102], v[99:100], v[97:98]
	v_fma_f64 v[97:98], v[97:98], v[101:102], v[99:100]
	v_div_scale_f64 v[99:100], s[6:7], v[97:98], v[97:98], 1.0
	v_div_scale_f64 v[107:108], vcc, 1.0, v[97:98], 1.0
	v_rcp_f64_e32 v[103:104], v[99:100]
	v_fma_f64 v[105:106], -v[99:100], v[103:104], 1.0
	v_fma_f64 v[103:104], v[103:104], v[105:106], v[103:104]
	v_fma_f64 v[105:106], -v[99:100], v[103:104], 1.0
	v_fma_f64 v[103:104], v[103:104], v[105:106], v[103:104]
	v_mul_f64 v[105:106], v[107:108], v[103:104]
	v_fma_f64 v[99:100], -v[99:100], v[105:106], v[107:108]
	v_div_fmas_f64 v[99:100], v[99:100], v[103:104], v[105:106]
	v_div_fixup_f64 v[103:104], v[99:100], v[97:98], 1.0
                                        ; implicit-def: $vgpr97_vgpr98
	v_mul_f64 v[101:102], v[101:102], v[103:104]
	v_xor_b32_e32 v104, 0x80000000, v104
.LBB115_473:
	s_andn2_saveexec_b64 s[2:3], s[2:3]
	s_cbranch_execz .LBB115_475
; %bb.474:
	v_div_scale_f64 v[101:102], s[6:7], v[97:98], v[97:98], v[99:100]
	v_rcp_f64_e32 v[103:104], v[101:102]
	v_fma_f64 v[105:106], -v[101:102], v[103:104], 1.0
	v_fma_f64 v[103:104], v[103:104], v[105:106], v[103:104]
	v_div_scale_f64 v[105:106], vcc, v[99:100], v[97:98], v[99:100]
	v_fma_f64 v[107:108], -v[101:102], v[103:104], 1.0
	v_fma_f64 v[103:104], v[103:104], v[107:108], v[103:104]
	v_mul_f64 v[107:108], v[105:106], v[103:104]
	v_fma_f64 v[101:102], -v[101:102], v[107:108], v[105:106]
	v_div_fmas_f64 v[101:102], v[101:102], v[103:104], v[107:108]
	v_div_fixup_f64 v[103:104], v[101:102], v[97:98], v[99:100]
	v_fma_f64 v[97:98], v[99:100], v[103:104], v[97:98]
	v_div_scale_f64 v[99:100], s[6:7], v[97:98], v[97:98], 1.0
	v_div_scale_f64 v[107:108], vcc, 1.0, v[97:98], 1.0
	v_rcp_f64_e32 v[101:102], v[99:100]
	v_fma_f64 v[105:106], -v[99:100], v[101:102], 1.0
	v_fma_f64 v[101:102], v[101:102], v[105:106], v[101:102]
	v_fma_f64 v[105:106], -v[99:100], v[101:102], 1.0
	v_fma_f64 v[101:102], v[101:102], v[105:106], v[101:102]
	v_mul_f64 v[105:106], v[107:108], v[101:102]
	v_fma_f64 v[99:100], -v[99:100], v[105:106], v[107:108]
	v_div_fmas_f64 v[99:100], v[99:100], v[101:102], v[105:106]
	v_div_fixup_f64 v[101:102], v[99:100], v[97:98], 1.0
	v_mul_f64 v[103:104], v[103:104], -v[101:102]
.LBB115_475:
	s_or_b64 exec, exec, s[2:3]
	ds_write2_b64 v127, v[101:102], v[103:104] offset1:1
.LBB115_476:
	s_or_b64 exec, exec, s[4:5]
	s_waitcnt lgkmcnt(0)
	s_barrier
	ds_read2_b64 v[77:80], v127 offset1:1
	v_cmp_lt_u32_e32 vcc, 52, v0
	s_and_saveexec_b64 s[2:3], vcc
	s_cbranch_execz .LBB115_478
; %bb.477:
	s_waitcnt lgkmcnt(0)
	v_mul_f64 v[97:98], v[77:78], v[19:20]
	v_mul_f64 v[19:20], v[79:80], v[19:20]
	v_fma_f64 v[101:102], v[79:80], v[17:18], v[97:98]
	ds_read2_b64 v[97:100], v125 offset0:106 offset1:107
	v_fma_f64 v[17:18], v[77:78], v[17:18], -v[19:20]
	s_waitcnt lgkmcnt(0)
	v_mul_f64 v[19:20], v[99:100], v[101:102]
	v_fma_f64 v[19:20], v[97:98], v[17:18], -v[19:20]
	v_mul_f64 v[97:98], v[97:98], v[101:102]
	v_add_f64 v[13:14], v[13:14], -v[19:20]
	v_fma_f64 v[97:98], v[99:100], v[17:18], v[97:98]
	v_add_f64 v[15:16], v[15:16], -v[97:98]
	ds_read2_b64 v[97:100], v125 offset0:108 offset1:109
	s_waitcnt lgkmcnt(0)
	v_mul_f64 v[19:20], v[99:100], v[101:102]
	v_fma_f64 v[19:20], v[97:98], v[17:18], -v[19:20]
	v_mul_f64 v[97:98], v[97:98], v[101:102]
	v_add_f64 v[9:10], v[9:10], -v[19:20]
	v_fma_f64 v[97:98], v[99:100], v[17:18], v[97:98]
	v_add_f64 v[11:12], v[11:12], -v[97:98]
	ds_read2_b64 v[97:100], v125 offset0:110 offset1:111
	;; [unrolled: 8-line block ×4, first 2 shown]
	s_waitcnt lgkmcnt(0)
	v_mul_f64 v[19:20], v[99:100], v[101:102]
	v_fma_f64 v[19:20], v[97:98], v[17:18], -v[19:20]
	v_mul_f64 v[97:98], v[97:98], v[101:102]
	v_add_f64 v[121:122], v[121:122], -v[19:20]
	v_fma_f64 v[97:98], v[99:100], v[17:18], v[97:98]
	v_mov_b32_e32 v19, v101
	v_mov_b32_e32 v20, v102
	v_add_f64 v[123:124], v[123:124], -v[97:98]
.LBB115_478:
	s_or_b64 exec, exec, s[2:3]
	v_cmp_eq_u32_e32 vcc, 53, v0
	s_waitcnt lgkmcnt(0)
	s_barrier
	s_and_saveexec_b64 s[4:5], vcc
	s_cbranch_execz .LBB115_485
; %bb.479:
	ds_write2_b64 v127, v[13:14], v[15:16] offset1:1
	ds_write2_b64 v125, v[9:10], v[11:12] offset0:108 offset1:109
	ds_write2_b64 v125, v[5:6], v[7:8] offset0:110 offset1:111
	;; [unrolled: 1-line block ×4, first 2 shown]
	ds_read2_b64 v[97:100], v127 offset1:1
	s_waitcnt lgkmcnt(0)
	v_cmp_neq_f64_e32 vcc, 0, v[97:98]
	v_cmp_neq_f64_e64 s[2:3], 0, v[99:100]
	s_or_b64 s[2:3], vcc, s[2:3]
	s_and_b64 exec, exec, s[2:3]
	s_cbranch_execz .LBB115_485
; %bb.480:
	v_cmp_ngt_f64_e64 s[2:3], |v[97:98]|, |v[99:100]|
                                        ; implicit-def: $vgpr101_vgpr102
	s_and_saveexec_b64 s[6:7], s[2:3]
	s_xor_b64 s[2:3], exec, s[6:7]
                                        ; implicit-def: $vgpr103_vgpr104
	s_cbranch_execz .LBB115_482
; %bb.481:
	v_div_scale_f64 v[101:102], s[6:7], v[99:100], v[99:100], v[97:98]
	v_rcp_f64_e32 v[103:104], v[101:102]
	v_fma_f64 v[105:106], -v[101:102], v[103:104], 1.0
	v_fma_f64 v[103:104], v[103:104], v[105:106], v[103:104]
	v_div_scale_f64 v[105:106], vcc, v[97:98], v[99:100], v[97:98]
	v_fma_f64 v[107:108], -v[101:102], v[103:104], 1.0
	v_fma_f64 v[103:104], v[103:104], v[107:108], v[103:104]
	v_mul_f64 v[107:108], v[105:106], v[103:104]
	v_fma_f64 v[101:102], -v[101:102], v[107:108], v[105:106]
	v_div_fmas_f64 v[101:102], v[101:102], v[103:104], v[107:108]
	v_div_fixup_f64 v[101:102], v[101:102], v[99:100], v[97:98]
	v_fma_f64 v[97:98], v[97:98], v[101:102], v[99:100]
	v_div_scale_f64 v[99:100], s[6:7], v[97:98], v[97:98], 1.0
	v_div_scale_f64 v[107:108], vcc, 1.0, v[97:98], 1.0
	v_rcp_f64_e32 v[103:104], v[99:100]
	v_fma_f64 v[105:106], -v[99:100], v[103:104], 1.0
	v_fma_f64 v[103:104], v[103:104], v[105:106], v[103:104]
	v_fma_f64 v[105:106], -v[99:100], v[103:104], 1.0
	v_fma_f64 v[103:104], v[103:104], v[105:106], v[103:104]
	v_mul_f64 v[105:106], v[107:108], v[103:104]
	v_fma_f64 v[99:100], -v[99:100], v[105:106], v[107:108]
	v_div_fmas_f64 v[99:100], v[99:100], v[103:104], v[105:106]
	v_div_fixup_f64 v[103:104], v[99:100], v[97:98], 1.0
                                        ; implicit-def: $vgpr97_vgpr98
	v_mul_f64 v[101:102], v[101:102], v[103:104]
	v_xor_b32_e32 v104, 0x80000000, v104
.LBB115_482:
	s_andn2_saveexec_b64 s[2:3], s[2:3]
	s_cbranch_execz .LBB115_484
; %bb.483:
	v_div_scale_f64 v[101:102], s[6:7], v[97:98], v[97:98], v[99:100]
	v_rcp_f64_e32 v[103:104], v[101:102]
	v_fma_f64 v[105:106], -v[101:102], v[103:104], 1.0
	v_fma_f64 v[103:104], v[103:104], v[105:106], v[103:104]
	v_div_scale_f64 v[105:106], vcc, v[99:100], v[97:98], v[99:100]
	v_fma_f64 v[107:108], -v[101:102], v[103:104], 1.0
	v_fma_f64 v[103:104], v[103:104], v[107:108], v[103:104]
	v_mul_f64 v[107:108], v[105:106], v[103:104]
	v_fma_f64 v[101:102], -v[101:102], v[107:108], v[105:106]
	v_div_fmas_f64 v[101:102], v[101:102], v[103:104], v[107:108]
	v_div_fixup_f64 v[103:104], v[101:102], v[97:98], v[99:100]
	v_fma_f64 v[97:98], v[99:100], v[103:104], v[97:98]
	v_div_scale_f64 v[99:100], s[6:7], v[97:98], v[97:98], 1.0
	v_div_scale_f64 v[107:108], vcc, 1.0, v[97:98], 1.0
	v_rcp_f64_e32 v[101:102], v[99:100]
	v_fma_f64 v[105:106], -v[99:100], v[101:102], 1.0
	v_fma_f64 v[101:102], v[101:102], v[105:106], v[101:102]
	v_fma_f64 v[105:106], -v[99:100], v[101:102], 1.0
	v_fma_f64 v[101:102], v[101:102], v[105:106], v[101:102]
	v_mul_f64 v[105:106], v[107:108], v[101:102]
	v_fma_f64 v[99:100], -v[99:100], v[105:106], v[107:108]
	v_div_fmas_f64 v[99:100], v[99:100], v[101:102], v[105:106]
	v_div_fixup_f64 v[101:102], v[99:100], v[97:98], 1.0
	v_mul_f64 v[103:104], v[103:104], -v[101:102]
.LBB115_484:
	s_or_b64 exec, exec, s[2:3]
	ds_write2_b64 v127, v[101:102], v[103:104] offset1:1
.LBB115_485:
	s_or_b64 exec, exec, s[4:5]
	s_waitcnt lgkmcnt(0)
	s_barrier
	ds_read2_b64 v[41:44], v127 offset1:1
	v_cmp_lt_u32_e32 vcc, 53, v0
	s_and_saveexec_b64 s[2:3], vcc
	s_cbranch_execz .LBB115_487
; %bb.486:
	s_waitcnt lgkmcnt(0)
	v_mul_f64 v[97:98], v[41:42], v[15:16]
	v_mul_f64 v[15:16], v[43:44], v[15:16]
	v_fma_f64 v[101:102], v[43:44], v[13:14], v[97:98]
	ds_read2_b64 v[97:100], v125 offset0:108 offset1:109
	v_fma_f64 v[13:14], v[41:42], v[13:14], -v[15:16]
	s_waitcnt lgkmcnt(0)
	v_mul_f64 v[15:16], v[99:100], v[101:102]
	v_fma_f64 v[15:16], v[97:98], v[13:14], -v[15:16]
	v_mul_f64 v[97:98], v[97:98], v[101:102]
	v_add_f64 v[9:10], v[9:10], -v[15:16]
	v_fma_f64 v[97:98], v[99:100], v[13:14], v[97:98]
	v_add_f64 v[11:12], v[11:12], -v[97:98]
	ds_read2_b64 v[97:100], v125 offset0:110 offset1:111
	s_waitcnt lgkmcnt(0)
	v_mul_f64 v[15:16], v[99:100], v[101:102]
	v_fma_f64 v[15:16], v[97:98], v[13:14], -v[15:16]
	v_mul_f64 v[97:98], v[97:98], v[101:102]
	v_add_f64 v[5:6], v[5:6], -v[15:16]
	v_fma_f64 v[97:98], v[99:100], v[13:14], v[97:98]
	v_add_f64 v[7:8], v[7:8], -v[97:98]
	ds_read2_b64 v[97:100], v125 offset0:112 offset1:113
	;; [unrolled: 8-line block ×3, first 2 shown]
	s_waitcnt lgkmcnt(0)
	v_mul_f64 v[15:16], v[99:100], v[101:102]
	v_fma_f64 v[15:16], v[97:98], v[13:14], -v[15:16]
	v_mul_f64 v[97:98], v[97:98], v[101:102]
	v_add_f64 v[121:122], v[121:122], -v[15:16]
	v_fma_f64 v[97:98], v[99:100], v[13:14], v[97:98]
	v_mov_b32_e32 v15, v101
	v_mov_b32_e32 v16, v102
	v_add_f64 v[123:124], v[123:124], -v[97:98]
.LBB115_487:
	s_or_b64 exec, exec, s[2:3]
	v_cmp_eq_u32_e32 vcc, 54, v0
	s_waitcnt lgkmcnt(0)
	s_barrier
	s_and_saveexec_b64 s[4:5], vcc
	s_cbranch_execz .LBB115_494
; %bb.488:
	ds_write2_b64 v127, v[9:10], v[11:12] offset1:1
	ds_write2_b64 v125, v[5:6], v[7:8] offset0:110 offset1:111
	ds_write2_b64 v125, v[1:2], v[3:4] offset0:112 offset1:113
	;; [unrolled: 1-line block ×3, first 2 shown]
	ds_read2_b64 v[97:100], v127 offset1:1
	s_waitcnt lgkmcnt(0)
	v_cmp_neq_f64_e32 vcc, 0, v[97:98]
	v_cmp_neq_f64_e64 s[2:3], 0, v[99:100]
	s_or_b64 s[2:3], vcc, s[2:3]
	s_and_b64 exec, exec, s[2:3]
	s_cbranch_execz .LBB115_494
; %bb.489:
	v_cmp_ngt_f64_e64 s[2:3], |v[97:98]|, |v[99:100]|
                                        ; implicit-def: $vgpr101_vgpr102
	s_and_saveexec_b64 s[6:7], s[2:3]
	s_xor_b64 s[2:3], exec, s[6:7]
                                        ; implicit-def: $vgpr103_vgpr104
	s_cbranch_execz .LBB115_491
; %bb.490:
	v_div_scale_f64 v[101:102], s[6:7], v[99:100], v[99:100], v[97:98]
	v_rcp_f64_e32 v[103:104], v[101:102]
	v_fma_f64 v[105:106], -v[101:102], v[103:104], 1.0
	v_fma_f64 v[103:104], v[103:104], v[105:106], v[103:104]
	v_div_scale_f64 v[105:106], vcc, v[97:98], v[99:100], v[97:98]
	v_fma_f64 v[107:108], -v[101:102], v[103:104], 1.0
	v_fma_f64 v[103:104], v[103:104], v[107:108], v[103:104]
	v_mul_f64 v[107:108], v[105:106], v[103:104]
	v_fma_f64 v[101:102], -v[101:102], v[107:108], v[105:106]
	v_div_fmas_f64 v[101:102], v[101:102], v[103:104], v[107:108]
	v_div_fixup_f64 v[101:102], v[101:102], v[99:100], v[97:98]
	v_fma_f64 v[97:98], v[97:98], v[101:102], v[99:100]
	v_div_scale_f64 v[99:100], s[6:7], v[97:98], v[97:98], 1.0
	v_div_scale_f64 v[107:108], vcc, 1.0, v[97:98], 1.0
	v_rcp_f64_e32 v[103:104], v[99:100]
	v_fma_f64 v[105:106], -v[99:100], v[103:104], 1.0
	v_fma_f64 v[103:104], v[103:104], v[105:106], v[103:104]
	v_fma_f64 v[105:106], -v[99:100], v[103:104], 1.0
	v_fma_f64 v[103:104], v[103:104], v[105:106], v[103:104]
	v_mul_f64 v[105:106], v[107:108], v[103:104]
	v_fma_f64 v[99:100], -v[99:100], v[105:106], v[107:108]
	v_div_fmas_f64 v[99:100], v[99:100], v[103:104], v[105:106]
	v_div_fixup_f64 v[103:104], v[99:100], v[97:98], 1.0
                                        ; implicit-def: $vgpr97_vgpr98
	v_mul_f64 v[101:102], v[101:102], v[103:104]
	v_xor_b32_e32 v104, 0x80000000, v104
.LBB115_491:
	s_andn2_saveexec_b64 s[2:3], s[2:3]
	s_cbranch_execz .LBB115_493
; %bb.492:
	v_div_scale_f64 v[101:102], s[6:7], v[97:98], v[97:98], v[99:100]
	v_rcp_f64_e32 v[103:104], v[101:102]
	v_fma_f64 v[105:106], -v[101:102], v[103:104], 1.0
	v_fma_f64 v[103:104], v[103:104], v[105:106], v[103:104]
	v_div_scale_f64 v[105:106], vcc, v[99:100], v[97:98], v[99:100]
	v_fma_f64 v[107:108], -v[101:102], v[103:104], 1.0
	v_fma_f64 v[103:104], v[103:104], v[107:108], v[103:104]
	v_mul_f64 v[107:108], v[105:106], v[103:104]
	v_fma_f64 v[101:102], -v[101:102], v[107:108], v[105:106]
	v_div_fmas_f64 v[101:102], v[101:102], v[103:104], v[107:108]
	v_div_fixup_f64 v[103:104], v[101:102], v[97:98], v[99:100]
	v_fma_f64 v[97:98], v[99:100], v[103:104], v[97:98]
	v_div_scale_f64 v[99:100], s[6:7], v[97:98], v[97:98], 1.0
	v_div_scale_f64 v[107:108], vcc, 1.0, v[97:98], 1.0
	v_rcp_f64_e32 v[101:102], v[99:100]
	v_fma_f64 v[105:106], -v[99:100], v[101:102], 1.0
	v_fma_f64 v[101:102], v[101:102], v[105:106], v[101:102]
	v_fma_f64 v[105:106], -v[99:100], v[101:102], 1.0
	v_fma_f64 v[101:102], v[101:102], v[105:106], v[101:102]
	v_mul_f64 v[105:106], v[107:108], v[101:102]
	v_fma_f64 v[99:100], -v[99:100], v[105:106], v[107:108]
	v_div_fmas_f64 v[99:100], v[99:100], v[101:102], v[105:106]
	v_div_fixup_f64 v[101:102], v[99:100], v[97:98], 1.0
	v_mul_f64 v[103:104], v[103:104], -v[101:102]
.LBB115_493:
	s_or_b64 exec, exec, s[2:3]
	ds_write2_b64 v127, v[101:102], v[103:104] offset1:1
.LBB115_494:
	s_or_b64 exec, exec, s[4:5]
	s_waitcnt lgkmcnt(0)
	s_barrier
	ds_read2_b64 v[109:112], v127 offset1:1
	v_cmp_lt_u32_e32 vcc, 54, v0
	s_and_saveexec_b64 s[2:3], vcc
	s_cbranch_execz .LBB115_496
; %bb.495:
	s_waitcnt lgkmcnt(0)
	v_mul_f64 v[97:98], v[109:110], v[11:12]
	v_mul_f64 v[11:12], v[111:112], v[11:12]
	v_fma_f64 v[101:102], v[111:112], v[9:10], v[97:98]
	ds_read2_b64 v[97:100], v125 offset0:110 offset1:111
	v_fma_f64 v[9:10], v[109:110], v[9:10], -v[11:12]
	s_waitcnt lgkmcnt(0)
	v_mul_f64 v[11:12], v[99:100], v[101:102]
	v_fma_f64 v[11:12], v[97:98], v[9:10], -v[11:12]
	v_mul_f64 v[97:98], v[97:98], v[101:102]
	v_add_f64 v[5:6], v[5:6], -v[11:12]
	v_fma_f64 v[97:98], v[99:100], v[9:10], v[97:98]
	v_add_f64 v[7:8], v[7:8], -v[97:98]
	ds_read2_b64 v[97:100], v125 offset0:112 offset1:113
	s_waitcnt lgkmcnt(0)
	v_mul_f64 v[11:12], v[99:100], v[101:102]
	v_fma_f64 v[11:12], v[97:98], v[9:10], -v[11:12]
	v_mul_f64 v[97:98], v[97:98], v[101:102]
	v_add_f64 v[1:2], v[1:2], -v[11:12]
	v_fma_f64 v[97:98], v[99:100], v[9:10], v[97:98]
	v_add_f64 v[3:4], v[3:4], -v[97:98]
	ds_read2_b64 v[97:100], v125 offset0:114 offset1:115
	s_waitcnt lgkmcnt(0)
	v_mul_f64 v[11:12], v[99:100], v[101:102]
	v_fma_f64 v[11:12], v[97:98], v[9:10], -v[11:12]
	v_mul_f64 v[97:98], v[97:98], v[101:102]
	v_add_f64 v[121:122], v[121:122], -v[11:12]
	v_fma_f64 v[97:98], v[99:100], v[9:10], v[97:98]
	v_mov_b32_e32 v11, v101
	v_mov_b32_e32 v12, v102
	v_add_f64 v[123:124], v[123:124], -v[97:98]
.LBB115_496:
	s_or_b64 exec, exec, s[2:3]
	v_cmp_eq_u32_e32 vcc, 55, v0
	s_waitcnt lgkmcnt(0)
	s_barrier
	s_and_saveexec_b64 s[4:5], vcc
	s_cbranch_execz .LBB115_503
; %bb.497:
	ds_write2_b64 v127, v[5:6], v[7:8] offset1:1
	ds_write2_b64 v125, v[1:2], v[3:4] offset0:112 offset1:113
	ds_write2_b64 v125, v[121:122], v[123:124] offset0:114 offset1:115
	ds_read2_b64 v[97:100], v127 offset1:1
	s_waitcnt lgkmcnt(0)
	v_cmp_neq_f64_e32 vcc, 0, v[97:98]
	v_cmp_neq_f64_e64 s[2:3], 0, v[99:100]
	s_or_b64 s[2:3], vcc, s[2:3]
	s_and_b64 exec, exec, s[2:3]
	s_cbranch_execz .LBB115_503
; %bb.498:
	v_cmp_ngt_f64_e64 s[2:3], |v[97:98]|, |v[99:100]|
                                        ; implicit-def: $vgpr101_vgpr102
	s_and_saveexec_b64 s[6:7], s[2:3]
	s_xor_b64 s[2:3], exec, s[6:7]
                                        ; implicit-def: $vgpr103_vgpr104
	s_cbranch_execz .LBB115_500
; %bb.499:
	v_div_scale_f64 v[101:102], s[6:7], v[99:100], v[99:100], v[97:98]
	v_rcp_f64_e32 v[103:104], v[101:102]
	v_fma_f64 v[105:106], -v[101:102], v[103:104], 1.0
	v_fma_f64 v[103:104], v[103:104], v[105:106], v[103:104]
	v_div_scale_f64 v[105:106], vcc, v[97:98], v[99:100], v[97:98]
	v_fma_f64 v[107:108], -v[101:102], v[103:104], 1.0
	v_fma_f64 v[103:104], v[103:104], v[107:108], v[103:104]
	v_mul_f64 v[107:108], v[105:106], v[103:104]
	v_fma_f64 v[101:102], -v[101:102], v[107:108], v[105:106]
	v_div_fmas_f64 v[101:102], v[101:102], v[103:104], v[107:108]
	v_div_fixup_f64 v[101:102], v[101:102], v[99:100], v[97:98]
	v_fma_f64 v[97:98], v[97:98], v[101:102], v[99:100]
	v_div_scale_f64 v[99:100], s[6:7], v[97:98], v[97:98], 1.0
	v_div_scale_f64 v[107:108], vcc, 1.0, v[97:98], 1.0
	v_rcp_f64_e32 v[103:104], v[99:100]
	v_fma_f64 v[105:106], -v[99:100], v[103:104], 1.0
	v_fma_f64 v[103:104], v[103:104], v[105:106], v[103:104]
	v_fma_f64 v[105:106], -v[99:100], v[103:104], 1.0
	v_fma_f64 v[103:104], v[103:104], v[105:106], v[103:104]
	v_mul_f64 v[105:106], v[107:108], v[103:104]
	v_fma_f64 v[99:100], -v[99:100], v[105:106], v[107:108]
	v_div_fmas_f64 v[99:100], v[99:100], v[103:104], v[105:106]
	v_div_fixup_f64 v[103:104], v[99:100], v[97:98], 1.0
                                        ; implicit-def: $vgpr97_vgpr98
	v_mul_f64 v[101:102], v[101:102], v[103:104]
	v_xor_b32_e32 v104, 0x80000000, v104
.LBB115_500:
	s_andn2_saveexec_b64 s[2:3], s[2:3]
	s_cbranch_execz .LBB115_502
; %bb.501:
	v_div_scale_f64 v[101:102], s[6:7], v[97:98], v[97:98], v[99:100]
	v_rcp_f64_e32 v[103:104], v[101:102]
	v_fma_f64 v[105:106], -v[101:102], v[103:104], 1.0
	v_fma_f64 v[103:104], v[103:104], v[105:106], v[103:104]
	v_div_scale_f64 v[105:106], vcc, v[99:100], v[97:98], v[99:100]
	v_fma_f64 v[107:108], -v[101:102], v[103:104], 1.0
	v_fma_f64 v[103:104], v[103:104], v[107:108], v[103:104]
	v_mul_f64 v[107:108], v[105:106], v[103:104]
	v_fma_f64 v[101:102], -v[101:102], v[107:108], v[105:106]
	v_div_fmas_f64 v[101:102], v[101:102], v[103:104], v[107:108]
	v_div_fixup_f64 v[103:104], v[101:102], v[97:98], v[99:100]
	v_fma_f64 v[97:98], v[99:100], v[103:104], v[97:98]
	v_div_scale_f64 v[99:100], s[6:7], v[97:98], v[97:98], 1.0
	v_div_scale_f64 v[107:108], vcc, 1.0, v[97:98], 1.0
	v_rcp_f64_e32 v[101:102], v[99:100]
	v_fma_f64 v[105:106], -v[99:100], v[101:102], 1.0
	v_fma_f64 v[101:102], v[101:102], v[105:106], v[101:102]
	v_fma_f64 v[105:106], -v[99:100], v[101:102], 1.0
	v_fma_f64 v[101:102], v[101:102], v[105:106], v[101:102]
	v_mul_f64 v[105:106], v[107:108], v[101:102]
	v_fma_f64 v[99:100], -v[99:100], v[105:106], v[107:108]
	v_div_fmas_f64 v[99:100], v[99:100], v[101:102], v[105:106]
	v_div_fixup_f64 v[101:102], v[99:100], v[97:98], 1.0
	v_mul_f64 v[103:104], v[103:104], -v[101:102]
.LBB115_502:
	s_or_b64 exec, exec, s[2:3]
	ds_write2_b64 v127, v[101:102], v[103:104] offset1:1
.LBB115_503:
	s_or_b64 exec, exec, s[4:5]
	s_waitcnt lgkmcnt(0)
	s_barrier
	ds_read2_b64 v[101:104], v127 offset1:1
	v_cmp_lt_u32_e32 vcc, 55, v0
	s_and_saveexec_b64 s[2:3], vcc
	s_cbranch_execz .LBB115_505
; %bb.504:
	s_waitcnt lgkmcnt(0)
	v_mul_f64 v[97:98], v[101:102], v[7:8]
	v_mul_f64 v[7:8], v[103:104], v[7:8]
	v_fma_f64 v[105:106], v[103:104], v[5:6], v[97:98]
	ds_read2_b64 v[97:100], v125 offset0:112 offset1:113
	v_fma_f64 v[5:6], v[101:102], v[5:6], -v[7:8]
	s_waitcnt lgkmcnt(0)
	v_mul_f64 v[7:8], v[99:100], v[105:106]
	v_fma_f64 v[7:8], v[97:98], v[5:6], -v[7:8]
	v_mul_f64 v[97:98], v[97:98], v[105:106]
	v_add_f64 v[1:2], v[1:2], -v[7:8]
	v_fma_f64 v[97:98], v[99:100], v[5:6], v[97:98]
	v_add_f64 v[3:4], v[3:4], -v[97:98]
	ds_read2_b64 v[97:100], v125 offset0:114 offset1:115
	s_waitcnt lgkmcnt(0)
	v_mul_f64 v[7:8], v[99:100], v[105:106]
	v_fma_f64 v[7:8], v[97:98], v[5:6], -v[7:8]
	v_mul_f64 v[97:98], v[97:98], v[105:106]
	v_add_f64 v[121:122], v[121:122], -v[7:8]
	v_fma_f64 v[97:98], v[99:100], v[5:6], v[97:98]
	v_mov_b32_e32 v7, v105
	v_mov_b32_e32 v8, v106
	v_add_f64 v[123:124], v[123:124], -v[97:98]
.LBB115_505:
	s_or_b64 exec, exec, s[2:3]
	s_waitcnt lgkmcnt(0)
	s_barrier
	v_cmp_eq_u32_e32 vcc, 56, v0
	s_mov_b64 s[4:5], exec
	s_and_b64 s[2:3], s[4:5], vcc
	buffer_store_dword v91, off, s[20:23], 0 offset:1152 ; 4-byte Folded Spill
	s_nop 0
	buffer_store_dword v92, off, s[20:23], 0 offset:1156 ; 4-byte Folded Spill
	buffer_store_dword v93, off, s[20:23], 0 offset:1160 ; 4-byte Folded Spill
	buffer_store_dword v94, off, s[20:23], 0 offset:1164 ; 4-byte Folded Spill
	s_mov_b64 exec, s[2:3]
	s_cbranch_execz .LBB115_512
; %bb.506:
	ds_write2_b64 v127, v[1:2], v[3:4] offset1:1
	ds_write2_b64 v125, v[121:122], v[123:124] offset0:114 offset1:115
	ds_read2_b64 v[97:100], v127 offset1:1
	s_waitcnt lgkmcnt(0)
	v_cmp_neq_f64_e32 vcc, 0, v[97:98]
	v_cmp_neq_f64_e64 s[2:3], 0, v[99:100]
	s_or_b64 s[2:3], vcc, s[2:3]
	s_and_b64 exec, exec, s[2:3]
	s_cbranch_execz .LBB115_512
; %bb.507:
	v_cmp_ngt_f64_e64 s[2:3], |v[97:98]|, |v[99:100]|
                                        ; implicit-def: $vgpr105_vgpr106
	s_and_saveexec_b64 s[6:7], s[2:3]
	s_xor_b64 s[2:3], exec, s[6:7]
                                        ; implicit-def: $vgpr107_vgpr108
	s_cbranch_execz .LBB115_509
; %bb.508:
	v_div_scale_f64 v[105:106], s[6:7], v[99:100], v[99:100], v[97:98]
	v_div_scale_f64 v[95:96], vcc, v[97:98], v[99:100], v[97:98]
	v_rcp_f64_e32 v[107:108], v[105:106]
	v_fma_f64 v[93:94], -v[105:106], v[107:108], 1.0
	v_fma_f64 v[93:94], v[107:108], v[93:94], v[107:108]
	v_fma_f64 v[107:108], -v[105:106], v[93:94], 1.0
	v_fma_f64 v[93:94], v[93:94], v[107:108], v[93:94]
	v_mul_f64 v[107:108], v[95:96], v[93:94]
	v_fma_f64 v[95:96], -v[105:106], v[107:108], v[95:96]
	v_div_fmas_f64 v[93:94], v[95:96], v[93:94], v[107:108]
	v_div_fixup_f64 v[93:94], v[93:94], v[99:100], v[97:98]
	v_fma_f64 v[95:96], v[97:98], v[93:94], v[99:100]
	v_div_scale_f64 v[97:98], s[6:7], v[95:96], v[95:96], 1.0
	v_div_scale_f64 v[107:108], vcc, 1.0, v[95:96], 1.0
	v_rcp_f64_e32 v[99:100], v[97:98]
	v_fma_f64 v[105:106], -v[97:98], v[99:100], 1.0
	v_fma_f64 v[99:100], v[99:100], v[105:106], v[99:100]
	v_fma_f64 v[105:106], -v[97:98], v[99:100], 1.0
	v_fma_f64 v[99:100], v[99:100], v[105:106], v[99:100]
	v_mul_f64 v[105:106], v[107:108], v[99:100]
	v_fma_f64 v[97:98], -v[97:98], v[105:106], v[107:108]
	v_div_fmas_f64 v[97:98], v[97:98], v[99:100], v[105:106]
	v_div_fixup_f64 v[107:108], v[97:98], v[95:96], 1.0
                                        ; implicit-def: $vgpr97_vgpr98
	v_mul_f64 v[105:106], v[93:94], v[107:108]
	v_xor_b32_e32 v108, 0x80000000, v108
.LBB115_509:
	s_andn2_saveexec_b64 s[2:3], s[2:3]
	s_cbranch_execz .LBB115_511
; %bb.510:
	v_div_scale_f64 v[93:94], s[6:7], v[97:98], v[97:98], v[99:100]
	v_rcp_f64_e32 v[95:96], v[93:94]
	v_fma_f64 v[105:106], -v[93:94], v[95:96], 1.0
	v_fma_f64 v[95:96], v[95:96], v[105:106], v[95:96]
	v_div_scale_f64 v[105:106], vcc, v[99:100], v[97:98], v[99:100]
	v_fma_f64 v[107:108], -v[93:94], v[95:96], 1.0
	v_fma_f64 v[95:96], v[95:96], v[107:108], v[95:96]
	v_mul_f64 v[107:108], v[105:106], v[95:96]
	v_fma_f64 v[93:94], -v[93:94], v[107:108], v[105:106]
	v_div_fmas_f64 v[93:94], v[93:94], v[95:96], v[107:108]
	v_div_fixup_f64 v[93:94], v[93:94], v[97:98], v[99:100]
	v_fma_f64 v[95:96], v[99:100], v[93:94], v[97:98]
	v_div_scale_f64 v[97:98], s[6:7], v[95:96], v[95:96], 1.0
	v_div_scale_f64 v[107:108], vcc, 1.0, v[95:96], 1.0
	v_rcp_f64_e32 v[99:100], v[97:98]
	v_fma_f64 v[105:106], -v[97:98], v[99:100], 1.0
	v_fma_f64 v[99:100], v[99:100], v[105:106], v[99:100]
	v_fma_f64 v[105:106], -v[97:98], v[99:100], 1.0
	v_fma_f64 v[99:100], v[99:100], v[105:106], v[99:100]
	v_mul_f64 v[105:106], v[107:108], v[99:100]
	v_fma_f64 v[97:98], -v[97:98], v[105:106], v[107:108]
	v_div_fmas_f64 v[97:98], v[97:98], v[99:100], v[105:106]
	v_div_fixup_f64 v[105:106], v[97:98], v[95:96], 1.0
	v_mul_f64 v[107:108], v[93:94], -v[105:106]
.LBB115_511:
	s_or_b64 exec, exec, s[2:3]
	ds_write2_b64 v127, v[105:106], v[107:108] offset1:1
.LBB115_512:
	s_or_b64 exec, exec, s[4:5]
	s_waitcnt vmcnt(0) lgkmcnt(0)
	s_barrier
	ds_read2_b64 v[97:100], v127 offset1:1
	v_cmp_lt_u32_e32 vcc, 56, v0
	s_and_saveexec_b64 s[2:3], vcc
	s_cbranch_execz .LBB115_514
; %bb.513:
	s_waitcnt lgkmcnt(0)
	v_mul_f64 v[93:94], v[97:98], v[3:4]
	v_mul_f64 v[3:4], v[99:100], v[3:4]
	ds_read2_b64 v[105:108], v125 offset0:114 offset1:115
	v_fma_f64 v[93:94], v[99:100], v[1:2], v[93:94]
	v_fma_f64 v[1:2], v[97:98], v[1:2], -v[3:4]
	s_waitcnt lgkmcnt(0)
	v_mul_f64 v[3:4], v[107:108], v[93:94]
	v_mul_f64 v[95:96], v[105:106], v[93:94]
	v_fma_f64 v[3:4], v[105:106], v[1:2], -v[3:4]
	v_fma_f64 v[95:96], v[107:108], v[1:2], v[95:96]
	v_add_f64 v[121:122], v[121:122], -v[3:4]
	v_add_f64 v[123:124], v[123:124], -v[95:96]
	v_mov_b32_e32 v3, v93
	v_mov_b32_e32 v4, v94
.LBB115_514:
	s_or_b64 exec, exec, s[2:3]
	v_cmp_eq_u32_e32 vcc, 57, v0
	s_waitcnt lgkmcnt(0)
	s_barrier
	s_and_saveexec_b64 s[4:5], vcc
	s_cbranch_execz .LBB115_521
; %bb.515:
	v_cmp_neq_f64_e32 vcc, 0, v[121:122]
	v_cmp_neq_f64_e64 s[2:3], 0, v[123:124]
	ds_write2_b64 v127, v[121:122], v[123:124] offset1:1
	s_or_b64 s[2:3], vcc, s[2:3]
	s_and_b64 exec, exec, s[2:3]
	s_cbranch_execz .LBB115_521
; %bb.516:
	v_cmp_ngt_f64_e64 s[2:3], |v[121:122]|, |v[123:124]|
                                        ; implicit-def: $vgpr105_vgpr106
	s_and_saveexec_b64 s[6:7], s[2:3]
	s_xor_b64 s[2:3], exec, s[6:7]
                                        ; implicit-def: $vgpr107_vgpr108
	s_cbranch_execz .LBB115_518
; %bb.517:
	v_div_scale_f64 v[93:94], s[6:7], v[123:124], v[123:124], v[121:122]
	v_mov_b32_e32 v92, v88
	v_mov_b32_e32 v91, v87
	v_mov_b32_e32 v90, v86
	v_mov_b32_e32 v89, v85
	v_mov_b32_e32 v85, v117
	v_mov_b32_e32 v86, v118
	v_mov_b32_e32 v87, v119
	v_mov_b32_e32 v88, v120
	v_mov_b32_e32 v116, v48
	v_mov_b32_e32 v113, v45
	v_mov_b32_e32 v115, v47
	v_mov_b32_e32 v114, v46
	v_mov_b32_e32 v45, v113
	v_mov_b32_e32 v46, v114
	v_rcp_f64_e32 v[95:96], v[93:94]
	v_mov_b32_e32 v47, v115
	v_mov_b32_e32 v48, v116
	v_fma_f64 v[105:106], -v[93:94], v[95:96], 1.0
	v_fma_f64 v[95:96], v[95:96], v[105:106], v[95:96]
	v_div_scale_f64 v[105:106], vcc, v[121:122], v[123:124], v[121:122]
	v_fma_f64 v[107:108], -v[93:94], v[95:96], 1.0
	v_fma_f64 v[95:96], v[95:96], v[107:108], v[95:96]
	v_mul_f64 v[107:108], v[105:106], v[95:96]
	v_fma_f64 v[93:94], -v[93:94], v[107:108], v[105:106]
	v_div_fmas_f64 v[93:94], v[93:94], v[95:96], v[107:108]
	v_div_fixup_f64 v[93:94], v[93:94], v[123:124], v[121:122]
	v_fma_f64 v[95:96], v[121:122], v[93:94], v[123:124]
	v_div_scale_f64 v[105:106], s[6:7], v[95:96], v[95:96], 1.0
	v_div_scale_f64 v[117:118], vcc, 1.0, v[95:96], 1.0
	v_rcp_f64_e32 v[107:108], v[105:106]
	v_fma_f64 v[125:126], -v[105:106], v[107:108], 1.0
	v_fma_f64 v[107:108], v[107:108], v[125:126], v[107:108]
	v_fma_f64 v[125:126], -v[105:106], v[107:108], 1.0
	v_fma_f64 v[107:108], v[107:108], v[125:126], v[107:108]
	v_mul_f64 v[119:120], v[117:118], v[107:108]
	v_fma_f64 v[105:106], -v[105:106], v[119:120], v[117:118]
	v_div_fmas_f64 v[105:106], v[105:106], v[107:108], v[119:120]
	v_mov_b32_e32 v120, v88
	v_mov_b32_e32 v119, v87
	;; [unrolled: 1-line block ×8, first 2 shown]
	v_div_fixup_f64 v[107:108], v[105:106], v[95:96], 1.0
	v_mul_f64 v[105:106], v[93:94], v[107:108]
	v_xor_b32_e32 v108, 0x80000000, v108
.LBB115_518:
	s_andn2_saveexec_b64 s[2:3], s[2:3]
	s_cbranch_execz .LBB115_520
; %bb.519:
	v_div_scale_f64 v[93:94], s[6:7], v[121:122], v[121:122], v[123:124]
	v_mov_b32_e32 v92, v88
	v_mov_b32_e32 v91, v87
	v_mov_b32_e32 v90, v86
	v_mov_b32_e32 v89, v85
	v_mov_b32_e32 v85, v117
	v_mov_b32_e32 v86, v118
	v_mov_b32_e32 v87, v119
	v_mov_b32_e32 v88, v120
	v_mov_b32_e32 v116, v48
	v_mov_b32_e32 v113, v45
	v_mov_b32_e32 v115, v47
	v_mov_b32_e32 v114, v46
	v_mov_b32_e32 v45, v113
	v_mov_b32_e32 v46, v114
	v_rcp_f64_e32 v[95:96], v[93:94]
	v_mov_b32_e32 v47, v115
	v_mov_b32_e32 v48, v116
	v_fma_f64 v[105:106], -v[93:94], v[95:96], 1.0
	v_fma_f64 v[95:96], v[95:96], v[105:106], v[95:96]
	v_div_scale_f64 v[105:106], vcc, v[123:124], v[121:122], v[123:124]
	v_fma_f64 v[107:108], -v[93:94], v[95:96], 1.0
	v_fma_f64 v[95:96], v[95:96], v[107:108], v[95:96]
	v_mul_f64 v[107:108], v[105:106], v[95:96]
	v_fma_f64 v[93:94], -v[93:94], v[107:108], v[105:106]
	v_div_fmas_f64 v[93:94], v[93:94], v[95:96], v[107:108]
	v_div_fixup_f64 v[93:94], v[93:94], v[121:122], v[123:124]
	v_fma_f64 v[95:96], v[123:124], v[93:94], v[121:122]
	v_div_scale_f64 v[105:106], s[6:7], v[95:96], v[95:96], 1.0
	v_div_scale_f64 v[119:120], vcc, 1.0, v[95:96], 1.0
	v_rcp_f64_e32 v[107:108], v[105:106]
	v_fma_f64 v[117:118], -v[105:106], v[107:108], 1.0
	v_fma_f64 v[107:108], v[107:108], v[117:118], v[107:108]
	v_fma_f64 v[117:118], -v[105:106], v[107:108], 1.0
	v_fma_f64 v[107:108], v[107:108], v[117:118], v[107:108]
	v_mul_f64 v[117:118], v[119:120], v[107:108]
	v_fma_f64 v[105:106], -v[105:106], v[117:118], v[119:120]
	v_div_fmas_f64 v[105:106], v[105:106], v[107:108], v[117:118]
	v_mov_b32_e32 v120, v88
	v_mov_b32_e32 v119, v87
	;; [unrolled: 1-line block ×8, first 2 shown]
	v_div_fixup_f64 v[105:106], v[105:106], v[95:96], 1.0
	v_mul_f64 v[107:108], v[93:94], -v[105:106]
.LBB115_520:
	s_or_b64 exec, exec, s[2:3]
	ds_write2_b64 v127, v[105:106], v[107:108] offset1:1
.LBB115_521:
	s_or_b64 exec, exec, s[4:5]
	s_waitcnt lgkmcnt(0)
	s_barrier
	ds_read2_b64 v[105:108], v127 offset1:1
	s_waitcnt lgkmcnt(0)
	s_barrier
	s_and_saveexec_b64 s[2:3], s[0:1]
	s_cbranch_execz .LBB115_524
; %bb.522:
	buffer_load_dword v91, off, s[20:23], 0 offset:1184 ; 4-byte Folded Reload
	buffer_load_dword v92, off, s[20:23], 0 offset:1188 ; 4-byte Folded Reload
	;; [unrolled: 1-line block ×4, first 2 shown]
	v_mov_b32_e32 v84, v80
	v_mov_b32_e32 v83, v79
	;; [unrolled: 1-line block ×5, first 2 shown]
	buffer_load_dword v61, off, s[20:23], 0 offset:1824 ; 4-byte Folded Reload
	buffer_load_dword v62, off, s[20:23], 0 offset:1828 ; 4-byte Folded Reload
	;; [unrolled: 1-line block ×20, first 2 shown]
	v_mov_b32_e32 v78, v86
	v_mov_b32_e32 v79, v87
	;; [unrolled: 1-line block ×3, first 2 shown]
	buffer_load_dword v87, off, s[20:23], 0 offset:1200 ; 4-byte Folded Reload
	buffer_load_dword v88, off, s[20:23], 0 offset:1204 ; 4-byte Folded Reload
	;; [unrolled: 1-line block ×4, first 2 shown]
	s_waitcnt vmcnt(26)
	v_cmp_eq_f64_e32 vcc, 0, v[91:92]
	s_waitcnt vmcnt(24)
	v_cmp_eq_f64_e64 s[0:1], 0, v[93:94]
	s_and_b64 s[4:5], vcc, s[0:1]
	s_waitcnt vmcnt(2)
	v_cmp_neq_f64_e32 vcc, 0, v[87:88]
	v_cndmask_b32_e64 v93, 0, 1, s[4:5]
	s_waitcnt vmcnt(0)
	v_cmp_neq_f64_e64 s[0:1], 0, v[89:90]
	buffer_load_dword v87, off, s[20:23], 0 offset:1224 ; 4-byte Folded Reload
	buffer_load_dword v88, off, s[20:23], 0 offset:1228 ; 4-byte Folded Reload
	;; [unrolled: 1-line block ×4, first 2 shown]
	s_or_b64 s[0:1], vcc, s[0:1]
	s_or_b64 vcc, s[0:1], s[4:5]
	v_cndmask_b32_e32 v93, 2, v93, vcc
	s_waitcnt vmcnt(2)
	v_cmp_eq_f64_e32 vcc, 0, v[87:88]
	s_waitcnt vmcnt(0)
	v_cmp_eq_f64_e64 s[0:1], 0, v[89:90]
	buffer_load_dword v87, off, s[20:23], 0 offset:1240 ; 4-byte Folded Reload
	buffer_load_dword v88, off, s[20:23], 0 offset:1244 ; 4-byte Folded Reload
	buffer_load_dword v89, off, s[20:23], 0 offset:1248 ; 4-byte Folded Reload
	buffer_load_dword v90, off, s[20:23], 0 offset:1252 ; 4-byte Folded Reload
	s_and_b64 s[0:1], vcc, s[0:1]
	v_cmp_eq_u32_e32 vcc, 0, v93
	s_and_b64 s[0:1], s[0:1], vcc
	v_cndmask_b32_e64 v93, v93, 3, s[0:1]
	s_waitcnt vmcnt(2)
	v_cmp_eq_f64_e32 vcc, 0, v[87:88]
	s_waitcnt vmcnt(0)
	v_cmp_eq_f64_e64 s[0:1], 0, v[89:90]
	buffer_load_dword v87, off, s[20:23], 0 offset:1256 ; 4-byte Folded Reload
	buffer_load_dword v88, off, s[20:23], 0 offset:1260 ; 4-byte Folded Reload
	buffer_load_dword v89, off, s[20:23], 0 offset:1264 ; 4-byte Folded Reload
	buffer_load_dword v90, off, s[20:23], 0 offset:1268 ; 4-byte Folded Reload
	s_and_b64 s[0:1], vcc, s[0:1]
	v_cmp_eq_u32_e32 vcc, 0, v93
	s_and_b64 s[0:1], s[0:1], vcc
	v_cndmask_b32_e64 v93, v93, 4, s[0:1]
	;; [unrolled: 12-line block ×33, first 2 shown]
	s_waitcnt vmcnt(2)
	v_cmp_eq_f64_e32 vcc, 0, v[87:88]
	s_waitcnt vmcnt(0)
	v_cmp_eq_f64_e64 s[0:1], 0, v[89:90]
	s_and_b64 s[0:1], vcc, s[0:1]
	v_cmp_eq_u32_e32 vcc, 0, v93
	s_and_b64 s[0:1], s[0:1], vcc
	v_cndmask_b32_e64 v93, v93, 36, s[0:1]
	v_cmp_eq_f64_e32 vcc, 0, v[113:114]
	v_cmp_eq_f64_e64 s[0:1], 0, v[115:116]
	s_and_b64 s[0:1], vcc, s[0:1]
	v_cmp_eq_u32_e32 vcc, 0, v93
	s_and_b64 s[0:1], s[0:1], vcc
	v_cndmask_b32_e64 v93, v93, 37, s[0:1]
	v_cmp_eq_f64_e32 vcc, 0, v[117:118]
	;; [unrolled: 6-line block ×5, first 2 shown]
	v_cmp_eq_f64_e64 s[0:1], 0, v[75:76]
	buffer_load_dword v73, off, s[20:23], 0 offset:1856 ; 4-byte Folded Reload
	buffer_load_dword v74, off, s[20:23], 0 offset:1860 ; 4-byte Folded Reload
	;; [unrolled: 1-line block ×4, first 2 shown]
	s_and_b64 s[0:1], vcc, s[0:1]
	v_cmp_eq_u32_e32 vcc, 0, v93
	s_and_b64 s[0:1], s[0:1], vcc
	v_cndmask_b32_e64 v93, v93, 41, s[0:1]
	v_cmp_eq_f64_e32 vcc, 0, v[61:62]
	v_cmp_eq_f64_e64 s[0:1], 0, v[63:64]
	s_and_b64 s[0:1], vcc, s[0:1]
	v_cmp_eq_u32_e32 vcc, 0, v93
	s_and_b64 s[0:1], s[0:1], vcc
	v_cndmask_b32_e64 v93, v93, 42, s[0:1]
	v_cmp_eq_f64_e32 vcc, 0, v[65:66]
	v_cmp_eq_f64_e64 s[0:1], 0, v[67:68]
	;; [unrolled: 6-line block ×3, first 2 shown]
	buffer_load_dword v69, off, s[20:23], 0 offset:1888 ; 4-byte Folded Reload
	buffer_load_dword v70, off, s[20:23], 0 offset:1892 ; 4-byte Folded Reload
	;; [unrolled: 1-line block ×18, first 2 shown]
	s_and_b64 s[0:1], vcc, s[0:1]
	v_cmp_eq_u32_e32 vcc, 0, v93
	s_and_b64 s[0:1], s[0:1], vcc
	v_cndmask_b32_e64 v93, v93, 44, s[0:1]
	s_waitcnt vmcnt(20)
	v_cmp_eq_f64_e32 vcc, 0, v[73:74]
	s_waitcnt vmcnt(18)
	v_cmp_eq_f64_e64 s[0:1], 0, v[75:76]
	s_and_b64 s[0:1], vcc, s[0:1]
	v_cmp_eq_u32_e32 vcc, 0, v93
	s_and_b64 s[0:1], s[0:1], vcc
	v_cndmask_b32_e64 v93, v93, 45, s[0:1]
	s_waitcnt vmcnt(16)
	v_cmp_eq_f64_e32 vcc, 0, v[69:70]
	s_waitcnt vmcnt(14)
	v_cmp_eq_f64_e64 s[0:1], 0, v[71:72]
	;; [unrolled: 8-line block ×5, first 2 shown]
	s_and_b64 s[0:1], vcc, s[0:1]
	v_cmp_eq_u32_e32 vcc, 0, v93
	s_and_b64 s[0:1], s[0:1], vcc
	v_cndmask_b32_e64 v93, v93, 49, s[0:1]
	v_cmp_eq_f64_e32 vcc, 0, v[53:54]
	v_cmp_eq_f64_e64 s[0:1], 0, v[55:56]
	s_and_b64 s[0:1], vcc, s[0:1]
	v_cmp_eq_u32_e32 vcc, 0, v93
	s_and_b64 s[0:1], s[0:1], vcc
	v_cndmask_b32_e64 v93, v93, 50, s[0:1]
	v_cmp_eq_f64_e32 vcc, 0, v[49:50]
	v_cmp_eq_f64_e64 s[0:1], 0, v[51:52]
	;; [unrolled: 6-line block ×9, first 2 shown]
	s_and_b64 s[0:1], vcc, s[0:1]
	v_cmp_eq_u32_e32 vcc, 0, v93
	s_and_b64 s[0:1], s[0:1], vcc
	v_cndmask_b32_e64 v99, v93, 58, s[0:1]
	s_waitcnt vmcnt(0)
	v_lshlrev_b64 v[93:94], 2, v[87:88]
	v_cmp_ne_u32_e64 s[0:1], 0, v99
	v_add_co_u32_e32 v97, vcc, s10, v93
	v_mov_b32_e32 v93, s11
	v_addc_co_u32_e32 v98, vcc, v93, v94, vcc
	global_load_dword v93, v[97:98], off
	s_waitcnt vmcnt(0)
	v_cmp_eq_u32_e32 vcc, 0, v93
	s_and_b64 s[0:1], vcc, s[0:1]
	s_and_b64 exec, exec, s[0:1]
	s_cbranch_execz .LBB115_524
; %bb.523:
	v_add_u32_e32 v93, s13, v99
	global_store_dword v[97:98], v93, off
.LBB115_524:
	s_or_b64 exec, exec, s[2:3]
	buffer_load_dword v87, off, s[20:23], 0 offset:1168 ; 4-byte Folded Reload
	buffer_load_dword v88, off, s[20:23], 0 offset:1172 ; 4-byte Folded Reload
	;; [unrolled: 1-line block ×6, first 2 shown]
	v_cmp_lt_u32_e32 vcc, 57, v0
	v_mul_f64 v[95:96], v[107:108], v[123:124]
	v_fma_f64 v[95:96], v[105:106], v[121:122], -v[95:96]
	v_cndmask_b32_e32 v98, v122, v96, vcc
	v_cndmask_b32_e32 v97, v121, v95, vcc
	s_waitcnt vmcnt(0)
	global_store_dwordx4 v[87:88], v[91:94], off
	buffer_load_dword v87, off, s[20:23], 0 offset:1176 ; 4-byte Folded Reload
	s_nop 0
	buffer_load_dword v88, off, s[20:23], 0 offset:1180 ; 4-byte Folded Reload
	buffer_load_dword v91, off, s[20:23], 0 offset:704 ; 4-byte Folded Reload
	buffer_load_dword v92, off, s[20:23], 0 offset:708 ; 4-byte Folded Reload
	buffer_load_dword v93, off, s[20:23], 0 offset:712 ; 4-byte Folded Reload
	buffer_load_dword v94, off, s[20:23], 0 offset:716 ; 4-byte Folded Reload
	s_waitcnt vmcnt(0)
	global_store_dwordx4 v[87:88], v[91:94], off
	buffer_load_dword v87, off, s[20:23], 0 offset:1128 ; 4-byte Folded Reload
	s_nop 0
	buffer_load_dword v88, off, s[20:23], 0 offset:1132 ; 4-byte Folded Reload
	buffer_load_dword v91, off, s[20:23], 0 offset:688 ; 4-byte Folded Reload
	buffer_load_dword v92, off, s[20:23], 0 offset:692 ; 4-byte Folded Reload
	buffer_load_dword v93, off, s[20:23], 0 offset:696 ; 4-byte Folded Reload
	buffer_load_dword v94, off, s[20:23], 0 offset:700 ; 4-byte Folded Reload
	;; [unrolled: 9-line block ×6, first 2 shown]
	v_mul_f64 v[93:94], v[105:106], v[123:124]
	v_fma_f64 v[93:94], v[107:108], v[121:122], v[93:94]
	v_cndmask_b32_e32 v100, v124, v94, vcc
	v_cndmask_b32_e32 v99, v123, v93, vcc
	s_waitcnt vmcnt(0)
	global_store_dwordx4 v[87:88], v[89:92], off
	buffer_load_dword v87, off, s[20:23], 0 offset:608 ; 4-byte Folded Reload
	s_nop 0
	buffer_load_dword v88, off, s[20:23], 0 offset:612 ; 4-byte Folded Reload
	buffer_load_dword v89, off, s[20:23], 0 offset:616 ; 4-byte Folded Reload
	buffer_load_dword v90, off, s[20:23], 0 offset:620 ; 4-byte Folded Reload
	buffer_load_dword v85, off, s[20:23], 0 offset:1784 ; 4-byte Folded Reload
	buffer_load_dword v86, off, s[20:23], 0 offset:1788 ; 4-byte Folded Reload
	s_waitcnt vmcnt(0)
	global_store_dwordx4 v[85:86], v[87:90], off
	buffer_load_dword v85, off, s[20:23], 0 offset:744 ; 4-byte Folded Reload
	s_nop 0
	buffer_load_dword v86, off, s[20:23], 0 offset:748 ; 4-byte Folded Reload
	buffer_load_dword v87, off, s[20:23], 0 offset:592 ; 4-byte Folded Reload
	buffer_load_dword v88, off, s[20:23], 0 offset:596 ; 4-byte Folded Reload
	buffer_load_dword v89, off, s[20:23], 0 offset:600 ; 4-byte Folded Reload
	buffer_load_dword v90, off, s[20:23], 0 offset:604 ; 4-byte Folded Reload
	;; [unrolled: 9-line block ×30, first 2 shown]
	s_waitcnt vmcnt(0)
	global_store_dwordx4 v[85:86], v[77:80], off
	buffer_load_dword v81, off, s[20:23], 0 offset:976 ; 4-byte Folded Reload
	buffer_load_dword v82, off, s[20:23], 0 offset:980 ; 4-byte Folded Reload
	s_nop 0
	buffer_load_dword v77, off, s[20:23], 0 offset:144 ; 4-byte Folded Reload
	buffer_load_dword v78, off, s[20:23], 0 offset:148 ; 4-byte Folded Reload
	buffer_load_dword v79, off, s[20:23], 0 offset:152 ; 4-byte Folded Reload
	buffer_load_dword v80, off, s[20:23], 0 offset:156 ; 4-byte Folded Reload
	s_waitcnt vmcnt(0)
	global_store_dwordx4 v[81:82], v[77:80], off
	buffer_load_dword v77, off, s[20:23], 0 offset:984 ; 4-byte Folded Reload
	s_nop 0
	buffer_load_dword v78, off, s[20:23], 0 offset:988 ; 4-byte Folded Reload
	buffer_load_dword v73, off, s[20:23], 0 offset:128 ; 4-byte Folded Reload
	buffer_load_dword v74, off, s[20:23], 0 offset:132 ; 4-byte Folded Reload
	buffer_load_dword v75, off, s[20:23], 0 offset:136 ; 4-byte Folded Reload
	buffer_load_dword v76, off, s[20:23], 0 offset:140 ; 4-byte Folded Reload
	s_waitcnt vmcnt(0)
	global_store_dwordx4 v[77:78], v[73:76], off
	buffer_load_dword v73, off, s[20:23], 0 offset:992 ; 4-byte Folded Reload
	s_nop 0
	buffer_load_dword v74, off, s[20:23], 0 offset:996 ; 4-byte Folded Reload
	;; [unrolled: 9-line block ×9, first 2 shown]
	buffer_load_dword v41, off, s[20:23], 0 ; 4-byte Folded Reload
	buffer_load_dword v42, off, s[20:23], 0 offset:4 ; 4-byte Folded Reload
	buffer_load_dword v43, off, s[20:23], 0 offset:8 ; 4-byte Folded Reload
	;; [unrolled: 1-line block ×3, first 2 shown]
	s_waitcnt vmcnt(0)
	global_store_dwordx4 v[45:46], v[41:44], off
	buffer_load_dword v41, off, s[20:23], 0 offset:1056 ; 4-byte Folded Reload
	s_nop 0
	buffer_load_dword v42, off, s[20:23], 0 offset:1060 ; 4-byte Folded Reload
	s_waitcnt vmcnt(0)
	global_store_dwordx4 v[41:42], v[37:40], off
	buffer_load_dword v37, off, s[20:23], 0 offset:1064 ; 4-byte Folded Reload
	s_nop 0
	buffer_load_dword v38, off, s[20:23], 0 offset:1068 ; 4-byte Folded Reload
	;; [unrolled: 5-line block ×11, first 2 shown]
	s_waitcnt vmcnt(0)
	global_store_dwordx4 v[0:1], v[97:100], off
.LBB115_525:
	s_endpgm
	.section	.rodata,"a",@progbits
	.p2align	6, 0x0
	.amdhsa_kernel _ZN9rocsolver6v33100L23getf2_npvt_small_kernelILi58E19rocblas_complex_numIdEiiPS3_EEvT1_T3_lS5_lPT2_S5_S5_
		.amdhsa_group_segment_fixed_size 0
		.amdhsa_private_segment_fixed_size 1964
		.amdhsa_kernarg_size 312
		.amdhsa_user_sgpr_count 6
		.amdhsa_user_sgpr_private_segment_buffer 1
		.amdhsa_user_sgpr_dispatch_ptr 0
		.amdhsa_user_sgpr_queue_ptr 0
		.amdhsa_user_sgpr_kernarg_segment_ptr 1
		.amdhsa_user_sgpr_dispatch_id 0
		.amdhsa_user_sgpr_flat_scratch_init 0
		.amdhsa_user_sgpr_private_segment_size 0
		.amdhsa_uses_dynamic_stack 0
		.amdhsa_system_sgpr_private_segment_wavefront_offset 1
		.amdhsa_system_sgpr_workgroup_id_x 1
		.amdhsa_system_sgpr_workgroup_id_y 1
		.amdhsa_system_sgpr_workgroup_id_z 0
		.amdhsa_system_sgpr_workgroup_info 0
		.amdhsa_system_vgpr_workitem_id 1
		.amdhsa_next_free_vgpr 128
		.amdhsa_next_free_sgpr 24
		.amdhsa_reserve_vcc 1
		.amdhsa_reserve_flat_scratch 0
		.amdhsa_float_round_mode_32 0
		.amdhsa_float_round_mode_16_64 0
		.amdhsa_float_denorm_mode_32 3
		.amdhsa_float_denorm_mode_16_64 3
		.amdhsa_dx10_clamp 1
		.amdhsa_ieee_mode 1
		.amdhsa_fp16_overflow 0
		.amdhsa_exception_fp_ieee_invalid_op 0
		.amdhsa_exception_fp_denorm_src 0
		.amdhsa_exception_fp_ieee_div_zero 0
		.amdhsa_exception_fp_ieee_overflow 0
		.amdhsa_exception_fp_ieee_underflow 0
		.amdhsa_exception_fp_ieee_inexact 0
		.amdhsa_exception_int_div_zero 0
	.end_amdhsa_kernel
	.section	.text._ZN9rocsolver6v33100L23getf2_npvt_small_kernelILi58E19rocblas_complex_numIdEiiPS3_EEvT1_T3_lS5_lPT2_S5_S5_,"axG",@progbits,_ZN9rocsolver6v33100L23getf2_npvt_small_kernelILi58E19rocblas_complex_numIdEiiPS3_EEvT1_T3_lS5_lPT2_S5_S5_,comdat
.Lfunc_end115:
	.size	_ZN9rocsolver6v33100L23getf2_npvt_small_kernelILi58E19rocblas_complex_numIdEiiPS3_EEvT1_T3_lS5_lPT2_S5_S5_, .Lfunc_end115-_ZN9rocsolver6v33100L23getf2_npvt_small_kernelILi58E19rocblas_complex_numIdEiiPS3_EEvT1_T3_lS5_lPT2_S5_S5_
                                        ; -- End function
	.set _ZN9rocsolver6v33100L23getf2_npvt_small_kernelILi58E19rocblas_complex_numIdEiiPS3_EEvT1_T3_lS5_lPT2_S5_S5_.num_vgpr, 128
	.set _ZN9rocsolver6v33100L23getf2_npvt_small_kernelILi58E19rocblas_complex_numIdEiiPS3_EEvT1_T3_lS5_lPT2_S5_S5_.num_agpr, 0
	.set _ZN9rocsolver6v33100L23getf2_npvt_small_kernelILi58E19rocblas_complex_numIdEiiPS3_EEvT1_T3_lS5_lPT2_S5_S5_.numbered_sgpr, 24
	.set _ZN9rocsolver6v33100L23getf2_npvt_small_kernelILi58E19rocblas_complex_numIdEiiPS3_EEvT1_T3_lS5_lPT2_S5_S5_.num_named_barrier, 0
	.set _ZN9rocsolver6v33100L23getf2_npvt_small_kernelILi58E19rocblas_complex_numIdEiiPS3_EEvT1_T3_lS5_lPT2_S5_S5_.private_seg_size, 1964
	.set _ZN9rocsolver6v33100L23getf2_npvt_small_kernelILi58E19rocblas_complex_numIdEiiPS3_EEvT1_T3_lS5_lPT2_S5_S5_.uses_vcc, 1
	.set _ZN9rocsolver6v33100L23getf2_npvt_small_kernelILi58E19rocblas_complex_numIdEiiPS3_EEvT1_T3_lS5_lPT2_S5_S5_.uses_flat_scratch, 0
	.set _ZN9rocsolver6v33100L23getf2_npvt_small_kernelILi58E19rocblas_complex_numIdEiiPS3_EEvT1_T3_lS5_lPT2_S5_S5_.has_dyn_sized_stack, 0
	.set _ZN9rocsolver6v33100L23getf2_npvt_small_kernelILi58E19rocblas_complex_numIdEiiPS3_EEvT1_T3_lS5_lPT2_S5_S5_.has_recursion, 0
	.set _ZN9rocsolver6v33100L23getf2_npvt_small_kernelILi58E19rocblas_complex_numIdEiiPS3_EEvT1_T3_lS5_lPT2_S5_S5_.has_indirect_call, 0
	.section	.AMDGPU.csdata,"",@progbits
; Kernel info:
; codeLenInByte = 282880
; TotalNumSgprs: 28
; NumVgprs: 128
; ScratchSize: 1964
; MemoryBound: 1
; FloatMode: 240
; IeeeMode: 1
; LDSByteSize: 0 bytes/workgroup (compile time only)
; SGPRBlocks: 3
; VGPRBlocks: 31
; NumSGPRsForWavesPerEU: 28
; NumVGPRsForWavesPerEU: 128
; Occupancy: 2
; WaveLimiterHint : 0
; COMPUTE_PGM_RSRC2:SCRATCH_EN: 1
; COMPUTE_PGM_RSRC2:USER_SGPR: 6
; COMPUTE_PGM_RSRC2:TRAP_HANDLER: 0
; COMPUTE_PGM_RSRC2:TGID_X_EN: 1
; COMPUTE_PGM_RSRC2:TGID_Y_EN: 1
; COMPUTE_PGM_RSRC2:TGID_Z_EN: 0
; COMPUTE_PGM_RSRC2:TIDIG_COMP_CNT: 1
	.section	.text._ZN9rocsolver6v33100L18getf2_small_kernelILi59E19rocblas_complex_numIdEiiPS3_EEvT1_T3_lS5_lPS5_llPT2_S5_S5_S7_l,"axG",@progbits,_ZN9rocsolver6v33100L18getf2_small_kernelILi59E19rocblas_complex_numIdEiiPS3_EEvT1_T3_lS5_lPS5_llPT2_S5_S5_S7_l,comdat
	.globl	_ZN9rocsolver6v33100L18getf2_small_kernelILi59E19rocblas_complex_numIdEiiPS3_EEvT1_T3_lS5_lPS5_llPT2_S5_S5_S7_l ; -- Begin function _ZN9rocsolver6v33100L18getf2_small_kernelILi59E19rocblas_complex_numIdEiiPS3_EEvT1_T3_lS5_lPS5_llPT2_S5_S5_S7_l
	.p2align	8
	.type	_ZN9rocsolver6v33100L18getf2_small_kernelILi59E19rocblas_complex_numIdEiiPS3_EEvT1_T3_lS5_lPS5_llPT2_S5_S5_S7_l,@function
_ZN9rocsolver6v33100L18getf2_small_kernelILi59E19rocblas_complex_numIdEiiPS3_EEvT1_T3_lS5_lPS5_llPT2_S5_S5_S7_l: ; @_ZN9rocsolver6v33100L18getf2_small_kernelILi59E19rocblas_complex_numIdEiiPS3_EEvT1_T3_lS5_lPS5_llPT2_S5_S5_S7_l
; %bb.0:
	s_mov_b64 s[26:27], s[2:3]
	s_mov_b64 s[24:25], s[0:1]
	s_load_dword s0, s[4:5], 0x6c
	s_load_dwordx2 s[16:17], s[4:5], 0x48
	s_add_u32 s24, s24, s8
	s_addc_u32 s25, s25, 0
	s_waitcnt lgkmcnt(0)
	s_lshr_b32 s0, s0, 16
	s_mul_i32 s7, s7, s0
	v_add_u32_e32 v5, s7, v1
	v_cmp_gt_i32_e32 vcc, s16, v5
	s_and_saveexec_b64 s[0:1], vcc
	s_cbranch_execnz .LBB116_1
; %bb.1241:
	s_getpc_b64 s[28:29]
.Lpost_getpc30:
	s_add_u32 s28, s28, (.LBB116_1240-.Lpost_getpc30)&4294967295
	s_addc_u32 s29, s29, (.LBB116_1240-.Lpost_getpc30)>>32
	s_setpc_b64 s[28:29]
.LBB116_1:
	s_load_dwordx4 s[0:3], s[4:5], 0x50
	v_mov_b32_e32 v2, 0
	v_ashrrev_i32_e32 v6, 31, v5
	v_mov_b32_e32 v3, 0
	buffer_store_dword v2, off, s[24:27], 0 offset:500 ; 4-byte Folded Spill
	s_nop 0
	buffer_store_dword v3, off, s[24:27], 0 offset:504 ; 4-byte Folded Spill
	s_waitcnt lgkmcnt(0)
	s_cmp_eq_u64 s[0:1], 0
	s_cselect_b64 s[6:7], -1, 0
	s_and_b64 vcc, exec, s[6:7]
	s_cbranch_vccnz .LBB116_3
; %bb.2:
	v_mul_lo_u32 v7, s3, v5
	v_mul_lo_u32 v4, s2, v6
	v_mad_u64_u32 v[2:3], s[2:3], s2, v5, 0
	v_add3_u32 v3, v3, v4, v7
	v_lshlrev_b64 v[2:3], 2, v[2:3]
	v_mov_b32_e32 v4, s1
	v_add_co_u32_e32 v2, vcc, s0, v2
	v_addc_co_u32_e32 v3, vcc, v4, v3, vcc
	buffer_store_dword v2, off, s[24:27], 0 offset:500 ; 4-byte Folded Spill
	s_nop 0
	buffer_store_dword v3, off, s[24:27], 0 offset:504 ; 4-byte Folded Spill
.LBB116_3:
	s_load_dwordx8 s[8:15], s[4:5], 0x20
	s_load_dwordx4 s[20:23], s[4:5], 0x8
	s_load_dword s2, s[4:5], 0x18
	v_lshlrev_b32_e32 v80, 4, v0
	v_mov_b32_e32 v127, v0
	s_waitcnt lgkmcnt(0)
	v_mul_lo_u32 v7, s9, v5
	v_mul_lo_u32 v4, s8, v6
	buffer_store_dword v5, off, s[24:27], 0 offset:576 ; 4-byte Folded Spill
	s_nop 0
	buffer_store_dword v6, off, s[24:27], 0 offset:580 ; 4-byte Folded Spill
	s_add_i32 s16, s2, s2
	s_ashr_i32 s3, s2, 31
	v_mad_u64_u32 v[2:3], s[0:1], s8, v5, 0
	v_mov_b32_e32 v5, s21
	s_lshl_b64 s[0:1], s[22:23], 4
	v_add3_u32 v3, v3, v4, v7
	v_lshlrev_b64 v[2:3], 4, v[2:3]
	s_lshl_b64 s[8:9], s[2:3], 4
	v_add_co_u32_e32 v4, vcc, s20, v2
	v_addc_co_u32_e32 v2, vcc, v5, v3, vcc
	v_add_co_u32_e32 v87, vcc, s0, v4
	v_add_u32_e32 v4, s16, v0
	v_mov_b32_e32 v3, s1
	v_ashrrev_i32_e32 v5, 31, v4
	v_addc_co_u32_e32 v79, vcc, v2, v3, vcc
	v_lshlrev_b64 v[2:3], 4, v[4:5]
	v_add_u32_e32 v6, s2, v4
	v_ashrrev_i32_e32 v7, 31, v6
	v_add_co_u32_e32 v105, vcc, v87, v2
	v_lshlrev_b64 v[4:5], 4, v[6:7]
	v_add_u32_e32 v8, s2, v6
	v_addc_co_u32_e32 v106, vcc, v79, v3, vcc
	v_ashrrev_i32_e32 v9, 31, v8
	v_add_co_u32_e32 v107, vcc, v87, v4
	v_lshlrev_b64 v[6:7], 4, v[8:9]
	v_add_u32_e32 v10, s2, v8
	v_addc_co_u32_e32 v108, vcc, v79, v5, vcc
	v_ashrrev_i32_e32 v11, 31, v10
	v_add_co_u32_e32 v109, vcc, v87, v6
	v_lshlrev_b64 v[8:9], 4, v[10:11]
	v_add_u32_e32 v12, s2, v10
	v_addc_co_u32_e32 v110, vcc, v79, v7, vcc
	v_ashrrev_i32_e32 v13, 31, v12
	v_add_co_u32_e32 v111, vcc, v87, v8
	v_lshlrev_b64 v[10:11], 4, v[12:13]
	v_add_u32_e32 v14, s2, v12
	v_addc_co_u32_e32 v112, vcc, v79, v9, vcc
	v_ashrrev_i32_e32 v15, 31, v14
	v_add_co_u32_e32 v10, vcc, v87, v10
	v_lshlrev_b64 v[12:13], 4, v[14:15]
	v_add_u32_e32 v16, s2, v14
	v_addc_co_u32_e32 v11, vcc, v79, v11, vcc
	v_ashrrev_i32_e32 v17, 31, v16
	v_add_co_u32_e32 v12, vcc, v87, v12
	v_lshlrev_b64 v[14:15], 4, v[16:17]
	v_add_u32_e32 v18, s2, v16
	v_addc_co_u32_e32 v13, vcc, v79, v13, vcc
	v_ashrrev_i32_e32 v19, 31, v18
	v_add_co_u32_e32 v14, vcc, v87, v14
	v_lshlrev_b64 v[16:17], 4, v[18:19]
	v_add_u32_e32 v20, s2, v18
	v_addc_co_u32_e32 v15, vcc, v79, v15, vcc
	v_ashrrev_i32_e32 v21, 31, v20
	v_add_co_u32_e32 v16, vcc, v87, v16
	v_lshlrev_b64 v[18:19], 4, v[20:21]
	v_add_u32_e32 v22, s2, v20
	v_addc_co_u32_e32 v17, vcc, v79, v17, vcc
	v_ashrrev_i32_e32 v23, 31, v22
	v_add_co_u32_e32 v18, vcc, v87, v18
	v_lshlrev_b64 v[20:21], 4, v[22:23]
	v_add_u32_e32 v24, s2, v22
	v_addc_co_u32_e32 v19, vcc, v79, v19, vcc
	v_ashrrev_i32_e32 v25, 31, v24
	v_add_co_u32_e32 v20, vcc, v87, v20
	v_lshlrev_b64 v[22:23], 4, v[24:25]
	v_add_u32_e32 v26, s2, v24
	v_addc_co_u32_e32 v21, vcc, v79, v21, vcc
	v_ashrrev_i32_e32 v27, 31, v26
	v_add_co_u32_e32 v22, vcc, v87, v22
	v_lshlrev_b64 v[24:25], 4, v[26:27]
	v_add_u32_e32 v28, s2, v26
	v_addc_co_u32_e32 v23, vcc, v79, v23, vcc
	v_ashrrev_i32_e32 v29, 31, v28
	v_add_co_u32_e32 v24, vcc, v87, v24
	v_lshlrev_b64 v[26:27], 4, v[28:29]
	v_add_u32_e32 v30, s2, v28
	v_addc_co_u32_e32 v25, vcc, v79, v25, vcc
	v_ashrrev_i32_e32 v31, 31, v30
	v_add_co_u32_e32 v26, vcc, v87, v26
	v_lshlrev_b64 v[28:29], 4, v[30:31]
	v_add_u32_e32 v32, s2, v30
	v_addc_co_u32_e32 v27, vcc, v79, v27, vcc
	v_ashrrev_i32_e32 v33, 31, v32
	v_add_co_u32_e32 v28, vcc, v87, v28
	v_lshlrev_b64 v[30:31], 4, v[32:33]
	v_add_u32_e32 v34, s2, v32
	v_addc_co_u32_e32 v29, vcc, v79, v29, vcc
	v_ashrrev_i32_e32 v35, 31, v34
	v_add_co_u32_e32 v30, vcc, v87, v30
	v_lshlrev_b64 v[32:33], 4, v[34:35]
	v_add_u32_e32 v36, s2, v34
	v_addc_co_u32_e32 v31, vcc, v79, v31, vcc
	v_ashrrev_i32_e32 v37, 31, v36
	v_add_co_u32_e32 v32, vcc, v87, v32
	v_lshlrev_b64 v[34:35], 4, v[36:37]
	v_add_u32_e32 v38, s2, v36
	v_addc_co_u32_e32 v33, vcc, v79, v33, vcc
	v_ashrrev_i32_e32 v39, 31, v38
	v_add_co_u32_e32 v34, vcc, v87, v34
	v_lshlrev_b64 v[36:37], 4, v[38:39]
	v_add_u32_e32 v40, s2, v38
	v_addc_co_u32_e32 v35, vcc, v79, v35, vcc
	v_ashrrev_i32_e32 v41, 31, v40
	v_add_co_u32_e32 v36, vcc, v87, v36
	v_lshlrev_b64 v[38:39], 4, v[40:41]
	v_add_u32_e32 v42, s2, v40
	v_addc_co_u32_e32 v37, vcc, v79, v37, vcc
	v_ashrrev_i32_e32 v43, 31, v42
	v_add_co_u32_e32 v38, vcc, v87, v38
	v_lshlrev_b64 v[40:41], 4, v[42:43]
	v_add_u32_e32 v44, s2, v42
	v_addc_co_u32_e32 v39, vcc, v79, v39, vcc
	v_ashrrev_i32_e32 v45, 31, v44
	v_add_co_u32_e32 v40, vcc, v87, v40
	v_lshlrev_b64 v[42:43], 4, v[44:45]
	v_add_u32_e32 v46, s2, v44
	v_addc_co_u32_e32 v41, vcc, v79, v41, vcc
	v_ashrrev_i32_e32 v47, 31, v46
	v_add_co_u32_e32 v42, vcc, v87, v42
	v_lshlrev_b64 v[44:45], 4, v[46:47]
	v_add_u32_e32 v48, s2, v46
	v_addc_co_u32_e32 v43, vcc, v79, v43, vcc
	v_ashrrev_i32_e32 v49, 31, v48
	v_add_co_u32_e32 v44, vcc, v87, v44
	v_lshlrev_b64 v[46:47], 4, v[48:49]
	v_add_u32_e32 v50, s2, v48
	v_addc_co_u32_e32 v45, vcc, v79, v45, vcc
	v_ashrrev_i32_e32 v51, 31, v50
	v_add_co_u32_e32 v46, vcc, v87, v46
	v_lshlrev_b64 v[48:49], 4, v[50:51]
	v_add_u32_e32 v52, s2, v50
	v_addc_co_u32_e32 v47, vcc, v79, v47, vcc
	v_ashrrev_i32_e32 v53, 31, v52
	v_add_co_u32_e32 v48, vcc, v87, v48
	v_lshlrev_b64 v[50:51], 4, v[52:53]
	v_add_u32_e32 v54, s2, v52
	v_addc_co_u32_e32 v49, vcc, v79, v49, vcc
	v_ashrrev_i32_e32 v55, 31, v54
	v_add_co_u32_e32 v50, vcc, v87, v50
	v_lshlrev_b64 v[52:53], 4, v[54:55]
	v_add_u32_e32 v56, s2, v54
	v_addc_co_u32_e32 v51, vcc, v79, v51, vcc
	v_ashrrev_i32_e32 v57, 31, v56
	v_add_co_u32_e32 v52, vcc, v87, v52
	v_lshlrev_b64 v[54:55], 4, v[56:57]
	v_add_u32_e32 v58, s2, v56
	v_addc_co_u32_e32 v53, vcc, v79, v53, vcc
	v_ashrrev_i32_e32 v59, 31, v58
	v_add_co_u32_e32 v54, vcc, v87, v54
	v_lshlrev_b64 v[56:57], 4, v[58:59]
	v_add_u32_e32 v60, s2, v58
	v_addc_co_u32_e32 v55, vcc, v79, v55, vcc
	v_ashrrev_i32_e32 v61, 31, v60
	v_add_co_u32_e32 v56, vcc, v87, v56
	v_lshlrev_b64 v[58:59], 4, v[60:61]
	v_add_u32_e32 v62, s2, v60
	v_addc_co_u32_e32 v57, vcc, v79, v57, vcc
	v_ashrrev_i32_e32 v63, 31, v62
	v_add_co_u32_e32 v58, vcc, v87, v58
	v_lshlrev_b64 v[60:61], 4, v[62:63]
	v_add_u32_e32 v64, s2, v62
	v_addc_co_u32_e32 v59, vcc, v79, v59, vcc
	v_ashrrev_i32_e32 v65, 31, v64
	v_add_co_u32_e32 v60, vcc, v87, v60
	v_lshlrev_b64 v[62:63], 4, v[64:65]
	v_add_u32_e32 v66, s2, v64
	v_addc_co_u32_e32 v61, vcc, v79, v61, vcc
	v_ashrrev_i32_e32 v67, 31, v66
	v_add_co_u32_e32 v62, vcc, v87, v62
	v_lshlrev_b64 v[64:65], 4, v[66:67]
	v_add_u32_e32 v68, s2, v66
	v_addc_co_u32_e32 v63, vcc, v79, v63, vcc
	v_ashrrev_i32_e32 v69, 31, v68
	v_add_co_u32_e32 v64, vcc, v87, v64
	v_lshlrev_b64 v[66:67], 4, v[68:69]
	v_add_u32_e32 v70, s2, v68
	v_addc_co_u32_e32 v65, vcc, v79, v65, vcc
	v_ashrrev_i32_e32 v71, 31, v70
	v_add_co_u32_e32 v66, vcc, v87, v66
	v_lshlrev_b64 v[68:69], 4, v[70:71]
	v_add_u32_e32 v72, s2, v70
	v_addc_co_u32_e32 v67, vcc, v79, v67, vcc
	v_ashrrev_i32_e32 v73, 31, v72
	v_add_co_u32_e32 v68, vcc, v87, v68
	v_lshlrev_b64 v[70:71], 4, v[72:73]
	v_add_u32_e32 v74, s2, v72
	v_addc_co_u32_e32 v69, vcc, v79, v69, vcc
	v_ashrrev_i32_e32 v75, 31, v74
	v_add_co_u32_e32 v70, vcc, v87, v70
	v_lshlrev_b64 v[72:73], 4, v[74:75]
	v_add_u32_e32 v76, s2, v74
	v_addc_co_u32_e32 v71, vcc, v79, v71, vcc
	v_ashrrev_i32_e32 v77, 31, v76
	v_add_co_u32_e32 v72, vcc, v87, v72
	v_lshlrev_b64 v[74:75], 4, v[76:77]
	v_add_u32_e32 v76, s2, v76
	v_addc_co_u32_e32 v73, vcc, v79, v73, vcc
	v_ashrrev_i32_e32 v77, 31, v76
	v_add_co_u32_e32 v74, vcc, v87, v74
	v_lshlrev_b64 v[77:78], 4, v[76:77]
	v_addc_co_u32_e32 v75, vcc, v79, v75, vcc
	v_add_u32_e32 v76, s2, v76
	v_add_co_u32_e32 v117, vcc, v87, v77
	v_ashrrev_i32_e32 v77, 31, v76
	v_addc_co_u32_e32 v118, vcc, v79, v78, vcc
	v_lshlrev_b64 v[77:78], 4, v[76:77]
	v_add_u32_e32 v76, s2, v76
	v_add_co_u32_e32 v119, vcc, v87, v77
	v_ashrrev_i32_e32 v77, 31, v76
	v_addc_co_u32_e32 v120, vcc, v79, v78, vcc
	v_lshlrev_b64 v[77:78], 4, v[76:77]
	;; [unrolled: 5-line block ×18, first 2 shown]
	v_add_u32_e32 v76, s2, v76
	v_add_co_u32_e32 v91, vcc, v87, v77
	v_ashrrev_i32_e32 v77, 31, v76
	v_lshlrev_b64 v[76:77], 4, v[76:77]
	v_addc_co_u32_e32 v92, vcc, v79, v78, vcc
	v_add_co_u32_e32 v85, vcc, v87, v76
	v_addc_co_u32_e32 v86, vcc, v79, v77, vcc
	v_add_co_u32_e32 v76, vcc, v87, v80
	v_addc_co_u32_e32 v77, vcc, 0, v79, vcc
	v_mov_b32_e32 v0, s9
	v_add_co_u32_e32 v78, vcc, s8, v76
	buffer_store_dword v87, off, s[24:27], 0 offset:584 ; 4-byte Folded Spill
	buffer_store_dword v79, off, s[24:27], 0 offset:572 ; 4-byte Folded Spill
	v_addc_co_u32_e32 v79, vcc, v77, v0, vcc
	global_load_dwordx4 v[113:116], v[76:77], off
	s_nop 0
	global_load_dwordx4 v[76:79], v[78:79], off
	s_waitcnt vmcnt(0)
	buffer_store_dword v76, off, s[24:27], 0 offset:540 ; 4-byte Folded Spill
	s_nop 0
	buffer_store_dword v77, off, s[24:27], 0 offset:544 ; 4-byte Folded Spill
	buffer_store_dword v78, off, s[24:27], 0 offset:548 ; 4-byte Folded Spill
	;; [unrolled: 1-line block ×4, first 2 shown]
	s_nop 0
	buffer_store_dword v114, off, s[24:27], 0 offset:560 ; 4-byte Folded Spill
	buffer_store_dword v115, off, s[24:27], 0 offset:564 ; 4-byte Folded Spill
	buffer_store_dword v116, off, s[24:27], 0 offset:568 ; 4-byte Folded Spill
	global_load_dwordx4 v[76:79], v[105:106], off
	s_load_dword s3, s[4:5], 0x0
	s_waitcnt lgkmcnt(0)
	s_max_i32 s0, s3, 59
	v_mul_lo_u32 v87, s0, v1
	s_load_dwordx2 s[4:5], s[4:5], 0x40
	s_cmp_lt_i32 s3, 2
	v_lshl_add_u32 v0, v87, 4, 0
	v_add_u32_e32 v1, v0, v80
	ds_write2_b64 v1, v[113:114], v[115:116] offset1:1
	s_waitcnt vmcnt(0)
	buffer_store_dword v76, off, s[24:27], 0 offset:524 ; 4-byte Folded Spill
	s_nop 0
	buffer_store_dword v77, off, s[24:27], 0 offset:528 ; 4-byte Folded Spill
	buffer_store_dword v78, off, s[24:27], 0 offset:532 ; 4-byte Folded Spill
	buffer_store_dword v79, off, s[24:27], 0 offset:536 ; 4-byte Folded Spill
	global_load_dwordx4 v[76:79], v[107:108], off
	s_waitcnt vmcnt(0)
	buffer_store_dword v76, off, s[24:27], 0 offset:508 ; 4-byte Folded Spill
	s_nop 0
	buffer_store_dword v77, off, s[24:27], 0 offset:512 ; 4-byte Folded Spill
	buffer_store_dword v78, off, s[24:27], 0 offset:516 ; 4-byte Folded Spill
	buffer_store_dword v79, off, s[24:27], 0 offset:520 ; 4-byte Folded Spill
	global_load_dwordx4 v[76:79], v[109:110], off
	s_waitcnt vmcnt(0)
	buffer_store_dword v76, off, s[24:27], 0 offset:484 ; 4-byte Folded Spill
	s_nop 0
	buffer_store_dword v77, off, s[24:27], 0 offset:488 ; 4-byte Folded Spill
	buffer_store_dword v78, off, s[24:27], 0 offset:492 ; 4-byte Folded Spill
	buffer_store_dword v79, off, s[24:27], 0 offset:496 ; 4-byte Folded Spill
	global_load_dwordx4 v[76:79], v[111:112], off
	s_waitcnt vmcnt(0)
	buffer_store_dword v76, off, s[24:27], 0 offset:468 ; 4-byte Folded Spill
	s_nop 0
	buffer_store_dword v77, off, s[24:27], 0 offset:472 ; 4-byte Folded Spill
	buffer_store_dword v78, off, s[24:27], 0 offset:476 ; 4-byte Folded Spill
	buffer_store_dword v79, off, s[24:27], 0 offset:480 ; 4-byte Folded Spill
	global_load_dwordx4 v[76:79], v[10:11], off
	s_waitcnt vmcnt(0)
	buffer_store_dword v76, off, s[24:27], 0 offset:452 ; 4-byte Folded Spill
	s_nop 0
	buffer_store_dword v77, off, s[24:27], 0 offset:456 ; 4-byte Folded Spill
	buffer_store_dword v78, off, s[24:27], 0 offset:460 ; 4-byte Folded Spill
	buffer_store_dword v79, off, s[24:27], 0 offset:464 ; 4-byte Folded Spill
	global_load_dwordx4 v[10:13], v[12:13], off
	s_waitcnt vmcnt(0)
	buffer_store_dword v10, off, s[24:27], 0 offset:436 ; 4-byte Folded Spill
	s_nop 0
	buffer_store_dword v11, off, s[24:27], 0 offset:440 ; 4-byte Folded Spill
	buffer_store_dword v12, off, s[24:27], 0 offset:444 ; 4-byte Folded Spill
	buffer_store_dword v13, off, s[24:27], 0 offset:448 ; 4-byte Folded Spill
	global_load_dwordx4 v[10:13], v[14:15], off
	s_waitcnt vmcnt(0)
	buffer_store_dword v10, off, s[24:27], 0 offset:416 ; 4-byte Folded Spill
	s_nop 0
	buffer_store_dword v11, off, s[24:27], 0 offset:420 ; 4-byte Folded Spill
	buffer_store_dword v12, off, s[24:27], 0 offset:424 ; 4-byte Folded Spill
	buffer_store_dword v13, off, s[24:27], 0 offset:428 ; 4-byte Folded Spill
	global_load_dwordx4 v[10:13], v[16:17], off
	s_waitcnt vmcnt(0)
	buffer_store_dword v10, off, s[24:27], 0 offset:400 ; 4-byte Folded Spill
	s_nop 0
	buffer_store_dword v11, off, s[24:27], 0 offset:404 ; 4-byte Folded Spill
	buffer_store_dword v12, off, s[24:27], 0 offset:408 ; 4-byte Folded Spill
	buffer_store_dword v13, off, s[24:27], 0 offset:412 ; 4-byte Folded Spill
	global_load_dwordx4 v[10:13], v[18:19], off
	s_waitcnt vmcnt(0)
	buffer_store_dword v10, off, s[24:27], 0 offset:384 ; 4-byte Folded Spill
	s_nop 0
	buffer_store_dword v11, off, s[24:27], 0 offset:388 ; 4-byte Folded Spill
	buffer_store_dword v12, off, s[24:27], 0 offset:392 ; 4-byte Folded Spill
	buffer_store_dword v13, off, s[24:27], 0 offset:396 ; 4-byte Folded Spill
	global_load_dwordx4 v[10:13], v[20:21], off
	s_waitcnt vmcnt(0)
	buffer_store_dword v10, off, s[24:27], 0 offset:368 ; 4-byte Folded Spill
	s_nop 0
	buffer_store_dword v11, off, s[24:27], 0 offset:372 ; 4-byte Folded Spill
	buffer_store_dword v12, off, s[24:27], 0 offset:376 ; 4-byte Folded Spill
	buffer_store_dword v13, off, s[24:27], 0 offset:380 ; 4-byte Folded Spill
	global_load_dwordx4 v[10:13], v[22:23], off
	s_waitcnt vmcnt(0)
	buffer_store_dword v10, off, s[24:27], 0 offset:352 ; 4-byte Folded Spill
	s_nop 0
	buffer_store_dword v11, off, s[24:27], 0 offset:356 ; 4-byte Folded Spill
	buffer_store_dword v12, off, s[24:27], 0 offset:360 ; 4-byte Folded Spill
	buffer_store_dword v13, off, s[24:27], 0 offset:364 ; 4-byte Folded Spill
	global_load_dwordx4 v[10:13], v[24:25], off
	s_waitcnt vmcnt(0)
	buffer_store_dword v10, off, s[24:27], 0 offset:336 ; 4-byte Folded Spill
	s_nop 0
	buffer_store_dword v11, off, s[24:27], 0 offset:340 ; 4-byte Folded Spill
	buffer_store_dword v12, off, s[24:27], 0 offset:344 ; 4-byte Folded Spill
	buffer_store_dword v13, off, s[24:27], 0 offset:348 ; 4-byte Folded Spill
	global_load_dwordx4 v[10:13], v[26:27], off
	s_waitcnt vmcnt(0)
	buffer_store_dword v10, off, s[24:27], 0 offset:320 ; 4-byte Folded Spill
	s_nop 0
	buffer_store_dword v11, off, s[24:27], 0 offset:324 ; 4-byte Folded Spill
	buffer_store_dword v12, off, s[24:27], 0 offset:328 ; 4-byte Folded Spill
	buffer_store_dword v13, off, s[24:27], 0 offset:332 ; 4-byte Folded Spill
	global_load_dwordx4 v[10:13], v[28:29], off
	s_waitcnt vmcnt(0)
	buffer_store_dword v10, off, s[24:27], 0 offset:304 ; 4-byte Folded Spill
	s_nop 0
	buffer_store_dword v11, off, s[24:27], 0 offset:308 ; 4-byte Folded Spill
	buffer_store_dword v12, off, s[24:27], 0 offset:312 ; 4-byte Folded Spill
	buffer_store_dword v13, off, s[24:27], 0 offset:316 ; 4-byte Folded Spill
	global_load_dwordx4 v[10:13], v[30:31], off
	s_waitcnt vmcnt(0)
	buffer_store_dword v10, off, s[24:27], 0 offset:288 ; 4-byte Folded Spill
	s_nop 0
	buffer_store_dword v11, off, s[24:27], 0 offset:292 ; 4-byte Folded Spill
	buffer_store_dword v12, off, s[24:27], 0 offset:296 ; 4-byte Folded Spill
	buffer_store_dword v13, off, s[24:27], 0 offset:300 ; 4-byte Folded Spill
	global_load_dwordx4 v[10:13], v[32:33], off
	s_waitcnt vmcnt(0)
	buffer_store_dword v10, off, s[24:27], 0 offset:272 ; 4-byte Folded Spill
	s_nop 0
	buffer_store_dword v11, off, s[24:27], 0 offset:276 ; 4-byte Folded Spill
	buffer_store_dword v12, off, s[24:27], 0 offset:280 ; 4-byte Folded Spill
	buffer_store_dword v13, off, s[24:27], 0 offset:284 ; 4-byte Folded Spill
	global_load_dwordx4 v[10:13], v[34:35], off
	s_waitcnt vmcnt(0)
	buffer_store_dword v10, off, s[24:27], 0 offset:256 ; 4-byte Folded Spill
	s_nop 0
	buffer_store_dword v11, off, s[24:27], 0 offset:260 ; 4-byte Folded Spill
	buffer_store_dword v12, off, s[24:27], 0 offset:264 ; 4-byte Folded Spill
	buffer_store_dword v13, off, s[24:27], 0 offset:268 ; 4-byte Folded Spill
	global_load_dwordx4 v[10:13], v[36:37], off
	s_waitcnt vmcnt(0)
	buffer_store_dword v10, off, s[24:27], 0 offset:240 ; 4-byte Folded Spill
	s_nop 0
	buffer_store_dword v11, off, s[24:27], 0 offset:244 ; 4-byte Folded Spill
	buffer_store_dword v12, off, s[24:27], 0 offset:248 ; 4-byte Folded Spill
	buffer_store_dword v13, off, s[24:27], 0 offset:252 ; 4-byte Folded Spill
	global_load_dwordx4 v[10:13], v[38:39], off
	s_waitcnt vmcnt(0)
	buffer_store_dword v10, off, s[24:27], 0 offset:224 ; 4-byte Folded Spill
	s_nop 0
	buffer_store_dword v11, off, s[24:27], 0 offset:228 ; 4-byte Folded Spill
	buffer_store_dword v12, off, s[24:27], 0 offset:232 ; 4-byte Folded Spill
	buffer_store_dword v13, off, s[24:27], 0 offset:236 ; 4-byte Folded Spill
	global_load_dwordx4 v[10:13], v[40:41], off
	s_waitcnt vmcnt(0)
	buffer_store_dword v10, off, s[24:27], 0 offset:208 ; 4-byte Folded Spill
	s_nop 0
	buffer_store_dword v11, off, s[24:27], 0 offset:212 ; 4-byte Folded Spill
	buffer_store_dword v12, off, s[24:27], 0 offset:216 ; 4-byte Folded Spill
	buffer_store_dword v13, off, s[24:27], 0 offset:220 ; 4-byte Folded Spill
	global_load_dwordx4 v[10:13], v[42:43], off
	s_waitcnt vmcnt(0)
	buffer_store_dword v10, off, s[24:27], 0 offset:192 ; 4-byte Folded Spill
	s_nop 0
	buffer_store_dword v11, off, s[24:27], 0 offset:196 ; 4-byte Folded Spill
	buffer_store_dword v12, off, s[24:27], 0 offset:200 ; 4-byte Folded Spill
	buffer_store_dword v13, off, s[24:27], 0 offset:204 ; 4-byte Folded Spill
	global_load_dwordx4 v[10:13], v[44:45], off
	s_waitcnt vmcnt(0)
	buffer_store_dword v10, off, s[24:27], 0 offset:176 ; 4-byte Folded Spill
	s_nop 0
	buffer_store_dword v11, off, s[24:27], 0 offset:180 ; 4-byte Folded Spill
	buffer_store_dword v12, off, s[24:27], 0 offset:184 ; 4-byte Folded Spill
	buffer_store_dword v13, off, s[24:27], 0 offset:188 ; 4-byte Folded Spill
	global_load_dwordx4 v[10:13], v[46:47], off
	s_waitcnt vmcnt(0)
	buffer_store_dword v10, off, s[24:27], 0 offset:160 ; 4-byte Folded Spill
	s_nop 0
	buffer_store_dword v11, off, s[24:27], 0 offset:164 ; 4-byte Folded Spill
	buffer_store_dword v12, off, s[24:27], 0 offset:168 ; 4-byte Folded Spill
	buffer_store_dword v13, off, s[24:27], 0 offset:172 ; 4-byte Folded Spill
	global_load_dwordx4 v[10:13], v[48:49], off
	s_waitcnt vmcnt(0)
	buffer_store_dword v10, off, s[24:27], 0 offset:144 ; 4-byte Folded Spill
	s_nop 0
	buffer_store_dword v11, off, s[24:27], 0 offset:148 ; 4-byte Folded Spill
	buffer_store_dword v12, off, s[24:27], 0 offset:152 ; 4-byte Folded Spill
	buffer_store_dword v13, off, s[24:27], 0 offset:156 ; 4-byte Folded Spill
	global_load_dwordx4 v[10:13], v[50:51], off
	s_waitcnt vmcnt(0)
	buffer_store_dword v10, off, s[24:27], 0 offset:128 ; 4-byte Folded Spill
	s_nop 0
	buffer_store_dword v11, off, s[24:27], 0 offset:132 ; 4-byte Folded Spill
	buffer_store_dword v12, off, s[24:27], 0 offset:136 ; 4-byte Folded Spill
	buffer_store_dword v13, off, s[24:27], 0 offset:140 ; 4-byte Folded Spill
	global_load_dwordx4 v[10:13], v[52:53], off
	s_waitcnt vmcnt(0)
	buffer_store_dword v10, off, s[24:27], 0 offset:112 ; 4-byte Folded Spill
	s_nop 0
	buffer_store_dword v11, off, s[24:27], 0 offset:116 ; 4-byte Folded Spill
	buffer_store_dword v12, off, s[24:27], 0 offset:120 ; 4-byte Folded Spill
	buffer_store_dword v13, off, s[24:27], 0 offset:124 ; 4-byte Folded Spill
	global_load_dwordx4 v[10:13], v[54:55], off
	s_waitcnt vmcnt(0)
	buffer_store_dword v10, off, s[24:27], 0 offset:96 ; 4-byte Folded Spill
	s_nop 0
	buffer_store_dword v11, off, s[24:27], 0 offset:100 ; 4-byte Folded Spill
	buffer_store_dword v12, off, s[24:27], 0 offset:104 ; 4-byte Folded Spill
	buffer_store_dword v13, off, s[24:27], 0 offset:108 ; 4-byte Folded Spill
	global_load_dwordx4 v[10:13], v[56:57], off
	s_waitcnt vmcnt(0)
	buffer_store_dword v10, off, s[24:27], 0 offset:80 ; 4-byte Folded Spill
	s_nop 0
	buffer_store_dword v11, off, s[24:27], 0 offset:84 ; 4-byte Folded Spill
	buffer_store_dword v12, off, s[24:27], 0 offset:88 ; 4-byte Folded Spill
	buffer_store_dword v13, off, s[24:27], 0 offset:92 ; 4-byte Folded Spill
	global_load_dwordx4 v[10:13], v[58:59], off
	s_waitcnt vmcnt(0)
	buffer_store_dword v10, off, s[24:27], 0 offset:64 ; 4-byte Folded Spill
	s_nop 0
	buffer_store_dword v11, off, s[24:27], 0 offset:68 ; 4-byte Folded Spill
	buffer_store_dword v12, off, s[24:27], 0 offset:72 ; 4-byte Folded Spill
	buffer_store_dword v13, off, s[24:27], 0 offset:76 ; 4-byte Folded Spill
	global_load_dwordx4 v[10:13], v[60:61], off
	s_waitcnt vmcnt(0)
	buffer_store_dword v10, off, s[24:27], 0 offset:48 ; 4-byte Folded Spill
	s_nop 0
	buffer_store_dword v11, off, s[24:27], 0 offset:52 ; 4-byte Folded Spill
	buffer_store_dword v12, off, s[24:27], 0 offset:56 ; 4-byte Folded Spill
	buffer_store_dword v13, off, s[24:27], 0 offset:60 ; 4-byte Folded Spill
	global_load_dwordx4 v[10:13], v[62:63], off
	s_waitcnt vmcnt(0)
	buffer_store_dword v10, off, s[24:27], 0 offset:32 ; 4-byte Folded Spill
	s_nop 0
	buffer_store_dword v11, off, s[24:27], 0 offset:36 ; 4-byte Folded Spill
	buffer_store_dword v12, off, s[24:27], 0 offset:40 ; 4-byte Folded Spill
	buffer_store_dword v13, off, s[24:27], 0 offset:44 ; 4-byte Folded Spill
	global_load_dwordx4 v[10:13], v[64:65], off
	s_waitcnt vmcnt(0)
	buffer_store_dword v10, off, s[24:27], 0 offset:16 ; 4-byte Folded Spill
	s_nop 0
	buffer_store_dword v11, off, s[24:27], 0 offset:20 ; 4-byte Folded Spill
	buffer_store_dword v12, off, s[24:27], 0 offset:24 ; 4-byte Folded Spill
	buffer_store_dword v13, off, s[24:27], 0 offset:28 ; 4-byte Folded Spill
	global_load_dwordx4 v[77:80], v[66:67], off
	global_load_dwordx4 v[113:116], v[68:69], off
	global_load_dwordx4 v[109:112], v[70:71], off
	;; [unrolled: 1-line block ×3, first 2 shown]
	s_nop 0
	global_load_dwordx4 v[10:13], v[74:75], off
	s_waitcnt vmcnt(0)
	buffer_store_dword v10, off, s[24:27], 0 ; 4-byte Folded Spill
	s_nop 0
	buffer_store_dword v11, off, s[24:27], 0 offset:4 ; 4-byte Folded Spill
	buffer_store_dword v12, off, s[24:27], 0 offset:8 ; 4-byte Folded Spill
	;; [unrolled: 1-line block ×3, first 2 shown]
	global_load_dwordx4 v[73:76], v[117:118], off
	global_load_dwordx4 v[69:72], v[119:120], off
	;; [unrolled: 1-line block ×20, first 2 shown]
	s_waitcnt vmcnt(0) lgkmcnt(0)
	s_barrier
	ds_read2_b64 v[117:120], v0 offset1:1
	v_lshlrev_b32_e32 v91, 4, v87
	v_mov_b32_e32 v85, 0
	s_cbranch_scc1 .LBB116_6
; %bb.4:
	v_add3_u32 v86, v91, 0, 16
	s_mov_b32 s0, 1
	v_mov_b32_e32 v85, 0
.LBB116_5:                              ; =>This Inner Loop Header: Depth=1
	s_waitcnt lgkmcnt(0)
	v_cmp_gt_f64_e32 vcc, 0, v[117:118]
	v_xor_b32_e32 v92, 0x80000000, v118
	ds_read2_b64 v[87:90], v86 offset1:1
	v_xor_b32_e32 v94, 0x80000000, v120
	v_add_u32_e32 v86, 16, v86
	s_waitcnt lgkmcnt(0)
	v_xor_b32_e32 v96, 0x80000000, v90
	v_cndmask_b32_e32 v93, v118, v92, vcc
	v_cmp_gt_f64_e32 vcc, 0, v[119:120]
	v_mov_b32_e32 v92, v117
	v_cndmask_b32_e32 v95, v120, v94, vcc
	v_cmp_gt_f64_e32 vcc, 0, v[87:88]
	v_mov_b32_e32 v94, v119
	v_add_f64 v[92:93], v[92:93], v[94:95]
	v_xor_b32_e32 v94, 0x80000000, v88
	v_cndmask_b32_e32 v95, v88, v94, vcc
	v_cmp_gt_f64_e32 vcc, 0, v[89:90]
	v_mov_b32_e32 v94, v87
	v_cndmask_b32_e32 v97, v90, v96, vcc
	v_mov_b32_e32 v96, v89
	v_add_f64 v[94:95], v[94:95], v[96:97]
	v_cmp_lt_f64_e32 vcc, v[92:93], v[94:95]
	v_cndmask_b32_e32 v117, v117, v87, vcc
	v_mov_b32_e32 v87, s0
	s_add_i32 s0, s0, 1
	v_cndmask_b32_e32 v118, v118, v88, vcc
	v_cndmask_b32_e32 v120, v120, v90, vcc
	;; [unrolled: 1-line block ×4, first 2 shown]
	s_cmp_eq_u32 s3, s0
	s_cbranch_scc0 .LBB116_5
.LBB116_6:
	s_waitcnt lgkmcnt(0)
	v_cmp_neq_f64_e32 vcc, 0, v[117:118]
	v_cmp_neq_f64_e64 s[0:1], 0, v[119:120]
	v_mov_b32_e32 v84, v80
	v_mov_b32_e32 v83, v79
	;; [unrolled: 1-line block ×7, first 2 shown]
	s_or_b64 s[18:19], vcc, s[0:1]
	s_and_saveexec_b64 s[0:1], s[18:19]
	s_cbranch_execz .LBB116_12
; %bb.7:
	v_cmp_ngt_f64_e64 s[18:19], |v[117:118]|, |v[119:120]|
	s_and_saveexec_b64 s[20:21], s[18:19]
	s_xor_b64 s[18:19], exec, s[20:21]
	s_cbranch_execz .LBB116_9
; %bb.8:
	v_div_scale_f64 v[86:87], s[20:21], v[119:120], v[119:120], v[117:118]
	v_rcp_f64_e32 v[88:89], v[86:87]
	v_fma_f64 v[92:93], -v[86:87], v[88:89], 1.0
	v_fma_f64 v[88:89], v[88:89], v[92:93], v[88:89]
	v_div_scale_f64 v[92:93], vcc, v[117:118], v[119:120], v[117:118]
	v_fma_f64 v[94:95], -v[86:87], v[88:89], 1.0
	v_fma_f64 v[88:89], v[88:89], v[94:95], v[88:89]
	v_mul_f64 v[94:95], v[92:93], v[88:89]
	v_fma_f64 v[86:87], -v[86:87], v[94:95], v[92:93]
	v_div_fmas_f64 v[86:87], v[86:87], v[88:89], v[94:95]
	v_div_fixup_f64 v[86:87], v[86:87], v[119:120], v[117:118]
	v_fma_f64 v[88:89], v[117:118], v[86:87], v[119:120]
	v_div_scale_f64 v[92:93], s[20:21], v[88:89], v[88:89], 1.0
	v_div_scale_f64 v[98:99], vcc, 1.0, v[88:89], 1.0
	v_rcp_f64_e32 v[94:95], v[92:93]
	v_fma_f64 v[96:97], -v[92:93], v[94:95], 1.0
	v_fma_f64 v[94:95], v[94:95], v[96:97], v[94:95]
	v_fma_f64 v[96:97], -v[92:93], v[94:95], 1.0
	v_fma_f64 v[94:95], v[94:95], v[96:97], v[94:95]
	v_mul_f64 v[96:97], v[98:99], v[94:95]
	v_fma_f64 v[92:93], -v[92:93], v[96:97], v[98:99]
	v_div_fmas_f64 v[92:93], v[92:93], v[94:95], v[96:97]
	v_div_fixup_f64 v[119:120], v[92:93], v[88:89], 1.0
	v_mov_b32_e32 v89, v127
	v_mul_f64 v[117:118], v[86:87], v[119:120]
	v_xor_b32_e32 v120, 0x80000000, v120
.LBB116_9:
	s_andn2_saveexec_b64 s[18:19], s[18:19]
	s_cbranch_execz .LBB116_11
; %bb.10:
	v_div_scale_f64 v[86:87], s[20:21], v[117:118], v[117:118], v[119:120]
	v_rcp_f64_e32 v[88:89], v[86:87]
	v_fma_f64 v[92:93], -v[86:87], v[88:89], 1.0
	v_fma_f64 v[88:89], v[88:89], v[92:93], v[88:89]
	v_div_scale_f64 v[92:93], vcc, v[119:120], v[117:118], v[119:120]
	v_fma_f64 v[94:95], -v[86:87], v[88:89], 1.0
	v_fma_f64 v[88:89], v[88:89], v[94:95], v[88:89]
	v_mul_f64 v[94:95], v[92:93], v[88:89]
	v_fma_f64 v[86:87], -v[86:87], v[94:95], v[92:93]
	v_div_fmas_f64 v[86:87], v[86:87], v[88:89], v[94:95]
	v_div_fixup_f64 v[86:87], v[86:87], v[117:118], v[119:120]
	v_fma_f64 v[88:89], v[119:120], v[86:87], v[117:118]
	v_div_scale_f64 v[92:93], s[20:21], v[88:89], v[88:89], 1.0
	v_div_scale_f64 v[98:99], vcc, 1.0, v[88:89], 1.0
	v_rcp_f64_e32 v[94:95], v[92:93]
	v_fma_f64 v[96:97], -v[92:93], v[94:95], 1.0
	v_fma_f64 v[94:95], v[94:95], v[96:97], v[94:95]
	v_fma_f64 v[96:97], -v[92:93], v[94:95], 1.0
	v_fma_f64 v[94:95], v[94:95], v[96:97], v[94:95]
	v_mul_f64 v[96:97], v[98:99], v[94:95]
	v_fma_f64 v[92:93], -v[92:93], v[96:97], v[98:99]
	v_div_fmas_f64 v[92:93], v[92:93], v[94:95], v[96:97]
	v_div_fixup_f64 v[117:118], v[92:93], v[88:89], 1.0
	v_mov_b32_e32 v89, v127
	v_mul_f64 v[119:120], v[86:87], -v[117:118]
.LBB116_11:
	s_or_b64 exec, exec, s[18:19]
	v_mov_b32_e32 v92, 0
	v_mov_b32_e32 v90, 2
.LBB116_12:
	s_or_b64 exec, exec, s[0:1]
	v_cmp_ne_u32_e32 vcc, v89, v85
	s_and_saveexec_b64 s[0:1], vcc
	s_xor_b64 s[0:1], exec, s[0:1]
	s_cbranch_execz .LBB116_18
; %bb.13:
	v_cmp_eq_u32_e32 vcc, 0, v89
	s_and_saveexec_b64 s[18:19], vcc
	s_cbranch_execz .LBB116_17
; %bb.14:
	v_cmp_ne_u32_e32 vcc, 0, v85
	s_xor_b64 s[20:21], s[6:7], -1
	s_and_b64 s[22:23], s[20:21], vcc
	s_and_saveexec_b64 s[20:21], s[22:23]
	s_cbranch_execz .LBB116_16
; %bb.15:
	buffer_load_dword v81, off, s[24:27], 0 offset:500 ; 4-byte Folded Reload
	buffer_load_dword v82, off, s[24:27], 0 offset:504 ; 4-byte Folded Reload
	v_ashrrev_i32_e32 v86, 31, v85
	v_lshlrev_b64 v[86:87], 2, v[85:86]
	s_waitcnt vmcnt(1)
	v_add_co_u32_e32 v86, vcc, v81, v86
	s_waitcnt vmcnt(0)
	v_addc_co_u32_e32 v87, vcc, v82, v87, vcc
	global_load_dword v88, v[86:87], off
	global_load_dword v89, v[81:82], off
	s_waitcnt vmcnt(1)
	global_store_dword v[81:82], v88, off
	v_mov_b32_e32 v84, v80
	v_mov_b32_e32 v83, v79
	;; [unrolled: 1-line block ×4, first 2 shown]
	s_waitcnt vmcnt(1)
	global_store_dword v[86:87], v89, off
.LBB116_16:
	s_or_b64 exec, exec, s[20:21]
	v_mov_b32_e32 v89, v85
.LBB116_17:
	s_or_b64 exec, exec, s[18:19]
.LBB116_18:
	s_or_saveexec_b64 s[0:1], s[0:1]
	buffer_store_dword v89, off, s[24:27], 0 offset:432 ; 4-byte Folded Spill
	s_xor_b64 exec, exec, s[0:1]
	s_cbranch_execz .LBB116_20
; %bb.19:
	buffer_load_dword v77, off, s[24:27], 0 offset:540 ; 4-byte Folded Reload
	buffer_load_dword v78, off, s[24:27], 0 offset:544 ; 4-byte Folded Reload
	;; [unrolled: 1-line block ×4, first 2 shown]
	v_mov_b32_e32 v89, 0
	s_waitcnt vmcnt(0)
	ds_write2_b64 v0, v[77:78], v[79:80] offset0:2 offset1:3
	buffer_load_dword v77, off, s[24:27], 0 offset:524 ; 4-byte Folded Reload
	buffer_load_dword v78, off, s[24:27], 0 offset:528 ; 4-byte Folded Reload
	buffer_load_dword v79, off, s[24:27], 0 offset:532 ; 4-byte Folded Reload
	buffer_load_dword v80, off, s[24:27], 0 offset:536 ; 4-byte Folded Reload
	s_waitcnt vmcnt(0)
	ds_write2_b64 v0, v[77:78], v[79:80] offset0:4 offset1:5
	buffer_load_dword v77, off, s[24:27], 0 offset:508 ; 4-byte Folded Reload
	buffer_load_dword v78, off, s[24:27], 0 offset:512 ; 4-byte Folded Reload
	buffer_load_dword v79, off, s[24:27], 0 offset:516 ; 4-byte Folded Reload
	buffer_load_dword v80, off, s[24:27], 0 offset:520 ; 4-byte Folded Reload
	;; [unrolled: 6-line block ×32, first 2 shown]
	s_waitcnt vmcnt(0)
	ds_write2_b64 v0, v[77:78], v[79:80] offset0:66 offset1:67
	ds_write2_b64 v0, v[81:82], v[83:84] offset0:68 offset1:69
	ds_write2_b64 v0, v[113:114], v[115:116] offset0:70 offset1:71
	ds_write2_b64 v0, v[109:110], v[111:112] offset0:72 offset1:73
	ds_write2_b64 v0, v[105:106], v[107:108] offset0:74 offset1:75
	buffer_load_dword v77, off, s[24:27], 0 ; 4-byte Folded Reload
	buffer_load_dword v78, off, s[24:27], 0 offset:4 ; 4-byte Folded Reload
	buffer_load_dword v79, off, s[24:27], 0 offset:8 ; 4-byte Folded Reload
	;; [unrolled: 1-line block ×3, first 2 shown]
	s_waitcnt vmcnt(0)
	ds_write2_b64 v0, v[77:78], v[79:80] offset0:76 offset1:77
	ds_write2_b64 v0, v[73:74], v[75:76] offset0:78 offset1:79
	;; [unrolled: 1-line block ×21, first 2 shown]
.LBB116_20:
	s_or_b64 exec, exec, s[0:1]
	v_cmp_lt_i32_e32 vcc, 0, v89
	s_waitcnt vmcnt(0) lgkmcnt(0)
	s_barrier
	s_and_saveexec_b64 s[0:1], vcc
	s_cbranch_execz .LBB116_22
; %bb.21:
	buffer_load_dword v95, off, s[24:27], 0 offset:556 ; 4-byte Folded Reload
	buffer_load_dword v96, off, s[24:27], 0 offset:560 ; 4-byte Folded Reload
	;; [unrolled: 1-line block ×4, first 2 shown]
	s_waitcnt vmcnt(0)
	v_mul_f64 v[85:86], v[119:120], v[97:98]
	v_fma_f64 v[125:126], v[117:118], v[95:96], -v[85:86]
	v_mul_f64 v[85:86], v[117:118], v[97:98]
	v_fma_f64 v[97:98], v[119:120], v[95:96], v[85:86]
	ds_read2_b64 v[85:88], v0 offset0:2 offset1:3
	buffer_load_dword v77, off, s[24:27], 0 offset:540 ; 4-byte Folded Reload
	buffer_load_dword v78, off, s[24:27], 0 offset:544 ; 4-byte Folded Reload
	buffer_load_dword v79, off, s[24:27], 0 offset:548 ; 4-byte Folded Reload
	buffer_load_dword v80, off, s[24:27], 0 offset:552 ; 4-byte Folded Reload
	s_waitcnt lgkmcnt(0)
	v_mul_f64 v[93:94], v[87:88], v[97:98]
	v_fma_f64 v[93:94], v[85:86], v[125:126], -v[93:94]
	v_mul_f64 v[85:86], v[85:86], v[97:98]
	v_fma_f64 v[85:86], v[87:88], v[125:126], v[85:86]
	s_waitcnt vmcnt(2)
	v_add_f64 v[77:78], v[77:78], -v[93:94]
	s_waitcnt vmcnt(0)
	v_add_f64 v[79:80], v[79:80], -v[85:86]
	buffer_store_dword v77, off, s[24:27], 0 offset:540 ; 4-byte Folded Spill
	s_nop 0
	buffer_store_dword v78, off, s[24:27], 0 offset:544 ; 4-byte Folded Spill
	buffer_store_dword v79, off, s[24:27], 0 offset:548 ; 4-byte Folded Spill
	buffer_store_dword v80, off, s[24:27], 0 offset:552 ; 4-byte Folded Spill
	ds_read2_b64 v[85:88], v0 offset0:4 offset1:5
	buffer_load_dword v77, off, s[24:27], 0 offset:524 ; 4-byte Folded Reload
	buffer_load_dword v78, off, s[24:27], 0 offset:528 ; 4-byte Folded Reload
	buffer_load_dword v79, off, s[24:27], 0 offset:532 ; 4-byte Folded Reload
	buffer_load_dword v80, off, s[24:27], 0 offset:536 ; 4-byte Folded Reload
	s_waitcnt lgkmcnt(0)
	v_mul_f64 v[93:94], v[87:88], v[97:98]
	v_fma_f64 v[93:94], v[85:86], v[125:126], -v[93:94]
	v_mul_f64 v[85:86], v[85:86], v[97:98]
	v_fma_f64 v[85:86], v[87:88], v[125:126], v[85:86]
	s_waitcnt vmcnt(2)
	v_add_f64 v[77:78], v[77:78], -v[93:94]
	s_waitcnt vmcnt(0)
	v_add_f64 v[79:80], v[79:80], -v[85:86]
	buffer_store_dword v77, off, s[24:27], 0 offset:524 ; 4-byte Folded Spill
	s_nop 0
	buffer_store_dword v78, off, s[24:27], 0 offset:528 ; 4-byte Folded Spill
	buffer_store_dword v79, off, s[24:27], 0 offset:532 ; 4-byte Folded Spill
	buffer_store_dword v80, off, s[24:27], 0 offset:536 ; 4-byte Folded Spill
	;; [unrolled: 19-line block ×33, first 2 shown]
	ds_read2_b64 v[85:88], v0 offset0:68 offset1:69
	s_waitcnt lgkmcnt(0)
	v_mul_f64 v[93:94], v[87:88], v[97:98]
	v_fma_f64 v[93:94], v[85:86], v[125:126], -v[93:94]
	v_mul_f64 v[85:86], v[85:86], v[97:98]
	v_add_f64 v[81:82], v[81:82], -v[93:94]
	v_fma_f64 v[85:86], v[87:88], v[125:126], v[85:86]
	v_add_f64 v[83:84], v[83:84], -v[85:86]
	ds_read2_b64 v[85:88], v0 offset0:70 offset1:71
	s_waitcnt lgkmcnt(0)
	v_mul_f64 v[93:94], v[87:88], v[97:98]
	v_fma_f64 v[93:94], v[85:86], v[125:126], -v[93:94]
	v_mul_f64 v[85:86], v[85:86], v[97:98]
	v_add_f64 v[113:114], v[113:114], -v[93:94]
	v_fma_f64 v[85:86], v[87:88], v[125:126], v[85:86]
	v_add_f64 v[115:116], v[115:116], -v[85:86]
	;; [unrolled: 8-line block ×4, first 2 shown]
	ds_read2_b64 v[85:88], v0 offset0:76 offset1:77
	buffer_load_dword v77, off, s[24:27], 0 ; 4-byte Folded Reload
	buffer_load_dword v78, off, s[24:27], 0 offset:4 ; 4-byte Folded Reload
	buffer_load_dword v79, off, s[24:27], 0 offset:8 ; 4-byte Folded Reload
	;; [unrolled: 1-line block ×3, first 2 shown]
	s_waitcnt lgkmcnt(0)
	v_mul_f64 v[93:94], v[87:88], v[97:98]
	v_fma_f64 v[93:94], v[85:86], v[125:126], -v[93:94]
	v_mul_f64 v[85:86], v[85:86], v[97:98]
	v_fma_f64 v[85:86], v[87:88], v[125:126], v[85:86]
	s_waitcnt vmcnt(2)
	v_add_f64 v[77:78], v[77:78], -v[93:94]
	s_waitcnt vmcnt(0)
	v_add_f64 v[79:80], v[79:80], -v[85:86]
	buffer_store_dword v77, off, s[24:27], 0 ; 4-byte Folded Spill
	s_nop 0
	buffer_store_dword v78, off, s[24:27], 0 offset:4 ; 4-byte Folded Spill
	buffer_store_dword v79, off, s[24:27], 0 offset:8 ; 4-byte Folded Spill
	;; [unrolled: 1-line block ×3, first 2 shown]
	ds_read2_b64 v[85:88], v0 offset0:78 offset1:79
	s_waitcnt lgkmcnt(0)
	v_mul_f64 v[93:94], v[87:88], v[97:98]
	v_fma_f64 v[93:94], v[85:86], v[125:126], -v[93:94]
	v_mul_f64 v[85:86], v[85:86], v[97:98]
	v_add_f64 v[73:74], v[73:74], -v[93:94]
	v_fma_f64 v[85:86], v[87:88], v[125:126], v[85:86]
	v_add_f64 v[75:76], v[75:76], -v[85:86]
	ds_read2_b64 v[85:88], v0 offset0:80 offset1:81
	s_waitcnt lgkmcnt(0)
	v_mul_f64 v[93:94], v[87:88], v[97:98]
	v_fma_f64 v[93:94], v[85:86], v[125:126], -v[93:94]
	v_mul_f64 v[85:86], v[85:86], v[97:98]
	v_add_f64 v[69:70], v[69:70], -v[93:94]
	v_fma_f64 v[85:86], v[87:88], v[125:126], v[85:86]
	v_add_f64 v[71:72], v[71:72], -v[85:86]
	;; [unrolled: 8-line block ×18, first 2 shown]
	ds_read2_b64 v[85:88], v0 offset0:114 offset1:115
	s_waitcnt lgkmcnt(0)
	v_mul_f64 v[93:94], v[87:88], v[97:98]
	v_fma_f64 v[93:94], v[85:86], v[125:126], -v[93:94]
	v_mul_f64 v[85:86], v[85:86], v[97:98]
	v_add_f64 v[1:2], v[1:2], -v[93:94]
	v_fma_f64 v[85:86], v[87:88], v[125:126], v[85:86]
	ds_read2_b64 v[93:96], v0 offset0:116 offset1:117
	s_waitcnt lgkmcnt(0)
	v_mul_f64 v[87:88], v[93:94], v[97:98]
	v_add_f64 v[3:4], v[3:4], -v[85:86]
	v_mul_f64 v[85:86], v[95:96], v[97:98]
	v_fma_f64 v[87:88], v[95:96], v[125:126], v[87:88]
	v_mov_b32_e32 v95, v125
	v_mov_b32_e32 v96, v126
	v_fma_f64 v[85:86], v[93:94], v[125:126], -v[85:86]
	buffer_store_dword v95, off, s[24:27], 0 offset:556 ; 4-byte Folded Spill
	s_nop 0
	buffer_store_dword v96, off, s[24:27], 0 offset:560 ; 4-byte Folded Spill
	buffer_store_dword v97, off, s[24:27], 0 offset:564 ; 4-byte Folded Spill
	;; [unrolled: 1-line block ×3, first 2 shown]
	v_add_f64 v[123:124], v[123:124], -v[87:88]
	v_add_f64 v[121:122], v[121:122], -v[85:86]
.LBB116_22:
	s_or_b64 exec, exec, s[0:1]
	s_waitcnt vmcnt(0)
	s_barrier
	buffer_load_dword v77, off, s[24:27], 0 offset:540 ; 4-byte Folded Reload
	buffer_load_dword v78, off, s[24:27], 0 offset:544 ; 4-byte Folded Reload
	;; [unrolled: 1-line block ×4, first 2 shown]
	v_lshl_add_u32 v85, v89, 4, v0
	s_cmp_lt_i32 s3, 3
	s_waitcnt vmcnt(0)
	ds_write2_b64 v85, v[77:78], v[79:80] offset1:1
	s_waitcnt lgkmcnt(0)
	s_barrier
	ds_read2_b64 v[117:120], v0 offset0:2 offset1:3
	v_mov_b32_e32 v85, 1
	s_cbranch_scc1 .LBB116_25
; %bb.23:
	v_add3_u32 v86, v91, 0, 32
	s_mov_b32 s0, 2
	v_mov_b32_e32 v85, 1
.LBB116_24:                             ; =>This Inner Loop Header: Depth=1
	s_waitcnt lgkmcnt(0)
	v_cmp_gt_f64_e32 vcc, 0, v[117:118]
	v_xor_b32_e32 v87, 0x80000000, v118
	ds_read2_b64 v[93:96], v86 offset1:1
	v_xor_b32_e32 v97, 0x80000000, v120
	v_add_u32_e32 v86, 16, v86
	s_waitcnt lgkmcnt(0)
	v_xor_b32_e32 v99, 0x80000000, v96
	v_cndmask_b32_e32 v88, v118, v87, vcc
	v_cmp_gt_f64_e32 vcc, 0, v[119:120]
	v_mov_b32_e32 v87, v117
	v_cndmask_b32_e32 v98, v120, v97, vcc
	v_cmp_gt_f64_e32 vcc, 0, v[93:94]
	v_mov_b32_e32 v97, v119
	v_add_f64 v[87:88], v[87:88], v[97:98]
	v_xor_b32_e32 v97, 0x80000000, v94
	v_cndmask_b32_e32 v98, v94, v97, vcc
	v_cmp_gt_f64_e32 vcc, 0, v[95:96]
	v_mov_b32_e32 v97, v93
	v_cndmask_b32_e32 v100, v96, v99, vcc
	v_mov_b32_e32 v99, v95
	v_add_f64 v[97:98], v[97:98], v[99:100]
	v_cmp_lt_f64_e32 vcc, v[87:88], v[97:98]
	v_mov_b32_e32 v87, s0
	s_add_i32 s0, s0, 1
	s_cmp_lg_u32 s3, s0
	v_cndmask_b32_e32 v118, v118, v94, vcc
	v_cndmask_b32_e32 v117, v117, v93, vcc
	;; [unrolled: 1-line block ×5, first 2 shown]
	s_cbranch_scc1 .LBB116_24
.LBB116_25:
	s_waitcnt lgkmcnt(0)
	v_cmp_neq_f64_e32 vcc, 0, v[117:118]
	v_cmp_neq_f64_e64 s[0:1], 0, v[119:120]
	s_or_b64 s[18:19], vcc, s[0:1]
	s_and_saveexec_b64 s[0:1], s[18:19]
	s_cbranch_execz .LBB116_31
; %bb.26:
	v_cmp_ngt_f64_e64 s[18:19], |v[117:118]|, |v[119:120]|
	s_and_saveexec_b64 s[20:21], s[18:19]
	s_xor_b64 s[18:19], exec, s[20:21]
	s_cbranch_execz .LBB116_28
; %bb.27:
	v_div_scale_f64 v[86:87], s[20:21], v[119:120], v[119:120], v[117:118]
	v_rcp_f64_e32 v[93:94], v[86:87]
	v_fma_f64 v[95:96], -v[86:87], v[93:94], 1.0
	v_fma_f64 v[93:94], v[93:94], v[95:96], v[93:94]
	v_div_scale_f64 v[95:96], vcc, v[117:118], v[119:120], v[117:118]
	v_fma_f64 v[97:98], -v[86:87], v[93:94], 1.0
	v_fma_f64 v[93:94], v[93:94], v[97:98], v[93:94]
	v_mul_f64 v[97:98], v[95:96], v[93:94]
	v_fma_f64 v[86:87], -v[86:87], v[97:98], v[95:96]
	v_div_fmas_f64 v[86:87], v[86:87], v[93:94], v[97:98]
	v_div_fixup_f64 v[86:87], v[86:87], v[119:120], v[117:118]
	v_fma_f64 v[93:94], v[117:118], v[86:87], v[119:120]
	v_div_scale_f64 v[95:96], s[20:21], v[93:94], v[93:94], 1.0
	v_div_scale_f64 v[101:102], vcc, 1.0, v[93:94], 1.0
	v_rcp_f64_e32 v[97:98], v[95:96]
	v_fma_f64 v[99:100], -v[95:96], v[97:98], 1.0
	v_fma_f64 v[97:98], v[97:98], v[99:100], v[97:98]
	v_fma_f64 v[99:100], -v[95:96], v[97:98], 1.0
	v_fma_f64 v[97:98], v[97:98], v[99:100], v[97:98]
	v_mul_f64 v[99:100], v[101:102], v[97:98]
	v_fma_f64 v[95:96], -v[95:96], v[99:100], v[101:102]
	v_div_fmas_f64 v[95:96], v[95:96], v[97:98], v[99:100]
	v_div_fixup_f64 v[119:120], v[95:96], v[93:94], 1.0
	v_mul_f64 v[117:118], v[86:87], v[119:120]
	v_xor_b32_e32 v120, 0x80000000, v120
.LBB116_28:
	s_andn2_saveexec_b64 s[18:19], s[18:19]
	s_cbranch_execz .LBB116_30
; %bb.29:
	v_div_scale_f64 v[86:87], s[20:21], v[117:118], v[117:118], v[119:120]
	v_rcp_f64_e32 v[93:94], v[86:87]
	v_fma_f64 v[95:96], -v[86:87], v[93:94], 1.0
	v_fma_f64 v[93:94], v[93:94], v[95:96], v[93:94]
	v_div_scale_f64 v[95:96], vcc, v[119:120], v[117:118], v[119:120]
	v_fma_f64 v[97:98], -v[86:87], v[93:94], 1.0
	v_fma_f64 v[93:94], v[93:94], v[97:98], v[93:94]
	v_mul_f64 v[97:98], v[95:96], v[93:94]
	v_fma_f64 v[86:87], -v[86:87], v[97:98], v[95:96]
	v_div_fmas_f64 v[86:87], v[86:87], v[93:94], v[97:98]
	v_div_fixup_f64 v[86:87], v[86:87], v[117:118], v[119:120]
	v_fma_f64 v[93:94], v[119:120], v[86:87], v[117:118]
	v_div_scale_f64 v[95:96], s[20:21], v[93:94], v[93:94], 1.0
	v_div_scale_f64 v[101:102], vcc, 1.0, v[93:94], 1.0
	v_rcp_f64_e32 v[97:98], v[95:96]
	v_fma_f64 v[99:100], -v[95:96], v[97:98], 1.0
	v_fma_f64 v[97:98], v[97:98], v[99:100], v[97:98]
	v_fma_f64 v[99:100], -v[95:96], v[97:98], 1.0
	v_fma_f64 v[97:98], v[97:98], v[99:100], v[97:98]
	v_mul_f64 v[99:100], v[101:102], v[97:98]
	v_fma_f64 v[95:96], -v[95:96], v[99:100], v[101:102]
	v_div_fmas_f64 v[95:96], v[95:96], v[97:98], v[99:100]
	v_div_fixup_f64 v[117:118], v[95:96], v[93:94], 1.0
	v_mul_f64 v[119:120], v[86:87], -v[117:118]
.LBB116_30:
	s_or_b64 exec, exec, s[18:19]
	v_mov_b32_e32 v90, v92
.LBB116_31:
	s_or_b64 exec, exec, s[0:1]
	v_cmp_ne_u32_e32 vcc, v89, v85
	s_and_saveexec_b64 s[0:1], vcc
	s_xor_b64 s[0:1], exec, s[0:1]
	s_cbranch_execz .LBB116_37
; %bb.32:
	v_cmp_eq_u32_e32 vcc, 1, v89
	s_and_saveexec_b64 s[18:19], vcc
	s_cbranch_execz .LBB116_36
; %bb.33:
	v_cmp_ne_u32_e32 vcc, 1, v85
	s_xor_b64 s[20:21], s[6:7], -1
	s_and_b64 s[22:23], s[20:21], vcc
	s_and_saveexec_b64 s[20:21], s[22:23]
	s_cbranch_execz .LBB116_35
; %bb.34:
	v_mov_b32_e32 v77, v81
	v_mov_b32_e32 v78, v82
	;; [unrolled: 1-line block ×4, first 2 shown]
	buffer_load_dword v81, off, s[24:27], 0 offset:500 ; 4-byte Folded Reload
	buffer_load_dword v82, off, s[24:27], 0 offset:504 ; 4-byte Folded Reload
	v_ashrrev_i32_e32 v86, 31, v85
	v_lshlrev_b64 v[86:87], 2, v[85:86]
	s_waitcnt vmcnt(1)
	v_add_co_u32_e32 v86, vcc, v81, v86
	s_waitcnt vmcnt(0)
	v_addc_co_u32_e32 v87, vcc, v82, v87, vcc
	global_load_dword v88, v[86:87], off
	global_load_dword v89, v[81:82], off offset:4
	s_waitcnt vmcnt(1)
	global_store_dword v[81:82], v88, off offset:4
	v_mov_b32_e32 v84, v80
	v_mov_b32_e32 v83, v79
	;; [unrolled: 1-line block ×4, first 2 shown]
	s_waitcnt vmcnt(1)
	global_store_dword v[86:87], v89, off
.LBB116_35:
	s_or_b64 exec, exec, s[20:21]
	v_mov_b32_e32 v89, v85
	v_mov_b32_e32 v77, v85
	buffer_store_dword v77, off, s[24:27], 0 offset:432 ; 4-byte Folded Spill
.LBB116_36:
	s_or_b64 exec, exec, s[18:19]
.LBB116_37:
	s_andn2_saveexec_b64 s[0:1], s[0:1]
	s_cbranch_execz .LBB116_39
; %bb.38:
	buffer_load_dword v77, off, s[24:27], 0 offset:524 ; 4-byte Folded Reload
	buffer_load_dword v78, off, s[24:27], 0 offset:528 ; 4-byte Folded Reload
	;; [unrolled: 1-line block ×4, first 2 shown]
	v_mov_b32_e32 v89, 1
	s_waitcnt vmcnt(0)
	ds_write2_b64 v0, v[77:78], v[79:80] offset0:4 offset1:5
	buffer_load_dword v77, off, s[24:27], 0 offset:508 ; 4-byte Folded Reload
	buffer_load_dword v78, off, s[24:27], 0 offset:512 ; 4-byte Folded Reload
	buffer_load_dword v79, off, s[24:27], 0 offset:516 ; 4-byte Folded Reload
	buffer_load_dword v80, off, s[24:27], 0 offset:520 ; 4-byte Folded Reload
	s_waitcnt vmcnt(0)
	ds_write2_b64 v0, v[77:78], v[79:80] offset0:6 offset1:7
	buffer_load_dword v77, off, s[24:27], 0 offset:484 ; 4-byte Folded Reload
	buffer_load_dword v78, off, s[24:27], 0 offset:488 ; 4-byte Folded Reload
	buffer_load_dword v79, off, s[24:27], 0 offset:492 ; 4-byte Folded Reload
	buffer_load_dword v80, off, s[24:27], 0 offset:496 ; 4-byte Folded Reload
	;; [unrolled: 6-line block ×31, first 2 shown]
	s_waitcnt vmcnt(0)
	ds_write2_b64 v0, v[77:78], v[79:80] offset0:66 offset1:67
	ds_write2_b64 v0, v[81:82], v[83:84] offset0:68 offset1:69
	ds_write2_b64 v0, v[113:114], v[115:116] offset0:70 offset1:71
	ds_write2_b64 v0, v[109:110], v[111:112] offset0:72 offset1:73
	ds_write2_b64 v0, v[105:106], v[107:108] offset0:74 offset1:75
	buffer_load_dword v77, off, s[24:27], 0 ; 4-byte Folded Reload
	buffer_load_dword v78, off, s[24:27], 0 offset:4 ; 4-byte Folded Reload
	buffer_load_dword v79, off, s[24:27], 0 offset:8 ; 4-byte Folded Reload
	;; [unrolled: 1-line block ×3, first 2 shown]
	s_waitcnt vmcnt(0)
	ds_write2_b64 v0, v[77:78], v[79:80] offset0:76 offset1:77
	ds_write2_b64 v0, v[73:74], v[75:76] offset0:78 offset1:79
	;; [unrolled: 1-line block ×21, first 2 shown]
.LBB116_39:
	s_or_b64 exec, exec, s[0:1]
	v_cmp_lt_i32_e32 vcc, 1, v89
	s_waitcnt vmcnt(0) lgkmcnt(0)
	s_barrier
	s_and_saveexec_b64 s[0:1], vcc
	s_cbranch_execz .LBB116_41
; %bb.40:
	buffer_load_dword v94, off, s[24:27], 0 offset:540 ; 4-byte Folded Reload
	buffer_load_dword v95, off, s[24:27], 0 offset:544 ; 4-byte Folded Reload
	;; [unrolled: 1-line block ×4, first 2 shown]
	s_waitcnt vmcnt(0)
	v_mul_f64 v[85:86], v[119:120], v[96:97]
	v_fma_f64 v[125:126], v[117:118], v[94:95], -v[85:86]
	v_mul_f64 v[85:86], v[117:118], v[96:97]
	v_fma_f64 v[96:97], v[119:120], v[94:95], v[85:86]
	ds_read2_b64 v[85:88], v0 offset0:4 offset1:5
	buffer_load_dword v77, off, s[24:27], 0 offset:524 ; 4-byte Folded Reload
	buffer_load_dword v78, off, s[24:27], 0 offset:528 ; 4-byte Folded Reload
	buffer_load_dword v79, off, s[24:27], 0 offset:532 ; 4-byte Folded Reload
	buffer_load_dword v80, off, s[24:27], 0 offset:536 ; 4-byte Folded Reload
	s_waitcnt lgkmcnt(0)
	v_mul_f64 v[92:93], v[87:88], v[96:97]
	v_fma_f64 v[92:93], v[85:86], v[125:126], -v[92:93]
	v_mul_f64 v[85:86], v[85:86], v[96:97]
	v_fma_f64 v[85:86], v[87:88], v[125:126], v[85:86]
	s_waitcnt vmcnt(2)
	v_add_f64 v[77:78], v[77:78], -v[92:93]
	s_waitcnt vmcnt(0)
	v_add_f64 v[79:80], v[79:80], -v[85:86]
	buffer_store_dword v77, off, s[24:27], 0 offset:524 ; 4-byte Folded Spill
	s_nop 0
	buffer_store_dword v78, off, s[24:27], 0 offset:528 ; 4-byte Folded Spill
	buffer_store_dword v79, off, s[24:27], 0 offset:532 ; 4-byte Folded Spill
	buffer_store_dword v80, off, s[24:27], 0 offset:536 ; 4-byte Folded Spill
	ds_read2_b64 v[85:88], v0 offset0:6 offset1:7
	buffer_load_dword v77, off, s[24:27], 0 offset:508 ; 4-byte Folded Reload
	buffer_load_dword v78, off, s[24:27], 0 offset:512 ; 4-byte Folded Reload
	buffer_load_dword v79, off, s[24:27], 0 offset:516 ; 4-byte Folded Reload
	buffer_load_dword v80, off, s[24:27], 0 offset:520 ; 4-byte Folded Reload
	s_waitcnt lgkmcnt(0)
	v_mul_f64 v[92:93], v[87:88], v[96:97]
	v_fma_f64 v[92:93], v[85:86], v[125:126], -v[92:93]
	v_mul_f64 v[85:86], v[85:86], v[96:97]
	v_fma_f64 v[85:86], v[87:88], v[125:126], v[85:86]
	s_waitcnt vmcnt(2)
	v_add_f64 v[77:78], v[77:78], -v[92:93]
	s_waitcnt vmcnt(0)
	v_add_f64 v[79:80], v[79:80], -v[85:86]
	buffer_store_dword v77, off, s[24:27], 0 offset:508 ; 4-byte Folded Spill
	s_nop 0
	buffer_store_dword v78, off, s[24:27], 0 offset:512 ; 4-byte Folded Spill
	buffer_store_dword v79, off, s[24:27], 0 offset:516 ; 4-byte Folded Spill
	buffer_store_dword v80, off, s[24:27], 0 offset:520 ; 4-byte Folded Spill
	;; [unrolled: 19-line block ×32, first 2 shown]
	ds_read2_b64 v[85:88], v0 offset0:68 offset1:69
	s_waitcnt lgkmcnt(0)
	v_mul_f64 v[92:93], v[87:88], v[96:97]
	v_fma_f64 v[92:93], v[85:86], v[125:126], -v[92:93]
	v_mul_f64 v[85:86], v[85:86], v[96:97]
	v_add_f64 v[81:82], v[81:82], -v[92:93]
	v_fma_f64 v[85:86], v[87:88], v[125:126], v[85:86]
	v_add_f64 v[83:84], v[83:84], -v[85:86]
	ds_read2_b64 v[85:88], v0 offset0:70 offset1:71
	s_waitcnt lgkmcnt(0)
	v_mul_f64 v[92:93], v[87:88], v[96:97]
	v_fma_f64 v[92:93], v[85:86], v[125:126], -v[92:93]
	v_mul_f64 v[85:86], v[85:86], v[96:97]
	v_add_f64 v[113:114], v[113:114], -v[92:93]
	v_fma_f64 v[85:86], v[87:88], v[125:126], v[85:86]
	v_add_f64 v[115:116], v[115:116], -v[85:86]
	;; [unrolled: 8-line block ×4, first 2 shown]
	ds_read2_b64 v[85:88], v0 offset0:76 offset1:77
	buffer_load_dword v77, off, s[24:27], 0 ; 4-byte Folded Reload
	buffer_load_dword v78, off, s[24:27], 0 offset:4 ; 4-byte Folded Reload
	buffer_load_dword v79, off, s[24:27], 0 offset:8 ; 4-byte Folded Reload
	;; [unrolled: 1-line block ×3, first 2 shown]
	s_waitcnt lgkmcnt(0)
	v_mul_f64 v[92:93], v[87:88], v[96:97]
	v_fma_f64 v[92:93], v[85:86], v[125:126], -v[92:93]
	v_mul_f64 v[85:86], v[85:86], v[96:97]
	v_fma_f64 v[85:86], v[87:88], v[125:126], v[85:86]
	s_waitcnt vmcnt(2)
	v_add_f64 v[77:78], v[77:78], -v[92:93]
	s_waitcnt vmcnt(0)
	v_add_f64 v[79:80], v[79:80], -v[85:86]
	buffer_store_dword v77, off, s[24:27], 0 ; 4-byte Folded Spill
	s_nop 0
	buffer_store_dword v78, off, s[24:27], 0 offset:4 ; 4-byte Folded Spill
	buffer_store_dword v79, off, s[24:27], 0 offset:8 ; 4-byte Folded Spill
	;; [unrolled: 1-line block ×3, first 2 shown]
	ds_read2_b64 v[85:88], v0 offset0:78 offset1:79
	s_waitcnt lgkmcnt(0)
	v_mul_f64 v[92:93], v[87:88], v[96:97]
	v_fma_f64 v[92:93], v[85:86], v[125:126], -v[92:93]
	v_mul_f64 v[85:86], v[85:86], v[96:97]
	v_add_f64 v[73:74], v[73:74], -v[92:93]
	v_fma_f64 v[85:86], v[87:88], v[125:126], v[85:86]
	v_add_f64 v[75:76], v[75:76], -v[85:86]
	ds_read2_b64 v[85:88], v0 offset0:80 offset1:81
	s_waitcnt lgkmcnt(0)
	v_mul_f64 v[92:93], v[87:88], v[96:97]
	v_fma_f64 v[92:93], v[85:86], v[125:126], -v[92:93]
	v_mul_f64 v[85:86], v[85:86], v[96:97]
	v_add_f64 v[69:70], v[69:70], -v[92:93]
	v_fma_f64 v[85:86], v[87:88], v[125:126], v[85:86]
	v_add_f64 v[71:72], v[71:72], -v[85:86]
	;; [unrolled: 8-line block ×18, first 2 shown]
	ds_read2_b64 v[85:88], v0 offset0:114 offset1:115
	s_waitcnt lgkmcnt(0)
	v_mul_f64 v[92:93], v[87:88], v[96:97]
	v_fma_f64 v[92:93], v[85:86], v[125:126], -v[92:93]
	v_mul_f64 v[85:86], v[85:86], v[96:97]
	v_add_f64 v[1:2], v[1:2], -v[92:93]
	v_fma_f64 v[85:86], v[87:88], v[125:126], v[85:86]
	ds_read2_b64 v[92:95], v0 offset0:116 offset1:117
	s_waitcnt lgkmcnt(0)
	v_mul_f64 v[87:88], v[92:93], v[96:97]
	v_add_f64 v[3:4], v[3:4], -v[85:86]
	v_mul_f64 v[85:86], v[94:95], v[96:97]
	v_fma_f64 v[87:88], v[94:95], v[125:126], v[87:88]
	v_mov_b32_e32 v94, v125
	v_mov_b32_e32 v95, v126
	v_fma_f64 v[85:86], v[92:93], v[125:126], -v[85:86]
	buffer_store_dword v94, off, s[24:27], 0 offset:540 ; 4-byte Folded Spill
	s_nop 0
	buffer_store_dword v95, off, s[24:27], 0 offset:544 ; 4-byte Folded Spill
	buffer_store_dword v96, off, s[24:27], 0 offset:548 ; 4-byte Folded Spill
	;; [unrolled: 1-line block ×3, first 2 shown]
	v_add_f64 v[123:124], v[123:124], -v[87:88]
	v_add_f64 v[121:122], v[121:122], -v[85:86]
.LBB116_41:
	s_or_b64 exec, exec, s[0:1]
	s_waitcnt vmcnt(0)
	s_barrier
	buffer_load_dword v77, off, s[24:27], 0 offset:524 ; 4-byte Folded Reload
	buffer_load_dword v78, off, s[24:27], 0 offset:528 ; 4-byte Folded Reload
	;; [unrolled: 1-line block ×4, first 2 shown]
	v_lshl_add_u32 v85, v89, 4, v0
	s_cmp_lt_i32 s3, 4
	s_waitcnt vmcnt(0)
	ds_write2_b64 v85, v[77:78], v[79:80] offset1:1
	s_waitcnt lgkmcnt(0)
	s_barrier
	ds_read2_b64 v[117:120], v0 offset0:4 offset1:5
	v_mov_b32_e32 v85, 2
	s_cbranch_scc1 .LBB116_44
; %bb.42:
	v_add3_u32 v86, v91, 0, 48
	s_mov_b32 s0, 3
	v_mov_b32_e32 v85, 2
.LBB116_43:                             ; =>This Inner Loop Header: Depth=1
	s_waitcnt lgkmcnt(0)
	v_cmp_gt_f64_e32 vcc, 0, v[117:118]
	v_xor_b32_e32 v87, 0x80000000, v118
	ds_read2_b64 v[92:95], v86 offset1:1
	v_xor_b32_e32 v96, 0x80000000, v120
	v_add_u32_e32 v86, 16, v86
	s_waitcnt lgkmcnt(0)
	v_xor_b32_e32 v98, 0x80000000, v95
	v_cndmask_b32_e32 v88, v118, v87, vcc
	v_cmp_gt_f64_e32 vcc, 0, v[119:120]
	v_mov_b32_e32 v87, v117
	v_cndmask_b32_e32 v97, v120, v96, vcc
	v_cmp_gt_f64_e32 vcc, 0, v[92:93]
	v_mov_b32_e32 v96, v119
	v_add_f64 v[87:88], v[87:88], v[96:97]
	v_xor_b32_e32 v96, 0x80000000, v93
	v_cndmask_b32_e32 v97, v93, v96, vcc
	v_cmp_gt_f64_e32 vcc, 0, v[94:95]
	v_mov_b32_e32 v96, v92
	v_cndmask_b32_e32 v99, v95, v98, vcc
	v_mov_b32_e32 v98, v94
	v_add_f64 v[96:97], v[96:97], v[98:99]
	v_cmp_lt_f64_e32 vcc, v[87:88], v[96:97]
	v_mov_b32_e32 v87, s0
	s_add_i32 s0, s0, 1
	s_cmp_lg_u32 s3, s0
	v_cndmask_b32_e32 v118, v118, v93, vcc
	v_cndmask_b32_e32 v117, v117, v92, vcc
	;; [unrolled: 1-line block ×5, first 2 shown]
	s_cbranch_scc1 .LBB116_43
.LBB116_44:
	s_waitcnt lgkmcnt(0)
	v_cmp_eq_f64_e32 vcc, 0, v[117:118]
	v_cmp_eq_f64_e64 s[0:1], 0, v[119:120]
	s_and_b64 s[0:1], vcc, s[0:1]
	s_and_saveexec_b64 s[18:19], s[0:1]
	s_xor_b64 s[0:1], exec, s[18:19]
; %bb.45:
	v_cmp_ne_u32_e32 vcc, 0, v90
	v_cndmask_b32_e32 v90, 3, v90, vcc
; %bb.46:
	s_andn2_saveexec_b64 s[0:1], s[0:1]
	s_cbranch_execz .LBB116_52
; %bb.47:
	v_cmp_ngt_f64_e64 s[18:19], |v[117:118]|, |v[119:120]|
	s_and_saveexec_b64 s[20:21], s[18:19]
	s_xor_b64 s[18:19], exec, s[20:21]
	s_cbranch_execz .LBB116_49
; %bb.48:
	v_div_scale_f64 v[86:87], s[20:21], v[119:120], v[119:120], v[117:118]
	v_rcp_f64_e32 v[92:93], v[86:87]
	v_fma_f64 v[94:95], -v[86:87], v[92:93], 1.0
	v_fma_f64 v[92:93], v[92:93], v[94:95], v[92:93]
	v_div_scale_f64 v[94:95], vcc, v[117:118], v[119:120], v[117:118]
	v_fma_f64 v[96:97], -v[86:87], v[92:93], 1.0
	v_fma_f64 v[92:93], v[92:93], v[96:97], v[92:93]
	v_mul_f64 v[96:97], v[94:95], v[92:93]
	v_fma_f64 v[86:87], -v[86:87], v[96:97], v[94:95]
	v_div_fmas_f64 v[86:87], v[86:87], v[92:93], v[96:97]
	v_div_fixup_f64 v[86:87], v[86:87], v[119:120], v[117:118]
	v_fma_f64 v[92:93], v[117:118], v[86:87], v[119:120]
	v_div_scale_f64 v[94:95], s[20:21], v[92:93], v[92:93], 1.0
	v_div_scale_f64 v[100:101], vcc, 1.0, v[92:93], 1.0
	v_rcp_f64_e32 v[96:97], v[94:95]
	v_fma_f64 v[98:99], -v[94:95], v[96:97], 1.0
	v_fma_f64 v[96:97], v[96:97], v[98:99], v[96:97]
	v_fma_f64 v[98:99], -v[94:95], v[96:97], 1.0
	v_fma_f64 v[96:97], v[96:97], v[98:99], v[96:97]
	v_mul_f64 v[98:99], v[100:101], v[96:97]
	v_fma_f64 v[94:95], -v[94:95], v[98:99], v[100:101]
	v_div_fmas_f64 v[94:95], v[94:95], v[96:97], v[98:99]
	v_div_fixup_f64 v[119:120], v[94:95], v[92:93], 1.0
	v_mul_f64 v[117:118], v[86:87], v[119:120]
	v_xor_b32_e32 v120, 0x80000000, v120
.LBB116_49:
	s_andn2_saveexec_b64 s[18:19], s[18:19]
	s_cbranch_execz .LBB116_51
; %bb.50:
	v_div_scale_f64 v[86:87], s[20:21], v[117:118], v[117:118], v[119:120]
	v_rcp_f64_e32 v[92:93], v[86:87]
	v_fma_f64 v[94:95], -v[86:87], v[92:93], 1.0
	v_fma_f64 v[92:93], v[92:93], v[94:95], v[92:93]
	v_div_scale_f64 v[94:95], vcc, v[119:120], v[117:118], v[119:120]
	v_fma_f64 v[96:97], -v[86:87], v[92:93], 1.0
	v_fma_f64 v[92:93], v[92:93], v[96:97], v[92:93]
	v_mul_f64 v[96:97], v[94:95], v[92:93]
	v_fma_f64 v[86:87], -v[86:87], v[96:97], v[94:95]
	v_div_fmas_f64 v[86:87], v[86:87], v[92:93], v[96:97]
	v_div_fixup_f64 v[86:87], v[86:87], v[117:118], v[119:120]
	v_fma_f64 v[92:93], v[119:120], v[86:87], v[117:118]
	v_div_scale_f64 v[94:95], s[20:21], v[92:93], v[92:93], 1.0
	v_div_scale_f64 v[100:101], vcc, 1.0, v[92:93], 1.0
	v_rcp_f64_e32 v[96:97], v[94:95]
	v_fma_f64 v[98:99], -v[94:95], v[96:97], 1.0
	v_fma_f64 v[96:97], v[96:97], v[98:99], v[96:97]
	v_fma_f64 v[98:99], -v[94:95], v[96:97], 1.0
	v_fma_f64 v[96:97], v[96:97], v[98:99], v[96:97]
	v_mul_f64 v[98:99], v[100:101], v[96:97]
	v_fma_f64 v[94:95], -v[94:95], v[98:99], v[100:101]
	v_div_fmas_f64 v[94:95], v[94:95], v[96:97], v[98:99]
	v_div_fixup_f64 v[117:118], v[94:95], v[92:93], 1.0
	v_mul_f64 v[119:120], v[86:87], -v[117:118]
.LBB116_51:
	s_or_b64 exec, exec, s[18:19]
.LBB116_52:
	s_or_b64 exec, exec, s[0:1]
	v_cmp_ne_u32_e32 vcc, v89, v85
	s_and_saveexec_b64 s[0:1], vcc
	s_xor_b64 s[0:1], exec, s[0:1]
	s_cbranch_execz .LBB116_58
; %bb.53:
	v_cmp_eq_u32_e32 vcc, 2, v89
	s_and_saveexec_b64 s[18:19], vcc
	s_cbranch_execz .LBB116_57
; %bb.54:
	v_cmp_ne_u32_e32 vcc, 2, v85
	s_xor_b64 s[20:21], s[6:7], -1
	s_and_b64 s[22:23], s[20:21], vcc
	s_and_saveexec_b64 s[20:21], s[22:23]
	s_cbranch_execz .LBB116_56
; %bb.55:
	v_mov_b32_e32 v77, v81
	v_mov_b32_e32 v78, v82
	;; [unrolled: 1-line block ×4, first 2 shown]
	buffer_load_dword v81, off, s[24:27], 0 offset:500 ; 4-byte Folded Reload
	buffer_load_dword v82, off, s[24:27], 0 offset:504 ; 4-byte Folded Reload
	v_ashrrev_i32_e32 v86, 31, v85
	v_lshlrev_b64 v[86:87], 2, v[85:86]
	s_waitcnt vmcnt(1)
	v_add_co_u32_e32 v86, vcc, v81, v86
	s_waitcnt vmcnt(0)
	v_addc_co_u32_e32 v87, vcc, v82, v87, vcc
	global_load_dword v88, v[86:87], off
	global_load_dword v89, v[81:82], off offset:8
	s_waitcnt vmcnt(1)
	global_store_dword v[81:82], v88, off offset:8
	v_mov_b32_e32 v84, v80
	v_mov_b32_e32 v83, v79
	;; [unrolled: 1-line block ×4, first 2 shown]
	s_waitcnt vmcnt(1)
	global_store_dword v[86:87], v89, off
.LBB116_56:
	s_or_b64 exec, exec, s[20:21]
	v_mov_b32_e32 v89, v85
	v_mov_b32_e32 v77, v85
	buffer_store_dword v77, off, s[24:27], 0 offset:432 ; 4-byte Folded Spill
.LBB116_57:
	s_or_b64 exec, exec, s[18:19]
.LBB116_58:
	s_andn2_saveexec_b64 s[0:1], s[0:1]
	s_cbranch_execz .LBB116_60
; %bb.59:
	buffer_load_dword v77, off, s[24:27], 0 offset:508 ; 4-byte Folded Reload
	buffer_load_dword v78, off, s[24:27], 0 offset:512 ; 4-byte Folded Reload
	;; [unrolled: 1-line block ×4, first 2 shown]
	v_mov_b32_e32 v89, 2
	s_waitcnt vmcnt(0)
	ds_write2_b64 v0, v[77:78], v[79:80] offset0:6 offset1:7
	buffer_load_dword v77, off, s[24:27], 0 offset:484 ; 4-byte Folded Reload
	buffer_load_dword v78, off, s[24:27], 0 offset:488 ; 4-byte Folded Reload
	buffer_load_dword v79, off, s[24:27], 0 offset:492 ; 4-byte Folded Reload
	buffer_load_dword v80, off, s[24:27], 0 offset:496 ; 4-byte Folded Reload
	s_waitcnt vmcnt(0)
	ds_write2_b64 v0, v[77:78], v[79:80] offset0:8 offset1:9
	buffer_load_dword v77, off, s[24:27], 0 offset:468 ; 4-byte Folded Reload
	buffer_load_dword v78, off, s[24:27], 0 offset:472 ; 4-byte Folded Reload
	buffer_load_dword v79, off, s[24:27], 0 offset:476 ; 4-byte Folded Reload
	buffer_load_dword v80, off, s[24:27], 0 offset:480 ; 4-byte Folded Reload
	;; [unrolled: 6-line block ×30, first 2 shown]
	s_waitcnt vmcnt(0)
	ds_write2_b64 v0, v[77:78], v[79:80] offset0:66 offset1:67
	ds_write2_b64 v0, v[81:82], v[83:84] offset0:68 offset1:69
	;; [unrolled: 1-line block ×5, first 2 shown]
	buffer_load_dword v77, off, s[24:27], 0 ; 4-byte Folded Reload
	buffer_load_dword v78, off, s[24:27], 0 offset:4 ; 4-byte Folded Reload
	buffer_load_dword v79, off, s[24:27], 0 offset:8 ; 4-byte Folded Reload
	;; [unrolled: 1-line block ×3, first 2 shown]
	s_waitcnt vmcnt(0)
	ds_write2_b64 v0, v[77:78], v[79:80] offset0:76 offset1:77
	ds_write2_b64 v0, v[73:74], v[75:76] offset0:78 offset1:79
	ds_write2_b64 v0, v[69:70], v[71:72] offset0:80 offset1:81
	ds_write2_b64 v0, v[65:66], v[67:68] offset0:82 offset1:83
	ds_write2_b64 v0, v[61:62], v[63:64] offset0:84 offset1:85
	ds_write2_b64 v0, v[57:58], v[59:60] offset0:86 offset1:87
	ds_write2_b64 v0, v[53:54], v[55:56] offset0:88 offset1:89
	ds_write2_b64 v0, v[49:50], v[51:52] offset0:90 offset1:91
	ds_write2_b64 v0, v[45:46], v[47:48] offset0:92 offset1:93
	ds_write2_b64 v0, v[41:42], v[43:44] offset0:94 offset1:95
	ds_write2_b64 v0, v[37:38], v[39:40] offset0:96 offset1:97
	ds_write2_b64 v0, v[33:34], v[35:36] offset0:98 offset1:99
	ds_write2_b64 v0, v[29:30], v[31:32] offset0:100 offset1:101
	ds_write2_b64 v0, v[25:26], v[27:28] offset0:102 offset1:103
	ds_write2_b64 v0, v[21:22], v[23:24] offset0:104 offset1:105
	ds_write2_b64 v0, v[17:18], v[19:20] offset0:106 offset1:107
	ds_write2_b64 v0, v[13:14], v[15:16] offset0:108 offset1:109
	ds_write2_b64 v0, v[9:10], v[11:12] offset0:110 offset1:111
	ds_write2_b64 v0, v[5:6], v[7:8] offset0:112 offset1:113
	ds_write2_b64 v0, v[1:2], v[3:4] offset0:114 offset1:115
	ds_write2_b64 v0, v[121:122], v[123:124] offset0:116 offset1:117
.LBB116_60:
	s_or_b64 exec, exec, s[0:1]
	v_cmp_lt_i32_e32 vcc, 2, v89
	s_waitcnt vmcnt(0) lgkmcnt(0)
	s_barrier
	s_and_saveexec_b64 s[0:1], vcc
	s_cbranch_execz .LBB116_62
; %bb.61:
	buffer_load_dword v94, off, s[24:27], 0 offset:524 ; 4-byte Folded Reload
	buffer_load_dword v95, off, s[24:27], 0 offset:528 ; 4-byte Folded Reload
	buffer_load_dword v96, off, s[24:27], 0 offset:532 ; 4-byte Folded Reload
	buffer_load_dword v97, off, s[24:27], 0 offset:536 ; 4-byte Folded Reload
	s_waitcnt vmcnt(0)
	v_mul_f64 v[85:86], v[119:120], v[96:97]
	v_fma_f64 v[125:126], v[117:118], v[94:95], -v[85:86]
	v_mul_f64 v[85:86], v[117:118], v[96:97]
	v_fma_f64 v[96:97], v[119:120], v[94:95], v[85:86]
	ds_read2_b64 v[85:88], v0 offset0:6 offset1:7
	buffer_load_dword v77, off, s[24:27], 0 offset:508 ; 4-byte Folded Reload
	buffer_load_dword v78, off, s[24:27], 0 offset:512 ; 4-byte Folded Reload
	buffer_load_dword v79, off, s[24:27], 0 offset:516 ; 4-byte Folded Reload
	buffer_load_dword v80, off, s[24:27], 0 offset:520 ; 4-byte Folded Reload
	s_waitcnt lgkmcnt(0)
	v_mul_f64 v[92:93], v[87:88], v[96:97]
	v_fma_f64 v[92:93], v[85:86], v[125:126], -v[92:93]
	v_mul_f64 v[85:86], v[85:86], v[96:97]
	v_fma_f64 v[85:86], v[87:88], v[125:126], v[85:86]
	s_waitcnt vmcnt(2)
	v_add_f64 v[77:78], v[77:78], -v[92:93]
	s_waitcnt vmcnt(0)
	v_add_f64 v[79:80], v[79:80], -v[85:86]
	buffer_store_dword v77, off, s[24:27], 0 offset:508 ; 4-byte Folded Spill
	s_nop 0
	buffer_store_dword v78, off, s[24:27], 0 offset:512 ; 4-byte Folded Spill
	buffer_store_dword v79, off, s[24:27], 0 offset:516 ; 4-byte Folded Spill
	buffer_store_dword v80, off, s[24:27], 0 offset:520 ; 4-byte Folded Spill
	ds_read2_b64 v[85:88], v0 offset0:8 offset1:9
	buffer_load_dword v77, off, s[24:27], 0 offset:484 ; 4-byte Folded Reload
	buffer_load_dword v78, off, s[24:27], 0 offset:488 ; 4-byte Folded Reload
	buffer_load_dword v79, off, s[24:27], 0 offset:492 ; 4-byte Folded Reload
	buffer_load_dword v80, off, s[24:27], 0 offset:496 ; 4-byte Folded Reload
	s_waitcnt lgkmcnt(0)
	v_mul_f64 v[92:93], v[87:88], v[96:97]
	v_fma_f64 v[92:93], v[85:86], v[125:126], -v[92:93]
	v_mul_f64 v[85:86], v[85:86], v[96:97]
	v_fma_f64 v[85:86], v[87:88], v[125:126], v[85:86]
	s_waitcnt vmcnt(2)
	v_add_f64 v[77:78], v[77:78], -v[92:93]
	s_waitcnt vmcnt(0)
	v_add_f64 v[79:80], v[79:80], -v[85:86]
	buffer_store_dword v77, off, s[24:27], 0 offset:484 ; 4-byte Folded Spill
	s_nop 0
	buffer_store_dword v78, off, s[24:27], 0 offset:488 ; 4-byte Folded Spill
	buffer_store_dword v79, off, s[24:27], 0 offset:492 ; 4-byte Folded Spill
	buffer_store_dword v80, off, s[24:27], 0 offset:496 ; 4-byte Folded Spill
	;; [unrolled: 19-line block ×31, first 2 shown]
	ds_read2_b64 v[85:88], v0 offset0:68 offset1:69
	s_waitcnt lgkmcnt(0)
	v_mul_f64 v[92:93], v[87:88], v[96:97]
	v_fma_f64 v[92:93], v[85:86], v[125:126], -v[92:93]
	v_mul_f64 v[85:86], v[85:86], v[96:97]
	v_add_f64 v[81:82], v[81:82], -v[92:93]
	v_fma_f64 v[85:86], v[87:88], v[125:126], v[85:86]
	v_add_f64 v[83:84], v[83:84], -v[85:86]
	ds_read2_b64 v[85:88], v0 offset0:70 offset1:71
	s_waitcnt lgkmcnt(0)
	v_mul_f64 v[92:93], v[87:88], v[96:97]
	v_fma_f64 v[92:93], v[85:86], v[125:126], -v[92:93]
	v_mul_f64 v[85:86], v[85:86], v[96:97]
	v_add_f64 v[113:114], v[113:114], -v[92:93]
	v_fma_f64 v[85:86], v[87:88], v[125:126], v[85:86]
	v_add_f64 v[115:116], v[115:116], -v[85:86]
	;; [unrolled: 8-line block ×4, first 2 shown]
	ds_read2_b64 v[85:88], v0 offset0:76 offset1:77
	buffer_load_dword v77, off, s[24:27], 0 ; 4-byte Folded Reload
	buffer_load_dword v78, off, s[24:27], 0 offset:4 ; 4-byte Folded Reload
	buffer_load_dword v79, off, s[24:27], 0 offset:8 ; 4-byte Folded Reload
	;; [unrolled: 1-line block ×3, first 2 shown]
	s_waitcnt lgkmcnt(0)
	v_mul_f64 v[92:93], v[87:88], v[96:97]
	v_fma_f64 v[92:93], v[85:86], v[125:126], -v[92:93]
	v_mul_f64 v[85:86], v[85:86], v[96:97]
	v_fma_f64 v[85:86], v[87:88], v[125:126], v[85:86]
	s_waitcnt vmcnt(2)
	v_add_f64 v[77:78], v[77:78], -v[92:93]
	s_waitcnt vmcnt(0)
	v_add_f64 v[79:80], v[79:80], -v[85:86]
	buffer_store_dword v77, off, s[24:27], 0 ; 4-byte Folded Spill
	s_nop 0
	buffer_store_dword v78, off, s[24:27], 0 offset:4 ; 4-byte Folded Spill
	buffer_store_dword v79, off, s[24:27], 0 offset:8 ; 4-byte Folded Spill
	;; [unrolled: 1-line block ×3, first 2 shown]
	ds_read2_b64 v[85:88], v0 offset0:78 offset1:79
	s_waitcnt lgkmcnt(0)
	v_mul_f64 v[92:93], v[87:88], v[96:97]
	v_fma_f64 v[92:93], v[85:86], v[125:126], -v[92:93]
	v_mul_f64 v[85:86], v[85:86], v[96:97]
	v_add_f64 v[73:74], v[73:74], -v[92:93]
	v_fma_f64 v[85:86], v[87:88], v[125:126], v[85:86]
	v_add_f64 v[75:76], v[75:76], -v[85:86]
	ds_read2_b64 v[85:88], v0 offset0:80 offset1:81
	s_waitcnt lgkmcnt(0)
	v_mul_f64 v[92:93], v[87:88], v[96:97]
	v_fma_f64 v[92:93], v[85:86], v[125:126], -v[92:93]
	v_mul_f64 v[85:86], v[85:86], v[96:97]
	v_add_f64 v[69:70], v[69:70], -v[92:93]
	v_fma_f64 v[85:86], v[87:88], v[125:126], v[85:86]
	v_add_f64 v[71:72], v[71:72], -v[85:86]
	;; [unrolled: 8-line block ×18, first 2 shown]
	ds_read2_b64 v[85:88], v0 offset0:114 offset1:115
	s_waitcnt lgkmcnt(0)
	v_mul_f64 v[92:93], v[87:88], v[96:97]
	v_fma_f64 v[92:93], v[85:86], v[125:126], -v[92:93]
	v_mul_f64 v[85:86], v[85:86], v[96:97]
	v_add_f64 v[1:2], v[1:2], -v[92:93]
	v_fma_f64 v[85:86], v[87:88], v[125:126], v[85:86]
	ds_read2_b64 v[92:95], v0 offset0:116 offset1:117
	s_waitcnt lgkmcnt(0)
	v_mul_f64 v[87:88], v[92:93], v[96:97]
	v_add_f64 v[3:4], v[3:4], -v[85:86]
	v_mul_f64 v[85:86], v[94:95], v[96:97]
	v_fma_f64 v[87:88], v[94:95], v[125:126], v[87:88]
	v_mov_b32_e32 v94, v125
	v_mov_b32_e32 v95, v126
	v_fma_f64 v[85:86], v[92:93], v[125:126], -v[85:86]
	buffer_store_dword v94, off, s[24:27], 0 offset:524 ; 4-byte Folded Spill
	s_nop 0
	buffer_store_dword v95, off, s[24:27], 0 offset:528 ; 4-byte Folded Spill
	buffer_store_dword v96, off, s[24:27], 0 offset:532 ; 4-byte Folded Spill
	;; [unrolled: 1-line block ×3, first 2 shown]
	v_add_f64 v[123:124], v[123:124], -v[87:88]
	v_add_f64 v[121:122], v[121:122], -v[85:86]
.LBB116_62:
	s_or_b64 exec, exec, s[0:1]
	s_waitcnt vmcnt(0)
	s_barrier
	buffer_load_dword v77, off, s[24:27], 0 offset:508 ; 4-byte Folded Reload
	buffer_load_dword v78, off, s[24:27], 0 offset:512 ; 4-byte Folded Reload
	;; [unrolled: 1-line block ×4, first 2 shown]
	v_lshl_add_u32 v85, v89, 4, v0
	s_mov_b32 s0, 4
	s_cmp_lt_i32 s3, 5
	s_waitcnt vmcnt(0)
	ds_write2_b64 v85, v[77:78], v[79:80] offset1:1
	s_waitcnt lgkmcnt(0)
	s_barrier
	ds_read2_b64 v[117:120], v0 offset0:6 offset1:7
	v_mov_b32_e32 v85, 3
	s_cbranch_scc1 .LBB116_65
; %bb.63:
	v_add3_u32 v86, v91, 0, 64
	v_mov_b32_e32 v85, 3
.LBB116_64:                             ; =>This Inner Loop Header: Depth=1
	s_waitcnt lgkmcnt(0)
	v_cmp_gt_f64_e32 vcc, 0, v[117:118]
	v_xor_b32_e32 v87, 0x80000000, v118
	ds_read2_b64 v[91:94], v86 offset1:1
	v_xor_b32_e32 v95, 0x80000000, v120
	v_add_u32_e32 v86, 16, v86
	s_waitcnt lgkmcnt(0)
	v_xor_b32_e32 v97, 0x80000000, v94
	v_cndmask_b32_e32 v88, v118, v87, vcc
	v_cmp_gt_f64_e32 vcc, 0, v[119:120]
	v_mov_b32_e32 v87, v117
	v_cndmask_b32_e32 v96, v120, v95, vcc
	v_cmp_gt_f64_e32 vcc, 0, v[91:92]
	v_mov_b32_e32 v95, v119
	v_add_f64 v[87:88], v[87:88], v[95:96]
	v_xor_b32_e32 v95, 0x80000000, v92
	v_cndmask_b32_e32 v96, v92, v95, vcc
	v_cmp_gt_f64_e32 vcc, 0, v[93:94]
	v_mov_b32_e32 v95, v91
	v_cndmask_b32_e32 v98, v94, v97, vcc
	v_mov_b32_e32 v97, v93
	v_add_f64 v[95:96], v[95:96], v[97:98]
	v_cmp_lt_f64_e32 vcc, v[87:88], v[95:96]
	v_mov_b32_e32 v87, s0
	s_add_i32 s0, s0, 1
	s_cmp_lg_u32 s3, s0
	v_cndmask_b32_e32 v118, v118, v92, vcc
	v_cndmask_b32_e32 v117, v117, v91, vcc
	;; [unrolled: 1-line block ×5, first 2 shown]
	s_cbranch_scc1 .LBB116_64
.LBB116_65:
	s_waitcnt lgkmcnt(0)
	v_cmp_eq_f64_e32 vcc, 0, v[117:118]
	v_cmp_eq_f64_e64 s[0:1], 0, v[119:120]
	s_and_b64 s[0:1], vcc, s[0:1]
	s_and_saveexec_b64 s[18:19], s[0:1]
	s_xor_b64 s[0:1], exec, s[18:19]
; %bb.66:
	v_cmp_ne_u32_e32 vcc, 0, v90
	v_cndmask_b32_e32 v90, 4, v90, vcc
; %bb.67:
	s_andn2_saveexec_b64 s[0:1], s[0:1]
	s_cbranch_execz .LBB116_73
; %bb.68:
	v_cmp_ngt_f64_e64 s[18:19], |v[117:118]|, |v[119:120]|
	s_and_saveexec_b64 s[20:21], s[18:19]
	s_xor_b64 s[18:19], exec, s[20:21]
	s_cbranch_execz .LBB116_70
; %bb.69:
	v_div_scale_f64 v[86:87], s[20:21], v[119:120], v[119:120], v[117:118]
	v_rcp_f64_e32 v[91:92], v[86:87]
	v_fma_f64 v[93:94], -v[86:87], v[91:92], 1.0
	v_fma_f64 v[91:92], v[91:92], v[93:94], v[91:92]
	v_div_scale_f64 v[93:94], vcc, v[117:118], v[119:120], v[117:118]
	v_fma_f64 v[95:96], -v[86:87], v[91:92], 1.0
	v_fma_f64 v[91:92], v[91:92], v[95:96], v[91:92]
	v_mul_f64 v[95:96], v[93:94], v[91:92]
	v_fma_f64 v[86:87], -v[86:87], v[95:96], v[93:94]
	v_div_fmas_f64 v[86:87], v[86:87], v[91:92], v[95:96]
	v_div_fixup_f64 v[86:87], v[86:87], v[119:120], v[117:118]
	v_fma_f64 v[91:92], v[117:118], v[86:87], v[119:120]
	v_div_scale_f64 v[93:94], s[20:21], v[91:92], v[91:92], 1.0
	v_div_scale_f64 v[99:100], vcc, 1.0, v[91:92], 1.0
	v_rcp_f64_e32 v[95:96], v[93:94]
	v_fma_f64 v[97:98], -v[93:94], v[95:96], 1.0
	v_fma_f64 v[95:96], v[95:96], v[97:98], v[95:96]
	v_fma_f64 v[97:98], -v[93:94], v[95:96], 1.0
	v_fma_f64 v[95:96], v[95:96], v[97:98], v[95:96]
	v_mul_f64 v[97:98], v[99:100], v[95:96]
	v_fma_f64 v[93:94], -v[93:94], v[97:98], v[99:100]
	v_div_fmas_f64 v[93:94], v[93:94], v[95:96], v[97:98]
	v_div_fixup_f64 v[119:120], v[93:94], v[91:92], 1.0
	v_mul_f64 v[117:118], v[86:87], v[119:120]
	v_xor_b32_e32 v120, 0x80000000, v120
.LBB116_70:
	s_andn2_saveexec_b64 s[18:19], s[18:19]
	s_cbranch_execz .LBB116_72
; %bb.71:
	v_div_scale_f64 v[86:87], s[20:21], v[117:118], v[117:118], v[119:120]
	v_rcp_f64_e32 v[91:92], v[86:87]
	v_fma_f64 v[93:94], -v[86:87], v[91:92], 1.0
	v_fma_f64 v[91:92], v[91:92], v[93:94], v[91:92]
	v_div_scale_f64 v[93:94], vcc, v[119:120], v[117:118], v[119:120]
	v_fma_f64 v[95:96], -v[86:87], v[91:92], 1.0
	v_fma_f64 v[91:92], v[91:92], v[95:96], v[91:92]
	v_mul_f64 v[95:96], v[93:94], v[91:92]
	v_fma_f64 v[86:87], -v[86:87], v[95:96], v[93:94]
	v_div_fmas_f64 v[86:87], v[86:87], v[91:92], v[95:96]
	v_div_fixup_f64 v[86:87], v[86:87], v[117:118], v[119:120]
	v_fma_f64 v[91:92], v[119:120], v[86:87], v[117:118]
	v_div_scale_f64 v[93:94], s[20:21], v[91:92], v[91:92], 1.0
	v_div_scale_f64 v[99:100], vcc, 1.0, v[91:92], 1.0
	v_rcp_f64_e32 v[95:96], v[93:94]
	v_fma_f64 v[97:98], -v[93:94], v[95:96], 1.0
	v_fma_f64 v[95:96], v[95:96], v[97:98], v[95:96]
	v_fma_f64 v[97:98], -v[93:94], v[95:96], 1.0
	v_fma_f64 v[95:96], v[95:96], v[97:98], v[95:96]
	v_mul_f64 v[97:98], v[99:100], v[95:96]
	v_fma_f64 v[93:94], -v[93:94], v[97:98], v[99:100]
	v_div_fmas_f64 v[93:94], v[93:94], v[95:96], v[97:98]
	v_div_fixup_f64 v[117:118], v[93:94], v[91:92], 1.0
	v_mul_f64 v[119:120], v[86:87], -v[117:118]
.LBB116_72:
	s_or_b64 exec, exec, s[18:19]
.LBB116_73:
	s_or_b64 exec, exec, s[0:1]
	v_cmp_ne_u32_e32 vcc, v89, v85
	s_and_saveexec_b64 s[0:1], vcc
	s_xor_b64 s[0:1], exec, s[0:1]
	s_cbranch_execz .LBB116_79
; %bb.74:
	v_cmp_eq_u32_e32 vcc, 3, v89
	s_and_saveexec_b64 s[18:19], vcc
	s_cbranch_execz .LBB116_78
; %bb.75:
	v_cmp_ne_u32_e32 vcc, 3, v85
	s_xor_b64 s[20:21], s[6:7], -1
	s_and_b64 s[22:23], s[20:21], vcc
	s_and_saveexec_b64 s[20:21], s[22:23]
	s_cbranch_execz .LBB116_77
; %bb.76:
	v_mov_b32_e32 v77, v81
	v_mov_b32_e32 v78, v82
	;; [unrolled: 1-line block ×4, first 2 shown]
	buffer_load_dword v81, off, s[24:27], 0 offset:500 ; 4-byte Folded Reload
	buffer_load_dword v82, off, s[24:27], 0 offset:504 ; 4-byte Folded Reload
	v_ashrrev_i32_e32 v86, 31, v85
	v_lshlrev_b64 v[86:87], 2, v[85:86]
	s_waitcnt vmcnt(1)
	v_add_co_u32_e32 v86, vcc, v81, v86
	s_waitcnt vmcnt(0)
	v_addc_co_u32_e32 v87, vcc, v82, v87, vcc
	global_load_dword v88, v[86:87], off
	global_load_dword v89, v[81:82], off offset:12
	s_waitcnt vmcnt(1)
	global_store_dword v[81:82], v88, off offset:12
	v_mov_b32_e32 v84, v80
	v_mov_b32_e32 v83, v79
	;; [unrolled: 1-line block ×4, first 2 shown]
	s_waitcnt vmcnt(1)
	global_store_dword v[86:87], v89, off
.LBB116_77:
	s_or_b64 exec, exec, s[20:21]
	v_mov_b32_e32 v89, v85
	v_mov_b32_e32 v77, v85
	buffer_store_dword v77, off, s[24:27], 0 offset:432 ; 4-byte Folded Spill
.LBB116_78:
	s_or_b64 exec, exec, s[18:19]
.LBB116_79:
	s_andn2_saveexec_b64 s[0:1], s[0:1]
	s_cbranch_execz .LBB116_81
; %bb.80:
	buffer_load_dword v77, off, s[24:27], 0 offset:484 ; 4-byte Folded Reload
	buffer_load_dword v78, off, s[24:27], 0 offset:488 ; 4-byte Folded Reload
	;; [unrolled: 1-line block ×4, first 2 shown]
	v_mov_b32_e32 v89, 3
	s_waitcnt vmcnt(0)
	ds_write2_b64 v0, v[77:78], v[79:80] offset0:8 offset1:9
	buffer_load_dword v77, off, s[24:27], 0 offset:468 ; 4-byte Folded Reload
	buffer_load_dword v78, off, s[24:27], 0 offset:472 ; 4-byte Folded Reload
	buffer_load_dword v79, off, s[24:27], 0 offset:476 ; 4-byte Folded Reload
	buffer_load_dword v80, off, s[24:27], 0 offset:480 ; 4-byte Folded Reload
	s_waitcnt vmcnt(0)
	ds_write2_b64 v0, v[77:78], v[79:80] offset0:10 offset1:11
	buffer_load_dword v77, off, s[24:27], 0 offset:452 ; 4-byte Folded Reload
	buffer_load_dword v78, off, s[24:27], 0 offset:456 ; 4-byte Folded Reload
	buffer_load_dword v79, off, s[24:27], 0 offset:460 ; 4-byte Folded Reload
	buffer_load_dword v80, off, s[24:27], 0 offset:464 ; 4-byte Folded Reload
	;; [unrolled: 6-line block ×29, first 2 shown]
	s_waitcnt vmcnt(0)
	ds_write2_b64 v0, v[77:78], v[79:80] offset0:66 offset1:67
	ds_write2_b64 v0, v[81:82], v[83:84] offset0:68 offset1:69
	;; [unrolled: 1-line block ×5, first 2 shown]
	buffer_load_dword v77, off, s[24:27], 0 ; 4-byte Folded Reload
	buffer_load_dword v78, off, s[24:27], 0 offset:4 ; 4-byte Folded Reload
	buffer_load_dword v79, off, s[24:27], 0 offset:8 ; 4-byte Folded Reload
	;; [unrolled: 1-line block ×3, first 2 shown]
	s_waitcnt vmcnt(0)
	ds_write2_b64 v0, v[77:78], v[79:80] offset0:76 offset1:77
	ds_write2_b64 v0, v[73:74], v[75:76] offset0:78 offset1:79
	ds_write2_b64 v0, v[69:70], v[71:72] offset0:80 offset1:81
	ds_write2_b64 v0, v[65:66], v[67:68] offset0:82 offset1:83
	ds_write2_b64 v0, v[61:62], v[63:64] offset0:84 offset1:85
	ds_write2_b64 v0, v[57:58], v[59:60] offset0:86 offset1:87
	ds_write2_b64 v0, v[53:54], v[55:56] offset0:88 offset1:89
	ds_write2_b64 v0, v[49:50], v[51:52] offset0:90 offset1:91
	ds_write2_b64 v0, v[45:46], v[47:48] offset0:92 offset1:93
	ds_write2_b64 v0, v[41:42], v[43:44] offset0:94 offset1:95
	ds_write2_b64 v0, v[37:38], v[39:40] offset0:96 offset1:97
	ds_write2_b64 v0, v[33:34], v[35:36] offset0:98 offset1:99
	ds_write2_b64 v0, v[29:30], v[31:32] offset0:100 offset1:101
	ds_write2_b64 v0, v[25:26], v[27:28] offset0:102 offset1:103
	ds_write2_b64 v0, v[21:22], v[23:24] offset0:104 offset1:105
	ds_write2_b64 v0, v[17:18], v[19:20] offset0:106 offset1:107
	ds_write2_b64 v0, v[13:14], v[15:16] offset0:108 offset1:109
	ds_write2_b64 v0, v[9:10], v[11:12] offset0:110 offset1:111
	ds_write2_b64 v0, v[5:6], v[7:8] offset0:112 offset1:113
	ds_write2_b64 v0, v[1:2], v[3:4] offset0:114 offset1:115
	ds_write2_b64 v0, v[121:122], v[123:124] offset0:116 offset1:117
.LBB116_81:
	s_or_b64 exec, exec, s[0:1]
	v_cmp_lt_i32_e32 vcc, 3, v89
	s_waitcnt vmcnt(0) lgkmcnt(0)
	s_barrier
	s_and_saveexec_b64 s[0:1], vcc
	s_cbranch_execz .LBB116_83
; %bb.82:
	buffer_load_dword v93, off, s[24:27], 0 offset:508 ; 4-byte Folded Reload
	buffer_load_dword v94, off, s[24:27], 0 offset:512 ; 4-byte Folded Reload
	;; [unrolled: 1-line block ×4, first 2 shown]
	s_waitcnt vmcnt(0)
	v_mul_f64 v[85:86], v[119:120], v[95:96]
	v_fma_f64 v[125:126], v[117:118], v[93:94], -v[85:86]
	v_mul_f64 v[85:86], v[117:118], v[95:96]
	v_fma_f64 v[95:96], v[119:120], v[93:94], v[85:86]
	ds_read2_b64 v[85:88], v0 offset0:8 offset1:9
	buffer_load_dword v77, off, s[24:27], 0 offset:484 ; 4-byte Folded Reload
	buffer_load_dword v78, off, s[24:27], 0 offset:488 ; 4-byte Folded Reload
	buffer_load_dword v79, off, s[24:27], 0 offset:492 ; 4-byte Folded Reload
	buffer_load_dword v80, off, s[24:27], 0 offset:496 ; 4-byte Folded Reload
	s_waitcnt lgkmcnt(0)
	v_mul_f64 v[91:92], v[87:88], v[95:96]
	v_fma_f64 v[91:92], v[85:86], v[125:126], -v[91:92]
	v_mul_f64 v[85:86], v[85:86], v[95:96]
	v_fma_f64 v[85:86], v[87:88], v[125:126], v[85:86]
	s_waitcnt vmcnt(2)
	v_add_f64 v[77:78], v[77:78], -v[91:92]
	s_waitcnt vmcnt(0)
	v_add_f64 v[79:80], v[79:80], -v[85:86]
	buffer_store_dword v77, off, s[24:27], 0 offset:484 ; 4-byte Folded Spill
	s_nop 0
	buffer_store_dword v78, off, s[24:27], 0 offset:488 ; 4-byte Folded Spill
	buffer_store_dword v79, off, s[24:27], 0 offset:492 ; 4-byte Folded Spill
	buffer_store_dword v80, off, s[24:27], 0 offset:496 ; 4-byte Folded Spill
	ds_read2_b64 v[85:88], v0 offset0:10 offset1:11
	buffer_load_dword v77, off, s[24:27], 0 offset:468 ; 4-byte Folded Reload
	buffer_load_dword v78, off, s[24:27], 0 offset:472 ; 4-byte Folded Reload
	buffer_load_dword v79, off, s[24:27], 0 offset:476 ; 4-byte Folded Reload
	buffer_load_dword v80, off, s[24:27], 0 offset:480 ; 4-byte Folded Reload
	s_waitcnt lgkmcnt(0)
	v_mul_f64 v[91:92], v[87:88], v[95:96]
	v_fma_f64 v[91:92], v[85:86], v[125:126], -v[91:92]
	v_mul_f64 v[85:86], v[85:86], v[95:96]
	v_fma_f64 v[85:86], v[87:88], v[125:126], v[85:86]
	s_waitcnt vmcnt(2)
	v_add_f64 v[77:78], v[77:78], -v[91:92]
	s_waitcnt vmcnt(0)
	v_add_f64 v[79:80], v[79:80], -v[85:86]
	buffer_store_dword v77, off, s[24:27], 0 offset:468 ; 4-byte Folded Spill
	s_nop 0
	buffer_store_dword v78, off, s[24:27], 0 offset:472 ; 4-byte Folded Spill
	buffer_store_dword v79, off, s[24:27], 0 offset:476 ; 4-byte Folded Spill
	buffer_store_dword v80, off, s[24:27], 0 offset:480 ; 4-byte Folded Spill
	;; [unrolled: 19-line block ×30, first 2 shown]
	ds_read2_b64 v[85:88], v0 offset0:68 offset1:69
	s_waitcnt lgkmcnt(0)
	v_mul_f64 v[91:92], v[87:88], v[95:96]
	v_fma_f64 v[91:92], v[85:86], v[125:126], -v[91:92]
	v_mul_f64 v[85:86], v[85:86], v[95:96]
	v_add_f64 v[81:82], v[81:82], -v[91:92]
	v_fma_f64 v[85:86], v[87:88], v[125:126], v[85:86]
	v_add_f64 v[83:84], v[83:84], -v[85:86]
	ds_read2_b64 v[85:88], v0 offset0:70 offset1:71
	s_waitcnt lgkmcnt(0)
	v_mul_f64 v[91:92], v[87:88], v[95:96]
	v_fma_f64 v[91:92], v[85:86], v[125:126], -v[91:92]
	v_mul_f64 v[85:86], v[85:86], v[95:96]
	v_add_f64 v[113:114], v[113:114], -v[91:92]
	v_fma_f64 v[85:86], v[87:88], v[125:126], v[85:86]
	v_add_f64 v[115:116], v[115:116], -v[85:86]
	;; [unrolled: 8-line block ×4, first 2 shown]
	ds_read2_b64 v[85:88], v0 offset0:76 offset1:77
	buffer_load_dword v77, off, s[24:27], 0 ; 4-byte Folded Reload
	buffer_load_dword v78, off, s[24:27], 0 offset:4 ; 4-byte Folded Reload
	buffer_load_dword v79, off, s[24:27], 0 offset:8 ; 4-byte Folded Reload
	;; [unrolled: 1-line block ×3, first 2 shown]
	s_waitcnt lgkmcnt(0)
	v_mul_f64 v[91:92], v[87:88], v[95:96]
	v_fma_f64 v[91:92], v[85:86], v[125:126], -v[91:92]
	v_mul_f64 v[85:86], v[85:86], v[95:96]
	v_fma_f64 v[85:86], v[87:88], v[125:126], v[85:86]
	s_waitcnt vmcnt(2)
	v_add_f64 v[77:78], v[77:78], -v[91:92]
	s_waitcnt vmcnt(0)
	v_add_f64 v[79:80], v[79:80], -v[85:86]
	buffer_store_dword v77, off, s[24:27], 0 ; 4-byte Folded Spill
	s_nop 0
	buffer_store_dword v78, off, s[24:27], 0 offset:4 ; 4-byte Folded Spill
	buffer_store_dword v79, off, s[24:27], 0 offset:8 ; 4-byte Folded Spill
	;; [unrolled: 1-line block ×3, first 2 shown]
	ds_read2_b64 v[85:88], v0 offset0:78 offset1:79
	s_waitcnt lgkmcnt(0)
	v_mul_f64 v[91:92], v[87:88], v[95:96]
	v_fma_f64 v[91:92], v[85:86], v[125:126], -v[91:92]
	v_mul_f64 v[85:86], v[85:86], v[95:96]
	v_add_f64 v[73:74], v[73:74], -v[91:92]
	v_fma_f64 v[85:86], v[87:88], v[125:126], v[85:86]
	v_add_f64 v[75:76], v[75:76], -v[85:86]
	ds_read2_b64 v[85:88], v0 offset0:80 offset1:81
	s_waitcnt lgkmcnt(0)
	v_mul_f64 v[91:92], v[87:88], v[95:96]
	v_fma_f64 v[91:92], v[85:86], v[125:126], -v[91:92]
	v_mul_f64 v[85:86], v[85:86], v[95:96]
	v_add_f64 v[69:70], v[69:70], -v[91:92]
	v_fma_f64 v[85:86], v[87:88], v[125:126], v[85:86]
	v_add_f64 v[71:72], v[71:72], -v[85:86]
	;; [unrolled: 8-line block ×18, first 2 shown]
	ds_read2_b64 v[85:88], v0 offset0:114 offset1:115
	s_waitcnt lgkmcnt(0)
	v_mul_f64 v[91:92], v[87:88], v[95:96]
	v_fma_f64 v[91:92], v[85:86], v[125:126], -v[91:92]
	v_mul_f64 v[85:86], v[85:86], v[95:96]
	v_add_f64 v[1:2], v[1:2], -v[91:92]
	v_fma_f64 v[85:86], v[87:88], v[125:126], v[85:86]
	ds_read2_b64 v[91:94], v0 offset0:116 offset1:117
	s_waitcnt lgkmcnt(0)
	v_mul_f64 v[87:88], v[91:92], v[95:96]
	v_add_f64 v[3:4], v[3:4], -v[85:86]
	v_mul_f64 v[85:86], v[93:94], v[95:96]
	v_fma_f64 v[87:88], v[93:94], v[125:126], v[87:88]
	v_mov_b32_e32 v93, v125
	v_mov_b32_e32 v94, v126
	v_fma_f64 v[85:86], v[91:92], v[125:126], -v[85:86]
	buffer_store_dword v93, off, s[24:27], 0 offset:508 ; 4-byte Folded Spill
	s_nop 0
	buffer_store_dword v94, off, s[24:27], 0 offset:512 ; 4-byte Folded Spill
	buffer_store_dword v95, off, s[24:27], 0 offset:516 ; 4-byte Folded Spill
	;; [unrolled: 1-line block ×3, first 2 shown]
	v_add_f64 v[123:124], v[123:124], -v[87:88]
	v_add_f64 v[121:122], v[121:122], -v[85:86]
.LBB116_83:
	s_or_b64 exec, exec, s[0:1]
	s_waitcnt vmcnt(0)
	s_barrier
	buffer_load_dword v77, off, s[24:27], 0 offset:484 ; 4-byte Folded Reload
	buffer_load_dword v78, off, s[24:27], 0 offset:488 ; 4-byte Folded Reload
	buffer_load_dword v79, off, s[24:27], 0 offset:492 ; 4-byte Folded Reload
	buffer_load_dword v80, off, s[24:27], 0 offset:496 ; 4-byte Folded Reload
	v_lshl_add_u32 v85, v89, 4, v0
	s_cmp_lt_i32 s3, 6
	s_waitcnt vmcnt(0)
	ds_write2_b64 v85, v[77:78], v[79:80] offset1:1
	s_waitcnt lgkmcnt(0)
	s_barrier
	ds_read2_b64 v[117:120], v0 offset0:8 offset1:9
	v_mov_b32_e32 v85, 4
	s_cbranch_scc1 .LBB116_86
; %bb.84:
	v_mov_b32_e32 v85, 4
	v_add_u32_e32 v86, 0x50, v0
	s_mov_b32 s0, 5
.LBB116_85:                             ; =>This Inner Loop Header: Depth=1
	s_waitcnt lgkmcnt(0)
	v_cmp_gt_f64_e32 vcc, 0, v[117:118]
	v_xor_b32_e32 v87, 0x80000000, v118
	ds_read2_b64 v[91:94], v86 offset1:1
	v_xor_b32_e32 v95, 0x80000000, v120
	v_add_u32_e32 v86, 16, v86
	s_waitcnt lgkmcnt(0)
	v_xor_b32_e32 v97, 0x80000000, v94
	v_cndmask_b32_e32 v88, v118, v87, vcc
	v_cmp_gt_f64_e32 vcc, 0, v[119:120]
	v_mov_b32_e32 v87, v117
	v_cndmask_b32_e32 v96, v120, v95, vcc
	v_cmp_gt_f64_e32 vcc, 0, v[91:92]
	v_mov_b32_e32 v95, v119
	v_add_f64 v[87:88], v[87:88], v[95:96]
	v_xor_b32_e32 v95, 0x80000000, v92
	v_cndmask_b32_e32 v96, v92, v95, vcc
	v_cmp_gt_f64_e32 vcc, 0, v[93:94]
	v_mov_b32_e32 v95, v91
	v_cndmask_b32_e32 v98, v94, v97, vcc
	v_mov_b32_e32 v97, v93
	v_add_f64 v[95:96], v[95:96], v[97:98]
	v_cmp_lt_f64_e32 vcc, v[87:88], v[95:96]
	v_mov_b32_e32 v87, s0
	s_add_i32 s0, s0, 1
	s_cmp_lg_u32 s3, s0
	v_cndmask_b32_e32 v118, v118, v92, vcc
	v_cndmask_b32_e32 v117, v117, v91, vcc
	;; [unrolled: 1-line block ×5, first 2 shown]
	s_cbranch_scc1 .LBB116_85
.LBB116_86:
	s_waitcnt lgkmcnt(0)
	v_cmp_eq_f64_e32 vcc, 0, v[117:118]
	v_cmp_eq_f64_e64 s[0:1], 0, v[119:120]
	s_and_b64 s[0:1], vcc, s[0:1]
	s_and_saveexec_b64 s[18:19], s[0:1]
	s_xor_b64 s[0:1], exec, s[18:19]
; %bb.87:
	v_cmp_ne_u32_e32 vcc, 0, v90
	v_cndmask_b32_e32 v90, 5, v90, vcc
; %bb.88:
	s_andn2_saveexec_b64 s[0:1], s[0:1]
	s_cbranch_execz .LBB116_94
; %bb.89:
	v_cmp_ngt_f64_e64 s[18:19], |v[117:118]|, |v[119:120]|
	s_and_saveexec_b64 s[20:21], s[18:19]
	s_xor_b64 s[18:19], exec, s[20:21]
	s_cbranch_execz .LBB116_91
; %bb.90:
	v_div_scale_f64 v[86:87], s[20:21], v[119:120], v[119:120], v[117:118]
	v_rcp_f64_e32 v[91:92], v[86:87]
	v_fma_f64 v[93:94], -v[86:87], v[91:92], 1.0
	v_fma_f64 v[91:92], v[91:92], v[93:94], v[91:92]
	v_div_scale_f64 v[93:94], vcc, v[117:118], v[119:120], v[117:118]
	v_fma_f64 v[95:96], -v[86:87], v[91:92], 1.0
	v_fma_f64 v[91:92], v[91:92], v[95:96], v[91:92]
	v_mul_f64 v[95:96], v[93:94], v[91:92]
	v_fma_f64 v[86:87], -v[86:87], v[95:96], v[93:94]
	v_div_fmas_f64 v[86:87], v[86:87], v[91:92], v[95:96]
	v_div_fixup_f64 v[86:87], v[86:87], v[119:120], v[117:118]
	v_fma_f64 v[91:92], v[117:118], v[86:87], v[119:120]
	v_div_scale_f64 v[93:94], s[20:21], v[91:92], v[91:92], 1.0
	v_div_scale_f64 v[99:100], vcc, 1.0, v[91:92], 1.0
	v_rcp_f64_e32 v[95:96], v[93:94]
	v_fma_f64 v[97:98], -v[93:94], v[95:96], 1.0
	v_fma_f64 v[95:96], v[95:96], v[97:98], v[95:96]
	v_fma_f64 v[97:98], -v[93:94], v[95:96], 1.0
	v_fma_f64 v[95:96], v[95:96], v[97:98], v[95:96]
	v_mul_f64 v[97:98], v[99:100], v[95:96]
	v_fma_f64 v[93:94], -v[93:94], v[97:98], v[99:100]
	v_div_fmas_f64 v[93:94], v[93:94], v[95:96], v[97:98]
	v_div_fixup_f64 v[119:120], v[93:94], v[91:92], 1.0
	v_mul_f64 v[117:118], v[86:87], v[119:120]
	v_xor_b32_e32 v120, 0x80000000, v120
.LBB116_91:
	s_andn2_saveexec_b64 s[18:19], s[18:19]
	s_cbranch_execz .LBB116_93
; %bb.92:
	v_div_scale_f64 v[86:87], s[20:21], v[117:118], v[117:118], v[119:120]
	v_rcp_f64_e32 v[91:92], v[86:87]
	v_fma_f64 v[93:94], -v[86:87], v[91:92], 1.0
	v_fma_f64 v[91:92], v[91:92], v[93:94], v[91:92]
	v_div_scale_f64 v[93:94], vcc, v[119:120], v[117:118], v[119:120]
	v_fma_f64 v[95:96], -v[86:87], v[91:92], 1.0
	v_fma_f64 v[91:92], v[91:92], v[95:96], v[91:92]
	v_mul_f64 v[95:96], v[93:94], v[91:92]
	v_fma_f64 v[86:87], -v[86:87], v[95:96], v[93:94]
	v_div_fmas_f64 v[86:87], v[86:87], v[91:92], v[95:96]
	v_div_fixup_f64 v[86:87], v[86:87], v[117:118], v[119:120]
	v_fma_f64 v[91:92], v[119:120], v[86:87], v[117:118]
	v_div_scale_f64 v[93:94], s[20:21], v[91:92], v[91:92], 1.0
	v_div_scale_f64 v[99:100], vcc, 1.0, v[91:92], 1.0
	v_rcp_f64_e32 v[95:96], v[93:94]
	v_fma_f64 v[97:98], -v[93:94], v[95:96], 1.0
	v_fma_f64 v[95:96], v[95:96], v[97:98], v[95:96]
	v_fma_f64 v[97:98], -v[93:94], v[95:96], 1.0
	v_fma_f64 v[95:96], v[95:96], v[97:98], v[95:96]
	v_mul_f64 v[97:98], v[99:100], v[95:96]
	v_fma_f64 v[93:94], -v[93:94], v[97:98], v[99:100]
	v_div_fmas_f64 v[93:94], v[93:94], v[95:96], v[97:98]
	v_div_fixup_f64 v[117:118], v[93:94], v[91:92], 1.0
	v_mul_f64 v[119:120], v[86:87], -v[117:118]
.LBB116_93:
	s_or_b64 exec, exec, s[18:19]
.LBB116_94:
	s_or_b64 exec, exec, s[0:1]
	v_cmp_ne_u32_e32 vcc, v89, v85
	s_and_saveexec_b64 s[0:1], vcc
	s_xor_b64 s[0:1], exec, s[0:1]
	s_cbranch_execz .LBB116_100
; %bb.95:
	v_cmp_eq_u32_e32 vcc, 4, v89
	s_and_saveexec_b64 s[18:19], vcc
	s_cbranch_execz .LBB116_99
; %bb.96:
	v_cmp_ne_u32_e32 vcc, 4, v85
	s_xor_b64 s[20:21], s[6:7], -1
	s_and_b64 s[22:23], s[20:21], vcc
	s_and_saveexec_b64 s[20:21], s[22:23]
	s_cbranch_execz .LBB116_98
; %bb.97:
	v_mov_b32_e32 v77, v81
	v_mov_b32_e32 v78, v82
	v_mov_b32_e32 v79, v83
	v_mov_b32_e32 v80, v84
	buffer_load_dword v81, off, s[24:27], 0 offset:500 ; 4-byte Folded Reload
	buffer_load_dword v82, off, s[24:27], 0 offset:504 ; 4-byte Folded Reload
	v_ashrrev_i32_e32 v86, 31, v85
	v_lshlrev_b64 v[86:87], 2, v[85:86]
	s_waitcnt vmcnt(1)
	v_add_co_u32_e32 v86, vcc, v81, v86
	s_waitcnt vmcnt(0)
	v_addc_co_u32_e32 v87, vcc, v82, v87, vcc
	global_load_dword v88, v[86:87], off
	global_load_dword v89, v[81:82], off offset:16
	s_waitcnt vmcnt(1)
	global_store_dword v[81:82], v88, off offset:16
	v_mov_b32_e32 v84, v80
	v_mov_b32_e32 v83, v79
	;; [unrolled: 1-line block ×4, first 2 shown]
	s_waitcnt vmcnt(1)
	global_store_dword v[86:87], v89, off
.LBB116_98:
	s_or_b64 exec, exec, s[20:21]
	v_mov_b32_e32 v89, v85
	v_mov_b32_e32 v77, v85
	buffer_store_dword v77, off, s[24:27], 0 offset:432 ; 4-byte Folded Spill
.LBB116_99:
	s_or_b64 exec, exec, s[18:19]
.LBB116_100:
	s_andn2_saveexec_b64 s[0:1], s[0:1]
	s_cbranch_execz .LBB116_102
; %bb.101:
	buffer_load_dword v77, off, s[24:27], 0 offset:468 ; 4-byte Folded Reload
	buffer_load_dword v78, off, s[24:27], 0 offset:472 ; 4-byte Folded Reload
	;; [unrolled: 1-line block ×4, first 2 shown]
	v_mov_b32_e32 v89, 4
	s_waitcnt vmcnt(0)
	ds_write2_b64 v0, v[77:78], v[79:80] offset0:10 offset1:11
	buffer_load_dword v77, off, s[24:27], 0 offset:452 ; 4-byte Folded Reload
	buffer_load_dword v78, off, s[24:27], 0 offset:456 ; 4-byte Folded Reload
	buffer_load_dword v79, off, s[24:27], 0 offset:460 ; 4-byte Folded Reload
	buffer_load_dword v80, off, s[24:27], 0 offset:464 ; 4-byte Folded Reload
	s_waitcnt vmcnt(0)
	ds_write2_b64 v0, v[77:78], v[79:80] offset0:12 offset1:13
	buffer_load_dword v77, off, s[24:27], 0 offset:436 ; 4-byte Folded Reload
	buffer_load_dword v78, off, s[24:27], 0 offset:440 ; 4-byte Folded Reload
	buffer_load_dword v79, off, s[24:27], 0 offset:444 ; 4-byte Folded Reload
	buffer_load_dword v80, off, s[24:27], 0 offset:448 ; 4-byte Folded Reload
	;; [unrolled: 6-line block ×28, first 2 shown]
	s_waitcnt vmcnt(0)
	ds_write2_b64 v0, v[77:78], v[79:80] offset0:66 offset1:67
	ds_write2_b64 v0, v[81:82], v[83:84] offset0:68 offset1:69
	;; [unrolled: 1-line block ×5, first 2 shown]
	buffer_load_dword v77, off, s[24:27], 0 ; 4-byte Folded Reload
	buffer_load_dword v78, off, s[24:27], 0 offset:4 ; 4-byte Folded Reload
	buffer_load_dword v79, off, s[24:27], 0 offset:8 ; 4-byte Folded Reload
	;; [unrolled: 1-line block ×3, first 2 shown]
	s_waitcnt vmcnt(0)
	ds_write2_b64 v0, v[77:78], v[79:80] offset0:76 offset1:77
	ds_write2_b64 v0, v[73:74], v[75:76] offset0:78 offset1:79
	;; [unrolled: 1-line block ×21, first 2 shown]
.LBB116_102:
	s_or_b64 exec, exec, s[0:1]
	v_cmp_lt_i32_e32 vcc, 4, v89
	s_waitcnt vmcnt(0) lgkmcnt(0)
	s_barrier
	s_and_saveexec_b64 s[0:1], vcc
	s_cbranch_execz .LBB116_104
; %bb.103:
	buffer_load_dword v93, off, s[24:27], 0 offset:484 ; 4-byte Folded Reload
	buffer_load_dword v94, off, s[24:27], 0 offset:488 ; 4-byte Folded Reload
	;; [unrolled: 1-line block ×4, first 2 shown]
	s_waitcnt vmcnt(0)
	v_mul_f64 v[85:86], v[119:120], v[95:96]
	v_fma_f64 v[125:126], v[117:118], v[93:94], -v[85:86]
	v_mul_f64 v[85:86], v[117:118], v[95:96]
	v_fma_f64 v[95:96], v[119:120], v[93:94], v[85:86]
	ds_read2_b64 v[85:88], v0 offset0:10 offset1:11
	buffer_load_dword v77, off, s[24:27], 0 offset:468 ; 4-byte Folded Reload
	buffer_load_dword v78, off, s[24:27], 0 offset:472 ; 4-byte Folded Reload
	buffer_load_dword v79, off, s[24:27], 0 offset:476 ; 4-byte Folded Reload
	buffer_load_dword v80, off, s[24:27], 0 offset:480 ; 4-byte Folded Reload
	s_waitcnt lgkmcnt(0)
	v_mul_f64 v[91:92], v[87:88], v[95:96]
	v_fma_f64 v[91:92], v[85:86], v[125:126], -v[91:92]
	v_mul_f64 v[85:86], v[85:86], v[95:96]
	v_fma_f64 v[85:86], v[87:88], v[125:126], v[85:86]
	s_waitcnt vmcnt(2)
	v_add_f64 v[77:78], v[77:78], -v[91:92]
	s_waitcnt vmcnt(0)
	v_add_f64 v[79:80], v[79:80], -v[85:86]
	buffer_store_dword v77, off, s[24:27], 0 offset:468 ; 4-byte Folded Spill
	s_nop 0
	buffer_store_dword v78, off, s[24:27], 0 offset:472 ; 4-byte Folded Spill
	buffer_store_dword v79, off, s[24:27], 0 offset:476 ; 4-byte Folded Spill
	buffer_store_dword v80, off, s[24:27], 0 offset:480 ; 4-byte Folded Spill
	ds_read2_b64 v[85:88], v0 offset0:12 offset1:13
	buffer_load_dword v77, off, s[24:27], 0 offset:452 ; 4-byte Folded Reload
	buffer_load_dword v78, off, s[24:27], 0 offset:456 ; 4-byte Folded Reload
	buffer_load_dword v79, off, s[24:27], 0 offset:460 ; 4-byte Folded Reload
	buffer_load_dword v80, off, s[24:27], 0 offset:464 ; 4-byte Folded Reload
	s_waitcnt lgkmcnt(0)
	v_mul_f64 v[91:92], v[87:88], v[95:96]
	v_fma_f64 v[91:92], v[85:86], v[125:126], -v[91:92]
	v_mul_f64 v[85:86], v[85:86], v[95:96]
	v_fma_f64 v[85:86], v[87:88], v[125:126], v[85:86]
	s_waitcnt vmcnt(2)
	v_add_f64 v[77:78], v[77:78], -v[91:92]
	s_waitcnt vmcnt(0)
	v_add_f64 v[79:80], v[79:80], -v[85:86]
	buffer_store_dword v77, off, s[24:27], 0 offset:452 ; 4-byte Folded Spill
	s_nop 0
	buffer_store_dword v78, off, s[24:27], 0 offset:456 ; 4-byte Folded Spill
	buffer_store_dword v79, off, s[24:27], 0 offset:460 ; 4-byte Folded Spill
	buffer_store_dword v80, off, s[24:27], 0 offset:464 ; 4-byte Folded Spill
	;; [unrolled: 19-line block ×29, first 2 shown]
	ds_read2_b64 v[85:88], v0 offset0:68 offset1:69
	s_waitcnt lgkmcnt(0)
	v_mul_f64 v[91:92], v[87:88], v[95:96]
	v_fma_f64 v[91:92], v[85:86], v[125:126], -v[91:92]
	v_mul_f64 v[85:86], v[85:86], v[95:96]
	v_add_f64 v[81:82], v[81:82], -v[91:92]
	v_fma_f64 v[85:86], v[87:88], v[125:126], v[85:86]
	v_add_f64 v[83:84], v[83:84], -v[85:86]
	ds_read2_b64 v[85:88], v0 offset0:70 offset1:71
	s_waitcnt lgkmcnt(0)
	v_mul_f64 v[91:92], v[87:88], v[95:96]
	v_fma_f64 v[91:92], v[85:86], v[125:126], -v[91:92]
	v_mul_f64 v[85:86], v[85:86], v[95:96]
	v_add_f64 v[113:114], v[113:114], -v[91:92]
	v_fma_f64 v[85:86], v[87:88], v[125:126], v[85:86]
	v_add_f64 v[115:116], v[115:116], -v[85:86]
	;; [unrolled: 8-line block ×4, first 2 shown]
	ds_read2_b64 v[85:88], v0 offset0:76 offset1:77
	buffer_load_dword v77, off, s[24:27], 0 ; 4-byte Folded Reload
	buffer_load_dword v78, off, s[24:27], 0 offset:4 ; 4-byte Folded Reload
	buffer_load_dword v79, off, s[24:27], 0 offset:8 ; 4-byte Folded Reload
	;; [unrolled: 1-line block ×3, first 2 shown]
	s_waitcnt lgkmcnt(0)
	v_mul_f64 v[91:92], v[87:88], v[95:96]
	v_fma_f64 v[91:92], v[85:86], v[125:126], -v[91:92]
	v_mul_f64 v[85:86], v[85:86], v[95:96]
	v_fma_f64 v[85:86], v[87:88], v[125:126], v[85:86]
	s_waitcnt vmcnt(2)
	v_add_f64 v[77:78], v[77:78], -v[91:92]
	s_waitcnt vmcnt(0)
	v_add_f64 v[79:80], v[79:80], -v[85:86]
	buffer_store_dword v77, off, s[24:27], 0 ; 4-byte Folded Spill
	s_nop 0
	buffer_store_dword v78, off, s[24:27], 0 offset:4 ; 4-byte Folded Spill
	buffer_store_dword v79, off, s[24:27], 0 offset:8 ; 4-byte Folded Spill
	;; [unrolled: 1-line block ×3, first 2 shown]
	ds_read2_b64 v[85:88], v0 offset0:78 offset1:79
	s_waitcnt lgkmcnt(0)
	v_mul_f64 v[91:92], v[87:88], v[95:96]
	v_fma_f64 v[91:92], v[85:86], v[125:126], -v[91:92]
	v_mul_f64 v[85:86], v[85:86], v[95:96]
	v_add_f64 v[73:74], v[73:74], -v[91:92]
	v_fma_f64 v[85:86], v[87:88], v[125:126], v[85:86]
	v_add_f64 v[75:76], v[75:76], -v[85:86]
	ds_read2_b64 v[85:88], v0 offset0:80 offset1:81
	s_waitcnt lgkmcnt(0)
	v_mul_f64 v[91:92], v[87:88], v[95:96]
	v_fma_f64 v[91:92], v[85:86], v[125:126], -v[91:92]
	v_mul_f64 v[85:86], v[85:86], v[95:96]
	v_add_f64 v[69:70], v[69:70], -v[91:92]
	v_fma_f64 v[85:86], v[87:88], v[125:126], v[85:86]
	v_add_f64 v[71:72], v[71:72], -v[85:86]
	;; [unrolled: 8-line block ×18, first 2 shown]
	ds_read2_b64 v[85:88], v0 offset0:114 offset1:115
	s_waitcnt lgkmcnt(0)
	v_mul_f64 v[91:92], v[87:88], v[95:96]
	v_fma_f64 v[91:92], v[85:86], v[125:126], -v[91:92]
	v_mul_f64 v[85:86], v[85:86], v[95:96]
	v_add_f64 v[1:2], v[1:2], -v[91:92]
	v_fma_f64 v[85:86], v[87:88], v[125:126], v[85:86]
	ds_read2_b64 v[91:94], v0 offset0:116 offset1:117
	s_waitcnt lgkmcnt(0)
	v_mul_f64 v[87:88], v[91:92], v[95:96]
	v_add_f64 v[3:4], v[3:4], -v[85:86]
	v_mul_f64 v[85:86], v[93:94], v[95:96]
	v_fma_f64 v[87:88], v[93:94], v[125:126], v[87:88]
	v_mov_b32_e32 v93, v125
	v_mov_b32_e32 v94, v126
	v_fma_f64 v[85:86], v[91:92], v[125:126], -v[85:86]
	buffer_store_dword v93, off, s[24:27], 0 offset:484 ; 4-byte Folded Spill
	s_nop 0
	buffer_store_dword v94, off, s[24:27], 0 offset:488 ; 4-byte Folded Spill
	buffer_store_dword v95, off, s[24:27], 0 offset:492 ; 4-byte Folded Spill
	;; [unrolled: 1-line block ×3, first 2 shown]
	v_add_f64 v[123:124], v[123:124], -v[87:88]
	v_add_f64 v[121:122], v[121:122], -v[85:86]
.LBB116_104:
	s_or_b64 exec, exec, s[0:1]
	s_waitcnt vmcnt(0)
	s_barrier
	buffer_load_dword v77, off, s[24:27], 0 offset:468 ; 4-byte Folded Reload
	buffer_load_dword v78, off, s[24:27], 0 offset:472 ; 4-byte Folded Reload
	;; [unrolled: 1-line block ×4, first 2 shown]
	v_lshl_add_u32 v85, v89, 4, v0
	s_cmp_lt_i32 s3, 7
	s_waitcnt vmcnt(0)
	ds_write2_b64 v85, v[77:78], v[79:80] offset1:1
	s_waitcnt lgkmcnt(0)
	s_barrier
	ds_read2_b64 v[117:120], v0 offset0:10 offset1:11
	v_mov_b32_e32 v85, 5
	s_cbranch_scc1 .LBB116_107
; %bb.105:
	v_add_u32_e32 v86, 0x60, v0
	s_mov_b32 s0, 6
	v_mov_b32_e32 v85, 5
.LBB116_106:                            ; =>This Inner Loop Header: Depth=1
	s_waitcnt lgkmcnt(0)
	v_cmp_gt_f64_e32 vcc, 0, v[117:118]
	v_xor_b32_e32 v87, 0x80000000, v118
	ds_read2_b64 v[91:94], v86 offset1:1
	v_xor_b32_e32 v95, 0x80000000, v120
	v_add_u32_e32 v86, 16, v86
	s_waitcnt lgkmcnt(0)
	v_xor_b32_e32 v97, 0x80000000, v94
	v_cndmask_b32_e32 v88, v118, v87, vcc
	v_cmp_gt_f64_e32 vcc, 0, v[119:120]
	v_mov_b32_e32 v87, v117
	v_cndmask_b32_e32 v96, v120, v95, vcc
	v_cmp_gt_f64_e32 vcc, 0, v[91:92]
	v_mov_b32_e32 v95, v119
	v_add_f64 v[87:88], v[87:88], v[95:96]
	v_xor_b32_e32 v95, 0x80000000, v92
	v_cndmask_b32_e32 v96, v92, v95, vcc
	v_cmp_gt_f64_e32 vcc, 0, v[93:94]
	v_mov_b32_e32 v95, v91
	v_cndmask_b32_e32 v98, v94, v97, vcc
	v_mov_b32_e32 v97, v93
	v_add_f64 v[95:96], v[95:96], v[97:98]
	v_cmp_lt_f64_e32 vcc, v[87:88], v[95:96]
	v_mov_b32_e32 v87, s0
	s_add_i32 s0, s0, 1
	s_cmp_lg_u32 s3, s0
	v_cndmask_b32_e32 v118, v118, v92, vcc
	v_cndmask_b32_e32 v117, v117, v91, vcc
	;; [unrolled: 1-line block ×5, first 2 shown]
	s_cbranch_scc1 .LBB116_106
.LBB116_107:
	s_waitcnt lgkmcnt(0)
	v_cmp_eq_f64_e32 vcc, 0, v[117:118]
	v_cmp_eq_f64_e64 s[0:1], 0, v[119:120]
	s_and_b64 s[0:1], vcc, s[0:1]
	s_and_saveexec_b64 s[18:19], s[0:1]
	s_xor_b64 s[0:1], exec, s[18:19]
; %bb.108:
	v_cmp_ne_u32_e32 vcc, 0, v90
	v_cndmask_b32_e32 v90, 6, v90, vcc
; %bb.109:
	s_andn2_saveexec_b64 s[0:1], s[0:1]
	s_cbranch_execz .LBB116_115
; %bb.110:
	v_cmp_ngt_f64_e64 s[18:19], |v[117:118]|, |v[119:120]|
	s_and_saveexec_b64 s[20:21], s[18:19]
	s_xor_b64 s[18:19], exec, s[20:21]
	s_cbranch_execz .LBB116_112
; %bb.111:
	v_div_scale_f64 v[86:87], s[20:21], v[119:120], v[119:120], v[117:118]
	v_rcp_f64_e32 v[91:92], v[86:87]
	v_fma_f64 v[93:94], -v[86:87], v[91:92], 1.0
	v_fma_f64 v[91:92], v[91:92], v[93:94], v[91:92]
	v_div_scale_f64 v[93:94], vcc, v[117:118], v[119:120], v[117:118]
	v_fma_f64 v[95:96], -v[86:87], v[91:92], 1.0
	v_fma_f64 v[91:92], v[91:92], v[95:96], v[91:92]
	v_mul_f64 v[95:96], v[93:94], v[91:92]
	v_fma_f64 v[86:87], -v[86:87], v[95:96], v[93:94]
	v_div_fmas_f64 v[86:87], v[86:87], v[91:92], v[95:96]
	v_div_fixup_f64 v[86:87], v[86:87], v[119:120], v[117:118]
	v_fma_f64 v[91:92], v[117:118], v[86:87], v[119:120]
	v_div_scale_f64 v[93:94], s[20:21], v[91:92], v[91:92], 1.0
	v_div_scale_f64 v[99:100], vcc, 1.0, v[91:92], 1.0
	v_rcp_f64_e32 v[95:96], v[93:94]
	v_fma_f64 v[97:98], -v[93:94], v[95:96], 1.0
	v_fma_f64 v[95:96], v[95:96], v[97:98], v[95:96]
	v_fma_f64 v[97:98], -v[93:94], v[95:96], 1.0
	v_fma_f64 v[95:96], v[95:96], v[97:98], v[95:96]
	v_mul_f64 v[97:98], v[99:100], v[95:96]
	v_fma_f64 v[93:94], -v[93:94], v[97:98], v[99:100]
	v_div_fmas_f64 v[93:94], v[93:94], v[95:96], v[97:98]
	v_div_fixup_f64 v[119:120], v[93:94], v[91:92], 1.0
	v_mul_f64 v[117:118], v[86:87], v[119:120]
	v_xor_b32_e32 v120, 0x80000000, v120
.LBB116_112:
	s_andn2_saveexec_b64 s[18:19], s[18:19]
	s_cbranch_execz .LBB116_114
; %bb.113:
	v_div_scale_f64 v[86:87], s[20:21], v[117:118], v[117:118], v[119:120]
	v_rcp_f64_e32 v[91:92], v[86:87]
	v_fma_f64 v[93:94], -v[86:87], v[91:92], 1.0
	v_fma_f64 v[91:92], v[91:92], v[93:94], v[91:92]
	v_div_scale_f64 v[93:94], vcc, v[119:120], v[117:118], v[119:120]
	v_fma_f64 v[95:96], -v[86:87], v[91:92], 1.0
	v_fma_f64 v[91:92], v[91:92], v[95:96], v[91:92]
	v_mul_f64 v[95:96], v[93:94], v[91:92]
	v_fma_f64 v[86:87], -v[86:87], v[95:96], v[93:94]
	v_div_fmas_f64 v[86:87], v[86:87], v[91:92], v[95:96]
	v_div_fixup_f64 v[86:87], v[86:87], v[117:118], v[119:120]
	v_fma_f64 v[91:92], v[119:120], v[86:87], v[117:118]
	v_div_scale_f64 v[93:94], s[20:21], v[91:92], v[91:92], 1.0
	v_div_scale_f64 v[99:100], vcc, 1.0, v[91:92], 1.0
	v_rcp_f64_e32 v[95:96], v[93:94]
	v_fma_f64 v[97:98], -v[93:94], v[95:96], 1.0
	v_fma_f64 v[95:96], v[95:96], v[97:98], v[95:96]
	v_fma_f64 v[97:98], -v[93:94], v[95:96], 1.0
	v_fma_f64 v[95:96], v[95:96], v[97:98], v[95:96]
	v_mul_f64 v[97:98], v[99:100], v[95:96]
	v_fma_f64 v[93:94], -v[93:94], v[97:98], v[99:100]
	v_div_fmas_f64 v[93:94], v[93:94], v[95:96], v[97:98]
	v_div_fixup_f64 v[117:118], v[93:94], v[91:92], 1.0
	v_mul_f64 v[119:120], v[86:87], -v[117:118]
.LBB116_114:
	s_or_b64 exec, exec, s[18:19]
.LBB116_115:
	s_or_b64 exec, exec, s[0:1]
	v_cmp_ne_u32_e32 vcc, v89, v85
	s_and_saveexec_b64 s[0:1], vcc
	s_xor_b64 s[0:1], exec, s[0:1]
	s_cbranch_execz .LBB116_121
; %bb.116:
	v_cmp_eq_u32_e32 vcc, 5, v89
	s_and_saveexec_b64 s[18:19], vcc
	s_cbranch_execz .LBB116_120
; %bb.117:
	v_cmp_ne_u32_e32 vcc, 5, v85
	s_xor_b64 s[20:21], s[6:7], -1
	s_and_b64 s[22:23], s[20:21], vcc
	s_and_saveexec_b64 s[20:21], s[22:23]
	s_cbranch_execz .LBB116_119
; %bb.118:
	v_mov_b32_e32 v77, v81
	v_mov_b32_e32 v78, v82
	;; [unrolled: 1-line block ×4, first 2 shown]
	buffer_load_dword v81, off, s[24:27], 0 offset:500 ; 4-byte Folded Reload
	buffer_load_dword v82, off, s[24:27], 0 offset:504 ; 4-byte Folded Reload
	v_ashrrev_i32_e32 v86, 31, v85
	v_lshlrev_b64 v[86:87], 2, v[85:86]
	s_waitcnt vmcnt(1)
	v_add_co_u32_e32 v86, vcc, v81, v86
	s_waitcnt vmcnt(0)
	v_addc_co_u32_e32 v87, vcc, v82, v87, vcc
	global_load_dword v88, v[86:87], off
	global_load_dword v89, v[81:82], off offset:20
	s_waitcnt vmcnt(1)
	global_store_dword v[81:82], v88, off offset:20
	v_mov_b32_e32 v84, v80
	v_mov_b32_e32 v83, v79
	;; [unrolled: 1-line block ×4, first 2 shown]
	s_waitcnt vmcnt(1)
	global_store_dword v[86:87], v89, off
.LBB116_119:
	s_or_b64 exec, exec, s[20:21]
	v_mov_b32_e32 v89, v85
	v_mov_b32_e32 v77, v85
	buffer_store_dword v77, off, s[24:27], 0 offset:432 ; 4-byte Folded Spill
.LBB116_120:
	s_or_b64 exec, exec, s[18:19]
.LBB116_121:
	s_andn2_saveexec_b64 s[0:1], s[0:1]
	s_cbranch_execz .LBB116_123
; %bb.122:
	buffer_load_dword v77, off, s[24:27], 0 offset:452 ; 4-byte Folded Reload
	buffer_load_dword v78, off, s[24:27], 0 offset:456 ; 4-byte Folded Reload
	;; [unrolled: 1-line block ×4, first 2 shown]
	v_mov_b32_e32 v89, 5
	s_waitcnt vmcnt(0)
	ds_write2_b64 v0, v[77:78], v[79:80] offset0:12 offset1:13
	buffer_load_dword v77, off, s[24:27], 0 offset:436 ; 4-byte Folded Reload
	buffer_load_dword v78, off, s[24:27], 0 offset:440 ; 4-byte Folded Reload
	buffer_load_dword v79, off, s[24:27], 0 offset:444 ; 4-byte Folded Reload
	buffer_load_dword v80, off, s[24:27], 0 offset:448 ; 4-byte Folded Reload
	s_waitcnt vmcnt(0)
	ds_write2_b64 v0, v[77:78], v[79:80] offset0:14 offset1:15
	buffer_load_dword v77, off, s[24:27], 0 offset:416 ; 4-byte Folded Reload
	buffer_load_dword v78, off, s[24:27], 0 offset:420 ; 4-byte Folded Reload
	buffer_load_dword v79, off, s[24:27], 0 offset:424 ; 4-byte Folded Reload
	buffer_load_dword v80, off, s[24:27], 0 offset:428 ; 4-byte Folded Reload
	;; [unrolled: 6-line block ×27, first 2 shown]
	s_waitcnt vmcnt(0)
	ds_write2_b64 v0, v[77:78], v[79:80] offset0:66 offset1:67
	ds_write2_b64 v0, v[81:82], v[83:84] offset0:68 offset1:69
	;; [unrolled: 1-line block ×5, first 2 shown]
	buffer_load_dword v77, off, s[24:27], 0 ; 4-byte Folded Reload
	buffer_load_dword v78, off, s[24:27], 0 offset:4 ; 4-byte Folded Reload
	buffer_load_dword v79, off, s[24:27], 0 offset:8 ; 4-byte Folded Reload
	;; [unrolled: 1-line block ×3, first 2 shown]
	s_waitcnt vmcnt(0)
	ds_write2_b64 v0, v[77:78], v[79:80] offset0:76 offset1:77
	ds_write2_b64 v0, v[73:74], v[75:76] offset0:78 offset1:79
	ds_write2_b64 v0, v[69:70], v[71:72] offset0:80 offset1:81
	ds_write2_b64 v0, v[65:66], v[67:68] offset0:82 offset1:83
	ds_write2_b64 v0, v[61:62], v[63:64] offset0:84 offset1:85
	ds_write2_b64 v0, v[57:58], v[59:60] offset0:86 offset1:87
	ds_write2_b64 v0, v[53:54], v[55:56] offset0:88 offset1:89
	ds_write2_b64 v0, v[49:50], v[51:52] offset0:90 offset1:91
	ds_write2_b64 v0, v[45:46], v[47:48] offset0:92 offset1:93
	ds_write2_b64 v0, v[41:42], v[43:44] offset0:94 offset1:95
	ds_write2_b64 v0, v[37:38], v[39:40] offset0:96 offset1:97
	ds_write2_b64 v0, v[33:34], v[35:36] offset0:98 offset1:99
	ds_write2_b64 v0, v[29:30], v[31:32] offset0:100 offset1:101
	ds_write2_b64 v0, v[25:26], v[27:28] offset0:102 offset1:103
	ds_write2_b64 v0, v[21:22], v[23:24] offset0:104 offset1:105
	ds_write2_b64 v0, v[17:18], v[19:20] offset0:106 offset1:107
	ds_write2_b64 v0, v[13:14], v[15:16] offset0:108 offset1:109
	ds_write2_b64 v0, v[9:10], v[11:12] offset0:110 offset1:111
	ds_write2_b64 v0, v[5:6], v[7:8] offset0:112 offset1:113
	ds_write2_b64 v0, v[1:2], v[3:4] offset0:114 offset1:115
	ds_write2_b64 v0, v[121:122], v[123:124] offset0:116 offset1:117
.LBB116_123:
	s_or_b64 exec, exec, s[0:1]
	v_cmp_lt_i32_e32 vcc, 5, v89
	s_waitcnt vmcnt(0) lgkmcnt(0)
	s_barrier
	s_and_saveexec_b64 s[0:1], vcc
	s_cbranch_execz .LBB116_125
; %bb.124:
	buffer_load_dword v93, off, s[24:27], 0 offset:468 ; 4-byte Folded Reload
	buffer_load_dword v94, off, s[24:27], 0 offset:472 ; 4-byte Folded Reload
	;; [unrolled: 1-line block ×4, first 2 shown]
	s_waitcnt vmcnt(0)
	v_mul_f64 v[85:86], v[119:120], v[95:96]
	v_fma_f64 v[125:126], v[117:118], v[93:94], -v[85:86]
	v_mul_f64 v[85:86], v[117:118], v[95:96]
	v_fma_f64 v[95:96], v[119:120], v[93:94], v[85:86]
	ds_read2_b64 v[85:88], v0 offset0:12 offset1:13
	buffer_load_dword v77, off, s[24:27], 0 offset:452 ; 4-byte Folded Reload
	buffer_load_dword v78, off, s[24:27], 0 offset:456 ; 4-byte Folded Reload
	buffer_load_dword v79, off, s[24:27], 0 offset:460 ; 4-byte Folded Reload
	buffer_load_dword v80, off, s[24:27], 0 offset:464 ; 4-byte Folded Reload
	s_waitcnt lgkmcnt(0)
	v_mul_f64 v[91:92], v[87:88], v[95:96]
	v_fma_f64 v[91:92], v[85:86], v[125:126], -v[91:92]
	v_mul_f64 v[85:86], v[85:86], v[95:96]
	v_fma_f64 v[85:86], v[87:88], v[125:126], v[85:86]
	s_waitcnt vmcnt(2)
	v_add_f64 v[77:78], v[77:78], -v[91:92]
	s_waitcnt vmcnt(0)
	v_add_f64 v[79:80], v[79:80], -v[85:86]
	buffer_store_dword v77, off, s[24:27], 0 offset:452 ; 4-byte Folded Spill
	s_nop 0
	buffer_store_dword v78, off, s[24:27], 0 offset:456 ; 4-byte Folded Spill
	buffer_store_dword v79, off, s[24:27], 0 offset:460 ; 4-byte Folded Spill
	buffer_store_dword v80, off, s[24:27], 0 offset:464 ; 4-byte Folded Spill
	ds_read2_b64 v[85:88], v0 offset0:14 offset1:15
	buffer_load_dword v77, off, s[24:27], 0 offset:436 ; 4-byte Folded Reload
	buffer_load_dword v78, off, s[24:27], 0 offset:440 ; 4-byte Folded Reload
	buffer_load_dword v79, off, s[24:27], 0 offset:444 ; 4-byte Folded Reload
	buffer_load_dword v80, off, s[24:27], 0 offset:448 ; 4-byte Folded Reload
	s_waitcnt lgkmcnt(0)
	v_mul_f64 v[91:92], v[87:88], v[95:96]
	v_fma_f64 v[91:92], v[85:86], v[125:126], -v[91:92]
	v_mul_f64 v[85:86], v[85:86], v[95:96]
	v_fma_f64 v[85:86], v[87:88], v[125:126], v[85:86]
	s_waitcnt vmcnt(2)
	v_add_f64 v[77:78], v[77:78], -v[91:92]
	s_waitcnt vmcnt(0)
	v_add_f64 v[79:80], v[79:80], -v[85:86]
	buffer_store_dword v77, off, s[24:27], 0 offset:436 ; 4-byte Folded Spill
	s_nop 0
	buffer_store_dword v78, off, s[24:27], 0 offset:440 ; 4-byte Folded Spill
	buffer_store_dword v79, off, s[24:27], 0 offset:444 ; 4-byte Folded Spill
	buffer_store_dword v80, off, s[24:27], 0 offset:448 ; 4-byte Folded Spill
	;; [unrolled: 19-line block ×28, first 2 shown]
	ds_read2_b64 v[85:88], v0 offset0:68 offset1:69
	s_waitcnt lgkmcnt(0)
	v_mul_f64 v[91:92], v[87:88], v[95:96]
	v_fma_f64 v[91:92], v[85:86], v[125:126], -v[91:92]
	v_mul_f64 v[85:86], v[85:86], v[95:96]
	v_add_f64 v[81:82], v[81:82], -v[91:92]
	v_fma_f64 v[85:86], v[87:88], v[125:126], v[85:86]
	v_add_f64 v[83:84], v[83:84], -v[85:86]
	ds_read2_b64 v[85:88], v0 offset0:70 offset1:71
	s_waitcnt lgkmcnt(0)
	v_mul_f64 v[91:92], v[87:88], v[95:96]
	v_fma_f64 v[91:92], v[85:86], v[125:126], -v[91:92]
	v_mul_f64 v[85:86], v[85:86], v[95:96]
	v_add_f64 v[113:114], v[113:114], -v[91:92]
	v_fma_f64 v[85:86], v[87:88], v[125:126], v[85:86]
	v_add_f64 v[115:116], v[115:116], -v[85:86]
	;; [unrolled: 8-line block ×4, first 2 shown]
	ds_read2_b64 v[85:88], v0 offset0:76 offset1:77
	buffer_load_dword v77, off, s[24:27], 0 ; 4-byte Folded Reload
	buffer_load_dword v78, off, s[24:27], 0 offset:4 ; 4-byte Folded Reload
	buffer_load_dword v79, off, s[24:27], 0 offset:8 ; 4-byte Folded Reload
	;; [unrolled: 1-line block ×3, first 2 shown]
	s_waitcnt lgkmcnt(0)
	v_mul_f64 v[91:92], v[87:88], v[95:96]
	v_fma_f64 v[91:92], v[85:86], v[125:126], -v[91:92]
	v_mul_f64 v[85:86], v[85:86], v[95:96]
	v_fma_f64 v[85:86], v[87:88], v[125:126], v[85:86]
	s_waitcnt vmcnt(2)
	v_add_f64 v[77:78], v[77:78], -v[91:92]
	s_waitcnt vmcnt(0)
	v_add_f64 v[79:80], v[79:80], -v[85:86]
	buffer_store_dword v77, off, s[24:27], 0 ; 4-byte Folded Spill
	s_nop 0
	buffer_store_dword v78, off, s[24:27], 0 offset:4 ; 4-byte Folded Spill
	buffer_store_dword v79, off, s[24:27], 0 offset:8 ; 4-byte Folded Spill
	;; [unrolled: 1-line block ×3, first 2 shown]
	ds_read2_b64 v[85:88], v0 offset0:78 offset1:79
	s_waitcnt lgkmcnt(0)
	v_mul_f64 v[91:92], v[87:88], v[95:96]
	v_fma_f64 v[91:92], v[85:86], v[125:126], -v[91:92]
	v_mul_f64 v[85:86], v[85:86], v[95:96]
	v_add_f64 v[73:74], v[73:74], -v[91:92]
	v_fma_f64 v[85:86], v[87:88], v[125:126], v[85:86]
	v_add_f64 v[75:76], v[75:76], -v[85:86]
	ds_read2_b64 v[85:88], v0 offset0:80 offset1:81
	s_waitcnt lgkmcnt(0)
	v_mul_f64 v[91:92], v[87:88], v[95:96]
	v_fma_f64 v[91:92], v[85:86], v[125:126], -v[91:92]
	v_mul_f64 v[85:86], v[85:86], v[95:96]
	v_add_f64 v[69:70], v[69:70], -v[91:92]
	v_fma_f64 v[85:86], v[87:88], v[125:126], v[85:86]
	v_add_f64 v[71:72], v[71:72], -v[85:86]
	;; [unrolled: 8-line block ×18, first 2 shown]
	ds_read2_b64 v[85:88], v0 offset0:114 offset1:115
	s_waitcnt lgkmcnt(0)
	v_mul_f64 v[91:92], v[87:88], v[95:96]
	v_fma_f64 v[91:92], v[85:86], v[125:126], -v[91:92]
	v_mul_f64 v[85:86], v[85:86], v[95:96]
	v_add_f64 v[1:2], v[1:2], -v[91:92]
	v_fma_f64 v[85:86], v[87:88], v[125:126], v[85:86]
	ds_read2_b64 v[91:94], v0 offset0:116 offset1:117
	s_waitcnt lgkmcnt(0)
	v_mul_f64 v[87:88], v[91:92], v[95:96]
	v_add_f64 v[3:4], v[3:4], -v[85:86]
	v_mul_f64 v[85:86], v[93:94], v[95:96]
	v_fma_f64 v[87:88], v[93:94], v[125:126], v[87:88]
	v_mov_b32_e32 v93, v125
	v_mov_b32_e32 v94, v126
	v_fma_f64 v[85:86], v[91:92], v[125:126], -v[85:86]
	buffer_store_dword v93, off, s[24:27], 0 offset:468 ; 4-byte Folded Spill
	s_nop 0
	buffer_store_dword v94, off, s[24:27], 0 offset:472 ; 4-byte Folded Spill
	buffer_store_dword v95, off, s[24:27], 0 offset:476 ; 4-byte Folded Spill
	;; [unrolled: 1-line block ×3, first 2 shown]
	v_add_f64 v[123:124], v[123:124], -v[87:88]
	v_add_f64 v[121:122], v[121:122], -v[85:86]
.LBB116_125:
	s_or_b64 exec, exec, s[0:1]
	s_waitcnt vmcnt(0)
	s_barrier
	buffer_load_dword v77, off, s[24:27], 0 offset:452 ; 4-byte Folded Reload
	buffer_load_dword v78, off, s[24:27], 0 offset:456 ; 4-byte Folded Reload
	buffer_load_dword v79, off, s[24:27], 0 offset:460 ; 4-byte Folded Reload
	buffer_load_dword v80, off, s[24:27], 0 offset:464 ; 4-byte Folded Reload
	v_lshl_add_u32 v85, v89, 4, v0
	s_cmp_lt_i32 s3, 8
	s_waitcnt vmcnt(0)
	ds_write2_b64 v85, v[77:78], v[79:80] offset1:1
	s_waitcnt lgkmcnt(0)
	s_barrier
	ds_read2_b64 v[117:120], v0 offset0:12 offset1:13
	v_mov_b32_e32 v85, 6
	s_cbranch_scc1 .LBB116_128
; %bb.126:
	v_add_u32_e32 v86, 0x70, v0
	s_mov_b32 s0, 7
	v_mov_b32_e32 v85, 6
.LBB116_127:                            ; =>This Inner Loop Header: Depth=1
	s_waitcnt lgkmcnt(0)
	v_cmp_gt_f64_e32 vcc, 0, v[117:118]
	v_xor_b32_e32 v87, 0x80000000, v118
	ds_read2_b64 v[91:94], v86 offset1:1
	v_xor_b32_e32 v95, 0x80000000, v120
	v_add_u32_e32 v86, 16, v86
	s_waitcnt lgkmcnt(0)
	v_xor_b32_e32 v97, 0x80000000, v94
	v_cndmask_b32_e32 v88, v118, v87, vcc
	v_cmp_gt_f64_e32 vcc, 0, v[119:120]
	v_mov_b32_e32 v87, v117
	v_cndmask_b32_e32 v96, v120, v95, vcc
	v_cmp_gt_f64_e32 vcc, 0, v[91:92]
	v_mov_b32_e32 v95, v119
	v_add_f64 v[87:88], v[87:88], v[95:96]
	v_xor_b32_e32 v95, 0x80000000, v92
	v_cndmask_b32_e32 v96, v92, v95, vcc
	v_cmp_gt_f64_e32 vcc, 0, v[93:94]
	v_mov_b32_e32 v95, v91
	v_cndmask_b32_e32 v98, v94, v97, vcc
	v_mov_b32_e32 v97, v93
	v_add_f64 v[95:96], v[95:96], v[97:98]
	v_cmp_lt_f64_e32 vcc, v[87:88], v[95:96]
	v_mov_b32_e32 v87, s0
	s_add_i32 s0, s0, 1
	s_cmp_lg_u32 s3, s0
	v_cndmask_b32_e32 v118, v118, v92, vcc
	v_cndmask_b32_e32 v117, v117, v91, vcc
	v_cndmask_b32_e32 v120, v120, v94, vcc
	v_cndmask_b32_e32 v119, v119, v93, vcc
	v_cndmask_b32_e32 v85, v85, v87, vcc
	s_cbranch_scc1 .LBB116_127
.LBB116_128:
	s_waitcnt lgkmcnt(0)
	v_cmp_eq_f64_e32 vcc, 0, v[117:118]
	v_cmp_eq_f64_e64 s[0:1], 0, v[119:120]
	s_and_b64 s[0:1], vcc, s[0:1]
	s_and_saveexec_b64 s[18:19], s[0:1]
	s_xor_b64 s[0:1], exec, s[18:19]
; %bb.129:
	v_cmp_ne_u32_e32 vcc, 0, v90
	v_cndmask_b32_e32 v90, 7, v90, vcc
; %bb.130:
	s_andn2_saveexec_b64 s[0:1], s[0:1]
	s_cbranch_execz .LBB116_136
; %bb.131:
	v_cmp_ngt_f64_e64 s[18:19], |v[117:118]|, |v[119:120]|
	s_and_saveexec_b64 s[20:21], s[18:19]
	s_xor_b64 s[18:19], exec, s[20:21]
	s_cbranch_execz .LBB116_133
; %bb.132:
	v_div_scale_f64 v[86:87], s[20:21], v[119:120], v[119:120], v[117:118]
	v_rcp_f64_e32 v[91:92], v[86:87]
	v_fma_f64 v[93:94], -v[86:87], v[91:92], 1.0
	v_fma_f64 v[91:92], v[91:92], v[93:94], v[91:92]
	v_div_scale_f64 v[93:94], vcc, v[117:118], v[119:120], v[117:118]
	v_fma_f64 v[95:96], -v[86:87], v[91:92], 1.0
	v_fma_f64 v[91:92], v[91:92], v[95:96], v[91:92]
	v_mul_f64 v[95:96], v[93:94], v[91:92]
	v_fma_f64 v[86:87], -v[86:87], v[95:96], v[93:94]
	v_div_fmas_f64 v[86:87], v[86:87], v[91:92], v[95:96]
	v_div_fixup_f64 v[86:87], v[86:87], v[119:120], v[117:118]
	v_fma_f64 v[91:92], v[117:118], v[86:87], v[119:120]
	v_div_scale_f64 v[93:94], s[20:21], v[91:92], v[91:92], 1.0
	v_div_scale_f64 v[99:100], vcc, 1.0, v[91:92], 1.0
	v_rcp_f64_e32 v[95:96], v[93:94]
	v_fma_f64 v[97:98], -v[93:94], v[95:96], 1.0
	v_fma_f64 v[95:96], v[95:96], v[97:98], v[95:96]
	v_fma_f64 v[97:98], -v[93:94], v[95:96], 1.0
	v_fma_f64 v[95:96], v[95:96], v[97:98], v[95:96]
	v_mul_f64 v[97:98], v[99:100], v[95:96]
	v_fma_f64 v[93:94], -v[93:94], v[97:98], v[99:100]
	v_div_fmas_f64 v[93:94], v[93:94], v[95:96], v[97:98]
	v_div_fixup_f64 v[119:120], v[93:94], v[91:92], 1.0
	v_mul_f64 v[117:118], v[86:87], v[119:120]
	v_xor_b32_e32 v120, 0x80000000, v120
.LBB116_133:
	s_andn2_saveexec_b64 s[18:19], s[18:19]
	s_cbranch_execz .LBB116_135
; %bb.134:
	v_div_scale_f64 v[86:87], s[20:21], v[117:118], v[117:118], v[119:120]
	v_rcp_f64_e32 v[91:92], v[86:87]
	v_fma_f64 v[93:94], -v[86:87], v[91:92], 1.0
	v_fma_f64 v[91:92], v[91:92], v[93:94], v[91:92]
	v_div_scale_f64 v[93:94], vcc, v[119:120], v[117:118], v[119:120]
	v_fma_f64 v[95:96], -v[86:87], v[91:92], 1.0
	v_fma_f64 v[91:92], v[91:92], v[95:96], v[91:92]
	v_mul_f64 v[95:96], v[93:94], v[91:92]
	v_fma_f64 v[86:87], -v[86:87], v[95:96], v[93:94]
	v_div_fmas_f64 v[86:87], v[86:87], v[91:92], v[95:96]
	v_div_fixup_f64 v[86:87], v[86:87], v[117:118], v[119:120]
	v_fma_f64 v[91:92], v[119:120], v[86:87], v[117:118]
	v_div_scale_f64 v[93:94], s[20:21], v[91:92], v[91:92], 1.0
	v_div_scale_f64 v[99:100], vcc, 1.0, v[91:92], 1.0
	v_rcp_f64_e32 v[95:96], v[93:94]
	v_fma_f64 v[97:98], -v[93:94], v[95:96], 1.0
	v_fma_f64 v[95:96], v[95:96], v[97:98], v[95:96]
	v_fma_f64 v[97:98], -v[93:94], v[95:96], 1.0
	v_fma_f64 v[95:96], v[95:96], v[97:98], v[95:96]
	v_mul_f64 v[97:98], v[99:100], v[95:96]
	v_fma_f64 v[93:94], -v[93:94], v[97:98], v[99:100]
	v_div_fmas_f64 v[93:94], v[93:94], v[95:96], v[97:98]
	v_div_fixup_f64 v[117:118], v[93:94], v[91:92], 1.0
	v_mul_f64 v[119:120], v[86:87], -v[117:118]
.LBB116_135:
	s_or_b64 exec, exec, s[18:19]
.LBB116_136:
	s_or_b64 exec, exec, s[0:1]
	v_cmp_ne_u32_e32 vcc, v89, v85
	s_and_saveexec_b64 s[0:1], vcc
	s_xor_b64 s[0:1], exec, s[0:1]
	s_cbranch_execz .LBB116_142
; %bb.137:
	v_cmp_eq_u32_e32 vcc, 6, v89
	s_and_saveexec_b64 s[18:19], vcc
	s_cbranch_execz .LBB116_141
; %bb.138:
	v_cmp_ne_u32_e32 vcc, 6, v85
	s_xor_b64 s[20:21], s[6:7], -1
	s_and_b64 s[22:23], s[20:21], vcc
	s_and_saveexec_b64 s[20:21], s[22:23]
	s_cbranch_execz .LBB116_140
; %bb.139:
	v_mov_b32_e32 v77, v81
	v_mov_b32_e32 v78, v82
	;; [unrolled: 1-line block ×4, first 2 shown]
	buffer_load_dword v81, off, s[24:27], 0 offset:500 ; 4-byte Folded Reload
	buffer_load_dword v82, off, s[24:27], 0 offset:504 ; 4-byte Folded Reload
	v_ashrrev_i32_e32 v86, 31, v85
	v_lshlrev_b64 v[86:87], 2, v[85:86]
	s_waitcnt vmcnt(1)
	v_add_co_u32_e32 v86, vcc, v81, v86
	s_waitcnt vmcnt(0)
	v_addc_co_u32_e32 v87, vcc, v82, v87, vcc
	global_load_dword v88, v[86:87], off
	global_load_dword v89, v[81:82], off offset:24
	s_waitcnt vmcnt(1)
	global_store_dword v[81:82], v88, off offset:24
	v_mov_b32_e32 v84, v80
	v_mov_b32_e32 v83, v79
	;; [unrolled: 1-line block ×4, first 2 shown]
	s_waitcnt vmcnt(1)
	global_store_dword v[86:87], v89, off
.LBB116_140:
	s_or_b64 exec, exec, s[20:21]
	v_mov_b32_e32 v89, v85
	v_mov_b32_e32 v77, v85
	buffer_store_dword v77, off, s[24:27], 0 offset:432 ; 4-byte Folded Spill
.LBB116_141:
	s_or_b64 exec, exec, s[18:19]
.LBB116_142:
	s_andn2_saveexec_b64 s[0:1], s[0:1]
	s_cbranch_execz .LBB116_144
; %bb.143:
	buffer_load_dword v77, off, s[24:27], 0 offset:436 ; 4-byte Folded Reload
	buffer_load_dword v78, off, s[24:27], 0 offset:440 ; 4-byte Folded Reload
	;; [unrolled: 1-line block ×4, first 2 shown]
	v_mov_b32_e32 v89, 6
	s_waitcnt vmcnt(0)
	ds_write2_b64 v0, v[77:78], v[79:80] offset0:14 offset1:15
	buffer_load_dword v77, off, s[24:27], 0 offset:416 ; 4-byte Folded Reload
	buffer_load_dword v78, off, s[24:27], 0 offset:420 ; 4-byte Folded Reload
	buffer_load_dword v79, off, s[24:27], 0 offset:424 ; 4-byte Folded Reload
	buffer_load_dword v80, off, s[24:27], 0 offset:428 ; 4-byte Folded Reload
	s_waitcnt vmcnt(0)
	ds_write2_b64 v0, v[77:78], v[79:80] offset0:16 offset1:17
	buffer_load_dword v77, off, s[24:27], 0 offset:400 ; 4-byte Folded Reload
	buffer_load_dword v78, off, s[24:27], 0 offset:404 ; 4-byte Folded Reload
	buffer_load_dword v79, off, s[24:27], 0 offset:408 ; 4-byte Folded Reload
	buffer_load_dword v80, off, s[24:27], 0 offset:412 ; 4-byte Folded Reload
	;; [unrolled: 6-line block ×26, first 2 shown]
	s_waitcnt vmcnt(0)
	ds_write2_b64 v0, v[77:78], v[79:80] offset0:66 offset1:67
	ds_write2_b64 v0, v[81:82], v[83:84] offset0:68 offset1:69
	;; [unrolled: 1-line block ×5, first 2 shown]
	buffer_load_dword v77, off, s[24:27], 0 ; 4-byte Folded Reload
	buffer_load_dword v78, off, s[24:27], 0 offset:4 ; 4-byte Folded Reload
	buffer_load_dword v79, off, s[24:27], 0 offset:8 ; 4-byte Folded Reload
	;; [unrolled: 1-line block ×3, first 2 shown]
	s_waitcnt vmcnt(0)
	ds_write2_b64 v0, v[77:78], v[79:80] offset0:76 offset1:77
	ds_write2_b64 v0, v[73:74], v[75:76] offset0:78 offset1:79
	;; [unrolled: 1-line block ×21, first 2 shown]
.LBB116_144:
	s_or_b64 exec, exec, s[0:1]
	v_cmp_lt_i32_e32 vcc, 6, v89
	s_waitcnt vmcnt(0) lgkmcnt(0)
	s_barrier
	s_and_saveexec_b64 s[0:1], vcc
	s_cbranch_execz .LBB116_146
; %bb.145:
	buffer_load_dword v93, off, s[24:27], 0 offset:452 ; 4-byte Folded Reload
	buffer_load_dword v94, off, s[24:27], 0 offset:456 ; 4-byte Folded Reload
	buffer_load_dword v95, off, s[24:27], 0 offset:460 ; 4-byte Folded Reload
	buffer_load_dword v96, off, s[24:27], 0 offset:464 ; 4-byte Folded Reload
	s_waitcnt vmcnt(0)
	v_mul_f64 v[85:86], v[119:120], v[95:96]
	v_fma_f64 v[125:126], v[117:118], v[93:94], -v[85:86]
	v_mul_f64 v[85:86], v[117:118], v[95:96]
	v_fma_f64 v[95:96], v[119:120], v[93:94], v[85:86]
	ds_read2_b64 v[85:88], v0 offset0:14 offset1:15
	buffer_load_dword v77, off, s[24:27], 0 offset:436 ; 4-byte Folded Reload
	buffer_load_dword v78, off, s[24:27], 0 offset:440 ; 4-byte Folded Reload
	buffer_load_dword v79, off, s[24:27], 0 offset:444 ; 4-byte Folded Reload
	buffer_load_dword v80, off, s[24:27], 0 offset:448 ; 4-byte Folded Reload
	s_waitcnt lgkmcnt(0)
	v_mul_f64 v[91:92], v[87:88], v[95:96]
	v_fma_f64 v[91:92], v[85:86], v[125:126], -v[91:92]
	v_mul_f64 v[85:86], v[85:86], v[95:96]
	v_fma_f64 v[85:86], v[87:88], v[125:126], v[85:86]
	s_waitcnt vmcnt(2)
	v_add_f64 v[77:78], v[77:78], -v[91:92]
	s_waitcnt vmcnt(0)
	v_add_f64 v[79:80], v[79:80], -v[85:86]
	buffer_store_dword v77, off, s[24:27], 0 offset:436 ; 4-byte Folded Spill
	s_nop 0
	buffer_store_dword v78, off, s[24:27], 0 offset:440 ; 4-byte Folded Spill
	buffer_store_dword v79, off, s[24:27], 0 offset:444 ; 4-byte Folded Spill
	buffer_store_dword v80, off, s[24:27], 0 offset:448 ; 4-byte Folded Spill
	ds_read2_b64 v[85:88], v0 offset0:16 offset1:17
	buffer_load_dword v77, off, s[24:27], 0 offset:416 ; 4-byte Folded Reload
	buffer_load_dword v78, off, s[24:27], 0 offset:420 ; 4-byte Folded Reload
	buffer_load_dword v79, off, s[24:27], 0 offset:424 ; 4-byte Folded Reload
	buffer_load_dword v80, off, s[24:27], 0 offset:428 ; 4-byte Folded Reload
	s_waitcnt lgkmcnt(0)
	v_mul_f64 v[91:92], v[87:88], v[95:96]
	v_fma_f64 v[91:92], v[85:86], v[125:126], -v[91:92]
	v_mul_f64 v[85:86], v[85:86], v[95:96]
	v_fma_f64 v[85:86], v[87:88], v[125:126], v[85:86]
	s_waitcnt vmcnt(2)
	v_add_f64 v[77:78], v[77:78], -v[91:92]
	s_waitcnt vmcnt(0)
	v_add_f64 v[79:80], v[79:80], -v[85:86]
	buffer_store_dword v77, off, s[24:27], 0 offset:416 ; 4-byte Folded Spill
	s_nop 0
	buffer_store_dword v78, off, s[24:27], 0 offset:420 ; 4-byte Folded Spill
	buffer_store_dword v79, off, s[24:27], 0 offset:424 ; 4-byte Folded Spill
	buffer_store_dword v80, off, s[24:27], 0 offset:428 ; 4-byte Folded Spill
	ds_read2_b64 v[85:88], v0 offset0:18 offset1:19
	buffer_load_dword v77, off, s[24:27], 0 offset:400 ; 4-byte Folded Reload
	buffer_load_dword v78, off, s[24:27], 0 offset:404 ; 4-byte Folded Reload
	buffer_load_dword v79, off, s[24:27], 0 offset:408 ; 4-byte Folded Reload
	buffer_load_dword v80, off, s[24:27], 0 offset:412 ; 4-byte Folded Reload
	s_waitcnt lgkmcnt(0)
	v_mul_f64 v[91:92], v[87:88], v[95:96]
	v_fma_f64 v[91:92], v[85:86], v[125:126], -v[91:92]
	v_mul_f64 v[85:86], v[85:86], v[95:96]
	v_fma_f64 v[85:86], v[87:88], v[125:126], v[85:86]
	s_waitcnt vmcnt(2)
	v_add_f64 v[77:78], v[77:78], -v[91:92]
	s_waitcnt vmcnt(0)
	v_add_f64 v[79:80], v[79:80], -v[85:86]
	buffer_store_dword v77, off, s[24:27], 0 offset:400 ; 4-byte Folded Spill
	s_nop 0
	buffer_store_dword v78, off, s[24:27], 0 offset:404 ; 4-byte Folded Spill
	buffer_store_dword v79, off, s[24:27], 0 offset:408 ; 4-byte Folded Spill
	buffer_store_dword v80, off, s[24:27], 0 offset:412 ; 4-byte Folded Spill
	ds_read2_b64 v[85:88], v0 offset0:20 offset1:21
	buffer_load_dword v77, off, s[24:27], 0 offset:384 ; 4-byte Folded Reload
	buffer_load_dword v78, off, s[24:27], 0 offset:388 ; 4-byte Folded Reload
	buffer_load_dword v79, off, s[24:27], 0 offset:392 ; 4-byte Folded Reload
	buffer_load_dword v80, off, s[24:27], 0 offset:396 ; 4-byte Folded Reload
	s_waitcnt lgkmcnt(0)
	v_mul_f64 v[91:92], v[87:88], v[95:96]
	v_fma_f64 v[91:92], v[85:86], v[125:126], -v[91:92]
	v_mul_f64 v[85:86], v[85:86], v[95:96]
	v_fma_f64 v[85:86], v[87:88], v[125:126], v[85:86]
	s_waitcnt vmcnt(2)
	v_add_f64 v[77:78], v[77:78], -v[91:92]
	s_waitcnt vmcnt(0)
	v_add_f64 v[79:80], v[79:80], -v[85:86]
	buffer_store_dword v77, off, s[24:27], 0 offset:384 ; 4-byte Folded Spill
	s_nop 0
	buffer_store_dword v78, off, s[24:27], 0 offset:388 ; 4-byte Folded Spill
	buffer_store_dword v79, off, s[24:27], 0 offset:392 ; 4-byte Folded Spill
	buffer_store_dword v80, off, s[24:27], 0 offset:396 ; 4-byte Folded Spill
	ds_read2_b64 v[85:88], v0 offset0:22 offset1:23
	buffer_load_dword v77, off, s[24:27], 0 offset:368 ; 4-byte Folded Reload
	buffer_load_dword v78, off, s[24:27], 0 offset:372 ; 4-byte Folded Reload
	buffer_load_dword v79, off, s[24:27], 0 offset:376 ; 4-byte Folded Reload
	buffer_load_dword v80, off, s[24:27], 0 offset:380 ; 4-byte Folded Reload
	s_waitcnt lgkmcnt(0)
	v_mul_f64 v[91:92], v[87:88], v[95:96]
	v_fma_f64 v[91:92], v[85:86], v[125:126], -v[91:92]
	v_mul_f64 v[85:86], v[85:86], v[95:96]
	v_fma_f64 v[85:86], v[87:88], v[125:126], v[85:86]
	s_waitcnt vmcnt(2)
	v_add_f64 v[77:78], v[77:78], -v[91:92]
	s_waitcnt vmcnt(0)
	v_add_f64 v[79:80], v[79:80], -v[85:86]
	buffer_store_dword v77, off, s[24:27], 0 offset:368 ; 4-byte Folded Spill
	s_nop 0
	buffer_store_dword v78, off, s[24:27], 0 offset:372 ; 4-byte Folded Spill
	buffer_store_dword v79, off, s[24:27], 0 offset:376 ; 4-byte Folded Spill
	buffer_store_dword v80, off, s[24:27], 0 offset:380 ; 4-byte Folded Spill
	ds_read2_b64 v[85:88], v0 offset0:24 offset1:25
	buffer_load_dword v77, off, s[24:27], 0 offset:352 ; 4-byte Folded Reload
	buffer_load_dword v78, off, s[24:27], 0 offset:356 ; 4-byte Folded Reload
	buffer_load_dword v79, off, s[24:27], 0 offset:360 ; 4-byte Folded Reload
	buffer_load_dword v80, off, s[24:27], 0 offset:364 ; 4-byte Folded Reload
	s_waitcnt lgkmcnt(0)
	v_mul_f64 v[91:92], v[87:88], v[95:96]
	v_fma_f64 v[91:92], v[85:86], v[125:126], -v[91:92]
	v_mul_f64 v[85:86], v[85:86], v[95:96]
	v_fma_f64 v[85:86], v[87:88], v[125:126], v[85:86]
	s_waitcnt vmcnt(2)
	v_add_f64 v[77:78], v[77:78], -v[91:92]
	s_waitcnt vmcnt(0)
	v_add_f64 v[79:80], v[79:80], -v[85:86]
	buffer_store_dword v77, off, s[24:27], 0 offset:352 ; 4-byte Folded Spill
	s_nop 0
	buffer_store_dword v78, off, s[24:27], 0 offset:356 ; 4-byte Folded Spill
	buffer_store_dword v79, off, s[24:27], 0 offset:360 ; 4-byte Folded Spill
	buffer_store_dword v80, off, s[24:27], 0 offset:364 ; 4-byte Folded Spill
	ds_read2_b64 v[85:88], v0 offset0:26 offset1:27
	buffer_load_dword v77, off, s[24:27], 0 offset:336 ; 4-byte Folded Reload
	buffer_load_dword v78, off, s[24:27], 0 offset:340 ; 4-byte Folded Reload
	buffer_load_dword v79, off, s[24:27], 0 offset:344 ; 4-byte Folded Reload
	buffer_load_dword v80, off, s[24:27], 0 offset:348 ; 4-byte Folded Reload
	s_waitcnt lgkmcnt(0)
	v_mul_f64 v[91:92], v[87:88], v[95:96]
	v_fma_f64 v[91:92], v[85:86], v[125:126], -v[91:92]
	v_mul_f64 v[85:86], v[85:86], v[95:96]
	v_fma_f64 v[85:86], v[87:88], v[125:126], v[85:86]
	s_waitcnt vmcnt(2)
	v_add_f64 v[77:78], v[77:78], -v[91:92]
	s_waitcnt vmcnt(0)
	v_add_f64 v[79:80], v[79:80], -v[85:86]
	buffer_store_dword v77, off, s[24:27], 0 offset:336 ; 4-byte Folded Spill
	s_nop 0
	buffer_store_dword v78, off, s[24:27], 0 offset:340 ; 4-byte Folded Spill
	buffer_store_dword v79, off, s[24:27], 0 offset:344 ; 4-byte Folded Spill
	buffer_store_dword v80, off, s[24:27], 0 offset:348 ; 4-byte Folded Spill
	ds_read2_b64 v[85:88], v0 offset0:28 offset1:29
	buffer_load_dword v77, off, s[24:27], 0 offset:320 ; 4-byte Folded Reload
	buffer_load_dword v78, off, s[24:27], 0 offset:324 ; 4-byte Folded Reload
	buffer_load_dword v79, off, s[24:27], 0 offset:328 ; 4-byte Folded Reload
	buffer_load_dword v80, off, s[24:27], 0 offset:332 ; 4-byte Folded Reload
	s_waitcnt lgkmcnt(0)
	v_mul_f64 v[91:92], v[87:88], v[95:96]
	v_fma_f64 v[91:92], v[85:86], v[125:126], -v[91:92]
	v_mul_f64 v[85:86], v[85:86], v[95:96]
	v_fma_f64 v[85:86], v[87:88], v[125:126], v[85:86]
	s_waitcnt vmcnt(2)
	v_add_f64 v[77:78], v[77:78], -v[91:92]
	s_waitcnt vmcnt(0)
	v_add_f64 v[79:80], v[79:80], -v[85:86]
	buffer_store_dword v77, off, s[24:27], 0 offset:320 ; 4-byte Folded Spill
	s_nop 0
	buffer_store_dword v78, off, s[24:27], 0 offset:324 ; 4-byte Folded Spill
	buffer_store_dword v79, off, s[24:27], 0 offset:328 ; 4-byte Folded Spill
	buffer_store_dword v80, off, s[24:27], 0 offset:332 ; 4-byte Folded Spill
	ds_read2_b64 v[85:88], v0 offset0:30 offset1:31
	buffer_load_dword v77, off, s[24:27], 0 offset:304 ; 4-byte Folded Reload
	buffer_load_dword v78, off, s[24:27], 0 offset:308 ; 4-byte Folded Reload
	buffer_load_dword v79, off, s[24:27], 0 offset:312 ; 4-byte Folded Reload
	buffer_load_dword v80, off, s[24:27], 0 offset:316 ; 4-byte Folded Reload
	s_waitcnt lgkmcnt(0)
	v_mul_f64 v[91:92], v[87:88], v[95:96]
	v_fma_f64 v[91:92], v[85:86], v[125:126], -v[91:92]
	v_mul_f64 v[85:86], v[85:86], v[95:96]
	v_fma_f64 v[85:86], v[87:88], v[125:126], v[85:86]
	s_waitcnt vmcnt(2)
	v_add_f64 v[77:78], v[77:78], -v[91:92]
	s_waitcnt vmcnt(0)
	v_add_f64 v[79:80], v[79:80], -v[85:86]
	buffer_store_dword v77, off, s[24:27], 0 offset:304 ; 4-byte Folded Spill
	s_nop 0
	buffer_store_dword v78, off, s[24:27], 0 offset:308 ; 4-byte Folded Spill
	buffer_store_dword v79, off, s[24:27], 0 offset:312 ; 4-byte Folded Spill
	buffer_store_dword v80, off, s[24:27], 0 offset:316 ; 4-byte Folded Spill
	ds_read2_b64 v[85:88], v0 offset0:32 offset1:33
	buffer_load_dword v77, off, s[24:27], 0 offset:288 ; 4-byte Folded Reload
	buffer_load_dword v78, off, s[24:27], 0 offset:292 ; 4-byte Folded Reload
	buffer_load_dword v79, off, s[24:27], 0 offset:296 ; 4-byte Folded Reload
	buffer_load_dword v80, off, s[24:27], 0 offset:300 ; 4-byte Folded Reload
	s_waitcnt lgkmcnt(0)
	v_mul_f64 v[91:92], v[87:88], v[95:96]
	v_fma_f64 v[91:92], v[85:86], v[125:126], -v[91:92]
	v_mul_f64 v[85:86], v[85:86], v[95:96]
	v_fma_f64 v[85:86], v[87:88], v[125:126], v[85:86]
	s_waitcnt vmcnt(2)
	v_add_f64 v[77:78], v[77:78], -v[91:92]
	s_waitcnt vmcnt(0)
	v_add_f64 v[79:80], v[79:80], -v[85:86]
	buffer_store_dword v77, off, s[24:27], 0 offset:288 ; 4-byte Folded Spill
	s_nop 0
	buffer_store_dword v78, off, s[24:27], 0 offset:292 ; 4-byte Folded Spill
	buffer_store_dword v79, off, s[24:27], 0 offset:296 ; 4-byte Folded Spill
	buffer_store_dword v80, off, s[24:27], 0 offset:300 ; 4-byte Folded Spill
	ds_read2_b64 v[85:88], v0 offset0:34 offset1:35
	buffer_load_dword v77, off, s[24:27], 0 offset:272 ; 4-byte Folded Reload
	buffer_load_dword v78, off, s[24:27], 0 offset:276 ; 4-byte Folded Reload
	buffer_load_dword v79, off, s[24:27], 0 offset:280 ; 4-byte Folded Reload
	buffer_load_dword v80, off, s[24:27], 0 offset:284 ; 4-byte Folded Reload
	s_waitcnt lgkmcnt(0)
	v_mul_f64 v[91:92], v[87:88], v[95:96]
	v_fma_f64 v[91:92], v[85:86], v[125:126], -v[91:92]
	v_mul_f64 v[85:86], v[85:86], v[95:96]
	v_fma_f64 v[85:86], v[87:88], v[125:126], v[85:86]
	s_waitcnt vmcnt(2)
	v_add_f64 v[77:78], v[77:78], -v[91:92]
	s_waitcnt vmcnt(0)
	v_add_f64 v[79:80], v[79:80], -v[85:86]
	buffer_store_dword v77, off, s[24:27], 0 offset:272 ; 4-byte Folded Spill
	s_nop 0
	buffer_store_dword v78, off, s[24:27], 0 offset:276 ; 4-byte Folded Spill
	buffer_store_dword v79, off, s[24:27], 0 offset:280 ; 4-byte Folded Spill
	buffer_store_dword v80, off, s[24:27], 0 offset:284 ; 4-byte Folded Spill
	ds_read2_b64 v[85:88], v0 offset0:36 offset1:37
	buffer_load_dword v77, off, s[24:27], 0 offset:256 ; 4-byte Folded Reload
	buffer_load_dword v78, off, s[24:27], 0 offset:260 ; 4-byte Folded Reload
	buffer_load_dword v79, off, s[24:27], 0 offset:264 ; 4-byte Folded Reload
	buffer_load_dword v80, off, s[24:27], 0 offset:268 ; 4-byte Folded Reload
	s_waitcnt lgkmcnt(0)
	v_mul_f64 v[91:92], v[87:88], v[95:96]
	v_fma_f64 v[91:92], v[85:86], v[125:126], -v[91:92]
	v_mul_f64 v[85:86], v[85:86], v[95:96]
	v_fma_f64 v[85:86], v[87:88], v[125:126], v[85:86]
	s_waitcnt vmcnt(2)
	v_add_f64 v[77:78], v[77:78], -v[91:92]
	s_waitcnt vmcnt(0)
	v_add_f64 v[79:80], v[79:80], -v[85:86]
	buffer_store_dword v77, off, s[24:27], 0 offset:256 ; 4-byte Folded Spill
	s_nop 0
	buffer_store_dword v78, off, s[24:27], 0 offset:260 ; 4-byte Folded Spill
	buffer_store_dword v79, off, s[24:27], 0 offset:264 ; 4-byte Folded Spill
	buffer_store_dword v80, off, s[24:27], 0 offset:268 ; 4-byte Folded Spill
	ds_read2_b64 v[85:88], v0 offset0:38 offset1:39
	buffer_load_dword v77, off, s[24:27], 0 offset:240 ; 4-byte Folded Reload
	buffer_load_dword v78, off, s[24:27], 0 offset:244 ; 4-byte Folded Reload
	buffer_load_dword v79, off, s[24:27], 0 offset:248 ; 4-byte Folded Reload
	buffer_load_dword v80, off, s[24:27], 0 offset:252 ; 4-byte Folded Reload
	s_waitcnt lgkmcnt(0)
	v_mul_f64 v[91:92], v[87:88], v[95:96]
	v_fma_f64 v[91:92], v[85:86], v[125:126], -v[91:92]
	v_mul_f64 v[85:86], v[85:86], v[95:96]
	v_fma_f64 v[85:86], v[87:88], v[125:126], v[85:86]
	s_waitcnt vmcnt(2)
	v_add_f64 v[77:78], v[77:78], -v[91:92]
	s_waitcnt vmcnt(0)
	v_add_f64 v[79:80], v[79:80], -v[85:86]
	buffer_store_dword v77, off, s[24:27], 0 offset:240 ; 4-byte Folded Spill
	s_nop 0
	buffer_store_dword v78, off, s[24:27], 0 offset:244 ; 4-byte Folded Spill
	buffer_store_dword v79, off, s[24:27], 0 offset:248 ; 4-byte Folded Spill
	buffer_store_dword v80, off, s[24:27], 0 offset:252 ; 4-byte Folded Spill
	ds_read2_b64 v[85:88], v0 offset0:40 offset1:41
	buffer_load_dword v77, off, s[24:27], 0 offset:224 ; 4-byte Folded Reload
	buffer_load_dword v78, off, s[24:27], 0 offset:228 ; 4-byte Folded Reload
	buffer_load_dword v79, off, s[24:27], 0 offset:232 ; 4-byte Folded Reload
	buffer_load_dword v80, off, s[24:27], 0 offset:236 ; 4-byte Folded Reload
	s_waitcnt lgkmcnt(0)
	v_mul_f64 v[91:92], v[87:88], v[95:96]
	v_fma_f64 v[91:92], v[85:86], v[125:126], -v[91:92]
	v_mul_f64 v[85:86], v[85:86], v[95:96]
	v_fma_f64 v[85:86], v[87:88], v[125:126], v[85:86]
	s_waitcnt vmcnt(2)
	v_add_f64 v[77:78], v[77:78], -v[91:92]
	s_waitcnt vmcnt(0)
	v_add_f64 v[79:80], v[79:80], -v[85:86]
	buffer_store_dword v77, off, s[24:27], 0 offset:224 ; 4-byte Folded Spill
	s_nop 0
	buffer_store_dword v78, off, s[24:27], 0 offset:228 ; 4-byte Folded Spill
	buffer_store_dword v79, off, s[24:27], 0 offset:232 ; 4-byte Folded Spill
	buffer_store_dword v80, off, s[24:27], 0 offset:236 ; 4-byte Folded Spill
	ds_read2_b64 v[85:88], v0 offset0:42 offset1:43
	buffer_load_dword v77, off, s[24:27], 0 offset:208 ; 4-byte Folded Reload
	buffer_load_dword v78, off, s[24:27], 0 offset:212 ; 4-byte Folded Reload
	buffer_load_dword v79, off, s[24:27], 0 offset:216 ; 4-byte Folded Reload
	buffer_load_dword v80, off, s[24:27], 0 offset:220 ; 4-byte Folded Reload
	s_waitcnt lgkmcnt(0)
	v_mul_f64 v[91:92], v[87:88], v[95:96]
	v_fma_f64 v[91:92], v[85:86], v[125:126], -v[91:92]
	v_mul_f64 v[85:86], v[85:86], v[95:96]
	v_fma_f64 v[85:86], v[87:88], v[125:126], v[85:86]
	s_waitcnt vmcnt(2)
	v_add_f64 v[77:78], v[77:78], -v[91:92]
	s_waitcnt vmcnt(0)
	v_add_f64 v[79:80], v[79:80], -v[85:86]
	buffer_store_dword v77, off, s[24:27], 0 offset:208 ; 4-byte Folded Spill
	s_nop 0
	buffer_store_dword v78, off, s[24:27], 0 offset:212 ; 4-byte Folded Spill
	buffer_store_dword v79, off, s[24:27], 0 offset:216 ; 4-byte Folded Spill
	buffer_store_dword v80, off, s[24:27], 0 offset:220 ; 4-byte Folded Spill
	ds_read2_b64 v[85:88], v0 offset0:44 offset1:45
	buffer_load_dword v77, off, s[24:27], 0 offset:192 ; 4-byte Folded Reload
	buffer_load_dword v78, off, s[24:27], 0 offset:196 ; 4-byte Folded Reload
	buffer_load_dword v79, off, s[24:27], 0 offset:200 ; 4-byte Folded Reload
	buffer_load_dword v80, off, s[24:27], 0 offset:204 ; 4-byte Folded Reload
	s_waitcnt lgkmcnt(0)
	v_mul_f64 v[91:92], v[87:88], v[95:96]
	v_fma_f64 v[91:92], v[85:86], v[125:126], -v[91:92]
	v_mul_f64 v[85:86], v[85:86], v[95:96]
	v_fma_f64 v[85:86], v[87:88], v[125:126], v[85:86]
	s_waitcnt vmcnt(2)
	v_add_f64 v[77:78], v[77:78], -v[91:92]
	s_waitcnt vmcnt(0)
	v_add_f64 v[79:80], v[79:80], -v[85:86]
	buffer_store_dword v77, off, s[24:27], 0 offset:192 ; 4-byte Folded Spill
	s_nop 0
	buffer_store_dword v78, off, s[24:27], 0 offset:196 ; 4-byte Folded Spill
	buffer_store_dword v79, off, s[24:27], 0 offset:200 ; 4-byte Folded Spill
	buffer_store_dword v80, off, s[24:27], 0 offset:204 ; 4-byte Folded Spill
	ds_read2_b64 v[85:88], v0 offset0:46 offset1:47
	buffer_load_dword v77, off, s[24:27], 0 offset:176 ; 4-byte Folded Reload
	buffer_load_dword v78, off, s[24:27], 0 offset:180 ; 4-byte Folded Reload
	buffer_load_dword v79, off, s[24:27], 0 offset:184 ; 4-byte Folded Reload
	buffer_load_dword v80, off, s[24:27], 0 offset:188 ; 4-byte Folded Reload
	s_waitcnt lgkmcnt(0)
	v_mul_f64 v[91:92], v[87:88], v[95:96]
	v_fma_f64 v[91:92], v[85:86], v[125:126], -v[91:92]
	v_mul_f64 v[85:86], v[85:86], v[95:96]
	v_fma_f64 v[85:86], v[87:88], v[125:126], v[85:86]
	s_waitcnt vmcnt(2)
	v_add_f64 v[77:78], v[77:78], -v[91:92]
	s_waitcnt vmcnt(0)
	v_add_f64 v[79:80], v[79:80], -v[85:86]
	buffer_store_dword v77, off, s[24:27], 0 offset:176 ; 4-byte Folded Spill
	s_nop 0
	buffer_store_dword v78, off, s[24:27], 0 offset:180 ; 4-byte Folded Spill
	buffer_store_dword v79, off, s[24:27], 0 offset:184 ; 4-byte Folded Spill
	buffer_store_dword v80, off, s[24:27], 0 offset:188 ; 4-byte Folded Spill
	ds_read2_b64 v[85:88], v0 offset0:48 offset1:49
	buffer_load_dword v77, off, s[24:27], 0 offset:160 ; 4-byte Folded Reload
	buffer_load_dword v78, off, s[24:27], 0 offset:164 ; 4-byte Folded Reload
	buffer_load_dword v79, off, s[24:27], 0 offset:168 ; 4-byte Folded Reload
	buffer_load_dword v80, off, s[24:27], 0 offset:172 ; 4-byte Folded Reload
	s_waitcnt lgkmcnt(0)
	v_mul_f64 v[91:92], v[87:88], v[95:96]
	v_fma_f64 v[91:92], v[85:86], v[125:126], -v[91:92]
	v_mul_f64 v[85:86], v[85:86], v[95:96]
	v_fma_f64 v[85:86], v[87:88], v[125:126], v[85:86]
	s_waitcnt vmcnt(2)
	v_add_f64 v[77:78], v[77:78], -v[91:92]
	s_waitcnt vmcnt(0)
	v_add_f64 v[79:80], v[79:80], -v[85:86]
	buffer_store_dword v77, off, s[24:27], 0 offset:160 ; 4-byte Folded Spill
	s_nop 0
	buffer_store_dword v78, off, s[24:27], 0 offset:164 ; 4-byte Folded Spill
	buffer_store_dword v79, off, s[24:27], 0 offset:168 ; 4-byte Folded Spill
	buffer_store_dword v80, off, s[24:27], 0 offset:172 ; 4-byte Folded Spill
	ds_read2_b64 v[85:88], v0 offset0:50 offset1:51
	buffer_load_dword v77, off, s[24:27], 0 offset:144 ; 4-byte Folded Reload
	buffer_load_dword v78, off, s[24:27], 0 offset:148 ; 4-byte Folded Reload
	buffer_load_dword v79, off, s[24:27], 0 offset:152 ; 4-byte Folded Reload
	buffer_load_dword v80, off, s[24:27], 0 offset:156 ; 4-byte Folded Reload
	s_waitcnt lgkmcnt(0)
	v_mul_f64 v[91:92], v[87:88], v[95:96]
	v_fma_f64 v[91:92], v[85:86], v[125:126], -v[91:92]
	v_mul_f64 v[85:86], v[85:86], v[95:96]
	v_fma_f64 v[85:86], v[87:88], v[125:126], v[85:86]
	s_waitcnt vmcnt(2)
	v_add_f64 v[77:78], v[77:78], -v[91:92]
	s_waitcnt vmcnt(0)
	v_add_f64 v[79:80], v[79:80], -v[85:86]
	buffer_store_dword v77, off, s[24:27], 0 offset:144 ; 4-byte Folded Spill
	s_nop 0
	buffer_store_dword v78, off, s[24:27], 0 offset:148 ; 4-byte Folded Spill
	buffer_store_dword v79, off, s[24:27], 0 offset:152 ; 4-byte Folded Spill
	buffer_store_dword v80, off, s[24:27], 0 offset:156 ; 4-byte Folded Spill
	ds_read2_b64 v[85:88], v0 offset0:52 offset1:53
	buffer_load_dword v77, off, s[24:27], 0 offset:128 ; 4-byte Folded Reload
	buffer_load_dword v78, off, s[24:27], 0 offset:132 ; 4-byte Folded Reload
	buffer_load_dword v79, off, s[24:27], 0 offset:136 ; 4-byte Folded Reload
	buffer_load_dword v80, off, s[24:27], 0 offset:140 ; 4-byte Folded Reload
	s_waitcnt lgkmcnt(0)
	v_mul_f64 v[91:92], v[87:88], v[95:96]
	v_fma_f64 v[91:92], v[85:86], v[125:126], -v[91:92]
	v_mul_f64 v[85:86], v[85:86], v[95:96]
	v_fma_f64 v[85:86], v[87:88], v[125:126], v[85:86]
	s_waitcnt vmcnt(2)
	v_add_f64 v[77:78], v[77:78], -v[91:92]
	s_waitcnt vmcnt(0)
	v_add_f64 v[79:80], v[79:80], -v[85:86]
	buffer_store_dword v77, off, s[24:27], 0 offset:128 ; 4-byte Folded Spill
	s_nop 0
	buffer_store_dword v78, off, s[24:27], 0 offset:132 ; 4-byte Folded Spill
	buffer_store_dword v79, off, s[24:27], 0 offset:136 ; 4-byte Folded Spill
	buffer_store_dword v80, off, s[24:27], 0 offset:140 ; 4-byte Folded Spill
	ds_read2_b64 v[85:88], v0 offset0:54 offset1:55
	buffer_load_dword v77, off, s[24:27], 0 offset:112 ; 4-byte Folded Reload
	buffer_load_dword v78, off, s[24:27], 0 offset:116 ; 4-byte Folded Reload
	buffer_load_dword v79, off, s[24:27], 0 offset:120 ; 4-byte Folded Reload
	buffer_load_dword v80, off, s[24:27], 0 offset:124 ; 4-byte Folded Reload
	s_waitcnt lgkmcnt(0)
	v_mul_f64 v[91:92], v[87:88], v[95:96]
	v_fma_f64 v[91:92], v[85:86], v[125:126], -v[91:92]
	v_mul_f64 v[85:86], v[85:86], v[95:96]
	v_fma_f64 v[85:86], v[87:88], v[125:126], v[85:86]
	s_waitcnt vmcnt(2)
	v_add_f64 v[77:78], v[77:78], -v[91:92]
	s_waitcnt vmcnt(0)
	v_add_f64 v[79:80], v[79:80], -v[85:86]
	buffer_store_dword v77, off, s[24:27], 0 offset:112 ; 4-byte Folded Spill
	s_nop 0
	buffer_store_dword v78, off, s[24:27], 0 offset:116 ; 4-byte Folded Spill
	buffer_store_dword v79, off, s[24:27], 0 offset:120 ; 4-byte Folded Spill
	buffer_store_dword v80, off, s[24:27], 0 offset:124 ; 4-byte Folded Spill
	ds_read2_b64 v[85:88], v0 offset0:56 offset1:57
	buffer_load_dword v77, off, s[24:27], 0 offset:96 ; 4-byte Folded Reload
	buffer_load_dword v78, off, s[24:27], 0 offset:100 ; 4-byte Folded Reload
	buffer_load_dword v79, off, s[24:27], 0 offset:104 ; 4-byte Folded Reload
	buffer_load_dword v80, off, s[24:27], 0 offset:108 ; 4-byte Folded Reload
	s_waitcnt lgkmcnt(0)
	v_mul_f64 v[91:92], v[87:88], v[95:96]
	v_fma_f64 v[91:92], v[85:86], v[125:126], -v[91:92]
	v_mul_f64 v[85:86], v[85:86], v[95:96]
	v_fma_f64 v[85:86], v[87:88], v[125:126], v[85:86]
	s_waitcnt vmcnt(2)
	v_add_f64 v[77:78], v[77:78], -v[91:92]
	s_waitcnt vmcnt(0)
	v_add_f64 v[79:80], v[79:80], -v[85:86]
	buffer_store_dword v77, off, s[24:27], 0 offset:96 ; 4-byte Folded Spill
	s_nop 0
	buffer_store_dword v78, off, s[24:27], 0 offset:100 ; 4-byte Folded Spill
	buffer_store_dword v79, off, s[24:27], 0 offset:104 ; 4-byte Folded Spill
	buffer_store_dword v80, off, s[24:27], 0 offset:108 ; 4-byte Folded Spill
	ds_read2_b64 v[85:88], v0 offset0:58 offset1:59
	buffer_load_dword v77, off, s[24:27], 0 offset:80 ; 4-byte Folded Reload
	buffer_load_dword v78, off, s[24:27], 0 offset:84 ; 4-byte Folded Reload
	buffer_load_dword v79, off, s[24:27], 0 offset:88 ; 4-byte Folded Reload
	buffer_load_dword v80, off, s[24:27], 0 offset:92 ; 4-byte Folded Reload
	s_waitcnt lgkmcnt(0)
	v_mul_f64 v[91:92], v[87:88], v[95:96]
	v_fma_f64 v[91:92], v[85:86], v[125:126], -v[91:92]
	v_mul_f64 v[85:86], v[85:86], v[95:96]
	v_fma_f64 v[85:86], v[87:88], v[125:126], v[85:86]
	s_waitcnt vmcnt(2)
	v_add_f64 v[77:78], v[77:78], -v[91:92]
	s_waitcnt vmcnt(0)
	v_add_f64 v[79:80], v[79:80], -v[85:86]
	buffer_store_dword v77, off, s[24:27], 0 offset:80 ; 4-byte Folded Spill
	s_nop 0
	buffer_store_dword v78, off, s[24:27], 0 offset:84 ; 4-byte Folded Spill
	buffer_store_dword v79, off, s[24:27], 0 offset:88 ; 4-byte Folded Spill
	buffer_store_dword v80, off, s[24:27], 0 offset:92 ; 4-byte Folded Spill
	ds_read2_b64 v[85:88], v0 offset0:60 offset1:61
	buffer_load_dword v77, off, s[24:27], 0 offset:64 ; 4-byte Folded Reload
	buffer_load_dword v78, off, s[24:27], 0 offset:68 ; 4-byte Folded Reload
	buffer_load_dword v79, off, s[24:27], 0 offset:72 ; 4-byte Folded Reload
	buffer_load_dword v80, off, s[24:27], 0 offset:76 ; 4-byte Folded Reload
	s_waitcnt lgkmcnt(0)
	v_mul_f64 v[91:92], v[87:88], v[95:96]
	v_fma_f64 v[91:92], v[85:86], v[125:126], -v[91:92]
	v_mul_f64 v[85:86], v[85:86], v[95:96]
	v_fma_f64 v[85:86], v[87:88], v[125:126], v[85:86]
	s_waitcnt vmcnt(2)
	v_add_f64 v[77:78], v[77:78], -v[91:92]
	s_waitcnt vmcnt(0)
	v_add_f64 v[79:80], v[79:80], -v[85:86]
	buffer_store_dword v77, off, s[24:27], 0 offset:64 ; 4-byte Folded Spill
	s_nop 0
	buffer_store_dword v78, off, s[24:27], 0 offset:68 ; 4-byte Folded Spill
	buffer_store_dword v79, off, s[24:27], 0 offset:72 ; 4-byte Folded Spill
	buffer_store_dword v80, off, s[24:27], 0 offset:76 ; 4-byte Folded Spill
	ds_read2_b64 v[85:88], v0 offset0:62 offset1:63
	buffer_load_dword v77, off, s[24:27], 0 offset:48 ; 4-byte Folded Reload
	buffer_load_dword v78, off, s[24:27], 0 offset:52 ; 4-byte Folded Reload
	buffer_load_dword v79, off, s[24:27], 0 offset:56 ; 4-byte Folded Reload
	buffer_load_dword v80, off, s[24:27], 0 offset:60 ; 4-byte Folded Reload
	s_waitcnt lgkmcnt(0)
	v_mul_f64 v[91:92], v[87:88], v[95:96]
	v_fma_f64 v[91:92], v[85:86], v[125:126], -v[91:92]
	v_mul_f64 v[85:86], v[85:86], v[95:96]
	v_fma_f64 v[85:86], v[87:88], v[125:126], v[85:86]
	s_waitcnt vmcnt(2)
	v_add_f64 v[77:78], v[77:78], -v[91:92]
	s_waitcnt vmcnt(0)
	v_add_f64 v[79:80], v[79:80], -v[85:86]
	buffer_store_dword v77, off, s[24:27], 0 offset:48 ; 4-byte Folded Spill
	s_nop 0
	buffer_store_dword v78, off, s[24:27], 0 offset:52 ; 4-byte Folded Spill
	buffer_store_dword v79, off, s[24:27], 0 offset:56 ; 4-byte Folded Spill
	buffer_store_dword v80, off, s[24:27], 0 offset:60 ; 4-byte Folded Spill
	ds_read2_b64 v[85:88], v0 offset0:64 offset1:65
	buffer_load_dword v77, off, s[24:27], 0 offset:32 ; 4-byte Folded Reload
	buffer_load_dword v78, off, s[24:27], 0 offset:36 ; 4-byte Folded Reload
	buffer_load_dword v79, off, s[24:27], 0 offset:40 ; 4-byte Folded Reload
	buffer_load_dword v80, off, s[24:27], 0 offset:44 ; 4-byte Folded Reload
	s_waitcnt lgkmcnt(0)
	v_mul_f64 v[91:92], v[87:88], v[95:96]
	v_fma_f64 v[91:92], v[85:86], v[125:126], -v[91:92]
	v_mul_f64 v[85:86], v[85:86], v[95:96]
	v_fma_f64 v[85:86], v[87:88], v[125:126], v[85:86]
	s_waitcnt vmcnt(2)
	v_add_f64 v[77:78], v[77:78], -v[91:92]
	s_waitcnt vmcnt(0)
	v_add_f64 v[79:80], v[79:80], -v[85:86]
	buffer_store_dword v77, off, s[24:27], 0 offset:32 ; 4-byte Folded Spill
	s_nop 0
	buffer_store_dword v78, off, s[24:27], 0 offset:36 ; 4-byte Folded Spill
	buffer_store_dword v79, off, s[24:27], 0 offset:40 ; 4-byte Folded Spill
	buffer_store_dword v80, off, s[24:27], 0 offset:44 ; 4-byte Folded Spill
	ds_read2_b64 v[85:88], v0 offset0:66 offset1:67
	buffer_load_dword v77, off, s[24:27], 0 offset:16 ; 4-byte Folded Reload
	buffer_load_dword v78, off, s[24:27], 0 offset:20 ; 4-byte Folded Reload
	buffer_load_dword v79, off, s[24:27], 0 offset:24 ; 4-byte Folded Reload
	buffer_load_dword v80, off, s[24:27], 0 offset:28 ; 4-byte Folded Reload
	s_waitcnt lgkmcnt(0)
	v_mul_f64 v[91:92], v[87:88], v[95:96]
	v_fma_f64 v[91:92], v[85:86], v[125:126], -v[91:92]
	v_mul_f64 v[85:86], v[85:86], v[95:96]
	v_fma_f64 v[85:86], v[87:88], v[125:126], v[85:86]
	s_waitcnt vmcnt(2)
	v_add_f64 v[77:78], v[77:78], -v[91:92]
	s_waitcnt vmcnt(0)
	v_add_f64 v[79:80], v[79:80], -v[85:86]
	buffer_store_dword v77, off, s[24:27], 0 offset:16 ; 4-byte Folded Spill
	s_nop 0
	buffer_store_dword v78, off, s[24:27], 0 offset:20 ; 4-byte Folded Spill
	buffer_store_dword v79, off, s[24:27], 0 offset:24 ; 4-byte Folded Spill
	buffer_store_dword v80, off, s[24:27], 0 offset:28 ; 4-byte Folded Spill
	ds_read2_b64 v[85:88], v0 offset0:68 offset1:69
	s_waitcnt lgkmcnt(0)
	v_mul_f64 v[91:92], v[87:88], v[95:96]
	v_fma_f64 v[91:92], v[85:86], v[125:126], -v[91:92]
	v_mul_f64 v[85:86], v[85:86], v[95:96]
	v_add_f64 v[81:82], v[81:82], -v[91:92]
	v_fma_f64 v[85:86], v[87:88], v[125:126], v[85:86]
	v_add_f64 v[83:84], v[83:84], -v[85:86]
	ds_read2_b64 v[85:88], v0 offset0:70 offset1:71
	s_waitcnt lgkmcnt(0)
	v_mul_f64 v[91:92], v[87:88], v[95:96]
	v_fma_f64 v[91:92], v[85:86], v[125:126], -v[91:92]
	v_mul_f64 v[85:86], v[85:86], v[95:96]
	v_add_f64 v[113:114], v[113:114], -v[91:92]
	v_fma_f64 v[85:86], v[87:88], v[125:126], v[85:86]
	v_add_f64 v[115:116], v[115:116], -v[85:86]
	ds_read2_b64 v[85:88], v0 offset0:72 offset1:73
	s_waitcnt lgkmcnt(0)
	v_mul_f64 v[91:92], v[87:88], v[95:96]
	v_fma_f64 v[91:92], v[85:86], v[125:126], -v[91:92]
	v_mul_f64 v[85:86], v[85:86], v[95:96]
	v_add_f64 v[109:110], v[109:110], -v[91:92]
	v_fma_f64 v[85:86], v[87:88], v[125:126], v[85:86]
	v_add_f64 v[111:112], v[111:112], -v[85:86]
	ds_read2_b64 v[85:88], v0 offset0:74 offset1:75
	s_waitcnt lgkmcnt(0)
	v_mul_f64 v[91:92], v[87:88], v[95:96]
	v_fma_f64 v[91:92], v[85:86], v[125:126], -v[91:92]
	v_mul_f64 v[85:86], v[85:86], v[95:96]
	v_add_f64 v[105:106], v[105:106], -v[91:92]
	v_fma_f64 v[85:86], v[87:88], v[125:126], v[85:86]
	v_add_f64 v[107:108], v[107:108], -v[85:86]
	ds_read2_b64 v[85:88], v0 offset0:76 offset1:77
	buffer_load_dword v77, off, s[24:27], 0 ; 4-byte Folded Reload
	buffer_load_dword v78, off, s[24:27], 0 offset:4 ; 4-byte Folded Reload
	buffer_load_dword v79, off, s[24:27], 0 offset:8 ; 4-byte Folded Reload
	buffer_load_dword v80, off, s[24:27], 0 offset:12 ; 4-byte Folded Reload
	s_waitcnt lgkmcnt(0)
	v_mul_f64 v[91:92], v[87:88], v[95:96]
	v_fma_f64 v[91:92], v[85:86], v[125:126], -v[91:92]
	v_mul_f64 v[85:86], v[85:86], v[95:96]
	v_fma_f64 v[85:86], v[87:88], v[125:126], v[85:86]
	s_waitcnt vmcnt(2)
	v_add_f64 v[77:78], v[77:78], -v[91:92]
	s_waitcnt vmcnt(0)
	v_add_f64 v[79:80], v[79:80], -v[85:86]
	buffer_store_dword v77, off, s[24:27], 0 ; 4-byte Folded Spill
	s_nop 0
	buffer_store_dword v78, off, s[24:27], 0 offset:4 ; 4-byte Folded Spill
	buffer_store_dword v79, off, s[24:27], 0 offset:8 ; 4-byte Folded Spill
	;; [unrolled: 1-line block ×3, first 2 shown]
	ds_read2_b64 v[85:88], v0 offset0:78 offset1:79
	s_waitcnt lgkmcnt(0)
	v_mul_f64 v[91:92], v[87:88], v[95:96]
	v_fma_f64 v[91:92], v[85:86], v[125:126], -v[91:92]
	v_mul_f64 v[85:86], v[85:86], v[95:96]
	v_add_f64 v[73:74], v[73:74], -v[91:92]
	v_fma_f64 v[85:86], v[87:88], v[125:126], v[85:86]
	v_add_f64 v[75:76], v[75:76], -v[85:86]
	ds_read2_b64 v[85:88], v0 offset0:80 offset1:81
	s_waitcnt lgkmcnt(0)
	v_mul_f64 v[91:92], v[87:88], v[95:96]
	v_fma_f64 v[91:92], v[85:86], v[125:126], -v[91:92]
	v_mul_f64 v[85:86], v[85:86], v[95:96]
	v_add_f64 v[69:70], v[69:70], -v[91:92]
	v_fma_f64 v[85:86], v[87:88], v[125:126], v[85:86]
	v_add_f64 v[71:72], v[71:72], -v[85:86]
	;; [unrolled: 8-line block ×18, first 2 shown]
	ds_read2_b64 v[85:88], v0 offset0:114 offset1:115
	s_waitcnt lgkmcnt(0)
	v_mul_f64 v[91:92], v[87:88], v[95:96]
	v_fma_f64 v[91:92], v[85:86], v[125:126], -v[91:92]
	v_mul_f64 v[85:86], v[85:86], v[95:96]
	v_add_f64 v[1:2], v[1:2], -v[91:92]
	v_fma_f64 v[85:86], v[87:88], v[125:126], v[85:86]
	ds_read2_b64 v[91:94], v0 offset0:116 offset1:117
	s_waitcnt lgkmcnt(0)
	v_mul_f64 v[87:88], v[91:92], v[95:96]
	v_add_f64 v[3:4], v[3:4], -v[85:86]
	v_mul_f64 v[85:86], v[93:94], v[95:96]
	v_fma_f64 v[87:88], v[93:94], v[125:126], v[87:88]
	v_mov_b32_e32 v93, v125
	v_mov_b32_e32 v94, v126
	v_fma_f64 v[85:86], v[91:92], v[125:126], -v[85:86]
	buffer_store_dword v93, off, s[24:27], 0 offset:452 ; 4-byte Folded Spill
	s_nop 0
	buffer_store_dword v94, off, s[24:27], 0 offset:456 ; 4-byte Folded Spill
	buffer_store_dword v95, off, s[24:27], 0 offset:460 ; 4-byte Folded Spill
	;; [unrolled: 1-line block ×3, first 2 shown]
	v_add_f64 v[123:124], v[123:124], -v[87:88]
	v_add_f64 v[121:122], v[121:122], -v[85:86]
.LBB116_146:
	s_or_b64 exec, exec, s[0:1]
	s_waitcnt vmcnt(0)
	s_barrier
	buffer_load_dword v77, off, s[24:27], 0 offset:436 ; 4-byte Folded Reload
	buffer_load_dword v78, off, s[24:27], 0 offset:440 ; 4-byte Folded Reload
	;; [unrolled: 1-line block ×4, first 2 shown]
	v_lshl_add_u32 v85, v89, 4, v0
	s_cmp_lt_i32 s3, 9
	s_waitcnt vmcnt(0)
	ds_write2_b64 v85, v[77:78], v[79:80] offset1:1
	s_waitcnt lgkmcnt(0)
	s_barrier
	ds_read2_b64 v[117:120], v0 offset0:14 offset1:15
	v_mov_b32_e32 v85, 7
	s_cbranch_scc1 .LBB116_149
; %bb.147:
	v_add_u32_e32 v86, 0x80, v0
	s_mov_b32 s0, 8
	v_mov_b32_e32 v85, 7
.LBB116_148:                            ; =>This Inner Loop Header: Depth=1
	s_waitcnt lgkmcnt(0)
	v_cmp_gt_f64_e32 vcc, 0, v[117:118]
	v_xor_b32_e32 v87, 0x80000000, v118
	ds_read2_b64 v[91:94], v86 offset1:1
	v_xor_b32_e32 v95, 0x80000000, v120
	v_add_u32_e32 v86, 16, v86
	s_waitcnt lgkmcnt(0)
	v_xor_b32_e32 v97, 0x80000000, v94
	v_cndmask_b32_e32 v88, v118, v87, vcc
	v_cmp_gt_f64_e32 vcc, 0, v[119:120]
	v_mov_b32_e32 v87, v117
	v_cndmask_b32_e32 v96, v120, v95, vcc
	v_cmp_gt_f64_e32 vcc, 0, v[91:92]
	v_mov_b32_e32 v95, v119
	v_add_f64 v[87:88], v[87:88], v[95:96]
	v_xor_b32_e32 v95, 0x80000000, v92
	v_cndmask_b32_e32 v96, v92, v95, vcc
	v_cmp_gt_f64_e32 vcc, 0, v[93:94]
	v_mov_b32_e32 v95, v91
	v_cndmask_b32_e32 v98, v94, v97, vcc
	v_mov_b32_e32 v97, v93
	v_add_f64 v[95:96], v[95:96], v[97:98]
	v_cmp_lt_f64_e32 vcc, v[87:88], v[95:96]
	v_mov_b32_e32 v87, s0
	s_add_i32 s0, s0, 1
	s_cmp_lg_u32 s3, s0
	v_cndmask_b32_e32 v118, v118, v92, vcc
	v_cndmask_b32_e32 v117, v117, v91, vcc
	;; [unrolled: 1-line block ×5, first 2 shown]
	s_cbranch_scc1 .LBB116_148
.LBB116_149:
	s_waitcnt lgkmcnt(0)
	v_cmp_eq_f64_e32 vcc, 0, v[117:118]
	v_cmp_eq_f64_e64 s[0:1], 0, v[119:120]
	s_and_b64 s[0:1], vcc, s[0:1]
	s_and_saveexec_b64 s[18:19], s[0:1]
	s_xor_b64 s[0:1], exec, s[18:19]
; %bb.150:
	v_cmp_ne_u32_e32 vcc, 0, v90
	v_cndmask_b32_e32 v90, 8, v90, vcc
; %bb.151:
	s_andn2_saveexec_b64 s[0:1], s[0:1]
	s_cbranch_execz .LBB116_157
; %bb.152:
	v_cmp_ngt_f64_e64 s[18:19], |v[117:118]|, |v[119:120]|
	s_and_saveexec_b64 s[20:21], s[18:19]
	s_xor_b64 s[18:19], exec, s[20:21]
	s_cbranch_execz .LBB116_154
; %bb.153:
	v_div_scale_f64 v[86:87], s[20:21], v[119:120], v[119:120], v[117:118]
	v_rcp_f64_e32 v[91:92], v[86:87]
	v_fma_f64 v[93:94], -v[86:87], v[91:92], 1.0
	v_fma_f64 v[91:92], v[91:92], v[93:94], v[91:92]
	v_div_scale_f64 v[93:94], vcc, v[117:118], v[119:120], v[117:118]
	v_fma_f64 v[95:96], -v[86:87], v[91:92], 1.0
	v_fma_f64 v[91:92], v[91:92], v[95:96], v[91:92]
	v_mul_f64 v[95:96], v[93:94], v[91:92]
	v_fma_f64 v[86:87], -v[86:87], v[95:96], v[93:94]
	v_div_fmas_f64 v[86:87], v[86:87], v[91:92], v[95:96]
	v_div_fixup_f64 v[86:87], v[86:87], v[119:120], v[117:118]
	v_fma_f64 v[91:92], v[117:118], v[86:87], v[119:120]
	v_div_scale_f64 v[93:94], s[20:21], v[91:92], v[91:92], 1.0
	v_div_scale_f64 v[99:100], vcc, 1.0, v[91:92], 1.0
	v_rcp_f64_e32 v[95:96], v[93:94]
	v_fma_f64 v[97:98], -v[93:94], v[95:96], 1.0
	v_fma_f64 v[95:96], v[95:96], v[97:98], v[95:96]
	v_fma_f64 v[97:98], -v[93:94], v[95:96], 1.0
	v_fma_f64 v[95:96], v[95:96], v[97:98], v[95:96]
	v_mul_f64 v[97:98], v[99:100], v[95:96]
	v_fma_f64 v[93:94], -v[93:94], v[97:98], v[99:100]
	v_div_fmas_f64 v[93:94], v[93:94], v[95:96], v[97:98]
	v_div_fixup_f64 v[119:120], v[93:94], v[91:92], 1.0
	v_mul_f64 v[117:118], v[86:87], v[119:120]
	v_xor_b32_e32 v120, 0x80000000, v120
.LBB116_154:
	s_andn2_saveexec_b64 s[18:19], s[18:19]
	s_cbranch_execz .LBB116_156
; %bb.155:
	v_div_scale_f64 v[86:87], s[20:21], v[117:118], v[117:118], v[119:120]
	v_rcp_f64_e32 v[91:92], v[86:87]
	v_fma_f64 v[93:94], -v[86:87], v[91:92], 1.0
	v_fma_f64 v[91:92], v[91:92], v[93:94], v[91:92]
	v_div_scale_f64 v[93:94], vcc, v[119:120], v[117:118], v[119:120]
	v_fma_f64 v[95:96], -v[86:87], v[91:92], 1.0
	v_fma_f64 v[91:92], v[91:92], v[95:96], v[91:92]
	v_mul_f64 v[95:96], v[93:94], v[91:92]
	v_fma_f64 v[86:87], -v[86:87], v[95:96], v[93:94]
	v_div_fmas_f64 v[86:87], v[86:87], v[91:92], v[95:96]
	v_div_fixup_f64 v[86:87], v[86:87], v[117:118], v[119:120]
	v_fma_f64 v[91:92], v[119:120], v[86:87], v[117:118]
	v_div_scale_f64 v[93:94], s[20:21], v[91:92], v[91:92], 1.0
	v_div_scale_f64 v[99:100], vcc, 1.0, v[91:92], 1.0
	v_rcp_f64_e32 v[95:96], v[93:94]
	v_fma_f64 v[97:98], -v[93:94], v[95:96], 1.0
	v_fma_f64 v[95:96], v[95:96], v[97:98], v[95:96]
	v_fma_f64 v[97:98], -v[93:94], v[95:96], 1.0
	v_fma_f64 v[95:96], v[95:96], v[97:98], v[95:96]
	v_mul_f64 v[97:98], v[99:100], v[95:96]
	v_fma_f64 v[93:94], -v[93:94], v[97:98], v[99:100]
	v_div_fmas_f64 v[93:94], v[93:94], v[95:96], v[97:98]
	v_div_fixup_f64 v[117:118], v[93:94], v[91:92], 1.0
	v_mul_f64 v[119:120], v[86:87], -v[117:118]
.LBB116_156:
	s_or_b64 exec, exec, s[18:19]
.LBB116_157:
	s_or_b64 exec, exec, s[0:1]
	v_cmp_ne_u32_e32 vcc, v89, v85
	s_and_saveexec_b64 s[0:1], vcc
	s_xor_b64 s[0:1], exec, s[0:1]
	s_cbranch_execz .LBB116_163
; %bb.158:
	v_cmp_eq_u32_e32 vcc, 7, v89
	s_and_saveexec_b64 s[18:19], vcc
	s_cbranch_execz .LBB116_162
; %bb.159:
	v_cmp_ne_u32_e32 vcc, 7, v85
	s_xor_b64 s[20:21], s[6:7], -1
	s_and_b64 s[22:23], s[20:21], vcc
	s_and_saveexec_b64 s[20:21], s[22:23]
	s_cbranch_execz .LBB116_161
; %bb.160:
	v_mov_b32_e32 v77, v81
	v_mov_b32_e32 v78, v82
	;; [unrolled: 1-line block ×4, first 2 shown]
	buffer_load_dword v81, off, s[24:27], 0 offset:500 ; 4-byte Folded Reload
	buffer_load_dword v82, off, s[24:27], 0 offset:504 ; 4-byte Folded Reload
	v_ashrrev_i32_e32 v86, 31, v85
	v_lshlrev_b64 v[86:87], 2, v[85:86]
	s_waitcnt vmcnt(1)
	v_add_co_u32_e32 v86, vcc, v81, v86
	s_waitcnt vmcnt(0)
	v_addc_co_u32_e32 v87, vcc, v82, v87, vcc
	global_load_dword v88, v[86:87], off
	global_load_dword v89, v[81:82], off offset:28
	s_waitcnt vmcnt(1)
	global_store_dword v[81:82], v88, off offset:28
	v_mov_b32_e32 v84, v80
	v_mov_b32_e32 v83, v79
	;; [unrolled: 1-line block ×4, first 2 shown]
	s_waitcnt vmcnt(1)
	global_store_dword v[86:87], v89, off
.LBB116_161:
	s_or_b64 exec, exec, s[20:21]
	v_mov_b32_e32 v89, v85
	v_mov_b32_e32 v77, v85
	buffer_store_dword v77, off, s[24:27], 0 offset:432 ; 4-byte Folded Spill
.LBB116_162:
	s_or_b64 exec, exec, s[18:19]
.LBB116_163:
	s_andn2_saveexec_b64 s[0:1], s[0:1]
	s_cbranch_execz .LBB116_165
; %bb.164:
	buffer_load_dword v77, off, s[24:27], 0 offset:416 ; 4-byte Folded Reload
	buffer_load_dword v78, off, s[24:27], 0 offset:420 ; 4-byte Folded Reload
	;; [unrolled: 1-line block ×4, first 2 shown]
	v_mov_b32_e32 v89, 7
	s_waitcnt vmcnt(0)
	ds_write2_b64 v0, v[77:78], v[79:80] offset0:16 offset1:17
	buffer_load_dword v77, off, s[24:27], 0 offset:400 ; 4-byte Folded Reload
	buffer_load_dword v78, off, s[24:27], 0 offset:404 ; 4-byte Folded Reload
	buffer_load_dword v79, off, s[24:27], 0 offset:408 ; 4-byte Folded Reload
	buffer_load_dword v80, off, s[24:27], 0 offset:412 ; 4-byte Folded Reload
	s_waitcnt vmcnt(0)
	ds_write2_b64 v0, v[77:78], v[79:80] offset0:18 offset1:19
	buffer_load_dword v77, off, s[24:27], 0 offset:384 ; 4-byte Folded Reload
	buffer_load_dword v78, off, s[24:27], 0 offset:388 ; 4-byte Folded Reload
	buffer_load_dword v79, off, s[24:27], 0 offset:392 ; 4-byte Folded Reload
	buffer_load_dword v80, off, s[24:27], 0 offset:396 ; 4-byte Folded Reload
	;; [unrolled: 6-line block ×25, first 2 shown]
	s_waitcnt vmcnt(0)
	ds_write2_b64 v0, v[77:78], v[79:80] offset0:66 offset1:67
	ds_write2_b64 v0, v[81:82], v[83:84] offset0:68 offset1:69
	;; [unrolled: 1-line block ×5, first 2 shown]
	buffer_load_dword v77, off, s[24:27], 0 ; 4-byte Folded Reload
	buffer_load_dword v78, off, s[24:27], 0 offset:4 ; 4-byte Folded Reload
	buffer_load_dword v79, off, s[24:27], 0 offset:8 ; 4-byte Folded Reload
	buffer_load_dword v80, off, s[24:27], 0 offset:12 ; 4-byte Folded Reload
	s_waitcnt vmcnt(0)
	ds_write2_b64 v0, v[77:78], v[79:80] offset0:76 offset1:77
	ds_write2_b64 v0, v[73:74], v[75:76] offset0:78 offset1:79
	ds_write2_b64 v0, v[69:70], v[71:72] offset0:80 offset1:81
	ds_write2_b64 v0, v[65:66], v[67:68] offset0:82 offset1:83
	ds_write2_b64 v0, v[61:62], v[63:64] offset0:84 offset1:85
	ds_write2_b64 v0, v[57:58], v[59:60] offset0:86 offset1:87
	ds_write2_b64 v0, v[53:54], v[55:56] offset0:88 offset1:89
	ds_write2_b64 v0, v[49:50], v[51:52] offset0:90 offset1:91
	ds_write2_b64 v0, v[45:46], v[47:48] offset0:92 offset1:93
	ds_write2_b64 v0, v[41:42], v[43:44] offset0:94 offset1:95
	ds_write2_b64 v0, v[37:38], v[39:40] offset0:96 offset1:97
	ds_write2_b64 v0, v[33:34], v[35:36] offset0:98 offset1:99
	ds_write2_b64 v0, v[29:30], v[31:32] offset0:100 offset1:101
	ds_write2_b64 v0, v[25:26], v[27:28] offset0:102 offset1:103
	ds_write2_b64 v0, v[21:22], v[23:24] offset0:104 offset1:105
	ds_write2_b64 v0, v[17:18], v[19:20] offset0:106 offset1:107
	ds_write2_b64 v0, v[13:14], v[15:16] offset0:108 offset1:109
	ds_write2_b64 v0, v[9:10], v[11:12] offset0:110 offset1:111
	ds_write2_b64 v0, v[5:6], v[7:8] offset0:112 offset1:113
	ds_write2_b64 v0, v[1:2], v[3:4] offset0:114 offset1:115
	ds_write2_b64 v0, v[121:122], v[123:124] offset0:116 offset1:117
.LBB116_165:
	s_or_b64 exec, exec, s[0:1]
	v_cmp_lt_i32_e32 vcc, 7, v89
	s_waitcnt vmcnt(0) lgkmcnt(0)
	s_barrier
	s_and_saveexec_b64 s[0:1], vcc
	s_cbranch_execz .LBB116_167
; %bb.166:
	buffer_load_dword v93, off, s[24:27], 0 offset:436 ; 4-byte Folded Reload
	buffer_load_dword v94, off, s[24:27], 0 offset:440 ; 4-byte Folded Reload
	;; [unrolled: 1-line block ×4, first 2 shown]
	s_waitcnt vmcnt(0)
	v_mul_f64 v[85:86], v[119:120], v[95:96]
	v_fma_f64 v[125:126], v[117:118], v[93:94], -v[85:86]
	v_mul_f64 v[85:86], v[117:118], v[95:96]
	v_fma_f64 v[95:96], v[119:120], v[93:94], v[85:86]
	ds_read2_b64 v[85:88], v0 offset0:16 offset1:17
	buffer_load_dword v77, off, s[24:27], 0 offset:416 ; 4-byte Folded Reload
	buffer_load_dword v78, off, s[24:27], 0 offset:420 ; 4-byte Folded Reload
	buffer_load_dword v79, off, s[24:27], 0 offset:424 ; 4-byte Folded Reload
	buffer_load_dword v80, off, s[24:27], 0 offset:428 ; 4-byte Folded Reload
	s_waitcnt lgkmcnt(0)
	v_mul_f64 v[91:92], v[87:88], v[95:96]
	v_fma_f64 v[91:92], v[85:86], v[125:126], -v[91:92]
	v_mul_f64 v[85:86], v[85:86], v[95:96]
	v_fma_f64 v[85:86], v[87:88], v[125:126], v[85:86]
	s_waitcnt vmcnt(2)
	v_add_f64 v[77:78], v[77:78], -v[91:92]
	s_waitcnt vmcnt(0)
	v_add_f64 v[79:80], v[79:80], -v[85:86]
	buffer_store_dword v77, off, s[24:27], 0 offset:416 ; 4-byte Folded Spill
	s_nop 0
	buffer_store_dword v78, off, s[24:27], 0 offset:420 ; 4-byte Folded Spill
	buffer_store_dword v79, off, s[24:27], 0 offset:424 ; 4-byte Folded Spill
	buffer_store_dword v80, off, s[24:27], 0 offset:428 ; 4-byte Folded Spill
	ds_read2_b64 v[85:88], v0 offset0:18 offset1:19
	buffer_load_dword v77, off, s[24:27], 0 offset:400 ; 4-byte Folded Reload
	buffer_load_dword v78, off, s[24:27], 0 offset:404 ; 4-byte Folded Reload
	buffer_load_dword v79, off, s[24:27], 0 offset:408 ; 4-byte Folded Reload
	buffer_load_dword v80, off, s[24:27], 0 offset:412 ; 4-byte Folded Reload
	s_waitcnt lgkmcnt(0)
	v_mul_f64 v[91:92], v[87:88], v[95:96]
	v_fma_f64 v[91:92], v[85:86], v[125:126], -v[91:92]
	v_mul_f64 v[85:86], v[85:86], v[95:96]
	v_fma_f64 v[85:86], v[87:88], v[125:126], v[85:86]
	s_waitcnt vmcnt(2)
	v_add_f64 v[77:78], v[77:78], -v[91:92]
	s_waitcnt vmcnt(0)
	v_add_f64 v[79:80], v[79:80], -v[85:86]
	buffer_store_dword v77, off, s[24:27], 0 offset:400 ; 4-byte Folded Spill
	s_nop 0
	buffer_store_dword v78, off, s[24:27], 0 offset:404 ; 4-byte Folded Spill
	buffer_store_dword v79, off, s[24:27], 0 offset:408 ; 4-byte Folded Spill
	buffer_store_dword v80, off, s[24:27], 0 offset:412 ; 4-byte Folded Spill
	;; [unrolled: 19-line block ×26, first 2 shown]
	ds_read2_b64 v[85:88], v0 offset0:68 offset1:69
	s_waitcnt lgkmcnt(0)
	v_mul_f64 v[91:92], v[87:88], v[95:96]
	v_fma_f64 v[91:92], v[85:86], v[125:126], -v[91:92]
	v_mul_f64 v[85:86], v[85:86], v[95:96]
	v_add_f64 v[81:82], v[81:82], -v[91:92]
	v_fma_f64 v[85:86], v[87:88], v[125:126], v[85:86]
	v_add_f64 v[83:84], v[83:84], -v[85:86]
	ds_read2_b64 v[85:88], v0 offset0:70 offset1:71
	s_waitcnt lgkmcnt(0)
	v_mul_f64 v[91:92], v[87:88], v[95:96]
	v_fma_f64 v[91:92], v[85:86], v[125:126], -v[91:92]
	v_mul_f64 v[85:86], v[85:86], v[95:96]
	v_add_f64 v[113:114], v[113:114], -v[91:92]
	v_fma_f64 v[85:86], v[87:88], v[125:126], v[85:86]
	v_add_f64 v[115:116], v[115:116], -v[85:86]
	;; [unrolled: 8-line block ×4, first 2 shown]
	ds_read2_b64 v[85:88], v0 offset0:76 offset1:77
	buffer_load_dword v77, off, s[24:27], 0 ; 4-byte Folded Reload
	buffer_load_dword v78, off, s[24:27], 0 offset:4 ; 4-byte Folded Reload
	buffer_load_dword v79, off, s[24:27], 0 offset:8 ; 4-byte Folded Reload
	;; [unrolled: 1-line block ×3, first 2 shown]
	s_waitcnt lgkmcnt(0)
	v_mul_f64 v[91:92], v[87:88], v[95:96]
	v_fma_f64 v[91:92], v[85:86], v[125:126], -v[91:92]
	v_mul_f64 v[85:86], v[85:86], v[95:96]
	v_fma_f64 v[85:86], v[87:88], v[125:126], v[85:86]
	s_waitcnt vmcnt(2)
	v_add_f64 v[77:78], v[77:78], -v[91:92]
	s_waitcnt vmcnt(0)
	v_add_f64 v[79:80], v[79:80], -v[85:86]
	buffer_store_dword v77, off, s[24:27], 0 ; 4-byte Folded Spill
	s_nop 0
	buffer_store_dword v78, off, s[24:27], 0 offset:4 ; 4-byte Folded Spill
	buffer_store_dword v79, off, s[24:27], 0 offset:8 ; 4-byte Folded Spill
	;; [unrolled: 1-line block ×3, first 2 shown]
	ds_read2_b64 v[85:88], v0 offset0:78 offset1:79
	s_waitcnt lgkmcnt(0)
	v_mul_f64 v[91:92], v[87:88], v[95:96]
	v_fma_f64 v[91:92], v[85:86], v[125:126], -v[91:92]
	v_mul_f64 v[85:86], v[85:86], v[95:96]
	v_add_f64 v[73:74], v[73:74], -v[91:92]
	v_fma_f64 v[85:86], v[87:88], v[125:126], v[85:86]
	v_add_f64 v[75:76], v[75:76], -v[85:86]
	ds_read2_b64 v[85:88], v0 offset0:80 offset1:81
	s_waitcnt lgkmcnt(0)
	v_mul_f64 v[91:92], v[87:88], v[95:96]
	v_fma_f64 v[91:92], v[85:86], v[125:126], -v[91:92]
	v_mul_f64 v[85:86], v[85:86], v[95:96]
	v_add_f64 v[69:70], v[69:70], -v[91:92]
	v_fma_f64 v[85:86], v[87:88], v[125:126], v[85:86]
	v_add_f64 v[71:72], v[71:72], -v[85:86]
	;; [unrolled: 8-line block ×18, first 2 shown]
	ds_read2_b64 v[85:88], v0 offset0:114 offset1:115
	s_waitcnt lgkmcnt(0)
	v_mul_f64 v[91:92], v[87:88], v[95:96]
	v_fma_f64 v[91:92], v[85:86], v[125:126], -v[91:92]
	v_mul_f64 v[85:86], v[85:86], v[95:96]
	v_add_f64 v[1:2], v[1:2], -v[91:92]
	v_fma_f64 v[85:86], v[87:88], v[125:126], v[85:86]
	ds_read2_b64 v[91:94], v0 offset0:116 offset1:117
	s_waitcnt lgkmcnt(0)
	v_mul_f64 v[87:88], v[91:92], v[95:96]
	v_add_f64 v[3:4], v[3:4], -v[85:86]
	v_mul_f64 v[85:86], v[93:94], v[95:96]
	v_fma_f64 v[87:88], v[93:94], v[125:126], v[87:88]
	v_mov_b32_e32 v93, v125
	v_mov_b32_e32 v94, v126
	v_fma_f64 v[85:86], v[91:92], v[125:126], -v[85:86]
	buffer_store_dword v93, off, s[24:27], 0 offset:436 ; 4-byte Folded Spill
	s_nop 0
	buffer_store_dword v94, off, s[24:27], 0 offset:440 ; 4-byte Folded Spill
	buffer_store_dword v95, off, s[24:27], 0 offset:444 ; 4-byte Folded Spill
	;; [unrolled: 1-line block ×3, first 2 shown]
	v_add_f64 v[123:124], v[123:124], -v[87:88]
	v_add_f64 v[121:122], v[121:122], -v[85:86]
.LBB116_167:
	s_or_b64 exec, exec, s[0:1]
	s_waitcnt vmcnt(0)
	s_barrier
	buffer_load_dword v77, off, s[24:27], 0 offset:416 ; 4-byte Folded Reload
	buffer_load_dword v78, off, s[24:27], 0 offset:420 ; 4-byte Folded Reload
	;; [unrolled: 1-line block ×4, first 2 shown]
	v_lshl_add_u32 v85, v89, 4, v0
	s_cmp_lt_i32 s3, 10
	s_waitcnt vmcnt(0)
	ds_write2_b64 v85, v[77:78], v[79:80] offset1:1
	s_waitcnt lgkmcnt(0)
	s_barrier
	ds_read2_b64 v[117:120], v0 offset0:16 offset1:17
	v_mov_b32_e32 v85, 8
	s_cbranch_scc1 .LBB116_170
; %bb.168:
	v_add_u32_e32 v86, 0x90, v0
	s_mov_b32 s0, 9
	v_mov_b32_e32 v85, 8
.LBB116_169:                            ; =>This Inner Loop Header: Depth=1
	s_waitcnt lgkmcnt(0)
	v_cmp_gt_f64_e32 vcc, 0, v[117:118]
	v_xor_b32_e32 v87, 0x80000000, v118
	ds_read2_b64 v[91:94], v86 offset1:1
	v_xor_b32_e32 v95, 0x80000000, v120
	v_add_u32_e32 v86, 16, v86
	s_waitcnt lgkmcnt(0)
	v_xor_b32_e32 v97, 0x80000000, v94
	v_cndmask_b32_e32 v88, v118, v87, vcc
	v_cmp_gt_f64_e32 vcc, 0, v[119:120]
	v_mov_b32_e32 v87, v117
	v_cndmask_b32_e32 v96, v120, v95, vcc
	v_cmp_gt_f64_e32 vcc, 0, v[91:92]
	v_mov_b32_e32 v95, v119
	v_add_f64 v[87:88], v[87:88], v[95:96]
	v_xor_b32_e32 v95, 0x80000000, v92
	v_cndmask_b32_e32 v96, v92, v95, vcc
	v_cmp_gt_f64_e32 vcc, 0, v[93:94]
	v_mov_b32_e32 v95, v91
	v_cndmask_b32_e32 v98, v94, v97, vcc
	v_mov_b32_e32 v97, v93
	v_add_f64 v[95:96], v[95:96], v[97:98]
	v_cmp_lt_f64_e32 vcc, v[87:88], v[95:96]
	v_mov_b32_e32 v87, s0
	s_add_i32 s0, s0, 1
	s_cmp_lg_u32 s3, s0
	v_cndmask_b32_e32 v118, v118, v92, vcc
	v_cndmask_b32_e32 v117, v117, v91, vcc
	;; [unrolled: 1-line block ×5, first 2 shown]
	s_cbranch_scc1 .LBB116_169
.LBB116_170:
	s_waitcnt lgkmcnt(0)
	v_cmp_eq_f64_e32 vcc, 0, v[117:118]
	v_cmp_eq_f64_e64 s[0:1], 0, v[119:120]
	s_and_b64 s[0:1], vcc, s[0:1]
	s_and_saveexec_b64 s[18:19], s[0:1]
	s_xor_b64 s[0:1], exec, s[18:19]
; %bb.171:
	v_cmp_ne_u32_e32 vcc, 0, v90
	v_cndmask_b32_e32 v90, 9, v90, vcc
; %bb.172:
	s_andn2_saveexec_b64 s[0:1], s[0:1]
	s_cbranch_execz .LBB116_178
; %bb.173:
	v_cmp_ngt_f64_e64 s[18:19], |v[117:118]|, |v[119:120]|
	s_and_saveexec_b64 s[20:21], s[18:19]
	s_xor_b64 s[18:19], exec, s[20:21]
	s_cbranch_execz .LBB116_175
; %bb.174:
	v_div_scale_f64 v[86:87], s[20:21], v[119:120], v[119:120], v[117:118]
	v_rcp_f64_e32 v[91:92], v[86:87]
	v_fma_f64 v[93:94], -v[86:87], v[91:92], 1.0
	v_fma_f64 v[91:92], v[91:92], v[93:94], v[91:92]
	v_div_scale_f64 v[93:94], vcc, v[117:118], v[119:120], v[117:118]
	v_fma_f64 v[95:96], -v[86:87], v[91:92], 1.0
	v_fma_f64 v[91:92], v[91:92], v[95:96], v[91:92]
	v_mul_f64 v[95:96], v[93:94], v[91:92]
	v_fma_f64 v[86:87], -v[86:87], v[95:96], v[93:94]
	v_div_fmas_f64 v[86:87], v[86:87], v[91:92], v[95:96]
	v_div_fixup_f64 v[86:87], v[86:87], v[119:120], v[117:118]
	v_fma_f64 v[91:92], v[117:118], v[86:87], v[119:120]
	v_div_scale_f64 v[93:94], s[20:21], v[91:92], v[91:92], 1.0
	v_div_scale_f64 v[99:100], vcc, 1.0, v[91:92], 1.0
	v_rcp_f64_e32 v[95:96], v[93:94]
	v_fma_f64 v[97:98], -v[93:94], v[95:96], 1.0
	v_fma_f64 v[95:96], v[95:96], v[97:98], v[95:96]
	v_fma_f64 v[97:98], -v[93:94], v[95:96], 1.0
	v_fma_f64 v[95:96], v[95:96], v[97:98], v[95:96]
	v_mul_f64 v[97:98], v[99:100], v[95:96]
	v_fma_f64 v[93:94], -v[93:94], v[97:98], v[99:100]
	v_div_fmas_f64 v[93:94], v[93:94], v[95:96], v[97:98]
	v_div_fixup_f64 v[119:120], v[93:94], v[91:92], 1.0
	v_mul_f64 v[117:118], v[86:87], v[119:120]
	v_xor_b32_e32 v120, 0x80000000, v120
.LBB116_175:
	s_andn2_saveexec_b64 s[18:19], s[18:19]
	s_cbranch_execz .LBB116_177
; %bb.176:
	v_div_scale_f64 v[86:87], s[20:21], v[117:118], v[117:118], v[119:120]
	v_rcp_f64_e32 v[91:92], v[86:87]
	v_fma_f64 v[93:94], -v[86:87], v[91:92], 1.0
	v_fma_f64 v[91:92], v[91:92], v[93:94], v[91:92]
	v_div_scale_f64 v[93:94], vcc, v[119:120], v[117:118], v[119:120]
	v_fma_f64 v[95:96], -v[86:87], v[91:92], 1.0
	v_fma_f64 v[91:92], v[91:92], v[95:96], v[91:92]
	v_mul_f64 v[95:96], v[93:94], v[91:92]
	v_fma_f64 v[86:87], -v[86:87], v[95:96], v[93:94]
	v_div_fmas_f64 v[86:87], v[86:87], v[91:92], v[95:96]
	v_div_fixup_f64 v[86:87], v[86:87], v[117:118], v[119:120]
	v_fma_f64 v[91:92], v[119:120], v[86:87], v[117:118]
	v_div_scale_f64 v[93:94], s[20:21], v[91:92], v[91:92], 1.0
	v_div_scale_f64 v[99:100], vcc, 1.0, v[91:92], 1.0
	v_rcp_f64_e32 v[95:96], v[93:94]
	v_fma_f64 v[97:98], -v[93:94], v[95:96], 1.0
	v_fma_f64 v[95:96], v[95:96], v[97:98], v[95:96]
	v_fma_f64 v[97:98], -v[93:94], v[95:96], 1.0
	v_fma_f64 v[95:96], v[95:96], v[97:98], v[95:96]
	v_mul_f64 v[97:98], v[99:100], v[95:96]
	v_fma_f64 v[93:94], -v[93:94], v[97:98], v[99:100]
	v_div_fmas_f64 v[93:94], v[93:94], v[95:96], v[97:98]
	v_div_fixup_f64 v[117:118], v[93:94], v[91:92], 1.0
	v_mul_f64 v[119:120], v[86:87], -v[117:118]
.LBB116_177:
	s_or_b64 exec, exec, s[18:19]
.LBB116_178:
	s_or_b64 exec, exec, s[0:1]
	v_cmp_ne_u32_e32 vcc, v89, v85
	s_and_saveexec_b64 s[0:1], vcc
	s_xor_b64 s[0:1], exec, s[0:1]
	s_cbranch_execz .LBB116_184
; %bb.179:
	v_cmp_eq_u32_e32 vcc, 8, v89
	s_and_saveexec_b64 s[18:19], vcc
	s_cbranch_execz .LBB116_183
; %bb.180:
	v_cmp_ne_u32_e32 vcc, 8, v85
	s_xor_b64 s[20:21], s[6:7], -1
	s_and_b64 s[22:23], s[20:21], vcc
	s_and_saveexec_b64 s[20:21], s[22:23]
	s_cbranch_execz .LBB116_182
; %bb.181:
	v_mov_b32_e32 v77, v81
	v_mov_b32_e32 v78, v82
	;; [unrolled: 1-line block ×4, first 2 shown]
	buffer_load_dword v81, off, s[24:27], 0 offset:500 ; 4-byte Folded Reload
	buffer_load_dword v82, off, s[24:27], 0 offset:504 ; 4-byte Folded Reload
	v_ashrrev_i32_e32 v86, 31, v85
	v_lshlrev_b64 v[86:87], 2, v[85:86]
	s_waitcnt vmcnt(1)
	v_add_co_u32_e32 v86, vcc, v81, v86
	s_waitcnt vmcnt(0)
	v_addc_co_u32_e32 v87, vcc, v82, v87, vcc
	global_load_dword v88, v[86:87], off
	global_load_dword v89, v[81:82], off offset:32
	s_waitcnt vmcnt(1)
	global_store_dword v[81:82], v88, off offset:32
	v_mov_b32_e32 v84, v80
	v_mov_b32_e32 v83, v79
	;; [unrolled: 1-line block ×4, first 2 shown]
	s_waitcnt vmcnt(1)
	global_store_dword v[86:87], v89, off
.LBB116_182:
	s_or_b64 exec, exec, s[20:21]
	v_mov_b32_e32 v89, v85
	v_mov_b32_e32 v77, v85
	buffer_store_dword v77, off, s[24:27], 0 offset:432 ; 4-byte Folded Spill
.LBB116_183:
	s_or_b64 exec, exec, s[18:19]
.LBB116_184:
	s_andn2_saveexec_b64 s[0:1], s[0:1]
	s_cbranch_execz .LBB116_186
; %bb.185:
	buffer_load_dword v77, off, s[24:27], 0 offset:400 ; 4-byte Folded Reload
	buffer_load_dword v78, off, s[24:27], 0 offset:404 ; 4-byte Folded Reload
	;; [unrolled: 1-line block ×4, first 2 shown]
	v_mov_b32_e32 v89, 8
	s_waitcnt vmcnt(0)
	ds_write2_b64 v0, v[77:78], v[79:80] offset0:18 offset1:19
	buffer_load_dword v77, off, s[24:27], 0 offset:384 ; 4-byte Folded Reload
	buffer_load_dword v78, off, s[24:27], 0 offset:388 ; 4-byte Folded Reload
	buffer_load_dword v79, off, s[24:27], 0 offset:392 ; 4-byte Folded Reload
	buffer_load_dword v80, off, s[24:27], 0 offset:396 ; 4-byte Folded Reload
	s_waitcnt vmcnt(0)
	ds_write2_b64 v0, v[77:78], v[79:80] offset0:20 offset1:21
	buffer_load_dword v77, off, s[24:27], 0 offset:368 ; 4-byte Folded Reload
	buffer_load_dword v78, off, s[24:27], 0 offset:372 ; 4-byte Folded Reload
	buffer_load_dword v79, off, s[24:27], 0 offset:376 ; 4-byte Folded Reload
	buffer_load_dword v80, off, s[24:27], 0 offset:380 ; 4-byte Folded Reload
	;; [unrolled: 6-line block ×24, first 2 shown]
	s_waitcnt vmcnt(0)
	ds_write2_b64 v0, v[77:78], v[79:80] offset0:66 offset1:67
	ds_write2_b64 v0, v[81:82], v[83:84] offset0:68 offset1:69
	;; [unrolled: 1-line block ×5, first 2 shown]
	buffer_load_dword v77, off, s[24:27], 0 ; 4-byte Folded Reload
	buffer_load_dword v78, off, s[24:27], 0 offset:4 ; 4-byte Folded Reload
	buffer_load_dword v79, off, s[24:27], 0 offset:8 ; 4-byte Folded Reload
	;; [unrolled: 1-line block ×3, first 2 shown]
	s_waitcnt vmcnt(0)
	ds_write2_b64 v0, v[77:78], v[79:80] offset0:76 offset1:77
	ds_write2_b64 v0, v[73:74], v[75:76] offset0:78 offset1:79
	;; [unrolled: 1-line block ×21, first 2 shown]
.LBB116_186:
	s_or_b64 exec, exec, s[0:1]
	v_cmp_lt_i32_e32 vcc, 8, v89
	s_waitcnt vmcnt(0) lgkmcnt(0)
	s_barrier
	s_and_saveexec_b64 s[0:1], vcc
	s_cbranch_execz .LBB116_188
; %bb.187:
	buffer_load_dword v93, off, s[24:27], 0 offset:416 ; 4-byte Folded Reload
	buffer_load_dword v94, off, s[24:27], 0 offset:420 ; 4-byte Folded Reload
	;; [unrolled: 1-line block ×4, first 2 shown]
	s_waitcnt vmcnt(0)
	v_mul_f64 v[85:86], v[119:120], v[95:96]
	v_fma_f64 v[125:126], v[117:118], v[93:94], -v[85:86]
	v_mul_f64 v[85:86], v[117:118], v[95:96]
	v_fma_f64 v[95:96], v[119:120], v[93:94], v[85:86]
	ds_read2_b64 v[85:88], v0 offset0:18 offset1:19
	buffer_load_dword v77, off, s[24:27], 0 offset:400 ; 4-byte Folded Reload
	buffer_load_dword v78, off, s[24:27], 0 offset:404 ; 4-byte Folded Reload
	buffer_load_dword v79, off, s[24:27], 0 offset:408 ; 4-byte Folded Reload
	buffer_load_dword v80, off, s[24:27], 0 offset:412 ; 4-byte Folded Reload
	s_waitcnt lgkmcnt(0)
	v_mul_f64 v[91:92], v[87:88], v[95:96]
	v_fma_f64 v[91:92], v[85:86], v[125:126], -v[91:92]
	v_mul_f64 v[85:86], v[85:86], v[95:96]
	v_fma_f64 v[85:86], v[87:88], v[125:126], v[85:86]
	s_waitcnt vmcnt(2)
	v_add_f64 v[77:78], v[77:78], -v[91:92]
	s_waitcnt vmcnt(0)
	v_add_f64 v[79:80], v[79:80], -v[85:86]
	buffer_store_dword v77, off, s[24:27], 0 offset:400 ; 4-byte Folded Spill
	s_nop 0
	buffer_store_dword v78, off, s[24:27], 0 offset:404 ; 4-byte Folded Spill
	buffer_store_dword v79, off, s[24:27], 0 offset:408 ; 4-byte Folded Spill
	buffer_store_dword v80, off, s[24:27], 0 offset:412 ; 4-byte Folded Spill
	ds_read2_b64 v[85:88], v0 offset0:20 offset1:21
	buffer_load_dword v77, off, s[24:27], 0 offset:384 ; 4-byte Folded Reload
	buffer_load_dword v78, off, s[24:27], 0 offset:388 ; 4-byte Folded Reload
	buffer_load_dword v79, off, s[24:27], 0 offset:392 ; 4-byte Folded Reload
	buffer_load_dword v80, off, s[24:27], 0 offset:396 ; 4-byte Folded Reload
	s_waitcnt lgkmcnt(0)
	v_mul_f64 v[91:92], v[87:88], v[95:96]
	v_fma_f64 v[91:92], v[85:86], v[125:126], -v[91:92]
	v_mul_f64 v[85:86], v[85:86], v[95:96]
	v_fma_f64 v[85:86], v[87:88], v[125:126], v[85:86]
	s_waitcnt vmcnt(2)
	v_add_f64 v[77:78], v[77:78], -v[91:92]
	s_waitcnt vmcnt(0)
	v_add_f64 v[79:80], v[79:80], -v[85:86]
	buffer_store_dword v77, off, s[24:27], 0 offset:384 ; 4-byte Folded Spill
	s_nop 0
	buffer_store_dword v78, off, s[24:27], 0 offset:388 ; 4-byte Folded Spill
	buffer_store_dword v79, off, s[24:27], 0 offset:392 ; 4-byte Folded Spill
	buffer_store_dword v80, off, s[24:27], 0 offset:396 ; 4-byte Folded Spill
	;; [unrolled: 19-line block ×25, first 2 shown]
	ds_read2_b64 v[85:88], v0 offset0:68 offset1:69
	s_waitcnt lgkmcnt(0)
	v_mul_f64 v[91:92], v[87:88], v[95:96]
	v_fma_f64 v[91:92], v[85:86], v[125:126], -v[91:92]
	v_mul_f64 v[85:86], v[85:86], v[95:96]
	v_add_f64 v[81:82], v[81:82], -v[91:92]
	v_fma_f64 v[85:86], v[87:88], v[125:126], v[85:86]
	v_add_f64 v[83:84], v[83:84], -v[85:86]
	ds_read2_b64 v[85:88], v0 offset0:70 offset1:71
	s_waitcnt lgkmcnt(0)
	v_mul_f64 v[91:92], v[87:88], v[95:96]
	v_fma_f64 v[91:92], v[85:86], v[125:126], -v[91:92]
	v_mul_f64 v[85:86], v[85:86], v[95:96]
	v_add_f64 v[113:114], v[113:114], -v[91:92]
	v_fma_f64 v[85:86], v[87:88], v[125:126], v[85:86]
	v_add_f64 v[115:116], v[115:116], -v[85:86]
	;; [unrolled: 8-line block ×4, first 2 shown]
	ds_read2_b64 v[85:88], v0 offset0:76 offset1:77
	buffer_load_dword v77, off, s[24:27], 0 ; 4-byte Folded Reload
	buffer_load_dword v78, off, s[24:27], 0 offset:4 ; 4-byte Folded Reload
	buffer_load_dword v79, off, s[24:27], 0 offset:8 ; 4-byte Folded Reload
	;; [unrolled: 1-line block ×3, first 2 shown]
	s_waitcnt lgkmcnt(0)
	v_mul_f64 v[91:92], v[87:88], v[95:96]
	v_fma_f64 v[91:92], v[85:86], v[125:126], -v[91:92]
	v_mul_f64 v[85:86], v[85:86], v[95:96]
	v_fma_f64 v[85:86], v[87:88], v[125:126], v[85:86]
	s_waitcnt vmcnt(2)
	v_add_f64 v[77:78], v[77:78], -v[91:92]
	s_waitcnt vmcnt(0)
	v_add_f64 v[79:80], v[79:80], -v[85:86]
	buffer_store_dword v77, off, s[24:27], 0 ; 4-byte Folded Spill
	s_nop 0
	buffer_store_dword v78, off, s[24:27], 0 offset:4 ; 4-byte Folded Spill
	buffer_store_dword v79, off, s[24:27], 0 offset:8 ; 4-byte Folded Spill
	;; [unrolled: 1-line block ×3, first 2 shown]
	ds_read2_b64 v[85:88], v0 offset0:78 offset1:79
	s_waitcnt lgkmcnt(0)
	v_mul_f64 v[91:92], v[87:88], v[95:96]
	v_fma_f64 v[91:92], v[85:86], v[125:126], -v[91:92]
	v_mul_f64 v[85:86], v[85:86], v[95:96]
	v_add_f64 v[73:74], v[73:74], -v[91:92]
	v_fma_f64 v[85:86], v[87:88], v[125:126], v[85:86]
	v_add_f64 v[75:76], v[75:76], -v[85:86]
	ds_read2_b64 v[85:88], v0 offset0:80 offset1:81
	s_waitcnt lgkmcnt(0)
	v_mul_f64 v[91:92], v[87:88], v[95:96]
	v_fma_f64 v[91:92], v[85:86], v[125:126], -v[91:92]
	v_mul_f64 v[85:86], v[85:86], v[95:96]
	v_add_f64 v[69:70], v[69:70], -v[91:92]
	v_fma_f64 v[85:86], v[87:88], v[125:126], v[85:86]
	v_add_f64 v[71:72], v[71:72], -v[85:86]
	;; [unrolled: 8-line block ×18, first 2 shown]
	ds_read2_b64 v[85:88], v0 offset0:114 offset1:115
	s_waitcnt lgkmcnt(0)
	v_mul_f64 v[91:92], v[87:88], v[95:96]
	v_fma_f64 v[91:92], v[85:86], v[125:126], -v[91:92]
	v_mul_f64 v[85:86], v[85:86], v[95:96]
	v_add_f64 v[1:2], v[1:2], -v[91:92]
	v_fma_f64 v[85:86], v[87:88], v[125:126], v[85:86]
	ds_read2_b64 v[91:94], v0 offset0:116 offset1:117
	s_waitcnt lgkmcnt(0)
	v_mul_f64 v[87:88], v[91:92], v[95:96]
	v_add_f64 v[3:4], v[3:4], -v[85:86]
	v_mul_f64 v[85:86], v[93:94], v[95:96]
	v_fma_f64 v[87:88], v[93:94], v[125:126], v[87:88]
	v_mov_b32_e32 v93, v125
	v_mov_b32_e32 v94, v126
	v_fma_f64 v[85:86], v[91:92], v[125:126], -v[85:86]
	buffer_store_dword v93, off, s[24:27], 0 offset:416 ; 4-byte Folded Spill
	s_nop 0
	buffer_store_dword v94, off, s[24:27], 0 offset:420 ; 4-byte Folded Spill
	buffer_store_dword v95, off, s[24:27], 0 offset:424 ; 4-byte Folded Spill
	;; [unrolled: 1-line block ×3, first 2 shown]
	v_add_f64 v[123:124], v[123:124], -v[87:88]
	v_add_f64 v[121:122], v[121:122], -v[85:86]
.LBB116_188:
	s_or_b64 exec, exec, s[0:1]
	s_waitcnt vmcnt(0)
	s_barrier
	buffer_load_dword v77, off, s[24:27], 0 offset:400 ; 4-byte Folded Reload
	buffer_load_dword v78, off, s[24:27], 0 offset:404 ; 4-byte Folded Reload
	;; [unrolled: 1-line block ×4, first 2 shown]
	v_lshl_add_u32 v85, v89, 4, v0
	s_cmp_lt_i32 s3, 11
	s_waitcnt vmcnt(0)
	ds_write2_b64 v85, v[77:78], v[79:80] offset1:1
	s_waitcnt lgkmcnt(0)
	s_barrier
	ds_read2_b64 v[117:120], v0 offset0:18 offset1:19
	v_mov_b32_e32 v85, 9
	s_cbranch_scc1 .LBB116_191
; %bb.189:
	v_add_u32_e32 v86, 0xa0, v0
	s_mov_b32 s0, 10
	v_mov_b32_e32 v85, 9
.LBB116_190:                            ; =>This Inner Loop Header: Depth=1
	s_waitcnt lgkmcnt(0)
	v_cmp_gt_f64_e32 vcc, 0, v[117:118]
	v_xor_b32_e32 v87, 0x80000000, v118
	ds_read2_b64 v[91:94], v86 offset1:1
	v_xor_b32_e32 v95, 0x80000000, v120
	v_add_u32_e32 v86, 16, v86
	s_waitcnt lgkmcnt(0)
	v_xor_b32_e32 v97, 0x80000000, v94
	v_cndmask_b32_e32 v88, v118, v87, vcc
	v_cmp_gt_f64_e32 vcc, 0, v[119:120]
	v_mov_b32_e32 v87, v117
	v_cndmask_b32_e32 v96, v120, v95, vcc
	v_cmp_gt_f64_e32 vcc, 0, v[91:92]
	v_mov_b32_e32 v95, v119
	v_add_f64 v[87:88], v[87:88], v[95:96]
	v_xor_b32_e32 v95, 0x80000000, v92
	v_cndmask_b32_e32 v96, v92, v95, vcc
	v_cmp_gt_f64_e32 vcc, 0, v[93:94]
	v_mov_b32_e32 v95, v91
	v_cndmask_b32_e32 v98, v94, v97, vcc
	v_mov_b32_e32 v97, v93
	v_add_f64 v[95:96], v[95:96], v[97:98]
	v_cmp_lt_f64_e32 vcc, v[87:88], v[95:96]
	v_mov_b32_e32 v87, s0
	s_add_i32 s0, s0, 1
	s_cmp_lg_u32 s3, s0
	v_cndmask_b32_e32 v118, v118, v92, vcc
	v_cndmask_b32_e32 v117, v117, v91, vcc
	;; [unrolled: 1-line block ×5, first 2 shown]
	s_cbranch_scc1 .LBB116_190
.LBB116_191:
	s_waitcnt lgkmcnt(0)
	v_cmp_eq_f64_e32 vcc, 0, v[117:118]
	v_cmp_eq_f64_e64 s[0:1], 0, v[119:120]
	s_and_b64 s[0:1], vcc, s[0:1]
	s_and_saveexec_b64 s[18:19], s[0:1]
	s_xor_b64 s[0:1], exec, s[18:19]
; %bb.192:
	v_cmp_ne_u32_e32 vcc, 0, v90
	v_cndmask_b32_e32 v90, 10, v90, vcc
; %bb.193:
	s_andn2_saveexec_b64 s[0:1], s[0:1]
	s_cbranch_execz .LBB116_199
; %bb.194:
	v_cmp_ngt_f64_e64 s[18:19], |v[117:118]|, |v[119:120]|
	s_and_saveexec_b64 s[20:21], s[18:19]
	s_xor_b64 s[18:19], exec, s[20:21]
	s_cbranch_execz .LBB116_196
; %bb.195:
	v_div_scale_f64 v[86:87], s[20:21], v[119:120], v[119:120], v[117:118]
	v_rcp_f64_e32 v[91:92], v[86:87]
	v_fma_f64 v[93:94], -v[86:87], v[91:92], 1.0
	v_fma_f64 v[91:92], v[91:92], v[93:94], v[91:92]
	v_div_scale_f64 v[93:94], vcc, v[117:118], v[119:120], v[117:118]
	v_fma_f64 v[95:96], -v[86:87], v[91:92], 1.0
	v_fma_f64 v[91:92], v[91:92], v[95:96], v[91:92]
	v_mul_f64 v[95:96], v[93:94], v[91:92]
	v_fma_f64 v[86:87], -v[86:87], v[95:96], v[93:94]
	v_div_fmas_f64 v[86:87], v[86:87], v[91:92], v[95:96]
	v_div_fixup_f64 v[86:87], v[86:87], v[119:120], v[117:118]
	v_fma_f64 v[91:92], v[117:118], v[86:87], v[119:120]
	v_div_scale_f64 v[93:94], s[20:21], v[91:92], v[91:92], 1.0
	v_div_scale_f64 v[99:100], vcc, 1.0, v[91:92], 1.0
	v_rcp_f64_e32 v[95:96], v[93:94]
	v_fma_f64 v[97:98], -v[93:94], v[95:96], 1.0
	v_fma_f64 v[95:96], v[95:96], v[97:98], v[95:96]
	v_fma_f64 v[97:98], -v[93:94], v[95:96], 1.0
	v_fma_f64 v[95:96], v[95:96], v[97:98], v[95:96]
	v_mul_f64 v[97:98], v[99:100], v[95:96]
	v_fma_f64 v[93:94], -v[93:94], v[97:98], v[99:100]
	v_div_fmas_f64 v[93:94], v[93:94], v[95:96], v[97:98]
	v_div_fixup_f64 v[119:120], v[93:94], v[91:92], 1.0
	v_mul_f64 v[117:118], v[86:87], v[119:120]
	v_xor_b32_e32 v120, 0x80000000, v120
.LBB116_196:
	s_andn2_saveexec_b64 s[18:19], s[18:19]
	s_cbranch_execz .LBB116_198
; %bb.197:
	v_div_scale_f64 v[86:87], s[20:21], v[117:118], v[117:118], v[119:120]
	v_rcp_f64_e32 v[91:92], v[86:87]
	v_fma_f64 v[93:94], -v[86:87], v[91:92], 1.0
	v_fma_f64 v[91:92], v[91:92], v[93:94], v[91:92]
	v_div_scale_f64 v[93:94], vcc, v[119:120], v[117:118], v[119:120]
	v_fma_f64 v[95:96], -v[86:87], v[91:92], 1.0
	v_fma_f64 v[91:92], v[91:92], v[95:96], v[91:92]
	v_mul_f64 v[95:96], v[93:94], v[91:92]
	v_fma_f64 v[86:87], -v[86:87], v[95:96], v[93:94]
	v_div_fmas_f64 v[86:87], v[86:87], v[91:92], v[95:96]
	v_div_fixup_f64 v[86:87], v[86:87], v[117:118], v[119:120]
	v_fma_f64 v[91:92], v[119:120], v[86:87], v[117:118]
	v_div_scale_f64 v[93:94], s[20:21], v[91:92], v[91:92], 1.0
	v_div_scale_f64 v[99:100], vcc, 1.0, v[91:92], 1.0
	v_rcp_f64_e32 v[95:96], v[93:94]
	v_fma_f64 v[97:98], -v[93:94], v[95:96], 1.0
	v_fma_f64 v[95:96], v[95:96], v[97:98], v[95:96]
	v_fma_f64 v[97:98], -v[93:94], v[95:96], 1.0
	v_fma_f64 v[95:96], v[95:96], v[97:98], v[95:96]
	v_mul_f64 v[97:98], v[99:100], v[95:96]
	v_fma_f64 v[93:94], -v[93:94], v[97:98], v[99:100]
	v_div_fmas_f64 v[93:94], v[93:94], v[95:96], v[97:98]
	v_div_fixup_f64 v[117:118], v[93:94], v[91:92], 1.0
	v_mul_f64 v[119:120], v[86:87], -v[117:118]
.LBB116_198:
	s_or_b64 exec, exec, s[18:19]
.LBB116_199:
	s_or_b64 exec, exec, s[0:1]
	v_cmp_ne_u32_e32 vcc, v89, v85
	s_and_saveexec_b64 s[0:1], vcc
	s_xor_b64 s[0:1], exec, s[0:1]
	s_cbranch_execz .LBB116_205
; %bb.200:
	v_cmp_eq_u32_e32 vcc, 9, v89
	s_and_saveexec_b64 s[18:19], vcc
	s_cbranch_execz .LBB116_204
; %bb.201:
	v_cmp_ne_u32_e32 vcc, 9, v85
	s_xor_b64 s[20:21], s[6:7], -1
	s_and_b64 s[22:23], s[20:21], vcc
	s_and_saveexec_b64 s[20:21], s[22:23]
	s_cbranch_execz .LBB116_203
; %bb.202:
	v_mov_b32_e32 v77, v81
	v_mov_b32_e32 v78, v82
	;; [unrolled: 1-line block ×4, first 2 shown]
	buffer_load_dword v81, off, s[24:27], 0 offset:500 ; 4-byte Folded Reload
	buffer_load_dword v82, off, s[24:27], 0 offset:504 ; 4-byte Folded Reload
	v_ashrrev_i32_e32 v86, 31, v85
	v_lshlrev_b64 v[86:87], 2, v[85:86]
	s_waitcnt vmcnt(1)
	v_add_co_u32_e32 v86, vcc, v81, v86
	s_waitcnt vmcnt(0)
	v_addc_co_u32_e32 v87, vcc, v82, v87, vcc
	global_load_dword v88, v[86:87], off
	global_load_dword v89, v[81:82], off offset:36
	s_waitcnt vmcnt(1)
	global_store_dword v[81:82], v88, off offset:36
	v_mov_b32_e32 v84, v80
	v_mov_b32_e32 v83, v79
	;; [unrolled: 1-line block ×4, first 2 shown]
	s_waitcnt vmcnt(1)
	global_store_dword v[86:87], v89, off
.LBB116_203:
	s_or_b64 exec, exec, s[20:21]
	v_mov_b32_e32 v89, v85
	v_mov_b32_e32 v77, v85
	buffer_store_dword v77, off, s[24:27], 0 offset:432 ; 4-byte Folded Spill
.LBB116_204:
	s_or_b64 exec, exec, s[18:19]
.LBB116_205:
	s_andn2_saveexec_b64 s[0:1], s[0:1]
	s_cbranch_execz .LBB116_207
; %bb.206:
	buffer_load_dword v77, off, s[24:27], 0 offset:384 ; 4-byte Folded Reload
	buffer_load_dword v78, off, s[24:27], 0 offset:388 ; 4-byte Folded Reload
	;; [unrolled: 1-line block ×4, first 2 shown]
	v_mov_b32_e32 v89, 9
	s_waitcnt vmcnt(0)
	ds_write2_b64 v0, v[77:78], v[79:80] offset0:20 offset1:21
	buffer_load_dword v77, off, s[24:27], 0 offset:368 ; 4-byte Folded Reload
	buffer_load_dword v78, off, s[24:27], 0 offset:372 ; 4-byte Folded Reload
	buffer_load_dword v79, off, s[24:27], 0 offset:376 ; 4-byte Folded Reload
	buffer_load_dword v80, off, s[24:27], 0 offset:380 ; 4-byte Folded Reload
	s_waitcnt vmcnt(0)
	ds_write2_b64 v0, v[77:78], v[79:80] offset0:22 offset1:23
	buffer_load_dword v77, off, s[24:27], 0 offset:352 ; 4-byte Folded Reload
	buffer_load_dword v78, off, s[24:27], 0 offset:356 ; 4-byte Folded Reload
	buffer_load_dword v79, off, s[24:27], 0 offset:360 ; 4-byte Folded Reload
	buffer_load_dword v80, off, s[24:27], 0 offset:364 ; 4-byte Folded Reload
	;; [unrolled: 6-line block ×23, first 2 shown]
	s_waitcnt vmcnt(0)
	ds_write2_b64 v0, v[77:78], v[79:80] offset0:66 offset1:67
	ds_write2_b64 v0, v[81:82], v[83:84] offset0:68 offset1:69
	;; [unrolled: 1-line block ×5, first 2 shown]
	buffer_load_dword v77, off, s[24:27], 0 ; 4-byte Folded Reload
	buffer_load_dword v78, off, s[24:27], 0 offset:4 ; 4-byte Folded Reload
	buffer_load_dword v79, off, s[24:27], 0 offset:8 ; 4-byte Folded Reload
	;; [unrolled: 1-line block ×3, first 2 shown]
	s_waitcnt vmcnt(0)
	ds_write2_b64 v0, v[77:78], v[79:80] offset0:76 offset1:77
	ds_write2_b64 v0, v[73:74], v[75:76] offset0:78 offset1:79
	;; [unrolled: 1-line block ×21, first 2 shown]
.LBB116_207:
	s_or_b64 exec, exec, s[0:1]
	v_cmp_lt_i32_e32 vcc, 9, v89
	s_waitcnt vmcnt(0) lgkmcnt(0)
	s_barrier
	s_and_saveexec_b64 s[0:1], vcc
	s_cbranch_execz .LBB116_209
; %bb.208:
	buffer_load_dword v93, off, s[24:27], 0 offset:400 ; 4-byte Folded Reload
	buffer_load_dword v94, off, s[24:27], 0 offset:404 ; 4-byte Folded Reload
	buffer_load_dword v95, off, s[24:27], 0 offset:408 ; 4-byte Folded Reload
	buffer_load_dword v96, off, s[24:27], 0 offset:412 ; 4-byte Folded Reload
	s_waitcnt vmcnt(0)
	v_mul_f64 v[85:86], v[119:120], v[95:96]
	v_fma_f64 v[125:126], v[117:118], v[93:94], -v[85:86]
	v_mul_f64 v[85:86], v[117:118], v[95:96]
	v_fma_f64 v[95:96], v[119:120], v[93:94], v[85:86]
	ds_read2_b64 v[85:88], v0 offset0:20 offset1:21
	buffer_load_dword v77, off, s[24:27], 0 offset:384 ; 4-byte Folded Reload
	buffer_load_dword v78, off, s[24:27], 0 offset:388 ; 4-byte Folded Reload
	buffer_load_dword v79, off, s[24:27], 0 offset:392 ; 4-byte Folded Reload
	buffer_load_dword v80, off, s[24:27], 0 offset:396 ; 4-byte Folded Reload
	s_waitcnt lgkmcnt(0)
	v_mul_f64 v[91:92], v[87:88], v[95:96]
	v_fma_f64 v[91:92], v[85:86], v[125:126], -v[91:92]
	v_mul_f64 v[85:86], v[85:86], v[95:96]
	v_fma_f64 v[85:86], v[87:88], v[125:126], v[85:86]
	s_waitcnt vmcnt(2)
	v_add_f64 v[77:78], v[77:78], -v[91:92]
	s_waitcnt vmcnt(0)
	v_add_f64 v[79:80], v[79:80], -v[85:86]
	buffer_store_dword v77, off, s[24:27], 0 offset:384 ; 4-byte Folded Spill
	s_nop 0
	buffer_store_dword v78, off, s[24:27], 0 offset:388 ; 4-byte Folded Spill
	buffer_store_dword v79, off, s[24:27], 0 offset:392 ; 4-byte Folded Spill
	buffer_store_dword v80, off, s[24:27], 0 offset:396 ; 4-byte Folded Spill
	ds_read2_b64 v[85:88], v0 offset0:22 offset1:23
	buffer_load_dword v77, off, s[24:27], 0 offset:368 ; 4-byte Folded Reload
	buffer_load_dword v78, off, s[24:27], 0 offset:372 ; 4-byte Folded Reload
	buffer_load_dword v79, off, s[24:27], 0 offset:376 ; 4-byte Folded Reload
	buffer_load_dword v80, off, s[24:27], 0 offset:380 ; 4-byte Folded Reload
	s_waitcnt lgkmcnt(0)
	v_mul_f64 v[91:92], v[87:88], v[95:96]
	v_fma_f64 v[91:92], v[85:86], v[125:126], -v[91:92]
	v_mul_f64 v[85:86], v[85:86], v[95:96]
	v_fma_f64 v[85:86], v[87:88], v[125:126], v[85:86]
	s_waitcnt vmcnt(2)
	v_add_f64 v[77:78], v[77:78], -v[91:92]
	s_waitcnt vmcnt(0)
	v_add_f64 v[79:80], v[79:80], -v[85:86]
	buffer_store_dword v77, off, s[24:27], 0 offset:368 ; 4-byte Folded Spill
	s_nop 0
	buffer_store_dword v78, off, s[24:27], 0 offset:372 ; 4-byte Folded Spill
	buffer_store_dword v79, off, s[24:27], 0 offset:376 ; 4-byte Folded Spill
	buffer_store_dword v80, off, s[24:27], 0 offset:380 ; 4-byte Folded Spill
	;; [unrolled: 19-line block ×24, first 2 shown]
	ds_read2_b64 v[85:88], v0 offset0:68 offset1:69
	s_waitcnt lgkmcnt(0)
	v_mul_f64 v[91:92], v[87:88], v[95:96]
	v_fma_f64 v[91:92], v[85:86], v[125:126], -v[91:92]
	v_mul_f64 v[85:86], v[85:86], v[95:96]
	v_add_f64 v[81:82], v[81:82], -v[91:92]
	v_fma_f64 v[85:86], v[87:88], v[125:126], v[85:86]
	v_add_f64 v[83:84], v[83:84], -v[85:86]
	ds_read2_b64 v[85:88], v0 offset0:70 offset1:71
	s_waitcnt lgkmcnt(0)
	v_mul_f64 v[91:92], v[87:88], v[95:96]
	v_fma_f64 v[91:92], v[85:86], v[125:126], -v[91:92]
	v_mul_f64 v[85:86], v[85:86], v[95:96]
	v_add_f64 v[113:114], v[113:114], -v[91:92]
	v_fma_f64 v[85:86], v[87:88], v[125:126], v[85:86]
	v_add_f64 v[115:116], v[115:116], -v[85:86]
	;; [unrolled: 8-line block ×4, first 2 shown]
	ds_read2_b64 v[85:88], v0 offset0:76 offset1:77
	buffer_load_dword v77, off, s[24:27], 0 ; 4-byte Folded Reload
	buffer_load_dword v78, off, s[24:27], 0 offset:4 ; 4-byte Folded Reload
	buffer_load_dword v79, off, s[24:27], 0 offset:8 ; 4-byte Folded Reload
	buffer_load_dword v80, off, s[24:27], 0 offset:12 ; 4-byte Folded Reload
	s_waitcnt lgkmcnt(0)
	v_mul_f64 v[91:92], v[87:88], v[95:96]
	v_fma_f64 v[91:92], v[85:86], v[125:126], -v[91:92]
	v_mul_f64 v[85:86], v[85:86], v[95:96]
	v_fma_f64 v[85:86], v[87:88], v[125:126], v[85:86]
	s_waitcnt vmcnt(2)
	v_add_f64 v[77:78], v[77:78], -v[91:92]
	s_waitcnt vmcnt(0)
	v_add_f64 v[79:80], v[79:80], -v[85:86]
	buffer_store_dword v77, off, s[24:27], 0 ; 4-byte Folded Spill
	s_nop 0
	buffer_store_dword v78, off, s[24:27], 0 offset:4 ; 4-byte Folded Spill
	buffer_store_dword v79, off, s[24:27], 0 offset:8 ; 4-byte Folded Spill
	;; [unrolled: 1-line block ×3, first 2 shown]
	ds_read2_b64 v[85:88], v0 offset0:78 offset1:79
	s_waitcnt lgkmcnt(0)
	v_mul_f64 v[91:92], v[87:88], v[95:96]
	v_fma_f64 v[91:92], v[85:86], v[125:126], -v[91:92]
	v_mul_f64 v[85:86], v[85:86], v[95:96]
	v_add_f64 v[73:74], v[73:74], -v[91:92]
	v_fma_f64 v[85:86], v[87:88], v[125:126], v[85:86]
	v_add_f64 v[75:76], v[75:76], -v[85:86]
	ds_read2_b64 v[85:88], v0 offset0:80 offset1:81
	s_waitcnt lgkmcnt(0)
	v_mul_f64 v[91:92], v[87:88], v[95:96]
	v_fma_f64 v[91:92], v[85:86], v[125:126], -v[91:92]
	v_mul_f64 v[85:86], v[85:86], v[95:96]
	v_add_f64 v[69:70], v[69:70], -v[91:92]
	v_fma_f64 v[85:86], v[87:88], v[125:126], v[85:86]
	v_add_f64 v[71:72], v[71:72], -v[85:86]
	;; [unrolled: 8-line block ×18, first 2 shown]
	ds_read2_b64 v[85:88], v0 offset0:114 offset1:115
	s_waitcnt lgkmcnt(0)
	v_mul_f64 v[91:92], v[87:88], v[95:96]
	v_fma_f64 v[91:92], v[85:86], v[125:126], -v[91:92]
	v_mul_f64 v[85:86], v[85:86], v[95:96]
	v_add_f64 v[1:2], v[1:2], -v[91:92]
	v_fma_f64 v[85:86], v[87:88], v[125:126], v[85:86]
	ds_read2_b64 v[91:94], v0 offset0:116 offset1:117
	s_waitcnt lgkmcnt(0)
	v_mul_f64 v[87:88], v[91:92], v[95:96]
	v_add_f64 v[3:4], v[3:4], -v[85:86]
	v_mul_f64 v[85:86], v[93:94], v[95:96]
	v_fma_f64 v[87:88], v[93:94], v[125:126], v[87:88]
	v_mov_b32_e32 v93, v125
	v_mov_b32_e32 v94, v126
	v_fma_f64 v[85:86], v[91:92], v[125:126], -v[85:86]
	buffer_store_dword v93, off, s[24:27], 0 offset:400 ; 4-byte Folded Spill
	s_nop 0
	buffer_store_dword v94, off, s[24:27], 0 offset:404 ; 4-byte Folded Spill
	buffer_store_dword v95, off, s[24:27], 0 offset:408 ; 4-byte Folded Spill
	;; [unrolled: 1-line block ×3, first 2 shown]
	v_add_f64 v[123:124], v[123:124], -v[87:88]
	v_add_f64 v[121:122], v[121:122], -v[85:86]
.LBB116_209:
	s_or_b64 exec, exec, s[0:1]
	s_waitcnt vmcnt(0)
	s_barrier
	buffer_load_dword v77, off, s[24:27], 0 offset:384 ; 4-byte Folded Reload
	buffer_load_dword v78, off, s[24:27], 0 offset:388 ; 4-byte Folded Reload
	;; [unrolled: 1-line block ×4, first 2 shown]
	v_lshl_add_u32 v85, v89, 4, v0
	s_cmp_lt_i32 s3, 12
	s_waitcnt vmcnt(0)
	ds_write2_b64 v85, v[77:78], v[79:80] offset1:1
	s_waitcnt lgkmcnt(0)
	s_barrier
	ds_read2_b64 v[117:120], v0 offset0:20 offset1:21
	v_mov_b32_e32 v85, 10
	s_cbranch_scc1 .LBB116_212
; %bb.210:
	v_add_u32_e32 v86, 0xb0, v0
	s_mov_b32 s0, 11
	v_mov_b32_e32 v85, 10
.LBB116_211:                            ; =>This Inner Loop Header: Depth=1
	s_waitcnt lgkmcnt(0)
	v_cmp_gt_f64_e32 vcc, 0, v[117:118]
	v_xor_b32_e32 v87, 0x80000000, v118
	ds_read2_b64 v[91:94], v86 offset1:1
	v_xor_b32_e32 v95, 0x80000000, v120
	v_add_u32_e32 v86, 16, v86
	s_waitcnt lgkmcnt(0)
	v_xor_b32_e32 v97, 0x80000000, v94
	v_cndmask_b32_e32 v88, v118, v87, vcc
	v_cmp_gt_f64_e32 vcc, 0, v[119:120]
	v_mov_b32_e32 v87, v117
	v_cndmask_b32_e32 v96, v120, v95, vcc
	v_cmp_gt_f64_e32 vcc, 0, v[91:92]
	v_mov_b32_e32 v95, v119
	v_add_f64 v[87:88], v[87:88], v[95:96]
	v_xor_b32_e32 v95, 0x80000000, v92
	v_cndmask_b32_e32 v96, v92, v95, vcc
	v_cmp_gt_f64_e32 vcc, 0, v[93:94]
	v_mov_b32_e32 v95, v91
	v_cndmask_b32_e32 v98, v94, v97, vcc
	v_mov_b32_e32 v97, v93
	v_add_f64 v[95:96], v[95:96], v[97:98]
	v_cmp_lt_f64_e32 vcc, v[87:88], v[95:96]
	v_mov_b32_e32 v87, s0
	s_add_i32 s0, s0, 1
	s_cmp_lg_u32 s3, s0
	v_cndmask_b32_e32 v118, v118, v92, vcc
	v_cndmask_b32_e32 v117, v117, v91, vcc
	;; [unrolled: 1-line block ×5, first 2 shown]
	s_cbranch_scc1 .LBB116_211
.LBB116_212:
	s_waitcnt lgkmcnt(0)
	v_cmp_eq_f64_e32 vcc, 0, v[117:118]
	v_cmp_eq_f64_e64 s[0:1], 0, v[119:120]
	s_and_b64 s[0:1], vcc, s[0:1]
	s_and_saveexec_b64 s[18:19], s[0:1]
	s_xor_b64 s[0:1], exec, s[18:19]
; %bb.213:
	v_cmp_ne_u32_e32 vcc, 0, v90
	v_cndmask_b32_e32 v90, 11, v90, vcc
; %bb.214:
	s_andn2_saveexec_b64 s[0:1], s[0:1]
	s_cbranch_execz .LBB116_220
; %bb.215:
	v_cmp_ngt_f64_e64 s[18:19], |v[117:118]|, |v[119:120]|
	s_and_saveexec_b64 s[20:21], s[18:19]
	s_xor_b64 s[18:19], exec, s[20:21]
	s_cbranch_execz .LBB116_217
; %bb.216:
	v_div_scale_f64 v[86:87], s[20:21], v[119:120], v[119:120], v[117:118]
	v_rcp_f64_e32 v[91:92], v[86:87]
	v_fma_f64 v[93:94], -v[86:87], v[91:92], 1.0
	v_fma_f64 v[91:92], v[91:92], v[93:94], v[91:92]
	v_div_scale_f64 v[93:94], vcc, v[117:118], v[119:120], v[117:118]
	v_fma_f64 v[95:96], -v[86:87], v[91:92], 1.0
	v_fma_f64 v[91:92], v[91:92], v[95:96], v[91:92]
	v_mul_f64 v[95:96], v[93:94], v[91:92]
	v_fma_f64 v[86:87], -v[86:87], v[95:96], v[93:94]
	v_div_fmas_f64 v[86:87], v[86:87], v[91:92], v[95:96]
	v_div_fixup_f64 v[86:87], v[86:87], v[119:120], v[117:118]
	v_fma_f64 v[91:92], v[117:118], v[86:87], v[119:120]
	v_div_scale_f64 v[93:94], s[20:21], v[91:92], v[91:92], 1.0
	v_div_scale_f64 v[99:100], vcc, 1.0, v[91:92], 1.0
	v_rcp_f64_e32 v[95:96], v[93:94]
	v_fma_f64 v[97:98], -v[93:94], v[95:96], 1.0
	v_fma_f64 v[95:96], v[95:96], v[97:98], v[95:96]
	v_fma_f64 v[97:98], -v[93:94], v[95:96], 1.0
	v_fma_f64 v[95:96], v[95:96], v[97:98], v[95:96]
	v_mul_f64 v[97:98], v[99:100], v[95:96]
	v_fma_f64 v[93:94], -v[93:94], v[97:98], v[99:100]
	v_div_fmas_f64 v[93:94], v[93:94], v[95:96], v[97:98]
	v_div_fixup_f64 v[119:120], v[93:94], v[91:92], 1.0
	v_mul_f64 v[117:118], v[86:87], v[119:120]
	v_xor_b32_e32 v120, 0x80000000, v120
.LBB116_217:
	s_andn2_saveexec_b64 s[18:19], s[18:19]
	s_cbranch_execz .LBB116_219
; %bb.218:
	v_div_scale_f64 v[86:87], s[20:21], v[117:118], v[117:118], v[119:120]
	v_rcp_f64_e32 v[91:92], v[86:87]
	v_fma_f64 v[93:94], -v[86:87], v[91:92], 1.0
	v_fma_f64 v[91:92], v[91:92], v[93:94], v[91:92]
	v_div_scale_f64 v[93:94], vcc, v[119:120], v[117:118], v[119:120]
	v_fma_f64 v[95:96], -v[86:87], v[91:92], 1.0
	v_fma_f64 v[91:92], v[91:92], v[95:96], v[91:92]
	v_mul_f64 v[95:96], v[93:94], v[91:92]
	v_fma_f64 v[86:87], -v[86:87], v[95:96], v[93:94]
	v_div_fmas_f64 v[86:87], v[86:87], v[91:92], v[95:96]
	v_div_fixup_f64 v[86:87], v[86:87], v[117:118], v[119:120]
	v_fma_f64 v[91:92], v[119:120], v[86:87], v[117:118]
	v_div_scale_f64 v[93:94], s[20:21], v[91:92], v[91:92], 1.0
	v_div_scale_f64 v[99:100], vcc, 1.0, v[91:92], 1.0
	v_rcp_f64_e32 v[95:96], v[93:94]
	v_fma_f64 v[97:98], -v[93:94], v[95:96], 1.0
	v_fma_f64 v[95:96], v[95:96], v[97:98], v[95:96]
	v_fma_f64 v[97:98], -v[93:94], v[95:96], 1.0
	v_fma_f64 v[95:96], v[95:96], v[97:98], v[95:96]
	v_mul_f64 v[97:98], v[99:100], v[95:96]
	v_fma_f64 v[93:94], -v[93:94], v[97:98], v[99:100]
	v_div_fmas_f64 v[93:94], v[93:94], v[95:96], v[97:98]
	v_div_fixup_f64 v[117:118], v[93:94], v[91:92], 1.0
	v_mul_f64 v[119:120], v[86:87], -v[117:118]
.LBB116_219:
	s_or_b64 exec, exec, s[18:19]
.LBB116_220:
	s_or_b64 exec, exec, s[0:1]
	v_cmp_ne_u32_e32 vcc, v89, v85
	s_and_saveexec_b64 s[0:1], vcc
	s_xor_b64 s[0:1], exec, s[0:1]
	s_cbranch_execz .LBB116_226
; %bb.221:
	v_cmp_eq_u32_e32 vcc, 10, v89
	s_and_saveexec_b64 s[18:19], vcc
	s_cbranch_execz .LBB116_225
; %bb.222:
	v_cmp_ne_u32_e32 vcc, 10, v85
	s_xor_b64 s[20:21], s[6:7], -1
	s_and_b64 s[22:23], s[20:21], vcc
	s_and_saveexec_b64 s[20:21], s[22:23]
	s_cbranch_execz .LBB116_224
; %bb.223:
	v_mov_b32_e32 v77, v81
	v_mov_b32_e32 v78, v82
	;; [unrolled: 1-line block ×4, first 2 shown]
	buffer_load_dword v81, off, s[24:27], 0 offset:500 ; 4-byte Folded Reload
	buffer_load_dword v82, off, s[24:27], 0 offset:504 ; 4-byte Folded Reload
	v_ashrrev_i32_e32 v86, 31, v85
	v_lshlrev_b64 v[86:87], 2, v[85:86]
	s_waitcnt vmcnt(1)
	v_add_co_u32_e32 v86, vcc, v81, v86
	s_waitcnt vmcnt(0)
	v_addc_co_u32_e32 v87, vcc, v82, v87, vcc
	global_load_dword v88, v[86:87], off
	global_load_dword v89, v[81:82], off offset:40
	s_waitcnt vmcnt(1)
	global_store_dword v[81:82], v88, off offset:40
	v_mov_b32_e32 v84, v80
	v_mov_b32_e32 v83, v79
	;; [unrolled: 1-line block ×4, first 2 shown]
	s_waitcnt vmcnt(1)
	global_store_dword v[86:87], v89, off
.LBB116_224:
	s_or_b64 exec, exec, s[20:21]
	v_mov_b32_e32 v89, v85
	v_mov_b32_e32 v77, v85
	buffer_store_dword v77, off, s[24:27], 0 offset:432 ; 4-byte Folded Spill
.LBB116_225:
	s_or_b64 exec, exec, s[18:19]
.LBB116_226:
	s_andn2_saveexec_b64 s[0:1], s[0:1]
	s_cbranch_execz .LBB116_228
; %bb.227:
	buffer_load_dword v77, off, s[24:27], 0 offset:368 ; 4-byte Folded Reload
	buffer_load_dword v78, off, s[24:27], 0 offset:372 ; 4-byte Folded Reload
	;; [unrolled: 1-line block ×4, first 2 shown]
	v_mov_b32_e32 v89, 10
	s_waitcnt vmcnt(0)
	ds_write2_b64 v0, v[77:78], v[79:80] offset0:22 offset1:23
	buffer_load_dword v77, off, s[24:27], 0 offset:352 ; 4-byte Folded Reload
	buffer_load_dword v78, off, s[24:27], 0 offset:356 ; 4-byte Folded Reload
	buffer_load_dword v79, off, s[24:27], 0 offset:360 ; 4-byte Folded Reload
	buffer_load_dword v80, off, s[24:27], 0 offset:364 ; 4-byte Folded Reload
	s_waitcnt vmcnt(0)
	ds_write2_b64 v0, v[77:78], v[79:80] offset0:24 offset1:25
	buffer_load_dword v77, off, s[24:27], 0 offset:336 ; 4-byte Folded Reload
	buffer_load_dword v78, off, s[24:27], 0 offset:340 ; 4-byte Folded Reload
	buffer_load_dword v79, off, s[24:27], 0 offset:344 ; 4-byte Folded Reload
	buffer_load_dword v80, off, s[24:27], 0 offset:348 ; 4-byte Folded Reload
	;; [unrolled: 6-line block ×22, first 2 shown]
	s_waitcnt vmcnt(0)
	ds_write2_b64 v0, v[77:78], v[79:80] offset0:66 offset1:67
	ds_write2_b64 v0, v[81:82], v[83:84] offset0:68 offset1:69
	;; [unrolled: 1-line block ×5, first 2 shown]
	buffer_load_dword v77, off, s[24:27], 0 ; 4-byte Folded Reload
	buffer_load_dword v78, off, s[24:27], 0 offset:4 ; 4-byte Folded Reload
	buffer_load_dword v79, off, s[24:27], 0 offset:8 ; 4-byte Folded Reload
	;; [unrolled: 1-line block ×3, first 2 shown]
	s_waitcnt vmcnt(0)
	ds_write2_b64 v0, v[77:78], v[79:80] offset0:76 offset1:77
	ds_write2_b64 v0, v[73:74], v[75:76] offset0:78 offset1:79
	;; [unrolled: 1-line block ×21, first 2 shown]
.LBB116_228:
	s_or_b64 exec, exec, s[0:1]
	v_cmp_lt_i32_e32 vcc, 10, v89
	s_waitcnt vmcnt(0) lgkmcnt(0)
	s_barrier
	s_and_saveexec_b64 s[0:1], vcc
	s_cbranch_execz .LBB116_230
; %bb.229:
	buffer_load_dword v93, off, s[24:27], 0 offset:384 ; 4-byte Folded Reload
	buffer_load_dword v94, off, s[24:27], 0 offset:388 ; 4-byte Folded Reload
	;; [unrolled: 1-line block ×4, first 2 shown]
	s_waitcnt vmcnt(0)
	v_mul_f64 v[85:86], v[119:120], v[95:96]
	v_fma_f64 v[125:126], v[117:118], v[93:94], -v[85:86]
	v_mul_f64 v[85:86], v[117:118], v[95:96]
	v_fma_f64 v[95:96], v[119:120], v[93:94], v[85:86]
	ds_read2_b64 v[85:88], v0 offset0:22 offset1:23
	buffer_load_dword v77, off, s[24:27], 0 offset:368 ; 4-byte Folded Reload
	buffer_load_dword v78, off, s[24:27], 0 offset:372 ; 4-byte Folded Reload
	buffer_load_dword v79, off, s[24:27], 0 offset:376 ; 4-byte Folded Reload
	buffer_load_dword v80, off, s[24:27], 0 offset:380 ; 4-byte Folded Reload
	s_waitcnt lgkmcnt(0)
	v_mul_f64 v[91:92], v[87:88], v[95:96]
	v_fma_f64 v[91:92], v[85:86], v[125:126], -v[91:92]
	v_mul_f64 v[85:86], v[85:86], v[95:96]
	v_fma_f64 v[85:86], v[87:88], v[125:126], v[85:86]
	s_waitcnt vmcnt(2)
	v_add_f64 v[77:78], v[77:78], -v[91:92]
	s_waitcnt vmcnt(0)
	v_add_f64 v[79:80], v[79:80], -v[85:86]
	buffer_store_dword v77, off, s[24:27], 0 offset:368 ; 4-byte Folded Spill
	s_nop 0
	buffer_store_dword v78, off, s[24:27], 0 offset:372 ; 4-byte Folded Spill
	buffer_store_dword v79, off, s[24:27], 0 offset:376 ; 4-byte Folded Spill
	buffer_store_dword v80, off, s[24:27], 0 offset:380 ; 4-byte Folded Spill
	ds_read2_b64 v[85:88], v0 offset0:24 offset1:25
	buffer_load_dword v77, off, s[24:27], 0 offset:352 ; 4-byte Folded Reload
	buffer_load_dword v78, off, s[24:27], 0 offset:356 ; 4-byte Folded Reload
	buffer_load_dword v79, off, s[24:27], 0 offset:360 ; 4-byte Folded Reload
	buffer_load_dword v80, off, s[24:27], 0 offset:364 ; 4-byte Folded Reload
	s_waitcnt lgkmcnt(0)
	v_mul_f64 v[91:92], v[87:88], v[95:96]
	v_fma_f64 v[91:92], v[85:86], v[125:126], -v[91:92]
	v_mul_f64 v[85:86], v[85:86], v[95:96]
	v_fma_f64 v[85:86], v[87:88], v[125:126], v[85:86]
	s_waitcnt vmcnt(2)
	v_add_f64 v[77:78], v[77:78], -v[91:92]
	s_waitcnt vmcnt(0)
	v_add_f64 v[79:80], v[79:80], -v[85:86]
	buffer_store_dword v77, off, s[24:27], 0 offset:352 ; 4-byte Folded Spill
	s_nop 0
	buffer_store_dword v78, off, s[24:27], 0 offset:356 ; 4-byte Folded Spill
	buffer_store_dword v79, off, s[24:27], 0 offset:360 ; 4-byte Folded Spill
	buffer_store_dword v80, off, s[24:27], 0 offset:364 ; 4-byte Folded Spill
	ds_read2_b64 v[85:88], v0 offset0:26 offset1:27
	buffer_load_dword v77, off, s[24:27], 0 offset:336 ; 4-byte Folded Reload
	buffer_load_dword v78, off, s[24:27], 0 offset:340 ; 4-byte Folded Reload
	buffer_load_dword v79, off, s[24:27], 0 offset:344 ; 4-byte Folded Reload
	buffer_load_dword v80, off, s[24:27], 0 offset:348 ; 4-byte Folded Reload
	s_waitcnt lgkmcnt(0)
	v_mul_f64 v[91:92], v[87:88], v[95:96]
	v_fma_f64 v[91:92], v[85:86], v[125:126], -v[91:92]
	v_mul_f64 v[85:86], v[85:86], v[95:96]
	v_fma_f64 v[85:86], v[87:88], v[125:126], v[85:86]
	s_waitcnt vmcnt(2)
	v_add_f64 v[77:78], v[77:78], -v[91:92]
	s_waitcnt vmcnt(0)
	v_add_f64 v[79:80], v[79:80], -v[85:86]
	buffer_store_dword v77, off, s[24:27], 0 offset:336 ; 4-byte Folded Spill
	s_nop 0
	buffer_store_dword v78, off, s[24:27], 0 offset:340 ; 4-byte Folded Spill
	buffer_store_dword v79, off, s[24:27], 0 offset:344 ; 4-byte Folded Spill
	buffer_store_dword v80, off, s[24:27], 0 offset:348 ; 4-byte Folded Spill
	ds_read2_b64 v[85:88], v0 offset0:28 offset1:29
	buffer_load_dword v77, off, s[24:27], 0 offset:320 ; 4-byte Folded Reload
	buffer_load_dword v78, off, s[24:27], 0 offset:324 ; 4-byte Folded Reload
	buffer_load_dword v79, off, s[24:27], 0 offset:328 ; 4-byte Folded Reload
	buffer_load_dword v80, off, s[24:27], 0 offset:332 ; 4-byte Folded Reload
	s_waitcnt lgkmcnt(0)
	v_mul_f64 v[91:92], v[87:88], v[95:96]
	v_fma_f64 v[91:92], v[85:86], v[125:126], -v[91:92]
	v_mul_f64 v[85:86], v[85:86], v[95:96]
	v_fma_f64 v[85:86], v[87:88], v[125:126], v[85:86]
	s_waitcnt vmcnt(2)
	v_add_f64 v[77:78], v[77:78], -v[91:92]
	s_waitcnt vmcnt(0)
	v_add_f64 v[79:80], v[79:80], -v[85:86]
	buffer_store_dword v77, off, s[24:27], 0 offset:320 ; 4-byte Folded Spill
	s_nop 0
	buffer_store_dword v78, off, s[24:27], 0 offset:324 ; 4-byte Folded Spill
	buffer_store_dword v79, off, s[24:27], 0 offset:328 ; 4-byte Folded Spill
	buffer_store_dword v80, off, s[24:27], 0 offset:332 ; 4-byte Folded Spill
	ds_read2_b64 v[85:88], v0 offset0:30 offset1:31
	buffer_load_dword v77, off, s[24:27], 0 offset:304 ; 4-byte Folded Reload
	buffer_load_dword v78, off, s[24:27], 0 offset:308 ; 4-byte Folded Reload
	buffer_load_dword v79, off, s[24:27], 0 offset:312 ; 4-byte Folded Reload
	buffer_load_dword v80, off, s[24:27], 0 offset:316 ; 4-byte Folded Reload
	s_waitcnt lgkmcnt(0)
	v_mul_f64 v[91:92], v[87:88], v[95:96]
	v_fma_f64 v[91:92], v[85:86], v[125:126], -v[91:92]
	v_mul_f64 v[85:86], v[85:86], v[95:96]
	v_fma_f64 v[85:86], v[87:88], v[125:126], v[85:86]
	s_waitcnt vmcnt(2)
	v_add_f64 v[77:78], v[77:78], -v[91:92]
	s_waitcnt vmcnt(0)
	v_add_f64 v[79:80], v[79:80], -v[85:86]
	buffer_store_dword v77, off, s[24:27], 0 offset:304 ; 4-byte Folded Spill
	s_nop 0
	buffer_store_dword v78, off, s[24:27], 0 offset:308 ; 4-byte Folded Spill
	buffer_store_dword v79, off, s[24:27], 0 offset:312 ; 4-byte Folded Spill
	buffer_store_dword v80, off, s[24:27], 0 offset:316 ; 4-byte Folded Spill
	ds_read2_b64 v[85:88], v0 offset0:32 offset1:33
	buffer_load_dword v77, off, s[24:27], 0 offset:288 ; 4-byte Folded Reload
	buffer_load_dword v78, off, s[24:27], 0 offset:292 ; 4-byte Folded Reload
	buffer_load_dword v79, off, s[24:27], 0 offset:296 ; 4-byte Folded Reload
	buffer_load_dword v80, off, s[24:27], 0 offset:300 ; 4-byte Folded Reload
	s_waitcnt lgkmcnt(0)
	v_mul_f64 v[91:92], v[87:88], v[95:96]
	v_fma_f64 v[91:92], v[85:86], v[125:126], -v[91:92]
	v_mul_f64 v[85:86], v[85:86], v[95:96]
	v_fma_f64 v[85:86], v[87:88], v[125:126], v[85:86]
	s_waitcnt vmcnt(2)
	v_add_f64 v[77:78], v[77:78], -v[91:92]
	s_waitcnt vmcnt(0)
	v_add_f64 v[79:80], v[79:80], -v[85:86]
	buffer_store_dword v77, off, s[24:27], 0 offset:288 ; 4-byte Folded Spill
	s_nop 0
	buffer_store_dword v78, off, s[24:27], 0 offset:292 ; 4-byte Folded Spill
	buffer_store_dword v79, off, s[24:27], 0 offset:296 ; 4-byte Folded Spill
	buffer_store_dword v80, off, s[24:27], 0 offset:300 ; 4-byte Folded Spill
	ds_read2_b64 v[85:88], v0 offset0:34 offset1:35
	buffer_load_dword v77, off, s[24:27], 0 offset:272 ; 4-byte Folded Reload
	buffer_load_dword v78, off, s[24:27], 0 offset:276 ; 4-byte Folded Reload
	buffer_load_dword v79, off, s[24:27], 0 offset:280 ; 4-byte Folded Reload
	buffer_load_dword v80, off, s[24:27], 0 offset:284 ; 4-byte Folded Reload
	s_waitcnt lgkmcnt(0)
	v_mul_f64 v[91:92], v[87:88], v[95:96]
	v_fma_f64 v[91:92], v[85:86], v[125:126], -v[91:92]
	v_mul_f64 v[85:86], v[85:86], v[95:96]
	v_fma_f64 v[85:86], v[87:88], v[125:126], v[85:86]
	s_waitcnt vmcnt(2)
	v_add_f64 v[77:78], v[77:78], -v[91:92]
	s_waitcnt vmcnt(0)
	v_add_f64 v[79:80], v[79:80], -v[85:86]
	buffer_store_dword v77, off, s[24:27], 0 offset:272 ; 4-byte Folded Spill
	s_nop 0
	buffer_store_dword v78, off, s[24:27], 0 offset:276 ; 4-byte Folded Spill
	buffer_store_dword v79, off, s[24:27], 0 offset:280 ; 4-byte Folded Spill
	buffer_store_dword v80, off, s[24:27], 0 offset:284 ; 4-byte Folded Spill
	ds_read2_b64 v[85:88], v0 offset0:36 offset1:37
	buffer_load_dword v77, off, s[24:27], 0 offset:256 ; 4-byte Folded Reload
	buffer_load_dword v78, off, s[24:27], 0 offset:260 ; 4-byte Folded Reload
	buffer_load_dword v79, off, s[24:27], 0 offset:264 ; 4-byte Folded Reload
	buffer_load_dword v80, off, s[24:27], 0 offset:268 ; 4-byte Folded Reload
	s_waitcnt lgkmcnt(0)
	v_mul_f64 v[91:92], v[87:88], v[95:96]
	v_fma_f64 v[91:92], v[85:86], v[125:126], -v[91:92]
	v_mul_f64 v[85:86], v[85:86], v[95:96]
	v_fma_f64 v[85:86], v[87:88], v[125:126], v[85:86]
	s_waitcnt vmcnt(2)
	v_add_f64 v[77:78], v[77:78], -v[91:92]
	s_waitcnt vmcnt(0)
	v_add_f64 v[79:80], v[79:80], -v[85:86]
	buffer_store_dword v77, off, s[24:27], 0 offset:256 ; 4-byte Folded Spill
	s_nop 0
	buffer_store_dword v78, off, s[24:27], 0 offset:260 ; 4-byte Folded Spill
	buffer_store_dword v79, off, s[24:27], 0 offset:264 ; 4-byte Folded Spill
	buffer_store_dword v80, off, s[24:27], 0 offset:268 ; 4-byte Folded Spill
	ds_read2_b64 v[85:88], v0 offset0:38 offset1:39
	buffer_load_dword v77, off, s[24:27], 0 offset:240 ; 4-byte Folded Reload
	buffer_load_dword v78, off, s[24:27], 0 offset:244 ; 4-byte Folded Reload
	buffer_load_dword v79, off, s[24:27], 0 offset:248 ; 4-byte Folded Reload
	buffer_load_dword v80, off, s[24:27], 0 offset:252 ; 4-byte Folded Reload
	s_waitcnt lgkmcnt(0)
	v_mul_f64 v[91:92], v[87:88], v[95:96]
	v_fma_f64 v[91:92], v[85:86], v[125:126], -v[91:92]
	v_mul_f64 v[85:86], v[85:86], v[95:96]
	v_fma_f64 v[85:86], v[87:88], v[125:126], v[85:86]
	s_waitcnt vmcnt(2)
	v_add_f64 v[77:78], v[77:78], -v[91:92]
	s_waitcnt vmcnt(0)
	v_add_f64 v[79:80], v[79:80], -v[85:86]
	buffer_store_dword v77, off, s[24:27], 0 offset:240 ; 4-byte Folded Spill
	s_nop 0
	buffer_store_dword v78, off, s[24:27], 0 offset:244 ; 4-byte Folded Spill
	buffer_store_dword v79, off, s[24:27], 0 offset:248 ; 4-byte Folded Spill
	buffer_store_dword v80, off, s[24:27], 0 offset:252 ; 4-byte Folded Spill
	ds_read2_b64 v[85:88], v0 offset0:40 offset1:41
	buffer_load_dword v77, off, s[24:27], 0 offset:224 ; 4-byte Folded Reload
	buffer_load_dword v78, off, s[24:27], 0 offset:228 ; 4-byte Folded Reload
	buffer_load_dword v79, off, s[24:27], 0 offset:232 ; 4-byte Folded Reload
	buffer_load_dword v80, off, s[24:27], 0 offset:236 ; 4-byte Folded Reload
	s_waitcnt lgkmcnt(0)
	v_mul_f64 v[91:92], v[87:88], v[95:96]
	v_fma_f64 v[91:92], v[85:86], v[125:126], -v[91:92]
	v_mul_f64 v[85:86], v[85:86], v[95:96]
	v_fma_f64 v[85:86], v[87:88], v[125:126], v[85:86]
	s_waitcnt vmcnt(2)
	v_add_f64 v[77:78], v[77:78], -v[91:92]
	s_waitcnt vmcnt(0)
	v_add_f64 v[79:80], v[79:80], -v[85:86]
	buffer_store_dword v77, off, s[24:27], 0 offset:224 ; 4-byte Folded Spill
	s_nop 0
	buffer_store_dword v78, off, s[24:27], 0 offset:228 ; 4-byte Folded Spill
	buffer_store_dword v79, off, s[24:27], 0 offset:232 ; 4-byte Folded Spill
	buffer_store_dword v80, off, s[24:27], 0 offset:236 ; 4-byte Folded Spill
	ds_read2_b64 v[85:88], v0 offset0:42 offset1:43
	buffer_load_dword v77, off, s[24:27], 0 offset:208 ; 4-byte Folded Reload
	buffer_load_dword v78, off, s[24:27], 0 offset:212 ; 4-byte Folded Reload
	buffer_load_dword v79, off, s[24:27], 0 offset:216 ; 4-byte Folded Reload
	buffer_load_dword v80, off, s[24:27], 0 offset:220 ; 4-byte Folded Reload
	s_waitcnt lgkmcnt(0)
	v_mul_f64 v[91:92], v[87:88], v[95:96]
	v_fma_f64 v[91:92], v[85:86], v[125:126], -v[91:92]
	v_mul_f64 v[85:86], v[85:86], v[95:96]
	v_fma_f64 v[85:86], v[87:88], v[125:126], v[85:86]
	s_waitcnt vmcnt(2)
	v_add_f64 v[77:78], v[77:78], -v[91:92]
	s_waitcnt vmcnt(0)
	v_add_f64 v[79:80], v[79:80], -v[85:86]
	buffer_store_dword v77, off, s[24:27], 0 offset:208 ; 4-byte Folded Spill
	s_nop 0
	buffer_store_dword v78, off, s[24:27], 0 offset:212 ; 4-byte Folded Spill
	buffer_store_dword v79, off, s[24:27], 0 offset:216 ; 4-byte Folded Spill
	buffer_store_dword v80, off, s[24:27], 0 offset:220 ; 4-byte Folded Spill
	ds_read2_b64 v[85:88], v0 offset0:44 offset1:45
	buffer_load_dword v77, off, s[24:27], 0 offset:192 ; 4-byte Folded Reload
	buffer_load_dword v78, off, s[24:27], 0 offset:196 ; 4-byte Folded Reload
	buffer_load_dword v79, off, s[24:27], 0 offset:200 ; 4-byte Folded Reload
	buffer_load_dword v80, off, s[24:27], 0 offset:204 ; 4-byte Folded Reload
	s_waitcnt lgkmcnt(0)
	v_mul_f64 v[91:92], v[87:88], v[95:96]
	v_fma_f64 v[91:92], v[85:86], v[125:126], -v[91:92]
	v_mul_f64 v[85:86], v[85:86], v[95:96]
	v_fma_f64 v[85:86], v[87:88], v[125:126], v[85:86]
	s_waitcnt vmcnt(2)
	v_add_f64 v[77:78], v[77:78], -v[91:92]
	s_waitcnt vmcnt(0)
	v_add_f64 v[79:80], v[79:80], -v[85:86]
	buffer_store_dword v77, off, s[24:27], 0 offset:192 ; 4-byte Folded Spill
	s_nop 0
	buffer_store_dword v78, off, s[24:27], 0 offset:196 ; 4-byte Folded Spill
	buffer_store_dword v79, off, s[24:27], 0 offset:200 ; 4-byte Folded Spill
	buffer_store_dword v80, off, s[24:27], 0 offset:204 ; 4-byte Folded Spill
	ds_read2_b64 v[85:88], v0 offset0:46 offset1:47
	buffer_load_dword v77, off, s[24:27], 0 offset:176 ; 4-byte Folded Reload
	buffer_load_dword v78, off, s[24:27], 0 offset:180 ; 4-byte Folded Reload
	buffer_load_dword v79, off, s[24:27], 0 offset:184 ; 4-byte Folded Reload
	buffer_load_dword v80, off, s[24:27], 0 offset:188 ; 4-byte Folded Reload
	s_waitcnt lgkmcnt(0)
	v_mul_f64 v[91:92], v[87:88], v[95:96]
	v_fma_f64 v[91:92], v[85:86], v[125:126], -v[91:92]
	v_mul_f64 v[85:86], v[85:86], v[95:96]
	v_fma_f64 v[85:86], v[87:88], v[125:126], v[85:86]
	s_waitcnt vmcnt(2)
	v_add_f64 v[77:78], v[77:78], -v[91:92]
	s_waitcnt vmcnt(0)
	v_add_f64 v[79:80], v[79:80], -v[85:86]
	buffer_store_dword v77, off, s[24:27], 0 offset:176 ; 4-byte Folded Spill
	s_nop 0
	buffer_store_dword v78, off, s[24:27], 0 offset:180 ; 4-byte Folded Spill
	buffer_store_dword v79, off, s[24:27], 0 offset:184 ; 4-byte Folded Spill
	buffer_store_dword v80, off, s[24:27], 0 offset:188 ; 4-byte Folded Spill
	ds_read2_b64 v[85:88], v0 offset0:48 offset1:49
	buffer_load_dword v77, off, s[24:27], 0 offset:160 ; 4-byte Folded Reload
	buffer_load_dword v78, off, s[24:27], 0 offset:164 ; 4-byte Folded Reload
	buffer_load_dword v79, off, s[24:27], 0 offset:168 ; 4-byte Folded Reload
	buffer_load_dword v80, off, s[24:27], 0 offset:172 ; 4-byte Folded Reload
	s_waitcnt lgkmcnt(0)
	v_mul_f64 v[91:92], v[87:88], v[95:96]
	v_fma_f64 v[91:92], v[85:86], v[125:126], -v[91:92]
	v_mul_f64 v[85:86], v[85:86], v[95:96]
	v_fma_f64 v[85:86], v[87:88], v[125:126], v[85:86]
	s_waitcnt vmcnt(2)
	v_add_f64 v[77:78], v[77:78], -v[91:92]
	s_waitcnt vmcnt(0)
	v_add_f64 v[79:80], v[79:80], -v[85:86]
	buffer_store_dword v77, off, s[24:27], 0 offset:160 ; 4-byte Folded Spill
	s_nop 0
	buffer_store_dword v78, off, s[24:27], 0 offset:164 ; 4-byte Folded Spill
	buffer_store_dword v79, off, s[24:27], 0 offset:168 ; 4-byte Folded Spill
	buffer_store_dword v80, off, s[24:27], 0 offset:172 ; 4-byte Folded Spill
	ds_read2_b64 v[85:88], v0 offset0:50 offset1:51
	buffer_load_dword v77, off, s[24:27], 0 offset:144 ; 4-byte Folded Reload
	buffer_load_dword v78, off, s[24:27], 0 offset:148 ; 4-byte Folded Reload
	buffer_load_dword v79, off, s[24:27], 0 offset:152 ; 4-byte Folded Reload
	buffer_load_dword v80, off, s[24:27], 0 offset:156 ; 4-byte Folded Reload
	s_waitcnt lgkmcnt(0)
	v_mul_f64 v[91:92], v[87:88], v[95:96]
	v_fma_f64 v[91:92], v[85:86], v[125:126], -v[91:92]
	v_mul_f64 v[85:86], v[85:86], v[95:96]
	v_fma_f64 v[85:86], v[87:88], v[125:126], v[85:86]
	s_waitcnt vmcnt(2)
	v_add_f64 v[77:78], v[77:78], -v[91:92]
	s_waitcnt vmcnt(0)
	v_add_f64 v[79:80], v[79:80], -v[85:86]
	buffer_store_dword v77, off, s[24:27], 0 offset:144 ; 4-byte Folded Spill
	s_nop 0
	buffer_store_dword v78, off, s[24:27], 0 offset:148 ; 4-byte Folded Spill
	buffer_store_dword v79, off, s[24:27], 0 offset:152 ; 4-byte Folded Spill
	buffer_store_dword v80, off, s[24:27], 0 offset:156 ; 4-byte Folded Spill
	ds_read2_b64 v[85:88], v0 offset0:52 offset1:53
	buffer_load_dword v77, off, s[24:27], 0 offset:128 ; 4-byte Folded Reload
	buffer_load_dword v78, off, s[24:27], 0 offset:132 ; 4-byte Folded Reload
	buffer_load_dword v79, off, s[24:27], 0 offset:136 ; 4-byte Folded Reload
	buffer_load_dword v80, off, s[24:27], 0 offset:140 ; 4-byte Folded Reload
	s_waitcnt lgkmcnt(0)
	v_mul_f64 v[91:92], v[87:88], v[95:96]
	v_fma_f64 v[91:92], v[85:86], v[125:126], -v[91:92]
	v_mul_f64 v[85:86], v[85:86], v[95:96]
	v_fma_f64 v[85:86], v[87:88], v[125:126], v[85:86]
	s_waitcnt vmcnt(2)
	v_add_f64 v[77:78], v[77:78], -v[91:92]
	s_waitcnt vmcnt(0)
	v_add_f64 v[79:80], v[79:80], -v[85:86]
	buffer_store_dword v77, off, s[24:27], 0 offset:128 ; 4-byte Folded Spill
	s_nop 0
	buffer_store_dword v78, off, s[24:27], 0 offset:132 ; 4-byte Folded Spill
	buffer_store_dword v79, off, s[24:27], 0 offset:136 ; 4-byte Folded Spill
	buffer_store_dword v80, off, s[24:27], 0 offset:140 ; 4-byte Folded Spill
	ds_read2_b64 v[85:88], v0 offset0:54 offset1:55
	buffer_load_dword v77, off, s[24:27], 0 offset:112 ; 4-byte Folded Reload
	buffer_load_dword v78, off, s[24:27], 0 offset:116 ; 4-byte Folded Reload
	buffer_load_dword v79, off, s[24:27], 0 offset:120 ; 4-byte Folded Reload
	buffer_load_dword v80, off, s[24:27], 0 offset:124 ; 4-byte Folded Reload
	s_waitcnt lgkmcnt(0)
	v_mul_f64 v[91:92], v[87:88], v[95:96]
	v_fma_f64 v[91:92], v[85:86], v[125:126], -v[91:92]
	v_mul_f64 v[85:86], v[85:86], v[95:96]
	v_fma_f64 v[85:86], v[87:88], v[125:126], v[85:86]
	s_waitcnt vmcnt(2)
	v_add_f64 v[77:78], v[77:78], -v[91:92]
	s_waitcnt vmcnt(0)
	v_add_f64 v[79:80], v[79:80], -v[85:86]
	buffer_store_dword v77, off, s[24:27], 0 offset:112 ; 4-byte Folded Spill
	s_nop 0
	buffer_store_dword v78, off, s[24:27], 0 offset:116 ; 4-byte Folded Spill
	buffer_store_dword v79, off, s[24:27], 0 offset:120 ; 4-byte Folded Spill
	buffer_store_dword v80, off, s[24:27], 0 offset:124 ; 4-byte Folded Spill
	ds_read2_b64 v[85:88], v0 offset0:56 offset1:57
	buffer_load_dword v77, off, s[24:27], 0 offset:96 ; 4-byte Folded Reload
	buffer_load_dword v78, off, s[24:27], 0 offset:100 ; 4-byte Folded Reload
	buffer_load_dword v79, off, s[24:27], 0 offset:104 ; 4-byte Folded Reload
	buffer_load_dword v80, off, s[24:27], 0 offset:108 ; 4-byte Folded Reload
	s_waitcnt lgkmcnt(0)
	v_mul_f64 v[91:92], v[87:88], v[95:96]
	v_fma_f64 v[91:92], v[85:86], v[125:126], -v[91:92]
	v_mul_f64 v[85:86], v[85:86], v[95:96]
	v_fma_f64 v[85:86], v[87:88], v[125:126], v[85:86]
	s_waitcnt vmcnt(2)
	v_add_f64 v[77:78], v[77:78], -v[91:92]
	s_waitcnt vmcnt(0)
	v_add_f64 v[79:80], v[79:80], -v[85:86]
	buffer_store_dword v77, off, s[24:27], 0 offset:96 ; 4-byte Folded Spill
	s_nop 0
	buffer_store_dword v78, off, s[24:27], 0 offset:100 ; 4-byte Folded Spill
	buffer_store_dword v79, off, s[24:27], 0 offset:104 ; 4-byte Folded Spill
	buffer_store_dword v80, off, s[24:27], 0 offset:108 ; 4-byte Folded Spill
	ds_read2_b64 v[85:88], v0 offset0:58 offset1:59
	buffer_load_dword v77, off, s[24:27], 0 offset:80 ; 4-byte Folded Reload
	buffer_load_dword v78, off, s[24:27], 0 offset:84 ; 4-byte Folded Reload
	buffer_load_dword v79, off, s[24:27], 0 offset:88 ; 4-byte Folded Reload
	buffer_load_dword v80, off, s[24:27], 0 offset:92 ; 4-byte Folded Reload
	s_waitcnt lgkmcnt(0)
	v_mul_f64 v[91:92], v[87:88], v[95:96]
	v_fma_f64 v[91:92], v[85:86], v[125:126], -v[91:92]
	v_mul_f64 v[85:86], v[85:86], v[95:96]
	v_fma_f64 v[85:86], v[87:88], v[125:126], v[85:86]
	s_waitcnt vmcnt(2)
	v_add_f64 v[77:78], v[77:78], -v[91:92]
	s_waitcnt vmcnt(0)
	v_add_f64 v[79:80], v[79:80], -v[85:86]
	buffer_store_dword v77, off, s[24:27], 0 offset:80 ; 4-byte Folded Spill
	s_nop 0
	buffer_store_dword v78, off, s[24:27], 0 offset:84 ; 4-byte Folded Spill
	buffer_store_dword v79, off, s[24:27], 0 offset:88 ; 4-byte Folded Spill
	buffer_store_dword v80, off, s[24:27], 0 offset:92 ; 4-byte Folded Spill
	ds_read2_b64 v[85:88], v0 offset0:60 offset1:61
	buffer_load_dword v77, off, s[24:27], 0 offset:64 ; 4-byte Folded Reload
	buffer_load_dword v78, off, s[24:27], 0 offset:68 ; 4-byte Folded Reload
	buffer_load_dword v79, off, s[24:27], 0 offset:72 ; 4-byte Folded Reload
	buffer_load_dword v80, off, s[24:27], 0 offset:76 ; 4-byte Folded Reload
	s_waitcnt lgkmcnt(0)
	v_mul_f64 v[91:92], v[87:88], v[95:96]
	v_fma_f64 v[91:92], v[85:86], v[125:126], -v[91:92]
	v_mul_f64 v[85:86], v[85:86], v[95:96]
	v_fma_f64 v[85:86], v[87:88], v[125:126], v[85:86]
	s_waitcnt vmcnt(2)
	v_add_f64 v[77:78], v[77:78], -v[91:92]
	s_waitcnt vmcnt(0)
	v_add_f64 v[79:80], v[79:80], -v[85:86]
	buffer_store_dword v77, off, s[24:27], 0 offset:64 ; 4-byte Folded Spill
	s_nop 0
	buffer_store_dword v78, off, s[24:27], 0 offset:68 ; 4-byte Folded Spill
	buffer_store_dword v79, off, s[24:27], 0 offset:72 ; 4-byte Folded Spill
	buffer_store_dword v80, off, s[24:27], 0 offset:76 ; 4-byte Folded Spill
	ds_read2_b64 v[85:88], v0 offset0:62 offset1:63
	buffer_load_dword v77, off, s[24:27], 0 offset:48 ; 4-byte Folded Reload
	buffer_load_dword v78, off, s[24:27], 0 offset:52 ; 4-byte Folded Reload
	buffer_load_dword v79, off, s[24:27], 0 offset:56 ; 4-byte Folded Reload
	buffer_load_dword v80, off, s[24:27], 0 offset:60 ; 4-byte Folded Reload
	s_waitcnt lgkmcnt(0)
	v_mul_f64 v[91:92], v[87:88], v[95:96]
	v_fma_f64 v[91:92], v[85:86], v[125:126], -v[91:92]
	v_mul_f64 v[85:86], v[85:86], v[95:96]
	v_fma_f64 v[85:86], v[87:88], v[125:126], v[85:86]
	s_waitcnt vmcnt(2)
	v_add_f64 v[77:78], v[77:78], -v[91:92]
	s_waitcnt vmcnt(0)
	v_add_f64 v[79:80], v[79:80], -v[85:86]
	buffer_store_dword v77, off, s[24:27], 0 offset:48 ; 4-byte Folded Spill
	s_nop 0
	buffer_store_dword v78, off, s[24:27], 0 offset:52 ; 4-byte Folded Spill
	buffer_store_dword v79, off, s[24:27], 0 offset:56 ; 4-byte Folded Spill
	buffer_store_dword v80, off, s[24:27], 0 offset:60 ; 4-byte Folded Spill
	ds_read2_b64 v[85:88], v0 offset0:64 offset1:65
	buffer_load_dword v77, off, s[24:27], 0 offset:32 ; 4-byte Folded Reload
	buffer_load_dword v78, off, s[24:27], 0 offset:36 ; 4-byte Folded Reload
	buffer_load_dword v79, off, s[24:27], 0 offset:40 ; 4-byte Folded Reload
	buffer_load_dword v80, off, s[24:27], 0 offset:44 ; 4-byte Folded Reload
	s_waitcnt lgkmcnt(0)
	v_mul_f64 v[91:92], v[87:88], v[95:96]
	v_fma_f64 v[91:92], v[85:86], v[125:126], -v[91:92]
	v_mul_f64 v[85:86], v[85:86], v[95:96]
	v_fma_f64 v[85:86], v[87:88], v[125:126], v[85:86]
	s_waitcnt vmcnt(2)
	v_add_f64 v[77:78], v[77:78], -v[91:92]
	s_waitcnt vmcnt(0)
	v_add_f64 v[79:80], v[79:80], -v[85:86]
	buffer_store_dword v77, off, s[24:27], 0 offset:32 ; 4-byte Folded Spill
	s_nop 0
	buffer_store_dword v78, off, s[24:27], 0 offset:36 ; 4-byte Folded Spill
	buffer_store_dword v79, off, s[24:27], 0 offset:40 ; 4-byte Folded Spill
	buffer_store_dword v80, off, s[24:27], 0 offset:44 ; 4-byte Folded Spill
	ds_read2_b64 v[85:88], v0 offset0:66 offset1:67
	buffer_load_dword v77, off, s[24:27], 0 offset:16 ; 4-byte Folded Reload
	buffer_load_dword v78, off, s[24:27], 0 offset:20 ; 4-byte Folded Reload
	buffer_load_dword v79, off, s[24:27], 0 offset:24 ; 4-byte Folded Reload
	buffer_load_dword v80, off, s[24:27], 0 offset:28 ; 4-byte Folded Reload
	s_waitcnt lgkmcnt(0)
	v_mul_f64 v[91:92], v[87:88], v[95:96]
	v_fma_f64 v[91:92], v[85:86], v[125:126], -v[91:92]
	v_mul_f64 v[85:86], v[85:86], v[95:96]
	v_fma_f64 v[85:86], v[87:88], v[125:126], v[85:86]
	s_waitcnt vmcnt(2)
	v_add_f64 v[77:78], v[77:78], -v[91:92]
	s_waitcnt vmcnt(0)
	v_add_f64 v[79:80], v[79:80], -v[85:86]
	buffer_store_dword v77, off, s[24:27], 0 offset:16 ; 4-byte Folded Spill
	s_nop 0
	buffer_store_dword v78, off, s[24:27], 0 offset:20 ; 4-byte Folded Spill
	buffer_store_dword v79, off, s[24:27], 0 offset:24 ; 4-byte Folded Spill
	buffer_store_dword v80, off, s[24:27], 0 offset:28 ; 4-byte Folded Spill
	ds_read2_b64 v[85:88], v0 offset0:68 offset1:69
	s_waitcnt lgkmcnt(0)
	v_mul_f64 v[91:92], v[87:88], v[95:96]
	v_fma_f64 v[91:92], v[85:86], v[125:126], -v[91:92]
	v_mul_f64 v[85:86], v[85:86], v[95:96]
	v_add_f64 v[81:82], v[81:82], -v[91:92]
	v_fma_f64 v[85:86], v[87:88], v[125:126], v[85:86]
	v_add_f64 v[83:84], v[83:84], -v[85:86]
	ds_read2_b64 v[85:88], v0 offset0:70 offset1:71
	s_waitcnt lgkmcnt(0)
	v_mul_f64 v[91:92], v[87:88], v[95:96]
	v_fma_f64 v[91:92], v[85:86], v[125:126], -v[91:92]
	v_mul_f64 v[85:86], v[85:86], v[95:96]
	v_add_f64 v[113:114], v[113:114], -v[91:92]
	v_fma_f64 v[85:86], v[87:88], v[125:126], v[85:86]
	v_add_f64 v[115:116], v[115:116], -v[85:86]
	;; [unrolled: 8-line block ×4, first 2 shown]
	ds_read2_b64 v[85:88], v0 offset0:76 offset1:77
	buffer_load_dword v77, off, s[24:27], 0 ; 4-byte Folded Reload
	buffer_load_dword v78, off, s[24:27], 0 offset:4 ; 4-byte Folded Reload
	buffer_load_dword v79, off, s[24:27], 0 offset:8 ; 4-byte Folded Reload
	;; [unrolled: 1-line block ×3, first 2 shown]
	s_waitcnt lgkmcnt(0)
	v_mul_f64 v[91:92], v[87:88], v[95:96]
	v_fma_f64 v[91:92], v[85:86], v[125:126], -v[91:92]
	v_mul_f64 v[85:86], v[85:86], v[95:96]
	v_fma_f64 v[85:86], v[87:88], v[125:126], v[85:86]
	s_waitcnt vmcnt(2)
	v_add_f64 v[77:78], v[77:78], -v[91:92]
	s_waitcnt vmcnt(0)
	v_add_f64 v[79:80], v[79:80], -v[85:86]
	buffer_store_dword v77, off, s[24:27], 0 ; 4-byte Folded Spill
	s_nop 0
	buffer_store_dword v78, off, s[24:27], 0 offset:4 ; 4-byte Folded Spill
	buffer_store_dword v79, off, s[24:27], 0 offset:8 ; 4-byte Folded Spill
	;; [unrolled: 1-line block ×3, first 2 shown]
	ds_read2_b64 v[85:88], v0 offset0:78 offset1:79
	s_waitcnt lgkmcnt(0)
	v_mul_f64 v[91:92], v[87:88], v[95:96]
	v_fma_f64 v[91:92], v[85:86], v[125:126], -v[91:92]
	v_mul_f64 v[85:86], v[85:86], v[95:96]
	v_add_f64 v[73:74], v[73:74], -v[91:92]
	v_fma_f64 v[85:86], v[87:88], v[125:126], v[85:86]
	v_add_f64 v[75:76], v[75:76], -v[85:86]
	ds_read2_b64 v[85:88], v0 offset0:80 offset1:81
	s_waitcnt lgkmcnt(0)
	v_mul_f64 v[91:92], v[87:88], v[95:96]
	v_fma_f64 v[91:92], v[85:86], v[125:126], -v[91:92]
	v_mul_f64 v[85:86], v[85:86], v[95:96]
	v_add_f64 v[69:70], v[69:70], -v[91:92]
	v_fma_f64 v[85:86], v[87:88], v[125:126], v[85:86]
	v_add_f64 v[71:72], v[71:72], -v[85:86]
	;; [unrolled: 8-line block ×18, first 2 shown]
	ds_read2_b64 v[85:88], v0 offset0:114 offset1:115
	s_waitcnt lgkmcnt(0)
	v_mul_f64 v[91:92], v[87:88], v[95:96]
	v_fma_f64 v[91:92], v[85:86], v[125:126], -v[91:92]
	v_mul_f64 v[85:86], v[85:86], v[95:96]
	v_add_f64 v[1:2], v[1:2], -v[91:92]
	v_fma_f64 v[85:86], v[87:88], v[125:126], v[85:86]
	ds_read2_b64 v[91:94], v0 offset0:116 offset1:117
	s_waitcnt lgkmcnt(0)
	v_mul_f64 v[87:88], v[91:92], v[95:96]
	v_add_f64 v[3:4], v[3:4], -v[85:86]
	v_mul_f64 v[85:86], v[93:94], v[95:96]
	v_fma_f64 v[87:88], v[93:94], v[125:126], v[87:88]
	v_mov_b32_e32 v93, v125
	v_mov_b32_e32 v94, v126
	v_fma_f64 v[85:86], v[91:92], v[125:126], -v[85:86]
	buffer_store_dword v93, off, s[24:27], 0 offset:384 ; 4-byte Folded Spill
	s_nop 0
	buffer_store_dword v94, off, s[24:27], 0 offset:388 ; 4-byte Folded Spill
	buffer_store_dword v95, off, s[24:27], 0 offset:392 ; 4-byte Folded Spill
	;; [unrolled: 1-line block ×3, first 2 shown]
	v_add_f64 v[123:124], v[123:124], -v[87:88]
	v_add_f64 v[121:122], v[121:122], -v[85:86]
.LBB116_230:
	s_or_b64 exec, exec, s[0:1]
	s_waitcnt vmcnt(0)
	s_barrier
	buffer_load_dword v77, off, s[24:27], 0 offset:368 ; 4-byte Folded Reload
	buffer_load_dword v78, off, s[24:27], 0 offset:372 ; 4-byte Folded Reload
	;; [unrolled: 1-line block ×4, first 2 shown]
	v_lshl_add_u32 v85, v89, 4, v0
	s_cmp_lt_i32 s3, 13
	s_waitcnt vmcnt(0)
	ds_write2_b64 v85, v[77:78], v[79:80] offset1:1
	s_waitcnt lgkmcnt(0)
	s_barrier
	ds_read2_b64 v[117:120], v0 offset0:22 offset1:23
	v_mov_b32_e32 v85, 11
	s_cbranch_scc1 .LBB116_233
; %bb.231:
	v_add_u32_e32 v86, 0xc0, v0
	s_mov_b32 s0, 12
	v_mov_b32_e32 v85, 11
.LBB116_232:                            ; =>This Inner Loop Header: Depth=1
	s_waitcnt lgkmcnt(0)
	v_cmp_gt_f64_e32 vcc, 0, v[117:118]
	v_xor_b32_e32 v87, 0x80000000, v118
	ds_read2_b64 v[91:94], v86 offset1:1
	v_xor_b32_e32 v95, 0x80000000, v120
	v_add_u32_e32 v86, 16, v86
	s_waitcnt lgkmcnt(0)
	v_xor_b32_e32 v97, 0x80000000, v94
	v_cndmask_b32_e32 v88, v118, v87, vcc
	v_cmp_gt_f64_e32 vcc, 0, v[119:120]
	v_mov_b32_e32 v87, v117
	v_cndmask_b32_e32 v96, v120, v95, vcc
	v_cmp_gt_f64_e32 vcc, 0, v[91:92]
	v_mov_b32_e32 v95, v119
	v_add_f64 v[87:88], v[87:88], v[95:96]
	v_xor_b32_e32 v95, 0x80000000, v92
	v_cndmask_b32_e32 v96, v92, v95, vcc
	v_cmp_gt_f64_e32 vcc, 0, v[93:94]
	v_mov_b32_e32 v95, v91
	v_cndmask_b32_e32 v98, v94, v97, vcc
	v_mov_b32_e32 v97, v93
	v_add_f64 v[95:96], v[95:96], v[97:98]
	v_cmp_lt_f64_e32 vcc, v[87:88], v[95:96]
	v_mov_b32_e32 v87, s0
	s_add_i32 s0, s0, 1
	s_cmp_lg_u32 s3, s0
	v_cndmask_b32_e32 v118, v118, v92, vcc
	v_cndmask_b32_e32 v117, v117, v91, vcc
	;; [unrolled: 1-line block ×5, first 2 shown]
	s_cbranch_scc1 .LBB116_232
.LBB116_233:
	s_waitcnt lgkmcnt(0)
	v_cmp_eq_f64_e32 vcc, 0, v[117:118]
	v_cmp_eq_f64_e64 s[0:1], 0, v[119:120]
	s_and_b64 s[0:1], vcc, s[0:1]
	s_and_saveexec_b64 s[18:19], s[0:1]
	s_xor_b64 s[0:1], exec, s[18:19]
; %bb.234:
	v_cmp_ne_u32_e32 vcc, 0, v90
	v_cndmask_b32_e32 v90, 12, v90, vcc
; %bb.235:
	s_andn2_saveexec_b64 s[0:1], s[0:1]
	s_cbranch_execz .LBB116_241
; %bb.236:
	v_cmp_ngt_f64_e64 s[18:19], |v[117:118]|, |v[119:120]|
	s_and_saveexec_b64 s[20:21], s[18:19]
	s_xor_b64 s[18:19], exec, s[20:21]
	s_cbranch_execz .LBB116_238
; %bb.237:
	v_div_scale_f64 v[86:87], s[20:21], v[119:120], v[119:120], v[117:118]
	v_rcp_f64_e32 v[91:92], v[86:87]
	v_fma_f64 v[93:94], -v[86:87], v[91:92], 1.0
	v_fma_f64 v[91:92], v[91:92], v[93:94], v[91:92]
	v_div_scale_f64 v[93:94], vcc, v[117:118], v[119:120], v[117:118]
	v_fma_f64 v[95:96], -v[86:87], v[91:92], 1.0
	v_fma_f64 v[91:92], v[91:92], v[95:96], v[91:92]
	v_mul_f64 v[95:96], v[93:94], v[91:92]
	v_fma_f64 v[86:87], -v[86:87], v[95:96], v[93:94]
	v_div_fmas_f64 v[86:87], v[86:87], v[91:92], v[95:96]
	v_div_fixup_f64 v[86:87], v[86:87], v[119:120], v[117:118]
	v_fma_f64 v[91:92], v[117:118], v[86:87], v[119:120]
	v_div_scale_f64 v[93:94], s[20:21], v[91:92], v[91:92], 1.0
	v_div_scale_f64 v[99:100], vcc, 1.0, v[91:92], 1.0
	v_rcp_f64_e32 v[95:96], v[93:94]
	v_fma_f64 v[97:98], -v[93:94], v[95:96], 1.0
	v_fma_f64 v[95:96], v[95:96], v[97:98], v[95:96]
	v_fma_f64 v[97:98], -v[93:94], v[95:96], 1.0
	v_fma_f64 v[95:96], v[95:96], v[97:98], v[95:96]
	v_mul_f64 v[97:98], v[99:100], v[95:96]
	v_fma_f64 v[93:94], -v[93:94], v[97:98], v[99:100]
	v_div_fmas_f64 v[93:94], v[93:94], v[95:96], v[97:98]
	v_div_fixup_f64 v[119:120], v[93:94], v[91:92], 1.0
	v_mul_f64 v[117:118], v[86:87], v[119:120]
	v_xor_b32_e32 v120, 0x80000000, v120
.LBB116_238:
	s_andn2_saveexec_b64 s[18:19], s[18:19]
	s_cbranch_execz .LBB116_240
; %bb.239:
	v_div_scale_f64 v[86:87], s[20:21], v[117:118], v[117:118], v[119:120]
	v_rcp_f64_e32 v[91:92], v[86:87]
	v_fma_f64 v[93:94], -v[86:87], v[91:92], 1.0
	v_fma_f64 v[91:92], v[91:92], v[93:94], v[91:92]
	v_div_scale_f64 v[93:94], vcc, v[119:120], v[117:118], v[119:120]
	v_fma_f64 v[95:96], -v[86:87], v[91:92], 1.0
	v_fma_f64 v[91:92], v[91:92], v[95:96], v[91:92]
	v_mul_f64 v[95:96], v[93:94], v[91:92]
	v_fma_f64 v[86:87], -v[86:87], v[95:96], v[93:94]
	v_div_fmas_f64 v[86:87], v[86:87], v[91:92], v[95:96]
	v_div_fixup_f64 v[86:87], v[86:87], v[117:118], v[119:120]
	v_fma_f64 v[91:92], v[119:120], v[86:87], v[117:118]
	v_div_scale_f64 v[93:94], s[20:21], v[91:92], v[91:92], 1.0
	v_div_scale_f64 v[99:100], vcc, 1.0, v[91:92], 1.0
	v_rcp_f64_e32 v[95:96], v[93:94]
	v_fma_f64 v[97:98], -v[93:94], v[95:96], 1.0
	v_fma_f64 v[95:96], v[95:96], v[97:98], v[95:96]
	v_fma_f64 v[97:98], -v[93:94], v[95:96], 1.0
	v_fma_f64 v[95:96], v[95:96], v[97:98], v[95:96]
	v_mul_f64 v[97:98], v[99:100], v[95:96]
	v_fma_f64 v[93:94], -v[93:94], v[97:98], v[99:100]
	v_div_fmas_f64 v[93:94], v[93:94], v[95:96], v[97:98]
	v_div_fixup_f64 v[117:118], v[93:94], v[91:92], 1.0
	v_mul_f64 v[119:120], v[86:87], -v[117:118]
.LBB116_240:
	s_or_b64 exec, exec, s[18:19]
.LBB116_241:
	s_or_b64 exec, exec, s[0:1]
	v_cmp_ne_u32_e32 vcc, v89, v85
	s_and_saveexec_b64 s[0:1], vcc
	s_xor_b64 s[0:1], exec, s[0:1]
	s_cbranch_execz .LBB116_247
; %bb.242:
	v_cmp_eq_u32_e32 vcc, 11, v89
	s_and_saveexec_b64 s[18:19], vcc
	s_cbranch_execz .LBB116_246
; %bb.243:
	v_cmp_ne_u32_e32 vcc, 11, v85
	s_xor_b64 s[20:21], s[6:7], -1
	s_and_b64 s[22:23], s[20:21], vcc
	s_and_saveexec_b64 s[20:21], s[22:23]
	s_cbranch_execz .LBB116_245
; %bb.244:
	v_mov_b32_e32 v77, v81
	v_mov_b32_e32 v78, v82
	;; [unrolled: 1-line block ×4, first 2 shown]
	buffer_load_dword v81, off, s[24:27], 0 offset:500 ; 4-byte Folded Reload
	buffer_load_dword v82, off, s[24:27], 0 offset:504 ; 4-byte Folded Reload
	v_ashrrev_i32_e32 v86, 31, v85
	v_lshlrev_b64 v[86:87], 2, v[85:86]
	s_waitcnt vmcnt(1)
	v_add_co_u32_e32 v86, vcc, v81, v86
	s_waitcnt vmcnt(0)
	v_addc_co_u32_e32 v87, vcc, v82, v87, vcc
	global_load_dword v88, v[86:87], off
	global_load_dword v89, v[81:82], off offset:44
	s_waitcnt vmcnt(1)
	global_store_dword v[81:82], v88, off offset:44
	v_mov_b32_e32 v84, v80
	v_mov_b32_e32 v83, v79
	;; [unrolled: 1-line block ×4, first 2 shown]
	s_waitcnt vmcnt(1)
	global_store_dword v[86:87], v89, off
.LBB116_245:
	s_or_b64 exec, exec, s[20:21]
	v_mov_b32_e32 v89, v85
	v_mov_b32_e32 v77, v85
	buffer_store_dword v77, off, s[24:27], 0 offset:432 ; 4-byte Folded Spill
.LBB116_246:
	s_or_b64 exec, exec, s[18:19]
.LBB116_247:
	s_andn2_saveexec_b64 s[0:1], s[0:1]
	s_cbranch_execz .LBB116_249
; %bb.248:
	buffer_load_dword v77, off, s[24:27], 0 offset:352 ; 4-byte Folded Reload
	buffer_load_dword v78, off, s[24:27], 0 offset:356 ; 4-byte Folded Reload
	;; [unrolled: 1-line block ×4, first 2 shown]
	v_mov_b32_e32 v89, 11
	s_waitcnt vmcnt(0)
	ds_write2_b64 v0, v[77:78], v[79:80] offset0:24 offset1:25
	buffer_load_dword v77, off, s[24:27], 0 offset:336 ; 4-byte Folded Reload
	buffer_load_dword v78, off, s[24:27], 0 offset:340 ; 4-byte Folded Reload
	buffer_load_dword v79, off, s[24:27], 0 offset:344 ; 4-byte Folded Reload
	buffer_load_dword v80, off, s[24:27], 0 offset:348 ; 4-byte Folded Reload
	s_waitcnt vmcnt(0)
	ds_write2_b64 v0, v[77:78], v[79:80] offset0:26 offset1:27
	buffer_load_dword v77, off, s[24:27], 0 offset:320 ; 4-byte Folded Reload
	buffer_load_dword v78, off, s[24:27], 0 offset:324 ; 4-byte Folded Reload
	buffer_load_dword v79, off, s[24:27], 0 offset:328 ; 4-byte Folded Reload
	buffer_load_dword v80, off, s[24:27], 0 offset:332 ; 4-byte Folded Reload
	;; [unrolled: 6-line block ×21, first 2 shown]
	s_waitcnt vmcnt(0)
	ds_write2_b64 v0, v[77:78], v[79:80] offset0:66 offset1:67
	ds_write2_b64 v0, v[81:82], v[83:84] offset0:68 offset1:69
	;; [unrolled: 1-line block ×5, first 2 shown]
	buffer_load_dword v77, off, s[24:27], 0 ; 4-byte Folded Reload
	buffer_load_dword v78, off, s[24:27], 0 offset:4 ; 4-byte Folded Reload
	buffer_load_dword v79, off, s[24:27], 0 offset:8 ; 4-byte Folded Reload
	;; [unrolled: 1-line block ×3, first 2 shown]
	s_waitcnt vmcnt(0)
	ds_write2_b64 v0, v[77:78], v[79:80] offset0:76 offset1:77
	ds_write2_b64 v0, v[73:74], v[75:76] offset0:78 offset1:79
	;; [unrolled: 1-line block ×21, first 2 shown]
.LBB116_249:
	s_or_b64 exec, exec, s[0:1]
	v_cmp_lt_i32_e32 vcc, 11, v89
	s_waitcnt vmcnt(0) lgkmcnt(0)
	s_barrier
	s_and_saveexec_b64 s[0:1], vcc
	s_cbranch_execz .LBB116_251
; %bb.250:
	buffer_load_dword v93, off, s[24:27], 0 offset:368 ; 4-byte Folded Reload
	buffer_load_dword v94, off, s[24:27], 0 offset:372 ; 4-byte Folded Reload
	;; [unrolled: 1-line block ×4, first 2 shown]
	s_waitcnt vmcnt(0)
	v_mul_f64 v[85:86], v[119:120], v[95:96]
	v_fma_f64 v[125:126], v[117:118], v[93:94], -v[85:86]
	v_mul_f64 v[85:86], v[117:118], v[95:96]
	v_fma_f64 v[95:96], v[119:120], v[93:94], v[85:86]
	ds_read2_b64 v[85:88], v0 offset0:24 offset1:25
	buffer_load_dword v77, off, s[24:27], 0 offset:352 ; 4-byte Folded Reload
	buffer_load_dword v78, off, s[24:27], 0 offset:356 ; 4-byte Folded Reload
	buffer_load_dword v79, off, s[24:27], 0 offset:360 ; 4-byte Folded Reload
	buffer_load_dword v80, off, s[24:27], 0 offset:364 ; 4-byte Folded Reload
	s_waitcnt lgkmcnt(0)
	v_mul_f64 v[91:92], v[87:88], v[95:96]
	v_fma_f64 v[91:92], v[85:86], v[125:126], -v[91:92]
	v_mul_f64 v[85:86], v[85:86], v[95:96]
	v_fma_f64 v[85:86], v[87:88], v[125:126], v[85:86]
	s_waitcnt vmcnt(2)
	v_add_f64 v[77:78], v[77:78], -v[91:92]
	s_waitcnt vmcnt(0)
	v_add_f64 v[79:80], v[79:80], -v[85:86]
	buffer_store_dword v77, off, s[24:27], 0 offset:352 ; 4-byte Folded Spill
	s_nop 0
	buffer_store_dword v78, off, s[24:27], 0 offset:356 ; 4-byte Folded Spill
	buffer_store_dword v79, off, s[24:27], 0 offset:360 ; 4-byte Folded Spill
	buffer_store_dword v80, off, s[24:27], 0 offset:364 ; 4-byte Folded Spill
	ds_read2_b64 v[85:88], v0 offset0:26 offset1:27
	buffer_load_dword v77, off, s[24:27], 0 offset:336 ; 4-byte Folded Reload
	buffer_load_dword v78, off, s[24:27], 0 offset:340 ; 4-byte Folded Reload
	buffer_load_dword v79, off, s[24:27], 0 offset:344 ; 4-byte Folded Reload
	buffer_load_dword v80, off, s[24:27], 0 offset:348 ; 4-byte Folded Reload
	s_waitcnt lgkmcnt(0)
	v_mul_f64 v[91:92], v[87:88], v[95:96]
	v_fma_f64 v[91:92], v[85:86], v[125:126], -v[91:92]
	v_mul_f64 v[85:86], v[85:86], v[95:96]
	v_fma_f64 v[85:86], v[87:88], v[125:126], v[85:86]
	s_waitcnt vmcnt(2)
	v_add_f64 v[77:78], v[77:78], -v[91:92]
	s_waitcnt vmcnt(0)
	v_add_f64 v[79:80], v[79:80], -v[85:86]
	buffer_store_dword v77, off, s[24:27], 0 offset:336 ; 4-byte Folded Spill
	s_nop 0
	buffer_store_dword v78, off, s[24:27], 0 offset:340 ; 4-byte Folded Spill
	buffer_store_dword v79, off, s[24:27], 0 offset:344 ; 4-byte Folded Spill
	buffer_store_dword v80, off, s[24:27], 0 offset:348 ; 4-byte Folded Spill
	;; [unrolled: 19-line block ×22, first 2 shown]
	ds_read2_b64 v[85:88], v0 offset0:68 offset1:69
	s_waitcnt lgkmcnt(0)
	v_mul_f64 v[91:92], v[87:88], v[95:96]
	v_fma_f64 v[91:92], v[85:86], v[125:126], -v[91:92]
	v_mul_f64 v[85:86], v[85:86], v[95:96]
	v_add_f64 v[81:82], v[81:82], -v[91:92]
	v_fma_f64 v[85:86], v[87:88], v[125:126], v[85:86]
	v_add_f64 v[83:84], v[83:84], -v[85:86]
	ds_read2_b64 v[85:88], v0 offset0:70 offset1:71
	s_waitcnt lgkmcnt(0)
	v_mul_f64 v[91:92], v[87:88], v[95:96]
	v_fma_f64 v[91:92], v[85:86], v[125:126], -v[91:92]
	v_mul_f64 v[85:86], v[85:86], v[95:96]
	v_add_f64 v[113:114], v[113:114], -v[91:92]
	v_fma_f64 v[85:86], v[87:88], v[125:126], v[85:86]
	v_add_f64 v[115:116], v[115:116], -v[85:86]
	;; [unrolled: 8-line block ×4, first 2 shown]
	ds_read2_b64 v[85:88], v0 offset0:76 offset1:77
	buffer_load_dword v77, off, s[24:27], 0 ; 4-byte Folded Reload
	buffer_load_dword v78, off, s[24:27], 0 offset:4 ; 4-byte Folded Reload
	buffer_load_dword v79, off, s[24:27], 0 offset:8 ; 4-byte Folded Reload
	buffer_load_dword v80, off, s[24:27], 0 offset:12 ; 4-byte Folded Reload
	s_waitcnt lgkmcnt(0)
	v_mul_f64 v[91:92], v[87:88], v[95:96]
	v_fma_f64 v[91:92], v[85:86], v[125:126], -v[91:92]
	v_mul_f64 v[85:86], v[85:86], v[95:96]
	v_fma_f64 v[85:86], v[87:88], v[125:126], v[85:86]
	s_waitcnt vmcnt(2)
	v_add_f64 v[77:78], v[77:78], -v[91:92]
	s_waitcnt vmcnt(0)
	v_add_f64 v[79:80], v[79:80], -v[85:86]
	buffer_store_dword v77, off, s[24:27], 0 ; 4-byte Folded Spill
	s_nop 0
	buffer_store_dword v78, off, s[24:27], 0 offset:4 ; 4-byte Folded Spill
	buffer_store_dword v79, off, s[24:27], 0 offset:8 ; 4-byte Folded Spill
	;; [unrolled: 1-line block ×3, first 2 shown]
	ds_read2_b64 v[85:88], v0 offset0:78 offset1:79
	s_waitcnt lgkmcnt(0)
	v_mul_f64 v[91:92], v[87:88], v[95:96]
	v_fma_f64 v[91:92], v[85:86], v[125:126], -v[91:92]
	v_mul_f64 v[85:86], v[85:86], v[95:96]
	v_add_f64 v[73:74], v[73:74], -v[91:92]
	v_fma_f64 v[85:86], v[87:88], v[125:126], v[85:86]
	v_add_f64 v[75:76], v[75:76], -v[85:86]
	ds_read2_b64 v[85:88], v0 offset0:80 offset1:81
	s_waitcnt lgkmcnt(0)
	v_mul_f64 v[91:92], v[87:88], v[95:96]
	v_fma_f64 v[91:92], v[85:86], v[125:126], -v[91:92]
	v_mul_f64 v[85:86], v[85:86], v[95:96]
	v_add_f64 v[69:70], v[69:70], -v[91:92]
	v_fma_f64 v[85:86], v[87:88], v[125:126], v[85:86]
	v_add_f64 v[71:72], v[71:72], -v[85:86]
	;; [unrolled: 8-line block ×18, first 2 shown]
	ds_read2_b64 v[85:88], v0 offset0:114 offset1:115
	s_waitcnt lgkmcnt(0)
	v_mul_f64 v[91:92], v[87:88], v[95:96]
	v_fma_f64 v[91:92], v[85:86], v[125:126], -v[91:92]
	v_mul_f64 v[85:86], v[85:86], v[95:96]
	v_add_f64 v[1:2], v[1:2], -v[91:92]
	v_fma_f64 v[85:86], v[87:88], v[125:126], v[85:86]
	ds_read2_b64 v[91:94], v0 offset0:116 offset1:117
	s_waitcnt lgkmcnt(0)
	v_mul_f64 v[87:88], v[91:92], v[95:96]
	v_add_f64 v[3:4], v[3:4], -v[85:86]
	v_mul_f64 v[85:86], v[93:94], v[95:96]
	v_fma_f64 v[87:88], v[93:94], v[125:126], v[87:88]
	v_mov_b32_e32 v93, v125
	v_mov_b32_e32 v94, v126
	v_fma_f64 v[85:86], v[91:92], v[125:126], -v[85:86]
	buffer_store_dword v93, off, s[24:27], 0 offset:368 ; 4-byte Folded Spill
	s_nop 0
	buffer_store_dword v94, off, s[24:27], 0 offset:372 ; 4-byte Folded Spill
	buffer_store_dword v95, off, s[24:27], 0 offset:376 ; 4-byte Folded Spill
	;; [unrolled: 1-line block ×3, first 2 shown]
	v_add_f64 v[123:124], v[123:124], -v[87:88]
	v_add_f64 v[121:122], v[121:122], -v[85:86]
.LBB116_251:
	s_or_b64 exec, exec, s[0:1]
	s_waitcnt vmcnt(0)
	s_barrier
	buffer_load_dword v77, off, s[24:27], 0 offset:352 ; 4-byte Folded Reload
	buffer_load_dword v78, off, s[24:27], 0 offset:356 ; 4-byte Folded Reload
	;; [unrolled: 1-line block ×4, first 2 shown]
	v_lshl_add_u32 v85, v89, 4, v0
	s_cmp_lt_i32 s3, 14
	s_waitcnt vmcnt(0)
	ds_write2_b64 v85, v[77:78], v[79:80] offset1:1
	s_waitcnt lgkmcnt(0)
	s_barrier
	ds_read2_b64 v[117:120], v0 offset0:24 offset1:25
	v_mov_b32_e32 v85, 12
	s_cbranch_scc1 .LBB116_254
; %bb.252:
	v_add_u32_e32 v86, 0xd0, v0
	s_mov_b32 s0, 13
	v_mov_b32_e32 v85, 12
.LBB116_253:                            ; =>This Inner Loop Header: Depth=1
	s_waitcnt lgkmcnt(0)
	v_cmp_gt_f64_e32 vcc, 0, v[117:118]
	v_xor_b32_e32 v87, 0x80000000, v118
	ds_read2_b64 v[91:94], v86 offset1:1
	v_xor_b32_e32 v95, 0x80000000, v120
	v_add_u32_e32 v86, 16, v86
	s_waitcnt lgkmcnt(0)
	v_xor_b32_e32 v97, 0x80000000, v94
	v_cndmask_b32_e32 v88, v118, v87, vcc
	v_cmp_gt_f64_e32 vcc, 0, v[119:120]
	v_mov_b32_e32 v87, v117
	v_cndmask_b32_e32 v96, v120, v95, vcc
	v_cmp_gt_f64_e32 vcc, 0, v[91:92]
	v_mov_b32_e32 v95, v119
	v_add_f64 v[87:88], v[87:88], v[95:96]
	v_xor_b32_e32 v95, 0x80000000, v92
	v_cndmask_b32_e32 v96, v92, v95, vcc
	v_cmp_gt_f64_e32 vcc, 0, v[93:94]
	v_mov_b32_e32 v95, v91
	v_cndmask_b32_e32 v98, v94, v97, vcc
	v_mov_b32_e32 v97, v93
	v_add_f64 v[95:96], v[95:96], v[97:98]
	v_cmp_lt_f64_e32 vcc, v[87:88], v[95:96]
	v_mov_b32_e32 v87, s0
	s_add_i32 s0, s0, 1
	s_cmp_lg_u32 s3, s0
	v_cndmask_b32_e32 v118, v118, v92, vcc
	v_cndmask_b32_e32 v117, v117, v91, vcc
	;; [unrolled: 1-line block ×5, first 2 shown]
	s_cbranch_scc1 .LBB116_253
.LBB116_254:
	s_waitcnt lgkmcnt(0)
	v_cmp_eq_f64_e32 vcc, 0, v[117:118]
	v_cmp_eq_f64_e64 s[0:1], 0, v[119:120]
	s_and_b64 s[0:1], vcc, s[0:1]
	s_and_saveexec_b64 s[18:19], s[0:1]
	s_xor_b64 s[0:1], exec, s[18:19]
; %bb.255:
	v_cmp_ne_u32_e32 vcc, 0, v90
	v_cndmask_b32_e32 v90, 13, v90, vcc
; %bb.256:
	s_andn2_saveexec_b64 s[0:1], s[0:1]
	s_cbranch_execz .LBB116_262
; %bb.257:
	v_cmp_ngt_f64_e64 s[18:19], |v[117:118]|, |v[119:120]|
	s_and_saveexec_b64 s[20:21], s[18:19]
	s_xor_b64 s[18:19], exec, s[20:21]
	s_cbranch_execz .LBB116_259
; %bb.258:
	v_div_scale_f64 v[86:87], s[20:21], v[119:120], v[119:120], v[117:118]
	v_rcp_f64_e32 v[91:92], v[86:87]
	v_fma_f64 v[93:94], -v[86:87], v[91:92], 1.0
	v_fma_f64 v[91:92], v[91:92], v[93:94], v[91:92]
	v_div_scale_f64 v[93:94], vcc, v[117:118], v[119:120], v[117:118]
	v_fma_f64 v[95:96], -v[86:87], v[91:92], 1.0
	v_fma_f64 v[91:92], v[91:92], v[95:96], v[91:92]
	v_mul_f64 v[95:96], v[93:94], v[91:92]
	v_fma_f64 v[86:87], -v[86:87], v[95:96], v[93:94]
	v_div_fmas_f64 v[86:87], v[86:87], v[91:92], v[95:96]
	v_div_fixup_f64 v[86:87], v[86:87], v[119:120], v[117:118]
	v_fma_f64 v[91:92], v[117:118], v[86:87], v[119:120]
	v_div_scale_f64 v[93:94], s[20:21], v[91:92], v[91:92], 1.0
	v_div_scale_f64 v[99:100], vcc, 1.0, v[91:92], 1.0
	v_rcp_f64_e32 v[95:96], v[93:94]
	v_fma_f64 v[97:98], -v[93:94], v[95:96], 1.0
	v_fma_f64 v[95:96], v[95:96], v[97:98], v[95:96]
	v_fma_f64 v[97:98], -v[93:94], v[95:96], 1.0
	v_fma_f64 v[95:96], v[95:96], v[97:98], v[95:96]
	v_mul_f64 v[97:98], v[99:100], v[95:96]
	v_fma_f64 v[93:94], -v[93:94], v[97:98], v[99:100]
	v_div_fmas_f64 v[93:94], v[93:94], v[95:96], v[97:98]
	v_div_fixup_f64 v[119:120], v[93:94], v[91:92], 1.0
	v_mul_f64 v[117:118], v[86:87], v[119:120]
	v_xor_b32_e32 v120, 0x80000000, v120
.LBB116_259:
	s_andn2_saveexec_b64 s[18:19], s[18:19]
	s_cbranch_execz .LBB116_261
; %bb.260:
	v_div_scale_f64 v[86:87], s[20:21], v[117:118], v[117:118], v[119:120]
	v_rcp_f64_e32 v[91:92], v[86:87]
	v_fma_f64 v[93:94], -v[86:87], v[91:92], 1.0
	v_fma_f64 v[91:92], v[91:92], v[93:94], v[91:92]
	v_div_scale_f64 v[93:94], vcc, v[119:120], v[117:118], v[119:120]
	v_fma_f64 v[95:96], -v[86:87], v[91:92], 1.0
	v_fma_f64 v[91:92], v[91:92], v[95:96], v[91:92]
	v_mul_f64 v[95:96], v[93:94], v[91:92]
	v_fma_f64 v[86:87], -v[86:87], v[95:96], v[93:94]
	v_div_fmas_f64 v[86:87], v[86:87], v[91:92], v[95:96]
	v_div_fixup_f64 v[86:87], v[86:87], v[117:118], v[119:120]
	v_fma_f64 v[91:92], v[119:120], v[86:87], v[117:118]
	v_div_scale_f64 v[93:94], s[20:21], v[91:92], v[91:92], 1.0
	v_div_scale_f64 v[99:100], vcc, 1.0, v[91:92], 1.0
	v_rcp_f64_e32 v[95:96], v[93:94]
	v_fma_f64 v[97:98], -v[93:94], v[95:96], 1.0
	v_fma_f64 v[95:96], v[95:96], v[97:98], v[95:96]
	v_fma_f64 v[97:98], -v[93:94], v[95:96], 1.0
	v_fma_f64 v[95:96], v[95:96], v[97:98], v[95:96]
	v_mul_f64 v[97:98], v[99:100], v[95:96]
	v_fma_f64 v[93:94], -v[93:94], v[97:98], v[99:100]
	v_div_fmas_f64 v[93:94], v[93:94], v[95:96], v[97:98]
	v_div_fixup_f64 v[117:118], v[93:94], v[91:92], 1.0
	v_mul_f64 v[119:120], v[86:87], -v[117:118]
.LBB116_261:
	s_or_b64 exec, exec, s[18:19]
.LBB116_262:
	s_or_b64 exec, exec, s[0:1]
	v_cmp_ne_u32_e32 vcc, v89, v85
	s_and_saveexec_b64 s[0:1], vcc
	s_xor_b64 s[0:1], exec, s[0:1]
	s_cbranch_execz .LBB116_268
; %bb.263:
	v_cmp_eq_u32_e32 vcc, 12, v89
	s_and_saveexec_b64 s[18:19], vcc
	s_cbranch_execz .LBB116_267
; %bb.264:
	v_cmp_ne_u32_e32 vcc, 12, v85
	s_xor_b64 s[20:21], s[6:7], -1
	s_and_b64 s[22:23], s[20:21], vcc
	s_and_saveexec_b64 s[20:21], s[22:23]
	s_cbranch_execz .LBB116_266
; %bb.265:
	v_mov_b32_e32 v77, v81
	v_mov_b32_e32 v78, v82
	;; [unrolled: 1-line block ×4, first 2 shown]
	buffer_load_dword v81, off, s[24:27], 0 offset:500 ; 4-byte Folded Reload
	buffer_load_dword v82, off, s[24:27], 0 offset:504 ; 4-byte Folded Reload
	v_ashrrev_i32_e32 v86, 31, v85
	v_lshlrev_b64 v[86:87], 2, v[85:86]
	s_waitcnt vmcnt(1)
	v_add_co_u32_e32 v86, vcc, v81, v86
	s_waitcnt vmcnt(0)
	v_addc_co_u32_e32 v87, vcc, v82, v87, vcc
	global_load_dword v88, v[86:87], off
	global_load_dword v89, v[81:82], off offset:48
	s_waitcnt vmcnt(1)
	global_store_dword v[81:82], v88, off offset:48
	v_mov_b32_e32 v84, v80
	v_mov_b32_e32 v83, v79
	;; [unrolled: 1-line block ×4, first 2 shown]
	s_waitcnt vmcnt(1)
	global_store_dword v[86:87], v89, off
.LBB116_266:
	s_or_b64 exec, exec, s[20:21]
	v_mov_b32_e32 v89, v85
	v_mov_b32_e32 v77, v85
	buffer_store_dword v77, off, s[24:27], 0 offset:432 ; 4-byte Folded Spill
.LBB116_267:
	s_or_b64 exec, exec, s[18:19]
.LBB116_268:
	s_andn2_saveexec_b64 s[0:1], s[0:1]
	s_cbranch_execz .LBB116_270
; %bb.269:
	buffer_load_dword v77, off, s[24:27], 0 offset:336 ; 4-byte Folded Reload
	buffer_load_dword v78, off, s[24:27], 0 offset:340 ; 4-byte Folded Reload
	buffer_load_dword v79, off, s[24:27], 0 offset:344 ; 4-byte Folded Reload
	buffer_load_dword v80, off, s[24:27], 0 offset:348 ; 4-byte Folded Reload
	v_mov_b32_e32 v89, 12
	s_waitcnt vmcnt(0)
	ds_write2_b64 v0, v[77:78], v[79:80] offset0:26 offset1:27
	buffer_load_dword v77, off, s[24:27], 0 offset:320 ; 4-byte Folded Reload
	buffer_load_dword v78, off, s[24:27], 0 offset:324 ; 4-byte Folded Reload
	buffer_load_dword v79, off, s[24:27], 0 offset:328 ; 4-byte Folded Reload
	buffer_load_dword v80, off, s[24:27], 0 offset:332 ; 4-byte Folded Reload
	s_waitcnt vmcnt(0)
	ds_write2_b64 v0, v[77:78], v[79:80] offset0:28 offset1:29
	buffer_load_dword v77, off, s[24:27], 0 offset:304 ; 4-byte Folded Reload
	buffer_load_dword v78, off, s[24:27], 0 offset:308 ; 4-byte Folded Reload
	buffer_load_dword v79, off, s[24:27], 0 offset:312 ; 4-byte Folded Reload
	buffer_load_dword v80, off, s[24:27], 0 offset:316 ; 4-byte Folded Reload
	;; [unrolled: 6-line block ×20, first 2 shown]
	s_waitcnt vmcnt(0)
	ds_write2_b64 v0, v[77:78], v[79:80] offset0:66 offset1:67
	ds_write2_b64 v0, v[81:82], v[83:84] offset0:68 offset1:69
	;; [unrolled: 1-line block ×5, first 2 shown]
	buffer_load_dword v77, off, s[24:27], 0 ; 4-byte Folded Reload
	buffer_load_dword v78, off, s[24:27], 0 offset:4 ; 4-byte Folded Reload
	buffer_load_dword v79, off, s[24:27], 0 offset:8 ; 4-byte Folded Reload
	;; [unrolled: 1-line block ×3, first 2 shown]
	s_waitcnt vmcnt(0)
	ds_write2_b64 v0, v[77:78], v[79:80] offset0:76 offset1:77
	ds_write2_b64 v0, v[73:74], v[75:76] offset0:78 offset1:79
	;; [unrolled: 1-line block ×21, first 2 shown]
.LBB116_270:
	s_or_b64 exec, exec, s[0:1]
	v_cmp_lt_i32_e32 vcc, 12, v89
	s_waitcnt vmcnt(0) lgkmcnt(0)
	s_barrier
	s_and_saveexec_b64 s[0:1], vcc
	s_cbranch_execz .LBB116_272
; %bb.271:
	buffer_load_dword v93, off, s[24:27], 0 offset:352 ; 4-byte Folded Reload
	buffer_load_dword v94, off, s[24:27], 0 offset:356 ; 4-byte Folded Reload
	;; [unrolled: 1-line block ×4, first 2 shown]
	s_waitcnt vmcnt(0)
	v_mul_f64 v[85:86], v[119:120], v[95:96]
	v_fma_f64 v[125:126], v[117:118], v[93:94], -v[85:86]
	v_mul_f64 v[85:86], v[117:118], v[95:96]
	v_fma_f64 v[95:96], v[119:120], v[93:94], v[85:86]
	ds_read2_b64 v[85:88], v0 offset0:26 offset1:27
	buffer_load_dword v77, off, s[24:27], 0 offset:336 ; 4-byte Folded Reload
	buffer_load_dword v78, off, s[24:27], 0 offset:340 ; 4-byte Folded Reload
	buffer_load_dword v79, off, s[24:27], 0 offset:344 ; 4-byte Folded Reload
	buffer_load_dword v80, off, s[24:27], 0 offset:348 ; 4-byte Folded Reload
	s_waitcnt lgkmcnt(0)
	v_mul_f64 v[91:92], v[87:88], v[95:96]
	v_fma_f64 v[91:92], v[85:86], v[125:126], -v[91:92]
	v_mul_f64 v[85:86], v[85:86], v[95:96]
	v_fma_f64 v[85:86], v[87:88], v[125:126], v[85:86]
	s_waitcnt vmcnt(2)
	v_add_f64 v[77:78], v[77:78], -v[91:92]
	s_waitcnt vmcnt(0)
	v_add_f64 v[79:80], v[79:80], -v[85:86]
	buffer_store_dword v77, off, s[24:27], 0 offset:336 ; 4-byte Folded Spill
	s_nop 0
	buffer_store_dword v78, off, s[24:27], 0 offset:340 ; 4-byte Folded Spill
	buffer_store_dword v79, off, s[24:27], 0 offset:344 ; 4-byte Folded Spill
	buffer_store_dword v80, off, s[24:27], 0 offset:348 ; 4-byte Folded Spill
	ds_read2_b64 v[85:88], v0 offset0:28 offset1:29
	buffer_load_dword v77, off, s[24:27], 0 offset:320 ; 4-byte Folded Reload
	buffer_load_dword v78, off, s[24:27], 0 offset:324 ; 4-byte Folded Reload
	buffer_load_dword v79, off, s[24:27], 0 offset:328 ; 4-byte Folded Reload
	buffer_load_dword v80, off, s[24:27], 0 offset:332 ; 4-byte Folded Reload
	s_waitcnt lgkmcnt(0)
	v_mul_f64 v[91:92], v[87:88], v[95:96]
	v_fma_f64 v[91:92], v[85:86], v[125:126], -v[91:92]
	v_mul_f64 v[85:86], v[85:86], v[95:96]
	v_fma_f64 v[85:86], v[87:88], v[125:126], v[85:86]
	s_waitcnt vmcnt(2)
	v_add_f64 v[77:78], v[77:78], -v[91:92]
	s_waitcnt vmcnt(0)
	v_add_f64 v[79:80], v[79:80], -v[85:86]
	buffer_store_dword v77, off, s[24:27], 0 offset:320 ; 4-byte Folded Spill
	s_nop 0
	buffer_store_dword v78, off, s[24:27], 0 offset:324 ; 4-byte Folded Spill
	buffer_store_dword v79, off, s[24:27], 0 offset:328 ; 4-byte Folded Spill
	buffer_store_dword v80, off, s[24:27], 0 offset:332 ; 4-byte Folded Spill
	;; [unrolled: 19-line block ×21, first 2 shown]
	ds_read2_b64 v[85:88], v0 offset0:68 offset1:69
	s_waitcnt lgkmcnt(0)
	v_mul_f64 v[91:92], v[87:88], v[95:96]
	v_fma_f64 v[91:92], v[85:86], v[125:126], -v[91:92]
	v_mul_f64 v[85:86], v[85:86], v[95:96]
	v_add_f64 v[81:82], v[81:82], -v[91:92]
	v_fma_f64 v[85:86], v[87:88], v[125:126], v[85:86]
	v_add_f64 v[83:84], v[83:84], -v[85:86]
	ds_read2_b64 v[85:88], v0 offset0:70 offset1:71
	s_waitcnt lgkmcnt(0)
	v_mul_f64 v[91:92], v[87:88], v[95:96]
	v_fma_f64 v[91:92], v[85:86], v[125:126], -v[91:92]
	v_mul_f64 v[85:86], v[85:86], v[95:96]
	v_add_f64 v[113:114], v[113:114], -v[91:92]
	v_fma_f64 v[85:86], v[87:88], v[125:126], v[85:86]
	v_add_f64 v[115:116], v[115:116], -v[85:86]
	;; [unrolled: 8-line block ×4, first 2 shown]
	ds_read2_b64 v[85:88], v0 offset0:76 offset1:77
	buffer_load_dword v77, off, s[24:27], 0 ; 4-byte Folded Reload
	buffer_load_dword v78, off, s[24:27], 0 offset:4 ; 4-byte Folded Reload
	buffer_load_dword v79, off, s[24:27], 0 offset:8 ; 4-byte Folded Reload
	;; [unrolled: 1-line block ×3, first 2 shown]
	s_waitcnt lgkmcnt(0)
	v_mul_f64 v[91:92], v[87:88], v[95:96]
	v_fma_f64 v[91:92], v[85:86], v[125:126], -v[91:92]
	v_mul_f64 v[85:86], v[85:86], v[95:96]
	v_fma_f64 v[85:86], v[87:88], v[125:126], v[85:86]
	s_waitcnt vmcnt(2)
	v_add_f64 v[77:78], v[77:78], -v[91:92]
	s_waitcnt vmcnt(0)
	v_add_f64 v[79:80], v[79:80], -v[85:86]
	buffer_store_dword v77, off, s[24:27], 0 ; 4-byte Folded Spill
	s_nop 0
	buffer_store_dword v78, off, s[24:27], 0 offset:4 ; 4-byte Folded Spill
	buffer_store_dword v79, off, s[24:27], 0 offset:8 ; 4-byte Folded Spill
	;; [unrolled: 1-line block ×3, first 2 shown]
	ds_read2_b64 v[85:88], v0 offset0:78 offset1:79
	s_waitcnt lgkmcnt(0)
	v_mul_f64 v[91:92], v[87:88], v[95:96]
	v_fma_f64 v[91:92], v[85:86], v[125:126], -v[91:92]
	v_mul_f64 v[85:86], v[85:86], v[95:96]
	v_add_f64 v[73:74], v[73:74], -v[91:92]
	v_fma_f64 v[85:86], v[87:88], v[125:126], v[85:86]
	v_add_f64 v[75:76], v[75:76], -v[85:86]
	ds_read2_b64 v[85:88], v0 offset0:80 offset1:81
	s_waitcnt lgkmcnt(0)
	v_mul_f64 v[91:92], v[87:88], v[95:96]
	v_fma_f64 v[91:92], v[85:86], v[125:126], -v[91:92]
	v_mul_f64 v[85:86], v[85:86], v[95:96]
	v_add_f64 v[69:70], v[69:70], -v[91:92]
	v_fma_f64 v[85:86], v[87:88], v[125:126], v[85:86]
	v_add_f64 v[71:72], v[71:72], -v[85:86]
	;; [unrolled: 8-line block ×18, first 2 shown]
	ds_read2_b64 v[85:88], v0 offset0:114 offset1:115
	s_waitcnt lgkmcnt(0)
	v_mul_f64 v[91:92], v[87:88], v[95:96]
	v_fma_f64 v[91:92], v[85:86], v[125:126], -v[91:92]
	v_mul_f64 v[85:86], v[85:86], v[95:96]
	v_add_f64 v[1:2], v[1:2], -v[91:92]
	v_fma_f64 v[85:86], v[87:88], v[125:126], v[85:86]
	ds_read2_b64 v[91:94], v0 offset0:116 offset1:117
	s_waitcnt lgkmcnt(0)
	v_mul_f64 v[87:88], v[91:92], v[95:96]
	v_add_f64 v[3:4], v[3:4], -v[85:86]
	v_mul_f64 v[85:86], v[93:94], v[95:96]
	v_fma_f64 v[87:88], v[93:94], v[125:126], v[87:88]
	v_mov_b32_e32 v93, v125
	v_mov_b32_e32 v94, v126
	v_fma_f64 v[85:86], v[91:92], v[125:126], -v[85:86]
	buffer_store_dword v93, off, s[24:27], 0 offset:352 ; 4-byte Folded Spill
	s_nop 0
	buffer_store_dword v94, off, s[24:27], 0 offset:356 ; 4-byte Folded Spill
	buffer_store_dword v95, off, s[24:27], 0 offset:360 ; 4-byte Folded Spill
	;; [unrolled: 1-line block ×3, first 2 shown]
	v_add_f64 v[123:124], v[123:124], -v[87:88]
	v_add_f64 v[121:122], v[121:122], -v[85:86]
.LBB116_272:
	s_or_b64 exec, exec, s[0:1]
	s_waitcnt vmcnt(0)
	s_barrier
	buffer_load_dword v77, off, s[24:27], 0 offset:336 ; 4-byte Folded Reload
	buffer_load_dword v78, off, s[24:27], 0 offset:340 ; 4-byte Folded Reload
	;; [unrolled: 1-line block ×4, first 2 shown]
	v_lshl_add_u32 v85, v89, 4, v0
	s_cmp_lt_i32 s3, 15
	s_waitcnt vmcnt(0)
	ds_write2_b64 v85, v[77:78], v[79:80] offset1:1
	s_waitcnt lgkmcnt(0)
	s_barrier
	ds_read2_b64 v[117:120], v0 offset0:26 offset1:27
	v_mov_b32_e32 v85, 13
	s_cbranch_scc1 .LBB116_275
; %bb.273:
	v_add_u32_e32 v86, 0xe0, v0
	s_mov_b32 s0, 14
	v_mov_b32_e32 v85, 13
.LBB116_274:                            ; =>This Inner Loop Header: Depth=1
	s_waitcnt lgkmcnt(0)
	v_cmp_gt_f64_e32 vcc, 0, v[117:118]
	v_xor_b32_e32 v87, 0x80000000, v118
	ds_read2_b64 v[91:94], v86 offset1:1
	v_xor_b32_e32 v95, 0x80000000, v120
	v_add_u32_e32 v86, 16, v86
	s_waitcnt lgkmcnt(0)
	v_xor_b32_e32 v97, 0x80000000, v94
	v_cndmask_b32_e32 v88, v118, v87, vcc
	v_cmp_gt_f64_e32 vcc, 0, v[119:120]
	v_mov_b32_e32 v87, v117
	v_cndmask_b32_e32 v96, v120, v95, vcc
	v_cmp_gt_f64_e32 vcc, 0, v[91:92]
	v_mov_b32_e32 v95, v119
	v_add_f64 v[87:88], v[87:88], v[95:96]
	v_xor_b32_e32 v95, 0x80000000, v92
	v_cndmask_b32_e32 v96, v92, v95, vcc
	v_cmp_gt_f64_e32 vcc, 0, v[93:94]
	v_mov_b32_e32 v95, v91
	v_cndmask_b32_e32 v98, v94, v97, vcc
	v_mov_b32_e32 v97, v93
	v_add_f64 v[95:96], v[95:96], v[97:98]
	v_cmp_lt_f64_e32 vcc, v[87:88], v[95:96]
	v_mov_b32_e32 v87, s0
	s_add_i32 s0, s0, 1
	s_cmp_lg_u32 s3, s0
	v_cndmask_b32_e32 v118, v118, v92, vcc
	v_cndmask_b32_e32 v117, v117, v91, vcc
	;; [unrolled: 1-line block ×5, first 2 shown]
	s_cbranch_scc1 .LBB116_274
.LBB116_275:
	s_waitcnt lgkmcnt(0)
	v_cmp_eq_f64_e32 vcc, 0, v[117:118]
	v_cmp_eq_f64_e64 s[0:1], 0, v[119:120]
	s_and_b64 s[0:1], vcc, s[0:1]
	s_and_saveexec_b64 s[18:19], s[0:1]
	s_xor_b64 s[0:1], exec, s[18:19]
; %bb.276:
	v_cmp_ne_u32_e32 vcc, 0, v90
	v_cndmask_b32_e32 v90, 14, v90, vcc
; %bb.277:
	s_andn2_saveexec_b64 s[0:1], s[0:1]
	s_cbranch_execz .LBB116_283
; %bb.278:
	v_cmp_ngt_f64_e64 s[18:19], |v[117:118]|, |v[119:120]|
	s_and_saveexec_b64 s[20:21], s[18:19]
	s_xor_b64 s[18:19], exec, s[20:21]
	s_cbranch_execz .LBB116_280
; %bb.279:
	v_div_scale_f64 v[86:87], s[20:21], v[119:120], v[119:120], v[117:118]
	v_rcp_f64_e32 v[91:92], v[86:87]
	v_fma_f64 v[93:94], -v[86:87], v[91:92], 1.0
	v_fma_f64 v[91:92], v[91:92], v[93:94], v[91:92]
	v_div_scale_f64 v[93:94], vcc, v[117:118], v[119:120], v[117:118]
	v_fma_f64 v[95:96], -v[86:87], v[91:92], 1.0
	v_fma_f64 v[91:92], v[91:92], v[95:96], v[91:92]
	v_mul_f64 v[95:96], v[93:94], v[91:92]
	v_fma_f64 v[86:87], -v[86:87], v[95:96], v[93:94]
	v_div_fmas_f64 v[86:87], v[86:87], v[91:92], v[95:96]
	v_div_fixup_f64 v[86:87], v[86:87], v[119:120], v[117:118]
	v_fma_f64 v[91:92], v[117:118], v[86:87], v[119:120]
	v_div_scale_f64 v[93:94], s[20:21], v[91:92], v[91:92], 1.0
	v_div_scale_f64 v[99:100], vcc, 1.0, v[91:92], 1.0
	v_rcp_f64_e32 v[95:96], v[93:94]
	v_fma_f64 v[97:98], -v[93:94], v[95:96], 1.0
	v_fma_f64 v[95:96], v[95:96], v[97:98], v[95:96]
	v_fma_f64 v[97:98], -v[93:94], v[95:96], 1.0
	v_fma_f64 v[95:96], v[95:96], v[97:98], v[95:96]
	v_mul_f64 v[97:98], v[99:100], v[95:96]
	v_fma_f64 v[93:94], -v[93:94], v[97:98], v[99:100]
	v_div_fmas_f64 v[93:94], v[93:94], v[95:96], v[97:98]
	v_div_fixup_f64 v[119:120], v[93:94], v[91:92], 1.0
	v_mul_f64 v[117:118], v[86:87], v[119:120]
	v_xor_b32_e32 v120, 0x80000000, v120
.LBB116_280:
	s_andn2_saveexec_b64 s[18:19], s[18:19]
	s_cbranch_execz .LBB116_282
; %bb.281:
	v_div_scale_f64 v[86:87], s[20:21], v[117:118], v[117:118], v[119:120]
	v_rcp_f64_e32 v[91:92], v[86:87]
	v_fma_f64 v[93:94], -v[86:87], v[91:92], 1.0
	v_fma_f64 v[91:92], v[91:92], v[93:94], v[91:92]
	v_div_scale_f64 v[93:94], vcc, v[119:120], v[117:118], v[119:120]
	v_fma_f64 v[95:96], -v[86:87], v[91:92], 1.0
	v_fma_f64 v[91:92], v[91:92], v[95:96], v[91:92]
	v_mul_f64 v[95:96], v[93:94], v[91:92]
	v_fma_f64 v[86:87], -v[86:87], v[95:96], v[93:94]
	v_div_fmas_f64 v[86:87], v[86:87], v[91:92], v[95:96]
	v_div_fixup_f64 v[86:87], v[86:87], v[117:118], v[119:120]
	v_fma_f64 v[91:92], v[119:120], v[86:87], v[117:118]
	v_div_scale_f64 v[93:94], s[20:21], v[91:92], v[91:92], 1.0
	v_div_scale_f64 v[99:100], vcc, 1.0, v[91:92], 1.0
	v_rcp_f64_e32 v[95:96], v[93:94]
	v_fma_f64 v[97:98], -v[93:94], v[95:96], 1.0
	v_fma_f64 v[95:96], v[95:96], v[97:98], v[95:96]
	v_fma_f64 v[97:98], -v[93:94], v[95:96], 1.0
	v_fma_f64 v[95:96], v[95:96], v[97:98], v[95:96]
	v_mul_f64 v[97:98], v[99:100], v[95:96]
	v_fma_f64 v[93:94], -v[93:94], v[97:98], v[99:100]
	v_div_fmas_f64 v[93:94], v[93:94], v[95:96], v[97:98]
	v_div_fixup_f64 v[117:118], v[93:94], v[91:92], 1.0
	v_mul_f64 v[119:120], v[86:87], -v[117:118]
.LBB116_282:
	s_or_b64 exec, exec, s[18:19]
.LBB116_283:
	s_or_b64 exec, exec, s[0:1]
	v_cmp_ne_u32_e32 vcc, v89, v85
	s_and_saveexec_b64 s[0:1], vcc
	s_xor_b64 s[0:1], exec, s[0:1]
	s_cbranch_execz .LBB116_289
; %bb.284:
	v_cmp_eq_u32_e32 vcc, 13, v89
	s_and_saveexec_b64 s[18:19], vcc
	s_cbranch_execz .LBB116_288
; %bb.285:
	v_cmp_ne_u32_e32 vcc, 13, v85
	s_xor_b64 s[20:21], s[6:7], -1
	s_and_b64 s[22:23], s[20:21], vcc
	s_and_saveexec_b64 s[20:21], s[22:23]
	s_cbranch_execz .LBB116_287
; %bb.286:
	v_mov_b32_e32 v77, v81
	v_mov_b32_e32 v78, v82
	;; [unrolled: 1-line block ×4, first 2 shown]
	buffer_load_dword v81, off, s[24:27], 0 offset:500 ; 4-byte Folded Reload
	buffer_load_dword v82, off, s[24:27], 0 offset:504 ; 4-byte Folded Reload
	v_ashrrev_i32_e32 v86, 31, v85
	v_lshlrev_b64 v[86:87], 2, v[85:86]
	s_waitcnt vmcnt(1)
	v_add_co_u32_e32 v86, vcc, v81, v86
	s_waitcnt vmcnt(0)
	v_addc_co_u32_e32 v87, vcc, v82, v87, vcc
	global_load_dword v88, v[86:87], off
	global_load_dword v89, v[81:82], off offset:52
	s_waitcnt vmcnt(1)
	global_store_dword v[81:82], v88, off offset:52
	v_mov_b32_e32 v84, v80
	v_mov_b32_e32 v83, v79
	;; [unrolled: 1-line block ×4, first 2 shown]
	s_waitcnt vmcnt(1)
	global_store_dword v[86:87], v89, off
.LBB116_287:
	s_or_b64 exec, exec, s[20:21]
	v_mov_b32_e32 v89, v85
	v_mov_b32_e32 v77, v85
	buffer_store_dword v77, off, s[24:27], 0 offset:432 ; 4-byte Folded Spill
.LBB116_288:
	s_or_b64 exec, exec, s[18:19]
.LBB116_289:
	s_andn2_saveexec_b64 s[0:1], s[0:1]
	s_cbranch_execz .LBB116_291
; %bb.290:
	buffer_load_dword v77, off, s[24:27], 0 offset:320 ; 4-byte Folded Reload
	buffer_load_dword v78, off, s[24:27], 0 offset:324 ; 4-byte Folded Reload
	;; [unrolled: 1-line block ×4, first 2 shown]
	v_mov_b32_e32 v89, 13
	s_waitcnt vmcnt(0)
	ds_write2_b64 v0, v[77:78], v[79:80] offset0:28 offset1:29
	buffer_load_dword v77, off, s[24:27], 0 offset:304 ; 4-byte Folded Reload
	buffer_load_dword v78, off, s[24:27], 0 offset:308 ; 4-byte Folded Reload
	buffer_load_dword v79, off, s[24:27], 0 offset:312 ; 4-byte Folded Reload
	buffer_load_dword v80, off, s[24:27], 0 offset:316 ; 4-byte Folded Reload
	s_waitcnt vmcnt(0)
	ds_write2_b64 v0, v[77:78], v[79:80] offset0:30 offset1:31
	buffer_load_dword v77, off, s[24:27], 0 offset:288 ; 4-byte Folded Reload
	buffer_load_dword v78, off, s[24:27], 0 offset:292 ; 4-byte Folded Reload
	buffer_load_dword v79, off, s[24:27], 0 offset:296 ; 4-byte Folded Reload
	buffer_load_dword v80, off, s[24:27], 0 offset:300 ; 4-byte Folded Reload
	s_waitcnt vmcnt(0)
	ds_write2_b64 v0, v[77:78], v[79:80] offset0:32 offset1:33
	buffer_load_dword v77, off, s[24:27], 0 offset:272 ; 4-byte Folded Reload
	buffer_load_dword v78, off, s[24:27], 0 offset:276 ; 4-byte Folded Reload
	buffer_load_dword v79, off, s[24:27], 0 offset:280 ; 4-byte Folded Reload
	buffer_load_dword v80, off, s[24:27], 0 offset:284 ; 4-byte Folded Reload
	s_waitcnt vmcnt(0)
	ds_write2_b64 v0, v[77:78], v[79:80] offset0:34 offset1:35
	buffer_load_dword v77, off, s[24:27], 0 offset:256 ; 4-byte Folded Reload
	buffer_load_dword v78, off, s[24:27], 0 offset:260 ; 4-byte Folded Reload
	buffer_load_dword v79, off, s[24:27], 0 offset:264 ; 4-byte Folded Reload
	buffer_load_dword v80, off, s[24:27], 0 offset:268 ; 4-byte Folded Reload
	s_waitcnt vmcnt(0)
	ds_write2_b64 v0, v[77:78], v[79:80] offset0:36 offset1:37
	buffer_load_dword v77, off, s[24:27], 0 offset:240 ; 4-byte Folded Reload
	buffer_load_dword v78, off, s[24:27], 0 offset:244 ; 4-byte Folded Reload
	buffer_load_dword v79, off, s[24:27], 0 offset:248 ; 4-byte Folded Reload
	buffer_load_dword v80, off, s[24:27], 0 offset:252 ; 4-byte Folded Reload
	s_waitcnt vmcnt(0)
	ds_write2_b64 v0, v[77:78], v[79:80] offset0:38 offset1:39
	buffer_load_dword v77, off, s[24:27], 0 offset:224 ; 4-byte Folded Reload
	buffer_load_dword v78, off, s[24:27], 0 offset:228 ; 4-byte Folded Reload
	buffer_load_dword v79, off, s[24:27], 0 offset:232 ; 4-byte Folded Reload
	buffer_load_dword v80, off, s[24:27], 0 offset:236 ; 4-byte Folded Reload
	s_waitcnt vmcnt(0)
	ds_write2_b64 v0, v[77:78], v[79:80] offset0:40 offset1:41
	buffer_load_dword v77, off, s[24:27], 0 offset:208 ; 4-byte Folded Reload
	buffer_load_dword v78, off, s[24:27], 0 offset:212 ; 4-byte Folded Reload
	buffer_load_dword v79, off, s[24:27], 0 offset:216 ; 4-byte Folded Reload
	buffer_load_dword v80, off, s[24:27], 0 offset:220 ; 4-byte Folded Reload
	s_waitcnt vmcnt(0)
	ds_write2_b64 v0, v[77:78], v[79:80] offset0:42 offset1:43
	buffer_load_dword v77, off, s[24:27], 0 offset:192 ; 4-byte Folded Reload
	buffer_load_dword v78, off, s[24:27], 0 offset:196 ; 4-byte Folded Reload
	buffer_load_dword v79, off, s[24:27], 0 offset:200 ; 4-byte Folded Reload
	buffer_load_dword v80, off, s[24:27], 0 offset:204 ; 4-byte Folded Reload
	s_waitcnt vmcnt(0)
	ds_write2_b64 v0, v[77:78], v[79:80] offset0:44 offset1:45
	buffer_load_dword v77, off, s[24:27], 0 offset:176 ; 4-byte Folded Reload
	buffer_load_dword v78, off, s[24:27], 0 offset:180 ; 4-byte Folded Reload
	buffer_load_dword v79, off, s[24:27], 0 offset:184 ; 4-byte Folded Reload
	buffer_load_dword v80, off, s[24:27], 0 offset:188 ; 4-byte Folded Reload
	s_waitcnt vmcnt(0)
	ds_write2_b64 v0, v[77:78], v[79:80] offset0:46 offset1:47
	buffer_load_dword v77, off, s[24:27], 0 offset:160 ; 4-byte Folded Reload
	buffer_load_dword v78, off, s[24:27], 0 offset:164 ; 4-byte Folded Reload
	buffer_load_dword v79, off, s[24:27], 0 offset:168 ; 4-byte Folded Reload
	buffer_load_dword v80, off, s[24:27], 0 offset:172 ; 4-byte Folded Reload
	s_waitcnt vmcnt(0)
	ds_write2_b64 v0, v[77:78], v[79:80] offset0:48 offset1:49
	buffer_load_dword v77, off, s[24:27], 0 offset:144 ; 4-byte Folded Reload
	buffer_load_dword v78, off, s[24:27], 0 offset:148 ; 4-byte Folded Reload
	buffer_load_dword v79, off, s[24:27], 0 offset:152 ; 4-byte Folded Reload
	buffer_load_dword v80, off, s[24:27], 0 offset:156 ; 4-byte Folded Reload
	s_waitcnt vmcnt(0)
	ds_write2_b64 v0, v[77:78], v[79:80] offset0:50 offset1:51
	buffer_load_dword v77, off, s[24:27], 0 offset:128 ; 4-byte Folded Reload
	buffer_load_dword v78, off, s[24:27], 0 offset:132 ; 4-byte Folded Reload
	buffer_load_dword v79, off, s[24:27], 0 offset:136 ; 4-byte Folded Reload
	buffer_load_dword v80, off, s[24:27], 0 offset:140 ; 4-byte Folded Reload
	s_waitcnt vmcnt(0)
	ds_write2_b64 v0, v[77:78], v[79:80] offset0:52 offset1:53
	buffer_load_dword v77, off, s[24:27], 0 offset:112 ; 4-byte Folded Reload
	buffer_load_dword v78, off, s[24:27], 0 offset:116 ; 4-byte Folded Reload
	buffer_load_dword v79, off, s[24:27], 0 offset:120 ; 4-byte Folded Reload
	buffer_load_dword v80, off, s[24:27], 0 offset:124 ; 4-byte Folded Reload
	s_waitcnt vmcnt(0)
	ds_write2_b64 v0, v[77:78], v[79:80] offset0:54 offset1:55
	buffer_load_dword v77, off, s[24:27], 0 offset:96 ; 4-byte Folded Reload
	buffer_load_dword v78, off, s[24:27], 0 offset:100 ; 4-byte Folded Reload
	buffer_load_dword v79, off, s[24:27], 0 offset:104 ; 4-byte Folded Reload
	buffer_load_dword v80, off, s[24:27], 0 offset:108 ; 4-byte Folded Reload
	s_waitcnt vmcnt(0)
	ds_write2_b64 v0, v[77:78], v[79:80] offset0:56 offset1:57
	buffer_load_dword v77, off, s[24:27], 0 offset:80 ; 4-byte Folded Reload
	buffer_load_dword v78, off, s[24:27], 0 offset:84 ; 4-byte Folded Reload
	buffer_load_dword v79, off, s[24:27], 0 offset:88 ; 4-byte Folded Reload
	buffer_load_dword v80, off, s[24:27], 0 offset:92 ; 4-byte Folded Reload
	s_waitcnt vmcnt(0)
	ds_write2_b64 v0, v[77:78], v[79:80] offset0:58 offset1:59
	buffer_load_dword v77, off, s[24:27], 0 offset:64 ; 4-byte Folded Reload
	buffer_load_dword v78, off, s[24:27], 0 offset:68 ; 4-byte Folded Reload
	buffer_load_dword v79, off, s[24:27], 0 offset:72 ; 4-byte Folded Reload
	buffer_load_dword v80, off, s[24:27], 0 offset:76 ; 4-byte Folded Reload
	s_waitcnt vmcnt(0)
	ds_write2_b64 v0, v[77:78], v[79:80] offset0:60 offset1:61
	buffer_load_dword v77, off, s[24:27], 0 offset:48 ; 4-byte Folded Reload
	buffer_load_dword v78, off, s[24:27], 0 offset:52 ; 4-byte Folded Reload
	buffer_load_dword v79, off, s[24:27], 0 offset:56 ; 4-byte Folded Reload
	buffer_load_dword v80, off, s[24:27], 0 offset:60 ; 4-byte Folded Reload
	s_waitcnt vmcnt(0)
	ds_write2_b64 v0, v[77:78], v[79:80] offset0:62 offset1:63
	buffer_load_dword v77, off, s[24:27], 0 offset:32 ; 4-byte Folded Reload
	buffer_load_dword v78, off, s[24:27], 0 offset:36 ; 4-byte Folded Reload
	buffer_load_dword v79, off, s[24:27], 0 offset:40 ; 4-byte Folded Reload
	buffer_load_dword v80, off, s[24:27], 0 offset:44 ; 4-byte Folded Reload
	s_waitcnt vmcnt(0)
	ds_write2_b64 v0, v[77:78], v[79:80] offset0:64 offset1:65
	buffer_load_dword v77, off, s[24:27], 0 offset:16 ; 4-byte Folded Reload
	buffer_load_dword v78, off, s[24:27], 0 offset:20 ; 4-byte Folded Reload
	buffer_load_dword v79, off, s[24:27], 0 offset:24 ; 4-byte Folded Reload
	buffer_load_dword v80, off, s[24:27], 0 offset:28 ; 4-byte Folded Reload
	s_waitcnt vmcnt(0)
	ds_write2_b64 v0, v[77:78], v[79:80] offset0:66 offset1:67
	ds_write2_b64 v0, v[81:82], v[83:84] offset0:68 offset1:69
	;; [unrolled: 1-line block ×5, first 2 shown]
	buffer_load_dword v77, off, s[24:27], 0 ; 4-byte Folded Reload
	buffer_load_dword v78, off, s[24:27], 0 offset:4 ; 4-byte Folded Reload
	buffer_load_dword v79, off, s[24:27], 0 offset:8 ; 4-byte Folded Reload
	;; [unrolled: 1-line block ×3, first 2 shown]
	s_waitcnt vmcnt(0)
	ds_write2_b64 v0, v[77:78], v[79:80] offset0:76 offset1:77
	ds_write2_b64 v0, v[73:74], v[75:76] offset0:78 offset1:79
	;; [unrolled: 1-line block ×21, first 2 shown]
.LBB116_291:
	s_or_b64 exec, exec, s[0:1]
	v_cmp_lt_i32_e32 vcc, 13, v89
	s_waitcnt vmcnt(0) lgkmcnt(0)
	s_barrier
	s_and_saveexec_b64 s[0:1], vcc
	s_cbranch_execz .LBB116_293
; %bb.292:
	buffer_load_dword v93, off, s[24:27], 0 offset:336 ; 4-byte Folded Reload
	buffer_load_dword v94, off, s[24:27], 0 offset:340 ; 4-byte Folded Reload
	;; [unrolled: 1-line block ×4, first 2 shown]
	s_waitcnt vmcnt(0)
	v_mul_f64 v[85:86], v[119:120], v[95:96]
	v_fma_f64 v[125:126], v[117:118], v[93:94], -v[85:86]
	v_mul_f64 v[85:86], v[117:118], v[95:96]
	v_fma_f64 v[95:96], v[119:120], v[93:94], v[85:86]
	ds_read2_b64 v[85:88], v0 offset0:28 offset1:29
	buffer_load_dword v77, off, s[24:27], 0 offset:320 ; 4-byte Folded Reload
	buffer_load_dword v78, off, s[24:27], 0 offset:324 ; 4-byte Folded Reload
	buffer_load_dword v79, off, s[24:27], 0 offset:328 ; 4-byte Folded Reload
	buffer_load_dword v80, off, s[24:27], 0 offset:332 ; 4-byte Folded Reload
	s_waitcnt lgkmcnt(0)
	v_mul_f64 v[91:92], v[87:88], v[95:96]
	v_fma_f64 v[91:92], v[85:86], v[125:126], -v[91:92]
	v_mul_f64 v[85:86], v[85:86], v[95:96]
	v_fma_f64 v[85:86], v[87:88], v[125:126], v[85:86]
	s_waitcnt vmcnt(2)
	v_add_f64 v[77:78], v[77:78], -v[91:92]
	s_waitcnt vmcnt(0)
	v_add_f64 v[79:80], v[79:80], -v[85:86]
	buffer_store_dword v77, off, s[24:27], 0 offset:320 ; 4-byte Folded Spill
	s_nop 0
	buffer_store_dword v78, off, s[24:27], 0 offset:324 ; 4-byte Folded Spill
	buffer_store_dword v79, off, s[24:27], 0 offset:328 ; 4-byte Folded Spill
	buffer_store_dword v80, off, s[24:27], 0 offset:332 ; 4-byte Folded Spill
	ds_read2_b64 v[85:88], v0 offset0:30 offset1:31
	buffer_load_dword v77, off, s[24:27], 0 offset:304 ; 4-byte Folded Reload
	buffer_load_dword v78, off, s[24:27], 0 offset:308 ; 4-byte Folded Reload
	buffer_load_dword v79, off, s[24:27], 0 offset:312 ; 4-byte Folded Reload
	buffer_load_dword v80, off, s[24:27], 0 offset:316 ; 4-byte Folded Reload
	s_waitcnt lgkmcnt(0)
	v_mul_f64 v[91:92], v[87:88], v[95:96]
	v_fma_f64 v[91:92], v[85:86], v[125:126], -v[91:92]
	v_mul_f64 v[85:86], v[85:86], v[95:96]
	v_fma_f64 v[85:86], v[87:88], v[125:126], v[85:86]
	s_waitcnt vmcnt(2)
	v_add_f64 v[77:78], v[77:78], -v[91:92]
	s_waitcnt vmcnt(0)
	v_add_f64 v[79:80], v[79:80], -v[85:86]
	buffer_store_dword v77, off, s[24:27], 0 offset:304 ; 4-byte Folded Spill
	s_nop 0
	buffer_store_dword v78, off, s[24:27], 0 offset:308 ; 4-byte Folded Spill
	buffer_store_dword v79, off, s[24:27], 0 offset:312 ; 4-byte Folded Spill
	buffer_store_dword v80, off, s[24:27], 0 offset:316 ; 4-byte Folded Spill
	;; [unrolled: 19-line block ×20, first 2 shown]
	ds_read2_b64 v[85:88], v0 offset0:68 offset1:69
	s_waitcnt lgkmcnt(0)
	v_mul_f64 v[91:92], v[87:88], v[95:96]
	v_fma_f64 v[91:92], v[85:86], v[125:126], -v[91:92]
	v_mul_f64 v[85:86], v[85:86], v[95:96]
	v_add_f64 v[81:82], v[81:82], -v[91:92]
	v_fma_f64 v[85:86], v[87:88], v[125:126], v[85:86]
	v_add_f64 v[83:84], v[83:84], -v[85:86]
	ds_read2_b64 v[85:88], v0 offset0:70 offset1:71
	s_waitcnt lgkmcnt(0)
	v_mul_f64 v[91:92], v[87:88], v[95:96]
	v_fma_f64 v[91:92], v[85:86], v[125:126], -v[91:92]
	v_mul_f64 v[85:86], v[85:86], v[95:96]
	v_add_f64 v[113:114], v[113:114], -v[91:92]
	v_fma_f64 v[85:86], v[87:88], v[125:126], v[85:86]
	v_add_f64 v[115:116], v[115:116], -v[85:86]
	;; [unrolled: 8-line block ×4, first 2 shown]
	ds_read2_b64 v[85:88], v0 offset0:76 offset1:77
	buffer_load_dword v77, off, s[24:27], 0 ; 4-byte Folded Reload
	buffer_load_dword v78, off, s[24:27], 0 offset:4 ; 4-byte Folded Reload
	buffer_load_dword v79, off, s[24:27], 0 offset:8 ; 4-byte Folded Reload
	;; [unrolled: 1-line block ×3, first 2 shown]
	s_waitcnt lgkmcnt(0)
	v_mul_f64 v[91:92], v[87:88], v[95:96]
	v_fma_f64 v[91:92], v[85:86], v[125:126], -v[91:92]
	v_mul_f64 v[85:86], v[85:86], v[95:96]
	v_fma_f64 v[85:86], v[87:88], v[125:126], v[85:86]
	s_waitcnt vmcnt(2)
	v_add_f64 v[77:78], v[77:78], -v[91:92]
	s_waitcnt vmcnt(0)
	v_add_f64 v[79:80], v[79:80], -v[85:86]
	buffer_store_dword v77, off, s[24:27], 0 ; 4-byte Folded Spill
	s_nop 0
	buffer_store_dword v78, off, s[24:27], 0 offset:4 ; 4-byte Folded Spill
	buffer_store_dword v79, off, s[24:27], 0 offset:8 ; 4-byte Folded Spill
	;; [unrolled: 1-line block ×3, first 2 shown]
	ds_read2_b64 v[85:88], v0 offset0:78 offset1:79
	s_waitcnt lgkmcnt(0)
	v_mul_f64 v[91:92], v[87:88], v[95:96]
	v_fma_f64 v[91:92], v[85:86], v[125:126], -v[91:92]
	v_mul_f64 v[85:86], v[85:86], v[95:96]
	v_add_f64 v[73:74], v[73:74], -v[91:92]
	v_fma_f64 v[85:86], v[87:88], v[125:126], v[85:86]
	v_add_f64 v[75:76], v[75:76], -v[85:86]
	ds_read2_b64 v[85:88], v0 offset0:80 offset1:81
	s_waitcnt lgkmcnt(0)
	v_mul_f64 v[91:92], v[87:88], v[95:96]
	v_fma_f64 v[91:92], v[85:86], v[125:126], -v[91:92]
	v_mul_f64 v[85:86], v[85:86], v[95:96]
	v_add_f64 v[69:70], v[69:70], -v[91:92]
	v_fma_f64 v[85:86], v[87:88], v[125:126], v[85:86]
	v_add_f64 v[71:72], v[71:72], -v[85:86]
	;; [unrolled: 8-line block ×18, first 2 shown]
	ds_read2_b64 v[85:88], v0 offset0:114 offset1:115
	s_waitcnt lgkmcnt(0)
	v_mul_f64 v[91:92], v[87:88], v[95:96]
	v_fma_f64 v[91:92], v[85:86], v[125:126], -v[91:92]
	v_mul_f64 v[85:86], v[85:86], v[95:96]
	v_add_f64 v[1:2], v[1:2], -v[91:92]
	v_fma_f64 v[85:86], v[87:88], v[125:126], v[85:86]
	ds_read2_b64 v[91:94], v0 offset0:116 offset1:117
	s_waitcnt lgkmcnt(0)
	v_mul_f64 v[87:88], v[91:92], v[95:96]
	v_add_f64 v[3:4], v[3:4], -v[85:86]
	v_mul_f64 v[85:86], v[93:94], v[95:96]
	v_fma_f64 v[87:88], v[93:94], v[125:126], v[87:88]
	v_mov_b32_e32 v93, v125
	v_mov_b32_e32 v94, v126
	v_fma_f64 v[85:86], v[91:92], v[125:126], -v[85:86]
	buffer_store_dword v93, off, s[24:27], 0 offset:336 ; 4-byte Folded Spill
	s_nop 0
	buffer_store_dword v94, off, s[24:27], 0 offset:340 ; 4-byte Folded Spill
	buffer_store_dword v95, off, s[24:27], 0 offset:344 ; 4-byte Folded Spill
	;; [unrolled: 1-line block ×3, first 2 shown]
	v_add_f64 v[123:124], v[123:124], -v[87:88]
	v_add_f64 v[121:122], v[121:122], -v[85:86]
.LBB116_293:
	s_or_b64 exec, exec, s[0:1]
	s_waitcnt vmcnt(0)
	s_barrier
	buffer_load_dword v77, off, s[24:27], 0 offset:320 ; 4-byte Folded Reload
	buffer_load_dword v78, off, s[24:27], 0 offset:324 ; 4-byte Folded Reload
	;; [unrolled: 1-line block ×4, first 2 shown]
	v_lshl_add_u32 v85, v89, 4, v0
	s_cmp_lt_i32 s3, 16
	s_waitcnt vmcnt(0)
	ds_write2_b64 v85, v[77:78], v[79:80] offset1:1
	s_waitcnt lgkmcnt(0)
	s_barrier
	ds_read2_b64 v[117:120], v0 offset0:28 offset1:29
	v_mov_b32_e32 v85, 14
	s_cbranch_scc1 .LBB116_296
; %bb.294:
	v_add_u32_e32 v86, 0xf0, v0
	s_mov_b32 s0, 15
	v_mov_b32_e32 v85, 14
.LBB116_295:                            ; =>This Inner Loop Header: Depth=1
	s_waitcnt lgkmcnt(0)
	v_cmp_gt_f64_e32 vcc, 0, v[117:118]
	v_xor_b32_e32 v87, 0x80000000, v118
	ds_read2_b64 v[91:94], v86 offset1:1
	v_xor_b32_e32 v95, 0x80000000, v120
	v_add_u32_e32 v86, 16, v86
	s_waitcnt lgkmcnt(0)
	v_xor_b32_e32 v97, 0x80000000, v94
	v_cndmask_b32_e32 v88, v118, v87, vcc
	v_cmp_gt_f64_e32 vcc, 0, v[119:120]
	v_mov_b32_e32 v87, v117
	v_cndmask_b32_e32 v96, v120, v95, vcc
	v_cmp_gt_f64_e32 vcc, 0, v[91:92]
	v_mov_b32_e32 v95, v119
	v_add_f64 v[87:88], v[87:88], v[95:96]
	v_xor_b32_e32 v95, 0x80000000, v92
	v_cndmask_b32_e32 v96, v92, v95, vcc
	v_cmp_gt_f64_e32 vcc, 0, v[93:94]
	v_mov_b32_e32 v95, v91
	v_cndmask_b32_e32 v98, v94, v97, vcc
	v_mov_b32_e32 v97, v93
	v_add_f64 v[95:96], v[95:96], v[97:98]
	v_cmp_lt_f64_e32 vcc, v[87:88], v[95:96]
	v_mov_b32_e32 v87, s0
	s_add_i32 s0, s0, 1
	s_cmp_lg_u32 s3, s0
	v_cndmask_b32_e32 v118, v118, v92, vcc
	v_cndmask_b32_e32 v117, v117, v91, vcc
	;; [unrolled: 1-line block ×5, first 2 shown]
	s_cbranch_scc1 .LBB116_295
.LBB116_296:
	s_waitcnt lgkmcnt(0)
	v_cmp_eq_f64_e32 vcc, 0, v[117:118]
	v_cmp_eq_f64_e64 s[0:1], 0, v[119:120]
	s_and_b64 s[0:1], vcc, s[0:1]
	s_and_saveexec_b64 s[18:19], s[0:1]
	s_xor_b64 s[0:1], exec, s[18:19]
; %bb.297:
	v_cmp_ne_u32_e32 vcc, 0, v90
	v_cndmask_b32_e32 v90, 15, v90, vcc
; %bb.298:
	s_andn2_saveexec_b64 s[0:1], s[0:1]
	s_cbranch_execz .LBB116_304
; %bb.299:
	v_cmp_ngt_f64_e64 s[18:19], |v[117:118]|, |v[119:120]|
	s_and_saveexec_b64 s[20:21], s[18:19]
	s_xor_b64 s[18:19], exec, s[20:21]
	s_cbranch_execz .LBB116_301
; %bb.300:
	v_div_scale_f64 v[86:87], s[20:21], v[119:120], v[119:120], v[117:118]
	v_rcp_f64_e32 v[91:92], v[86:87]
	v_fma_f64 v[93:94], -v[86:87], v[91:92], 1.0
	v_fma_f64 v[91:92], v[91:92], v[93:94], v[91:92]
	v_div_scale_f64 v[93:94], vcc, v[117:118], v[119:120], v[117:118]
	v_fma_f64 v[95:96], -v[86:87], v[91:92], 1.0
	v_fma_f64 v[91:92], v[91:92], v[95:96], v[91:92]
	v_mul_f64 v[95:96], v[93:94], v[91:92]
	v_fma_f64 v[86:87], -v[86:87], v[95:96], v[93:94]
	v_div_fmas_f64 v[86:87], v[86:87], v[91:92], v[95:96]
	v_div_fixup_f64 v[86:87], v[86:87], v[119:120], v[117:118]
	v_fma_f64 v[91:92], v[117:118], v[86:87], v[119:120]
	v_div_scale_f64 v[93:94], s[20:21], v[91:92], v[91:92], 1.0
	v_div_scale_f64 v[99:100], vcc, 1.0, v[91:92], 1.0
	v_rcp_f64_e32 v[95:96], v[93:94]
	v_fma_f64 v[97:98], -v[93:94], v[95:96], 1.0
	v_fma_f64 v[95:96], v[95:96], v[97:98], v[95:96]
	v_fma_f64 v[97:98], -v[93:94], v[95:96], 1.0
	v_fma_f64 v[95:96], v[95:96], v[97:98], v[95:96]
	v_mul_f64 v[97:98], v[99:100], v[95:96]
	v_fma_f64 v[93:94], -v[93:94], v[97:98], v[99:100]
	v_div_fmas_f64 v[93:94], v[93:94], v[95:96], v[97:98]
	v_div_fixup_f64 v[119:120], v[93:94], v[91:92], 1.0
	v_mul_f64 v[117:118], v[86:87], v[119:120]
	v_xor_b32_e32 v120, 0x80000000, v120
.LBB116_301:
	s_andn2_saveexec_b64 s[18:19], s[18:19]
	s_cbranch_execz .LBB116_303
; %bb.302:
	v_div_scale_f64 v[86:87], s[20:21], v[117:118], v[117:118], v[119:120]
	v_rcp_f64_e32 v[91:92], v[86:87]
	v_fma_f64 v[93:94], -v[86:87], v[91:92], 1.0
	v_fma_f64 v[91:92], v[91:92], v[93:94], v[91:92]
	v_div_scale_f64 v[93:94], vcc, v[119:120], v[117:118], v[119:120]
	v_fma_f64 v[95:96], -v[86:87], v[91:92], 1.0
	v_fma_f64 v[91:92], v[91:92], v[95:96], v[91:92]
	v_mul_f64 v[95:96], v[93:94], v[91:92]
	v_fma_f64 v[86:87], -v[86:87], v[95:96], v[93:94]
	v_div_fmas_f64 v[86:87], v[86:87], v[91:92], v[95:96]
	v_div_fixup_f64 v[86:87], v[86:87], v[117:118], v[119:120]
	v_fma_f64 v[91:92], v[119:120], v[86:87], v[117:118]
	v_div_scale_f64 v[93:94], s[20:21], v[91:92], v[91:92], 1.0
	v_div_scale_f64 v[99:100], vcc, 1.0, v[91:92], 1.0
	v_rcp_f64_e32 v[95:96], v[93:94]
	v_fma_f64 v[97:98], -v[93:94], v[95:96], 1.0
	v_fma_f64 v[95:96], v[95:96], v[97:98], v[95:96]
	v_fma_f64 v[97:98], -v[93:94], v[95:96], 1.0
	v_fma_f64 v[95:96], v[95:96], v[97:98], v[95:96]
	v_mul_f64 v[97:98], v[99:100], v[95:96]
	v_fma_f64 v[93:94], -v[93:94], v[97:98], v[99:100]
	v_div_fmas_f64 v[93:94], v[93:94], v[95:96], v[97:98]
	v_div_fixup_f64 v[117:118], v[93:94], v[91:92], 1.0
	v_mul_f64 v[119:120], v[86:87], -v[117:118]
.LBB116_303:
	s_or_b64 exec, exec, s[18:19]
.LBB116_304:
	s_or_b64 exec, exec, s[0:1]
	v_cmp_ne_u32_e32 vcc, v89, v85
	s_and_saveexec_b64 s[0:1], vcc
	s_xor_b64 s[0:1], exec, s[0:1]
	s_cbranch_execz .LBB116_310
; %bb.305:
	v_cmp_eq_u32_e32 vcc, 14, v89
	s_and_saveexec_b64 s[18:19], vcc
	s_cbranch_execz .LBB116_309
; %bb.306:
	v_cmp_ne_u32_e32 vcc, 14, v85
	s_xor_b64 s[20:21], s[6:7], -1
	s_and_b64 s[22:23], s[20:21], vcc
	s_and_saveexec_b64 s[20:21], s[22:23]
	s_cbranch_execz .LBB116_308
; %bb.307:
	v_mov_b32_e32 v77, v81
	v_mov_b32_e32 v78, v82
	;; [unrolled: 1-line block ×4, first 2 shown]
	buffer_load_dword v81, off, s[24:27], 0 offset:500 ; 4-byte Folded Reload
	buffer_load_dword v82, off, s[24:27], 0 offset:504 ; 4-byte Folded Reload
	v_ashrrev_i32_e32 v86, 31, v85
	v_lshlrev_b64 v[86:87], 2, v[85:86]
	s_waitcnt vmcnt(1)
	v_add_co_u32_e32 v86, vcc, v81, v86
	s_waitcnt vmcnt(0)
	v_addc_co_u32_e32 v87, vcc, v82, v87, vcc
	global_load_dword v88, v[86:87], off
	global_load_dword v89, v[81:82], off offset:56
	s_waitcnt vmcnt(1)
	global_store_dword v[81:82], v88, off offset:56
	v_mov_b32_e32 v84, v80
	v_mov_b32_e32 v83, v79
	;; [unrolled: 1-line block ×4, first 2 shown]
	s_waitcnt vmcnt(1)
	global_store_dword v[86:87], v89, off
.LBB116_308:
	s_or_b64 exec, exec, s[20:21]
	v_mov_b32_e32 v89, v85
	v_mov_b32_e32 v77, v85
	buffer_store_dword v77, off, s[24:27], 0 offset:432 ; 4-byte Folded Spill
.LBB116_309:
	s_or_b64 exec, exec, s[18:19]
.LBB116_310:
	s_andn2_saveexec_b64 s[0:1], s[0:1]
	s_cbranch_execz .LBB116_312
; %bb.311:
	buffer_load_dword v77, off, s[24:27], 0 offset:304 ; 4-byte Folded Reload
	buffer_load_dword v78, off, s[24:27], 0 offset:308 ; 4-byte Folded Reload
	;; [unrolled: 1-line block ×4, first 2 shown]
	v_mov_b32_e32 v89, 14
	s_waitcnt vmcnt(0)
	ds_write2_b64 v0, v[77:78], v[79:80] offset0:30 offset1:31
	buffer_load_dword v77, off, s[24:27], 0 offset:288 ; 4-byte Folded Reload
	buffer_load_dword v78, off, s[24:27], 0 offset:292 ; 4-byte Folded Reload
	buffer_load_dword v79, off, s[24:27], 0 offset:296 ; 4-byte Folded Reload
	buffer_load_dword v80, off, s[24:27], 0 offset:300 ; 4-byte Folded Reload
	s_waitcnt vmcnt(0)
	ds_write2_b64 v0, v[77:78], v[79:80] offset0:32 offset1:33
	buffer_load_dword v77, off, s[24:27], 0 offset:272 ; 4-byte Folded Reload
	buffer_load_dword v78, off, s[24:27], 0 offset:276 ; 4-byte Folded Reload
	buffer_load_dword v79, off, s[24:27], 0 offset:280 ; 4-byte Folded Reload
	buffer_load_dword v80, off, s[24:27], 0 offset:284 ; 4-byte Folded Reload
	;; [unrolled: 6-line block ×18, first 2 shown]
	s_waitcnt vmcnt(0)
	ds_write2_b64 v0, v[77:78], v[79:80] offset0:66 offset1:67
	ds_write2_b64 v0, v[81:82], v[83:84] offset0:68 offset1:69
	;; [unrolled: 1-line block ×5, first 2 shown]
	buffer_load_dword v77, off, s[24:27], 0 ; 4-byte Folded Reload
	buffer_load_dword v78, off, s[24:27], 0 offset:4 ; 4-byte Folded Reload
	buffer_load_dword v79, off, s[24:27], 0 offset:8 ; 4-byte Folded Reload
	;; [unrolled: 1-line block ×3, first 2 shown]
	s_waitcnt vmcnt(0)
	ds_write2_b64 v0, v[77:78], v[79:80] offset0:76 offset1:77
	ds_write2_b64 v0, v[73:74], v[75:76] offset0:78 offset1:79
	;; [unrolled: 1-line block ×21, first 2 shown]
.LBB116_312:
	s_or_b64 exec, exec, s[0:1]
	v_cmp_lt_i32_e32 vcc, 14, v89
	s_waitcnt vmcnt(0) lgkmcnt(0)
	s_barrier
	s_and_saveexec_b64 s[0:1], vcc
	s_cbranch_execz .LBB116_314
; %bb.313:
	buffer_load_dword v93, off, s[24:27], 0 offset:320 ; 4-byte Folded Reload
	buffer_load_dword v94, off, s[24:27], 0 offset:324 ; 4-byte Folded Reload
	;; [unrolled: 1-line block ×4, first 2 shown]
	s_waitcnt vmcnt(0)
	v_mul_f64 v[85:86], v[119:120], v[95:96]
	v_fma_f64 v[125:126], v[117:118], v[93:94], -v[85:86]
	v_mul_f64 v[85:86], v[117:118], v[95:96]
	v_fma_f64 v[95:96], v[119:120], v[93:94], v[85:86]
	ds_read2_b64 v[85:88], v0 offset0:30 offset1:31
	buffer_load_dword v77, off, s[24:27], 0 offset:304 ; 4-byte Folded Reload
	buffer_load_dword v78, off, s[24:27], 0 offset:308 ; 4-byte Folded Reload
	buffer_load_dword v79, off, s[24:27], 0 offset:312 ; 4-byte Folded Reload
	buffer_load_dword v80, off, s[24:27], 0 offset:316 ; 4-byte Folded Reload
	s_waitcnt lgkmcnt(0)
	v_mul_f64 v[91:92], v[87:88], v[95:96]
	v_fma_f64 v[91:92], v[85:86], v[125:126], -v[91:92]
	v_mul_f64 v[85:86], v[85:86], v[95:96]
	v_fma_f64 v[85:86], v[87:88], v[125:126], v[85:86]
	s_waitcnt vmcnt(2)
	v_add_f64 v[77:78], v[77:78], -v[91:92]
	s_waitcnt vmcnt(0)
	v_add_f64 v[79:80], v[79:80], -v[85:86]
	buffer_store_dword v77, off, s[24:27], 0 offset:304 ; 4-byte Folded Spill
	s_nop 0
	buffer_store_dword v78, off, s[24:27], 0 offset:308 ; 4-byte Folded Spill
	buffer_store_dword v79, off, s[24:27], 0 offset:312 ; 4-byte Folded Spill
	buffer_store_dword v80, off, s[24:27], 0 offset:316 ; 4-byte Folded Spill
	ds_read2_b64 v[85:88], v0 offset0:32 offset1:33
	buffer_load_dword v77, off, s[24:27], 0 offset:288 ; 4-byte Folded Reload
	buffer_load_dword v78, off, s[24:27], 0 offset:292 ; 4-byte Folded Reload
	buffer_load_dword v79, off, s[24:27], 0 offset:296 ; 4-byte Folded Reload
	buffer_load_dword v80, off, s[24:27], 0 offset:300 ; 4-byte Folded Reload
	s_waitcnt lgkmcnt(0)
	v_mul_f64 v[91:92], v[87:88], v[95:96]
	v_fma_f64 v[91:92], v[85:86], v[125:126], -v[91:92]
	v_mul_f64 v[85:86], v[85:86], v[95:96]
	v_fma_f64 v[85:86], v[87:88], v[125:126], v[85:86]
	s_waitcnt vmcnt(2)
	v_add_f64 v[77:78], v[77:78], -v[91:92]
	s_waitcnt vmcnt(0)
	v_add_f64 v[79:80], v[79:80], -v[85:86]
	buffer_store_dword v77, off, s[24:27], 0 offset:288 ; 4-byte Folded Spill
	s_nop 0
	buffer_store_dword v78, off, s[24:27], 0 offset:292 ; 4-byte Folded Spill
	buffer_store_dword v79, off, s[24:27], 0 offset:296 ; 4-byte Folded Spill
	buffer_store_dword v80, off, s[24:27], 0 offset:300 ; 4-byte Folded Spill
	;; [unrolled: 19-line block ×19, first 2 shown]
	ds_read2_b64 v[85:88], v0 offset0:68 offset1:69
	s_waitcnt lgkmcnt(0)
	v_mul_f64 v[91:92], v[87:88], v[95:96]
	v_fma_f64 v[91:92], v[85:86], v[125:126], -v[91:92]
	v_mul_f64 v[85:86], v[85:86], v[95:96]
	v_add_f64 v[81:82], v[81:82], -v[91:92]
	v_fma_f64 v[85:86], v[87:88], v[125:126], v[85:86]
	v_add_f64 v[83:84], v[83:84], -v[85:86]
	ds_read2_b64 v[85:88], v0 offset0:70 offset1:71
	s_waitcnt lgkmcnt(0)
	v_mul_f64 v[91:92], v[87:88], v[95:96]
	v_fma_f64 v[91:92], v[85:86], v[125:126], -v[91:92]
	v_mul_f64 v[85:86], v[85:86], v[95:96]
	v_add_f64 v[113:114], v[113:114], -v[91:92]
	v_fma_f64 v[85:86], v[87:88], v[125:126], v[85:86]
	v_add_f64 v[115:116], v[115:116], -v[85:86]
	;; [unrolled: 8-line block ×4, first 2 shown]
	ds_read2_b64 v[85:88], v0 offset0:76 offset1:77
	buffer_load_dword v77, off, s[24:27], 0 ; 4-byte Folded Reload
	buffer_load_dword v78, off, s[24:27], 0 offset:4 ; 4-byte Folded Reload
	buffer_load_dword v79, off, s[24:27], 0 offset:8 ; 4-byte Folded Reload
	;; [unrolled: 1-line block ×3, first 2 shown]
	s_waitcnt lgkmcnt(0)
	v_mul_f64 v[91:92], v[87:88], v[95:96]
	v_fma_f64 v[91:92], v[85:86], v[125:126], -v[91:92]
	v_mul_f64 v[85:86], v[85:86], v[95:96]
	v_fma_f64 v[85:86], v[87:88], v[125:126], v[85:86]
	s_waitcnt vmcnt(2)
	v_add_f64 v[77:78], v[77:78], -v[91:92]
	s_waitcnt vmcnt(0)
	v_add_f64 v[79:80], v[79:80], -v[85:86]
	buffer_store_dword v77, off, s[24:27], 0 ; 4-byte Folded Spill
	s_nop 0
	buffer_store_dword v78, off, s[24:27], 0 offset:4 ; 4-byte Folded Spill
	buffer_store_dword v79, off, s[24:27], 0 offset:8 ; 4-byte Folded Spill
	;; [unrolled: 1-line block ×3, first 2 shown]
	ds_read2_b64 v[85:88], v0 offset0:78 offset1:79
	s_waitcnt lgkmcnt(0)
	v_mul_f64 v[91:92], v[87:88], v[95:96]
	v_fma_f64 v[91:92], v[85:86], v[125:126], -v[91:92]
	v_mul_f64 v[85:86], v[85:86], v[95:96]
	v_add_f64 v[73:74], v[73:74], -v[91:92]
	v_fma_f64 v[85:86], v[87:88], v[125:126], v[85:86]
	v_add_f64 v[75:76], v[75:76], -v[85:86]
	ds_read2_b64 v[85:88], v0 offset0:80 offset1:81
	s_waitcnt lgkmcnt(0)
	v_mul_f64 v[91:92], v[87:88], v[95:96]
	v_fma_f64 v[91:92], v[85:86], v[125:126], -v[91:92]
	v_mul_f64 v[85:86], v[85:86], v[95:96]
	v_add_f64 v[69:70], v[69:70], -v[91:92]
	v_fma_f64 v[85:86], v[87:88], v[125:126], v[85:86]
	v_add_f64 v[71:72], v[71:72], -v[85:86]
	;; [unrolled: 8-line block ×18, first 2 shown]
	ds_read2_b64 v[85:88], v0 offset0:114 offset1:115
	s_waitcnt lgkmcnt(0)
	v_mul_f64 v[91:92], v[87:88], v[95:96]
	v_fma_f64 v[91:92], v[85:86], v[125:126], -v[91:92]
	v_mul_f64 v[85:86], v[85:86], v[95:96]
	v_add_f64 v[1:2], v[1:2], -v[91:92]
	v_fma_f64 v[85:86], v[87:88], v[125:126], v[85:86]
	ds_read2_b64 v[91:94], v0 offset0:116 offset1:117
	s_waitcnt lgkmcnt(0)
	v_mul_f64 v[87:88], v[91:92], v[95:96]
	v_add_f64 v[3:4], v[3:4], -v[85:86]
	v_mul_f64 v[85:86], v[93:94], v[95:96]
	v_fma_f64 v[87:88], v[93:94], v[125:126], v[87:88]
	v_mov_b32_e32 v93, v125
	v_mov_b32_e32 v94, v126
	v_fma_f64 v[85:86], v[91:92], v[125:126], -v[85:86]
	buffer_store_dword v93, off, s[24:27], 0 offset:320 ; 4-byte Folded Spill
	s_nop 0
	buffer_store_dword v94, off, s[24:27], 0 offset:324 ; 4-byte Folded Spill
	buffer_store_dword v95, off, s[24:27], 0 offset:328 ; 4-byte Folded Spill
	;; [unrolled: 1-line block ×3, first 2 shown]
	v_add_f64 v[123:124], v[123:124], -v[87:88]
	v_add_f64 v[121:122], v[121:122], -v[85:86]
.LBB116_314:
	s_or_b64 exec, exec, s[0:1]
	s_waitcnt vmcnt(0)
	s_barrier
	buffer_load_dword v77, off, s[24:27], 0 offset:304 ; 4-byte Folded Reload
	buffer_load_dword v78, off, s[24:27], 0 offset:308 ; 4-byte Folded Reload
	;; [unrolled: 1-line block ×4, first 2 shown]
	v_lshl_add_u32 v85, v89, 4, v0
	s_cmp_lt_i32 s3, 17
	s_waitcnt vmcnt(0)
	ds_write2_b64 v85, v[77:78], v[79:80] offset1:1
	s_waitcnt lgkmcnt(0)
	s_barrier
	ds_read2_b64 v[117:120], v0 offset0:30 offset1:31
	v_mov_b32_e32 v85, 15
	s_cbranch_scc1 .LBB116_317
; %bb.315:
	v_add_u32_e32 v86, 0x100, v0
	s_mov_b32 s0, 16
	v_mov_b32_e32 v85, 15
.LBB116_316:                            ; =>This Inner Loop Header: Depth=1
	s_waitcnt lgkmcnt(0)
	v_cmp_gt_f64_e32 vcc, 0, v[117:118]
	v_xor_b32_e32 v87, 0x80000000, v118
	ds_read2_b64 v[91:94], v86 offset1:1
	v_xor_b32_e32 v95, 0x80000000, v120
	v_add_u32_e32 v86, 16, v86
	s_waitcnt lgkmcnt(0)
	v_xor_b32_e32 v97, 0x80000000, v94
	v_cndmask_b32_e32 v88, v118, v87, vcc
	v_cmp_gt_f64_e32 vcc, 0, v[119:120]
	v_mov_b32_e32 v87, v117
	v_cndmask_b32_e32 v96, v120, v95, vcc
	v_cmp_gt_f64_e32 vcc, 0, v[91:92]
	v_mov_b32_e32 v95, v119
	v_add_f64 v[87:88], v[87:88], v[95:96]
	v_xor_b32_e32 v95, 0x80000000, v92
	v_cndmask_b32_e32 v96, v92, v95, vcc
	v_cmp_gt_f64_e32 vcc, 0, v[93:94]
	v_mov_b32_e32 v95, v91
	v_cndmask_b32_e32 v98, v94, v97, vcc
	v_mov_b32_e32 v97, v93
	v_add_f64 v[95:96], v[95:96], v[97:98]
	v_cmp_lt_f64_e32 vcc, v[87:88], v[95:96]
	v_mov_b32_e32 v87, s0
	s_add_i32 s0, s0, 1
	s_cmp_lg_u32 s3, s0
	v_cndmask_b32_e32 v118, v118, v92, vcc
	v_cndmask_b32_e32 v117, v117, v91, vcc
	;; [unrolled: 1-line block ×5, first 2 shown]
	s_cbranch_scc1 .LBB116_316
.LBB116_317:
	s_waitcnt lgkmcnt(0)
	v_cmp_eq_f64_e32 vcc, 0, v[117:118]
	v_cmp_eq_f64_e64 s[0:1], 0, v[119:120]
	s_and_b64 s[0:1], vcc, s[0:1]
	s_and_saveexec_b64 s[18:19], s[0:1]
	s_xor_b64 s[0:1], exec, s[18:19]
; %bb.318:
	v_cmp_ne_u32_e32 vcc, 0, v90
	v_cndmask_b32_e32 v90, 16, v90, vcc
; %bb.319:
	s_andn2_saveexec_b64 s[0:1], s[0:1]
	s_cbranch_execz .LBB116_325
; %bb.320:
	v_cmp_ngt_f64_e64 s[18:19], |v[117:118]|, |v[119:120]|
	s_and_saveexec_b64 s[20:21], s[18:19]
	s_xor_b64 s[18:19], exec, s[20:21]
	s_cbranch_execz .LBB116_322
; %bb.321:
	v_div_scale_f64 v[86:87], s[20:21], v[119:120], v[119:120], v[117:118]
	v_rcp_f64_e32 v[91:92], v[86:87]
	v_fma_f64 v[93:94], -v[86:87], v[91:92], 1.0
	v_fma_f64 v[91:92], v[91:92], v[93:94], v[91:92]
	v_div_scale_f64 v[93:94], vcc, v[117:118], v[119:120], v[117:118]
	v_fma_f64 v[95:96], -v[86:87], v[91:92], 1.0
	v_fma_f64 v[91:92], v[91:92], v[95:96], v[91:92]
	v_mul_f64 v[95:96], v[93:94], v[91:92]
	v_fma_f64 v[86:87], -v[86:87], v[95:96], v[93:94]
	v_div_fmas_f64 v[86:87], v[86:87], v[91:92], v[95:96]
	v_div_fixup_f64 v[86:87], v[86:87], v[119:120], v[117:118]
	v_fma_f64 v[91:92], v[117:118], v[86:87], v[119:120]
	v_div_scale_f64 v[93:94], s[20:21], v[91:92], v[91:92], 1.0
	v_div_scale_f64 v[99:100], vcc, 1.0, v[91:92], 1.0
	v_rcp_f64_e32 v[95:96], v[93:94]
	v_fma_f64 v[97:98], -v[93:94], v[95:96], 1.0
	v_fma_f64 v[95:96], v[95:96], v[97:98], v[95:96]
	v_fma_f64 v[97:98], -v[93:94], v[95:96], 1.0
	v_fma_f64 v[95:96], v[95:96], v[97:98], v[95:96]
	v_mul_f64 v[97:98], v[99:100], v[95:96]
	v_fma_f64 v[93:94], -v[93:94], v[97:98], v[99:100]
	v_div_fmas_f64 v[93:94], v[93:94], v[95:96], v[97:98]
	v_div_fixup_f64 v[119:120], v[93:94], v[91:92], 1.0
	v_mul_f64 v[117:118], v[86:87], v[119:120]
	v_xor_b32_e32 v120, 0x80000000, v120
.LBB116_322:
	s_andn2_saveexec_b64 s[18:19], s[18:19]
	s_cbranch_execz .LBB116_324
; %bb.323:
	v_div_scale_f64 v[86:87], s[20:21], v[117:118], v[117:118], v[119:120]
	v_rcp_f64_e32 v[91:92], v[86:87]
	v_fma_f64 v[93:94], -v[86:87], v[91:92], 1.0
	v_fma_f64 v[91:92], v[91:92], v[93:94], v[91:92]
	v_div_scale_f64 v[93:94], vcc, v[119:120], v[117:118], v[119:120]
	v_fma_f64 v[95:96], -v[86:87], v[91:92], 1.0
	v_fma_f64 v[91:92], v[91:92], v[95:96], v[91:92]
	v_mul_f64 v[95:96], v[93:94], v[91:92]
	v_fma_f64 v[86:87], -v[86:87], v[95:96], v[93:94]
	v_div_fmas_f64 v[86:87], v[86:87], v[91:92], v[95:96]
	v_div_fixup_f64 v[86:87], v[86:87], v[117:118], v[119:120]
	v_fma_f64 v[91:92], v[119:120], v[86:87], v[117:118]
	v_div_scale_f64 v[93:94], s[20:21], v[91:92], v[91:92], 1.0
	v_div_scale_f64 v[99:100], vcc, 1.0, v[91:92], 1.0
	v_rcp_f64_e32 v[95:96], v[93:94]
	v_fma_f64 v[97:98], -v[93:94], v[95:96], 1.0
	v_fma_f64 v[95:96], v[95:96], v[97:98], v[95:96]
	v_fma_f64 v[97:98], -v[93:94], v[95:96], 1.0
	v_fma_f64 v[95:96], v[95:96], v[97:98], v[95:96]
	v_mul_f64 v[97:98], v[99:100], v[95:96]
	v_fma_f64 v[93:94], -v[93:94], v[97:98], v[99:100]
	v_div_fmas_f64 v[93:94], v[93:94], v[95:96], v[97:98]
	v_div_fixup_f64 v[117:118], v[93:94], v[91:92], 1.0
	v_mul_f64 v[119:120], v[86:87], -v[117:118]
.LBB116_324:
	s_or_b64 exec, exec, s[18:19]
.LBB116_325:
	s_or_b64 exec, exec, s[0:1]
	v_cmp_ne_u32_e32 vcc, v89, v85
	s_and_saveexec_b64 s[0:1], vcc
	s_xor_b64 s[0:1], exec, s[0:1]
	s_cbranch_execz .LBB116_331
; %bb.326:
	v_cmp_eq_u32_e32 vcc, 15, v89
	s_and_saveexec_b64 s[18:19], vcc
	s_cbranch_execz .LBB116_330
; %bb.327:
	v_cmp_ne_u32_e32 vcc, 15, v85
	s_xor_b64 s[20:21], s[6:7], -1
	s_and_b64 s[22:23], s[20:21], vcc
	s_and_saveexec_b64 s[20:21], s[22:23]
	s_cbranch_execz .LBB116_329
; %bb.328:
	v_mov_b32_e32 v77, v81
	v_mov_b32_e32 v78, v82
	;; [unrolled: 1-line block ×4, first 2 shown]
	buffer_load_dword v81, off, s[24:27], 0 offset:500 ; 4-byte Folded Reload
	buffer_load_dword v82, off, s[24:27], 0 offset:504 ; 4-byte Folded Reload
	v_ashrrev_i32_e32 v86, 31, v85
	v_lshlrev_b64 v[86:87], 2, v[85:86]
	s_waitcnt vmcnt(1)
	v_add_co_u32_e32 v86, vcc, v81, v86
	s_waitcnt vmcnt(0)
	v_addc_co_u32_e32 v87, vcc, v82, v87, vcc
	global_load_dword v88, v[86:87], off
	global_load_dword v89, v[81:82], off offset:60
	s_waitcnt vmcnt(1)
	global_store_dword v[81:82], v88, off offset:60
	v_mov_b32_e32 v84, v80
	v_mov_b32_e32 v83, v79
	;; [unrolled: 1-line block ×4, first 2 shown]
	s_waitcnt vmcnt(1)
	global_store_dword v[86:87], v89, off
.LBB116_329:
	s_or_b64 exec, exec, s[20:21]
	v_mov_b32_e32 v89, v85
	v_mov_b32_e32 v77, v85
	buffer_store_dword v77, off, s[24:27], 0 offset:432 ; 4-byte Folded Spill
.LBB116_330:
	s_or_b64 exec, exec, s[18:19]
.LBB116_331:
	s_andn2_saveexec_b64 s[0:1], s[0:1]
	s_cbranch_execz .LBB116_333
; %bb.332:
	buffer_load_dword v77, off, s[24:27], 0 offset:288 ; 4-byte Folded Reload
	buffer_load_dword v78, off, s[24:27], 0 offset:292 ; 4-byte Folded Reload
	;; [unrolled: 1-line block ×4, first 2 shown]
	v_mov_b32_e32 v89, 15
	s_waitcnt vmcnt(0)
	ds_write2_b64 v0, v[77:78], v[79:80] offset0:32 offset1:33
	buffer_load_dword v77, off, s[24:27], 0 offset:272 ; 4-byte Folded Reload
	buffer_load_dword v78, off, s[24:27], 0 offset:276 ; 4-byte Folded Reload
	buffer_load_dword v79, off, s[24:27], 0 offset:280 ; 4-byte Folded Reload
	buffer_load_dword v80, off, s[24:27], 0 offset:284 ; 4-byte Folded Reload
	s_waitcnt vmcnt(0)
	ds_write2_b64 v0, v[77:78], v[79:80] offset0:34 offset1:35
	buffer_load_dword v77, off, s[24:27], 0 offset:256 ; 4-byte Folded Reload
	buffer_load_dword v78, off, s[24:27], 0 offset:260 ; 4-byte Folded Reload
	buffer_load_dword v79, off, s[24:27], 0 offset:264 ; 4-byte Folded Reload
	buffer_load_dword v80, off, s[24:27], 0 offset:268 ; 4-byte Folded Reload
	;; [unrolled: 6-line block ×17, first 2 shown]
	s_waitcnt vmcnt(0)
	ds_write2_b64 v0, v[77:78], v[79:80] offset0:66 offset1:67
	ds_write2_b64 v0, v[81:82], v[83:84] offset0:68 offset1:69
	;; [unrolled: 1-line block ×5, first 2 shown]
	buffer_load_dword v77, off, s[24:27], 0 ; 4-byte Folded Reload
	buffer_load_dword v78, off, s[24:27], 0 offset:4 ; 4-byte Folded Reload
	buffer_load_dword v79, off, s[24:27], 0 offset:8 ; 4-byte Folded Reload
	;; [unrolled: 1-line block ×3, first 2 shown]
	s_waitcnt vmcnt(0)
	ds_write2_b64 v0, v[77:78], v[79:80] offset0:76 offset1:77
	ds_write2_b64 v0, v[73:74], v[75:76] offset0:78 offset1:79
	ds_write2_b64 v0, v[69:70], v[71:72] offset0:80 offset1:81
	ds_write2_b64 v0, v[65:66], v[67:68] offset0:82 offset1:83
	ds_write2_b64 v0, v[61:62], v[63:64] offset0:84 offset1:85
	ds_write2_b64 v0, v[57:58], v[59:60] offset0:86 offset1:87
	ds_write2_b64 v0, v[53:54], v[55:56] offset0:88 offset1:89
	ds_write2_b64 v0, v[49:50], v[51:52] offset0:90 offset1:91
	ds_write2_b64 v0, v[45:46], v[47:48] offset0:92 offset1:93
	ds_write2_b64 v0, v[41:42], v[43:44] offset0:94 offset1:95
	ds_write2_b64 v0, v[37:38], v[39:40] offset0:96 offset1:97
	ds_write2_b64 v0, v[33:34], v[35:36] offset0:98 offset1:99
	ds_write2_b64 v0, v[29:30], v[31:32] offset0:100 offset1:101
	ds_write2_b64 v0, v[25:26], v[27:28] offset0:102 offset1:103
	ds_write2_b64 v0, v[21:22], v[23:24] offset0:104 offset1:105
	ds_write2_b64 v0, v[17:18], v[19:20] offset0:106 offset1:107
	ds_write2_b64 v0, v[13:14], v[15:16] offset0:108 offset1:109
	ds_write2_b64 v0, v[9:10], v[11:12] offset0:110 offset1:111
	ds_write2_b64 v0, v[5:6], v[7:8] offset0:112 offset1:113
	ds_write2_b64 v0, v[1:2], v[3:4] offset0:114 offset1:115
	ds_write2_b64 v0, v[121:122], v[123:124] offset0:116 offset1:117
.LBB116_333:
	s_or_b64 exec, exec, s[0:1]
	v_cmp_lt_i32_e32 vcc, 15, v89
	s_waitcnt vmcnt(0) lgkmcnt(0)
	s_barrier
	s_and_saveexec_b64 s[0:1], vcc
	s_cbranch_execz .LBB116_335
; %bb.334:
	buffer_load_dword v93, off, s[24:27], 0 offset:304 ; 4-byte Folded Reload
	buffer_load_dword v94, off, s[24:27], 0 offset:308 ; 4-byte Folded Reload
	;; [unrolled: 1-line block ×4, first 2 shown]
	s_waitcnt vmcnt(0)
	v_mul_f64 v[85:86], v[119:120], v[95:96]
	v_fma_f64 v[125:126], v[117:118], v[93:94], -v[85:86]
	v_mul_f64 v[85:86], v[117:118], v[95:96]
	v_fma_f64 v[95:96], v[119:120], v[93:94], v[85:86]
	ds_read2_b64 v[85:88], v0 offset0:32 offset1:33
	buffer_load_dword v77, off, s[24:27], 0 offset:288 ; 4-byte Folded Reload
	buffer_load_dword v78, off, s[24:27], 0 offset:292 ; 4-byte Folded Reload
	buffer_load_dword v79, off, s[24:27], 0 offset:296 ; 4-byte Folded Reload
	buffer_load_dword v80, off, s[24:27], 0 offset:300 ; 4-byte Folded Reload
	s_waitcnt lgkmcnt(0)
	v_mul_f64 v[91:92], v[87:88], v[95:96]
	v_fma_f64 v[91:92], v[85:86], v[125:126], -v[91:92]
	v_mul_f64 v[85:86], v[85:86], v[95:96]
	v_fma_f64 v[85:86], v[87:88], v[125:126], v[85:86]
	s_waitcnt vmcnt(2)
	v_add_f64 v[77:78], v[77:78], -v[91:92]
	s_waitcnt vmcnt(0)
	v_add_f64 v[79:80], v[79:80], -v[85:86]
	buffer_store_dword v77, off, s[24:27], 0 offset:288 ; 4-byte Folded Spill
	s_nop 0
	buffer_store_dword v78, off, s[24:27], 0 offset:292 ; 4-byte Folded Spill
	buffer_store_dword v79, off, s[24:27], 0 offset:296 ; 4-byte Folded Spill
	buffer_store_dword v80, off, s[24:27], 0 offset:300 ; 4-byte Folded Spill
	ds_read2_b64 v[85:88], v0 offset0:34 offset1:35
	buffer_load_dword v77, off, s[24:27], 0 offset:272 ; 4-byte Folded Reload
	buffer_load_dword v78, off, s[24:27], 0 offset:276 ; 4-byte Folded Reload
	buffer_load_dword v79, off, s[24:27], 0 offset:280 ; 4-byte Folded Reload
	buffer_load_dword v80, off, s[24:27], 0 offset:284 ; 4-byte Folded Reload
	s_waitcnt lgkmcnt(0)
	v_mul_f64 v[91:92], v[87:88], v[95:96]
	v_fma_f64 v[91:92], v[85:86], v[125:126], -v[91:92]
	v_mul_f64 v[85:86], v[85:86], v[95:96]
	v_fma_f64 v[85:86], v[87:88], v[125:126], v[85:86]
	s_waitcnt vmcnt(2)
	v_add_f64 v[77:78], v[77:78], -v[91:92]
	s_waitcnt vmcnt(0)
	v_add_f64 v[79:80], v[79:80], -v[85:86]
	buffer_store_dword v77, off, s[24:27], 0 offset:272 ; 4-byte Folded Spill
	s_nop 0
	buffer_store_dword v78, off, s[24:27], 0 offset:276 ; 4-byte Folded Spill
	buffer_store_dword v79, off, s[24:27], 0 offset:280 ; 4-byte Folded Spill
	buffer_store_dword v80, off, s[24:27], 0 offset:284 ; 4-byte Folded Spill
	;; [unrolled: 19-line block ×18, first 2 shown]
	ds_read2_b64 v[85:88], v0 offset0:68 offset1:69
	s_waitcnt lgkmcnt(0)
	v_mul_f64 v[91:92], v[87:88], v[95:96]
	v_fma_f64 v[91:92], v[85:86], v[125:126], -v[91:92]
	v_mul_f64 v[85:86], v[85:86], v[95:96]
	v_add_f64 v[81:82], v[81:82], -v[91:92]
	v_fma_f64 v[85:86], v[87:88], v[125:126], v[85:86]
	v_add_f64 v[83:84], v[83:84], -v[85:86]
	ds_read2_b64 v[85:88], v0 offset0:70 offset1:71
	s_waitcnt lgkmcnt(0)
	v_mul_f64 v[91:92], v[87:88], v[95:96]
	v_fma_f64 v[91:92], v[85:86], v[125:126], -v[91:92]
	v_mul_f64 v[85:86], v[85:86], v[95:96]
	v_add_f64 v[113:114], v[113:114], -v[91:92]
	v_fma_f64 v[85:86], v[87:88], v[125:126], v[85:86]
	v_add_f64 v[115:116], v[115:116], -v[85:86]
	;; [unrolled: 8-line block ×4, first 2 shown]
	ds_read2_b64 v[85:88], v0 offset0:76 offset1:77
	buffer_load_dword v77, off, s[24:27], 0 ; 4-byte Folded Reload
	buffer_load_dword v78, off, s[24:27], 0 offset:4 ; 4-byte Folded Reload
	buffer_load_dword v79, off, s[24:27], 0 offset:8 ; 4-byte Folded Reload
	;; [unrolled: 1-line block ×3, first 2 shown]
	s_waitcnt lgkmcnt(0)
	v_mul_f64 v[91:92], v[87:88], v[95:96]
	v_fma_f64 v[91:92], v[85:86], v[125:126], -v[91:92]
	v_mul_f64 v[85:86], v[85:86], v[95:96]
	v_fma_f64 v[85:86], v[87:88], v[125:126], v[85:86]
	s_waitcnt vmcnt(2)
	v_add_f64 v[77:78], v[77:78], -v[91:92]
	s_waitcnt vmcnt(0)
	v_add_f64 v[79:80], v[79:80], -v[85:86]
	buffer_store_dword v77, off, s[24:27], 0 ; 4-byte Folded Spill
	s_nop 0
	buffer_store_dword v78, off, s[24:27], 0 offset:4 ; 4-byte Folded Spill
	buffer_store_dword v79, off, s[24:27], 0 offset:8 ; 4-byte Folded Spill
	;; [unrolled: 1-line block ×3, first 2 shown]
	ds_read2_b64 v[85:88], v0 offset0:78 offset1:79
	s_waitcnt lgkmcnt(0)
	v_mul_f64 v[91:92], v[87:88], v[95:96]
	v_fma_f64 v[91:92], v[85:86], v[125:126], -v[91:92]
	v_mul_f64 v[85:86], v[85:86], v[95:96]
	v_add_f64 v[73:74], v[73:74], -v[91:92]
	v_fma_f64 v[85:86], v[87:88], v[125:126], v[85:86]
	v_add_f64 v[75:76], v[75:76], -v[85:86]
	ds_read2_b64 v[85:88], v0 offset0:80 offset1:81
	s_waitcnt lgkmcnt(0)
	v_mul_f64 v[91:92], v[87:88], v[95:96]
	v_fma_f64 v[91:92], v[85:86], v[125:126], -v[91:92]
	v_mul_f64 v[85:86], v[85:86], v[95:96]
	v_add_f64 v[69:70], v[69:70], -v[91:92]
	v_fma_f64 v[85:86], v[87:88], v[125:126], v[85:86]
	v_add_f64 v[71:72], v[71:72], -v[85:86]
	;; [unrolled: 8-line block ×18, first 2 shown]
	ds_read2_b64 v[85:88], v0 offset0:114 offset1:115
	s_waitcnt lgkmcnt(0)
	v_mul_f64 v[91:92], v[87:88], v[95:96]
	v_fma_f64 v[91:92], v[85:86], v[125:126], -v[91:92]
	v_mul_f64 v[85:86], v[85:86], v[95:96]
	v_add_f64 v[1:2], v[1:2], -v[91:92]
	v_fma_f64 v[85:86], v[87:88], v[125:126], v[85:86]
	ds_read2_b64 v[91:94], v0 offset0:116 offset1:117
	s_waitcnt lgkmcnt(0)
	v_mul_f64 v[87:88], v[91:92], v[95:96]
	v_add_f64 v[3:4], v[3:4], -v[85:86]
	v_mul_f64 v[85:86], v[93:94], v[95:96]
	v_fma_f64 v[87:88], v[93:94], v[125:126], v[87:88]
	v_mov_b32_e32 v93, v125
	v_mov_b32_e32 v94, v126
	v_fma_f64 v[85:86], v[91:92], v[125:126], -v[85:86]
	buffer_store_dword v93, off, s[24:27], 0 offset:304 ; 4-byte Folded Spill
	s_nop 0
	buffer_store_dword v94, off, s[24:27], 0 offset:308 ; 4-byte Folded Spill
	buffer_store_dword v95, off, s[24:27], 0 offset:312 ; 4-byte Folded Spill
	;; [unrolled: 1-line block ×3, first 2 shown]
	v_add_f64 v[123:124], v[123:124], -v[87:88]
	v_add_f64 v[121:122], v[121:122], -v[85:86]
.LBB116_335:
	s_or_b64 exec, exec, s[0:1]
	s_waitcnt vmcnt(0)
	s_barrier
	buffer_load_dword v77, off, s[24:27], 0 offset:288 ; 4-byte Folded Reload
	buffer_load_dword v78, off, s[24:27], 0 offset:292 ; 4-byte Folded Reload
	;; [unrolled: 1-line block ×4, first 2 shown]
	v_lshl_add_u32 v85, v89, 4, v0
	s_cmp_lt_i32 s3, 18
	s_waitcnt vmcnt(0)
	ds_write2_b64 v85, v[77:78], v[79:80] offset1:1
	s_waitcnt lgkmcnt(0)
	s_barrier
	ds_read2_b64 v[117:120], v0 offset0:32 offset1:33
	v_mov_b32_e32 v85, 16
	s_cbranch_scc1 .LBB116_338
; %bb.336:
	v_add_u32_e32 v86, 0x110, v0
	s_mov_b32 s0, 17
	v_mov_b32_e32 v85, 16
.LBB116_337:                            ; =>This Inner Loop Header: Depth=1
	s_waitcnt lgkmcnt(0)
	v_cmp_gt_f64_e32 vcc, 0, v[117:118]
	v_xor_b32_e32 v87, 0x80000000, v118
	ds_read2_b64 v[91:94], v86 offset1:1
	v_xor_b32_e32 v95, 0x80000000, v120
	v_add_u32_e32 v86, 16, v86
	s_waitcnt lgkmcnt(0)
	v_xor_b32_e32 v97, 0x80000000, v94
	v_cndmask_b32_e32 v88, v118, v87, vcc
	v_cmp_gt_f64_e32 vcc, 0, v[119:120]
	v_mov_b32_e32 v87, v117
	v_cndmask_b32_e32 v96, v120, v95, vcc
	v_cmp_gt_f64_e32 vcc, 0, v[91:92]
	v_mov_b32_e32 v95, v119
	v_add_f64 v[87:88], v[87:88], v[95:96]
	v_xor_b32_e32 v95, 0x80000000, v92
	v_cndmask_b32_e32 v96, v92, v95, vcc
	v_cmp_gt_f64_e32 vcc, 0, v[93:94]
	v_mov_b32_e32 v95, v91
	v_cndmask_b32_e32 v98, v94, v97, vcc
	v_mov_b32_e32 v97, v93
	v_add_f64 v[95:96], v[95:96], v[97:98]
	v_cmp_lt_f64_e32 vcc, v[87:88], v[95:96]
	v_mov_b32_e32 v87, s0
	s_add_i32 s0, s0, 1
	s_cmp_lg_u32 s3, s0
	v_cndmask_b32_e32 v118, v118, v92, vcc
	v_cndmask_b32_e32 v117, v117, v91, vcc
	;; [unrolled: 1-line block ×5, first 2 shown]
	s_cbranch_scc1 .LBB116_337
.LBB116_338:
	s_waitcnt lgkmcnt(0)
	v_cmp_eq_f64_e32 vcc, 0, v[117:118]
	v_cmp_eq_f64_e64 s[0:1], 0, v[119:120]
	s_and_b64 s[0:1], vcc, s[0:1]
	s_and_saveexec_b64 s[18:19], s[0:1]
	s_xor_b64 s[0:1], exec, s[18:19]
; %bb.339:
	v_cmp_ne_u32_e32 vcc, 0, v90
	v_cndmask_b32_e32 v90, 17, v90, vcc
; %bb.340:
	s_andn2_saveexec_b64 s[0:1], s[0:1]
	s_cbranch_execz .LBB116_346
; %bb.341:
	v_cmp_ngt_f64_e64 s[18:19], |v[117:118]|, |v[119:120]|
	s_and_saveexec_b64 s[20:21], s[18:19]
	s_xor_b64 s[18:19], exec, s[20:21]
	s_cbranch_execz .LBB116_343
; %bb.342:
	v_div_scale_f64 v[86:87], s[20:21], v[119:120], v[119:120], v[117:118]
	v_rcp_f64_e32 v[91:92], v[86:87]
	v_fma_f64 v[93:94], -v[86:87], v[91:92], 1.0
	v_fma_f64 v[91:92], v[91:92], v[93:94], v[91:92]
	v_div_scale_f64 v[93:94], vcc, v[117:118], v[119:120], v[117:118]
	v_fma_f64 v[95:96], -v[86:87], v[91:92], 1.0
	v_fma_f64 v[91:92], v[91:92], v[95:96], v[91:92]
	v_mul_f64 v[95:96], v[93:94], v[91:92]
	v_fma_f64 v[86:87], -v[86:87], v[95:96], v[93:94]
	v_div_fmas_f64 v[86:87], v[86:87], v[91:92], v[95:96]
	v_div_fixup_f64 v[86:87], v[86:87], v[119:120], v[117:118]
	v_fma_f64 v[91:92], v[117:118], v[86:87], v[119:120]
	v_div_scale_f64 v[93:94], s[20:21], v[91:92], v[91:92], 1.0
	v_div_scale_f64 v[99:100], vcc, 1.0, v[91:92], 1.0
	v_rcp_f64_e32 v[95:96], v[93:94]
	v_fma_f64 v[97:98], -v[93:94], v[95:96], 1.0
	v_fma_f64 v[95:96], v[95:96], v[97:98], v[95:96]
	v_fma_f64 v[97:98], -v[93:94], v[95:96], 1.0
	v_fma_f64 v[95:96], v[95:96], v[97:98], v[95:96]
	v_mul_f64 v[97:98], v[99:100], v[95:96]
	v_fma_f64 v[93:94], -v[93:94], v[97:98], v[99:100]
	v_div_fmas_f64 v[93:94], v[93:94], v[95:96], v[97:98]
	v_div_fixup_f64 v[119:120], v[93:94], v[91:92], 1.0
	v_mul_f64 v[117:118], v[86:87], v[119:120]
	v_xor_b32_e32 v120, 0x80000000, v120
.LBB116_343:
	s_andn2_saveexec_b64 s[18:19], s[18:19]
	s_cbranch_execz .LBB116_345
; %bb.344:
	v_div_scale_f64 v[86:87], s[20:21], v[117:118], v[117:118], v[119:120]
	v_rcp_f64_e32 v[91:92], v[86:87]
	v_fma_f64 v[93:94], -v[86:87], v[91:92], 1.0
	v_fma_f64 v[91:92], v[91:92], v[93:94], v[91:92]
	v_div_scale_f64 v[93:94], vcc, v[119:120], v[117:118], v[119:120]
	v_fma_f64 v[95:96], -v[86:87], v[91:92], 1.0
	v_fma_f64 v[91:92], v[91:92], v[95:96], v[91:92]
	v_mul_f64 v[95:96], v[93:94], v[91:92]
	v_fma_f64 v[86:87], -v[86:87], v[95:96], v[93:94]
	v_div_fmas_f64 v[86:87], v[86:87], v[91:92], v[95:96]
	v_div_fixup_f64 v[86:87], v[86:87], v[117:118], v[119:120]
	v_fma_f64 v[91:92], v[119:120], v[86:87], v[117:118]
	v_div_scale_f64 v[93:94], s[20:21], v[91:92], v[91:92], 1.0
	v_div_scale_f64 v[99:100], vcc, 1.0, v[91:92], 1.0
	v_rcp_f64_e32 v[95:96], v[93:94]
	v_fma_f64 v[97:98], -v[93:94], v[95:96], 1.0
	v_fma_f64 v[95:96], v[95:96], v[97:98], v[95:96]
	v_fma_f64 v[97:98], -v[93:94], v[95:96], 1.0
	v_fma_f64 v[95:96], v[95:96], v[97:98], v[95:96]
	v_mul_f64 v[97:98], v[99:100], v[95:96]
	v_fma_f64 v[93:94], -v[93:94], v[97:98], v[99:100]
	v_div_fmas_f64 v[93:94], v[93:94], v[95:96], v[97:98]
	v_div_fixup_f64 v[117:118], v[93:94], v[91:92], 1.0
	v_mul_f64 v[119:120], v[86:87], -v[117:118]
.LBB116_345:
	s_or_b64 exec, exec, s[18:19]
.LBB116_346:
	s_or_b64 exec, exec, s[0:1]
	v_cmp_ne_u32_e32 vcc, v89, v85
	s_and_saveexec_b64 s[0:1], vcc
	s_xor_b64 s[0:1], exec, s[0:1]
	s_cbranch_execz .LBB116_352
; %bb.347:
	v_cmp_eq_u32_e32 vcc, 16, v89
	s_and_saveexec_b64 s[18:19], vcc
	s_cbranch_execz .LBB116_351
; %bb.348:
	v_cmp_ne_u32_e32 vcc, 16, v85
	s_xor_b64 s[20:21], s[6:7], -1
	s_and_b64 s[22:23], s[20:21], vcc
	s_and_saveexec_b64 s[20:21], s[22:23]
	s_cbranch_execz .LBB116_350
; %bb.349:
	v_mov_b32_e32 v77, v81
	v_mov_b32_e32 v78, v82
	;; [unrolled: 1-line block ×4, first 2 shown]
	buffer_load_dword v81, off, s[24:27], 0 offset:500 ; 4-byte Folded Reload
	buffer_load_dword v82, off, s[24:27], 0 offset:504 ; 4-byte Folded Reload
	v_ashrrev_i32_e32 v86, 31, v85
	v_lshlrev_b64 v[86:87], 2, v[85:86]
	s_waitcnt vmcnt(1)
	v_add_co_u32_e32 v86, vcc, v81, v86
	s_waitcnt vmcnt(0)
	v_addc_co_u32_e32 v87, vcc, v82, v87, vcc
	global_load_dword v88, v[86:87], off
	global_load_dword v89, v[81:82], off offset:64
	s_waitcnt vmcnt(1)
	global_store_dword v[81:82], v88, off offset:64
	v_mov_b32_e32 v84, v80
	v_mov_b32_e32 v83, v79
	;; [unrolled: 1-line block ×4, first 2 shown]
	s_waitcnt vmcnt(1)
	global_store_dword v[86:87], v89, off
.LBB116_350:
	s_or_b64 exec, exec, s[20:21]
	v_mov_b32_e32 v89, v85
	v_mov_b32_e32 v77, v85
	buffer_store_dword v77, off, s[24:27], 0 offset:432 ; 4-byte Folded Spill
.LBB116_351:
	s_or_b64 exec, exec, s[18:19]
.LBB116_352:
	s_andn2_saveexec_b64 s[0:1], s[0:1]
	s_cbranch_execz .LBB116_354
; %bb.353:
	buffer_load_dword v77, off, s[24:27], 0 offset:272 ; 4-byte Folded Reload
	buffer_load_dword v78, off, s[24:27], 0 offset:276 ; 4-byte Folded Reload
	;; [unrolled: 1-line block ×4, first 2 shown]
	v_mov_b32_e32 v89, 16
	s_waitcnt vmcnt(0)
	ds_write2_b64 v0, v[77:78], v[79:80] offset0:34 offset1:35
	buffer_load_dword v77, off, s[24:27], 0 offset:256 ; 4-byte Folded Reload
	buffer_load_dword v78, off, s[24:27], 0 offset:260 ; 4-byte Folded Reload
	buffer_load_dword v79, off, s[24:27], 0 offset:264 ; 4-byte Folded Reload
	buffer_load_dword v80, off, s[24:27], 0 offset:268 ; 4-byte Folded Reload
	s_waitcnt vmcnt(0)
	ds_write2_b64 v0, v[77:78], v[79:80] offset0:36 offset1:37
	buffer_load_dword v77, off, s[24:27], 0 offset:240 ; 4-byte Folded Reload
	buffer_load_dword v78, off, s[24:27], 0 offset:244 ; 4-byte Folded Reload
	buffer_load_dword v79, off, s[24:27], 0 offset:248 ; 4-byte Folded Reload
	buffer_load_dword v80, off, s[24:27], 0 offset:252 ; 4-byte Folded Reload
	;; [unrolled: 6-line block ×16, first 2 shown]
	s_waitcnt vmcnt(0)
	ds_write2_b64 v0, v[77:78], v[79:80] offset0:66 offset1:67
	ds_write2_b64 v0, v[81:82], v[83:84] offset0:68 offset1:69
	;; [unrolled: 1-line block ×5, first 2 shown]
	buffer_load_dword v77, off, s[24:27], 0 ; 4-byte Folded Reload
	buffer_load_dword v78, off, s[24:27], 0 offset:4 ; 4-byte Folded Reload
	buffer_load_dword v79, off, s[24:27], 0 offset:8 ; 4-byte Folded Reload
	;; [unrolled: 1-line block ×3, first 2 shown]
	s_waitcnt vmcnt(0)
	ds_write2_b64 v0, v[77:78], v[79:80] offset0:76 offset1:77
	ds_write2_b64 v0, v[73:74], v[75:76] offset0:78 offset1:79
	;; [unrolled: 1-line block ×21, first 2 shown]
.LBB116_354:
	s_or_b64 exec, exec, s[0:1]
	v_cmp_lt_i32_e32 vcc, 16, v89
	s_waitcnt vmcnt(0) lgkmcnt(0)
	s_barrier
	s_and_saveexec_b64 s[0:1], vcc
	s_cbranch_execz .LBB116_356
; %bb.355:
	buffer_load_dword v91, off, s[24:27], 0 offset:288 ; 4-byte Folded Reload
	buffer_load_dword v92, off, s[24:27], 0 offset:292 ; 4-byte Folded Reload
	buffer_load_dword v93, off, s[24:27], 0 offset:296 ; 4-byte Folded Reload
	buffer_load_dword v94, off, s[24:27], 0 offset:300 ; 4-byte Folded Reload
	s_waitcnt vmcnt(0)
	v_mul_f64 v[85:86], v[119:120], v[93:94]
	v_fma_f64 v[125:126], v[117:118], v[91:92], -v[85:86]
	v_mul_f64 v[85:86], v[117:118], v[93:94]
	v_fma_f64 v[93:94], v[119:120], v[91:92], v[85:86]
	ds_read2_b64 v[85:88], v0 offset0:34 offset1:35
	buffer_load_dword v77, off, s[24:27], 0 offset:272 ; 4-byte Folded Reload
	buffer_load_dword v78, off, s[24:27], 0 offset:276 ; 4-byte Folded Reload
	buffer_load_dword v79, off, s[24:27], 0 offset:280 ; 4-byte Folded Reload
	buffer_load_dword v80, off, s[24:27], 0 offset:284 ; 4-byte Folded Reload
	s_waitcnt lgkmcnt(0)
	v_mul_f64 v[91:92], v[87:88], v[93:94]
	v_fma_f64 v[91:92], v[85:86], v[125:126], -v[91:92]
	v_mul_f64 v[85:86], v[85:86], v[93:94]
	v_fma_f64 v[85:86], v[87:88], v[125:126], v[85:86]
	s_waitcnt vmcnt(2)
	v_add_f64 v[77:78], v[77:78], -v[91:92]
	s_waitcnt vmcnt(0)
	v_add_f64 v[79:80], v[79:80], -v[85:86]
	buffer_store_dword v77, off, s[24:27], 0 offset:272 ; 4-byte Folded Spill
	s_nop 0
	buffer_store_dword v78, off, s[24:27], 0 offset:276 ; 4-byte Folded Spill
	buffer_store_dword v79, off, s[24:27], 0 offset:280 ; 4-byte Folded Spill
	buffer_store_dword v80, off, s[24:27], 0 offset:284 ; 4-byte Folded Spill
	ds_read2_b64 v[85:88], v0 offset0:36 offset1:37
	buffer_load_dword v77, off, s[24:27], 0 offset:256 ; 4-byte Folded Reload
	buffer_load_dword v78, off, s[24:27], 0 offset:260 ; 4-byte Folded Reload
	buffer_load_dword v79, off, s[24:27], 0 offset:264 ; 4-byte Folded Reload
	buffer_load_dword v80, off, s[24:27], 0 offset:268 ; 4-byte Folded Reload
	s_waitcnt lgkmcnt(0)
	v_mul_f64 v[91:92], v[87:88], v[93:94]
	v_fma_f64 v[91:92], v[85:86], v[125:126], -v[91:92]
	v_mul_f64 v[85:86], v[85:86], v[93:94]
	v_fma_f64 v[85:86], v[87:88], v[125:126], v[85:86]
	s_waitcnt vmcnt(2)
	v_add_f64 v[77:78], v[77:78], -v[91:92]
	s_waitcnt vmcnt(0)
	v_add_f64 v[79:80], v[79:80], -v[85:86]
	buffer_store_dword v77, off, s[24:27], 0 offset:256 ; 4-byte Folded Spill
	s_nop 0
	buffer_store_dword v78, off, s[24:27], 0 offset:260 ; 4-byte Folded Spill
	buffer_store_dword v79, off, s[24:27], 0 offset:264 ; 4-byte Folded Spill
	buffer_store_dword v80, off, s[24:27], 0 offset:268 ; 4-byte Folded Spill
	;; [unrolled: 19-line block ×17, first 2 shown]
	ds_read2_b64 v[85:88], v0 offset0:68 offset1:69
	s_waitcnt lgkmcnt(0)
	v_mul_f64 v[91:92], v[87:88], v[93:94]
	v_fma_f64 v[91:92], v[85:86], v[125:126], -v[91:92]
	v_mul_f64 v[85:86], v[85:86], v[93:94]
	v_add_f64 v[81:82], v[81:82], -v[91:92]
	v_fma_f64 v[85:86], v[87:88], v[125:126], v[85:86]
	v_add_f64 v[83:84], v[83:84], -v[85:86]
	ds_read2_b64 v[85:88], v0 offset0:70 offset1:71
	s_waitcnt lgkmcnt(0)
	v_mul_f64 v[91:92], v[87:88], v[93:94]
	v_fma_f64 v[91:92], v[85:86], v[125:126], -v[91:92]
	v_mul_f64 v[85:86], v[85:86], v[93:94]
	v_add_f64 v[113:114], v[113:114], -v[91:92]
	v_fma_f64 v[85:86], v[87:88], v[125:126], v[85:86]
	v_add_f64 v[115:116], v[115:116], -v[85:86]
	;; [unrolled: 8-line block ×4, first 2 shown]
	ds_read2_b64 v[85:88], v0 offset0:76 offset1:77
	buffer_load_dword v77, off, s[24:27], 0 ; 4-byte Folded Reload
	buffer_load_dword v78, off, s[24:27], 0 offset:4 ; 4-byte Folded Reload
	buffer_load_dword v79, off, s[24:27], 0 offset:8 ; 4-byte Folded Reload
	;; [unrolled: 1-line block ×3, first 2 shown]
	s_waitcnt lgkmcnt(0)
	v_mul_f64 v[91:92], v[87:88], v[93:94]
	v_fma_f64 v[91:92], v[85:86], v[125:126], -v[91:92]
	v_mul_f64 v[85:86], v[85:86], v[93:94]
	v_fma_f64 v[85:86], v[87:88], v[125:126], v[85:86]
	s_waitcnt vmcnt(2)
	v_add_f64 v[77:78], v[77:78], -v[91:92]
	s_waitcnt vmcnt(0)
	v_add_f64 v[79:80], v[79:80], -v[85:86]
	buffer_store_dword v77, off, s[24:27], 0 ; 4-byte Folded Spill
	s_nop 0
	buffer_store_dword v78, off, s[24:27], 0 offset:4 ; 4-byte Folded Spill
	buffer_store_dword v79, off, s[24:27], 0 offset:8 ; 4-byte Folded Spill
	;; [unrolled: 1-line block ×3, first 2 shown]
	ds_read2_b64 v[85:88], v0 offset0:78 offset1:79
	s_waitcnt lgkmcnt(0)
	v_mul_f64 v[91:92], v[87:88], v[93:94]
	v_fma_f64 v[91:92], v[85:86], v[125:126], -v[91:92]
	v_mul_f64 v[85:86], v[85:86], v[93:94]
	v_add_f64 v[73:74], v[73:74], -v[91:92]
	v_fma_f64 v[85:86], v[87:88], v[125:126], v[85:86]
	v_add_f64 v[75:76], v[75:76], -v[85:86]
	ds_read2_b64 v[85:88], v0 offset0:80 offset1:81
	s_waitcnt lgkmcnt(0)
	v_mul_f64 v[91:92], v[87:88], v[93:94]
	v_fma_f64 v[91:92], v[85:86], v[125:126], -v[91:92]
	v_mul_f64 v[85:86], v[85:86], v[93:94]
	v_add_f64 v[69:70], v[69:70], -v[91:92]
	v_fma_f64 v[85:86], v[87:88], v[125:126], v[85:86]
	v_add_f64 v[71:72], v[71:72], -v[85:86]
	;; [unrolled: 8-line block ×19, first 2 shown]
	ds_read2_b64 v[85:88], v0 offset0:116 offset1:117
	s_waitcnt lgkmcnt(0)
	v_mul_f64 v[91:92], v[87:88], v[93:94]
	v_fma_f64 v[91:92], v[85:86], v[125:126], -v[91:92]
	v_mul_f64 v[85:86], v[85:86], v[93:94]
	v_add_f64 v[121:122], v[121:122], -v[91:92]
	v_fma_f64 v[85:86], v[87:88], v[125:126], v[85:86]
	v_mov_b32_e32 v91, v125
	v_mov_b32_e32 v92, v126
	buffer_store_dword v91, off, s[24:27], 0 offset:288 ; 4-byte Folded Spill
	s_nop 0
	buffer_store_dword v92, off, s[24:27], 0 offset:292 ; 4-byte Folded Spill
	buffer_store_dword v93, off, s[24:27], 0 offset:296 ; 4-byte Folded Spill
	;; [unrolled: 1-line block ×3, first 2 shown]
	v_add_f64 v[123:124], v[123:124], -v[85:86]
.LBB116_356:
	s_or_b64 exec, exec, s[0:1]
	s_waitcnt vmcnt(0)
	s_barrier
	buffer_load_dword v77, off, s[24:27], 0 offset:272 ; 4-byte Folded Reload
	buffer_load_dword v78, off, s[24:27], 0 offset:276 ; 4-byte Folded Reload
	;; [unrolled: 1-line block ×4, first 2 shown]
	v_lshl_add_u32 v85, v89, 4, v0
	s_cmp_lt_i32 s3, 19
	s_waitcnt vmcnt(0)
	ds_write2_b64 v85, v[77:78], v[79:80] offset1:1
	s_waitcnt lgkmcnt(0)
	s_barrier
	ds_read2_b64 v[117:120], v0 offset0:34 offset1:35
	v_mov_b32_e32 v85, 17
	s_cbranch_scc1 .LBB116_359
; %bb.357:
	v_add_u32_e32 v86, 0x120, v0
	s_mov_b32 s0, 18
	v_mov_b32_e32 v85, 17
.LBB116_358:                            ; =>This Inner Loop Header: Depth=1
	s_waitcnt lgkmcnt(0)
	v_cmp_gt_f64_e32 vcc, 0, v[117:118]
	v_xor_b32_e32 v87, 0x80000000, v118
	ds_read2_b64 v[91:94], v86 offset1:1
	v_xor_b32_e32 v95, 0x80000000, v120
	v_add_u32_e32 v86, 16, v86
	s_waitcnt lgkmcnt(0)
	v_xor_b32_e32 v97, 0x80000000, v94
	v_cndmask_b32_e32 v88, v118, v87, vcc
	v_cmp_gt_f64_e32 vcc, 0, v[119:120]
	v_mov_b32_e32 v87, v117
	v_cndmask_b32_e32 v96, v120, v95, vcc
	v_cmp_gt_f64_e32 vcc, 0, v[91:92]
	v_mov_b32_e32 v95, v119
	v_add_f64 v[87:88], v[87:88], v[95:96]
	v_xor_b32_e32 v95, 0x80000000, v92
	v_cndmask_b32_e32 v96, v92, v95, vcc
	v_cmp_gt_f64_e32 vcc, 0, v[93:94]
	v_mov_b32_e32 v95, v91
	v_cndmask_b32_e32 v98, v94, v97, vcc
	v_mov_b32_e32 v97, v93
	v_add_f64 v[95:96], v[95:96], v[97:98]
	v_cmp_lt_f64_e32 vcc, v[87:88], v[95:96]
	v_mov_b32_e32 v87, s0
	s_add_i32 s0, s0, 1
	s_cmp_lg_u32 s3, s0
	v_cndmask_b32_e32 v118, v118, v92, vcc
	v_cndmask_b32_e32 v117, v117, v91, vcc
	;; [unrolled: 1-line block ×5, first 2 shown]
	s_cbranch_scc1 .LBB116_358
.LBB116_359:
	s_waitcnt lgkmcnt(0)
	v_cmp_eq_f64_e32 vcc, 0, v[117:118]
	v_cmp_eq_f64_e64 s[0:1], 0, v[119:120]
	s_and_b64 s[0:1], vcc, s[0:1]
	s_and_saveexec_b64 s[18:19], s[0:1]
	s_xor_b64 s[0:1], exec, s[18:19]
; %bb.360:
	v_cmp_ne_u32_e32 vcc, 0, v90
	v_cndmask_b32_e32 v90, 18, v90, vcc
; %bb.361:
	s_andn2_saveexec_b64 s[0:1], s[0:1]
	s_cbranch_execz .LBB116_367
; %bb.362:
	v_cmp_ngt_f64_e64 s[18:19], |v[117:118]|, |v[119:120]|
	s_and_saveexec_b64 s[20:21], s[18:19]
	s_xor_b64 s[18:19], exec, s[20:21]
	s_cbranch_execz .LBB116_364
; %bb.363:
	v_div_scale_f64 v[86:87], s[20:21], v[119:120], v[119:120], v[117:118]
	v_rcp_f64_e32 v[91:92], v[86:87]
	v_fma_f64 v[93:94], -v[86:87], v[91:92], 1.0
	v_fma_f64 v[91:92], v[91:92], v[93:94], v[91:92]
	v_div_scale_f64 v[93:94], vcc, v[117:118], v[119:120], v[117:118]
	v_fma_f64 v[95:96], -v[86:87], v[91:92], 1.0
	v_fma_f64 v[91:92], v[91:92], v[95:96], v[91:92]
	v_mul_f64 v[95:96], v[93:94], v[91:92]
	v_fma_f64 v[86:87], -v[86:87], v[95:96], v[93:94]
	v_div_fmas_f64 v[86:87], v[86:87], v[91:92], v[95:96]
	v_div_fixup_f64 v[86:87], v[86:87], v[119:120], v[117:118]
	v_fma_f64 v[91:92], v[117:118], v[86:87], v[119:120]
	v_div_scale_f64 v[93:94], s[20:21], v[91:92], v[91:92], 1.0
	v_div_scale_f64 v[99:100], vcc, 1.0, v[91:92], 1.0
	v_rcp_f64_e32 v[95:96], v[93:94]
	v_fma_f64 v[97:98], -v[93:94], v[95:96], 1.0
	v_fma_f64 v[95:96], v[95:96], v[97:98], v[95:96]
	v_fma_f64 v[97:98], -v[93:94], v[95:96], 1.0
	v_fma_f64 v[95:96], v[95:96], v[97:98], v[95:96]
	v_mul_f64 v[97:98], v[99:100], v[95:96]
	v_fma_f64 v[93:94], -v[93:94], v[97:98], v[99:100]
	v_div_fmas_f64 v[93:94], v[93:94], v[95:96], v[97:98]
	v_div_fixup_f64 v[119:120], v[93:94], v[91:92], 1.0
	v_mul_f64 v[117:118], v[86:87], v[119:120]
	v_xor_b32_e32 v120, 0x80000000, v120
.LBB116_364:
	s_andn2_saveexec_b64 s[18:19], s[18:19]
	s_cbranch_execz .LBB116_366
; %bb.365:
	v_div_scale_f64 v[86:87], s[20:21], v[117:118], v[117:118], v[119:120]
	v_rcp_f64_e32 v[91:92], v[86:87]
	v_fma_f64 v[93:94], -v[86:87], v[91:92], 1.0
	v_fma_f64 v[91:92], v[91:92], v[93:94], v[91:92]
	v_div_scale_f64 v[93:94], vcc, v[119:120], v[117:118], v[119:120]
	v_fma_f64 v[95:96], -v[86:87], v[91:92], 1.0
	v_fma_f64 v[91:92], v[91:92], v[95:96], v[91:92]
	v_mul_f64 v[95:96], v[93:94], v[91:92]
	v_fma_f64 v[86:87], -v[86:87], v[95:96], v[93:94]
	v_div_fmas_f64 v[86:87], v[86:87], v[91:92], v[95:96]
	v_div_fixup_f64 v[86:87], v[86:87], v[117:118], v[119:120]
	v_fma_f64 v[91:92], v[119:120], v[86:87], v[117:118]
	v_div_scale_f64 v[93:94], s[20:21], v[91:92], v[91:92], 1.0
	v_div_scale_f64 v[99:100], vcc, 1.0, v[91:92], 1.0
	v_rcp_f64_e32 v[95:96], v[93:94]
	v_fma_f64 v[97:98], -v[93:94], v[95:96], 1.0
	v_fma_f64 v[95:96], v[95:96], v[97:98], v[95:96]
	v_fma_f64 v[97:98], -v[93:94], v[95:96], 1.0
	v_fma_f64 v[95:96], v[95:96], v[97:98], v[95:96]
	v_mul_f64 v[97:98], v[99:100], v[95:96]
	v_fma_f64 v[93:94], -v[93:94], v[97:98], v[99:100]
	v_div_fmas_f64 v[93:94], v[93:94], v[95:96], v[97:98]
	v_div_fixup_f64 v[117:118], v[93:94], v[91:92], 1.0
	v_mul_f64 v[119:120], v[86:87], -v[117:118]
.LBB116_366:
	s_or_b64 exec, exec, s[18:19]
.LBB116_367:
	s_or_b64 exec, exec, s[0:1]
	v_cmp_ne_u32_e32 vcc, v89, v85
	s_and_saveexec_b64 s[0:1], vcc
	s_xor_b64 s[0:1], exec, s[0:1]
	s_cbranch_execz .LBB116_373
; %bb.368:
	v_cmp_eq_u32_e32 vcc, 17, v89
	s_and_saveexec_b64 s[18:19], vcc
	s_cbranch_execz .LBB116_372
; %bb.369:
	v_cmp_ne_u32_e32 vcc, 17, v85
	s_xor_b64 s[20:21], s[6:7], -1
	s_and_b64 s[22:23], s[20:21], vcc
	s_and_saveexec_b64 s[20:21], s[22:23]
	s_cbranch_execz .LBB116_371
; %bb.370:
	v_mov_b32_e32 v77, v81
	v_mov_b32_e32 v78, v82
	;; [unrolled: 1-line block ×4, first 2 shown]
	buffer_load_dword v81, off, s[24:27], 0 offset:500 ; 4-byte Folded Reload
	buffer_load_dword v82, off, s[24:27], 0 offset:504 ; 4-byte Folded Reload
	v_ashrrev_i32_e32 v86, 31, v85
	v_lshlrev_b64 v[86:87], 2, v[85:86]
	s_waitcnt vmcnt(1)
	v_add_co_u32_e32 v86, vcc, v81, v86
	s_waitcnt vmcnt(0)
	v_addc_co_u32_e32 v87, vcc, v82, v87, vcc
	global_load_dword v88, v[86:87], off
	global_load_dword v89, v[81:82], off offset:68
	s_waitcnt vmcnt(1)
	global_store_dword v[81:82], v88, off offset:68
	v_mov_b32_e32 v84, v80
	v_mov_b32_e32 v83, v79
	;; [unrolled: 1-line block ×4, first 2 shown]
	s_waitcnt vmcnt(1)
	global_store_dword v[86:87], v89, off
.LBB116_371:
	s_or_b64 exec, exec, s[20:21]
	v_mov_b32_e32 v89, v85
	v_mov_b32_e32 v77, v85
	buffer_store_dword v77, off, s[24:27], 0 offset:432 ; 4-byte Folded Spill
.LBB116_372:
	s_or_b64 exec, exec, s[18:19]
.LBB116_373:
	s_andn2_saveexec_b64 s[0:1], s[0:1]
	s_cbranch_execz .LBB116_375
; %bb.374:
	buffer_load_dword v77, off, s[24:27], 0 offset:256 ; 4-byte Folded Reload
	buffer_load_dword v78, off, s[24:27], 0 offset:260 ; 4-byte Folded Reload
	;; [unrolled: 1-line block ×4, first 2 shown]
	v_mov_b32_e32 v89, 17
	s_waitcnt vmcnt(0)
	ds_write2_b64 v0, v[77:78], v[79:80] offset0:36 offset1:37
	buffer_load_dword v77, off, s[24:27], 0 offset:240 ; 4-byte Folded Reload
	buffer_load_dword v78, off, s[24:27], 0 offset:244 ; 4-byte Folded Reload
	buffer_load_dword v79, off, s[24:27], 0 offset:248 ; 4-byte Folded Reload
	buffer_load_dword v80, off, s[24:27], 0 offset:252 ; 4-byte Folded Reload
	s_waitcnt vmcnt(0)
	ds_write2_b64 v0, v[77:78], v[79:80] offset0:38 offset1:39
	buffer_load_dword v77, off, s[24:27], 0 offset:224 ; 4-byte Folded Reload
	buffer_load_dword v78, off, s[24:27], 0 offset:228 ; 4-byte Folded Reload
	buffer_load_dword v79, off, s[24:27], 0 offset:232 ; 4-byte Folded Reload
	buffer_load_dword v80, off, s[24:27], 0 offset:236 ; 4-byte Folded Reload
	;; [unrolled: 6-line block ×15, first 2 shown]
	s_waitcnt vmcnt(0)
	ds_write2_b64 v0, v[77:78], v[79:80] offset0:66 offset1:67
	ds_write2_b64 v0, v[81:82], v[83:84] offset0:68 offset1:69
	;; [unrolled: 1-line block ×5, first 2 shown]
	buffer_load_dword v77, off, s[24:27], 0 ; 4-byte Folded Reload
	buffer_load_dword v78, off, s[24:27], 0 offset:4 ; 4-byte Folded Reload
	buffer_load_dword v79, off, s[24:27], 0 offset:8 ; 4-byte Folded Reload
	;; [unrolled: 1-line block ×3, first 2 shown]
	s_waitcnt vmcnt(0)
	ds_write2_b64 v0, v[77:78], v[79:80] offset0:76 offset1:77
	ds_write2_b64 v0, v[73:74], v[75:76] offset0:78 offset1:79
	;; [unrolled: 1-line block ×21, first 2 shown]
.LBB116_375:
	s_or_b64 exec, exec, s[0:1]
	v_cmp_lt_i32_e32 vcc, 17, v89
	s_waitcnt vmcnt(0) lgkmcnt(0)
	s_barrier
	s_and_saveexec_b64 s[0:1], vcc
	s_cbranch_execz .LBB116_377
; %bb.376:
	buffer_load_dword v91, off, s[24:27], 0 offset:272 ; 4-byte Folded Reload
	buffer_load_dword v92, off, s[24:27], 0 offset:276 ; 4-byte Folded Reload
	;; [unrolled: 1-line block ×4, first 2 shown]
	s_waitcnt vmcnt(0)
	v_mul_f64 v[85:86], v[119:120], v[93:94]
	v_fma_f64 v[125:126], v[117:118], v[91:92], -v[85:86]
	v_mul_f64 v[85:86], v[117:118], v[93:94]
	v_fma_f64 v[93:94], v[119:120], v[91:92], v[85:86]
	ds_read2_b64 v[85:88], v0 offset0:36 offset1:37
	buffer_load_dword v77, off, s[24:27], 0 offset:256 ; 4-byte Folded Reload
	buffer_load_dword v78, off, s[24:27], 0 offset:260 ; 4-byte Folded Reload
	buffer_load_dword v79, off, s[24:27], 0 offset:264 ; 4-byte Folded Reload
	buffer_load_dword v80, off, s[24:27], 0 offset:268 ; 4-byte Folded Reload
	s_waitcnt lgkmcnt(0)
	v_mul_f64 v[91:92], v[87:88], v[93:94]
	v_fma_f64 v[91:92], v[85:86], v[125:126], -v[91:92]
	v_mul_f64 v[85:86], v[85:86], v[93:94]
	v_fma_f64 v[85:86], v[87:88], v[125:126], v[85:86]
	s_waitcnt vmcnt(2)
	v_add_f64 v[77:78], v[77:78], -v[91:92]
	s_waitcnt vmcnt(0)
	v_add_f64 v[79:80], v[79:80], -v[85:86]
	buffer_store_dword v77, off, s[24:27], 0 offset:256 ; 4-byte Folded Spill
	s_nop 0
	buffer_store_dword v78, off, s[24:27], 0 offset:260 ; 4-byte Folded Spill
	buffer_store_dword v79, off, s[24:27], 0 offset:264 ; 4-byte Folded Spill
	buffer_store_dword v80, off, s[24:27], 0 offset:268 ; 4-byte Folded Spill
	ds_read2_b64 v[85:88], v0 offset0:38 offset1:39
	buffer_load_dword v77, off, s[24:27], 0 offset:240 ; 4-byte Folded Reload
	buffer_load_dword v78, off, s[24:27], 0 offset:244 ; 4-byte Folded Reload
	buffer_load_dword v79, off, s[24:27], 0 offset:248 ; 4-byte Folded Reload
	buffer_load_dword v80, off, s[24:27], 0 offset:252 ; 4-byte Folded Reload
	s_waitcnt lgkmcnt(0)
	v_mul_f64 v[91:92], v[87:88], v[93:94]
	v_fma_f64 v[91:92], v[85:86], v[125:126], -v[91:92]
	v_mul_f64 v[85:86], v[85:86], v[93:94]
	v_fma_f64 v[85:86], v[87:88], v[125:126], v[85:86]
	s_waitcnt vmcnt(2)
	v_add_f64 v[77:78], v[77:78], -v[91:92]
	s_waitcnt vmcnt(0)
	v_add_f64 v[79:80], v[79:80], -v[85:86]
	buffer_store_dword v77, off, s[24:27], 0 offset:240 ; 4-byte Folded Spill
	s_nop 0
	buffer_store_dword v78, off, s[24:27], 0 offset:244 ; 4-byte Folded Spill
	buffer_store_dword v79, off, s[24:27], 0 offset:248 ; 4-byte Folded Spill
	buffer_store_dword v80, off, s[24:27], 0 offset:252 ; 4-byte Folded Spill
	;; [unrolled: 19-line block ×16, first 2 shown]
	ds_read2_b64 v[85:88], v0 offset0:68 offset1:69
	s_waitcnt lgkmcnt(0)
	v_mul_f64 v[91:92], v[87:88], v[93:94]
	v_fma_f64 v[91:92], v[85:86], v[125:126], -v[91:92]
	v_mul_f64 v[85:86], v[85:86], v[93:94]
	v_add_f64 v[81:82], v[81:82], -v[91:92]
	v_fma_f64 v[85:86], v[87:88], v[125:126], v[85:86]
	v_add_f64 v[83:84], v[83:84], -v[85:86]
	ds_read2_b64 v[85:88], v0 offset0:70 offset1:71
	s_waitcnt lgkmcnt(0)
	v_mul_f64 v[91:92], v[87:88], v[93:94]
	v_fma_f64 v[91:92], v[85:86], v[125:126], -v[91:92]
	v_mul_f64 v[85:86], v[85:86], v[93:94]
	v_add_f64 v[113:114], v[113:114], -v[91:92]
	v_fma_f64 v[85:86], v[87:88], v[125:126], v[85:86]
	v_add_f64 v[115:116], v[115:116], -v[85:86]
	;; [unrolled: 8-line block ×4, first 2 shown]
	ds_read2_b64 v[85:88], v0 offset0:76 offset1:77
	buffer_load_dword v77, off, s[24:27], 0 ; 4-byte Folded Reload
	buffer_load_dword v78, off, s[24:27], 0 offset:4 ; 4-byte Folded Reload
	buffer_load_dword v79, off, s[24:27], 0 offset:8 ; 4-byte Folded Reload
	;; [unrolled: 1-line block ×3, first 2 shown]
	s_waitcnt lgkmcnt(0)
	v_mul_f64 v[91:92], v[87:88], v[93:94]
	v_fma_f64 v[91:92], v[85:86], v[125:126], -v[91:92]
	v_mul_f64 v[85:86], v[85:86], v[93:94]
	v_fma_f64 v[85:86], v[87:88], v[125:126], v[85:86]
	s_waitcnt vmcnt(2)
	v_add_f64 v[77:78], v[77:78], -v[91:92]
	s_waitcnt vmcnt(0)
	v_add_f64 v[79:80], v[79:80], -v[85:86]
	buffer_store_dword v77, off, s[24:27], 0 ; 4-byte Folded Spill
	s_nop 0
	buffer_store_dword v78, off, s[24:27], 0 offset:4 ; 4-byte Folded Spill
	buffer_store_dword v79, off, s[24:27], 0 offset:8 ; 4-byte Folded Spill
	;; [unrolled: 1-line block ×3, first 2 shown]
	ds_read2_b64 v[85:88], v0 offset0:78 offset1:79
	s_waitcnt lgkmcnt(0)
	v_mul_f64 v[91:92], v[87:88], v[93:94]
	v_fma_f64 v[91:92], v[85:86], v[125:126], -v[91:92]
	v_mul_f64 v[85:86], v[85:86], v[93:94]
	v_add_f64 v[73:74], v[73:74], -v[91:92]
	v_fma_f64 v[85:86], v[87:88], v[125:126], v[85:86]
	v_add_f64 v[75:76], v[75:76], -v[85:86]
	ds_read2_b64 v[85:88], v0 offset0:80 offset1:81
	s_waitcnt lgkmcnt(0)
	v_mul_f64 v[91:92], v[87:88], v[93:94]
	v_fma_f64 v[91:92], v[85:86], v[125:126], -v[91:92]
	v_mul_f64 v[85:86], v[85:86], v[93:94]
	v_add_f64 v[69:70], v[69:70], -v[91:92]
	v_fma_f64 v[85:86], v[87:88], v[125:126], v[85:86]
	v_add_f64 v[71:72], v[71:72], -v[85:86]
	ds_read2_b64 v[85:88], v0 offset0:82 offset1:83
	s_waitcnt lgkmcnt(0)
	v_mul_f64 v[91:92], v[87:88], v[93:94]
	v_fma_f64 v[91:92], v[85:86], v[125:126], -v[91:92]
	v_mul_f64 v[85:86], v[85:86], v[93:94]
	v_add_f64 v[65:66], v[65:66], -v[91:92]
	v_fma_f64 v[85:86], v[87:88], v[125:126], v[85:86]
	v_add_f64 v[67:68], v[67:68], -v[85:86]
	ds_read2_b64 v[85:88], v0 offset0:84 offset1:85
	s_waitcnt lgkmcnt(0)
	v_mul_f64 v[91:92], v[87:88], v[93:94]
	v_fma_f64 v[91:92], v[85:86], v[125:126], -v[91:92]
	v_mul_f64 v[85:86], v[85:86], v[93:94]
	v_add_f64 v[61:62], v[61:62], -v[91:92]
	v_fma_f64 v[85:86], v[87:88], v[125:126], v[85:86]
	v_add_f64 v[63:64], v[63:64], -v[85:86]
	ds_read2_b64 v[85:88], v0 offset0:86 offset1:87
	s_waitcnt lgkmcnt(0)
	v_mul_f64 v[91:92], v[87:88], v[93:94]
	v_fma_f64 v[91:92], v[85:86], v[125:126], -v[91:92]
	v_mul_f64 v[85:86], v[85:86], v[93:94]
	v_add_f64 v[57:58], v[57:58], -v[91:92]
	v_fma_f64 v[85:86], v[87:88], v[125:126], v[85:86]
	v_add_f64 v[59:60], v[59:60], -v[85:86]
	ds_read2_b64 v[85:88], v0 offset0:88 offset1:89
	s_waitcnt lgkmcnt(0)
	v_mul_f64 v[91:92], v[87:88], v[93:94]
	v_fma_f64 v[91:92], v[85:86], v[125:126], -v[91:92]
	v_mul_f64 v[85:86], v[85:86], v[93:94]
	v_add_f64 v[53:54], v[53:54], -v[91:92]
	v_fma_f64 v[85:86], v[87:88], v[125:126], v[85:86]
	v_add_f64 v[55:56], v[55:56], -v[85:86]
	ds_read2_b64 v[85:88], v0 offset0:90 offset1:91
	s_waitcnt lgkmcnt(0)
	v_mul_f64 v[91:92], v[87:88], v[93:94]
	v_fma_f64 v[91:92], v[85:86], v[125:126], -v[91:92]
	v_mul_f64 v[85:86], v[85:86], v[93:94]
	v_add_f64 v[49:50], v[49:50], -v[91:92]
	v_fma_f64 v[85:86], v[87:88], v[125:126], v[85:86]
	v_add_f64 v[51:52], v[51:52], -v[85:86]
	ds_read2_b64 v[85:88], v0 offset0:92 offset1:93
	s_waitcnt lgkmcnt(0)
	v_mul_f64 v[91:92], v[87:88], v[93:94]
	v_fma_f64 v[91:92], v[85:86], v[125:126], -v[91:92]
	v_mul_f64 v[85:86], v[85:86], v[93:94]
	v_add_f64 v[45:46], v[45:46], -v[91:92]
	v_fma_f64 v[85:86], v[87:88], v[125:126], v[85:86]
	v_add_f64 v[47:48], v[47:48], -v[85:86]
	ds_read2_b64 v[85:88], v0 offset0:94 offset1:95
	s_waitcnt lgkmcnt(0)
	v_mul_f64 v[91:92], v[87:88], v[93:94]
	v_fma_f64 v[91:92], v[85:86], v[125:126], -v[91:92]
	v_mul_f64 v[85:86], v[85:86], v[93:94]
	v_add_f64 v[41:42], v[41:42], -v[91:92]
	v_fma_f64 v[85:86], v[87:88], v[125:126], v[85:86]
	v_add_f64 v[43:44], v[43:44], -v[85:86]
	ds_read2_b64 v[85:88], v0 offset0:96 offset1:97
	s_waitcnt lgkmcnt(0)
	v_mul_f64 v[91:92], v[87:88], v[93:94]
	v_fma_f64 v[91:92], v[85:86], v[125:126], -v[91:92]
	v_mul_f64 v[85:86], v[85:86], v[93:94]
	v_add_f64 v[37:38], v[37:38], -v[91:92]
	v_fma_f64 v[85:86], v[87:88], v[125:126], v[85:86]
	v_add_f64 v[39:40], v[39:40], -v[85:86]
	ds_read2_b64 v[85:88], v0 offset0:98 offset1:99
	s_waitcnt lgkmcnt(0)
	v_mul_f64 v[91:92], v[87:88], v[93:94]
	v_fma_f64 v[91:92], v[85:86], v[125:126], -v[91:92]
	v_mul_f64 v[85:86], v[85:86], v[93:94]
	v_add_f64 v[33:34], v[33:34], -v[91:92]
	v_fma_f64 v[85:86], v[87:88], v[125:126], v[85:86]
	v_add_f64 v[35:36], v[35:36], -v[85:86]
	ds_read2_b64 v[85:88], v0 offset0:100 offset1:101
	s_waitcnt lgkmcnt(0)
	v_mul_f64 v[91:92], v[87:88], v[93:94]
	v_fma_f64 v[91:92], v[85:86], v[125:126], -v[91:92]
	v_mul_f64 v[85:86], v[85:86], v[93:94]
	v_add_f64 v[29:30], v[29:30], -v[91:92]
	v_fma_f64 v[85:86], v[87:88], v[125:126], v[85:86]
	v_add_f64 v[31:32], v[31:32], -v[85:86]
	ds_read2_b64 v[85:88], v0 offset0:102 offset1:103
	s_waitcnt lgkmcnt(0)
	v_mul_f64 v[91:92], v[87:88], v[93:94]
	v_fma_f64 v[91:92], v[85:86], v[125:126], -v[91:92]
	v_mul_f64 v[85:86], v[85:86], v[93:94]
	v_add_f64 v[25:26], v[25:26], -v[91:92]
	v_fma_f64 v[85:86], v[87:88], v[125:126], v[85:86]
	v_add_f64 v[27:28], v[27:28], -v[85:86]
	ds_read2_b64 v[85:88], v0 offset0:104 offset1:105
	s_waitcnt lgkmcnt(0)
	v_mul_f64 v[91:92], v[87:88], v[93:94]
	v_fma_f64 v[91:92], v[85:86], v[125:126], -v[91:92]
	v_mul_f64 v[85:86], v[85:86], v[93:94]
	v_add_f64 v[21:22], v[21:22], -v[91:92]
	v_fma_f64 v[85:86], v[87:88], v[125:126], v[85:86]
	v_add_f64 v[23:24], v[23:24], -v[85:86]
	ds_read2_b64 v[85:88], v0 offset0:106 offset1:107
	s_waitcnt lgkmcnt(0)
	v_mul_f64 v[91:92], v[87:88], v[93:94]
	v_fma_f64 v[91:92], v[85:86], v[125:126], -v[91:92]
	v_mul_f64 v[85:86], v[85:86], v[93:94]
	v_add_f64 v[17:18], v[17:18], -v[91:92]
	v_fma_f64 v[85:86], v[87:88], v[125:126], v[85:86]
	v_add_f64 v[19:20], v[19:20], -v[85:86]
	ds_read2_b64 v[85:88], v0 offset0:108 offset1:109
	s_waitcnt lgkmcnt(0)
	v_mul_f64 v[91:92], v[87:88], v[93:94]
	v_fma_f64 v[91:92], v[85:86], v[125:126], -v[91:92]
	v_mul_f64 v[85:86], v[85:86], v[93:94]
	v_add_f64 v[13:14], v[13:14], -v[91:92]
	v_fma_f64 v[85:86], v[87:88], v[125:126], v[85:86]
	v_add_f64 v[15:16], v[15:16], -v[85:86]
	ds_read2_b64 v[85:88], v0 offset0:110 offset1:111
	s_waitcnt lgkmcnt(0)
	v_mul_f64 v[91:92], v[87:88], v[93:94]
	v_fma_f64 v[91:92], v[85:86], v[125:126], -v[91:92]
	v_mul_f64 v[85:86], v[85:86], v[93:94]
	v_add_f64 v[9:10], v[9:10], -v[91:92]
	v_fma_f64 v[85:86], v[87:88], v[125:126], v[85:86]
	v_add_f64 v[11:12], v[11:12], -v[85:86]
	ds_read2_b64 v[85:88], v0 offset0:112 offset1:113
	s_waitcnt lgkmcnt(0)
	v_mul_f64 v[91:92], v[87:88], v[93:94]
	v_fma_f64 v[91:92], v[85:86], v[125:126], -v[91:92]
	v_mul_f64 v[85:86], v[85:86], v[93:94]
	v_add_f64 v[5:6], v[5:6], -v[91:92]
	v_fma_f64 v[85:86], v[87:88], v[125:126], v[85:86]
	v_add_f64 v[7:8], v[7:8], -v[85:86]
	ds_read2_b64 v[85:88], v0 offset0:114 offset1:115
	s_waitcnt lgkmcnt(0)
	v_mul_f64 v[91:92], v[87:88], v[93:94]
	v_fma_f64 v[91:92], v[85:86], v[125:126], -v[91:92]
	v_mul_f64 v[85:86], v[85:86], v[93:94]
	v_add_f64 v[1:2], v[1:2], -v[91:92]
	v_fma_f64 v[85:86], v[87:88], v[125:126], v[85:86]
	v_add_f64 v[3:4], v[3:4], -v[85:86]
	ds_read2_b64 v[85:88], v0 offset0:116 offset1:117
	s_waitcnt lgkmcnt(0)
	v_mul_f64 v[91:92], v[87:88], v[93:94]
	v_fma_f64 v[91:92], v[85:86], v[125:126], -v[91:92]
	v_mul_f64 v[85:86], v[85:86], v[93:94]
	v_add_f64 v[121:122], v[121:122], -v[91:92]
	v_fma_f64 v[85:86], v[87:88], v[125:126], v[85:86]
	v_mov_b32_e32 v91, v125
	v_mov_b32_e32 v92, v126
	buffer_store_dword v91, off, s[24:27], 0 offset:272 ; 4-byte Folded Spill
	s_nop 0
	buffer_store_dword v92, off, s[24:27], 0 offset:276 ; 4-byte Folded Spill
	buffer_store_dword v93, off, s[24:27], 0 offset:280 ; 4-byte Folded Spill
	;; [unrolled: 1-line block ×3, first 2 shown]
	v_add_f64 v[123:124], v[123:124], -v[85:86]
.LBB116_377:
	s_or_b64 exec, exec, s[0:1]
	s_waitcnt vmcnt(0)
	s_barrier
	buffer_load_dword v77, off, s[24:27], 0 offset:256 ; 4-byte Folded Reload
	buffer_load_dword v78, off, s[24:27], 0 offset:260 ; 4-byte Folded Reload
	;; [unrolled: 1-line block ×4, first 2 shown]
	v_lshl_add_u32 v85, v89, 4, v0
	s_cmp_lt_i32 s3, 20
	s_waitcnt vmcnt(0)
	ds_write2_b64 v85, v[77:78], v[79:80] offset1:1
	s_waitcnt lgkmcnt(0)
	s_barrier
	ds_read2_b64 v[117:120], v0 offset0:36 offset1:37
	v_mov_b32_e32 v85, 18
	s_cbranch_scc1 .LBB116_380
; %bb.378:
	v_add_u32_e32 v86, 0x130, v0
	s_mov_b32 s0, 19
	v_mov_b32_e32 v85, 18
.LBB116_379:                            ; =>This Inner Loop Header: Depth=1
	s_waitcnt lgkmcnt(0)
	v_cmp_gt_f64_e32 vcc, 0, v[117:118]
	v_xor_b32_e32 v87, 0x80000000, v118
	ds_read2_b64 v[91:94], v86 offset1:1
	v_xor_b32_e32 v95, 0x80000000, v120
	v_add_u32_e32 v86, 16, v86
	s_waitcnt lgkmcnt(0)
	v_xor_b32_e32 v97, 0x80000000, v94
	v_cndmask_b32_e32 v88, v118, v87, vcc
	v_cmp_gt_f64_e32 vcc, 0, v[119:120]
	v_mov_b32_e32 v87, v117
	v_cndmask_b32_e32 v96, v120, v95, vcc
	v_cmp_gt_f64_e32 vcc, 0, v[91:92]
	v_mov_b32_e32 v95, v119
	v_add_f64 v[87:88], v[87:88], v[95:96]
	v_xor_b32_e32 v95, 0x80000000, v92
	v_cndmask_b32_e32 v96, v92, v95, vcc
	v_cmp_gt_f64_e32 vcc, 0, v[93:94]
	v_mov_b32_e32 v95, v91
	v_cndmask_b32_e32 v98, v94, v97, vcc
	v_mov_b32_e32 v97, v93
	v_add_f64 v[95:96], v[95:96], v[97:98]
	v_cmp_lt_f64_e32 vcc, v[87:88], v[95:96]
	v_mov_b32_e32 v87, s0
	s_add_i32 s0, s0, 1
	s_cmp_lg_u32 s3, s0
	v_cndmask_b32_e32 v118, v118, v92, vcc
	v_cndmask_b32_e32 v117, v117, v91, vcc
	;; [unrolled: 1-line block ×5, first 2 shown]
	s_cbranch_scc1 .LBB116_379
.LBB116_380:
	s_waitcnt lgkmcnt(0)
	v_cmp_eq_f64_e32 vcc, 0, v[117:118]
	v_cmp_eq_f64_e64 s[0:1], 0, v[119:120]
	s_and_b64 s[0:1], vcc, s[0:1]
	s_and_saveexec_b64 s[18:19], s[0:1]
	s_xor_b64 s[0:1], exec, s[18:19]
; %bb.381:
	v_cmp_ne_u32_e32 vcc, 0, v90
	v_cndmask_b32_e32 v90, 19, v90, vcc
; %bb.382:
	s_andn2_saveexec_b64 s[0:1], s[0:1]
	s_cbranch_execz .LBB116_388
; %bb.383:
	v_cmp_ngt_f64_e64 s[18:19], |v[117:118]|, |v[119:120]|
	s_and_saveexec_b64 s[20:21], s[18:19]
	s_xor_b64 s[18:19], exec, s[20:21]
	s_cbranch_execz .LBB116_385
; %bb.384:
	v_div_scale_f64 v[86:87], s[20:21], v[119:120], v[119:120], v[117:118]
	v_rcp_f64_e32 v[91:92], v[86:87]
	v_fma_f64 v[93:94], -v[86:87], v[91:92], 1.0
	v_fma_f64 v[91:92], v[91:92], v[93:94], v[91:92]
	v_div_scale_f64 v[93:94], vcc, v[117:118], v[119:120], v[117:118]
	v_fma_f64 v[95:96], -v[86:87], v[91:92], 1.0
	v_fma_f64 v[91:92], v[91:92], v[95:96], v[91:92]
	v_mul_f64 v[95:96], v[93:94], v[91:92]
	v_fma_f64 v[86:87], -v[86:87], v[95:96], v[93:94]
	v_div_fmas_f64 v[86:87], v[86:87], v[91:92], v[95:96]
	v_div_fixup_f64 v[86:87], v[86:87], v[119:120], v[117:118]
	v_fma_f64 v[91:92], v[117:118], v[86:87], v[119:120]
	v_div_scale_f64 v[93:94], s[20:21], v[91:92], v[91:92], 1.0
	v_div_scale_f64 v[99:100], vcc, 1.0, v[91:92], 1.0
	v_rcp_f64_e32 v[95:96], v[93:94]
	v_fma_f64 v[97:98], -v[93:94], v[95:96], 1.0
	v_fma_f64 v[95:96], v[95:96], v[97:98], v[95:96]
	v_fma_f64 v[97:98], -v[93:94], v[95:96], 1.0
	v_fma_f64 v[95:96], v[95:96], v[97:98], v[95:96]
	v_mul_f64 v[97:98], v[99:100], v[95:96]
	v_fma_f64 v[93:94], -v[93:94], v[97:98], v[99:100]
	v_div_fmas_f64 v[93:94], v[93:94], v[95:96], v[97:98]
	v_div_fixup_f64 v[119:120], v[93:94], v[91:92], 1.0
	v_mul_f64 v[117:118], v[86:87], v[119:120]
	v_xor_b32_e32 v120, 0x80000000, v120
.LBB116_385:
	s_andn2_saveexec_b64 s[18:19], s[18:19]
	s_cbranch_execz .LBB116_387
; %bb.386:
	v_div_scale_f64 v[86:87], s[20:21], v[117:118], v[117:118], v[119:120]
	v_rcp_f64_e32 v[91:92], v[86:87]
	v_fma_f64 v[93:94], -v[86:87], v[91:92], 1.0
	v_fma_f64 v[91:92], v[91:92], v[93:94], v[91:92]
	v_div_scale_f64 v[93:94], vcc, v[119:120], v[117:118], v[119:120]
	v_fma_f64 v[95:96], -v[86:87], v[91:92], 1.0
	v_fma_f64 v[91:92], v[91:92], v[95:96], v[91:92]
	v_mul_f64 v[95:96], v[93:94], v[91:92]
	v_fma_f64 v[86:87], -v[86:87], v[95:96], v[93:94]
	v_div_fmas_f64 v[86:87], v[86:87], v[91:92], v[95:96]
	v_div_fixup_f64 v[86:87], v[86:87], v[117:118], v[119:120]
	v_fma_f64 v[91:92], v[119:120], v[86:87], v[117:118]
	v_div_scale_f64 v[93:94], s[20:21], v[91:92], v[91:92], 1.0
	v_div_scale_f64 v[99:100], vcc, 1.0, v[91:92], 1.0
	v_rcp_f64_e32 v[95:96], v[93:94]
	v_fma_f64 v[97:98], -v[93:94], v[95:96], 1.0
	v_fma_f64 v[95:96], v[95:96], v[97:98], v[95:96]
	v_fma_f64 v[97:98], -v[93:94], v[95:96], 1.0
	v_fma_f64 v[95:96], v[95:96], v[97:98], v[95:96]
	v_mul_f64 v[97:98], v[99:100], v[95:96]
	v_fma_f64 v[93:94], -v[93:94], v[97:98], v[99:100]
	v_div_fmas_f64 v[93:94], v[93:94], v[95:96], v[97:98]
	v_div_fixup_f64 v[117:118], v[93:94], v[91:92], 1.0
	v_mul_f64 v[119:120], v[86:87], -v[117:118]
.LBB116_387:
	s_or_b64 exec, exec, s[18:19]
.LBB116_388:
	s_or_b64 exec, exec, s[0:1]
	v_cmp_ne_u32_e32 vcc, v89, v85
	s_and_saveexec_b64 s[0:1], vcc
	s_xor_b64 s[0:1], exec, s[0:1]
	s_cbranch_execz .LBB116_394
; %bb.389:
	v_cmp_eq_u32_e32 vcc, 18, v89
	s_and_saveexec_b64 s[18:19], vcc
	s_cbranch_execz .LBB116_393
; %bb.390:
	v_cmp_ne_u32_e32 vcc, 18, v85
	s_xor_b64 s[20:21], s[6:7], -1
	s_and_b64 s[22:23], s[20:21], vcc
	s_and_saveexec_b64 s[20:21], s[22:23]
	s_cbranch_execz .LBB116_392
; %bb.391:
	v_mov_b32_e32 v77, v81
	v_mov_b32_e32 v78, v82
	v_mov_b32_e32 v79, v83
	v_mov_b32_e32 v80, v84
	buffer_load_dword v81, off, s[24:27], 0 offset:500 ; 4-byte Folded Reload
	buffer_load_dword v82, off, s[24:27], 0 offset:504 ; 4-byte Folded Reload
	v_ashrrev_i32_e32 v86, 31, v85
	v_lshlrev_b64 v[86:87], 2, v[85:86]
	s_waitcnt vmcnt(1)
	v_add_co_u32_e32 v86, vcc, v81, v86
	s_waitcnt vmcnt(0)
	v_addc_co_u32_e32 v87, vcc, v82, v87, vcc
	global_load_dword v88, v[86:87], off
	global_load_dword v89, v[81:82], off offset:72
	s_waitcnt vmcnt(1)
	global_store_dword v[81:82], v88, off offset:72
	v_mov_b32_e32 v84, v80
	v_mov_b32_e32 v83, v79
	;; [unrolled: 1-line block ×4, first 2 shown]
	s_waitcnt vmcnt(1)
	global_store_dword v[86:87], v89, off
.LBB116_392:
	s_or_b64 exec, exec, s[20:21]
	v_mov_b32_e32 v89, v85
	v_mov_b32_e32 v77, v85
	buffer_store_dword v77, off, s[24:27], 0 offset:432 ; 4-byte Folded Spill
.LBB116_393:
	s_or_b64 exec, exec, s[18:19]
.LBB116_394:
	s_andn2_saveexec_b64 s[0:1], s[0:1]
	s_cbranch_execz .LBB116_396
; %bb.395:
	buffer_load_dword v77, off, s[24:27], 0 offset:240 ; 4-byte Folded Reload
	buffer_load_dword v78, off, s[24:27], 0 offset:244 ; 4-byte Folded Reload
	;; [unrolled: 1-line block ×4, first 2 shown]
	v_mov_b32_e32 v89, 18
	s_waitcnt vmcnt(0)
	ds_write2_b64 v0, v[77:78], v[79:80] offset0:38 offset1:39
	buffer_load_dword v77, off, s[24:27], 0 offset:224 ; 4-byte Folded Reload
	buffer_load_dword v78, off, s[24:27], 0 offset:228 ; 4-byte Folded Reload
	buffer_load_dword v79, off, s[24:27], 0 offset:232 ; 4-byte Folded Reload
	buffer_load_dword v80, off, s[24:27], 0 offset:236 ; 4-byte Folded Reload
	s_waitcnt vmcnt(0)
	ds_write2_b64 v0, v[77:78], v[79:80] offset0:40 offset1:41
	buffer_load_dword v77, off, s[24:27], 0 offset:208 ; 4-byte Folded Reload
	buffer_load_dword v78, off, s[24:27], 0 offset:212 ; 4-byte Folded Reload
	buffer_load_dword v79, off, s[24:27], 0 offset:216 ; 4-byte Folded Reload
	buffer_load_dword v80, off, s[24:27], 0 offset:220 ; 4-byte Folded Reload
	;; [unrolled: 6-line block ×14, first 2 shown]
	s_waitcnt vmcnt(0)
	ds_write2_b64 v0, v[77:78], v[79:80] offset0:66 offset1:67
	ds_write2_b64 v0, v[81:82], v[83:84] offset0:68 offset1:69
	;; [unrolled: 1-line block ×5, first 2 shown]
	buffer_load_dword v77, off, s[24:27], 0 ; 4-byte Folded Reload
	buffer_load_dword v78, off, s[24:27], 0 offset:4 ; 4-byte Folded Reload
	buffer_load_dword v79, off, s[24:27], 0 offset:8 ; 4-byte Folded Reload
	;; [unrolled: 1-line block ×3, first 2 shown]
	s_waitcnt vmcnt(0)
	ds_write2_b64 v0, v[77:78], v[79:80] offset0:76 offset1:77
	ds_write2_b64 v0, v[73:74], v[75:76] offset0:78 offset1:79
	;; [unrolled: 1-line block ×21, first 2 shown]
.LBB116_396:
	s_or_b64 exec, exec, s[0:1]
	v_cmp_lt_i32_e32 vcc, 18, v89
	s_waitcnt vmcnt(0) lgkmcnt(0)
	s_barrier
	s_and_saveexec_b64 s[0:1], vcc
	s_cbranch_execz .LBB116_398
; %bb.397:
	buffer_load_dword v91, off, s[24:27], 0 offset:256 ; 4-byte Folded Reload
	buffer_load_dword v92, off, s[24:27], 0 offset:260 ; 4-byte Folded Reload
	;; [unrolled: 1-line block ×4, first 2 shown]
	s_waitcnt vmcnt(0)
	v_mul_f64 v[85:86], v[119:120], v[93:94]
	v_fma_f64 v[125:126], v[117:118], v[91:92], -v[85:86]
	v_mul_f64 v[85:86], v[117:118], v[93:94]
	v_fma_f64 v[93:94], v[119:120], v[91:92], v[85:86]
	ds_read2_b64 v[85:88], v0 offset0:38 offset1:39
	buffer_load_dword v77, off, s[24:27], 0 offset:240 ; 4-byte Folded Reload
	buffer_load_dword v78, off, s[24:27], 0 offset:244 ; 4-byte Folded Reload
	buffer_load_dword v79, off, s[24:27], 0 offset:248 ; 4-byte Folded Reload
	buffer_load_dword v80, off, s[24:27], 0 offset:252 ; 4-byte Folded Reload
	s_waitcnt lgkmcnt(0)
	v_mul_f64 v[91:92], v[87:88], v[93:94]
	v_fma_f64 v[91:92], v[85:86], v[125:126], -v[91:92]
	v_mul_f64 v[85:86], v[85:86], v[93:94]
	v_fma_f64 v[85:86], v[87:88], v[125:126], v[85:86]
	s_waitcnt vmcnt(2)
	v_add_f64 v[77:78], v[77:78], -v[91:92]
	s_waitcnt vmcnt(0)
	v_add_f64 v[79:80], v[79:80], -v[85:86]
	buffer_store_dword v77, off, s[24:27], 0 offset:240 ; 4-byte Folded Spill
	s_nop 0
	buffer_store_dword v78, off, s[24:27], 0 offset:244 ; 4-byte Folded Spill
	buffer_store_dword v79, off, s[24:27], 0 offset:248 ; 4-byte Folded Spill
	buffer_store_dword v80, off, s[24:27], 0 offset:252 ; 4-byte Folded Spill
	ds_read2_b64 v[85:88], v0 offset0:40 offset1:41
	buffer_load_dword v77, off, s[24:27], 0 offset:224 ; 4-byte Folded Reload
	buffer_load_dword v78, off, s[24:27], 0 offset:228 ; 4-byte Folded Reload
	buffer_load_dword v79, off, s[24:27], 0 offset:232 ; 4-byte Folded Reload
	buffer_load_dword v80, off, s[24:27], 0 offset:236 ; 4-byte Folded Reload
	s_waitcnt lgkmcnt(0)
	v_mul_f64 v[91:92], v[87:88], v[93:94]
	v_fma_f64 v[91:92], v[85:86], v[125:126], -v[91:92]
	v_mul_f64 v[85:86], v[85:86], v[93:94]
	v_fma_f64 v[85:86], v[87:88], v[125:126], v[85:86]
	s_waitcnt vmcnt(2)
	v_add_f64 v[77:78], v[77:78], -v[91:92]
	s_waitcnt vmcnt(0)
	v_add_f64 v[79:80], v[79:80], -v[85:86]
	buffer_store_dword v77, off, s[24:27], 0 offset:224 ; 4-byte Folded Spill
	s_nop 0
	buffer_store_dword v78, off, s[24:27], 0 offset:228 ; 4-byte Folded Spill
	buffer_store_dword v79, off, s[24:27], 0 offset:232 ; 4-byte Folded Spill
	buffer_store_dword v80, off, s[24:27], 0 offset:236 ; 4-byte Folded Spill
	ds_read2_b64 v[85:88], v0 offset0:42 offset1:43
	buffer_load_dword v77, off, s[24:27], 0 offset:208 ; 4-byte Folded Reload
	buffer_load_dword v78, off, s[24:27], 0 offset:212 ; 4-byte Folded Reload
	buffer_load_dword v79, off, s[24:27], 0 offset:216 ; 4-byte Folded Reload
	buffer_load_dword v80, off, s[24:27], 0 offset:220 ; 4-byte Folded Reload
	s_waitcnt lgkmcnt(0)
	v_mul_f64 v[91:92], v[87:88], v[93:94]
	v_fma_f64 v[91:92], v[85:86], v[125:126], -v[91:92]
	v_mul_f64 v[85:86], v[85:86], v[93:94]
	v_fma_f64 v[85:86], v[87:88], v[125:126], v[85:86]
	s_waitcnt vmcnt(2)
	v_add_f64 v[77:78], v[77:78], -v[91:92]
	s_waitcnt vmcnt(0)
	v_add_f64 v[79:80], v[79:80], -v[85:86]
	buffer_store_dword v77, off, s[24:27], 0 offset:208 ; 4-byte Folded Spill
	s_nop 0
	buffer_store_dword v78, off, s[24:27], 0 offset:212 ; 4-byte Folded Spill
	buffer_store_dword v79, off, s[24:27], 0 offset:216 ; 4-byte Folded Spill
	buffer_store_dword v80, off, s[24:27], 0 offset:220 ; 4-byte Folded Spill
	ds_read2_b64 v[85:88], v0 offset0:44 offset1:45
	buffer_load_dword v77, off, s[24:27], 0 offset:192 ; 4-byte Folded Reload
	buffer_load_dword v78, off, s[24:27], 0 offset:196 ; 4-byte Folded Reload
	buffer_load_dword v79, off, s[24:27], 0 offset:200 ; 4-byte Folded Reload
	buffer_load_dword v80, off, s[24:27], 0 offset:204 ; 4-byte Folded Reload
	s_waitcnt lgkmcnt(0)
	v_mul_f64 v[91:92], v[87:88], v[93:94]
	v_fma_f64 v[91:92], v[85:86], v[125:126], -v[91:92]
	v_mul_f64 v[85:86], v[85:86], v[93:94]
	v_fma_f64 v[85:86], v[87:88], v[125:126], v[85:86]
	s_waitcnt vmcnt(2)
	v_add_f64 v[77:78], v[77:78], -v[91:92]
	s_waitcnt vmcnt(0)
	v_add_f64 v[79:80], v[79:80], -v[85:86]
	buffer_store_dword v77, off, s[24:27], 0 offset:192 ; 4-byte Folded Spill
	s_nop 0
	buffer_store_dword v78, off, s[24:27], 0 offset:196 ; 4-byte Folded Spill
	buffer_store_dword v79, off, s[24:27], 0 offset:200 ; 4-byte Folded Spill
	buffer_store_dword v80, off, s[24:27], 0 offset:204 ; 4-byte Folded Spill
	ds_read2_b64 v[85:88], v0 offset0:46 offset1:47
	buffer_load_dword v77, off, s[24:27], 0 offset:176 ; 4-byte Folded Reload
	buffer_load_dword v78, off, s[24:27], 0 offset:180 ; 4-byte Folded Reload
	buffer_load_dword v79, off, s[24:27], 0 offset:184 ; 4-byte Folded Reload
	buffer_load_dword v80, off, s[24:27], 0 offset:188 ; 4-byte Folded Reload
	s_waitcnt lgkmcnt(0)
	v_mul_f64 v[91:92], v[87:88], v[93:94]
	v_fma_f64 v[91:92], v[85:86], v[125:126], -v[91:92]
	v_mul_f64 v[85:86], v[85:86], v[93:94]
	v_fma_f64 v[85:86], v[87:88], v[125:126], v[85:86]
	s_waitcnt vmcnt(2)
	v_add_f64 v[77:78], v[77:78], -v[91:92]
	s_waitcnt vmcnt(0)
	v_add_f64 v[79:80], v[79:80], -v[85:86]
	buffer_store_dword v77, off, s[24:27], 0 offset:176 ; 4-byte Folded Spill
	s_nop 0
	buffer_store_dword v78, off, s[24:27], 0 offset:180 ; 4-byte Folded Spill
	buffer_store_dword v79, off, s[24:27], 0 offset:184 ; 4-byte Folded Spill
	buffer_store_dword v80, off, s[24:27], 0 offset:188 ; 4-byte Folded Spill
	ds_read2_b64 v[85:88], v0 offset0:48 offset1:49
	buffer_load_dword v77, off, s[24:27], 0 offset:160 ; 4-byte Folded Reload
	buffer_load_dword v78, off, s[24:27], 0 offset:164 ; 4-byte Folded Reload
	buffer_load_dword v79, off, s[24:27], 0 offset:168 ; 4-byte Folded Reload
	buffer_load_dword v80, off, s[24:27], 0 offset:172 ; 4-byte Folded Reload
	s_waitcnt lgkmcnt(0)
	v_mul_f64 v[91:92], v[87:88], v[93:94]
	v_fma_f64 v[91:92], v[85:86], v[125:126], -v[91:92]
	v_mul_f64 v[85:86], v[85:86], v[93:94]
	v_fma_f64 v[85:86], v[87:88], v[125:126], v[85:86]
	s_waitcnt vmcnt(2)
	v_add_f64 v[77:78], v[77:78], -v[91:92]
	s_waitcnt vmcnt(0)
	v_add_f64 v[79:80], v[79:80], -v[85:86]
	buffer_store_dword v77, off, s[24:27], 0 offset:160 ; 4-byte Folded Spill
	s_nop 0
	buffer_store_dword v78, off, s[24:27], 0 offset:164 ; 4-byte Folded Spill
	buffer_store_dword v79, off, s[24:27], 0 offset:168 ; 4-byte Folded Spill
	buffer_store_dword v80, off, s[24:27], 0 offset:172 ; 4-byte Folded Spill
	ds_read2_b64 v[85:88], v0 offset0:50 offset1:51
	buffer_load_dword v77, off, s[24:27], 0 offset:144 ; 4-byte Folded Reload
	buffer_load_dword v78, off, s[24:27], 0 offset:148 ; 4-byte Folded Reload
	buffer_load_dword v79, off, s[24:27], 0 offset:152 ; 4-byte Folded Reload
	buffer_load_dword v80, off, s[24:27], 0 offset:156 ; 4-byte Folded Reload
	s_waitcnt lgkmcnt(0)
	v_mul_f64 v[91:92], v[87:88], v[93:94]
	v_fma_f64 v[91:92], v[85:86], v[125:126], -v[91:92]
	v_mul_f64 v[85:86], v[85:86], v[93:94]
	v_fma_f64 v[85:86], v[87:88], v[125:126], v[85:86]
	s_waitcnt vmcnt(2)
	v_add_f64 v[77:78], v[77:78], -v[91:92]
	s_waitcnt vmcnt(0)
	v_add_f64 v[79:80], v[79:80], -v[85:86]
	buffer_store_dword v77, off, s[24:27], 0 offset:144 ; 4-byte Folded Spill
	s_nop 0
	buffer_store_dword v78, off, s[24:27], 0 offset:148 ; 4-byte Folded Spill
	buffer_store_dword v79, off, s[24:27], 0 offset:152 ; 4-byte Folded Spill
	buffer_store_dword v80, off, s[24:27], 0 offset:156 ; 4-byte Folded Spill
	ds_read2_b64 v[85:88], v0 offset0:52 offset1:53
	buffer_load_dword v77, off, s[24:27], 0 offset:128 ; 4-byte Folded Reload
	buffer_load_dword v78, off, s[24:27], 0 offset:132 ; 4-byte Folded Reload
	buffer_load_dword v79, off, s[24:27], 0 offset:136 ; 4-byte Folded Reload
	buffer_load_dword v80, off, s[24:27], 0 offset:140 ; 4-byte Folded Reload
	s_waitcnt lgkmcnt(0)
	v_mul_f64 v[91:92], v[87:88], v[93:94]
	v_fma_f64 v[91:92], v[85:86], v[125:126], -v[91:92]
	v_mul_f64 v[85:86], v[85:86], v[93:94]
	v_fma_f64 v[85:86], v[87:88], v[125:126], v[85:86]
	s_waitcnt vmcnt(2)
	v_add_f64 v[77:78], v[77:78], -v[91:92]
	s_waitcnt vmcnt(0)
	v_add_f64 v[79:80], v[79:80], -v[85:86]
	buffer_store_dword v77, off, s[24:27], 0 offset:128 ; 4-byte Folded Spill
	s_nop 0
	buffer_store_dword v78, off, s[24:27], 0 offset:132 ; 4-byte Folded Spill
	buffer_store_dword v79, off, s[24:27], 0 offset:136 ; 4-byte Folded Spill
	buffer_store_dword v80, off, s[24:27], 0 offset:140 ; 4-byte Folded Spill
	ds_read2_b64 v[85:88], v0 offset0:54 offset1:55
	buffer_load_dword v77, off, s[24:27], 0 offset:112 ; 4-byte Folded Reload
	buffer_load_dword v78, off, s[24:27], 0 offset:116 ; 4-byte Folded Reload
	buffer_load_dword v79, off, s[24:27], 0 offset:120 ; 4-byte Folded Reload
	buffer_load_dword v80, off, s[24:27], 0 offset:124 ; 4-byte Folded Reload
	s_waitcnt lgkmcnt(0)
	v_mul_f64 v[91:92], v[87:88], v[93:94]
	v_fma_f64 v[91:92], v[85:86], v[125:126], -v[91:92]
	v_mul_f64 v[85:86], v[85:86], v[93:94]
	v_fma_f64 v[85:86], v[87:88], v[125:126], v[85:86]
	s_waitcnt vmcnt(2)
	v_add_f64 v[77:78], v[77:78], -v[91:92]
	s_waitcnt vmcnt(0)
	v_add_f64 v[79:80], v[79:80], -v[85:86]
	buffer_store_dword v77, off, s[24:27], 0 offset:112 ; 4-byte Folded Spill
	s_nop 0
	buffer_store_dword v78, off, s[24:27], 0 offset:116 ; 4-byte Folded Spill
	buffer_store_dword v79, off, s[24:27], 0 offset:120 ; 4-byte Folded Spill
	buffer_store_dword v80, off, s[24:27], 0 offset:124 ; 4-byte Folded Spill
	ds_read2_b64 v[85:88], v0 offset0:56 offset1:57
	buffer_load_dword v77, off, s[24:27], 0 offset:96 ; 4-byte Folded Reload
	buffer_load_dword v78, off, s[24:27], 0 offset:100 ; 4-byte Folded Reload
	buffer_load_dword v79, off, s[24:27], 0 offset:104 ; 4-byte Folded Reload
	buffer_load_dword v80, off, s[24:27], 0 offset:108 ; 4-byte Folded Reload
	s_waitcnt lgkmcnt(0)
	v_mul_f64 v[91:92], v[87:88], v[93:94]
	v_fma_f64 v[91:92], v[85:86], v[125:126], -v[91:92]
	v_mul_f64 v[85:86], v[85:86], v[93:94]
	v_fma_f64 v[85:86], v[87:88], v[125:126], v[85:86]
	s_waitcnt vmcnt(2)
	v_add_f64 v[77:78], v[77:78], -v[91:92]
	s_waitcnt vmcnt(0)
	v_add_f64 v[79:80], v[79:80], -v[85:86]
	buffer_store_dword v77, off, s[24:27], 0 offset:96 ; 4-byte Folded Spill
	s_nop 0
	buffer_store_dword v78, off, s[24:27], 0 offset:100 ; 4-byte Folded Spill
	buffer_store_dword v79, off, s[24:27], 0 offset:104 ; 4-byte Folded Spill
	buffer_store_dword v80, off, s[24:27], 0 offset:108 ; 4-byte Folded Spill
	ds_read2_b64 v[85:88], v0 offset0:58 offset1:59
	buffer_load_dword v77, off, s[24:27], 0 offset:80 ; 4-byte Folded Reload
	buffer_load_dword v78, off, s[24:27], 0 offset:84 ; 4-byte Folded Reload
	buffer_load_dword v79, off, s[24:27], 0 offset:88 ; 4-byte Folded Reload
	buffer_load_dword v80, off, s[24:27], 0 offset:92 ; 4-byte Folded Reload
	s_waitcnt lgkmcnt(0)
	v_mul_f64 v[91:92], v[87:88], v[93:94]
	v_fma_f64 v[91:92], v[85:86], v[125:126], -v[91:92]
	v_mul_f64 v[85:86], v[85:86], v[93:94]
	v_fma_f64 v[85:86], v[87:88], v[125:126], v[85:86]
	s_waitcnt vmcnt(2)
	v_add_f64 v[77:78], v[77:78], -v[91:92]
	s_waitcnt vmcnt(0)
	v_add_f64 v[79:80], v[79:80], -v[85:86]
	buffer_store_dword v77, off, s[24:27], 0 offset:80 ; 4-byte Folded Spill
	s_nop 0
	buffer_store_dword v78, off, s[24:27], 0 offset:84 ; 4-byte Folded Spill
	buffer_store_dword v79, off, s[24:27], 0 offset:88 ; 4-byte Folded Spill
	buffer_store_dword v80, off, s[24:27], 0 offset:92 ; 4-byte Folded Spill
	ds_read2_b64 v[85:88], v0 offset0:60 offset1:61
	buffer_load_dword v77, off, s[24:27], 0 offset:64 ; 4-byte Folded Reload
	buffer_load_dword v78, off, s[24:27], 0 offset:68 ; 4-byte Folded Reload
	buffer_load_dword v79, off, s[24:27], 0 offset:72 ; 4-byte Folded Reload
	buffer_load_dword v80, off, s[24:27], 0 offset:76 ; 4-byte Folded Reload
	s_waitcnt lgkmcnt(0)
	v_mul_f64 v[91:92], v[87:88], v[93:94]
	v_fma_f64 v[91:92], v[85:86], v[125:126], -v[91:92]
	v_mul_f64 v[85:86], v[85:86], v[93:94]
	v_fma_f64 v[85:86], v[87:88], v[125:126], v[85:86]
	s_waitcnt vmcnt(2)
	v_add_f64 v[77:78], v[77:78], -v[91:92]
	s_waitcnt vmcnt(0)
	v_add_f64 v[79:80], v[79:80], -v[85:86]
	buffer_store_dword v77, off, s[24:27], 0 offset:64 ; 4-byte Folded Spill
	s_nop 0
	buffer_store_dword v78, off, s[24:27], 0 offset:68 ; 4-byte Folded Spill
	buffer_store_dword v79, off, s[24:27], 0 offset:72 ; 4-byte Folded Spill
	buffer_store_dword v80, off, s[24:27], 0 offset:76 ; 4-byte Folded Spill
	ds_read2_b64 v[85:88], v0 offset0:62 offset1:63
	buffer_load_dword v77, off, s[24:27], 0 offset:48 ; 4-byte Folded Reload
	buffer_load_dword v78, off, s[24:27], 0 offset:52 ; 4-byte Folded Reload
	buffer_load_dword v79, off, s[24:27], 0 offset:56 ; 4-byte Folded Reload
	buffer_load_dword v80, off, s[24:27], 0 offset:60 ; 4-byte Folded Reload
	s_waitcnt lgkmcnt(0)
	v_mul_f64 v[91:92], v[87:88], v[93:94]
	v_fma_f64 v[91:92], v[85:86], v[125:126], -v[91:92]
	v_mul_f64 v[85:86], v[85:86], v[93:94]
	v_fma_f64 v[85:86], v[87:88], v[125:126], v[85:86]
	s_waitcnt vmcnt(2)
	v_add_f64 v[77:78], v[77:78], -v[91:92]
	s_waitcnt vmcnt(0)
	v_add_f64 v[79:80], v[79:80], -v[85:86]
	buffer_store_dword v77, off, s[24:27], 0 offset:48 ; 4-byte Folded Spill
	s_nop 0
	buffer_store_dword v78, off, s[24:27], 0 offset:52 ; 4-byte Folded Spill
	buffer_store_dword v79, off, s[24:27], 0 offset:56 ; 4-byte Folded Spill
	buffer_store_dword v80, off, s[24:27], 0 offset:60 ; 4-byte Folded Spill
	ds_read2_b64 v[85:88], v0 offset0:64 offset1:65
	buffer_load_dword v77, off, s[24:27], 0 offset:32 ; 4-byte Folded Reload
	buffer_load_dword v78, off, s[24:27], 0 offset:36 ; 4-byte Folded Reload
	buffer_load_dword v79, off, s[24:27], 0 offset:40 ; 4-byte Folded Reload
	buffer_load_dword v80, off, s[24:27], 0 offset:44 ; 4-byte Folded Reload
	s_waitcnt lgkmcnt(0)
	v_mul_f64 v[91:92], v[87:88], v[93:94]
	v_fma_f64 v[91:92], v[85:86], v[125:126], -v[91:92]
	v_mul_f64 v[85:86], v[85:86], v[93:94]
	v_fma_f64 v[85:86], v[87:88], v[125:126], v[85:86]
	s_waitcnt vmcnt(2)
	v_add_f64 v[77:78], v[77:78], -v[91:92]
	s_waitcnt vmcnt(0)
	v_add_f64 v[79:80], v[79:80], -v[85:86]
	buffer_store_dword v77, off, s[24:27], 0 offset:32 ; 4-byte Folded Spill
	s_nop 0
	buffer_store_dword v78, off, s[24:27], 0 offset:36 ; 4-byte Folded Spill
	buffer_store_dword v79, off, s[24:27], 0 offset:40 ; 4-byte Folded Spill
	buffer_store_dword v80, off, s[24:27], 0 offset:44 ; 4-byte Folded Spill
	ds_read2_b64 v[85:88], v0 offset0:66 offset1:67
	buffer_load_dword v77, off, s[24:27], 0 offset:16 ; 4-byte Folded Reload
	buffer_load_dword v78, off, s[24:27], 0 offset:20 ; 4-byte Folded Reload
	buffer_load_dword v79, off, s[24:27], 0 offset:24 ; 4-byte Folded Reload
	buffer_load_dword v80, off, s[24:27], 0 offset:28 ; 4-byte Folded Reload
	s_waitcnt lgkmcnt(0)
	v_mul_f64 v[91:92], v[87:88], v[93:94]
	v_fma_f64 v[91:92], v[85:86], v[125:126], -v[91:92]
	v_mul_f64 v[85:86], v[85:86], v[93:94]
	v_fma_f64 v[85:86], v[87:88], v[125:126], v[85:86]
	s_waitcnt vmcnt(2)
	v_add_f64 v[77:78], v[77:78], -v[91:92]
	s_waitcnt vmcnt(0)
	v_add_f64 v[79:80], v[79:80], -v[85:86]
	buffer_store_dword v77, off, s[24:27], 0 offset:16 ; 4-byte Folded Spill
	s_nop 0
	buffer_store_dword v78, off, s[24:27], 0 offset:20 ; 4-byte Folded Spill
	buffer_store_dword v79, off, s[24:27], 0 offset:24 ; 4-byte Folded Spill
	buffer_store_dword v80, off, s[24:27], 0 offset:28 ; 4-byte Folded Spill
	ds_read2_b64 v[85:88], v0 offset0:68 offset1:69
	s_waitcnt lgkmcnt(0)
	v_mul_f64 v[91:92], v[87:88], v[93:94]
	v_fma_f64 v[91:92], v[85:86], v[125:126], -v[91:92]
	v_mul_f64 v[85:86], v[85:86], v[93:94]
	v_add_f64 v[81:82], v[81:82], -v[91:92]
	v_fma_f64 v[85:86], v[87:88], v[125:126], v[85:86]
	v_add_f64 v[83:84], v[83:84], -v[85:86]
	ds_read2_b64 v[85:88], v0 offset0:70 offset1:71
	s_waitcnt lgkmcnt(0)
	v_mul_f64 v[91:92], v[87:88], v[93:94]
	v_fma_f64 v[91:92], v[85:86], v[125:126], -v[91:92]
	v_mul_f64 v[85:86], v[85:86], v[93:94]
	v_add_f64 v[113:114], v[113:114], -v[91:92]
	v_fma_f64 v[85:86], v[87:88], v[125:126], v[85:86]
	v_add_f64 v[115:116], v[115:116], -v[85:86]
	;; [unrolled: 8-line block ×4, first 2 shown]
	ds_read2_b64 v[85:88], v0 offset0:76 offset1:77
	buffer_load_dword v77, off, s[24:27], 0 ; 4-byte Folded Reload
	buffer_load_dword v78, off, s[24:27], 0 offset:4 ; 4-byte Folded Reload
	buffer_load_dword v79, off, s[24:27], 0 offset:8 ; 4-byte Folded Reload
	;; [unrolled: 1-line block ×3, first 2 shown]
	s_waitcnt lgkmcnt(0)
	v_mul_f64 v[91:92], v[87:88], v[93:94]
	v_fma_f64 v[91:92], v[85:86], v[125:126], -v[91:92]
	v_mul_f64 v[85:86], v[85:86], v[93:94]
	v_fma_f64 v[85:86], v[87:88], v[125:126], v[85:86]
	s_waitcnt vmcnt(2)
	v_add_f64 v[77:78], v[77:78], -v[91:92]
	s_waitcnt vmcnt(0)
	v_add_f64 v[79:80], v[79:80], -v[85:86]
	buffer_store_dword v77, off, s[24:27], 0 ; 4-byte Folded Spill
	s_nop 0
	buffer_store_dword v78, off, s[24:27], 0 offset:4 ; 4-byte Folded Spill
	buffer_store_dword v79, off, s[24:27], 0 offset:8 ; 4-byte Folded Spill
	;; [unrolled: 1-line block ×3, first 2 shown]
	ds_read2_b64 v[85:88], v0 offset0:78 offset1:79
	s_waitcnt lgkmcnt(0)
	v_mul_f64 v[91:92], v[87:88], v[93:94]
	v_fma_f64 v[91:92], v[85:86], v[125:126], -v[91:92]
	v_mul_f64 v[85:86], v[85:86], v[93:94]
	v_add_f64 v[73:74], v[73:74], -v[91:92]
	v_fma_f64 v[85:86], v[87:88], v[125:126], v[85:86]
	v_add_f64 v[75:76], v[75:76], -v[85:86]
	ds_read2_b64 v[85:88], v0 offset0:80 offset1:81
	s_waitcnt lgkmcnt(0)
	v_mul_f64 v[91:92], v[87:88], v[93:94]
	v_fma_f64 v[91:92], v[85:86], v[125:126], -v[91:92]
	v_mul_f64 v[85:86], v[85:86], v[93:94]
	v_add_f64 v[69:70], v[69:70], -v[91:92]
	v_fma_f64 v[85:86], v[87:88], v[125:126], v[85:86]
	v_add_f64 v[71:72], v[71:72], -v[85:86]
	;; [unrolled: 8-line block ×19, first 2 shown]
	ds_read2_b64 v[85:88], v0 offset0:116 offset1:117
	s_waitcnt lgkmcnt(0)
	v_mul_f64 v[91:92], v[87:88], v[93:94]
	v_fma_f64 v[91:92], v[85:86], v[125:126], -v[91:92]
	v_mul_f64 v[85:86], v[85:86], v[93:94]
	v_add_f64 v[121:122], v[121:122], -v[91:92]
	v_fma_f64 v[85:86], v[87:88], v[125:126], v[85:86]
	v_mov_b32_e32 v91, v125
	v_mov_b32_e32 v92, v126
	buffer_store_dword v91, off, s[24:27], 0 offset:256 ; 4-byte Folded Spill
	s_nop 0
	buffer_store_dword v92, off, s[24:27], 0 offset:260 ; 4-byte Folded Spill
	buffer_store_dword v93, off, s[24:27], 0 offset:264 ; 4-byte Folded Spill
	;; [unrolled: 1-line block ×3, first 2 shown]
	v_add_f64 v[123:124], v[123:124], -v[85:86]
.LBB116_398:
	s_or_b64 exec, exec, s[0:1]
	s_waitcnt vmcnt(0)
	s_barrier
	buffer_load_dword v77, off, s[24:27], 0 offset:240 ; 4-byte Folded Reload
	buffer_load_dword v78, off, s[24:27], 0 offset:244 ; 4-byte Folded Reload
	;; [unrolled: 1-line block ×4, first 2 shown]
	v_lshl_add_u32 v85, v89, 4, v0
	s_cmp_lt_i32 s3, 21
	s_waitcnt vmcnt(0)
	ds_write2_b64 v85, v[77:78], v[79:80] offset1:1
	s_waitcnt lgkmcnt(0)
	s_barrier
	ds_read2_b64 v[117:120], v0 offset0:38 offset1:39
	v_mov_b32_e32 v85, 19
	s_cbranch_scc1 .LBB116_401
; %bb.399:
	v_add_u32_e32 v86, 0x140, v0
	s_mov_b32 s0, 20
	v_mov_b32_e32 v85, 19
.LBB116_400:                            ; =>This Inner Loop Header: Depth=1
	s_waitcnt lgkmcnt(0)
	v_cmp_gt_f64_e32 vcc, 0, v[117:118]
	v_xor_b32_e32 v87, 0x80000000, v118
	ds_read2_b64 v[91:94], v86 offset1:1
	v_xor_b32_e32 v95, 0x80000000, v120
	v_add_u32_e32 v86, 16, v86
	s_waitcnt lgkmcnt(0)
	v_xor_b32_e32 v97, 0x80000000, v94
	v_cndmask_b32_e32 v88, v118, v87, vcc
	v_cmp_gt_f64_e32 vcc, 0, v[119:120]
	v_mov_b32_e32 v87, v117
	v_cndmask_b32_e32 v96, v120, v95, vcc
	v_cmp_gt_f64_e32 vcc, 0, v[91:92]
	v_mov_b32_e32 v95, v119
	v_add_f64 v[87:88], v[87:88], v[95:96]
	v_xor_b32_e32 v95, 0x80000000, v92
	v_cndmask_b32_e32 v96, v92, v95, vcc
	v_cmp_gt_f64_e32 vcc, 0, v[93:94]
	v_mov_b32_e32 v95, v91
	v_cndmask_b32_e32 v98, v94, v97, vcc
	v_mov_b32_e32 v97, v93
	v_add_f64 v[95:96], v[95:96], v[97:98]
	v_cmp_lt_f64_e32 vcc, v[87:88], v[95:96]
	v_mov_b32_e32 v87, s0
	s_add_i32 s0, s0, 1
	s_cmp_lg_u32 s3, s0
	v_cndmask_b32_e32 v118, v118, v92, vcc
	v_cndmask_b32_e32 v117, v117, v91, vcc
	v_cndmask_b32_e32 v120, v120, v94, vcc
	v_cndmask_b32_e32 v119, v119, v93, vcc
	v_cndmask_b32_e32 v85, v85, v87, vcc
	s_cbranch_scc1 .LBB116_400
.LBB116_401:
	s_waitcnt lgkmcnt(0)
	v_cmp_eq_f64_e32 vcc, 0, v[117:118]
	v_cmp_eq_f64_e64 s[0:1], 0, v[119:120]
	s_and_b64 s[0:1], vcc, s[0:1]
	s_and_saveexec_b64 s[18:19], s[0:1]
	s_xor_b64 s[0:1], exec, s[18:19]
; %bb.402:
	v_cmp_ne_u32_e32 vcc, 0, v90
	v_cndmask_b32_e32 v90, 20, v90, vcc
; %bb.403:
	s_andn2_saveexec_b64 s[0:1], s[0:1]
	s_cbranch_execz .LBB116_409
; %bb.404:
	v_cmp_ngt_f64_e64 s[18:19], |v[117:118]|, |v[119:120]|
	s_and_saveexec_b64 s[20:21], s[18:19]
	s_xor_b64 s[18:19], exec, s[20:21]
	s_cbranch_execz .LBB116_406
; %bb.405:
	v_div_scale_f64 v[86:87], s[20:21], v[119:120], v[119:120], v[117:118]
	v_rcp_f64_e32 v[91:92], v[86:87]
	v_fma_f64 v[93:94], -v[86:87], v[91:92], 1.0
	v_fma_f64 v[91:92], v[91:92], v[93:94], v[91:92]
	v_div_scale_f64 v[93:94], vcc, v[117:118], v[119:120], v[117:118]
	v_fma_f64 v[95:96], -v[86:87], v[91:92], 1.0
	v_fma_f64 v[91:92], v[91:92], v[95:96], v[91:92]
	v_mul_f64 v[95:96], v[93:94], v[91:92]
	v_fma_f64 v[86:87], -v[86:87], v[95:96], v[93:94]
	v_div_fmas_f64 v[86:87], v[86:87], v[91:92], v[95:96]
	v_div_fixup_f64 v[86:87], v[86:87], v[119:120], v[117:118]
	v_fma_f64 v[91:92], v[117:118], v[86:87], v[119:120]
	v_div_scale_f64 v[93:94], s[20:21], v[91:92], v[91:92], 1.0
	v_div_scale_f64 v[99:100], vcc, 1.0, v[91:92], 1.0
	v_rcp_f64_e32 v[95:96], v[93:94]
	v_fma_f64 v[97:98], -v[93:94], v[95:96], 1.0
	v_fma_f64 v[95:96], v[95:96], v[97:98], v[95:96]
	v_fma_f64 v[97:98], -v[93:94], v[95:96], 1.0
	v_fma_f64 v[95:96], v[95:96], v[97:98], v[95:96]
	v_mul_f64 v[97:98], v[99:100], v[95:96]
	v_fma_f64 v[93:94], -v[93:94], v[97:98], v[99:100]
	v_div_fmas_f64 v[93:94], v[93:94], v[95:96], v[97:98]
	v_div_fixup_f64 v[119:120], v[93:94], v[91:92], 1.0
	v_mul_f64 v[117:118], v[86:87], v[119:120]
	v_xor_b32_e32 v120, 0x80000000, v120
.LBB116_406:
	s_andn2_saveexec_b64 s[18:19], s[18:19]
	s_cbranch_execz .LBB116_408
; %bb.407:
	v_div_scale_f64 v[86:87], s[20:21], v[117:118], v[117:118], v[119:120]
	v_rcp_f64_e32 v[91:92], v[86:87]
	v_fma_f64 v[93:94], -v[86:87], v[91:92], 1.0
	v_fma_f64 v[91:92], v[91:92], v[93:94], v[91:92]
	v_div_scale_f64 v[93:94], vcc, v[119:120], v[117:118], v[119:120]
	v_fma_f64 v[95:96], -v[86:87], v[91:92], 1.0
	v_fma_f64 v[91:92], v[91:92], v[95:96], v[91:92]
	v_mul_f64 v[95:96], v[93:94], v[91:92]
	v_fma_f64 v[86:87], -v[86:87], v[95:96], v[93:94]
	v_div_fmas_f64 v[86:87], v[86:87], v[91:92], v[95:96]
	v_div_fixup_f64 v[86:87], v[86:87], v[117:118], v[119:120]
	v_fma_f64 v[91:92], v[119:120], v[86:87], v[117:118]
	v_div_scale_f64 v[93:94], s[20:21], v[91:92], v[91:92], 1.0
	v_div_scale_f64 v[99:100], vcc, 1.0, v[91:92], 1.0
	v_rcp_f64_e32 v[95:96], v[93:94]
	v_fma_f64 v[97:98], -v[93:94], v[95:96], 1.0
	v_fma_f64 v[95:96], v[95:96], v[97:98], v[95:96]
	v_fma_f64 v[97:98], -v[93:94], v[95:96], 1.0
	v_fma_f64 v[95:96], v[95:96], v[97:98], v[95:96]
	v_mul_f64 v[97:98], v[99:100], v[95:96]
	v_fma_f64 v[93:94], -v[93:94], v[97:98], v[99:100]
	v_div_fmas_f64 v[93:94], v[93:94], v[95:96], v[97:98]
	v_div_fixup_f64 v[117:118], v[93:94], v[91:92], 1.0
	v_mul_f64 v[119:120], v[86:87], -v[117:118]
.LBB116_408:
	s_or_b64 exec, exec, s[18:19]
.LBB116_409:
	s_or_b64 exec, exec, s[0:1]
	v_cmp_ne_u32_e32 vcc, v89, v85
	s_and_saveexec_b64 s[0:1], vcc
	s_xor_b64 s[0:1], exec, s[0:1]
	s_cbranch_execz .LBB116_415
; %bb.410:
	v_cmp_eq_u32_e32 vcc, 19, v89
	s_and_saveexec_b64 s[18:19], vcc
	s_cbranch_execz .LBB116_414
; %bb.411:
	v_cmp_ne_u32_e32 vcc, 19, v85
	s_xor_b64 s[20:21], s[6:7], -1
	s_and_b64 s[22:23], s[20:21], vcc
	s_and_saveexec_b64 s[20:21], s[22:23]
	s_cbranch_execz .LBB116_413
; %bb.412:
	v_mov_b32_e32 v77, v81
	v_mov_b32_e32 v78, v82
	v_mov_b32_e32 v79, v83
	v_mov_b32_e32 v80, v84
	buffer_load_dword v81, off, s[24:27], 0 offset:500 ; 4-byte Folded Reload
	buffer_load_dword v82, off, s[24:27], 0 offset:504 ; 4-byte Folded Reload
	v_ashrrev_i32_e32 v86, 31, v85
	v_lshlrev_b64 v[86:87], 2, v[85:86]
	s_waitcnt vmcnt(1)
	v_add_co_u32_e32 v86, vcc, v81, v86
	s_waitcnt vmcnt(0)
	v_addc_co_u32_e32 v87, vcc, v82, v87, vcc
	global_load_dword v88, v[86:87], off
	global_load_dword v89, v[81:82], off offset:76
	s_waitcnt vmcnt(1)
	global_store_dword v[81:82], v88, off offset:76
	v_mov_b32_e32 v84, v80
	v_mov_b32_e32 v83, v79
	;; [unrolled: 1-line block ×4, first 2 shown]
	s_waitcnt vmcnt(1)
	global_store_dword v[86:87], v89, off
.LBB116_413:
	s_or_b64 exec, exec, s[20:21]
	v_mov_b32_e32 v89, v85
	v_mov_b32_e32 v77, v85
	buffer_store_dword v77, off, s[24:27], 0 offset:432 ; 4-byte Folded Spill
.LBB116_414:
	s_or_b64 exec, exec, s[18:19]
.LBB116_415:
	s_andn2_saveexec_b64 s[0:1], s[0:1]
	s_cbranch_execz .LBB116_417
; %bb.416:
	buffer_load_dword v77, off, s[24:27], 0 offset:224 ; 4-byte Folded Reload
	buffer_load_dword v78, off, s[24:27], 0 offset:228 ; 4-byte Folded Reload
	;; [unrolled: 1-line block ×4, first 2 shown]
	v_mov_b32_e32 v89, 19
	s_waitcnt vmcnt(0)
	ds_write2_b64 v0, v[77:78], v[79:80] offset0:40 offset1:41
	buffer_load_dword v77, off, s[24:27], 0 offset:208 ; 4-byte Folded Reload
	buffer_load_dword v78, off, s[24:27], 0 offset:212 ; 4-byte Folded Reload
	buffer_load_dword v79, off, s[24:27], 0 offset:216 ; 4-byte Folded Reload
	buffer_load_dword v80, off, s[24:27], 0 offset:220 ; 4-byte Folded Reload
	s_waitcnt vmcnt(0)
	ds_write2_b64 v0, v[77:78], v[79:80] offset0:42 offset1:43
	buffer_load_dword v77, off, s[24:27], 0 offset:192 ; 4-byte Folded Reload
	buffer_load_dword v78, off, s[24:27], 0 offset:196 ; 4-byte Folded Reload
	buffer_load_dword v79, off, s[24:27], 0 offset:200 ; 4-byte Folded Reload
	buffer_load_dword v80, off, s[24:27], 0 offset:204 ; 4-byte Folded Reload
	;; [unrolled: 6-line block ×13, first 2 shown]
	s_waitcnt vmcnt(0)
	ds_write2_b64 v0, v[77:78], v[79:80] offset0:66 offset1:67
	ds_write2_b64 v0, v[81:82], v[83:84] offset0:68 offset1:69
	;; [unrolled: 1-line block ×5, first 2 shown]
	buffer_load_dword v77, off, s[24:27], 0 ; 4-byte Folded Reload
	buffer_load_dword v78, off, s[24:27], 0 offset:4 ; 4-byte Folded Reload
	buffer_load_dword v79, off, s[24:27], 0 offset:8 ; 4-byte Folded Reload
	;; [unrolled: 1-line block ×3, first 2 shown]
	s_waitcnt vmcnt(0)
	ds_write2_b64 v0, v[77:78], v[79:80] offset0:76 offset1:77
	ds_write2_b64 v0, v[73:74], v[75:76] offset0:78 offset1:79
	;; [unrolled: 1-line block ×21, first 2 shown]
.LBB116_417:
	s_or_b64 exec, exec, s[0:1]
	v_cmp_lt_i32_e32 vcc, 19, v89
	s_waitcnt vmcnt(0) lgkmcnt(0)
	s_barrier
	s_and_saveexec_b64 s[0:1], vcc
	s_cbranch_execz .LBB116_419
; %bb.418:
	buffer_load_dword v91, off, s[24:27], 0 offset:240 ; 4-byte Folded Reload
	buffer_load_dword v92, off, s[24:27], 0 offset:244 ; 4-byte Folded Reload
	buffer_load_dword v93, off, s[24:27], 0 offset:248 ; 4-byte Folded Reload
	buffer_load_dword v94, off, s[24:27], 0 offset:252 ; 4-byte Folded Reload
	s_waitcnt vmcnt(0)
	v_mul_f64 v[85:86], v[119:120], v[93:94]
	v_fma_f64 v[125:126], v[117:118], v[91:92], -v[85:86]
	v_mul_f64 v[85:86], v[117:118], v[93:94]
	v_fma_f64 v[93:94], v[119:120], v[91:92], v[85:86]
	ds_read2_b64 v[85:88], v0 offset0:40 offset1:41
	buffer_load_dword v77, off, s[24:27], 0 offset:224 ; 4-byte Folded Reload
	buffer_load_dword v78, off, s[24:27], 0 offset:228 ; 4-byte Folded Reload
	buffer_load_dword v79, off, s[24:27], 0 offset:232 ; 4-byte Folded Reload
	buffer_load_dword v80, off, s[24:27], 0 offset:236 ; 4-byte Folded Reload
	s_waitcnt lgkmcnt(0)
	v_mul_f64 v[91:92], v[87:88], v[93:94]
	v_fma_f64 v[91:92], v[85:86], v[125:126], -v[91:92]
	v_mul_f64 v[85:86], v[85:86], v[93:94]
	v_fma_f64 v[85:86], v[87:88], v[125:126], v[85:86]
	s_waitcnt vmcnt(2)
	v_add_f64 v[77:78], v[77:78], -v[91:92]
	s_waitcnt vmcnt(0)
	v_add_f64 v[79:80], v[79:80], -v[85:86]
	buffer_store_dword v77, off, s[24:27], 0 offset:224 ; 4-byte Folded Spill
	s_nop 0
	buffer_store_dword v78, off, s[24:27], 0 offset:228 ; 4-byte Folded Spill
	buffer_store_dword v79, off, s[24:27], 0 offset:232 ; 4-byte Folded Spill
	buffer_store_dword v80, off, s[24:27], 0 offset:236 ; 4-byte Folded Spill
	ds_read2_b64 v[85:88], v0 offset0:42 offset1:43
	buffer_load_dword v77, off, s[24:27], 0 offset:208 ; 4-byte Folded Reload
	buffer_load_dword v78, off, s[24:27], 0 offset:212 ; 4-byte Folded Reload
	buffer_load_dword v79, off, s[24:27], 0 offset:216 ; 4-byte Folded Reload
	buffer_load_dword v80, off, s[24:27], 0 offset:220 ; 4-byte Folded Reload
	s_waitcnt lgkmcnt(0)
	v_mul_f64 v[91:92], v[87:88], v[93:94]
	v_fma_f64 v[91:92], v[85:86], v[125:126], -v[91:92]
	v_mul_f64 v[85:86], v[85:86], v[93:94]
	v_fma_f64 v[85:86], v[87:88], v[125:126], v[85:86]
	s_waitcnt vmcnt(2)
	v_add_f64 v[77:78], v[77:78], -v[91:92]
	s_waitcnt vmcnt(0)
	v_add_f64 v[79:80], v[79:80], -v[85:86]
	buffer_store_dword v77, off, s[24:27], 0 offset:208 ; 4-byte Folded Spill
	s_nop 0
	buffer_store_dword v78, off, s[24:27], 0 offset:212 ; 4-byte Folded Spill
	buffer_store_dword v79, off, s[24:27], 0 offset:216 ; 4-byte Folded Spill
	buffer_store_dword v80, off, s[24:27], 0 offset:220 ; 4-byte Folded Spill
	ds_read2_b64 v[85:88], v0 offset0:44 offset1:45
	buffer_load_dword v77, off, s[24:27], 0 offset:192 ; 4-byte Folded Reload
	buffer_load_dword v78, off, s[24:27], 0 offset:196 ; 4-byte Folded Reload
	buffer_load_dword v79, off, s[24:27], 0 offset:200 ; 4-byte Folded Reload
	buffer_load_dword v80, off, s[24:27], 0 offset:204 ; 4-byte Folded Reload
	s_waitcnt lgkmcnt(0)
	v_mul_f64 v[91:92], v[87:88], v[93:94]
	v_fma_f64 v[91:92], v[85:86], v[125:126], -v[91:92]
	v_mul_f64 v[85:86], v[85:86], v[93:94]
	v_fma_f64 v[85:86], v[87:88], v[125:126], v[85:86]
	s_waitcnt vmcnt(2)
	v_add_f64 v[77:78], v[77:78], -v[91:92]
	s_waitcnt vmcnt(0)
	v_add_f64 v[79:80], v[79:80], -v[85:86]
	buffer_store_dword v77, off, s[24:27], 0 offset:192 ; 4-byte Folded Spill
	s_nop 0
	buffer_store_dword v78, off, s[24:27], 0 offset:196 ; 4-byte Folded Spill
	buffer_store_dword v79, off, s[24:27], 0 offset:200 ; 4-byte Folded Spill
	buffer_store_dword v80, off, s[24:27], 0 offset:204 ; 4-byte Folded Spill
	ds_read2_b64 v[85:88], v0 offset0:46 offset1:47
	buffer_load_dword v77, off, s[24:27], 0 offset:176 ; 4-byte Folded Reload
	buffer_load_dword v78, off, s[24:27], 0 offset:180 ; 4-byte Folded Reload
	buffer_load_dword v79, off, s[24:27], 0 offset:184 ; 4-byte Folded Reload
	buffer_load_dword v80, off, s[24:27], 0 offset:188 ; 4-byte Folded Reload
	s_waitcnt lgkmcnt(0)
	v_mul_f64 v[91:92], v[87:88], v[93:94]
	v_fma_f64 v[91:92], v[85:86], v[125:126], -v[91:92]
	v_mul_f64 v[85:86], v[85:86], v[93:94]
	v_fma_f64 v[85:86], v[87:88], v[125:126], v[85:86]
	s_waitcnt vmcnt(2)
	v_add_f64 v[77:78], v[77:78], -v[91:92]
	s_waitcnt vmcnt(0)
	v_add_f64 v[79:80], v[79:80], -v[85:86]
	buffer_store_dword v77, off, s[24:27], 0 offset:176 ; 4-byte Folded Spill
	s_nop 0
	buffer_store_dword v78, off, s[24:27], 0 offset:180 ; 4-byte Folded Spill
	buffer_store_dword v79, off, s[24:27], 0 offset:184 ; 4-byte Folded Spill
	buffer_store_dword v80, off, s[24:27], 0 offset:188 ; 4-byte Folded Spill
	ds_read2_b64 v[85:88], v0 offset0:48 offset1:49
	buffer_load_dword v77, off, s[24:27], 0 offset:160 ; 4-byte Folded Reload
	buffer_load_dword v78, off, s[24:27], 0 offset:164 ; 4-byte Folded Reload
	buffer_load_dword v79, off, s[24:27], 0 offset:168 ; 4-byte Folded Reload
	buffer_load_dword v80, off, s[24:27], 0 offset:172 ; 4-byte Folded Reload
	s_waitcnt lgkmcnt(0)
	v_mul_f64 v[91:92], v[87:88], v[93:94]
	v_fma_f64 v[91:92], v[85:86], v[125:126], -v[91:92]
	v_mul_f64 v[85:86], v[85:86], v[93:94]
	v_fma_f64 v[85:86], v[87:88], v[125:126], v[85:86]
	s_waitcnt vmcnt(2)
	v_add_f64 v[77:78], v[77:78], -v[91:92]
	s_waitcnt vmcnt(0)
	v_add_f64 v[79:80], v[79:80], -v[85:86]
	buffer_store_dword v77, off, s[24:27], 0 offset:160 ; 4-byte Folded Spill
	s_nop 0
	buffer_store_dword v78, off, s[24:27], 0 offset:164 ; 4-byte Folded Spill
	buffer_store_dword v79, off, s[24:27], 0 offset:168 ; 4-byte Folded Spill
	buffer_store_dword v80, off, s[24:27], 0 offset:172 ; 4-byte Folded Spill
	ds_read2_b64 v[85:88], v0 offset0:50 offset1:51
	buffer_load_dword v77, off, s[24:27], 0 offset:144 ; 4-byte Folded Reload
	buffer_load_dword v78, off, s[24:27], 0 offset:148 ; 4-byte Folded Reload
	buffer_load_dword v79, off, s[24:27], 0 offset:152 ; 4-byte Folded Reload
	buffer_load_dword v80, off, s[24:27], 0 offset:156 ; 4-byte Folded Reload
	s_waitcnt lgkmcnt(0)
	v_mul_f64 v[91:92], v[87:88], v[93:94]
	v_fma_f64 v[91:92], v[85:86], v[125:126], -v[91:92]
	v_mul_f64 v[85:86], v[85:86], v[93:94]
	v_fma_f64 v[85:86], v[87:88], v[125:126], v[85:86]
	s_waitcnt vmcnt(2)
	v_add_f64 v[77:78], v[77:78], -v[91:92]
	s_waitcnt vmcnt(0)
	v_add_f64 v[79:80], v[79:80], -v[85:86]
	buffer_store_dword v77, off, s[24:27], 0 offset:144 ; 4-byte Folded Spill
	s_nop 0
	buffer_store_dword v78, off, s[24:27], 0 offset:148 ; 4-byte Folded Spill
	buffer_store_dword v79, off, s[24:27], 0 offset:152 ; 4-byte Folded Spill
	buffer_store_dword v80, off, s[24:27], 0 offset:156 ; 4-byte Folded Spill
	ds_read2_b64 v[85:88], v0 offset0:52 offset1:53
	buffer_load_dword v77, off, s[24:27], 0 offset:128 ; 4-byte Folded Reload
	buffer_load_dword v78, off, s[24:27], 0 offset:132 ; 4-byte Folded Reload
	buffer_load_dword v79, off, s[24:27], 0 offset:136 ; 4-byte Folded Reload
	buffer_load_dword v80, off, s[24:27], 0 offset:140 ; 4-byte Folded Reload
	s_waitcnt lgkmcnt(0)
	v_mul_f64 v[91:92], v[87:88], v[93:94]
	v_fma_f64 v[91:92], v[85:86], v[125:126], -v[91:92]
	v_mul_f64 v[85:86], v[85:86], v[93:94]
	v_fma_f64 v[85:86], v[87:88], v[125:126], v[85:86]
	s_waitcnt vmcnt(2)
	v_add_f64 v[77:78], v[77:78], -v[91:92]
	s_waitcnt vmcnt(0)
	v_add_f64 v[79:80], v[79:80], -v[85:86]
	buffer_store_dword v77, off, s[24:27], 0 offset:128 ; 4-byte Folded Spill
	s_nop 0
	buffer_store_dword v78, off, s[24:27], 0 offset:132 ; 4-byte Folded Spill
	buffer_store_dword v79, off, s[24:27], 0 offset:136 ; 4-byte Folded Spill
	buffer_store_dword v80, off, s[24:27], 0 offset:140 ; 4-byte Folded Spill
	ds_read2_b64 v[85:88], v0 offset0:54 offset1:55
	buffer_load_dword v77, off, s[24:27], 0 offset:112 ; 4-byte Folded Reload
	buffer_load_dword v78, off, s[24:27], 0 offset:116 ; 4-byte Folded Reload
	buffer_load_dword v79, off, s[24:27], 0 offset:120 ; 4-byte Folded Reload
	buffer_load_dword v80, off, s[24:27], 0 offset:124 ; 4-byte Folded Reload
	s_waitcnt lgkmcnt(0)
	v_mul_f64 v[91:92], v[87:88], v[93:94]
	v_fma_f64 v[91:92], v[85:86], v[125:126], -v[91:92]
	v_mul_f64 v[85:86], v[85:86], v[93:94]
	v_fma_f64 v[85:86], v[87:88], v[125:126], v[85:86]
	s_waitcnt vmcnt(2)
	v_add_f64 v[77:78], v[77:78], -v[91:92]
	s_waitcnt vmcnt(0)
	v_add_f64 v[79:80], v[79:80], -v[85:86]
	buffer_store_dword v77, off, s[24:27], 0 offset:112 ; 4-byte Folded Spill
	s_nop 0
	buffer_store_dword v78, off, s[24:27], 0 offset:116 ; 4-byte Folded Spill
	buffer_store_dword v79, off, s[24:27], 0 offset:120 ; 4-byte Folded Spill
	buffer_store_dword v80, off, s[24:27], 0 offset:124 ; 4-byte Folded Spill
	ds_read2_b64 v[85:88], v0 offset0:56 offset1:57
	buffer_load_dword v77, off, s[24:27], 0 offset:96 ; 4-byte Folded Reload
	buffer_load_dword v78, off, s[24:27], 0 offset:100 ; 4-byte Folded Reload
	buffer_load_dword v79, off, s[24:27], 0 offset:104 ; 4-byte Folded Reload
	buffer_load_dword v80, off, s[24:27], 0 offset:108 ; 4-byte Folded Reload
	s_waitcnt lgkmcnt(0)
	v_mul_f64 v[91:92], v[87:88], v[93:94]
	v_fma_f64 v[91:92], v[85:86], v[125:126], -v[91:92]
	v_mul_f64 v[85:86], v[85:86], v[93:94]
	v_fma_f64 v[85:86], v[87:88], v[125:126], v[85:86]
	s_waitcnt vmcnt(2)
	v_add_f64 v[77:78], v[77:78], -v[91:92]
	s_waitcnt vmcnt(0)
	v_add_f64 v[79:80], v[79:80], -v[85:86]
	buffer_store_dword v77, off, s[24:27], 0 offset:96 ; 4-byte Folded Spill
	s_nop 0
	buffer_store_dword v78, off, s[24:27], 0 offset:100 ; 4-byte Folded Spill
	buffer_store_dword v79, off, s[24:27], 0 offset:104 ; 4-byte Folded Spill
	buffer_store_dword v80, off, s[24:27], 0 offset:108 ; 4-byte Folded Spill
	ds_read2_b64 v[85:88], v0 offset0:58 offset1:59
	buffer_load_dword v77, off, s[24:27], 0 offset:80 ; 4-byte Folded Reload
	buffer_load_dword v78, off, s[24:27], 0 offset:84 ; 4-byte Folded Reload
	buffer_load_dword v79, off, s[24:27], 0 offset:88 ; 4-byte Folded Reload
	buffer_load_dword v80, off, s[24:27], 0 offset:92 ; 4-byte Folded Reload
	s_waitcnt lgkmcnt(0)
	v_mul_f64 v[91:92], v[87:88], v[93:94]
	v_fma_f64 v[91:92], v[85:86], v[125:126], -v[91:92]
	v_mul_f64 v[85:86], v[85:86], v[93:94]
	v_fma_f64 v[85:86], v[87:88], v[125:126], v[85:86]
	s_waitcnt vmcnt(2)
	v_add_f64 v[77:78], v[77:78], -v[91:92]
	s_waitcnt vmcnt(0)
	v_add_f64 v[79:80], v[79:80], -v[85:86]
	buffer_store_dword v77, off, s[24:27], 0 offset:80 ; 4-byte Folded Spill
	s_nop 0
	buffer_store_dword v78, off, s[24:27], 0 offset:84 ; 4-byte Folded Spill
	buffer_store_dword v79, off, s[24:27], 0 offset:88 ; 4-byte Folded Spill
	buffer_store_dword v80, off, s[24:27], 0 offset:92 ; 4-byte Folded Spill
	ds_read2_b64 v[85:88], v0 offset0:60 offset1:61
	buffer_load_dword v77, off, s[24:27], 0 offset:64 ; 4-byte Folded Reload
	buffer_load_dword v78, off, s[24:27], 0 offset:68 ; 4-byte Folded Reload
	buffer_load_dword v79, off, s[24:27], 0 offset:72 ; 4-byte Folded Reload
	buffer_load_dword v80, off, s[24:27], 0 offset:76 ; 4-byte Folded Reload
	s_waitcnt lgkmcnt(0)
	v_mul_f64 v[91:92], v[87:88], v[93:94]
	v_fma_f64 v[91:92], v[85:86], v[125:126], -v[91:92]
	v_mul_f64 v[85:86], v[85:86], v[93:94]
	v_fma_f64 v[85:86], v[87:88], v[125:126], v[85:86]
	s_waitcnt vmcnt(2)
	v_add_f64 v[77:78], v[77:78], -v[91:92]
	s_waitcnt vmcnt(0)
	v_add_f64 v[79:80], v[79:80], -v[85:86]
	buffer_store_dword v77, off, s[24:27], 0 offset:64 ; 4-byte Folded Spill
	s_nop 0
	buffer_store_dword v78, off, s[24:27], 0 offset:68 ; 4-byte Folded Spill
	buffer_store_dword v79, off, s[24:27], 0 offset:72 ; 4-byte Folded Spill
	buffer_store_dword v80, off, s[24:27], 0 offset:76 ; 4-byte Folded Spill
	ds_read2_b64 v[85:88], v0 offset0:62 offset1:63
	buffer_load_dword v77, off, s[24:27], 0 offset:48 ; 4-byte Folded Reload
	buffer_load_dword v78, off, s[24:27], 0 offset:52 ; 4-byte Folded Reload
	buffer_load_dword v79, off, s[24:27], 0 offset:56 ; 4-byte Folded Reload
	buffer_load_dword v80, off, s[24:27], 0 offset:60 ; 4-byte Folded Reload
	s_waitcnt lgkmcnt(0)
	v_mul_f64 v[91:92], v[87:88], v[93:94]
	v_fma_f64 v[91:92], v[85:86], v[125:126], -v[91:92]
	v_mul_f64 v[85:86], v[85:86], v[93:94]
	v_fma_f64 v[85:86], v[87:88], v[125:126], v[85:86]
	s_waitcnt vmcnt(2)
	v_add_f64 v[77:78], v[77:78], -v[91:92]
	s_waitcnt vmcnt(0)
	v_add_f64 v[79:80], v[79:80], -v[85:86]
	buffer_store_dword v77, off, s[24:27], 0 offset:48 ; 4-byte Folded Spill
	s_nop 0
	buffer_store_dword v78, off, s[24:27], 0 offset:52 ; 4-byte Folded Spill
	buffer_store_dword v79, off, s[24:27], 0 offset:56 ; 4-byte Folded Spill
	buffer_store_dword v80, off, s[24:27], 0 offset:60 ; 4-byte Folded Spill
	ds_read2_b64 v[85:88], v0 offset0:64 offset1:65
	buffer_load_dword v77, off, s[24:27], 0 offset:32 ; 4-byte Folded Reload
	buffer_load_dword v78, off, s[24:27], 0 offset:36 ; 4-byte Folded Reload
	buffer_load_dword v79, off, s[24:27], 0 offset:40 ; 4-byte Folded Reload
	buffer_load_dword v80, off, s[24:27], 0 offset:44 ; 4-byte Folded Reload
	s_waitcnt lgkmcnt(0)
	v_mul_f64 v[91:92], v[87:88], v[93:94]
	v_fma_f64 v[91:92], v[85:86], v[125:126], -v[91:92]
	v_mul_f64 v[85:86], v[85:86], v[93:94]
	v_fma_f64 v[85:86], v[87:88], v[125:126], v[85:86]
	s_waitcnt vmcnt(2)
	v_add_f64 v[77:78], v[77:78], -v[91:92]
	s_waitcnt vmcnt(0)
	v_add_f64 v[79:80], v[79:80], -v[85:86]
	buffer_store_dword v77, off, s[24:27], 0 offset:32 ; 4-byte Folded Spill
	s_nop 0
	buffer_store_dword v78, off, s[24:27], 0 offset:36 ; 4-byte Folded Spill
	buffer_store_dword v79, off, s[24:27], 0 offset:40 ; 4-byte Folded Spill
	buffer_store_dword v80, off, s[24:27], 0 offset:44 ; 4-byte Folded Spill
	ds_read2_b64 v[85:88], v0 offset0:66 offset1:67
	buffer_load_dword v77, off, s[24:27], 0 offset:16 ; 4-byte Folded Reload
	buffer_load_dword v78, off, s[24:27], 0 offset:20 ; 4-byte Folded Reload
	buffer_load_dword v79, off, s[24:27], 0 offset:24 ; 4-byte Folded Reload
	buffer_load_dword v80, off, s[24:27], 0 offset:28 ; 4-byte Folded Reload
	s_waitcnt lgkmcnt(0)
	v_mul_f64 v[91:92], v[87:88], v[93:94]
	v_fma_f64 v[91:92], v[85:86], v[125:126], -v[91:92]
	v_mul_f64 v[85:86], v[85:86], v[93:94]
	v_fma_f64 v[85:86], v[87:88], v[125:126], v[85:86]
	s_waitcnt vmcnt(2)
	v_add_f64 v[77:78], v[77:78], -v[91:92]
	s_waitcnt vmcnt(0)
	v_add_f64 v[79:80], v[79:80], -v[85:86]
	buffer_store_dword v77, off, s[24:27], 0 offset:16 ; 4-byte Folded Spill
	s_nop 0
	buffer_store_dword v78, off, s[24:27], 0 offset:20 ; 4-byte Folded Spill
	buffer_store_dword v79, off, s[24:27], 0 offset:24 ; 4-byte Folded Spill
	buffer_store_dword v80, off, s[24:27], 0 offset:28 ; 4-byte Folded Spill
	ds_read2_b64 v[85:88], v0 offset0:68 offset1:69
	s_waitcnt lgkmcnt(0)
	v_mul_f64 v[91:92], v[87:88], v[93:94]
	v_fma_f64 v[91:92], v[85:86], v[125:126], -v[91:92]
	v_mul_f64 v[85:86], v[85:86], v[93:94]
	v_add_f64 v[81:82], v[81:82], -v[91:92]
	v_fma_f64 v[85:86], v[87:88], v[125:126], v[85:86]
	v_add_f64 v[83:84], v[83:84], -v[85:86]
	ds_read2_b64 v[85:88], v0 offset0:70 offset1:71
	s_waitcnt lgkmcnt(0)
	v_mul_f64 v[91:92], v[87:88], v[93:94]
	v_fma_f64 v[91:92], v[85:86], v[125:126], -v[91:92]
	v_mul_f64 v[85:86], v[85:86], v[93:94]
	v_add_f64 v[113:114], v[113:114], -v[91:92]
	v_fma_f64 v[85:86], v[87:88], v[125:126], v[85:86]
	v_add_f64 v[115:116], v[115:116], -v[85:86]
	ds_read2_b64 v[85:88], v0 offset0:72 offset1:73
	s_waitcnt lgkmcnt(0)
	v_mul_f64 v[91:92], v[87:88], v[93:94]
	v_fma_f64 v[91:92], v[85:86], v[125:126], -v[91:92]
	v_mul_f64 v[85:86], v[85:86], v[93:94]
	v_add_f64 v[109:110], v[109:110], -v[91:92]
	v_fma_f64 v[85:86], v[87:88], v[125:126], v[85:86]
	v_add_f64 v[111:112], v[111:112], -v[85:86]
	ds_read2_b64 v[85:88], v0 offset0:74 offset1:75
	s_waitcnt lgkmcnt(0)
	v_mul_f64 v[91:92], v[87:88], v[93:94]
	v_fma_f64 v[91:92], v[85:86], v[125:126], -v[91:92]
	v_mul_f64 v[85:86], v[85:86], v[93:94]
	v_add_f64 v[105:106], v[105:106], -v[91:92]
	v_fma_f64 v[85:86], v[87:88], v[125:126], v[85:86]
	v_add_f64 v[107:108], v[107:108], -v[85:86]
	ds_read2_b64 v[85:88], v0 offset0:76 offset1:77
	buffer_load_dword v77, off, s[24:27], 0 ; 4-byte Folded Reload
	buffer_load_dword v78, off, s[24:27], 0 offset:4 ; 4-byte Folded Reload
	buffer_load_dword v79, off, s[24:27], 0 offset:8 ; 4-byte Folded Reload
	;; [unrolled: 1-line block ×3, first 2 shown]
	s_waitcnt lgkmcnt(0)
	v_mul_f64 v[91:92], v[87:88], v[93:94]
	v_fma_f64 v[91:92], v[85:86], v[125:126], -v[91:92]
	v_mul_f64 v[85:86], v[85:86], v[93:94]
	v_fma_f64 v[85:86], v[87:88], v[125:126], v[85:86]
	s_waitcnt vmcnt(2)
	v_add_f64 v[77:78], v[77:78], -v[91:92]
	s_waitcnt vmcnt(0)
	v_add_f64 v[79:80], v[79:80], -v[85:86]
	buffer_store_dword v77, off, s[24:27], 0 ; 4-byte Folded Spill
	s_nop 0
	buffer_store_dword v78, off, s[24:27], 0 offset:4 ; 4-byte Folded Spill
	buffer_store_dword v79, off, s[24:27], 0 offset:8 ; 4-byte Folded Spill
	;; [unrolled: 1-line block ×3, first 2 shown]
	ds_read2_b64 v[85:88], v0 offset0:78 offset1:79
	s_waitcnt lgkmcnt(0)
	v_mul_f64 v[91:92], v[87:88], v[93:94]
	v_fma_f64 v[91:92], v[85:86], v[125:126], -v[91:92]
	v_mul_f64 v[85:86], v[85:86], v[93:94]
	v_add_f64 v[73:74], v[73:74], -v[91:92]
	v_fma_f64 v[85:86], v[87:88], v[125:126], v[85:86]
	v_add_f64 v[75:76], v[75:76], -v[85:86]
	ds_read2_b64 v[85:88], v0 offset0:80 offset1:81
	s_waitcnt lgkmcnt(0)
	v_mul_f64 v[91:92], v[87:88], v[93:94]
	v_fma_f64 v[91:92], v[85:86], v[125:126], -v[91:92]
	v_mul_f64 v[85:86], v[85:86], v[93:94]
	v_add_f64 v[69:70], v[69:70], -v[91:92]
	v_fma_f64 v[85:86], v[87:88], v[125:126], v[85:86]
	v_add_f64 v[71:72], v[71:72], -v[85:86]
	;; [unrolled: 8-line block ×19, first 2 shown]
	ds_read2_b64 v[85:88], v0 offset0:116 offset1:117
	s_waitcnt lgkmcnt(0)
	v_mul_f64 v[91:92], v[87:88], v[93:94]
	v_fma_f64 v[91:92], v[85:86], v[125:126], -v[91:92]
	v_mul_f64 v[85:86], v[85:86], v[93:94]
	v_add_f64 v[121:122], v[121:122], -v[91:92]
	v_fma_f64 v[85:86], v[87:88], v[125:126], v[85:86]
	v_mov_b32_e32 v91, v125
	v_mov_b32_e32 v92, v126
	buffer_store_dword v91, off, s[24:27], 0 offset:240 ; 4-byte Folded Spill
	s_nop 0
	buffer_store_dword v92, off, s[24:27], 0 offset:244 ; 4-byte Folded Spill
	buffer_store_dword v93, off, s[24:27], 0 offset:248 ; 4-byte Folded Spill
	;; [unrolled: 1-line block ×3, first 2 shown]
	v_add_f64 v[123:124], v[123:124], -v[85:86]
.LBB116_419:
	s_or_b64 exec, exec, s[0:1]
	s_waitcnt vmcnt(0)
	s_barrier
	buffer_load_dword v77, off, s[24:27], 0 offset:224 ; 4-byte Folded Reload
	buffer_load_dword v78, off, s[24:27], 0 offset:228 ; 4-byte Folded Reload
	buffer_load_dword v79, off, s[24:27], 0 offset:232 ; 4-byte Folded Reload
	buffer_load_dword v80, off, s[24:27], 0 offset:236 ; 4-byte Folded Reload
	v_lshl_add_u32 v85, v89, 4, v0
	s_cmp_lt_i32 s3, 22
	s_waitcnt vmcnt(0)
	ds_write2_b64 v85, v[77:78], v[79:80] offset1:1
	s_waitcnt lgkmcnt(0)
	s_barrier
	ds_read2_b64 v[117:120], v0 offset0:40 offset1:41
	v_mov_b32_e32 v85, 20
	s_cbranch_scc1 .LBB116_422
; %bb.420:
	v_add_u32_e32 v86, 0x150, v0
	s_mov_b32 s0, 21
	v_mov_b32_e32 v85, 20
.LBB116_421:                            ; =>This Inner Loop Header: Depth=1
	s_waitcnt lgkmcnt(0)
	v_cmp_gt_f64_e32 vcc, 0, v[117:118]
	v_xor_b32_e32 v87, 0x80000000, v118
	ds_read2_b64 v[91:94], v86 offset1:1
	v_xor_b32_e32 v95, 0x80000000, v120
	v_add_u32_e32 v86, 16, v86
	s_waitcnt lgkmcnt(0)
	v_xor_b32_e32 v97, 0x80000000, v94
	v_cndmask_b32_e32 v88, v118, v87, vcc
	v_cmp_gt_f64_e32 vcc, 0, v[119:120]
	v_mov_b32_e32 v87, v117
	v_cndmask_b32_e32 v96, v120, v95, vcc
	v_cmp_gt_f64_e32 vcc, 0, v[91:92]
	v_mov_b32_e32 v95, v119
	v_add_f64 v[87:88], v[87:88], v[95:96]
	v_xor_b32_e32 v95, 0x80000000, v92
	v_cndmask_b32_e32 v96, v92, v95, vcc
	v_cmp_gt_f64_e32 vcc, 0, v[93:94]
	v_mov_b32_e32 v95, v91
	v_cndmask_b32_e32 v98, v94, v97, vcc
	v_mov_b32_e32 v97, v93
	v_add_f64 v[95:96], v[95:96], v[97:98]
	v_cmp_lt_f64_e32 vcc, v[87:88], v[95:96]
	v_mov_b32_e32 v87, s0
	s_add_i32 s0, s0, 1
	s_cmp_lg_u32 s3, s0
	v_cndmask_b32_e32 v118, v118, v92, vcc
	v_cndmask_b32_e32 v117, v117, v91, vcc
	v_cndmask_b32_e32 v120, v120, v94, vcc
	v_cndmask_b32_e32 v119, v119, v93, vcc
	v_cndmask_b32_e32 v85, v85, v87, vcc
	s_cbranch_scc1 .LBB116_421
.LBB116_422:
	s_waitcnt lgkmcnt(0)
	v_cmp_eq_f64_e32 vcc, 0, v[117:118]
	v_cmp_eq_f64_e64 s[0:1], 0, v[119:120]
	s_and_b64 s[0:1], vcc, s[0:1]
	s_and_saveexec_b64 s[18:19], s[0:1]
	s_xor_b64 s[0:1], exec, s[18:19]
; %bb.423:
	v_cmp_ne_u32_e32 vcc, 0, v90
	v_cndmask_b32_e32 v90, 21, v90, vcc
; %bb.424:
	s_andn2_saveexec_b64 s[0:1], s[0:1]
	s_cbranch_execz .LBB116_430
; %bb.425:
	v_cmp_ngt_f64_e64 s[18:19], |v[117:118]|, |v[119:120]|
	s_and_saveexec_b64 s[20:21], s[18:19]
	s_xor_b64 s[18:19], exec, s[20:21]
	s_cbranch_execz .LBB116_427
; %bb.426:
	v_div_scale_f64 v[86:87], s[20:21], v[119:120], v[119:120], v[117:118]
	v_rcp_f64_e32 v[91:92], v[86:87]
	v_fma_f64 v[93:94], -v[86:87], v[91:92], 1.0
	v_fma_f64 v[91:92], v[91:92], v[93:94], v[91:92]
	v_div_scale_f64 v[93:94], vcc, v[117:118], v[119:120], v[117:118]
	v_fma_f64 v[95:96], -v[86:87], v[91:92], 1.0
	v_fma_f64 v[91:92], v[91:92], v[95:96], v[91:92]
	v_mul_f64 v[95:96], v[93:94], v[91:92]
	v_fma_f64 v[86:87], -v[86:87], v[95:96], v[93:94]
	v_div_fmas_f64 v[86:87], v[86:87], v[91:92], v[95:96]
	v_div_fixup_f64 v[86:87], v[86:87], v[119:120], v[117:118]
	v_fma_f64 v[91:92], v[117:118], v[86:87], v[119:120]
	v_div_scale_f64 v[93:94], s[20:21], v[91:92], v[91:92], 1.0
	v_div_scale_f64 v[99:100], vcc, 1.0, v[91:92], 1.0
	v_rcp_f64_e32 v[95:96], v[93:94]
	v_fma_f64 v[97:98], -v[93:94], v[95:96], 1.0
	v_fma_f64 v[95:96], v[95:96], v[97:98], v[95:96]
	v_fma_f64 v[97:98], -v[93:94], v[95:96], 1.0
	v_fma_f64 v[95:96], v[95:96], v[97:98], v[95:96]
	v_mul_f64 v[97:98], v[99:100], v[95:96]
	v_fma_f64 v[93:94], -v[93:94], v[97:98], v[99:100]
	v_div_fmas_f64 v[93:94], v[93:94], v[95:96], v[97:98]
	v_div_fixup_f64 v[119:120], v[93:94], v[91:92], 1.0
	v_mul_f64 v[117:118], v[86:87], v[119:120]
	v_xor_b32_e32 v120, 0x80000000, v120
.LBB116_427:
	s_andn2_saveexec_b64 s[18:19], s[18:19]
	s_cbranch_execz .LBB116_429
; %bb.428:
	v_div_scale_f64 v[86:87], s[20:21], v[117:118], v[117:118], v[119:120]
	v_rcp_f64_e32 v[91:92], v[86:87]
	v_fma_f64 v[93:94], -v[86:87], v[91:92], 1.0
	v_fma_f64 v[91:92], v[91:92], v[93:94], v[91:92]
	v_div_scale_f64 v[93:94], vcc, v[119:120], v[117:118], v[119:120]
	v_fma_f64 v[95:96], -v[86:87], v[91:92], 1.0
	v_fma_f64 v[91:92], v[91:92], v[95:96], v[91:92]
	v_mul_f64 v[95:96], v[93:94], v[91:92]
	v_fma_f64 v[86:87], -v[86:87], v[95:96], v[93:94]
	v_div_fmas_f64 v[86:87], v[86:87], v[91:92], v[95:96]
	v_div_fixup_f64 v[86:87], v[86:87], v[117:118], v[119:120]
	v_fma_f64 v[91:92], v[119:120], v[86:87], v[117:118]
	v_div_scale_f64 v[93:94], s[20:21], v[91:92], v[91:92], 1.0
	v_div_scale_f64 v[99:100], vcc, 1.0, v[91:92], 1.0
	v_rcp_f64_e32 v[95:96], v[93:94]
	v_fma_f64 v[97:98], -v[93:94], v[95:96], 1.0
	v_fma_f64 v[95:96], v[95:96], v[97:98], v[95:96]
	v_fma_f64 v[97:98], -v[93:94], v[95:96], 1.0
	v_fma_f64 v[95:96], v[95:96], v[97:98], v[95:96]
	v_mul_f64 v[97:98], v[99:100], v[95:96]
	v_fma_f64 v[93:94], -v[93:94], v[97:98], v[99:100]
	v_div_fmas_f64 v[93:94], v[93:94], v[95:96], v[97:98]
	v_div_fixup_f64 v[117:118], v[93:94], v[91:92], 1.0
	v_mul_f64 v[119:120], v[86:87], -v[117:118]
.LBB116_429:
	s_or_b64 exec, exec, s[18:19]
.LBB116_430:
	s_or_b64 exec, exec, s[0:1]
	v_cmp_ne_u32_e32 vcc, v89, v85
	s_and_saveexec_b64 s[0:1], vcc
	s_xor_b64 s[0:1], exec, s[0:1]
	s_cbranch_execz .LBB116_436
; %bb.431:
	v_cmp_eq_u32_e32 vcc, 20, v89
	s_and_saveexec_b64 s[18:19], vcc
	s_cbranch_execz .LBB116_435
; %bb.432:
	v_cmp_ne_u32_e32 vcc, 20, v85
	s_xor_b64 s[20:21], s[6:7], -1
	s_and_b64 s[22:23], s[20:21], vcc
	s_and_saveexec_b64 s[20:21], s[22:23]
	s_cbranch_execz .LBB116_434
; %bb.433:
	v_mov_b32_e32 v77, v81
	v_mov_b32_e32 v78, v82
	v_mov_b32_e32 v79, v83
	v_mov_b32_e32 v80, v84
	buffer_load_dword v81, off, s[24:27], 0 offset:500 ; 4-byte Folded Reload
	buffer_load_dword v82, off, s[24:27], 0 offset:504 ; 4-byte Folded Reload
	v_ashrrev_i32_e32 v86, 31, v85
	v_lshlrev_b64 v[86:87], 2, v[85:86]
	s_waitcnt vmcnt(1)
	v_add_co_u32_e32 v86, vcc, v81, v86
	s_waitcnt vmcnt(0)
	v_addc_co_u32_e32 v87, vcc, v82, v87, vcc
	global_load_dword v88, v[86:87], off
	global_load_dword v89, v[81:82], off offset:80
	s_waitcnt vmcnt(1)
	global_store_dword v[81:82], v88, off offset:80
	v_mov_b32_e32 v84, v80
	v_mov_b32_e32 v83, v79
	;; [unrolled: 1-line block ×4, first 2 shown]
	s_waitcnt vmcnt(1)
	global_store_dword v[86:87], v89, off
.LBB116_434:
	s_or_b64 exec, exec, s[20:21]
	v_mov_b32_e32 v89, v85
	v_mov_b32_e32 v77, v85
	buffer_store_dword v77, off, s[24:27], 0 offset:432 ; 4-byte Folded Spill
.LBB116_435:
	s_or_b64 exec, exec, s[18:19]
.LBB116_436:
	s_andn2_saveexec_b64 s[0:1], s[0:1]
	s_cbranch_execz .LBB116_438
; %bb.437:
	buffer_load_dword v77, off, s[24:27], 0 offset:208 ; 4-byte Folded Reload
	buffer_load_dword v78, off, s[24:27], 0 offset:212 ; 4-byte Folded Reload
	;; [unrolled: 1-line block ×4, first 2 shown]
	v_mov_b32_e32 v89, 20
	s_waitcnt vmcnt(0)
	ds_write2_b64 v0, v[77:78], v[79:80] offset0:42 offset1:43
	buffer_load_dword v77, off, s[24:27], 0 offset:192 ; 4-byte Folded Reload
	buffer_load_dword v78, off, s[24:27], 0 offset:196 ; 4-byte Folded Reload
	buffer_load_dword v79, off, s[24:27], 0 offset:200 ; 4-byte Folded Reload
	buffer_load_dword v80, off, s[24:27], 0 offset:204 ; 4-byte Folded Reload
	s_waitcnt vmcnt(0)
	ds_write2_b64 v0, v[77:78], v[79:80] offset0:44 offset1:45
	buffer_load_dword v77, off, s[24:27], 0 offset:176 ; 4-byte Folded Reload
	buffer_load_dword v78, off, s[24:27], 0 offset:180 ; 4-byte Folded Reload
	buffer_load_dword v79, off, s[24:27], 0 offset:184 ; 4-byte Folded Reload
	buffer_load_dword v80, off, s[24:27], 0 offset:188 ; 4-byte Folded Reload
	;; [unrolled: 6-line block ×12, first 2 shown]
	s_waitcnt vmcnt(0)
	ds_write2_b64 v0, v[77:78], v[79:80] offset0:66 offset1:67
	ds_write2_b64 v0, v[81:82], v[83:84] offset0:68 offset1:69
	;; [unrolled: 1-line block ×5, first 2 shown]
	buffer_load_dword v77, off, s[24:27], 0 ; 4-byte Folded Reload
	buffer_load_dword v78, off, s[24:27], 0 offset:4 ; 4-byte Folded Reload
	buffer_load_dword v79, off, s[24:27], 0 offset:8 ; 4-byte Folded Reload
	;; [unrolled: 1-line block ×3, first 2 shown]
	s_waitcnt vmcnt(0)
	ds_write2_b64 v0, v[77:78], v[79:80] offset0:76 offset1:77
	ds_write2_b64 v0, v[73:74], v[75:76] offset0:78 offset1:79
	;; [unrolled: 1-line block ×21, first 2 shown]
.LBB116_438:
	s_or_b64 exec, exec, s[0:1]
	v_cmp_lt_i32_e32 vcc, 20, v89
	s_waitcnt vmcnt(0) lgkmcnt(0)
	s_barrier
	s_and_saveexec_b64 s[0:1], vcc
	s_cbranch_execz .LBB116_440
; %bb.439:
	buffer_load_dword v91, off, s[24:27], 0 offset:224 ; 4-byte Folded Reload
	buffer_load_dword v92, off, s[24:27], 0 offset:228 ; 4-byte Folded Reload
	;; [unrolled: 1-line block ×4, first 2 shown]
	s_waitcnt vmcnt(0)
	v_mul_f64 v[85:86], v[119:120], v[93:94]
	v_fma_f64 v[125:126], v[117:118], v[91:92], -v[85:86]
	v_mul_f64 v[85:86], v[117:118], v[93:94]
	v_fma_f64 v[93:94], v[119:120], v[91:92], v[85:86]
	ds_read2_b64 v[85:88], v0 offset0:42 offset1:43
	buffer_load_dword v77, off, s[24:27], 0 offset:208 ; 4-byte Folded Reload
	buffer_load_dword v78, off, s[24:27], 0 offset:212 ; 4-byte Folded Reload
	buffer_load_dword v79, off, s[24:27], 0 offset:216 ; 4-byte Folded Reload
	buffer_load_dword v80, off, s[24:27], 0 offset:220 ; 4-byte Folded Reload
	s_waitcnt lgkmcnt(0)
	v_mul_f64 v[91:92], v[87:88], v[93:94]
	v_fma_f64 v[91:92], v[85:86], v[125:126], -v[91:92]
	v_mul_f64 v[85:86], v[85:86], v[93:94]
	v_fma_f64 v[85:86], v[87:88], v[125:126], v[85:86]
	s_waitcnt vmcnt(2)
	v_add_f64 v[77:78], v[77:78], -v[91:92]
	s_waitcnt vmcnt(0)
	v_add_f64 v[79:80], v[79:80], -v[85:86]
	buffer_store_dword v77, off, s[24:27], 0 offset:208 ; 4-byte Folded Spill
	s_nop 0
	buffer_store_dword v78, off, s[24:27], 0 offset:212 ; 4-byte Folded Spill
	buffer_store_dword v79, off, s[24:27], 0 offset:216 ; 4-byte Folded Spill
	buffer_store_dword v80, off, s[24:27], 0 offset:220 ; 4-byte Folded Spill
	ds_read2_b64 v[85:88], v0 offset0:44 offset1:45
	buffer_load_dword v77, off, s[24:27], 0 offset:192 ; 4-byte Folded Reload
	buffer_load_dword v78, off, s[24:27], 0 offset:196 ; 4-byte Folded Reload
	buffer_load_dword v79, off, s[24:27], 0 offset:200 ; 4-byte Folded Reload
	buffer_load_dword v80, off, s[24:27], 0 offset:204 ; 4-byte Folded Reload
	s_waitcnt lgkmcnt(0)
	v_mul_f64 v[91:92], v[87:88], v[93:94]
	v_fma_f64 v[91:92], v[85:86], v[125:126], -v[91:92]
	v_mul_f64 v[85:86], v[85:86], v[93:94]
	v_fma_f64 v[85:86], v[87:88], v[125:126], v[85:86]
	s_waitcnt vmcnt(2)
	v_add_f64 v[77:78], v[77:78], -v[91:92]
	s_waitcnt vmcnt(0)
	v_add_f64 v[79:80], v[79:80], -v[85:86]
	buffer_store_dword v77, off, s[24:27], 0 offset:192 ; 4-byte Folded Spill
	s_nop 0
	buffer_store_dword v78, off, s[24:27], 0 offset:196 ; 4-byte Folded Spill
	buffer_store_dword v79, off, s[24:27], 0 offset:200 ; 4-byte Folded Spill
	buffer_store_dword v80, off, s[24:27], 0 offset:204 ; 4-byte Folded Spill
	;; [unrolled: 19-line block ×13, first 2 shown]
	ds_read2_b64 v[85:88], v0 offset0:68 offset1:69
	s_waitcnt lgkmcnt(0)
	v_mul_f64 v[91:92], v[87:88], v[93:94]
	v_fma_f64 v[91:92], v[85:86], v[125:126], -v[91:92]
	v_mul_f64 v[85:86], v[85:86], v[93:94]
	v_add_f64 v[81:82], v[81:82], -v[91:92]
	v_fma_f64 v[85:86], v[87:88], v[125:126], v[85:86]
	v_add_f64 v[83:84], v[83:84], -v[85:86]
	ds_read2_b64 v[85:88], v0 offset0:70 offset1:71
	s_waitcnt lgkmcnt(0)
	v_mul_f64 v[91:92], v[87:88], v[93:94]
	v_fma_f64 v[91:92], v[85:86], v[125:126], -v[91:92]
	v_mul_f64 v[85:86], v[85:86], v[93:94]
	v_add_f64 v[113:114], v[113:114], -v[91:92]
	v_fma_f64 v[85:86], v[87:88], v[125:126], v[85:86]
	v_add_f64 v[115:116], v[115:116], -v[85:86]
	;; [unrolled: 8-line block ×4, first 2 shown]
	ds_read2_b64 v[85:88], v0 offset0:76 offset1:77
	buffer_load_dword v77, off, s[24:27], 0 ; 4-byte Folded Reload
	buffer_load_dword v78, off, s[24:27], 0 offset:4 ; 4-byte Folded Reload
	buffer_load_dword v79, off, s[24:27], 0 offset:8 ; 4-byte Folded Reload
	;; [unrolled: 1-line block ×3, first 2 shown]
	s_waitcnt lgkmcnt(0)
	v_mul_f64 v[91:92], v[87:88], v[93:94]
	v_fma_f64 v[91:92], v[85:86], v[125:126], -v[91:92]
	v_mul_f64 v[85:86], v[85:86], v[93:94]
	v_fma_f64 v[85:86], v[87:88], v[125:126], v[85:86]
	s_waitcnt vmcnt(2)
	v_add_f64 v[77:78], v[77:78], -v[91:92]
	s_waitcnt vmcnt(0)
	v_add_f64 v[79:80], v[79:80], -v[85:86]
	buffer_store_dword v77, off, s[24:27], 0 ; 4-byte Folded Spill
	s_nop 0
	buffer_store_dword v78, off, s[24:27], 0 offset:4 ; 4-byte Folded Spill
	buffer_store_dword v79, off, s[24:27], 0 offset:8 ; 4-byte Folded Spill
	buffer_store_dword v80, off, s[24:27], 0 offset:12 ; 4-byte Folded Spill
	ds_read2_b64 v[85:88], v0 offset0:78 offset1:79
	s_waitcnt lgkmcnt(0)
	v_mul_f64 v[91:92], v[87:88], v[93:94]
	v_fma_f64 v[91:92], v[85:86], v[125:126], -v[91:92]
	v_mul_f64 v[85:86], v[85:86], v[93:94]
	v_add_f64 v[73:74], v[73:74], -v[91:92]
	v_fma_f64 v[85:86], v[87:88], v[125:126], v[85:86]
	v_add_f64 v[75:76], v[75:76], -v[85:86]
	ds_read2_b64 v[85:88], v0 offset0:80 offset1:81
	s_waitcnt lgkmcnt(0)
	v_mul_f64 v[91:92], v[87:88], v[93:94]
	v_fma_f64 v[91:92], v[85:86], v[125:126], -v[91:92]
	v_mul_f64 v[85:86], v[85:86], v[93:94]
	v_add_f64 v[69:70], v[69:70], -v[91:92]
	v_fma_f64 v[85:86], v[87:88], v[125:126], v[85:86]
	v_add_f64 v[71:72], v[71:72], -v[85:86]
	;; [unrolled: 8-line block ×19, first 2 shown]
	ds_read2_b64 v[85:88], v0 offset0:116 offset1:117
	s_waitcnt lgkmcnt(0)
	v_mul_f64 v[91:92], v[87:88], v[93:94]
	v_fma_f64 v[91:92], v[85:86], v[125:126], -v[91:92]
	v_mul_f64 v[85:86], v[85:86], v[93:94]
	v_add_f64 v[121:122], v[121:122], -v[91:92]
	v_fma_f64 v[85:86], v[87:88], v[125:126], v[85:86]
	v_mov_b32_e32 v91, v125
	v_mov_b32_e32 v92, v126
	buffer_store_dword v91, off, s[24:27], 0 offset:224 ; 4-byte Folded Spill
	s_nop 0
	buffer_store_dword v92, off, s[24:27], 0 offset:228 ; 4-byte Folded Spill
	buffer_store_dword v93, off, s[24:27], 0 offset:232 ; 4-byte Folded Spill
	buffer_store_dword v94, off, s[24:27], 0 offset:236 ; 4-byte Folded Spill
	v_add_f64 v[123:124], v[123:124], -v[85:86]
.LBB116_440:
	s_or_b64 exec, exec, s[0:1]
	s_waitcnt vmcnt(0)
	s_barrier
	buffer_load_dword v77, off, s[24:27], 0 offset:208 ; 4-byte Folded Reload
	buffer_load_dword v78, off, s[24:27], 0 offset:212 ; 4-byte Folded Reload
	;; [unrolled: 1-line block ×4, first 2 shown]
	v_lshl_add_u32 v85, v89, 4, v0
	s_cmp_lt_i32 s3, 23
	s_waitcnt vmcnt(0)
	ds_write2_b64 v85, v[77:78], v[79:80] offset1:1
	s_waitcnt lgkmcnt(0)
	s_barrier
	ds_read2_b64 v[117:120], v0 offset0:42 offset1:43
	v_mov_b32_e32 v85, 21
	s_cbranch_scc1 .LBB116_443
; %bb.441:
	v_add_u32_e32 v86, 0x160, v0
	s_mov_b32 s0, 22
	v_mov_b32_e32 v85, 21
.LBB116_442:                            ; =>This Inner Loop Header: Depth=1
	s_waitcnt lgkmcnt(0)
	v_cmp_gt_f64_e32 vcc, 0, v[117:118]
	v_xor_b32_e32 v87, 0x80000000, v118
	ds_read2_b64 v[91:94], v86 offset1:1
	v_xor_b32_e32 v95, 0x80000000, v120
	v_add_u32_e32 v86, 16, v86
	s_waitcnt lgkmcnt(0)
	v_xor_b32_e32 v97, 0x80000000, v94
	v_cndmask_b32_e32 v88, v118, v87, vcc
	v_cmp_gt_f64_e32 vcc, 0, v[119:120]
	v_mov_b32_e32 v87, v117
	v_cndmask_b32_e32 v96, v120, v95, vcc
	v_cmp_gt_f64_e32 vcc, 0, v[91:92]
	v_mov_b32_e32 v95, v119
	v_add_f64 v[87:88], v[87:88], v[95:96]
	v_xor_b32_e32 v95, 0x80000000, v92
	v_cndmask_b32_e32 v96, v92, v95, vcc
	v_cmp_gt_f64_e32 vcc, 0, v[93:94]
	v_mov_b32_e32 v95, v91
	v_cndmask_b32_e32 v98, v94, v97, vcc
	v_mov_b32_e32 v97, v93
	v_add_f64 v[95:96], v[95:96], v[97:98]
	v_cmp_lt_f64_e32 vcc, v[87:88], v[95:96]
	v_mov_b32_e32 v87, s0
	s_add_i32 s0, s0, 1
	s_cmp_lg_u32 s3, s0
	v_cndmask_b32_e32 v118, v118, v92, vcc
	v_cndmask_b32_e32 v117, v117, v91, vcc
	;; [unrolled: 1-line block ×5, first 2 shown]
	s_cbranch_scc1 .LBB116_442
.LBB116_443:
	s_waitcnt lgkmcnt(0)
	v_cmp_eq_f64_e32 vcc, 0, v[117:118]
	v_cmp_eq_f64_e64 s[0:1], 0, v[119:120]
	s_and_b64 s[0:1], vcc, s[0:1]
	s_and_saveexec_b64 s[18:19], s[0:1]
	s_xor_b64 s[0:1], exec, s[18:19]
; %bb.444:
	v_cmp_ne_u32_e32 vcc, 0, v90
	v_cndmask_b32_e32 v90, 22, v90, vcc
; %bb.445:
	s_andn2_saveexec_b64 s[0:1], s[0:1]
	s_cbranch_execz .LBB116_451
; %bb.446:
	v_cmp_ngt_f64_e64 s[18:19], |v[117:118]|, |v[119:120]|
	s_and_saveexec_b64 s[20:21], s[18:19]
	s_xor_b64 s[18:19], exec, s[20:21]
	s_cbranch_execz .LBB116_448
; %bb.447:
	v_div_scale_f64 v[86:87], s[20:21], v[119:120], v[119:120], v[117:118]
	v_rcp_f64_e32 v[91:92], v[86:87]
	v_fma_f64 v[93:94], -v[86:87], v[91:92], 1.0
	v_fma_f64 v[91:92], v[91:92], v[93:94], v[91:92]
	v_div_scale_f64 v[93:94], vcc, v[117:118], v[119:120], v[117:118]
	v_fma_f64 v[95:96], -v[86:87], v[91:92], 1.0
	v_fma_f64 v[91:92], v[91:92], v[95:96], v[91:92]
	v_mul_f64 v[95:96], v[93:94], v[91:92]
	v_fma_f64 v[86:87], -v[86:87], v[95:96], v[93:94]
	v_div_fmas_f64 v[86:87], v[86:87], v[91:92], v[95:96]
	v_div_fixup_f64 v[86:87], v[86:87], v[119:120], v[117:118]
	v_fma_f64 v[91:92], v[117:118], v[86:87], v[119:120]
	v_div_scale_f64 v[93:94], s[20:21], v[91:92], v[91:92], 1.0
	v_div_scale_f64 v[99:100], vcc, 1.0, v[91:92], 1.0
	v_rcp_f64_e32 v[95:96], v[93:94]
	v_fma_f64 v[97:98], -v[93:94], v[95:96], 1.0
	v_fma_f64 v[95:96], v[95:96], v[97:98], v[95:96]
	v_fma_f64 v[97:98], -v[93:94], v[95:96], 1.0
	v_fma_f64 v[95:96], v[95:96], v[97:98], v[95:96]
	v_mul_f64 v[97:98], v[99:100], v[95:96]
	v_fma_f64 v[93:94], -v[93:94], v[97:98], v[99:100]
	v_div_fmas_f64 v[93:94], v[93:94], v[95:96], v[97:98]
	v_div_fixup_f64 v[119:120], v[93:94], v[91:92], 1.0
	v_mul_f64 v[117:118], v[86:87], v[119:120]
	v_xor_b32_e32 v120, 0x80000000, v120
.LBB116_448:
	s_andn2_saveexec_b64 s[18:19], s[18:19]
	s_cbranch_execz .LBB116_450
; %bb.449:
	v_div_scale_f64 v[86:87], s[20:21], v[117:118], v[117:118], v[119:120]
	v_rcp_f64_e32 v[91:92], v[86:87]
	v_fma_f64 v[93:94], -v[86:87], v[91:92], 1.0
	v_fma_f64 v[91:92], v[91:92], v[93:94], v[91:92]
	v_div_scale_f64 v[93:94], vcc, v[119:120], v[117:118], v[119:120]
	v_fma_f64 v[95:96], -v[86:87], v[91:92], 1.0
	v_fma_f64 v[91:92], v[91:92], v[95:96], v[91:92]
	v_mul_f64 v[95:96], v[93:94], v[91:92]
	v_fma_f64 v[86:87], -v[86:87], v[95:96], v[93:94]
	v_div_fmas_f64 v[86:87], v[86:87], v[91:92], v[95:96]
	v_div_fixup_f64 v[86:87], v[86:87], v[117:118], v[119:120]
	v_fma_f64 v[91:92], v[119:120], v[86:87], v[117:118]
	v_div_scale_f64 v[93:94], s[20:21], v[91:92], v[91:92], 1.0
	v_div_scale_f64 v[99:100], vcc, 1.0, v[91:92], 1.0
	v_rcp_f64_e32 v[95:96], v[93:94]
	v_fma_f64 v[97:98], -v[93:94], v[95:96], 1.0
	v_fma_f64 v[95:96], v[95:96], v[97:98], v[95:96]
	v_fma_f64 v[97:98], -v[93:94], v[95:96], 1.0
	v_fma_f64 v[95:96], v[95:96], v[97:98], v[95:96]
	v_mul_f64 v[97:98], v[99:100], v[95:96]
	v_fma_f64 v[93:94], -v[93:94], v[97:98], v[99:100]
	v_div_fmas_f64 v[93:94], v[93:94], v[95:96], v[97:98]
	v_div_fixup_f64 v[117:118], v[93:94], v[91:92], 1.0
	v_mul_f64 v[119:120], v[86:87], -v[117:118]
.LBB116_450:
	s_or_b64 exec, exec, s[18:19]
.LBB116_451:
	s_or_b64 exec, exec, s[0:1]
	v_cmp_ne_u32_e32 vcc, v89, v85
	s_and_saveexec_b64 s[0:1], vcc
	s_xor_b64 s[0:1], exec, s[0:1]
	s_cbranch_execz .LBB116_457
; %bb.452:
	v_cmp_eq_u32_e32 vcc, 21, v89
	s_and_saveexec_b64 s[18:19], vcc
	s_cbranch_execz .LBB116_456
; %bb.453:
	v_cmp_ne_u32_e32 vcc, 21, v85
	s_xor_b64 s[20:21], s[6:7], -1
	s_and_b64 s[22:23], s[20:21], vcc
	s_and_saveexec_b64 s[20:21], s[22:23]
	s_cbranch_execz .LBB116_455
; %bb.454:
	v_mov_b32_e32 v77, v81
	v_mov_b32_e32 v78, v82
	;; [unrolled: 1-line block ×4, first 2 shown]
	buffer_load_dword v81, off, s[24:27], 0 offset:500 ; 4-byte Folded Reload
	buffer_load_dword v82, off, s[24:27], 0 offset:504 ; 4-byte Folded Reload
	v_ashrrev_i32_e32 v86, 31, v85
	v_lshlrev_b64 v[86:87], 2, v[85:86]
	s_waitcnt vmcnt(1)
	v_add_co_u32_e32 v86, vcc, v81, v86
	s_waitcnt vmcnt(0)
	v_addc_co_u32_e32 v87, vcc, v82, v87, vcc
	global_load_dword v88, v[86:87], off
	global_load_dword v89, v[81:82], off offset:84
	s_waitcnt vmcnt(1)
	global_store_dword v[81:82], v88, off offset:84
	v_mov_b32_e32 v84, v80
	v_mov_b32_e32 v83, v79
	;; [unrolled: 1-line block ×4, first 2 shown]
	s_waitcnt vmcnt(1)
	global_store_dword v[86:87], v89, off
.LBB116_455:
	s_or_b64 exec, exec, s[20:21]
	v_mov_b32_e32 v89, v85
	v_mov_b32_e32 v77, v85
	buffer_store_dword v77, off, s[24:27], 0 offset:432 ; 4-byte Folded Spill
.LBB116_456:
	s_or_b64 exec, exec, s[18:19]
.LBB116_457:
	s_andn2_saveexec_b64 s[0:1], s[0:1]
	s_cbranch_execz .LBB116_459
; %bb.458:
	buffer_load_dword v77, off, s[24:27], 0 offset:192 ; 4-byte Folded Reload
	buffer_load_dword v78, off, s[24:27], 0 offset:196 ; 4-byte Folded Reload
	;; [unrolled: 1-line block ×4, first 2 shown]
	v_mov_b32_e32 v89, 21
	s_waitcnt vmcnt(0)
	ds_write2_b64 v0, v[77:78], v[79:80] offset0:44 offset1:45
	buffer_load_dword v77, off, s[24:27], 0 offset:176 ; 4-byte Folded Reload
	buffer_load_dword v78, off, s[24:27], 0 offset:180 ; 4-byte Folded Reload
	buffer_load_dword v79, off, s[24:27], 0 offset:184 ; 4-byte Folded Reload
	buffer_load_dword v80, off, s[24:27], 0 offset:188 ; 4-byte Folded Reload
	s_waitcnt vmcnt(0)
	ds_write2_b64 v0, v[77:78], v[79:80] offset0:46 offset1:47
	buffer_load_dword v77, off, s[24:27], 0 offset:160 ; 4-byte Folded Reload
	buffer_load_dword v78, off, s[24:27], 0 offset:164 ; 4-byte Folded Reload
	buffer_load_dword v79, off, s[24:27], 0 offset:168 ; 4-byte Folded Reload
	buffer_load_dword v80, off, s[24:27], 0 offset:172 ; 4-byte Folded Reload
	;; [unrolled: 6-line block ×11, first 2 shown]
	s_waitcnt vmcnt(0)
	ds_write2_b64 v0, v[77:78], v[79:80] offset0:66 offset1:67
	ds_write2_b64 v0, v[81:82], v[83:84] offset0:68 offset1:69
	;; [unrolled: 1-line block ×5, first 2 shown]
	buffer_load_dword v77, off, s[24:27], 0 ; 4-byte Folded Reload
	buffer_load_dword v78, off, s[24:27], 0 offset:4 ; 4-byte Folded Reload
	buffer_load_dword v79, off, s[24:27], 0 offset:8 ; 4-byte Folded Reload
	;; [unrolled: 1-line block ×3, first 2 shown]
	s_waitcnt vmcnt(0)
	ds_write2_b64 v0, v[77:78], v[79:80] offset0:76 offset1:77
	ds_write2_b64 v0, v[73:74], v[75:76] offset0:78 offset1:79
	;; [unrolled: 1-line block ×21, first 2 shown]
.LBB116_459:
	s_or_b64 exec, exec, s[0:1]
	v_cmp_lt_i32_e32 vcc, 21, v89
	s_waitcnt vmcnt(0) lgkmcnt(0)
	s_barrier
	s_and_saveexec_b64 s[0:1], vcc
	s_cbranch_execz .LBB116_461
; %bb.460:
	buffer_load_dword v91, off, s[24:27], 0 offset:208 ; 4-byte Folded Reload
	buffer_load_dword v92, off, s[24:27], 0 offset:212 ; 4-byte Folded Reload
	;; [unrolled: 1-line block ×4, first 2 shown]
	s_waitcnt vmcnt(0)
	v_mul_f64 v[85:86], v[119:120], v[93:94]
	v_fma_f64 v[125:126], v[117:118], v[91:92], -v[85:86]
	v_mul_f64 v[85:86], v[117:118], v[93:94]
	v_fma_f64 v[93:94], v[119:120], v[91:92], v[85:86]
	ds_read2_b64 v[85:88], v0 offset0:44 offset1:45
	buffer_load_dword v77, off, s[24:27], 0 offset:192 ; 4-byte Folded Reload
	buffer_load_dword v78, off, s[24:27], 0 offset:196 ; 4-byte Folded Reload
	buffer_load_dword v79, off, s[24:27], 0 offset:200 ; 4-byte Folded Reload
	buffer_load_dword v80, off, s[24:27], 0 offset:204 ; 4-byte Folded Reload
	s_waitcnt lgkmcnt(0)
	v_mul_f64 v[91:92], v[87:88], v[93:94]
	v_fma_f64 v[91:92], v[85:86], v[125:126], -v[91:92]
	v_mul_f64 v[85:86], v[85:86], v[93:94]
	v_fma_f64 v[85:86], v[87:88], v[125:126], v[85:86]
	s_waitcnt vmcnt(2)
	v_add_f64 v[77:78], v[77:78], -v[91:92]
	s_waitcnt vmcnt(0)
	v_add_f64 v[79:80], v[79:80], -v[85:86]
	buffer_store_dword v77, off, s[24:27], 0 offset:192 ; 4-byte Folded Spill
	s_nop 0
	buffer_store_dword v78, off, s[24:27], 0 offset:196 ; 4-byte Folded Spill
	buffer_store_dword v79, off, s[24:27], 0 offset:200 ; 4-byte Folded Spill
	buffer_store_dword v80, off, s[24:27], 0 offset:204 ; 4-byte Folded Spill
	ds_read2_b64 v[85:88], v0 offset0:46 offset1:47
	buffer_load_dword v77, off, s[24:27], 0 offset:176 ; 4-byte Folded Reload
	buffer_load_dword v78, off, s[24:27], 0 offset:180 ; 4-byte Folded Reload
	buffer_load_dword v79, off, s[24:27], 0 offset:184 ; 4-byte Folded Reload
	buffer_load_dword v80, off, s[24:27], 0 offset:188 ; 4-byte Folded Reload
	s_waitcnt lgkmcnt(0)
	v_mul_f64 v[91:92], v[87:88], v[93:94]
	v_fma_f64 v[91:92], v[85:86], v[125:126], -v[91:92]
	v_mul_f64 v[85:86], v[85:86], v[93:94]
	v_fma_f64 v[85:86], v[87:88], v[125:126], v[85:86]
	s_waitcnt vmcnt(2)
	v_add_f64 v[77:78], v[77:78], -v[91:92]
	s_waitcnt vmcnt(0)
	v_add_f64 v[79:80], v[79:80], -v[85:86]
	buffer_store_dword v77, off, s[24:27], 0 offset:176 ; 4-byte Folded Spill
	s_nop 0
	buffer_store_dword v78, off, s[24:27], 0 offset:180 ; 4-byte Folded Spill
	buffer_store_dword v79, off, s[24:27], 0 offset:184 ; 4-byte Folded Spill
	buffer_store_dword v80, off, s[24:27], 0 offset:188 ; 4-byte Folded Spill
	;; [unrolled: 19-line block ×12, first 2 shown]
	ds_read2_b64 v[85:88], v0 offset0:68 offset1:69
	s_waitcnt lgkmcnt(0)
	v_mul_f64 v[91:92], v[87:88], v[93:94]
	v_fma_f64 v[91:92], v[85:86], v[125:126], -v[91:92]
	v_mul_f64 v[85:86], v[85:86], v[93:94]
	v_add_f64 v[81:82], v[81:82], -v[91:92]
	v_fma_f64 v[85:86], v[87:88], v[125:126], v[85:86]
	v_add_f64 v[83:84], v[83:84], -v[85:86]
	ds_read2_b64 v[85:88], v0 offset0:70 offset1:71
	s_waitcnt lgkmcnt(0)
	v_mul_f64 v[91:92], v[87:88], v[93:94]
	v_fma_f64 v[91:92], v[85:86], v[125:126], -v[91:92]
	v_mul_f64 v[85:86], v[85:86], v[93:94]
	v_add_f64 v[113:114], v[113:114], -v[91:92]
	v_fma_f64 v[85:86], v[87:88], v[125:126], v[85:86]
	v_add_f64 v[115:116], v[115:116], -v[85:86]
	;; [unrolled: 8-line block ×4, first 2 shown]
	ds_read2_b64 v[85:88], v0 offset0:76 offset1:77
	buffer_load_dword v77, off, s[24:27], 0 ; 4-byte Folded Reload
	buffer_load_dword v78, off, s[24:27], 0 offset:4 ; 4-byte Folded Reload
	buffer_load_dword v79, off, s[24:27], 0 offset:8 ; 4-byte Folded Reload
	;; [unrolled: 1-line block ×3, first 2 shown]
	s_waitcnt lgkmcnt(0)
	v_mul_f64 v[91:92], v[87:88], v[93:94]
	v_fma_f64 v[91:92], v[85:86], v[125:126], -v[91:92]
	v_mul_f64 v[85:86], v[85:86], v[93:94]
	v_fma_f64 v[85:86], v[87:88], v[125:126], v[85:86]
	s_waitcnt vmcnt(2)
	v_add_f64 v[77:78], v[77:78], -v[91:92]
	s_waitcnt vmcnt(0)
	v_add_f64 v[79:80], v[79:80], -v[85:86]
	buffer_store_dword v77, off, s[24:27], 0 ; 4-byte Folded Spill
	s_nop 0
	buffer_store_dword v78, off, s[24:27], 0 offset:4 ; 4-byte Folded Spill
	buffer_store_dword v79, off, s[24:27], 0 offset:8 ; 4-byte Folded Spill
	buffer_store_dword v80, off, s[24:27], 0 offset:12 ; 4-byte Folded Spill
	ds_read2_b64 v[85:88], v0 offset0:78 offset1:79
	s_waitcnt lgkmcnt(0)
	v_mul_f64 v[91:92], v[87:88], v[93:94]
	v_fma_f64 v[91:92], v[85:86], v[125:126], -v[91:92]
	v_mul_f64 v[85:86], v[85:86], v[93:94]
	v_add_f64 v[73:74], v[73:74], -v[91:92]
	v_fma_f64 v[85:86], v[87:88], v[125:126], v[85:86]
	v_add_f64 v[75:76], v[75:76], -v[85:86]
	ds_read2_b64 v[85:88], v0 offset0:80 offset1:81
	s_waitcnt lgkmcnt(0)
	v_mul_f64 v[91:92], v[87:88], v[93:94]
	v_fma_f64 v[91:92], v[85:86], v[125:126], -v[91:92]
	v_mul_f64 v[85:86], v[85:86], v[93:94]
	v_add_f64 v[69:70], v[69:70], -v[91:92]
	v_fma_f64 v[85:86], v[87:88], v[125:126], v[85:86]
	v_add_f64 v[71:72], v[71:72], -v[85:86]
	;; [unrolled: 8-line block ×19, first 2 shown]
	ds_read2_b64 v[85:88], v0 offset0:116 offset1:117
	s_waitcnt lgkmcnt(0)
	v_mul_f64 v[91:92], v[87:88], v[93:94]
	v_fma_f64 v[91:92], v[85:86], v[125:126], -v[91:92]
	v_mul_f64 v[85:86], v[85:86], v[93:94]
	v_add_f64 v[121:122], v[121:122], -v[91:92]
	v_fma_f64 v[85:86], v[87:88], v[125:126], v[85:86]
	v_mov_b32_e32 v91, v125
	v_mov_b32_e32 v92, v126
	buffer_store_dword v91, off, s[24:27], 0 offset:208 ; 4-byte Folded Spill
	s_nop 0
	buffer_store_dword v92, off, s[24:27], 0 offset:212 ; 4-byte Folded Spill
	buffer_store_dword v93, off, s[24:27], 0 offset:216 ; 4-byte Folded Spill
	buffer_store_dword v94, off, s[24:27], 0 offset:220 ; 4-byte Folded Spill
	v_add_f64 v[123:124], v[123:124], -v[85:86]
.LBB116_461:
	s_or_b64 exec, exec, s[0:1]
	s_waitcnt vmcnt(0)
	s_barrier
	buffer_load_dword v77, off, s[24:27], 0 offset:192 ; 4-byte Folded Reload
	buffer_load_dword v78, off, s[24:27], 0 offset:196 ; 4-byte Folded Reload
	;; [unrolled: 1-line block ×4, first 2 shown]
	v_lshl_add_u32 v85, v89, 4, v0
	s_cmp_lt_i32 s3, 24
	s_waitcnt vmcnt(0)
	ds_write2_b64 v85, v[77:78], v[79:80] offset1:1
	s_waitcnt lgkmcnt(0)
	s_barrier
	ds_read2_b64 v[117:120], v0 offset0:44 offset1:45
	v_mov_b32_e32 v85, 22
	s_cbranch_scc1 .LBB116_464
; %bb.462:
	v_add_u32_e32 v86, 0x170, v0
	s_mov_b32 s0, 23
	v_mov_b32_e32 v85, 22
.LBB116_463:                            ; =>This Inner Loop Header: Depth=1
	s_waitcnt lgkmcnt(0)
	v_cmp_gt_f64_e32 vcc, 0, v[117:118]
	v_xor_b32_e32 v87, 0x80000000, v118
	ds_read2_b64 v[91:94], v86 offset1:1
	v_xor_b32_e32 v95, 0x80000000, v120
	v_add_u32_e32 v86, 16, v86
	s_waitcnt lgkmcnt(0)
	v_xor_b32_e32 v97, 0x80000000, v94
	v_cndmask_b32_e32 v88, v118, v87, vcc
	v_cmp_gt_f64_e32 vcc, 0, v[119:120]
	v_mov_b32_e32 v87, v117
	v_cndmask_b32_e32 v96, v120, v95, vcc
	v_cmp_gt_f64_e32 vcc, 0, v[91:92]
	v_mov_b32_e32 v95, v119
	v_add_f64 v[87:88], v[87:88], v[95:96]
	v_xor_b32_e32 v95, 0x80000000, v92
	v_cndmask_b32_e32 v96, v92, v95, vcc
	v_cmp_gt_f64_e32 vcc, 0, v[93:94]
	v_mov_b32_e32 v95, v91
	v_cndmask_b32_e32 v98, v94, v97, vcc
	v_mov_b32_e32 v97, v93
	v_add_f64 v[95:96], v[95:96], v[97:98]
	v_cmp_lt_f64_e32 vcc, v[87:88], v[95:96]
	v_mov_b32_e32 v87, s0
	s_add_i32 s0, s0, 1
	s_cmp_lg_u32 s3, s0
	v_cndmask_b32_e32 v118, v118, v92, vcc
	v_cndmask_b32_e32 v117, v117, v91, vcc
	;; [unrolled: 1-line block ×5, first 2 shown]
	s_cbranch_scc1 .LBB116_463
.LBB116_464:
	s_waitcnt lgkmcnt(0)
	v_cmp_eq_f64_e32 vcc, 0, v[117:118]
	v_cmp_eq_f64_e64 s[0:1], 0, v[119:120]
	s_and_b64 s[0:1], vcc, s[0:1]
	s_and_saveexec_b64 s[18:19], s[0:1]
	s_xor_b64 s[0:1], exec, s[18:19]
; %bb.465:
	v_cmp_ne_u32_e32 vcc, 0, v90
	v_cndmask_b32_e32 v90, 23, v90, vcc
; %bb.466:
	s_andn2_saveexec_b64 s[0:1], s[0:1]
	s_cbranch_execz .LBB116_472
; %bb.467:
	v_cmp_ngt_f64_e64 s[18:19], |v[117:118]|, |v[119:120]|
	s_and_saveexec_b64 s[20:21], s[18:19]
	s_xor_b64 s[18:19], exec, s[20:21]
	s_cbranch_execz .LBB116_469
; %bb.468:
	v_div_scale_f64 v[86:87], s[20:21], v[119:120], v[119:120], v[117:118]
	v_rcp_f64_e32 v[91:92], v[86:87]
	v_fma_f64 v[93:94], -v[86:87], v[91:92], 1.0
	v_fma_f64 v[91:92], v[91:92], v[93:94], v[91:92]
	v_div_scale_f64 v[93:94], vcc, v[117:118], v[119:120], v[117:118]
	v_fma_f64 v[95:96], -v[86:87], v[91:92], 1.0
	v_fma_f64 v[91:92], v[91:92], v[95:96], v[91:92]
	v_mul_f64 v[95:96], v[93:94], v[91:92]
	v_fma_f64 v[86:87], -v[86:87], v[95:96], v[93:94]
	v_div_fmas_f64 v[86:87], v[86:87], v[91:92], v[95:96]
	v_div_fixup_f64 v[86:87], v[86:87], v[119:120], v[117:118]
	v_fma_f64 v[91:92], v[117:118], v[86:87], v[119:120]
	v_div_scale_f64 v[93:94], s[20:21], v[91:92], v[91:92], 1.0
	v_div_scale_f64 v[99:100], vcc, 1.0, v[91:92], 1.0
	v_rcp_f64_e32 v[95:96], v[93:94]
	v_fma_f64 v[97:98], -v[93:94], v[95:96], 1.0
	v_fma_f64 v[95:96], v[95:96], v[97:98], v[95:96]
	v_fma_f64 v[97:98], -v[93:94], v[95:96], 1.0
	v_fma_f64 v[95:96], v[95:96], v[97:98], v[95:96]
	v_mul_f64 v[97:98], v[99:100], v[95:96]
	v_fma_f64 v[93:94], -v[93:94], v[97:98], v[99:100]
	v_div_fmas_f64 v[93:94], v[93:94], v[95:96], v[97:98]
	v_div_fixup_f64 v[119:120], v[93:94], v[91:92], 1.0
	v_mul_f64 v[117:118], v[86:87], v[119:120]
	v_xor_b32_e32 v120, 0x80000000, v120
.LBB116_469:
	s_andn2_saveexec_b64 s[18:19], s[18:19]
	s_cbranch_execz .LBB116_471
; %bb.470:
	v_div_scale_f64 v[86:87], s[20:21], v[117:118], v[117:118], v[119:120]
	v_rcp_f64_e32 v[91:92], v[86:87]
	v_fma_f64 v[93:94], -v[86:87], v[91:92], 1.0
	v_fma_f64 v[91:92], v[91:92], v[93:94], v[91:92]
	v_div_scale_f64 v[93:94], vcc, v[119:120], v[117:118], v[119:120]
	v_fma_f64 v[95:96], -v[86:87], v[91:92], 1.0
	v_fma_f64 v[91:92], v[91:92], v[95:96], v[91:92]
	v_mul_f64 v[95:96], v[93:94], v[91:92]
	v_fma_f64 v[86:87], -v[86:87], v[95:96], v[93:94]
	v_div_fmas_f64 v[86:87], v[86:87], v[91:92], v[95:96]
	v_div_fixup_f64 v[86:87], v[86:87], v[117:118], v[119:120]
	v_fma_f64 v[91:92], v[119:120], v[86:87], v[117:118]
	v_div_scale_f64 v[93:94], s[20:21], v[91:92], v[91:92], 1.0
	v_div_scale_f64 v[99:100], vcc, 1.0, v[91:92], 1.0
	v_rcp_f64_e32 v[95:96], v[93:94]
	v_fma_f64 v[97:98], -v[93:94], v[95:96], 1.0
	v_fma_f64 v[95:96], v[95:96], v[97:98], v[95:96]
	v_fma_f64 v[97:98], -v[93:94], v[95:96], 1.0
	v_fma_f64 v[95:96], v[95:96], v[97:98], v[95:96]
	v_mul_f64 v[97:98], v[99:100], v[95:96]
	v_fma_f64 v[93:94], -v[93:94], v[97:98], v[99:100]
	v_div_fmas_f64 v[93:94], v[93:94], v[95:96], v[97:98]
	v_div_fixup_f64 v[117:118], v[93:94], v[91:92], 1.0
	v_mul_f64 v[119:120], v[86:87], -v[117:118]
.LBB116_471:
	s_or_b64 exec, exec, s[18:19]
.LBB116_472:
	s_or_b64 exec, exec, s[0:1]
	v_cmp_ne_u32_e32 vcc, v89, v85
	s_and_saveexec_b64 s[0:1], vcc
	s_xor_b64 s[0:1], exec, s[0:1]
	s_cbranch_execz .LBB116_478
; %bb.473:
	v_cmp_eq_u32_e32 vcc, 22, v89
	s_and_saveexec_b64 s[18:19], vcc
	s_cbranch_execz .LBB116_477
; %bb.474:
	v_cmp_ne_u32_e32 vcc, 22, v85
	s_xor_b64 s[20:21], s[6:7], -1
	s_and_b64 s[22:23], s[20:21], vcc
	s_and_saveexec_b64 s[20:21], s[22:23]
	s_cbranch_execz .LBB116_476
; %bb.475:
	v_mov_b32_e32 v77, v81
	v_mov_b32_e32 v78, v82
	;; [unrolled: 1-line block ×4, first 2 shown]
	buffer_load_dword v81, off, s[24:27], 0 offset:500 ; 4-byte Folded Reload
	buffer_load_dword v82, off, s[24:27], 0 offset:504 ; 4-byte Folded Reload
	v_ashrrev_i32_e32 v86, 31, v85
	v_lshlrev_b64 v[86:87], 2, v[85:86]
	s_waitcnt vmcnt(1)
	v_add_co_u32_e32 v86, vcc, v81, v86
	s_waitcnt vmcnt(0)
	v_addc_co_u32_e32 v87, vcc, v82, v87, vcc
	global_load_dword v88, v[86:87], off
	global_load_dword v89, v[81:82], off offset:88
	s_waitcnt vmcnt(1)
	global_store_dword v[81:82], v88, off offset:88
	v_mov_b32_e32 v84, v80
	v_mov_b32_e32 v83, v79
	;; [unrolled: 1-line block ×4, first 2 shown]
	s_waitcnt vmcnt(1)
	global_store_dword v[86:87], v89, off
.LBB116_476:
	s_or_b64 exec, exec, s[20:21]
	v_mov_b32_e32 v89, v85
	v_mov_b32_e32 v77, v85
	buffer_store_dword v77, off, s[24:27], 0 offset:432 ; 4-byte Folded Spill
.LBB116_477:
	s_or_b64 exec, exec, s[18:19]
.LBB116_478:
	s_andn2_saveexec_b64 s[0:1], s[0:1]
	s_cbranch_execz .LBB116_480
; %bb.479:
	buffer_load_dword v77, off, s[24:27], 0 offset:176 ; 4-byte Folded Reload
	buffer_load_dword v78, off, s[24:27], 0 offset:180 ; 4-byte Folded Reload
	buffer_load_dword v79, off, s[24:27], 0 offset:184 ; 4-byte Folded Reload
	buffer_load_dword v80, off, s[24:27], 0 offset:188 ; 4-byte Folded Reload
	v_mov_b32_e32 v89, 22
	s_waitcnt vmcnt(0)
	ds_write2_b64 v0, v[77:78], v[79:80] offset0:46 offset1:47
	buffer_load_dword v77, off, s[24:27], 0 offset:160 ; 4-byte Folded Reload
	buffer_load_dword v78, off, s[24:27], 0 offset:164 ; 4-byte Folded Reload
	buffer_load_dword v79, off, s[24:27], 0 offset:168 ; 4-byte Folded Reload
	buffer_load_dword v80, off, s[24:27], 0 offset:172 ; 4-byte Folded Reload
	s_waitcnt vmcnt(0)
	ds_write2_b64 v0, v[77:78], v[79:80] offset0:48 offset1:49
	buffer_load_dword v77, off, s[24:27], 0 offset:144 ; 4-byte Folded Reload
	buffer_load_dword v78, off, s[24:27], 0 offset:148 ; 4-byte Folded Reload
	buffer_load_dword v79, off, s[24:27], 0 offset:152 ; 4-byte Folded Reload
	buffer_load_dword v80, off, s[24:27], 0 offset:156 ; 4-byte Folded Reload
	s_waitcnt vmcnt(0)
	ds_write2_b64 v0, v[77:78], v[79:80] offset0:50 offset1:51
	buffer_load_dword v77, off, s[24:27], 0 offset:128 ; 4-byte Folded Reload
	buffer_load_dword v78, off, s[24:27], 0 offset:132 ; 4-byte Folded Reload
	buffer_load_dword v79, off, s[24:27], 0 offset:136 ; 4-byte Folded Reload
	buffer_load_dword v80, off, s[24:27], 0 offset:140 ; 4-byte Folded Reload
	s_waitcnt vmcnt(0)
	ds_write2_b64 v0, v[77:78], v[79:80] offset0:52 offset1:53
	buffer_load_dword v77, off, s[24:27], 0 offset:112 ; 4-byte Folded Reload
	buffer_load_dword v78, off, s[24:27], 0 offset:116 ; 4-byte Folded Reload
	buffer_load_dword v79, off, s[24:27], 0 offset:120 ; 4-byte Folded Reload
	buffer_load_dword v80, off, s[24:27], 0 offset:124 ; 4-byte Folded Reload
	s_waitcnt vmcnt(0)
	ds_write2_b64 v0, v[77:78], v[79:80] offset0:54 offset1:55
	buffer_load_dword v77, off, s[24:27], 0 offset:96 ; 4-byte Folded Reload
	buffer_load_dword v78, off, s[24:27], 0 offset:100 ; 4-byte Folded Reload
	buffer_load_dword v79, off, s[24:27], 0 offset:104 ; 4-byte Folded Reload
	buffer_load_dword v80, off, s[24:27], 0 offset:108 ; 4-byte Folded Reload
	s_waitcnt vmcnt(0)
	ds_write2_b64 v0, v[77:78], v[79:80] offset0:56 offset1:57
	buffer_load_dword v77, off, s[24:27], 0 offset:80 ; 4-byte Folded Reload
	buffer_load_dword v78, off, s[24:27], 0 offset:84 ; 4-byte Folded Reload
	buffer_load_dword v79, off, s[24:27], 0 offset:88 ; 4-byte Folded Reload
	buffer_load_dword v80, off, s[24:27], 0 offset:92 ; 4-byte Folded Reload
	s_waitcnt vmcnt(0)
	ds_write2_b64 v0, v[77:78], v[79:80] offset0:58 offset1:59
	buffer_load_dword v77, off, s[24:27], 0 offset:64 ; 4-byte Folded Reload
	buffer_load_dword v78, off, s[24:27], 0 offset:68 ; 4-byte Folded Reload
	buffer_load_dword v79, off, s[24:27], 0 offset:72 ; 4-byte Folded Reload
	buffer_load_dword v80, off, s[24:27], 0 offset:76 ; 4-byte Folded Reload
	s_waitcnt vmcnt(0)
	ds_write2_b64 v0, v[77:78], v[79:80] offset0:60 offset1:61
	buffer_load_dword v77, off, s[24:27], 0 offset:48 ; 4-byte Folded Reload
	buffer_load_dword v78, off, s[24:27], 0 offset:52 ; 4-byte Folded Reload
	buffer_load_dword v79, off, s[24:27], 0 offset:56 ; 4-byte Folded Reload
	buffer_load_dword v80, off, s[24:27], 0 offset:60 ; 4-byte Folded Reload
	s_waitcnt vmcnt(0)
	ds_write2_b64 v0, v[77:78], v[79:80] offset0:62 offset1:63
	buffer_load_dword v77, off, s[24:27], 0 offset:32 ; 4-byte Folded Reload
	buffer_load_dword v78, off, s[24:27], 0 offset:36 ; 4-byte Folded Reload
	buffer_load_dword v79, off, s[24:27], 0 offset:40 ; 4-byte Folded Reload
	buffer_load_dword v80, off, s[24:27], 0 offset:44 ; 4-byte Folded Reload
	s_waitcnt vmcnt(0)
	ds_write2_b64 v0, v[77:78], v[79:80] offset0:64 offset1:65
	buffer_load_dword v77, off, s[24:27], 0 offset:16 ; 4-byte Folded Reload
	buffer_load_dword v78, off, s[24:27], 0 offset:20 ; 4-byte Folded Reload
	buffer_load_dword v79, off, s[24:27], 0 offset:24 ; 4-byte Folded Reload
	buffer_load_dword v80, off, s[24:27], 0 offset:28 ; 4-byte Folded Reload
	s_waitcnt vmcnt(0)
	ds_write2_b64 v0, v[77:78], v[79:80] offset0:66 offset1:67
	ds_write2_b64 v0, v[81:82], v[83:84] offset0:68 offset1:69
	;; [unrolled: 1-line block ×5, first 2 shown]
	buffer_load_dword v77, off, s[24:27], 0 ; 4-byte Folded Reload
	buffer_load_dword v78, off, s[24:27], 0 offset:4 ; 4-byte Folded Reload
	buffer_load_dword v79, off, s[24:27], 0 offset:8 ; 4-byte Folded Reload
	;; [unrolled: 1-line block ×3, first 2 shown]
	s_waitcnt vmcnt(0)
	ds_write2_b64 v0, v[77:78], v[79:80] offset0:76 offset1:77
	ds_write2_b64 v0, v[73:74], v[75:76] offset0:78 offset1:79
	;; [unrolled: 1-line block ×21, first 2 shown]
.LBB116_480:
	s_or_b64 exec, exec, s[0:1]
	v_cmp_lt_i32_e32 vcc, 22, v89
	s_waitcnt vmcnt(0) lgkmcnt(0)
	s_barrier
	s_and_saveexec_b64 s[0:1], vcc
	s_cbranch_execz .LBB116_482
; %bb.481:
	buffer_load_dword v91, off, s[24:27], 0 offset:192 ; 4-byte Folded Reload
	buffer_load_dword v92, off, s[24:27], 0 offset:196 ; 4-byte Folded Reload
	;; [unrolled: 1-line block ×4, first 2 shown]
	s_waitcnt vmcnt(0)
	v_mul_f64 v[85:86], v[119:120], v[93:94]
	v_fma_f64 v[125:126], v[117:118], v[91:92], -v[85:86]
	v_mul_f64 v[85:86], v[117:118], v[93:94]
	v_fma_f64 v[93:94], v[119:120], v[91:92], v[85:86]
	ds_read2_b64 v[85:88], v0 offset0:46 offset1:47
	buffer_load_dword v77, off, s[24:27], 0 offset:176 ; 4-byte Folded Reload
	buffer_load_dword v78, off, s[24:27], 0 offset:180 ; 4-byte Folded Reload
	buffer_load_dword v79, off, s[24:27], 0 offset:184 ; 4-byte Folded Reload
	buffer_load_dword v80, off, s[24:27], 0 offset:188 ; 4-byte Folded Reload
	s_waitcnt lgkmcnt(0)
	v_mul_f64 v[91:92], v[87:88], v[93:94]
	v_fma_f64 v[91:92], v[85:86], v[125:126], -v[91:92]
	v_mul_f64 v[85:86], v[85:86], v[93:94]
	v_fma_f64 v[85:86], v[87:88], v[125:126], v[85:86]
	s_waitcnt vmcnt(2)
	v_add_f64 v[77:78], v[77:78], -v[91:92]
	s_waitcnt vmcnt(0)
	v_add_f64 v[79:80], v[79:80], -v[85:86]
	buffer_store_dword v77, off, s[24:27], 0 offset:176 ; 4-byte Folded Spill
	s_nop 0
	buffer_store_dword v78, off, s[24:27], 0 offset:180 ; 4-byte Folded Spill
	buffer_store_dword v79, off, s[24:27], 0 offset:184 ; 4-byte Folded Spill
	buffer_store_dword v80, off, s[24:27], 0 offset:188 ; 4-byte Folded Spill
	ds_read2_b64 v[85:88], v0 offset0:48 offset1:49
	buffer_load_dword v77, off, s[24:27], 0 offset:160 ; 4-byte Folded Reload
	buffer_load_dword v78, off, s[24:27], 0 offset:164 ; 4-byte Folded Reload
	buffer_load_dword v79, off, s[24:27], 0 offset:168 ; 4-byte Folded Reload
	buffer_load_dword v80, off, s[24:27], 0 offset:172 ; 4-byte Folded Reload
	s_waitcnt lgkmcnt(0)
	v_mul_f64 v[91:92], v[87:88], v[93:94]
	v_fma_f64 v[91:92], v[85:86], v[125:126], -v[91:92]
	v_mul_f64 v[85:86], v[85:86], v[93:94]
	v_fma_f64 v[85:86], v[87:88], v[125:126], v[85:86]
	s_waitcnt vmcnt(2)
	v_add_f64 v[77:78], v[77:78], -v[91:92]
	s_waitcnt vmcnt(0)
	v_add_f64 v[79:80], v[79:80], -v[85:86]
	buffer_store_dword v77, off, s[24:27], 0 offset:160 ; 4-byte Folded Spill
	s_nop 0
	buffer_store_dword v78, off, s[24:27], 0 offset:164 ; 4-byte Folded Spill
	buffer_store_dword v79, off, s[24:27], 0 offset:168 ; 4-byte Folded Spill
	buffer_store_dword v80, off, s[24:27], 0 offset:172 ; 4-byte Folded Spill
	;; [unrolled: 19-line block ×11, first 2 shown]
	ds_read2_b64 v[85:88], v0 offset0:68 offset1:69
	s_waitcnt lgkmcnt(0)
	v_mul_f64 v[91:92], v[87:88], v[93:94]
	v_fma_f64 v[91:92], v[85:86], v[125:126], -v[91:92]
	v_mul_f64 v[85:86], v[85:86], v[93:94]
	v_add_f64 v[81:82], v[81:82], -v[91:92]
	v_fma_f64 v[85:86], v[87:88], v[125:126], v[85:86]
	v_add_f64 v[83:84], v[83:84], -v[85:86]
	ds_read2_b64 v[85:88], v0 offset0:70 offset1:71
	s_waitcnt lgkmcnt(0)
	v_mul_f64 v[91:92], v[87:88], v[93:94]
	v_fma_f64 v[91:92], v[85:86], v[125:126], -v[91:92]
	v_mul_f64 v[85:86], v[85:86], v[93:94]
	v_add_f64 v[113:114], v[113:114], -v[91:92]
	v_fma_f64 v[85:86], v[87:88], v[125:126], v[85:86]
	v_add_f64 v[115:116], v[115:116], -v[85:86]
	;; [unrolled: 8-line block ×4, first 2 shown]
	ds_read2_b64 v[85:88], v0 offset0:76 offset1:77
	buffer_load_dword v77, off, s[24:27], 0 ; 4-byte Folded Reload
	buffer_load_dword v78, off, s[24:27], 0 offset:4 ; 4-byte Folded Reload
	buffer_load_dword v79, off, s[24:27], 0 offset:8 ; 4-byte Folded Reload
	;; [unrolled: 1-line block ×3, first 2 shown]
	s_waitcnt lgkmcnt(0)
	v_mul_f64 v[91:92], v[87:88], v[93:94]
	v_fma_f64 v[91:92], v[85:86], v[125:126], -v[91:92]
	v_mul_f64 v[85:86], v[85:86], v[93:94]
	v_fma_f64 v[85:86], v[87:88], v[125:126], v[85:86]
	s_waitcnt vmcnt(2)
	v_add_f64 v[77:78], v[77:78], -v[91:92]
	s_waitcnt vmcnt(0)
	v_add_f64 v[79:80], v[79:80], -v[85:86]
	buffer_store_dword v77, off, s[24:27], 0 ; 4-byte Folded Spill
	s_nop 0
	buffer_store_dword v78, off, s[24:27], 0 offset:4 ; 4-byte Folded Spill
	buffer_store_dword v79, off, s[24:27], 0 offset:8 ; 4-byte Folded Spill
	;; [unrolled: 1-line block ×3, first 2 shown]
	ds_read2_b64 v[85:88], v0 offset0:78 offset1:79
	s_waitcnt lgkmcnt(0)
	v_mul_f64 v[91:92], v[87:88], v[93:94]
	v_fma_f64 v[91:92], v[85:86], v[125:126], -v[91:92]
	v_mul_f64 v[85:86], v[85:86], v[93:94]
	v_add_f64 v[73:74], v[73:74], -v[91:92]
	v_fma_f64 v[85:86], v[87:88], v[125:126], v[85:86]
	v_add_f64 v[75:76], v[75:76], -v[85:86]
	ds_read2_b64 v[85:88], v0 offset0:80 offset1:81
	s_waitcnt lgkmcnt(0)
	v_mul_f64 v[91:92], v[87:88], v[93:94]
	v_fma_f64 v[91:92], v[85:86], v[125:126], -v[91:92]
	v_mul_f64 v[85:86], v[85:86], v[93:94]
	v_add_f64 v[69:70], v[69:70], -v[91:92]
	v_fma_f64 v[85:86], v[87:88], v[125:126], v[85:86]
	v_add_f64 v[71:72], v[71:72], -v[85:86]
	;; [unrolled: 8-line block ×19, first 2 shown]
	ds_read2_b64 v[85:88], v0 offset0:116 offset1:117
	s_waitcnt lgkmcnt(0)
	v_mul_f64 v[91:92], v[87:88], v[93:94]
	v_fma_f64 v[91:92], v[85:86], v[125:126], -v[91:92]
	v_mul_f64 v[85:86], v[85:86], v[93:94]
	v_add_f64 v[121:122], v[121:122], -v[91:92]
	v_fma_f64 v[85:86], v[87:88], v[125:126], v[85:86]
	v_mov_b32_e32 v91, v125
	v_mov_b32_e32 v92, v126
	buffer_store_dword v91, off, s[24:27], 0 offset:192 ; 4-byte Folded Spill
	s_nop 0
	buffer_store_dword v92, off, s[24:27], 0 offset:196 ; 4-byte Folded Spill
	buffer_store_dword v93, off, s[24:27], 0 offset:200 ; 4-byte Folded Spill
	;; [unrolled: 1-line block ×3, first 2 shown]
	v_add_f64 v[123:124], v[123:124], -v[85:86]
.LBB116_482:
	s_or_b64 exec, exec, s[0:1]
	s_waitcnt vmcnt(0)
	s_barrier
	buffer_load_dword v77, off, s[24:27], 0 offset:176 ; 4-byte Folded Reload
	buffer_load_dword v78, off, s[24:27], 0 offset:180 ; 4-byte Folded Reload
	;; [unrolled: 1-line block ×4, first 2 shown]
	v_lshl_add_u32 v85, v89, 4, v0
	s_cmp_lt_i32 s3, 25
	s_waitcnt vmcnt(0)
	ds_write2_b64 v85, v[77:78], v[79:80] offset1:1
	s_waitcnt lgkmcnt(0)
	s_barrier
	ds_read2_b64 v[117:120], v0 offset0:46 offset1:47
	v_mov_b32_e32 v85, 23
	s_cbranch_scc1 .LBB116_485
; %bb.483:
	v_add_u32_e32 v86, 0x180, v0
	s_mov_b32 s0, 24
	v_mov_b32_e32 v85, 23
.LBB116_484:                            ; =>This Inner Loop Header: Depth=1
	s_waitcnt lgkmcnt(0)
	v_cmp_gt_f64_e32 vcc, 0, v[117:118]
	v_xor_b32_e32 v87, 0x80000000, v118
	ds_read2_b64 v[91:94], v86 offset1:1
	v_xor_b32_e32 v95, 0x80000000, v120
	v_add_u32_e32 v86, 16, v86
	s_waitcnt lgkmcnt(0)
	v_xor_b32_e32 v97, 0x80000000, v94
	v_cndmask_b32_e32 v88, v118, v87, vcc
	v_cmp_gt_f64_e32 vcc, 0, v[119:120]
	v_mov_b32_e32 v87, v117
	v_cndmask_b32_e32 v96, v120, v95, vcc
	v_cmp_gt_f64_e32 vcc, 0, v[91:92]
	v_mov_b32_e32 v95, v119
	v_add_f64 v[87:88], v[87:88], v[95:96]
	v_xor_b32_e32 v95, 0x80000000, v92
	v_cndmask_b32_e32 v96, v92, v95, vcc
	v_cmp_gt_f64_e32 vcc, 0, v[93:94]
	v_mov_b32_e32 v95, v91
	v_cndmask_b32_e32 v98, v94, v97, vcc
	v_mov_b32_e32 v97, v93
	v_add_f64 v[95:96], v[95:96], v[97:98]
	v_cmp_lt_f64_e32 vcc, v[87:88], v[95:96]
	v_mov_b32_e32 v87, s0
	s_add_i32 s0, s0, 1
	s_cmp_lg_u32 s3, s0
	v_cndmask_b32_e32 v118, v118, v92, vcc
	v_cndmask_b32_e32 v117, v117, v91, vcc
	;; [unrolled: 1-line block ×5, first 2 shown]
	s_cbranch_scc1 .LBB116_484
.LBB116_485:
	s_waitcnt lgkmcnt(0)
	v_cmp_eq_f64_e32 vcc, 0, v[117:118]
	v_cmp_eq_f64_e64 s[0:1], 0, v[119:120]
	s_and_b64 s[0:1], vcc, s[0:1]
	s_and_saveexec_b64 s[18:19], s[0:1]
	s_xor_b64 s[0:1], exec, s[18:19]
; %bb.486:
	v_cmp_ne_u32_e32 vcc, 0, v90
	v_cndmask_b32_e32 v90, 24, v90, vcc
; %bb.487:
	s_andn2_saveexec_b64 s[0:1], s[0:1]
	s_cbranch_execz .LBB116_493
; %bb.488:
	v_cmp_ngt_f64_e64 s[18:19], |v[117:118]|, |v[119:120]|
	s_and_saveexec_b64 s[20:21], s[18:19]
	s_xor_b64 s[18:19], exec, s[20:21]
	s_cbranch_execz .LBB116_490
; %bb.489:
	v_div_scale_f64 v[86:87], s[20:21], v[119:120], v[119:120], v[117:118]
	v_rcp_f64_e32 v[91:92], v[86:87]
	v_fma_f64 v[93:94], -v[86:87], v[91:92], 1.0
	v_fma_f64 v[91:92], v[91:92], v[93:94], v[91:92]
	v_div_scale_f64 v[93:94], vcc, v[117:118], v[119:120], v[117:118]
	v_fma_f64 v[95:96], -v[86:87], v[91:92], 1.0
	v_fma_f64 v[91:92], v[91:92], v[95:96], v[91:92]
	v_mul_f64 v[95:96], v[93:94], v[91:92]
	v_fma_f64 v[86:87], -v[86:87], v[95:96], v[93:94]
	v_div_fmas_f64 v[86:87], v[86:87], v[91:92], v[95:96]
	v_div_fixup_f64 v[86:87], v[86:87], v[119:120], v[117:118]
	v_fma_f64 v[91:92], v[117:118], v[86:87], v[119:120]
	v_div_scale_f64 v[93:94], s[20:21], v[91:92], v[91:92], 1.0
	v_div_scale_f64 v[99:100], vcc, 1.0, v[91:92], 1.0
	v_rcp_f64_e32 v[95:96], v[93:94]
	v_fma_f64 v[97:98], -v[93:94], v[95:96], 1.0
	v_fma_f64 v[95:96], v[95:96], v[97:98], v[95:96]
	v_fma_f64 v[97:98], -v[93:94], v[95:96], 1.0
	v_fma_f64 v[95:96], v[95:96], v[97:98], v[95:96]
	v_mul_f64 v[97:98], v[99:100], v[95:96]
	v_fma_f64 v[93:94], -v[93:94], v[97:98], v[99:100]
	v_div_fmas_f64 v[93:94], v[93:94], v[95:96], v[97:98]
	v_div_fixup_f64 v[119:120], v[93:94], v[91:92], 1.0
	v_mul_f64 v[117:118], v[86:87], v[119:120]
	v_xor_b32_e32 v120, 0x80000000, v120
.LBB116_490:
	s_andn2_saveexec_b64 s[18:19], s[18:19]
	s_cbranch_execz .LBB116_492
; %bb.491:
	v_div_scale_f64 v[86:87], s[20:21], v[117:118], v[117:118], v[119:120]
	v_rcp_f64_e32 v[91:92], v[86:87]
	v_fma_f64 v[93:94], -v[86:87], v[91:92], 1.0
	v_fma_f64 v[91:92], v[91:92], v[93:94], v[91:92]
	v_div_scale_f64 v[93:94], vcc, v[119:120], v[117:118], v[119:120]
	v_fma_f64 v[95:96], -v[86:87], v[91:92], 1.0
	v_fma_f64 v[91:92], v[91:92], v[95:96], v[91:92]
	v_mul_f64 v[95:96], v[93:94], v[91:92]
	v_fma_f64 v[86:87], -v[86:87], v[95:96], v[93:94]
	v_div_fmas_f64 v[86:87], v[86:87], v[91:92], v[95:96]
	v_div_fixup_f64 v[86:87], v[86:87], v[117:118], v[119:120]
	v_fma_f64 v[91:92], v[119:120], v[86:87], v[117:118]
	v_div_scale_f64 v[93:94], s[20:21], v[91:92], v[91:92], 1.0
	v_div_scale_f64 v[99:100], vcc, 1.0, v[91:92], 1.0
	v_rcp_f64_e32 v[95:96], v[93:94]
	v_fma_f64 v[97:98], -v[93:94], v[95:96], 1.0
	v_fma_f64 v[95:96], v[95:96], v[97:98], v[95:96]
	v_fma_f64 v[97:98], -v[93:94], v[95:96], 1.0
	v_fma_f64 v[95:96], v[95:96], v[97:98], v[95:96]
	v_mul_f64 v[97:98], v[99:100], v[95:96]
	v_fma_f64 v[93:94], -v[93:94], v[97:98], v[99:100]
	v_div_fmas_f64 v[93:94], v[93:94], v[95:96], v[97:98]
	v_div_fixup_f64 v[117:118], v[93:94], v[91:92], 1.0
	v_mul_f64 v[119:120], v[86:87], -v[117:118]
.LBB116_492:
	s_or_b64 exec, exec, s[18:19]
.LBB116_493:
	s_or_b64 exec, exec, s[0:1]
	v_cmp_ne_u32_e32 vcc, v89, v85
	s_and_saveexec_b64 s[0:1], vcc
	s_xor_b64 s[0:1], exec, s[0:1]
	s_cbranch_execz .LBB116_499
; %bb.494:
	v_cmp_eq_u32_e32 vcc, 23, v89
	s_and_saveexec_b64 s[18:19], vcc
	s_cbranch_execz .LBB116_498
; %bb.495:
	v_cmp_ne_u32_e32 vcc, 23, v85
	s_xor_b64 s[20:21], s[6:7], -1
	s_and_b64 s[22:23], s[20:21], vcc
	s_and_saveexec_b64 s[20:21], s[22:23]
	s_cbranch_execz .LBB116_497
; %bb.496:
	v_mov_b32_e32 v77, v81
	v_mov_b32_e32 v78, v82
	;; [unrolled: 1-line block ×4, first 2 shown]
	buffer_load_dword v81, off, s[24:27], 0 offset:500 ; 4-byte Folded Reload
	buffer_load_dword v82, off, s[24:27], 0 offset:504 ; 4-byte Folded Reload
	v_ashrrev_i32_e32 v86, 31, v85
	v_lshlrev_b64 v[86:87], 2, v[85:86]
	s_waitcnt vmcnt(1)
	v_add_co_u32_e32 v86, vcc, v81, v86
	s_waitcnt vmcnt(0)
	v_addc_co_u32_e32 v87, vcc, v82, v87, vcc
	global_load_dword v88, v[86:87], off
	global_load_dword v89, v[81:82], off offset:92
	s_waitcnt vmcnt(1)
	global_store_dword v[81:82], v88, off offset:92
	v_mov_b32_e32 v84, v80
	v_mov_b32_e32 v83, v79
	;; [unrolled: 1-line block ×4, first 2 shown]
	s_waitcnt vmcnt(1)
	global_store_dword v[86:87], v89, off
.LBB116_497:
	s_or_b64 exec, exec, s[20:21]
	v_mov_b32_e32 v89, v85
	v_mov_b32_e32 v77, v85
	buffer_store_dword v77, off, s[24:27], 0 offset:432 ; 4-byte Folded Spill
.LBB116_498:
	s_or_b64 exec, exec, s[18:19]
.LBB116_499:
	s_andn2_saveexec_b64 s[0:1], s[0:1]
	s_cbranch_execz .LBB116_501
; %bb.500:
	buffer_load_dword v77, off, s[24:27], 0 offset:160 ; 4-byte Folded Reload
	buffer_load_dword v78, off, s[24:27], 0 offset:164 ; 4-byte Folded Reload
	;; [unrolled: 1-line block ×4, first 2 shown]
	v_mov_b32_e32 v89, 23
	s_waitcnt vmcnt(0)
	ds_write2_b64 v0, v[77:78], v[79:80] offset0:48 offset1:49
	buffer_load_dword v77, off, s[24:27], 0 offset:144 ; 4-byte Folded Reload
	buffer_load_dword v78, off, s[24:27], 0 offset:148 ; 4-byte Folded Reload
	buffer_load_dword v79, off, s[24:27], 0 offset:152 ; 4-byte Folded Reload
	buffer_load_dword v80, off, s[24:27], 0 offset:156 ; 4-byte Folded Reload
	s_waitcnt vmcnt(0)
	ds_write2_b64 v0, v[77:78], v[79:80] offset0:50 offset1:51
	buffer_load_dword v77, off, s[24:27], 0 offset:128 ; 4-byte Folded Reload
	buffer_load_dword v78, off, s[24:27], 0 offset:132 ; 4-byte Folded Reload
	buffer_load_dword v79, off, s[24:27], 0 offset:136 ; 4-byte Folded Reload
	buffer_load_dword v80, off, s[24:27], 0 offset:140 ; 4-byte Folded Reload
	s_waitcnt vmcnt(0)
	ds_write2_b64 v0, v[77:78], v[79:80] offset0:52 offset1:53
	buffer_load_dword v77, off, s[24:27], 0 offset:112 ; 4-byte Folded Reload
	buffer_load_dword v78, off, s[24:27], 0 offset:116 ; 4-byte Folded Reload
	buffer_load_dword v79, off, s[24:27], 0 offset:120 ; 4-byte Folded Reload
	buffer_load_dword v80, off, s[24:27], 0 offset:124 ; 4-byte Folded Reload
	s_waitcnt vmcnt(0)
	ds_write2_b64 v0, v[77:78], v[79:80] offset0:54 offset1:55
	buffer_load_dword v77, off, s[24:27], 0 offset:96 ; 4-byte Folded Reload
	buffer_load_dword v78, off, s[24:27], 0 offset:100 ; 4-byte Folded Reload
	buffer_load_dword v79, off, s[24:27], 0 offset:104 ; 4-byte Folded Reload
	buffer_load_dword v80, off, s[24:27], 0 offset:108 ; 4-byte Folded Reload
	s_waitcnt vmcnt(0)
	ds_write2_b64 v0, v[77:78], v[79:80] offset0:56 offset1:57
	buffer_load_dword v77, off, s[24:27], 0 offset:80 ; 4-byte Folded Reload
	buffer_load_dword v78, off, s[24:27], 0 offset:84 ; 4-byte Folded Reload
	buffer_load_dword v79, off, s[24:27], 0 offset:88 ; 4-byte Folded Reload
	buffer_load_dword v80, off, s[24:27], 0 offset:92 ; 4-byte Folded Reload
	s_waitcnt vmcnt(0)
	ds_write2_b64 v0, v[77:78], v[79:80] offset0:58 offset1:59
	buffer_load_dword v77, off, s[24:27], 0 offset:64 ; 4-byte Folded Reload
	buffer_load_dword v78, off, s[24:27], 0 offset:68 ; 4-byte Folded Reload
	buffer_load_dword v79, off, s[24:27], 0 offset:72 ; 4-byte Folded Reload
	buffer_load_dword v80, off, s[24:27], 0 offset:76 ; 4-byte Folded Reload
	s_waitcnt vmcnt(0)
	ds_write2_b64 v0, v[77:78], v[79:80] offset0:60 offset1:61
	buffer_load_dword v77, off, s[24:27], 0 offset:48 ; 4-byte Folded Reload
	buffer_load_dword v78, off, s[24:27], 0 offset:52 ; 4-byte Folded Reload
	buffer_load_dword v79, off, s[24:27], 0 offset:56 ; 4-byte Folded Reload
	buffer_load_dword v80, off, s[24:27], 0 offset:60 ; 4-byte Folded Reload
	s_waitcnt vmcnt(0)
	ds_write2_b64 v0, v[77:78], v[79:80] offset0:62 offset1:63
	buffer_load_dword v77, off, s[24:27], 0 offset:32 ; 4-byte Folded Reload
	buffer_load_dword v78, off, s[24:27], 0 offset:36 ; 4-byte Folded Reload
	buffer_load_dword v79, off, s[24:27], 0 offset:40 ; 4-byte Folded Reload
	buffer_load_dword v80, off, s[24:27], 0 offset:44 ; 4-byte Folded Reload
	s_waitcnt vmcnt(0)
	ds_write2_b64 v0, v[77:78], v[79:80] offset0:64 offset1:65
	buffer_load_dword v77, off, s[24:27], 0 offset:16 ; 4-byte Folded Reload
	buffer_load_dword v78, off, s[24:27], 0 offset:20 ; 4-byte Folded Reload
	buffer_load_dword v79, off, s[24:27], 0 offset:24 ; 4-byte Folded Reload
	buffer_load_dword v80, off, s[24:27], 0 offset:28 ; 4-byte Folded Reload
	s_waitcnt vmcnt(0)
	ds_write2_b64 v0, v[77:78], v[79:80] offset0:66 offset1:67
	ds_write2_b64 v0, v[81:82], v[83:84] offset0:68 offset1:69
	;; [unrolled: 1-line block ×5, first 2 shown]
	buffer_load_dword v77, off, s[24:27], 0 ; 4-byte Folded Reload
	buffer_load_dword v78, off, s[24:27], 0 offset:4 ; 4-byte Folded Reload
	buffer_load_dword v79, off, s[24:27], 0 offset:8 ; 4-byte Folded Reload
	;; [unrolled: 1-line block ×3, first 2 shown]
	s_waitcnt vmcnt(0)
	ds_write2_b64 v0, v[77:78], v[79:80] offset0:76 offset1:77
	ds_write2_b64 v0, v[73:74], v[75:76] offset0:78 offset1:79
	;; [unrolled: 1-line block ×21, first 2 shown]
.LBB116_501:
	s_or_b64 exec, exec, s[0:1]
	v_cmp_lt_i32_e32 vcc, 23, v89
	s_waitcnt vmcnt(0) lgkmcnt(0)
	s_barrier
	s_and_saveexec_b64 s[0:1], vcc
	s_cbranch_execz .LBB116_503
; %bb.502:
	buffer_load_dword v91, off, s[24:27], 0 offset:176 ; 4-byte Folded Reload
	buffer_load_dword v92, off, s[24:27], 0 offset:180 ; 4-byte Folded Reload
	buffer_load_dword v93, off, s[24:27], 0 offset:184 ; 4-byte Folded Reload
	buffer_load_dword v94, off, s[24:27], 0 offset:188 ; 4-byte Folded Reload
	s_waitcnt vmcnt(0)
	v_mul_f64 v[85:86], v[119:120], v[93:94]
	v_fma_f64 v[125:126], v[117:118], v[91:92], -v[85:86]
	v_mul_f64 v[85:86], v[117:118], v[93:94]
	v_fma_f64 v[93:94], v[119:120], v[91:92], v[85:86]
	ds_read2_b64 v[85:88], v0 offset0:48 offset1:49
	buffer_load_dword v77, off, s[24:27], 0 offset:160 ; 4-byte Folded Reload
	buffer_load_dword v78, off, s[24:27], 0 offset:164 ; 4-byte Folded Reload
	buffer_load_dword v79, off, s[24:27], 0 offset:168 ; 4-byte Folded Reload
	buffer_load_dword v80, off, s[24:27], 0 offset:172 ; 4-byte Folded Reload
	s_waitcnt lgkmcnt(0)
	v_mul_f64 v[91:92], v[87:88], v[93:94]
	v_fma_f64 v[91:92], v[85:86], v[125:126], -v[91:92]
	v_mul_f64 v[85:86], v[85:86], v[93:94]
	v_fma_f64 v[85:86], v[87:88], v[125:126], v[85:86]
	s_waitcnt vmcnt(2)
	v_add_f64 v[77:78], v[77:78], -v[91:92]
	s_waitcnt vmcnt(0)
	v_add_f64 v[79:80], v[79:80], -v[85:86]
	buffer_store_dword v77, off, s[24:27], 0 offset:160 ; 4-byte Folded Spill
	s_nop 0
	buffer_store_dword v78, off, s[24:27], 0 offset:164 ; 4-byte Folded Spill
	buffer_store_dword v79, off, s[24:27], 0 offset:168 ; 4-byte Folded Spill
	buffer_store_dword v80, off, s[24:27], 0 offset:172 ; 4-byte Folded Spill
	ds_read2_b64 v[85:88], v0 offset0:50 offset1:51
	buffer_load_dword v77, off, s[24:27], 0 offset:144 ; 4-byte Folded Reload
	buffer_load_dword v78, off, s[24:27], 0 offset:148 ; 4-byte Folded Reload
	buffer_load_dword v79, off, s[24:27], 0 offset:152 ; 4-byte Folded Reload
	buffer_load_dword v80, off, s[24:27], 0 offset:156 ; 4-byte Folded Reload
	s_waitcnt lgkmcnt(0)
	v_mul_f64 v[91:92], v[87:88], v[93:94]
	v_fma_f64 v[91:92], v[85:86], v[125:126], -v[91:92]
	v_mul_f64 v[85:86], v[85:86], v[93:94]
	v_fma_f64 v[85:86], v[87:88], v[125:126], v[85:86]
	s_waitcnt vmcnt(2)
	v_add_f64 v[77:78], v[77:78], -v[91:92]
	s_waitcnt vmcnt(0)
	v_add_f64 v[79:80], v[79:80], -v[85:86]
	buffer_store_dword v77, off, s[24:27], 0 offset:144 ; 4-byte Folded Spill
	s_nop 0
	buffer_store_dword v78, off, s[24:27], 0 offset:148 ; 4-byte Folded Spill
	buffer_store_dword v79, off, s[24:27], 0 offset:152 ; 4-byte Folded Spill
	buffer_store_dword v80, off, s[24:27], 0 offset:156 ; 4-byte Folded Spill
	;; [unrolled: 19-line block ×10, first 2 shown]
	ds_read2_b64 v[85:88], v0 offset0:68 offset1:69
	s_waitcnt lgkmcnt(0)
	v_mul_f64 v[91:92], v[87:88], v[93:94]
	v_fma_f64 v[91:92], v[85:86], v[125:126], -v[91:92]
	v_mul_f64 v[85:86], v[85:86], v[93:94]
	v_add_f64 v[81:82], v[81:82], -v[91:92]
	v_fma_f64 v[85:86], v[87:88], v[125:126], v[85:86]
	v_add_f64 v[83:84], v[83:84], -v[85:86]
	ds_read2_b64 v[85:88], v0 offset0:70 offset1:71
	s_waitcnt lgkmcnt(0)
	v_mul_f64 v[91:92], v[87:88], v[93:94]
	v_fma_f64 v[91:92], v[85:86], v[125:126], -v[91:92]
	v_mul_f64 v[85:86], v[85:86], v[93:94]
	v_add_f64 v[113:114], v[113:114], -v[91:92]
	v_fma_f64 v[85:86], v[87:88], v[125:126], v[85:86]
	v_add_f64 v[115:116], v[115:116], -v[85:86]
	ds_read2_b64 v[85:88], v0 offset0:72 offset1:73
	s_waitcnt lgkmcnt(0)
	v_mul_f64 v[91:92], v[87:88], v[93:94]
	v_fma_f64 v[91:92], v[85:86], v[125:126], -v[91:92]
	v_mul_f64 v[85:86], v[85:86], v[93:94]
	v_add_f64 v[109:110], v[109:110], -v[91:92]
	v_fma_f64 v[85:86], v[87:88], v[125:126], v[85:86]
	v_add_f64 v[111:112], v[111:112], -v[85:86]
	ds_read2_b64 v[85:88], v0 offset0:74 offset1:75
	s_waitcnt lgkmcnt(0)
	v_mul_f64 v[91:92], v[87:88], v[93:94]
	v_fma_f64 v[91:92], v[85:86], v[125:126], -v[91:92]
	v_mul_f64 v[85:86], v[85:86], v[93:94]
	v_add_f64 v[105:106], v[105:106], -v[91:92]
	v_fma_f64 v[85:86], v[87:88], v[125:126], v[85:86]
	v_add_f64 v[107:108], v[107:108], -v[85:86]
	ds_read2_b64 v[85:88], v0 offset0:76 offset1:77
	buffer_load_dword v77, off, s[24:27], 0 ; 4-byte Folded Reload
	buffer_load_dword v78, off, s[24:27], 0 offset:4 ; 4-byte Folded Reload
	buffer_load_dword v79, off, s[24:27], 0 offset:8 ; 4-byte Folded Reload
	;; [unrolled: 1-line block ×3, first 2 shown]
	s_waitcnt lgkmcnt(0)
	v_mul_f64 v[91:92], v[87:88], v[93:94]
	v_fma_f64 v[91:92], v[85:86], v[125:126], -v[91:92]
	v_mul_f64 v[85:86], v[85:86], v[93:94]
	v_fma_f64 v[85:86], v[87:88], v[125:126], v[85:86]
	s_waitcnt vmcnt(2)
	v_add_f64 v[77:78], v[77:78], -v[91:92]
	s_waitcnt vmcnt(0)
	v_add_f64 v[79:80], v[79:80], -v[85:86]
	buffer_store_dword v77, off, s[24:27], 0 ; 4-byte Folded Spill
	s_nop 0
	buffer_store_dword v78, off, s[24:27], 0 offset:4 ; 4-byte Folded Spill
	buffer_store_dword v79, off, s[24:27], 0 offset:8 ; 4-byte Folded Spill
	;; [unrolled: 1-line block ×3, first 2 shown]
	ds_read2_b64 v[85:88], v0 offset0:78 offset1:79
	s_waitcnt lgkmcnt(0)
	v_mul_f64 v[91:92], v[87:88], v[93:94]
	v_fma_f64 v[91:92], v[85:86], v[125:126], -v[91:92]
	v_mul_f64 v[85:86], v[85:86], v[93:94]
	v_add_f64 v[73:74], v[73:74], -v[91:92]
	v_fma_f64 v[85:86], v[87:88], v[125:126], v[85:86]
	v_add_f64 v[75:76], v[75:76], -v[85:86]
	ds_read2_b64 v[85:88], v0 offset0:80 offset1:81
	s_waitcnt lgkmcnt(0)
	v_mul_f64 v[91:92], v[87:88], v[93:94]
	v_fma_f64 v[91:92], v[85:86], v[125:126], -v[91:92]
	v_mul_f64 v[85:86], v[85:86], v[93:94]
	v_add_f64 v[69:70], v[69:70], -v[91:92]
	v_fma_f64 v[85:86], v[87:88], v[125:126], v[85:86]
	v_add_f64 v[71:72], v[71:72], -v[85:86]
	ds_read2_b64 v[85:88], v0 offset0:82 offset1:83
	s_waitcnt lgkmcnt(0)
	v_mul_f64 v[91:92], v[87:88], v[93:94]
	v_fma_f64 v[91:92], v[85:86], v[125:126], -v[91:92]
	v_mul_f64 v[85:86], v[85:86], v[93:94]
	v_add_f64 v[65:66], v[65:66], -v[91:92]
	v_fma_f64 v[85:86], v[87:88], v[125:126], v[85:86]
	v_add_f64 v[67:68], v[67:68], -v[85:86]
	ds_read2_b64 v[85:88], v0 offset0:84 offset1:85
	s_waitcnt lgkmcnt(0)
	v_mul_f64 v[91:92], v[87:88], v[93:94]
	v_fma_f64 v[91:92], v[85:86], v[125:126], -v[91:92]
	v_mul_f64 v[85:86], v[85:86], v[93:94]
	v_add_f64 v[61:62], v[61:62], -v[91:92]
	v_fma_f64 v[85:86], v[87:88], v[125:126], v[85:86]
	v_add_f64 v[63:64], v[63:64], -v[85:86]
	ds_read2_b64 v[85:88], v0 offset0:86 offset1:87
	s_waitcnt lgkmcnt(0)
	v_mul_f64 v[91:92], v[87:88], v[93:94]
	v_fma_f64 v[91:92], v[85:86], v[125:126], -v[91:92]
	v_mul_f64 v[85:86], v[85:86], v[93:94]
	v_add_f64 v[57:58], v[57:58], -v[91:92]
	v_fma_f64 v[85:86], v[87:88], v[125:126], v[85:86]
	v_add_f64 v[59:60], v[59:60], -v[85:86]
	ds_read2_b64 v[85:88], v0 offset0:88 offset1:89
	s_waitcnt lgkmcnt(0)
	v_mul_f64 v[91:92], v[87:88], v[93:94]
	v_fma_f64 v[91:92], v[85:86], v[125:126], -v[91:92]
	v_mul_f64 v[85:86], v[85:86], v[93:94]
	v_add_f64 v[53:54], v[53:54], -v[91:92]
	v_fma_f64 v[85:86], v[87:88], v[125:126], v[85:86]
	v_add_f64 v[55:56], v[55:56], -v[85:86]
	ds_read2_b64 v[85:88], v0 offset0:90 offset1:91
	s_waitcnt lgkmcnt(0)
	v_mul_f64 v[91:92], v[87:88], v[93:94]
	v_fma_f64 v[91:92], v[85:86], v[125:126], -v[91:92]
	v_mul_f64 v[85:86], v[85:86], v[93:94]
	v_add_f64 v[49:50], v[49:50], -v[91:92]
	v_fma_f64 v[85:86], v[87:88], v[125:126], v[85:86]
	v_add_f64 v[51:52], v[51:52], -v[85:86]
	ds_read2_b64 v[85:88], v0 offset0:92 offset1:93
	s_waitcnt lgkmcnt(0)
	v_mul_f64 v[91:92], v[87:88], v[93:94]
	v_fma_f64 v[91:92], v[85:86], v[125:126], -v[91:92]
	v_mul_f64 v[85:86], v[85:86], v[93:94]
	v_add_f64 v[45:46], v[45:46], -v[91:92]
	v_fma_f64 v[85:86], v[87:88], v[125:126], v[85:86]
	v_add_f64 v[47:48], v[47:48], -v[85:86]
	ds_read2_b64 v[85:88], v0 offset0:94 offset1:95
	s_waitcnt lgkmcnt(0)
	v_mul_f64 v[91:92], v[87:88], v[93:94]
	v_fma_f64 v[91:92], v[85:86], v[125:126], -v[91:92]
	v_mul_f64 v[85:86], v[85:86], v[93:94]
	v_add_f64 v[41:42], v[41:42], -v[91:92]
	v_fma_f64 v[85:86], v[87:88], v[125:126], v[85:86]
	v_add_f64 v[43:44], v[43:44], -v[85:86]
	ds_read2_b64 v[85:88], v0 offset0:96 offset1:97
	s_waitcnt lgkmcnt(0)
	v_mul_f64 v[91:92], v[87:88], v[93:94]
	v_fma_f64 v[91:92], v[85:86], v[125:126], -v[91:92]
	v_mul_f64 v[85:86], v[85:86], v[93:94]
	v_add_f64 v[37:38], v[37:38], -v[91:92]
	v_fma_f64 v[85:86], v[87:88], v[125:126], v[85:86]
	v_add_f64 v[39:40], v[39:40], -v[85:86]
	ds_read2_b64 v[85:88], v0 offset0:98 offset1:99
	s_waitcnt lgkmcnt(0)
	v_mul_f64 v[91:92], v[87:88], v[93:94]
	v_fma_f64 v[91:92], v[85:86], v[125:126], -v[91:92]
	v_mul_f64 v[85:86], v[85:86], v[93:94]
	v_add_f64 v[33:34], v[33:34], -v[91:92]
	v_fma_f64 v[85:86], v[87:88], v[125:126], v[85:86]
	v_add_f64 v[35:36], v[35:36], -v[85:86]
	ds_read2_b64 v[85:88], v0 offset0:100 offset1:101
	s_waitcnt lgkmcnt(0)
	v_mul_f64 v[91:92], v[87:88], v[93:94]
	v_fma_f64 v[91:92], v[85:86], v[125:126], -v[91:92]
	v_mul_f64 v[85:86], v[85:86], v[93:94]
	v_add_f64 v[29:30], v[29:30], -v[91:92]
	v_fma_f64 v[85:86], v[87:88], v[125:126], v[85:86]
	v_add_f64 v[31:32], v[31:32], -v[85:86]
	ds_read2_b64 v[85:88], v0 offset0:102 offset1:103
	s_waitcnt lgkmcnt(0)
	v_mul_f64 v[91:92], v[87:88], v[93:94]
	v_fma_f64 v[91:92], v[85:86], v[125:126], -v[91:92]
	v_mul_f64 v[85:86], v[85:86], v[93:94]
	v_add_f64 v[25:26], v[25:26], -v[91:92]
	v_fma_f64 v[85:86], v[87:88], v[125:126], v[85:86]
	v_add_f64 v[27:28], v[27:28], -v[85:86]
	ds_read2_b64 v[85:88], v0 offset0:104 offset1:105
	s_waitcnt lgkmcnt(0)
	v_mul_f64 v[91:92], v[87:88], v[93:94]
	v_fma_f64 v[91:92], v[85:86], v[125:126], -v[91:92]
	v_mul_f64 v[85:86], v[85:86], v[93:94]
	v_add_f64 v[21:22], v[21:22], -v[91:92]
	v_fma_f64 v[85:86], v[87:88], v[125:126], v[85:86]
	v_add_f64 v[23:24], v[23:24], -v[85:86]
	ds_read2_b64 v[85:88], v0 offset0:106 offset1:107
	s_waitcnt lgkmcnt(0)
	v_mul_f64 v[91:92], v[87:88], v[93:94]
	v_fma_f64 v[91:92], v[85:86], v[125:126], -v[91:92]
	v_mul_f64 v[85:86], v[85:86], v[93:94]
	v_add_f64 v[17:18], v[17:18], -v[91:92]
	v_fma_f64 v[85:86], v[87:88], v[125:126], v[85:86]
	v_add_f64 v[19:20], v[19:20], -v[85:86]
	ds_read2_b64 v[85:88], v0 offset0:108 offset1:109
	s_waitcnt lgkmcnt(0)
	v_mul_f64 v[91:92], v[87:88], v[93:94]
	v_fma_f64 v[91:92], v[85:86], v[125:126], -v[91:92]
	v_mul_f64 v[85:86], v[85:86], v[93:94]
	v_add_f64 v[13:14], v[13:14], -v[91:92]
	v_fma_f64 v[85:86], v[87:88], v[125:126], v[85:86]
	v_add_f64 v[15:16], v[15:16], -v[85:86]
	ds_read2_b64 v[85:88], v0 offset0:110 offset1:111
	s_waitcnt lgkmcnt(0)
	v_mul_f64 v[91:92], v[87:88], v[93:94]
	v_fma_f64 v[91:92], v[85:86], v[125:126], -v[91:92]
	v_mul_f64 v[85:86], v[85:86], v[93:94]
	v_add_f64 v[9:10], v[9:10], -v[91:92]
	v_fma_f64 v[85:86], v[87:88], v[125:126], v[85:86]
	v_add_f64 v[11:12], v[11:12], -v[85:86]
	ds_read2_b64 v[85:88], v0 offset0:112 offset1:113
	s_waitcnt lgkmcnt(0)
	v_mul_f64 v[91:92], v[87:88], v[93:94]
	v_fma_f64 v[91:92], v[85:86], v[125:126], -v[91:92]
	v_mul_f64 v[85:86], v[85:86], v[93:94]
	v_add_f64 v[5:6], v[5:6], -v[91:92]
	v_fma_f64 v[85:86], v[87:88], v[125:126], v[85:86]
	v_add_f64 v[7:8], v[7:8], -v[85:86]
	ds_read2_b64 v[85:88], v0 offset0:114 offset1:115
	s_waitcnt lgkmcnt(0)
	v_mul_f64 v[91:92], v[87:88], v[93:94]
	v_fma_f64 v[91:92], v[85:86], v[125:126], -v[91:92]
	v_mul_f64 v[85:86], v[85:86], v[93:94]
	v_add_f64 v[1:2], v[1:2], -v[91:92]
	v_fma_f64 v[85:86], v[87:88], v[125:126], v[85:86]
	v_add_f64 v[3:4], v[3:4], -v[85:86]
	ds_read2_b64 v[85:88], v0 offset0:116 offset1:117
	s_waitcnt lgkmcnt(0)
	v_mul_f64 v[91:92], v[87:88], v[93:94]
	v_fma_f64 v[91:92], v[85:86], v[125:126], -v[91:92]
	v_mul_f64 v[85:86], v[85:86], v[93:94]
	v_add_f64 v[121:122], v[121:122], -v[91:92]
	v_fma_f64 v[85:86], v[87:88], v[125:126], v[85:86]
	v_mov_b32_e32 v91, v125
	v_mov_b32_e32 v92, v126
	buffer_store_dword v91, off, s[24:27], 0 offset:176 ; 4-byte Folded Spill
	s_nop 0
	buffer_store_dword v92, off, s[24:27], 0 offset:180 ; 4-byte Folded Spill
	buffer_store_dword v93, off, s[24:27], 0 offset:184 ; 4-byte Folded Spill
	;; [unrolled: 1-line block ×3, first 2 shown]
	v_add_f64 v[123:124], v[123:124], -v[85:86]
.LBB116_503:
	s_or_b64 exec, exec, s[0:1]
	s_waitcnt vmcnt(0)
	s_barrier
	buffer_load_dword v77, off, s[24:27], 0 offset:160 ; 4-byte Folded Reload
	buffer_load_dword v78, off, s[24:27], 0 offset:164 ; 4-byte Folded Reload
	;; [unrolled: 1-line block ×4, first 2 shown]
	v_lshl_add_u32 v85, v89, 4, v0
	s_cmp_lt_i32 s3, 26
	s_waitcnt vmcnt(0)
	ds_write2_b64 v85, v[77:78], v[79:80] offset1:1
	s_waitcnt lgkmcnt(0)
	s_barrier
	ds_read2_b64 v[117:120], v0 offset0:48 offset1:49
	v_mov_b32_e32 v85, 24
	s_cbranch_scc1 .LBB116_506
; %bb.504:
	v_add_u32_e32 v86, 0x190, v0
	s_mov_b32 s0, 25
	v_mov_b32_e32 v85, 24
.LBB116_505:                            ; =>This Inner Loop Header: Depth=1
	s_waitcnt lgkmcnt(0)
	v_cmp_gt_f64_e32 vcc, 0, v[117:118]
	v_xor_b32_e32 v87, 0x80000000, v118
	ds_read2_b64 v[91:94], v86 offset1:1
	v_xor_b32_e32 v95, 0x80000000, v120
	v_add_u32_e32 v86, 16, v86
	s_waitcnt lgkmcnt(0)
	v_xor_b32_e32 v97, 0x80000000, v94
	v_cndmask_b32_e32 v88, v118, v87, vcc
	v_cmp_gt_f64_e32 vcc, 0, v[119:120]
	v_mov_b32_e32 v87, v117
	v_cndmask_b32_e32 v96, v120, v95, vcc
	v_cmp_gt_f64_e32 vcc, 0, v[91:92]
	v_mov_b32_e32 v95, v119
	v_add_f64 v[87:88], v[87:88], v[95:96]
	v_xor_b32_e32 v95, 0x80000000, v92
	v_cndmask_b32_e32 v96, v92, v95, vcc
	v_cmp_gt_f64_e32 vcc, 0, v[93:94]
	v_mov_b32_e32 v95, v91
	v_cndmask_b32_e32 v98, v94, v97, vcc
	v_mov_b32_e32 v97, v93
	v_add_f64 v[95:96], v[95:96], v[97:98]
	v_cmp_lt_f64_e32 vcc, v[87:88], v[95:96]
	v_mov_b32_e32 v87, s0
	s_add_i32 s0, s0, 1
	s_cmp_lg_u32 s3, s0
	v_cndmask_b32_e32 v118, v118, v92, vcc
	v_cndmask_b32_e32 v117, v117, v91, vcc
	;; [unrolled: 1-line block ×5, first 2 shown]
	s_cbranch_scc1 .LBB116_505
.LBB116_506:
	s_waitcnt lgkmcnt(0)
	v_cmp_eq_f64_e32 vcc, 0, v[117:118]
	v_cmp_eq_f64_e64 s[0:1], 0, v[119:120]
	s_and_b64 s[0:1], vcc, s[0:1]
	s_and_saveexec_b64 s[18:19], s[0:1]
	s_xor_b64 s[0:1], exec, s[18:19]
; %bb.507:
	v_cmp_ne_u32_e32 vcc, 0, v90
	v_cndmask_b32_e32 v90, 25, v90, vcc
; %bb.508:
	s_andn2_saveexec_b64 s[0:1], s[0:1]
	s_cbranch_execz .LBB116_514
; %bb.509:
	v_cmp_ngt_f64_e64 s[18:19], |v[117:118]|, |v[119:120]|
	s_and_saveexec_b64 s[20:21], s[18:19]
	s_xor_b64 s[18:19], exec, s[20:21]
	s_cbranch_execz .LBB116_511
; %bb.510:
	v_div_scale_f64 v[86:87], s[20:21], v[119:120], v[119:120], v[117:118]
	v_rcp_f64_e32 v[91:92], v[86:87]
	v_fma_f64 v[93:94], -v[86:87], v[91:92], 1.0
	v_fma_f64 v[91:92], v[91:92], v[93:94], v[91:92]
	v_div_scale_f64 v[93:94], vcc, v[117:118], v[119:120], v[117:118]
	v_fma_f64 v[95:96], -v[86:87], v[91:92], 1.0
	v_fma_f64 v[91:92], v[91:92], v[95:96], v[91:92]
	v_mul_f64 v[95:96], v[93:94], v[91:92]
	v_fma_f64 v[86:87], -v[86:87], v[95:96], v[93:94]
	v_div_fmas_f64 v[86:87], v[86:87], v[91:92], v[95:96]
	v_div_fixup_f64 v[86:87], v[86:87], v[119:120], v[117:118]
	v_fma_f64 v[91:92], v[117:118], v[86:87], v[119:120]
	v_div_scale_f64 v[93:94], s[20:21], v[91:92], v[91:92], 1.0
	v_div_scale_f64 v[99:100], vcc, 1.0, v[91:92], 1.0
	v_rcp_f64_e32 v[95:96], v[93:94]
	v_fma_f64 v[97:98], -v[93:94], v[95:96], 1.0
	v_fma_f64 v[95:96], v[95:96], v[97:98], v[95:96]
	v_fma_f64 v[97:98], -v[93:94], v[95:96], 1.0
	v_fma_f64 v[95:96], v[95:96], v[97:98], v[95:96]
	v_mul_f64 v[97:98], v[99:100], v[95:96]
	v_fma_f64 v[93:94], -v[93:94], v[97:98], v[99:100]
	v_div_fmas_f64 v[93:94], v[93:94], v[95:96], v[97:98]
	v_div_fixup_f64 v[119:120], v[93:94], v[91:92], 1.0
	v_mul_f64 v[117:118], v[86:87], v[119:120]
	v_xor_b32_e32 v120, 0x80000000, v120
.LBB116_511:
	s_andn2_saveexec_b64 s[18:19], s[18:19]
	s_cbranch_execz .LBB116_513
; %bb.512:
	v_div_scale_f64 v[86:87], s[20:21], v[117:118], v[117:118], v[119:120]
	v_rcp_f64_e32 v[91:92], v[86:87]
	v_fma_f64 v[93:94], -v[86:87], v[91:92], 1.0
	v_fma_f64 v[91:92], v[91:92], v[93:94], v[91:92]
	v_div_scale_f64 v[93:94], vcc, v[119:120], v[117:118], v[119:120]
	v_fma_f64 v[95:96], -v[86:87], v[91:92], 1.0
	v_fma_f64 v[91:92], v[91:92], v[95:96], v[91:92]
	v_mul_f64 v[95:96], v[93:94], v[91:92]
	v_fma_f64 v[86:87], -v[86:87], v[95:96], v[93:94]
	v_div_fmas_f64 v[86:87], v[86:87], v[91:92], v[95:96]
	v_div_fixup_f64 v[86:87], v[86:87], v[117:118], v[119:120]
	v_fma_f64 v[91:92], v[119:120], v[86:87], v[117:118]
	v_div_scale_f64 v[93:94], s[20:21], v[91:92], v[91:92], 1.0
	v_div_scale_f64 v[99:100], vcc, 1.0, v[91:92], 1.0
	v_rcp_f64_e32 v[95:96], v[93:94]
	v_fma_f64 v[97:98], -v[93:94], v[95:96], 1.0
	v_fma_f64 v[95:96], v[95:96], v[97:98], v[95:96]
	v_fma_f64 v[97:98], -v[93:94], v[95:96], 1.0
	v_fma_f64 v[95:96], v[95:96], v[97:98], v[95:96]
	v_mul_f64 v[97:98], v[99:100], v[95:96]
	v_fma_f64 v[93:94], -v[93:94], v[97:98], v[99:100]
	v_div_fmas_f64 v[93:94], v[93:94], v[95:96], v[97:98]
	v_div_fixup_f64 v[117:118], v[93:94], v[91:92], 1.0
	v_mul_f64 v[119:120], v[86:87], -v[117:118]
.LBB116_513:
	s_or_b64 exec, exec, s[18:19]
.LBB116_514:
	s_or_b64 exec, exec, s[0:1]
	v_cmp_ne_u32_e32 vcc, v89, v85
	s_and_saveexec_b64 s[0:1], vcc
	s_xor_b64 s[0:1], exec, s[0:1]
	s_cbranch_execz .LBB116_520
; %bb.515:
	v_cmp_eq_u32_e32 vcc, 24, v89
	s_and_saveexec_b64 s[18:19], vcc
	s_cbranch_execz .LBB116_519
; %bb.516:
	v_cmp_ne_u32_e32 vcc, 24, v85
	s_xor_b64 s[20:21], s[6:7], -1
	s_and_b64 s[22:23], s[20:21], vcc
	s_and_saveexec_b64 s[20:21], s[22:23]
	s_cbranch_execz .LBB116_518
; %bb.517:
	v_mov_b32_e32 v77, v81
	v_mov_b32_e32 v78, v82
	;; [unrolled: 1-line block ×4, first 2 shown]
	buffer_load_dword v81, off, s[24:27], 0 offset:500 ; 4-byte Folded Reload
	buffer_load_dword v82, off, s[24:27], 0 offset:504 ; 4-byte Folded Reload
	v_ashrrev_i32_e32 v86, 31, v85
	v_lshlrev_b64 v[86:87], 2, v[85:86]
	s_waitcnt vmcnt(1)
	v_add_co_u32_e32 v86, vcc, v81, v86
	s_waitcnt vmcnt(0)
	v_addc_co_u32_e32 v87, vcc, v82, v87, vcc
	global_load_dword v88, v[86:87], off
	global_load_dword v89, v[81:82], off offset:96
	s_waitcnt vmcnt(1)
	global_store_dword v[81:82], v88, off offset:96
	v_mov_b32_e32 v84, v80
	v_mov_b32_e32 v83, v79
	;; [unrolled: 1-line block ×4, first 2 shown]
	s_waitcnt vmcnt(1)
	global_store_dword v[86:87], v89, off
.LBB116_518:
	s_or_b64 exec, exec, s[20:21]
	v_mov_b32_e32 v89, v85
	v_mov_b32_e32 v77, v85
	buffer_store_dword v77, off, s[24:27], 0 offset:432 ; 4-byte Folded Spill
.LBB116_519:
	s_or_b64 exec, exec, s[18:19]
.LBB116_520:
	s_andn2_saveexec_b64 s[0:1], s[0:1]
	s_cbranch_execz .LBB116_522
; %bb.521:
	buffer_load_dword v77, off, s[24:27], 0 offset:144 ; 4-byte Folded Reload
	buffer_load_dword v78, off, s[24:27], 0 offset:148 ; 4-byte Folded Reload
	buffer_load_dword v79, off, s[24:27], 0 offset:152 ; 4-byte Folded Reload
	buffer_load_dword v80, off, s[24:27], 0 offset:156 ; 4-byte Folded Reload
	v_mov_b32_e32 v89, 24
	s_waitcnt vmcnt(0)
	ds_write2_b64 v0, v[77:78], v[79:80] offset0:50 offset1:51
	buffer_load_dword v77, off, s[24:27], 0 offset:128 ; 4-byte Folded Reload
	buffer_load_dword v78, off, s[24:27], 0 offset:132 ; 4-byte Folded Reload
	buffer_load_dword v79, off, s[24:27], 0 offset:136 ; 4-byte Folded Reload
	buffer_load_dword v80, off, s[24:27], 0 offset:140 ; 4-byte Folded Reload
	s_waitcnt vmcnt(0)
	ds_write2_b64 v0, v[77:78], v[79:80] offset0:52 offset1:53
	buffer_load_dword v77, off, s[24:27], 0 offset:112 ; 4-byte Folded Reload
	buffer_load_dword v78, off, s[24:27], 0 offset:116 ; 4-byte Folded Reload
	buffer_load_dword v79, off, s[24:27], 0 offset:120 ; 4-byte Folded Reload
	buffer_load_dword v80, off, s[24:27], 0 offset:124 ; 4-byte Folded Reload
	;; [unrolled: 6-line block ×8, first 2 shown]
	s_waitcnt vmcnt(0)
	ds_write2_b64 v0, v[77:78], v[79:80] offset0:66 offset1:67
	ds_write2_b64 v0, v[81:82], v[83:84] offset0:68 offset1:69
	;; [unrolled: 1-line block ×5, first 2 shown]
	buffer_load_dword v77, off, s[24:27], 0 ; 4-byte Folded Reload
	buffer_load_dword v78, off, s[24:27], 0 offset:4 ; 4-byte Folded Reload
	buffer_load_dword v79, off, s[24:27], 0 offset:8 ; 4-byte Folded Reload
	;; [unrolled: 1-line block ×3, first 2 shown]
	s_waitcnt vmcnt(0)
	ds_write2_b64 v0, v[77:78], v[79:80] offset0:76 offset1:77
	ds_write2_b64 v0, v[73:74], v[75:76] offset0:78 offset1:79
	;; [unrolled: 1-line block ×21, first 2 shown]
.LBB116_522:
	s_or_b64 exec, exec, s[0:1]
	v_cmp_lt_i32_e32 vcc, 24, v89
	s_waitcnt vmcnt(0) lgkmcnt(0)
	s_barrier
	s_and_saveexec_b64 s[0:1], vcc
	s_cbranch_execz .LBB116_524
; %bb.523:
	buffer_load_dword v91, off, s[24:27], 0 offset:160 ; 4-byte Folded Reload
	buffer_load_dword v92, off, s[24:27], 0 offset:164 ; 4-byte Folded Reload
	;; [unrolled: 1-line block ×4, first 2 shown]
	s_waitcnt vmcnt(0)
	v_mul_f64 v[85:86], v[119:120], v[93:94]
	v_fma_f64 v[125:126], v[117:118], v[91:92], -v[85:86]
	v_mul_f64 v[85:86], v[117:118], v[93:94]
	v_fma_f64 v[93:94], v[119:120], v[91:92], v[85:86]
	ds_read2_b64 v[85:88], v0 offset0:50 offset1:51
	buffer_load_dword v77, off, s[24:27], 0 offset:144 ; 4-byte Folded Reload
	buffer_load_dword v78, off, s[24:27], 0 offset:148 ; 4-byte Folded Reload
	buffer_load_dword v79, off, s[24:27], 0 offset:152 ; 4-byte Folded Reload
	buffer_load_dword v80, off, s[24:27], 0 offset:156 ; 4-byte Folded Reload
	s_waitcnt lgkmcnt(0)
	v_mul_f64 v[91:92], v[87:88], v[93:94]
	v_fma_f64 v[91:92], v[85:86], v[125:126], -v[91:92]
	v_mul_f64 v[85:86], v[85:86], v[93:94]
	v_fma_f64 v[85:86], v[87:88], v[125:126], v[85:86]
	s_waitcnt vmcnt(2)
	v_add_f64 v[77:78], v[77:78], -v[91:92]
	s_waitcnt vmcnt(0)
	v_add_f64 v[79:80], v[79:80], -v[85:86]
	buffer_store_dword v77, off, s[24:27], 0 offset:144 ; 4-byte Folded Spill
	s_nop 0
	buffer_store_dword v78, off, s[24:27], 0 offset:148 ; 4-byte Folded Spill
	buffer_store_dword v79, off, s[24:27], 0 offset:152 ; 4-byte Folded Spill
	buffer_store_dword v80, off, s[24:27], 0 offset:156 ; 4-byte Folded Spill
	ds_read2_b64 v[85:88], v0 offset0:52 offset1:53
	buffer_load_dword v77, off, s[24:27], 0 offset:128 ; 4-byte Folded Reload
	buffer_load_dword v78, off, s[24:27], 0 offset:132 ; 4-byte Folded Reload
	buffer_load_dword v79, off, s[24:27], 0 offset:136 ; 4-byte Folded Reload
	buffer_load_dword v80, off, s[24:27], 0 offset:140 ; 4-byte Folded Reload
	s_waitcnt lgkmcnt(0)
	v_mul_f64 v[91:92], v[87:88], v[93:94]
	v_fma_f64 v[91:92], v[85:86], v[125:126], -v[91:92]
	v_mul_f64 v[85:86], v[85:86], v[93:94]
	v_fma_f64 v[85:86], v[87:88], v[125:126], v[85:86]
	s_waitcnt vmcnt(2)
	v_add_f64 v[77:78], v[77:78], -v[91:92]
	s_waitcnt vmcnt(0)
	v_add_f64 v[79:80], v[79:80], -v[85:86]
	buffer_store_dword v77, off, s[24:27], 0 offset:128 ; 4-byte Folded Spill
	s_nop 0
	buffer_store_dword v78, off, s[24:27], 0 offset:132 ; 4-byte Folded Spill
	buffer_store_dword v79, off, s[24:27], 0 offset:136 ; 4-byte Folded Spill
	buffer_store_dword v80, off, s[24:27], 0 offset:140 ; 4-byte Folded Spill
	ds_read2_b64 v[85:88], v0 offset0:54 offset1:55
	buffer_load_dword v77, off, s[24:27], 0 offset:112 ; 4-byte Folded Reload
	buffer_load_dword v78, off, s[24:27], 0 offset:116 ; 4-byte Folded Reload
	buffer_load_dword v79, off, s[24:27], 0 offset:120 ; 4-byte Folded Reload
	buffer_load_dword v80, off, s[24:27], 0 offset:124 ; 4-byte Folded Reload
	s_waitcnt lgkmcnt(0)
	v_mul_f64 v[91:92], v[87:88], v[93:94]
	v_fma_f64 v[91:92], v[85:86], v[125:126], -v[91:92]
	v_mul_f64 v[85:86], v[85:86], v[93:94]
	v_fma_f64 v[85:86], v[87:88], v[125:126], v[85:86]
	s_waitcnt vmcnt(2)
	v_add_f64 v[77:78], v[77:78], -v[91:92]
	s_waitcnt vmcnt(0)
	v_add_f64 v[79:80], v[79:80], -v[85:86]
	buffer_store_dword v77, off, s[24:27], 0 offset:112 ; 4-byte Folded Spill
	s_nop 0
	buffer_store_dword v78, off, s[24:27], 0 offset:116 ; 4-byte Folded Spill
	buffer_store_dword v79, off, s[24:27], 0 offset:120 ; 4-byte Folded Spill
	buffer_store_dword v80, off, s[24:27], 0 offset:124 ; 4-byte Folded Spill
	ds_read2_b64 v[85:88], v0 offset0:56 offset1:57
	buffer_load_dword v77, off, s[24:27], 0 offset:96 ; 4-byte Folded Reload
	buffer_load_dword v78, off, s[24:27], 0 offset:100 ; 4-byte Folded Reload
	buffer_load_dword v79, off, s[24:27], 0 offset:104 ; 4-byte Folded Reload
	buffer_load_dword v80, off, s[24:27], 0 offset:108 ; 4-byte Folded Reload
	s_waitcnt lgkmcnt(0)
	v_mul_f64 v[91:92], v[87:88], v[93:94]
	v_fma_f64 v[91:92], v[85:86], v[125:126], -v[91:92]
	v_mul_f64 v[85:86], v[85:86], v[93:94]
	v_fma_f64 v[85:86], v[87:88], v[125:126], v[85:86]
	s_waitcnt vmcnt(2)
	v_add_f64 v[77:78], v[77:78], -v[91:92]
	s_waitcnt vmcnt(0)
	v_add_f64 v[79:80], v[79:80], -v[85:86]
	buffer_store_dword v77, off, s[24:27], 0 offset:96 ; 4-byte Folded Spill
	s_nop 0
	buffer_store_dword v78, off, s[24:27], 0 offset:100 ; 4-byte Folded Spill
	buffer_store_dword v79, off, s[24:27], 0 offset:104 ; 4-byte Folded Spill
	buffer_store_dword v80, off, s[24:27], 0 offset:108 ; 4-byte Folded Spill
	ds_read2_b64 v[85:88], v0 offset0:58 offset1:59
	buffer_load_dword v77, off, s[24:27], 0 offset:80 ; 4-byte Folded Reload
	buffer_load_dword v78, off, s[24:27], 0 offset:84 ; 4-byte Folded Reload
	buffer_load_dword v79, off, s[24:27], 0 offset:88 ; 4-byte Folded Reload
	buffer_load_dword v80, off, s[24:27], 0 offset:92 ; 4-byte Folded Reload
	s_waitcnt lgkmcnt(0)
	v_mul_f64 v[91:92], v[87:88], v[93:94]
	v_fma_f64 v[91:92], v[85:86], v[125:126], -v[91:92]
	v_mul_f64 v[85:86], v[85:86], v[93:94]
	v_fma_f64 v[85:86], v[87:88], v[125:126], v[85:86]
	s_waitcnt vmcnt(2)
	v_add_f64 v[77:78], v[77:78], -v[91:92]
	s_waitcnt vmcnt(0)
	v_add_f64 v[79:80], v[79:80], -v[85:86]
	buffer_store_dword v77, off, s[24:27], 0 offset:80 ; 4-byte Folded Spill
	s_nop 0
	buffer_store_dword v78, off, s[24:27], 0 offset:84 ; 4-byte Folded Spill
	buffer_store_dword v79, off, s[24:27], 0 offset:88 ; 4-byte Folded Spill
	buffer_store_dword v80, off, s[24:27], 0 offset:92 ; 4-byte Folded Spill
	ds_read2_b64 v[85:88], v0 offset0:60 offset1:61
	buffer_load_dword v77, off, s[24:27], 0 offset:64 ; 4-byte Folded Reload
	buffer_load_dword v78, off, s[24:27], 0 offset:68 ; 4-byte Folded Reload
	buffer_load_dword v79, off, s[24:27], 0 offset:72 ; 4-byte Folded Reload
	buffer_load_dword v80, off, s[24:27], 0 offset:76 ; 4-byte Folded Reload
	s_waitcnt lgkmcnt(0)
	v_mul_f64 v[91:92], v[87:88], v[93:94]
	v_fma_f64 v[91:92], v[85:86], v[125:126], -v[91:92]
	v_mul_f64 v[85:86], v[85:86], v[93:94]
	v_fma_f64 v[85:86], v[87:88], v[125:126], v[85:86]
	s_waitcnt vmcnt(2)
	v_add_f64 v[77:78], v[77:78], -v[91:92]
	s_waitcnt vmcnt(0)
	v_add_f64 v[79:80], v[79:80], -v[85:86]
	buffer_store_dword v77, off, s[24:27], 0 offset:64 ; 4-byte Folded Spill
	s_nop 0
	buffer_store_dword v78, off, s[24:27], 0 offset:68 ; 4-byte Folded Spill
	buffer_store_dword v79, off, s[24:27], 0 offset:72 ; 4-byte Folded Spill
	buffer_store_dword v80, off, s[24:27], 0 offset:76 ; 4-byte Folded Spill
	ds_read2_b64 v[85:88], v0 offset0:62 offset1:63
	buffer_load_dword v77, off, s[24:27], 0 offset:48 ; 4-byte Folded Reload
	buffer_load_dword v78, off, s[24:27], 0 offset:52 ; 4-byte Folded Reload
	buffer_load_dword v79, off, s[24:27], 0 offset:56 ; 4-byte Folded Reload
	buffer_load_dword v80, off, s[24:27], 0 offset:60 ; 4-byte Folded Reload
	s_waitcnt lgkmcnt(0)
	v_mul_f64 v[91:92], v[87:88], v[93:94]
	v_fma_f64 v[91:92], v[85:86], v[125:126], -v[91:92]
	v_mul_f64 v[85:86], v[85:86], v[93:94]
	v_fma_f64 v[85:86], v[87:88], v[125:126], v[85:86]
	s_waitcnt vmcnt(2)
	v_add_f64 v[77:78], v[77:78], -v[91:92]
	s_waitcnt vmcnt(0)
	v_add_f64 v[79:80], v[79:80], -v[85:86]
	buffer_store_dword v77, off, s[24:27], 0 offset:48 ; 4-byte Folded Spill
	s_nop 0
	buffer_store_dword v78, off, s[24:27], 0 offset:52 ; 4-byte Folded Spill
	buffer_store_dword v79, off, s[24:27], 0 offset:56 ; 4-byte Folded Spill
	buffer_store_dword v80, off, s[24:27], 0 offset:60 ; 4-byte Folded Spill
	ds_read2_b64 v[85:88], v0 offset0:64 offset1:65
	buffer_load_dword v77, off, s[24:27], 0 offset:32 ; 4-byte Folded Reload
	buffer_load_dword v78, off, s[24:27], 0 offset:36 ; 4-byte Folded Reload
	buffer_load_dword v79, off, s[24:27], 0 offset:40 ; 4-byte Folded Reload
	buffer_load_dword v80, off, s[24:27], 0 offset:44 ; 4-byte Folded Reload
	s_waitcnt lgkmcnt(0)
	v_mul_f64 v[91:92], v[87:88], v[93:94]
	v_fma_f64 v[91:92], v[85:86], v[125:126], -v[91:92]
	v_mul_f64 v[85:86], v[85:86], v[93:94]
	v_fma_f64 v[85:86], v[87:88], v[125:126], v[85:86]
	s_waitcnt vmcnt(2)
	v_add_f64 v[77:78], v[77:78], -v[91:92]
	s_waitcnt vmcnt(0)
	v_add_f64 v[79:80], v[79:80], -v[85:86]
	buffer_store_dword v77, off, s[24:27], 0 offset:32 ; 4-byte Folded Spill
	s_nop 0
	buffer_store_dword v78, off, s[24:27], 0 offset:36 ; 4-byte Folded Spill
	buffer_store_dword v79, off, s[24:27], 0 offset:40 ; 4-byte Folded Spill
	buffer_store_dword v80, off, s[24:27], 0 offset:44 ; 4-byte Folded Spill
	ds_read2_b64 v[85:88], v0 offset0:66 offset1:67
	buffer_load_dword v77, off, s[24:27], 0 offset:16 ; 4-byte Folded Reload
	buffer_load_dword v78, off, s[24:27], 0 offset:20 ; 4-byte Folded Reload
	buffer_load_dword v79, off, s[24:27], 0 offset:24 ; 4-byte Folded Reload
	buffer_load_dword v80, off, s[24:27], 0 offset:28 ; 4-byte Folded Reload
	s_waitcnt lgkmcnt(0)
	v_mul_f64 v[91:92], v[87:88], v[93:94]
	v_fma_f64 v[91:92], v[85:86], v[125:126], -v[91:92]
	v_mul_f64 v[85:86], v[85:86], v[93:94]
	v_fma_f64 v[85:86], v[87:88], v[125:126], v[85:86]
	s_waitcnt vmcnt(2)
	v_add_f64 v[77:78], v[77:78], -v[91:92]
	s_waitcnt vmcnt(0)
	v_add_f64 v[79:80], v[79:80], -v[85:86]
	buffer_store_dword v77, off, s[24:27], 0 offset:16 ; 4-byte Folded Spill
	s_nop 0
	buffer_store_dword v78, off, s[24:27], 0 offset:20 ; 4-byte Folded Spill
	buffer_store_dword v79, off, s[24:27], 0 offset:24 ; 4-byte Folded Spill
	buffer_store_dword v80, off, s[24:27], 0 offset:28 ; 4-byte Folded Spill
	ds_read2_b64 v[85:88], v0 offset0:68 offset1:69
	s_waitcnt lgkmcnt(0)
	v_mul_f64 v[91:92], v[87:88], v[93:94]
	v_fma_f64 v[91:92], v[85:86], v[125:126], -v[91:92]
	v_mul_f64 v[85:86], v[85:86], v[93:94]
	v_add_f64 v[81:82], v[81:82], -v[91:92]
	v_fma_f64 v[85:86], v[87:88], v[125:126], v[85:86]
	v_add_f64 v[83:84], v[83:84], -v[85:86]
	ds_read2_b64 v[85:88], v0 offset0:70 offset1:71
	s_waitcnt lgkmcnt(0)
	v_mul_f64 v[91:92], v[87:88], v[93:94]
	v_fma_f64 v[91:92], v[85:86], v[125:126], -v[91:92]
	v_mul_f64 v[85:86], v[85:86], v[93:94]
	v_add_f64 v[113:114], v[113:114], -v[91:92]
	v_fma_f64 v[85:86], v[87:88], v[125:126], v[85:86]
	v_add_f64 v[115:116], v[115:116], -v[85:86]
	;; [unrolled: 8-line block ×4, first 2 shown]
	ds_read2_b64 v[85:88], v0 offset0:76 offset1:77
	buffer_load_dword v77, off, s[24:27], 0 ; 4-byte Folded Reload
	buffer_load_dword v78, off, s[24:27], 0 offset:4 ; 4-byte Folded Reload
	buffer_load_dword v79, off, s[24:27], 0 offset:8 ; 4-byte Folded Reload
	;; [unrolled: 1-line block ×3, first 2 shown]
	s_waitcnt lgkmcnt(0)
	v_mul_f64 v[91:92], v[87:88], v[93:94]
	v_fma_f64 v[91:92], v[85:86], v[125:126], -v[91:92]
	v_mul_f64 v[85:86], v[85:86], v[93:94]
	v_fma_f64 v[85:86], v[87:88], v[125:126], v[85:86]
	s_waitcnt vmcnt(2)
	v_add_f64 v[77:78], v[77:78], -v[91:92]
	s_waitcnt vmcnt(0)
	v_add_f64 v[79:80], v[79:80], -v[85:86]
	buffer_store_dword v77, off, s[24:27], 0 ; 4-byte Folded Spill
	s_nop 0
	buffer_store_dword v78, off, s[24:27], 0 offset:4 ; 4-byte Folded Spill
	buffer_store_dword v79, off, s[24:27], 0 offset:8 ; 4-byte Folded Spill
	buffer_store_dword v80, off, s[24:27], 0 offset:12 ; 4-byte Folded Spill
	ds_read2_b64 v[85:88], v0 offset0:78 offset1:79
	s_waitcnt lgkmcnt(0)
	v_mul_f64 v[91:92], v[87:88], v[93:94]
	v_fma_f64 v[91:92], v[85:86], v[125:126], -v[91:92]
	v_mul_f64 v[85:86], v[85:86], v[93:94]
	v_add_f64 v[73:74], v[73:74], -v[91:92]
	v_fma_f64 v[85:86], v[87:88], v[125:126], v[85:86]
	v_add_f64 v[75:76], v[75:76], -v[85:86]
	ds_read2_b64 v[85:88], v0 offset0:80 offset1:81
	s_waitcnt lgkmcnt(0)
	v_mul_f64 v[91:92], v[87:88], v[93:94]
	v_fma_f64 v[91:92], v[85:86], v[125:126], -v[91:92]
	v_mul_f64 v[85:86], v[85:86], v[93:94]
	v_add_f64 v[69:70], v[69:70], -v[91:92]
	v_fma_f64 v[85:86], v[87:88], v[125:126], v[85:86]
	v_add_f64 v[71:72], v[71:72], -v[85:86]
	;; [unrolled: 8-line block ×19, first 2 shown]
	ds_read2_b64 v[85:88], v0 offset0:116 offset1:117
	s_waitcnt lgkmcnt(0)
	v_mul_f64 v[91:92], v[87:88], v[93:94]
	v_fma_f64 v[91:92], v[85:86], v[125:126], -v[91:92]
	v_mul_f64 v[85:86], v[85:86], v[93:94]
	v_add_f64 v[121:122], v[121:122], -v[91:92]
	v_fma_f64 v[85:86], v[87:88], v[125:126], v[85:86]
	v_mov_b32_e32 v91, v125
	v_mov_b32_e32 v92, v126
	buffer_store_dword v91, off, s[24:27], 0 offset:160 ; 4-byte Folded Spill
	s_nop 0
	buffer_store_dword v92, off, s[24:27], 0 offset:164 ; 4-byte Folded Spill
	buffer_store_dword v93, off, s[24:27], 0 offset:168 ; 4-byte Folded Spill
	;; [unrolled: 1-line block ×3, first 2 shown]
	v_add_f64 v[123:124], v[123:124], -v[85:86]
.LBB116_524:
	s_or_b64 exec, exec, s[0:1]
	s_waitcnt vmcnt(0)
	s_barrier
	buffer_load_dword v77, off, s[24:27], 0 offset:144 ; 4-byte Folded Reload
	buffer_load_dword v78, off, s[24:27], 0 offset:148 ; 4-byte Folded Reload
	;; [unrolled: 1-line block ×4, first 2 shown]
	v_lshl_add_u32 v85, v89, 4, v0
	s_cmp_lt_i32 s3, 27
	s_waitcnt vmcnt(0)
	ds_write2_b64 v85, v[77:78], v[79:80] offset1:1
	s_waitcnt lgkmcnt(0)
	s_barrier
	ds_read2_b64 v[117:120], v0 offset0:50 offset1:51
	v_mov_b32_e32 v85, 25
	s_cbranch_scc1 .LBB116_527
; %bb.525:
	v_add_u32_e32 v86, 0x1a0, v0
	s_mov_b32 s0, 26
	v_mov_b32_e32 v85, 25
.LBB116_526:                            ; =>This Inner Loop Header: Depth=1
	s_waitcnt lgkmcnt(0)
	v_cmp_gt_f64_e32 vcc, 0, v[117:118]
	v_xor_b32_e32 v87, 0x80000000, v118
	ds_read2_b64 v[91:94], v86 offset1:1
	v_xor_b32_e32 v95, 0x80000000, v120
	v_add_u32_e32 v86, 16, v86
	s_waitcnt lgkmcnt(0)
	v_xor_b32_e32 v97, 0x80000000, v94
	v_cndmask_b32_e32 v88, v118, v87, vcc
	v_cmp_gt_f64_e32 vcc, 0, v[119:120]
	v_mov_b32_e32 v87, v117
	v_cndmask_b32_e32 v96, v120, v95, vcc
	v_cmp_gt_f64_e32 vcc, 0, v[91:92]
	v_mov_b32_e32 v95, v119
	v_add_f64 v[87:88], v[87:88], v[95:96]
	v_xor_b32_e32 v95, 0x80000000, v92
	v_cndmask_b32_e32 v96, v92, v95, vcc
	v_cmp_gt_f64_e32 vcc, 0, v[93:94]
	v_mov_b32_e32 v95, v91
	v_cndmask_b32_e32 v98, v94, v97, vcc
	v_mov_b32_e32 v97, v93
	v_add_f64 v[95:96], v[95:96], v[97:98]
	v_cmp_lt_f64_e32 vcc, v[87:88], v[95:96]
	v_mov_b32_e32 v87, s0
	s_add_i32 s0, s0, 1
	s_cmp_lg_u32 s3, s0
	v_cndmask_b32_e32 v118, v118, v92, vcc
	v_cndmask_b32_e32 v117, v117, v91, vcc
	;; [unrolled: 1-line block ×5, first 2 shown]
	s_cbranch_scc1 .LBB116_526
.LBB116_527:
	s_waitcnt lgkmcnt(0)
	v_cmp_eq_f64_e32 vcc, 0, v[117:118]
	v_cmp_eq_f64_e64 s[0:1], 0, v[119:120]
	s_and_b64 s[0:1], vcc, s[0:1]
	s_and_saveexec_b64 s[18:19], s[0:1]
	s_xor_b64 s[0:1], exec, s[18:19]
; %bb.528:
	v_cmp_ne_u32_e32 vcc, 0, v90
	v_cndmask_b32_e32 v90, 26, v90, vcc
; %bb.529:
	s_andn2_saveexec_b64 s[0:1], s[0:1]
	s_cbranch_execz .LBB116_535
; %bb.530:
	v_cmp_ngt_f64_e64 s[18:19], |v[117:118]|, |v[119:120]|
	s_and_saveexec_b64 s[20:21], s[18:19]
	s_xor_b64 s[18:19], exec, s[20:21]
	s_cbranch_execz .LBB116_532
; %bb.531:
	v_div_scale_f64 v[86:87], s[20:21], v[119:120], v[119:120], v[117:118]
	v_rcp_f64_e32 v[91:92], v[86:87]
	v_fma_f64 v[93:94], -v[86:87], v[91:92], 1.0
	v_fma_f64 v[91:92], v[91:92], v[93:94], v[91:92]
	v_div_scale_f64 v[93:94], vcc, v[117:118], v[119:120], v[117:118]
	v_fma_f64 v[95:96], -v[86:87], v[91:92], 1.0
	v_fma_f64 v[91:92], v[91:92], v[95:96], v[91:92]
	v_mul_f64 v[95:96], v[93:94], v[91:92]
	v_fma_f64 v[86:87], -v[86:87], v[95:96], v[93:94]
	v_div_fmas_f64 v[86:87], v[86:87], v[91:92], v[95:96]
	v_div_fixup_f64 v[86:87], v[86:87], v[119:120], v[117:118]
	v_fma_f64 v[91:92], v[117:118], v[86:87], v[119:120]
	v_div_scale_f64 v[93:94], s[20:21], v[91:92], v[91:92], 1.0
	v_div_scale_f64 v[99:100], vcc, 1.0, v[91:92], 1.0
	v_rcp_f64_e32 v[95:96], v[93:94]
	v_fma_f64 v[97:98], -v[93:94], v[95:96], 1.0
	v_fma_f64 v[95:96], v[95:96], v[97:98], v[95:96]
	v_fma_f64 v[97:98], -v[93:94], v[95:96], 1.0
	v_fma_f64 v[95:96], v[95:96], v[97:98], v[95:96]
	v_mul_f64 v[97:98], v[99:100], v[95:96]
	v_fma_f64 v[93:94], -v[93:94], v[97:98], v[99:100]
	v_div_fmas_f64 v[93:94], v[93:94], v[95:96], v[97:98]
	v_div_fixup_f64 v[119:120], v[93:94], v[91:92], 1.0
	v_mul_f64 v[117:118], v[86:87], v[119:120]
	v_xor_b32_e32 v120, 0x80000000, v120
.LBB116_532:
	s_andn2_saveexec_b64 s[18:19], s[18:19]
	s_cbranch_execz .LBB116_534
; %bb.533:
	v_div_scale_f64 v[86:87], s[20:21], v[117:118], v[117:118], v[119:120]
	v_rcp_f64_e32 v[91:92], v[86:87]
	v_fma_f64 v[93:94], -v[86:87], v[91:92], 1.0
	v_fma_f64 v[91:92], v[91:92], v[93:94], v[91:92]
	v_div_scale_f64 v[93:94], vcc, v[119:120], v[117:118], v[119:120]
	v_fma_f64 v[95:96], -v[86:87], v[91:92], 1.0
	v_fma_f64 v[91:92], v[91:92], v[95:96], v[91:92]
	v_mul_f64 v[95:96], v[93:94], v[91:92]
	v_fma_f64 v[86:87], -v[86:87], v[95:96], v[93:94]
	v_div_fmas_f64 v[86:87], v[86:87], v[91:92], v[95:96]
	v_div_fixup_f64 v[86:87], v[86:87], v[117:118], v[119:120]
	v_fma_f64 v[91:92], v[119:120], v[86:87], v[117:118]
	v_div_scale_f64 v[93:94], s[20:21], v[91:92], v[91:92], 1.0
	v_div_scale_f64 v[99:100], vcc, 1.0, v[91:92], 1.0
	v_rcp_f64_e32 v[95:96], v[93:94]
	v_fma_f64 v[97:98], -v[93:94], v[95:96], 1.0
	v_fma_f64 v[95:96], v[95:96], v[97:98], v[95:96]
	v_fma_f64 v[97:98], -v[93:94], v[95:96], 1.0
	v_fma_f64 v[95:96], v[95:96], v[97:98], v[95:96]
	v_mul_f64 v[97:98], v[99:100], v[95:96]
	v_fma_f64 v[93:94], -v[93:94], v[97:98], v[99:100]
	v_div_fmas_f64 v[93:94], v[93:94], v[95:96], v[97:98]
	v_div_fixup_f64 v[117:118], v[93:94], v[91:92], 1.0
	v_mul_f64 v[119:120], v[86:87], -v[117:118]
.LBB116_534:
	s_or_b64 exec, exec, s[18:19]
.LBB116_535:
	s_or_b64 exec, exec, s[0:1]
	v_cmp_ne_u32_e32 vcc, v89, v85
	s_and_saveexec_b64 s[0:1], vcc
	s_xor_b64 s[0:1], exec, s[0:1]
	s_cbranch_execz .LBB116_541
; %bb.536:
	v_cmp_eq_u32_e32 vcc, 25, v89
	s_and_saveexec_b64 s[18:19], vcc
	s_cbranch_execz .LBB116_540
; %bb.537:
	v_cmp_ne_u32_e32 vcc, 25, v85
	s_xor_b64 s[20:21], s[6:7], -1
	s_and_b64 s[22:23], s[20:21], vcc
	s_and_saveexec_b64 s[20:21], s[22:23]
	s_cbranch_execz .LBB116_539
; %bb.538:
	v_mov_b32_e32 v77, v81
	v_mov_b32_e32 v78, v82
	;; [unrolled: 1-line block ×4, first 2 shown]
	buffer_load_dword v81, off, s[24:27], 0 offset:500 ; 4-byte Folded Reload
	buffer_load_dword v82, off, s[24:27], 0 offset:504 ; 4-byte Folded Reload
	v_ashrrev_i32_e32 v86, 31, v85
	v_lshlrev_b64 v[86:87], 2, v[85:86]
	s_waitcnt vmcnt(1)
	v_add_co_u32_e32 v86, vcc, v81, v86
	s_waitcnt vmcnt(0)
	v_addc_co_u32_e32 v87, vcc, v82, v87, vcc
	global_load_dword v88, v[86:87], off
	global_load_dword v89, v[81:82], off offset:100
	s_waitcnt vmcnt(1)
	global_store_dword v[81:82], v88, off offset:100
	v_mov_b32_e32 v84, v80
	v_mov_b32_e32 v83, v79
	;; [unrolled: 1-line block ×4, first 2 shown]
	s_waitcnt vmcnt(1)
	global_store_dword v[86:87], v89, off
.LBB116_539:
	s_or_b64 exec, exec, s[20:21]
	v_mov_b32_e32 v89, v85
	v_mov_b32_e32 v77, v85
	buffer_store_dword v77, off, s[24:27], 0 offset:432 ; 4-byte Folded Spill
.LBB116_540:
	s_or_b64 exec, exec, s[18:19]
.LBB116_541:
	s_andn2_saveexec_b64 s[0:1], s[0:1]
	s_cbranch_execz .LBB116_543
; %bb.542:
	buffer_load_dword v77, off, s[24:27], 0 offset:128 ; 4-byte Folded Reload
	buffer_load_dword v78, off, s[24:27], 0 offset:132 ; 4-byte Folded Reload
	;; [unrolled: 1-line block ×4, first 2 shown]
	v_mov_b32_e32 v89, 25
	s_waitcnt vmcnt(0)
	ds_write2_b64 v0, v[77:78], v[79:80] offset0:52 offset1:53
	buffer_load_dword v77, off, s[24:27], 0 offset:112 ; 4-byte Folded Reload
	buffer_load_dword v78, off, s[24:27], 0 offset:116 ; 4-byte Folded Reload
	buffer_load_dword v79, off, s[24:27], 0 offset:120 ; 4-byte Folded Reload
	buffer_load_dword v80, off, s[24:27], 0 offset:124 ; 4-byte Folded Reload
	s_waitcnt vmcnt(0)
	ds_write2_b64 v0, v[77:78], v[79:80] offset0:54 offset1:55
	buffer_load_dword v77, off, s[24:27], 0 offset:96 ; 4-byte Folded Reload
	buffer_load_dword v78, off, s[24:27], 0 offset:100 ; 4-byte Folded Reload
	buffer_load_dword v79, off, s[24:27], 0 offset:104 ; 4-byte Folded Reload
	buffer_load_dword v80, off, s[24:27], 0 offset:108 ; 4-byte Folded Reload
	;; [unrolled: 6-line block ×7, first 2 shown]
	s_waitcnt vmcnt(0)
	ds_write2_b64 v0, v[77:78], v[79:80] offset0:66 offset1:67
	ds_write2_b64 v0, v[81:82], v[83:84] offset0:68 offset1:69
	;; [unrolled: 1-line block ×5, first 2 shown]
	buffer_load_dword v77, off, s[24:27], 0 ; 4-byte Folded Reload
	buffer_load_dword v78, off, s[24:27], 0 offset:4 ; 4-byte Folded Reload
	buffer_load_dword v79, off, s[24:27], 0 offset:8 ; 4-byte Folded Reload
	;; [unrolled: 1-line block ×3, first 2 shown]
	s_waitcnt vmcnt(0)
	ds_write2_b64 v0, v[77:78], v[79:80] offset0:76 offset1:77
	ds_write2_b64 v0, v[73:74], v[75:76] offset0:78 offset1:79
	;; [unrolled: 1-line block ×21, first 2 shown]
.LBB116_543:
	s_or_b64 exec, exec, s[0:1]
	v_cmp_lt_i32_e32 vcc, 25, v89
	s_waitcnt vmcnt(0) lgkmcnt(0)
	s_barrier
	s_and_saveexec_b64 s[0:1], vcc
	s_cbranch_execz .LBB116_545
; %bb.544:
	buffer_load_dword v91, off, s[24:27], 0 offset:144 ; 4-byte Folded Reload
	buffer_load_dword v92, off, s[24:27], 0 offset:148 ; 4-byte Folded Reload
	;; [unrolled: 1-line block ×4, first 2 shown]
	s_waitcnt vmcnt(0)
	v_mul_f64 v[85:86], v[119:120], v[93:94]
	v_fma_f64 v[125:126], v[117:118], v[91:92], -v[85:86]
	v_mul_f64 v[85:86], v[117:118], v[93:94]
	v_fma_f64 v[93:94], v[119:120], v[91:92], v[85:86]
	ds_read2_b64 v[85:88], v0 offset0:52 offset1:53
	buffer_load_dword v77, off, s[24:27], 0 offset:128 ; 4-byte Folded Reload
	buffer_load_dword v78, off, s[24:27], 0 offset:132 ; 4-byte Folded Reload
	buffer_load_dword v79, off, s[24:27], 0 offset:136 ; 4-byte Folded Reload
	buffer_load_dword v80, off, s[24:27], 0 offset:140 ; 4-byte Folded Reload
	s_waitcnt lgkmcnt(0)
	v_mul_f64 v[91:92], v[87:88], v[93:94]
	v_fma_f64 v[91:92], v[85:86], v[125:126], -v[91:92]
	v_mul_f64 v[85:86], v[85:86], v[93:94]
	v_fma_f64 v[85:86], v[87:88], v[125:126], v[85:86]
	s_waitcnt vmcnt(2)
	v_add_f64 v[77:78], v[77:78], -v[91:92]
	s_waitcnt vmcnt(0)
	v_add_f64 v[79:80], v[79:80], -v[85:86]
	buffer_store_dword v77, off, s[24:27], 0 offset:128 ; 4-byte Folded Spill
	s_nop 0
	buffer_store_dword v78, off, s[24:27], 0 offset:132 ; 4-byte Folded Spill
	buffer_store_dword v79, off, s[24:27], 0 offset:136 ; 4-byte Folded Spill
	buffer_store_dword v80, off, s[24:27], 0 offset:140 ; 4-byte Folded Spill
	ds_read2_b64 v[85:88], v0 offset0:54 offset1:55
	buffer_load_dword v77, off, s[24:27], 0 offset:112 ; 4-byte Folded Reload
	buffer_load_dword v78, off, s[24:27], 0 offset:116 ; 4-byte Folded Reload
	buffer_load_dword v79, off, s[24:27], 0 offset:120 ; 4-byte Folded Reload
	buffer_load_dword v80, off, s[24:27], 0 offset:124 ; 4-byte Folded Reload
	s_waitcnt lgkmcnt(0)
	v_mul_f64 v[91:92], v[87:88], v[93:94]
	v_fma_f64 v[91:92], v[85:86], v[125:126], -v[91:92]
	v_mul_f64 v[85:86], v[85:86], v[93:94]
	v_fma_f64 v[85:86], v[87:88], v[125:126], v[85:86]
	s_waitcnt vmcnt(2)
	v_add_f64 v[77:78], v[77:78], -v[91:92]
	s_waitcnt vmcnt(0)
	v_add_f64 v[79:80], v[79:80], -v[85:86]
	buffer_store_dword v77, off, s[24:27], 0 offset:112 ; 4-byte Folded Spill
	s_nop 0
	buffer_store_dword v78, off, s[24:27], 0 offset:116 ; 4-byte Folded Spill
	buffer_store_dword v79, off, s[24:27], 0 offset:120 ; 4-byte Folded Spill
	buffer_store_dword v80, off, s[24:27], 0 offset:124 ; 4-byte Folded Spill
	;; [unrolled: 19-line block ×8, first 2 shown]
	ds_read2_b64 v[85:88], v0 offset0:68 offset1:69
	s_waitcnt lgkmcnt(0)
	v_mul_f64 v[91:92], v[87:88], v[93:94]
	v_fma_f64 v[91:92], v[85:86], v[125:126], -v[91:92]
	v_mul_f64 v[85:86], v[85:86], v[93:94]
	v_add_f64 v[81:82], v[81:82], -v[91:92]
	v_fma_f64 v[85:86], v[87:88], v[125:126], v[85:86]
	v_add_f64 v[83:84], v[83:84], -v[85:86]
	ds_read2_b64 v[85:88], v0 offset0:70 offset1:71
	s_waitcnt lgkmcnt(0)
	v_mul_f64 v[91:92], v[87:88], v[93:94]
	v_fma_f64 v[91:92], v[85:86], v[125:126], -v[91:92]
	v_mul_f64 v[85:86], v[85:86], v[93:94]
	v_add_f64 v[113:114], v[113:114], -v[91:92]
	v_fma_f64 v[85:86], v[87:88], v[125:126], v[85:86]
	v_add_f64 v[115:116], v[115:116], -v[85:86]
	;; [unrolled: 8-line block ×4, first 2 shown]
	ds_read2_b64 v[85:88], v0 offset0:76 offset1:77
	buffer_load_dword v77, off, s[24:27], 0 ; 4-byte Folded Reload
	buffer_load_dword v78, off, s[24:27], 0 offset:4 ; 4-byte Folded Reload
	buffer_load_dword v79, off, s[24:27], 0 offset:8 ; 4-byte Folded Reload
	;; [unrolled: 1-line block ×3, first 2 shown]
	s_waitcnt lgkmcnt(0)
	v_mul_f64 v[91:92], v[87:88], v[93:94]
	v_fma_f64 v[91:92], v[85:86], v[125:126], -v[91:92]
	v_mul_f64 v[85:86], v[85:86], v[93:94]
	v_fma_f64 v[85:86], v[87:88], v[125:126], v[85:86]
	s_waitcnt vmcnt(2)
	v_add_f64 v[77:78], v[77:78], -v[91:92]
	s_waitcnt vmcnt(0)
	v_add_f64 v[79:80], v[79:80], -v[85:86]
	buffer_store_dword v77, off, s[24:27], 0 ; 4-byte Folded Spill
	s_nop 0
	buffer_store_dword v78, off, s[24:27], 0 offset:4 ; 4-byte Folded Spill
	buffer_store_dword v79, off, s[24:27], 0 offset:8 ; 4-byte Folded Spill
	;; [unrolled: 1-line block ×3, first 2 shown]
	ds_read2_b64 v[85:88], v0 offset0:78 offset1:79
	s_waitcnt lgkmcnt(0)
	v_mul_f64 v[91:92], v[87:88], v[93:94]
	v_fma_f64 v[91:92], v[85:86], v[125:126], -v[91:92]
	v_mul_f64 v[85:86], v[85:86], v[93:94]
	v_add_f64 v[73:74], v[73:74], -v[91:92]
	v_fma_f64 v[85:86], v[87:88], v[125:126], v[85:86]
	v_add_f64 v[75:76], v[75:76], -v[85:86]
	ds_read2_b64 v[85:88], v0 offset0:80 offset1:81
	s_waitcnt lgkmcnt(0)
	v_mul_f64 v[91:92], v[87:88], v[93:94]
	v_fma_f64 v[91:92], v[85:86], v[125:126], -v[91:92]
	v_mul_f64 v[85:86], v[85:86], v[93:94]
	v_add_f64 v[69:70], v[69:70], -v[91:92]
	v_fma_f64 v[85:86], v[87:88], v[125:126], v[85:86]
	v_add_f64 v[71:72], v[71:72], -v[85:86]
	;; [unrolled: 8-line block ×19, first 2 shown]
	ds_read2_b64 v[85:88], v0 offset0:116 offset1:117
	s_waitcnt lgkmcnt(0)
	v_mul_f64 v[91:92], v[87:88], v[93:94]
	v_fma_f64 v[91:92], v[85:86], v[125:126], -v[91:92]
	v_mul_f64 v[85:86], v[85:86], v[93:94]
	v_add_f64 v[121:122], v[121:122], -v[91:92]
	v_fma_f64 v[85:86], v[87:88], v[125:126], v[85:86]
	v_mov_b32_e32 v91, v125
	v_mov_b32_e32 v92, v126
	buffer_store_dword v91, off, s[24:27], 0 offset:144 ; 4-byte Folded Spill
	s_nop 0
	buffer_store_dword v92, off, s[24:27], 0 offset:148 ; 4-byte Folded Spill
	buffer_store_dword v93, off, s[24:27], 0 offset:152 ; 4-byte Folded Spill
	;; [unrolled: 1-line block ×3, first 2 shown]
	v_add_f64 v[123:124], v[123:124], -v[85:86]
.LBB116_545:
	s_or_b64 exec, exec, s[0:1]
	s_waitcnt vmcnt(0)
	s_barrier
	buffer_load_dword v77, off, s[24:27], 0 offset:128 ; 4-byte Folded Reload
	buffer_load_dword v78, off, s[24:27], 0 offset:132 ; 4-byte Folded Reload
	buffer_load_dword v79, off, s[24:27], 0 offset:136 ; 4-byte Folded Reload
	buffer_load_dword v80, off, s[24:27], 0 offset:140 ; 4-byte Folded Reload
	v_lshl_add_u32 v85, v89, 4, v0
	s_cmp_lt_i32 s3, 28
	s_waitcnt vmcnt(0)
	ds_write2_b64 v85, v[77:78], v[79:80] offset1:1
	s_waitcnt lgkmcnt(0)
	s_barrier
	ds_read2_b64 v[117:120], v0 offset0:52 offset1:53
	v_mov_b32_e32 v85, 26
	s_cbranch_scc1 .LBB116_548
; %bb.546:
	v_add_u32_e32 v86, 0x1b0, v0
	s_mov_b32 s0, 27
	v_mov_b32_e32 v85, 26
.LBB116_547:                            ; =>This Inner Loop Header: Depth=1
	s_waitcnt lgkmcnt(0)
	v_cmp_gt_f64_e32 vcc, 0, v[117:118]
	v_xor_b32_e32 v87, 0x80000000, v118
	ds_read2_b64 v[91:94], v86 offset1:1
	v_xor_b32_e32 v95, 0x80000000, v120
	v_add_u32_e32 v86, 16, v86
	s_waitcnt lgkmcnt(0)
	v_xor_b32_e32 v97, 0x80000000, v94
	v_cndmask_b32_e32 v88, v118, v87, vcc
	v_cmp_gt_f64_e32 vcc, 0, v[119:120]
	v_mov_b32_e32 v87, v117
	v_cndmask_b32_e32 v96, v120, v95, vcc
	v_cmp_gt_f64_e32 vcc, 0, v[91:92]
	v_mov_b32_e32 v95, v119
	v_add_f64 v[87:88], v[87:88], v[95:96]
	v_xor_b32_e32 v95, 0x80000000, v92
	v_cndmask_b32_e32 v96, v92, v95, vcc
	v_cmp_gt_f64_e32 vcc, 0, v[93:94]
	v_mov_b32_e32 v95, v91
	v_cndmask_b32_e32 v98, v94, v97, vcc
	v_mov_b32_e32 v97, v93
	v_add_f64 v[95:96], v[95:96], v[97:98]
	v_cmp_lt_f64_e32 vcc, v[87:88], v[95:96]
	v_mov_b32_e32 v87, s0
	s_add_i32 s0, s0, 1
	s_cmp_lg_u32 s3, s0
	v_cndmask_b32_e32 v118, v118, v92, vcc
	v_cndmask_b32_e32 v117, v117, v91, vcc
	;; [unrolled: 1-line block ×5, first 2 shown]
	s_cbranch_scc1 .LBB116_547
.LBB116_548:
	s_waitcnt lgkmcnt(0)
	v_cmp_eq_f64_e32 vcc, 0, v[117:118]
	v_cmp_eq_f64_e64 s[0:1], 0, v[119:120]
	s_and_b64 s[0:1], vcc, s[0:1]
	s_and_saveexec_b64 s[18:19], s[0:1]
	s_xor_b64 s[0:1], exec, s[18:19]
; %bb.549:
	v_cmp_ne_u32_e32 vcc, 0, v90
	v_cndmask_b32_e32 v90, 27, v90, vcc
; %bb.550:
	s_andn2_saveexec_b64 s[0:1], s[0:1]
	s_cbranch_execz .LBB116_556
; %bb.551:
	v_cmp_ngt_f64_e64 s[18:19], |v[117:118]|, |v[119:120]|
	s_and_saveexec_b64 s[20:21], s[18:19]
	s_xor_b64 s[18:19], exec, s[20:21]
	s_cbranch_execz .LBB116_553
; %bb.552:
	v_div_scale_f64 v[86:87], s[20:21], v[119:120], v[119:120], v[117:118]
	v_rcp_f64_e32 v[91:92], v[86:87]
	v_fma_f64 v[93:94], -v[86:87], v[91:92], 1.0
	v_fma_f64 v[91:92], v[91:92], v[93:94], v[91:92]
	v_div_scale_f64 v[93:94], vcc, v[117:118], v[119:120], v[117:118]
	v_fma_f64 v[95:96], -v[86:87], v[91:92], 1.0
	v_fma_f64 v[91:92], v[91:92], v[95:96], v[91:92]
	v_mul_f64 v[95:96], v[93:94], v[91:92]
	v_fma_f64 v[86:87], -v[86:87], v[95:96], v[93:94]
	v_div_fmas_f64 v[86:87], v[86:87], v[91:92], v[95:96]
	v_div_fixup_f64 v[86:87], v[86:87], v[119:120], v[117:118]
	v_fma_f64 v[91:92], v[117:118], v[86:87], v[119:120]
	v_div_scale_f64 v[93:94], s[20:21], v[91:92], v[91:92], 1.0
	v_div_scale_f64 v[99:100], vcc, 1.0, v[91:92], 1.0
	v_rcp_f64_e32 v[95:96], v[93:94]
	v_fma_f64 v[97:98], -v[93:94], v[95:96], 1.0
	v_fma_f64 v[95:96], v[95:96], v[97:98], v[95:96]
	v_fma_f64 v[97:98], -v[93:94], v[95:96], 1.0
	v_fma_f64 v[95:96], v[95:96], v[97:98], v[95:96]
	v_mul_f64 v[97:98], v[99:100], v[95:96]
	v_fma_f64 v[93:94], -v[93:94], v[97:98], v[99:100]
	v_div_fmas_f64 v[93:94], v[93:94], v[95:96], v[97:98]
	v_div_fixup_f64 v[119:120], v[93:94], v[91:92], 1.0
	v_mul_f64 v[117:118], v[86:87], v[119:120]
	v_xor_b32_e32 v120, 0x80000000, v120
.LBB116_553:
	s_andn2_saveexec_b64 s[18:19], s[18:19]
	s_cbranch_execz .LBB116_555
; %bb.554:
	v_div_scale_f64 v[86:87], s[20:21], v[117:118], v[117:118], v[119:120]
	v_rcp_f64_e32 v[91:92], v[86:87]
	v_fma_f64 v[93:94], -v[86:87], v[91:92], 1.0
	v_fma_f64 v[91:92], v[91:92], v[93:94], v[91:92]
	v_div_scale_f64 v[93:94], vcc, v[119:120], v[117:118], v[119:120]
	v_fma_f64 v[95:96], -v[86:87], v[91:92], 1.0
	v_fma_f64 v[91:92], v[91:92], v[95:96], v[91:92]
	v_mul_f64 v[95:96], v[93:94], v[91:92]
	v_fma_f64 v[86:87], -v[86:87], v[95:96], v[93:94]
	v_div_fmas_f64 v[86:87], v[86:87], v[91:92], v[95:96]
	v_div_fixup_f64 v[86:87], v[86:87], v[117:118], v[119:120]
	v_fma_f64 v[91:92], v[119:120], v[86:87], v[117:118]
	v_div_scale_f64 v[93:94], s[20:21], v[91:92], v[91:92], 1.0
	v_div_scale_f64 v[99:100], vcc, 1.0, v[91:92], 1.0
	v_rcp_f64_e32 v[95:96], v[93:94]
	v_fma_f64 v[97:98], -v[93:94], v[95:96], 1.0
	v_fma_f64 v[95:96], v[95:96], v[97:98], v[95:96]
	v_fma_f64 v[97:98], -v[93:94], v[95:96], 1.0
	v_fma_f64 v[95:96], v[95:96], v[97:98], v[95:96]
	v_mul_f64 v[97:98], v[99:100], v[95:96]
	v_fma_f64 v[93:94], -v[93:94], v[97:98], v[99:100]
	v_div_fmas_f64 v[93:94], v[93:94], v[95:96], v[97:98]
	v_div_fixup_f64 v[117:118], v[93:94], v[91:92], 1.0
	v_mul_f64 v[119:120], v[86:87], -v[117:118]
.LBB116_555:
	s_or_b64 exec, exec, s[18:19]
.LBB116_556:
	s_or_b64 exec, exec, s[0:1]
	v_cmp_ne_u32_e32 vcc, v89, v85
	s_and_saveexec_b64 s[0:1], vcc
	s_xor_b64 s[0:1], exec, s[0:1]
	s_cbranch_execz .LBB116_562
; %bb.557:
	v_cmp_eq_u32_e32 vcc, 26, v89
	s_and_saveexec_b64 s[18:19], vcc
	s_cbranch_execz .LBB116_561
; %bb.558:
	v_cmp_ne_u32_e32 vcc, 26, v85
	s_xor_b64 s[20:21], s[6:7], -1
	s_and_b64 s[22:23], s[20:21], vcc
	s_and_saveexec_b64 s[20:21], s[22:23]
	s_cbranch_execz .LBB116_560
; %bb.559:
	v_mov_b32_e32 v77, v81
	v_mov_b32_e32 v78, v82
	;; [unrolled: 1-line block ×4, first 2 shown]
	buffer_load_dword v81, off, s[24:27], 0 offset:500 ; 4-byte Folded Reload
	buffer_load_dword v82, off, s[24:27], 0 offset:504 ; 4-byte Folded Reload
	v_ashrrev_i32_e32 v86, 31, v85
	v_lshlrev_b64 v[86:87], 2, v[85:86]
	s_waitcnt vmcnt(1)
	v_add_co_u32_e32 v86, vcc, v81, v86
	s_waitcnt vmcnt(0)
	v_addc_co_u32_e32 v87, vcc, v82, v87, vcc
	global_load_dword v88, v[86:87], off
	global_load_dword v89, v[81:82], off offset:104
	s_waitcnt vmcnt(1)
	global_store_dword v[81:82], v88, off offset:104
	v_mov_b32_e32 v84, v80
	v_mov_b32_e32 v83, v79
	;; [unrolled: 1-line block ×4, first 2 shown]
	s_waitcnt vmcnt(1)
	global_store_dword v[86:87], v89, off
.LBB116_560:
	s_or_b64 exec, exec, s[20:21]
	v_mov_b32_e32 v89, v85
	v_mov_b32_e32 v77, v85
	buffer_store_dword v77, off, s[24:27], 0 offset:432 ; 4-byte Folded Spill
.LBB116_561:
	s_or_b64 exec, exec, s[18:19]
.LBB116_562:
	s_andn2_saveexec_b64 s[0:1], s[0:1]
	s_cbranch_execz .LBB116_564
; %bb.563:
	buffer_load_dword v77, off, s[24:27], 0 offset:112 ; 4-byte Folded Reload
	buffer_load_dword v78, off, s[24:27], 0 offset:116 ; 4-byte Folded Reload
	;; [unrolled: 1-line block ×4, first 2 shown]
	v_mov_b32_e32 v89, 26
	s_waitcnt vmcnt(0)
	ds_write2_b64 v0, v[77:78], v[79:80] offset0:54 offset1:55
	buffer_load_dword v77, off, s[24:27], 0 offset:96 ; 4-byte Folded Reload
	buffer_load_dword v78, off, s[24:27], 0 offset:100 ; 4-byte Folded Reload
	buffer_load_dword v79, off, s[24:27], 0 offset:104 ; 4-byte Folded Reload
	buffer_load_dword v80, off, s[24:27], 0 offset:108 ; 4-byte Folded Reload
	s_waitcnt vmcnt(0)
	ds_write2_b64 v0, v[77:78], v[79:80] offset0:56 offset1:57
	buffer_load_dword v77, off, s[24:27], 0 offset:80 ; 4-byte Folded Reload
	buffer_load_dword v78, off, s[24:27], 0 offset:84 ; 4-byte Folded Reload
	buffer_load_dword v79, off, s[24:27], 0 offset:88 ; 4-byte Folded Reload
	buffer_load_dword v80, off, s[24:27], 0 offset:92 ; 4-byte Folded Reload
	s_waitcnt vmcnt(0)
	ds_write2_b64 v0, v[77:78], v[79:80] offset0:58 offset1:59
	buffer_load_dword v77, off, s[24:27], 0 offset:64 ; 4-byte Folded Reload
	buffer_load_dword v78, off, s[24:27], 0 offset:68 ; 4-byte Folded Reload
	buffer_load_dword v79, off, s[24:27], 0 offset:72 ; 4-byte Folded Reload
	buffer_load_dword v80, off, s[24:27], 0 offset:76 ; 4-byte Folded Reload
	s_waitcnt vmcnt(0)
	ds_write2_b64 v0, v[77:78], v[79:80] offset0:60 offset1:61
	buffer_load_dword v77, off, s[24:27], 0 offset:48 ; 4-byte Folded Reload
	buffer_load_dword v78, off, s[24:27], 0 offset:52 ; 4-byte Folded Reload
	buffer_load_dword v79, off, s[24:27], 0 offset:56 ; 4-byte Folded Reload
	buffer_load_dword v80, off, s[24:27], 0 offset:60 ; 4-byte Folded Reload
	s_waitcnt vmcnt(0)
	ds_write2_b64 v0, v[77:78], v[79:80] offset0:62 offset1:63
	buffer_load_dword v77, off, s[24:27], 0 offset:32 ; 4-byte Folded Reload
	buffer_load_dword v78, off, s[24:27], 0 offset:36 ; 4-byte Folded Reload
	buffer_load_dword v79, off, s[24:27], 0 offset:40 ; 4-byte Folded Reload
	buffer_load_dword v80, off, s[24:27], 0 offset:44 ; 4-byte Folded Reload
	s_waitcnt vmcnt(0)
	ds_write2_b64 v0, v[77:78], v[79:80] offset0:64 offset1:65
	buffer_load_dword v77, off, s[24:27], 0 offset:16 ; 4-byte Folded Reload
	buffer_load_dword v78, off, s[24:27], 0 offset:20 ; 4-byte Folded Reload
	buffer_load_dword v79, off, s[24:27], 0 offset:24 ; 4-byte Folded Reload
	buffer_load_dword v80, off, s[24:27], 0 offset:28 ; 4-byte Folded Reload
	s_waitcnt vmcnt(0)
	ds_write2_b64 v0, v[77:78], v[79:80] offset0:66 offset1:67
	ds_write2_b64 v0, v[81:82], v[83:84] offset0:68 offset1:69
	;; [unrolled: 1-line block ×5, first 2 shown]
	buffer_load_dword v77, off, s[24:27], 0 ; 4-byte Folded Reload
	buffer_load_dword v78, off, s[24:27], 0 offset:4 ; 4-byte Folded Reload
	buffer_load_dword v79, off, s[24:27], 0 offset:8 ; 4-byte Folded Reload
	;; [unrolled: 1-line block ×3, first 2 shown]
	s_waitcnt vmcnt(0)
	ds_write2_b64 v0, v[77:78], v[79:80] offset0:76 offset1:77
	ds_write2_b64 v0, v[73:74], v[75:76] offset0:78 offset1:79
	;; [unrolled: 1-line block ×21, first 2 shown]
.LBB116_564:
	s_or_b64 exec, exec, s[0:1]
	v_cmp_lt_i32_e32 vcc, 26, v89
	s_waitcnt vmcnt(0) lgkmcnt(0)
	s_barrier
	s_and_saveexec_b64 s[0:1], vcc
	s_cbranch_execz .LBB116_566
; %bb.565:
	buffer_load_dword v97, off, s[24:27], 0 offset:128 ; 4-byte Folded Reload
	buffer_load_dword v98, off, s[24:27], 0 offset:132 ; 4-byte Folded Reload
	;; [unrolled: 1-line block ×4, first 2 shown]
	v_mov_b32_e32 v96, v84
	v_mov_b32_e32 v95, v83
	;; [unrolled: 1-line block ×8, first 2 shown]
	s_waitcnt vmcnt(0)
	v_mul_f64 v[85:86], v[119:120], v[99:100]
	v_fma_f64 v[113:114], v[117:118], v[97:98], -v[85:86]
	v_mul_f64 v[85:86], v[117:118], v[99:100]
	v_fma_f64 v[99:100], v[119:120], v[97:98], v[85:86]
	ds_read2_b64 v[85:88], v0 offset0:54 offset1:55
	buffer_load_dword v77, off, s[24:27], 0 offset:112 ; 4-byte Folded Reload
	buffer_load_dword v78, off, s[24:27], 0 offset:116 ; 4-byte Folded Reload
	buffer_load_dword v79, off, s[24:27], 0 offset:120 ; 4-byte Folded Reload
	buffer_load_dword v80, off, s[24:27], 0 offset:124 ; 4-byte Folded Reload
	v_mov_b32_e32 v97, v113
	v_mov_b32_e32 v98, v114
	s_waitcnt lgkmcnt(0)
	v_mul_f64 v[91:92], v[87:88], v[99:100]
	v_fma_f64 v[91:92], v[85:86], v[113:114], -v[91:92]
	v_mul_f64 v[85:86], v[85:86], v[99:100]
	v_fma_f64 v[85:86], v[87:88], v[113:114], v[85:86]
	s_waitcnt vmcnt(2)
	v_add_f64 v[77:78], v[77:78], -v[91:92]
	s_waitcnt vmcnt(0)
	v_add_f64 v[79:80], v[79:80], -v[85:86]
	buffer_store_dword v77, off, s[24:27], 0 offset:112 ; 4-byte Folded Spill
	s_nop 0
	buffer_store_dword v78, off, s[24:27], 0 offset:116 ; 4-byte Folded Spill
	buffer_store_dword v79, off, s[24:27], 0 offset:120 ; 4-byte Folded Spill
	buffer_store_dword v80, off, s[24:27], 0 offset:124 ; 4-byte Folded Spill
	ds_read2_b64 v[85:88], v0 offset0:56 offset1:57
	buffer_load_dword v77, off, s[24:27], 0 offset:96 ; 4-byte Folded Reload
	buffer_load_dword v78, off, s[24:27], 0 offset:100 ; 4-byte Folded Reload
	buffer_load_dword v79, off, s[24:27], 0 offset:104 ; 4-byte Folded Reload
	buffer_load_dword v80, off, s[24:27], 0 offset:108 ; 4-byte Folded Reload
	s_waitcnt lgkmcnt(0)
	v_mul_f64 v[91:92], v[87:88], v[99:100]
	v_fma_f64 v[91:92], v[85:86], v[113:114], -v[91:92]
	v_mul_f64 v[85:86], v[85:86], v[99:100]
	v_fma_f64 v[85:86], v[87:88], v[113:114], v[85:86]
	s_waitcnt vmcnt(2)
	v_add_f64 v[77:78], v[77:78], -v[91:92]
	s_waitcnt vmcnt(0)
	v_add_f64 v[79:80], v[79:80], -v[85:86]
	buffer_store_dword v77, off, s[24:27], 0 offset:96 ; 4-byte Folded Spill
	s_nop 0
	buffer_store_dword v78, off, s[24:27], 0 offset:100 ; 4-byte Folded Spill
	buffer_store_dword v79, off, s[24:27], 0 offset:104 ; 4-byte Folded Spill
	buffer_store_dword v80, off, s[24:27], 0 offset:108 ; 4-byte Folded Spill
	ds_read2_b64 v[85:88], v0 offset0:58 offset1:59
	buffer_load_dword v77, off, s[24:27], 0 offset:80 ; 4-byte Folded Reload
	buffer_load_dword v78, off, s[24:27], 0 offset:84 ; 4-byte Folded Reload
	buffer_load_dword v79, off, s[24:27], 0 offset:88 ; 4-byte Folded Reload
	buffer_load_dword v80, off, s[24:27], 0 offset:92 ; 4-byte Folded Reload
	;; [unrolled: 19-line block ×6, first 2 shown]
	s_waitcnt lgkmcnt(0)
	v_mul_f64 v[91:92], v[87:88], v[99:100]
	v_fma_f64 v[91:92], v[85:86], v[113:114], -v[91:92]
	v_mul_f64 v[85:86], v[85:86], v[99:100]
	v_fma_f64 v[85:86], v[87:88], v[113:114], v[85:86]
	s_waitcnt vmcnt(2)
	v_add_f64 v[77:78], v[77:78], -v[91:92]
	s_waitcnt vmcnt(0)
	v_add_f64 v[79:80], v[79:80], -v[85:86]
	buffer_store_dword v77, off, s[24:27], 0 offset:16 ; 4-byte Folded Spill
	s_nop 0
	buffer_store_dword v78, off, s[24:27], 0 offset:20 ; 4-byte Folded Spill
	buffer_store_dword v79, off, s[24:27], 0 offset:24 ; 4-byte Folded Spill
	;; [unrolled: 1-line block ×3, first 2 shown]
	ds_read2_b64 v[85:88], v0 offset0:68 offset1:69
	s_waitcnt lgkmcnt(0)
	v_mul_f64 v[91:92], v[87:88], v[99:100]
	v_fma_f64 v[91:92], v[85:86], v[113:114], -v[91:92]
	v_mul_f64 v[85:86], v[85:86], v[99:100]
	v_add_f64 v[93:94], v[93:94], -v[91:92]
	v_fma_f64 v[85:86], v[87:88], v[113:114], v[85:86]
	v_add_f64 v[95:96], v[95:96], -v[85:86]
	ds_read2_b64 v[85:88], v0 offset0:70 offset1:71
	s_waitcnt lgkmcnt(0)
	v_mul_f64 v[91:92], v[87:88], v[99:100]
	v_fma_f64 v[91:92], v[85:86], v[113:114], -v[91:92]
	v_mul_f64 v[85:86], v[85:86], v[99:100]
	v_add_f64 v[81:82], v[81:82], -v[91:92]
	v_fma_f64 v[85:86], v[87:88], v[113:114], v[85:86]
	v_add_f64 v[83:84], v[83:84], -v[85:86]
	;; [unrolled: 8-line block ×4, first 2 shown]
	ds_read2_b64 v[85:88], v0 offset0:76 offset1:77
	buffer_load_dword v77, off, s[24:27], 0 ; 4-byte Folded Reload
	buffer_load_dword v78, off, s[24:27], 0 offset:4 ; 4-byte Folded Reload
	buffer_load_dword v79, off, s[24:27], 0 offset:8 ; 4-byte Folded Reload
	;; [unrolled: 1-line block ×3, first 2 shown]
	s_waitcnt lgkmcnt(0)
	v_mul_f64 v[91:92], v[87:88], v[99:100]
	v_fma_f64 v[91:92], v[85:86], v[113:114], -v[91:92]
	v_mul_f64 v[85:86], v[85:86], v[99:100]
	v_fma_f64 v[85:86], v[87:88], v[113:114], v[85:86]
	s_waitcnt vmcnt(2)
	v_add_f64 v[77:78], v[77:78], -v[91:92]
	s_waitcnt vmcnt(0)
	v_add_f64 v[79:80], v[79:80], -v[85:86]
	buffer_store_dword v77, off, s[24:27], 0 ; 4-byte Folded Spill
	s_nop 0
	buffer_store_dword v78, off, s[24:27], 0 offset:4 ; 4-byte Folded Spill
	buffer_store_dword v79, off, s[24:27], 0 offset:8 ; 4-byte Folded Spill
	;; [unrolled: 1-line block ×3, first 2 shown]
	ds_read2_b64 v[85:88], v0 offset0:78 offset1:79
	s_waitcnt lgkmcnt(0)
	v_mul_f64 v[91:92], v[87:88], v[99:100]
	v_fma_f64 v[91:92], v[85:86], v[113:114], -v[91:92]
	v_mul_f64 v[85:86], v[85:86], v[99:100]
	v_add_f64 v[73:74], v[73:74], -v[91:92]
	v_fma_f64 v[85:86], v[87:88], v[113:114], v[85:86]
	v_add_f64 v[75:76], v[75:76], -v[85:86]
	ds_read2_b64 v[85:88], v0 offset0:80 offset1:81
	s_waitcnt lgkmcnt(0)
	v_mul_f64 v[91:92], v[87:88], v[99:100]
	v_fma_f64 v[91:92], v[85:86], v[113:114], -v[91:92]
	v_mul_f64 v[85:86], v[85:86], v[99:100]
	v_add_f64 v[69:70], v[69:70], -v[91:92]
	v_fma_f64 v[85:86], v[87:88], v[113:114], v[85:86]
	v_add_f64 v[71:72], v[71:72], -v[85:86]
	;; [unrolled: 8-line block ×19, first 2 shown]
	ds_read2_b64 v[85:88], v0 offset0:116 offset1:117
	s_waitcnt lgkmcnt(0)
	v_mul_f64 v[91:92], v[87:88], v[99:100]
	v_fma_f64 v[91:92], v[85:86], v[113:114], -v[91:92]
	v_mul_f64 v[85:86], v[85:86], v[99:100]
	buffer_store_dword v97, off, s[24:27], 0 offset:128 ; 4-byte Folded Spill
	s_nop 0
	buffer_store_dword v98, off, s[24:27], 0 offset:132 ; 4-byte Folded Spill
	buffer_store_dword v99, off, s[24:27], 0 offset:136 ; 4-byte Folded Spill
	;; [unrolled: 1-line block ×3, first 2 shown]
	v_add_f64 v[121:122], v[121:122], -v[91:92]
	v_fma_f64 v[85:86], v[87:88], v[113:114], v[85:86]
	v_mov_b32_e32 v116, v84
	v_mov_b32_e32 v115, v83
	;; [unrolled: 1-line block ×7, first 2 shown]
	v_add_f64 v[123:124], v[123:124], -v[85:86]
	v_mov_b32_e32 v84, v96
.LBB116_566:
	s_or_b64 exec, exec, s[0:1]
	s_waitcnt vmcnt(0)
	s_barrier
	buffer_load_dword v77, off, s[24:27], 0 offset:112 ; 4-byte Folded Reload
	buffer_load_dword v78, off, s[24:27], 0 offset:116 ; 4-byte Folded Reload
	;; [unrolled: 1-line block ×4, first 2 shown]
	v_lshl_add_u32 v85, v89, 4, v0
	s_cmp_lt_i32 s3, 29
	s_waitcnt vmcnt(0)
	ds_write2_b64 v85, v[77:78], v[79:80] offset1:1
	s_waitcnt lgkmcnt(0)
	s_barrier
	ds_read2_b64 v[117:120], v0 offset0:54 offset1:55
	v_mov_b32_e32 v85, 27
	s_cbranch_scc1 .LBB116_569
; %bb.567:
	v_add_u32_e32 v86, 0x1c0, v0
	s_mov_b32 s0, 28
	v_mov_b32_e32 v85, 27
.LBB116_568:                            ; =>This Inner Loop Header: Depth=1
	s_waitcnt lgkmcnt(0)
	v_cmp_gt_f64_e32 vcc, 0, v[117:118]
	v_xor_b32_e32 v87, 0x80000000, v118
	ds_read2_b64 v[91:94], v86 offset1:1
	v_xor_b32_e32 v95, 0x80000000, v120
	v_add_u32_e32 v86, 16, v86
	s_waitcnt lgkmcnt(0)
	v_xor_b32_e32 v97, 0x80000000, v94
	v_cndmask_b32_e32 v88, v118, v87, vcc
	v_cmp_gt_f64_e32 vcc, 0, v[119:120]
	v_mov_b32_e32 v87, v117
	v_cndmask_b32_e32 v96, v120, v95, vcc
	v_cmp_gt_f64_e32 vcc, 0, v[91:92]
	v_mov_b32_e32 v95, v119
	v_add_f64 v[87:88], v[87:88], v[95:96]
	v_xor_b32_e32 v95, 0x80000000, v92
	v_cndmask_b32_e32 v96, v92, v95, vcc
	v_cmp_gt_f64_e32 vcc, 0, v[93:94]
	v_mov_b32_e32 v95, v91
	v_cndmask_b32_e32 v98, v94, v97, vcc
	v_mov_b32_e32 v97, v93
	v_add_f64 v[95:96], v[95:96], v[97:98]
	v_cmp_lt_f64_e32 vcc, v[87:88], v[95:96]
	v_mov_b32_e32 v87, s0
	s_add_i32 s0, s0, 1
	s_cmp_lg_u32 s3, s0
	v_cndmask_b32_e32 v118, v118, v92, vcc
	v_cndmask_b32_e32 v117, v117, v91, vcc
	;; [unrolled: 1-line block ×5, first 2 shown]
	s_cbranch_scc1 .LBB116_568
.LBB116_569:
	s_waitcnt lgkmcnt(0)
	v_cmp_eq_f64_e32 vcc, 0, v[117:118]
	v_cmp_eq_f64_e64 s[0:1], 0, v[119:120]
	s_and_b64 s[0:1], vcc, s[0:1]
	s_and_saveexec_b64 s[18:19], s[0:1]
	s_xor_b64 s[0:1], exec, s[18:19]
; %bb.570:
	v_cmp_ne_u32_e32 vcc, 0, v90
	v_cndmask_b32_e32 v90, 28, v90, vcc
; %bb.571:
	s_andn2_saveexec_b64 s[0:1], s[0:1]
	s_cbranch_execz .LBB116_577
; %bb.572:
	v_cmp_ngt_f64_e64 s[18:19], |v[117:118]|, |v[119:120]|
	s_and_saveexec_b64 s[20:21], s[18:19]
	s_xor_b64 s[18:19], exec, s[20:21]
	s_cbranch_execz .LBB116_574
; %bb.573:
	v_div_scale_f64 v[86:87], s[20:21], v[119:120], v[119:120], v[117:118]
	v_rcp_f64_e32 v[91:92], v[86:87]
	v_fma_f64 v[93:94], -v[86:87], v[91:92], 1.0
	v_fma_f64 v[91:92], v[91:92], v[93:94], v[91:92]
	v_div_scale_f64 v[93:94], vcc, v[117:118], v[119:120], v[117:118]
	v_fma_f64 v[95:96], -v[86:87], v[91:92], 1.0
	v_fma_f64 v[91:92], v[91:92], v[95:96], v[91:92]
	v_mul_f64 v[95:96], v[93:94], v[91:92]
	v_fma_f64 v[86:87], -v[86:87], v[95:96], v[93:94]
	v_div_fmas_f64 v[86:87], v[86:87], v[91:92], v[95:96]
	v_div_fixup_f64 v[86:87], v[86:87], v[119:120], v[117:118]
	v_fma_f64 v[91:92], v[117:118], v[86:87], v[119:120]
	v_div_scale_f64 v[93:94], s[20:21], v[91:92], v[91:92], 1.0
	v_div_scale_f64 v[99:100], vcc, 1.0, v[91:92], 1.0
	v_rcp_f64_e32 v[95:96], v[93:94]
	v_fma_f64 v[97:98], -v[93:94], v[95:96], 1.0
	v_fma_f64 v[95:96], v[95:96], v[97:98], v[95:96]
	v_fma_f64 v[97:98], -v[93:94], v[95:96], 1.0
	v_fma_f64 v[95:96], v[95:96], v[97:98], v[95:96]
	v_mul_f64 v[97:98], v[99:100], v[95:96]
	v_fma_f64 v[93:94], -v[93:94], v[97:98], v[99:100]
	v_div_fmas_f64 v[93:94], v[93:94], v[95:96], v[97:98]
	v_div_fixup_f64 v[119:120], v[93:94], v[91:92], 1.0
	v_mul_f64 v[117:118], v[86:87], v[119:120]
	v_xor_b32_e32 v120, 0x80000000, v120
.LBB116_574:
	s_andn2_saveexec_b64 s[18:19], s[18:19]
	s_cbranch_execz .LBB116_576
; %bb.575:
	v_div_scale_f64 v[86:87], s[20:21], v[117:118], v[117:118], v[119:120]
	v_rcp_f64_e32 v[91:92], v[86:87]
	v_fma_f64 v[93:94], -v[86:87], v[91:92], 1.0
	v_fma_f64 v[91:92], v[91:92], v[93:94], v[91:92]
	v_div_scale_f64 v[93:94], vcc, v[119:120], v[117:118], v[119:120]
	v_fma_f64 v[95:96], -v[86:87], v[91:92], 1.0
	v_fma_f64 v[91:92], v[91:92], v[95:96], v[91:92]
	v_mul_f64 v[95:96], v[93:94], v[91:92]
	v_fma_f64 v[86:87], -v[86:87], v[95:96], v[93:94]
	v_div_fmas_f64 v[86:87], v[86:87], v[91:92], v[95:96]
	v_div_fixup_f64 v[86:87], v[86:87], v[117:118], v[119:120]
	v_fma_f64 v[91:92], v[119:120], v[86:87], v[117:118]
	v_div_scale_f64 v[93:94], s[20:21], v[91:92], v[91:92], 1.0
	v_div_scale_f64 v[99:100], vcc, 1.0, v[91:92], 1.0
	v_rcp_f64_e32 v[95:96], v[93:94]
	v_fma_f64 v[97:98], -v[93:94], v[95:96], 1.0
	v_fma_f64 v[95:96], v[95:96], v[97:98], v[95:96]
	v_fma_f64 v[97:98], -v[93:94], v[95:96], 1.0
	v_fma_f64 v[95:96], v[95:96], v[97:98], v[95:96]
	v_mul_f64 v[97:98], v[99:100], v[95:96]
	v_fma_f64 v[93:94], -v[93:94], v[97:98], v[99:100]
	v_div_fmas_f64 v[93:94], v[93:94], v[95:96], v[97:98]
	v_div_fixup_f64 v[117:118], v[93:94], v[91:92], 1.0
	v_mul_f64 v[119:120], v[86:87], -v[117:118]
.LBB116_576:
	s_or_b64 exec, exec, s[18:19]
.LBB116_577:
	s_or_b64 exec, exec, s[0:1]
	v_cmp_ne_u32_e32 vcc, v89, v85
	s_and_saveexec_b64 s[0:1], vcc
	s_xor_b64 s[0:1], exec, s[0:1]
	s_cbranch_execz .LBB116_583
; %bb.578:
	v_cmp_eq_u32_e32 vcc, 27, v89
	s_and_saveexec_b64 s[18:19], vcc
	s_cbranch_execz .LBB116_582
; %bb.579:
	v_cmp_ne_u32_e32 vcc, 27, v85
	s_xor_b64 s[20:21], s[6:7], -1
	s_and_b64 s[22:23], s[20:21], vcc
	s_and_saveexec_b64 s[20:21], s[22:23]
	s_cbranch_execz .LBB116_581
; %bb.580:
	v_mov_b32_e32 v77, v81
	v_mov_b32_e32 v78, v82
	v_mov_b32_e32 v79, v83
	v_mov_b32_e32 v80, v84
	buffer_load_dword v81, off, s[24:27], 0 offset:500 ; 4-byte Folded Reload
	buffer_load_dword v82, off, s[24:27], 0 offset:504 ; 4-byte Folded Reload
	v_ashrrev_i32_e32 v86, 31, v85
	v_lshlrev_b64 v[86:87], 2, v[85:86]
	s_waitcnt vmcnt(1)
	v_add_co_u32_e32 v86, vcc, v81, v86
	s_waitcnt vmcnt(0)
	v_addc_co_u32_e32 v87, vcc, v82, v87, vcc
	global_load_dword v88, v[86:87], off
	global_load_dword v89, v[81:82], off offset:108
	s_waitcnt vmcnt(1)
	global_store_dword v[81:82], v88, off offset:108
	v_mov_b32_e32 v84, v80
	v_mov_b32_e32 v83, v79
	;; [unrolled: 1-line block ×4, first 2 shown]
	s_waitcnt vmcnt(1)
	global_store_dword v[86:87], v89, off
.LBB116_581:
	s_or_b64 exec, exec, s[20:21]
	v_mov_b32_e32 v89, v85
	v_mov_b32_e32 v77, v85
	buffer_store_dword v77, off, s[24:27], 0 offset:432 ; 4-byte Folded Spill
.LBB116_582:
	s_or_b64 exec, exec, s[18:19]
.LBB116_583:
	s_andn2_saveexec_b64 s[0:1], s[0:1]
	s_cbranch_execz .LBB116_585
; %bb.584:
	buffer_load_dword v77, off, s[24:27], 0 offset:96 ; 4-byte Folded Reload
	buffer_load_dword v78, off, s[24:27], 0 offset:100 ; 4-byte Folded Reload
	;; [unrolled: 1-line block ×4, first 2 shown]
	v_mov_b32_e32 v89, 27
	s_waitcnt vmcnt(0)
	ds_write2_b64 v0, v[77:78], v[79:80] offset0:56 offset1:57
	buffer_load_dword v77, off, s[24:27], 0 offset:80 ; 4-byte Folded Reload
	buffer_load_dword v78, off, s[24:27], 0 offset:84 ; 4-byte Folded Reload
	buffer_load_dword v79, off, s[24:27], 0 offset:88 ; 4-byte Folded Reload
	buffer_load_dword v80, off, s[24:27], 0 offset:92 ; 4-byte Folded Reload
	s_waitcnt vmcnt(0)
	ds_write2_b64 v0, v[77:78], v[79:80] offset0:58 offset1:59
	buffer_load_dword v77, off, s[24:27], 0 offset:64 ; 4-byte Folded Reload
	buffer_load_dword v78, off, s[24:27], 0 offset:68 ; 4-byte Folded Reload
	buffer_load_dword v79, off, s[24:27], 0 offset:72 ; 4-byte Folded Reload
	buffer_load_dword v80, off, s[24:27], 0 offset:76 ; 4-byte Folded Reload
	;; [unrolled: 6-line block ×5, first 2 shown]
	s_waitcnt vmcnt(0)
	ds_write2_b64 v0, v[77:78], v[79:80] offset0:66 offset1:67
	ds_write2_b64 v0, v[81:82], v[83:84] offset0:68 offset1:69
	;; [unrolled: 1-line block ×5, first 2 shown]
	buffer_load_dword v77, off, s[24:27], 0 ; 4-byte Folded Reload
	buffer_load_dword v78, off, s[24:27], 0 offset:4 ; 4-byte Folded Reload
	buffer_load_dword v79, off, s[24:27], 0 offset:8 ; 4-byte Folded Reload
	;; [unrolled: 1-line block ×3, first 2 shown]
	s_waitcnt vmcnt(0)
	ds_write2_b64 v0, v[77:78], v[79:80] offset0:76 offset1:77
	ds_write2_b64 v0, v[73:74], v[75:76] offset0:78 offset1:79
	;; [unrolled: 1-line block ×21, first 2 shown]
.LBB116_585:
	s_or_b64 exec, exec, s[0:1]
	v_cmp_lt_i32_e32 vcc, 27, v89
	s_waitcnt vmcnt(0) lgkmcnt(0)
	s_barrier
	s_and_saveexec_b64 s[0:1], vcc
	s_cbranch_execz .LBB116_587
; %bb.586:
	buffer_load_dword v95, off, s[24:27], 0 offset:112 ; 4-byte Folded Reload
	buffer_load_dword v96, off, s[24:27], 0 offset:116 ; 4-byte Folded Reload
	buffer_load_dword v97, off, s[24:27], 0 offset:120 ; 4-byte Folded Reload
	buffer_load_dword v98, off, s[24:27], 0 offset:124 ; 4-byte Folded Reload
	s_waitcnt vmcnt(0)
	v_mul_f64 v[85:86], v[119:120], v[97:98]
	v_fma_f64 v[93:94], v[117:118], v[95:96], -v[85:86]
	v_mul_f64 v[85:86], v[117:118], v[97:98]
	v_fma_f64 v[97:98], v[119:120], v[95:96], v[85:86]
	ds_read2_b64 v[85:88], v0 offset0:56 offset1:57
	buffer_load_dword v77, off, s[24:27], 0 offset:96 ; 4-byte Folded Reload
	buffer_load_dword v78, off, s[24:27], 0 offset:100 ; 4-byte Folded Reload
	;; [unrolled: 1-line block ×4, first 2 shown]
	v_mov_b32_e32 v96, v94
	v_mov_b32_e32 v95, v93
	s_waitcnt lgkmcnt(0)
	v_mul_f64 v[91:92], v[87:88], v[97:98]
	v_fma_f64 v[91:92], v[85:86], v[93:94], -v[91:92]
	v_mul_f64 v[85:86], v[85:86], v[97:98]
	v_fma_f64 v[85:86], v[87:88], v[93:94], v[85:86]
	s_waitcnt vmcnt(2)
	v_add_f64 v[77:78], v[77:78], -v[91:92]
	s_waitcnt vmcnt(0)
	v_add_f64 v[79:80], v[79:80], -v[85:86]
	buffer_store_dword v77, off, s[24:27], 0 offset:96 ; 4-byte Folded Spill
	s_nop 0
	buffer_store_dword v78, off, s[24:27], 0 offset:100 ; 4-byte Folded Spill
	buffer_store_dword v79, off, s[24:27], 0 offset:104 ; 4-byte Folded Spill
	buffer_store_dword v80, off, s[24:27], 0 offset:108 ; 4-byte Folded Spill
	ds_read2_b64 v[85:88], v0 offset0:58 offset1:59
	buffer_load_dword v77, off, s[24:27], 0 offset:80 ; 4-byte Folded Reload
	buffer_load_dword v78, off, s[24:27], 0 offset:84 ; 4-byte Folded Reload
	buffer_load_dword v79, off, s[24:27], 0 offset:88 ; 4-byte Folded Reload
	buffer_load_dword v80, off, s[24:27], 0 offset:92 ; 4-byte Folded Reload
	s_waitcnt lgkmcnt(0)
	v_mul_f64 v[91:92], v[87:88], v[97:98]
	v_fma_f64 v[91:92], v[85:86], v[93:94], -v[91:92]
	v_mul_f64 v[85:86], v[85:86], v[97:98]
	v_fma_f64 v[85:86], v[87:88], v[93:94], v[85:86]
	s_waitcnt vmcnt(2)
	v_add_f64 v[77:78], v[77:78], -v[91:92]
	s_waitcnt vmcnt(0)
	v_add_f64 v[79:80], v[79:80], -v[85:86]
	buffer_store_dword v77, off, s[24:27], 0 offset:80 ; 4-byte Folded Spill
	s_nop 0
	buffer_store_dword v78, off, s[24:27], 0 offset:84 ; 4-byte Folded Spill
	buffer_store_dword v79, off, s[24:27], 0 offset:88 ; 4-byte Folded Spill
	buffer_store_dword v80, off, s[24:27], 0 offset:92 ; 4-byte Folded Spill
	ds_read2_b64 v[85:88], v0 offset0:60 offset1:61
	buffer_load_dword v77, off, s[24:27], 0 offset:64 ; 4-byte Folded Reload
	buffer_load_dword v78, off, s[24:27], 0 offset:68 ; 4-byte Folded Reload
	buffer_load_dword v79, off, s[24:27], 0 offset:72 ; 4-byte Folded Reload
	buffer_load_dword v80, off, s[24:27], 0 offset:76 ; 4-byte Folded Reload
	;; [unrolled: 19-line block ×5, first 2 shown]
	s_waitcnt lgkmcnt(0)
	v_mul_f64 v[91:92], v[87:88], v[97:98]
	v_fma_f64 v[91:92], v[85:86], v[93:94], -v[91:92]
	v_mul_f64 v[85:86], v[85:86], v[97:98]
	v_fma_f64 v[85:86], v[87:88], v[93:94], v[85:86]
	s_waitcnt vmcnt(2)
	v_add_f64 v[77:78], v[77:78], -v[91:92]
	s_waitcnt vmcnt(0)
	v_add_f64 v[79:80], v[79:80], -v[85:86]
	buffer_store_dword v77, off, s[24:27], 0 offset:16 ; 4-byte Folded Spill
	s_nop 0
	buffer_store_dword v78, off, s[24:27], 0 offset:20 ; 4-byte Folded Spill
	buffer_store_dword v79, off, s[24:27], 0 offset:24 ; 4-byte Folded Spill
	;; [unrolled: 1-line block ×3, first 2 shown]
	ds_read2_b64 v[85:88], v0 offset0:68 offset1:69
	s_waitcnt lgkmcnt(0)
	v_mul_f64 v[91:92], v[87:88], v[97:98]
	v_fma_f64 v[91:92], v[85:86], v[93:94], -v[91:92]
	v_mul_f64 v[85:86], v[85:86], v[97:98]
	v_add_f64 v[81:82], v[81:82], -v[91:92]
	v_fma_f64 v[85:86], v[87:88], v[93:94], v[85:86]
	v_add_f64 v[83:84], v[83:84], -v[85:86]
	ds_read2_b64 v[85:88], v0 offset0:70 offset1:71
	s_waitcnt lgkmcnt(0)
	v_mul_f64 v[91:92], v[87:88], v[97:98]
	v_fma_f64 v[91:92], v[85:86], v[93:94], -v[91:92]
	v_mul_f64 v[85:86], v[85:86], v[97:98]
	v_add_f64 v[113:114], v[113:114], -v[91:92]
	v_fma_f64 v[85:86], v[87:88], v[93:94], v[85:86]
	v_add_f64 v[115:116], v[115:116], -v[85:86]
	;; [unrolled: 8-line block ×4, first 2 shown]
	ds_read2_b64 v[85:88], v0 offset0:76 offset1:77
	buffer_load_dword v77, off, s[24:27], 0 ; 4-byte Folded Reload
	buffer_load_dword v78, off, s[24:27], 0 offset:4 ; 4-byte Folded Reload
	buffer_load_dword v79, off, s[24:27], 0 offset:8 ; 4-byte Folded Reload
	;; [unrolled: 1-line block ×3, first 2 shown]
	s_waitcnt lgkmcnt(0)
	v_mul_f64 v[91:92], v[87:88], v[97:98]
	v_fma_f64 v[91:92], v[85:86], v[93:94], -v[91:92]
	v_mul_f64 v[85:86], v[85:86], v[97:98]
	v_fma_f64 v[85:86], v[87:88], v[93:94], v[85:86]
	s_waitcnt vmcnt(2)
	v_add_f64 v[77:78], v[77:78], -v[91:92]
	s_waitcnt vmcnt(0)
	v_add_f64 v[79:80], v[79:80], -v[85:86]
	buffer_store_dword v77, off, s[24:27], 0 ; 4-byte Folded Spill
	s_nop 0
	buffer_store_dword v78, off, s[24:27], 0 offset:4 ; 4-byte Folded Spill
	buffer_store_dword v79, off, s[24:27], 0 offset:8 ; 4-byte Folded Spill
	;; [unrolled: 1-line block ×3, first 2 shown]
	ds_read2_b64 v[85:88], v0 offset0:78 offset1:79
	s_waitcnt lgkmcnt(0)
	v_mul_f64 v[91:92], v[87:88], v[97:98]
	v_fma_f64 v[91:92], v[85:86], v[93:94], -v[91:92]
	v_mul_f64 v[85:86], v[85:86], v[97:98]
	v_add_f64 v[73:74], v[73:74], -v[91:92]
	v_fma_f64 v[85:86], v[87:88], v[93:94], v[85:86]
	v_add_f64 v[75:76], v[75:76], -v[85:86]
	ds_read2_b64 v[85:88], v0 offset0:80 offset1:81
	s_waitcnt lgkmcnt(0)
	v_mul_f64 v[91:92], v[87:88], v[97:98]
	v_fma_f64 v[91:92], v[85:86], v[93:94], -v[91:92]
	v_mul_f64 v[85:86], v[85:86], v[97:98]
	v_add_f64 v[69:70], v[69:70], -v[91:92]
	v_fma_f64 v[85:86], v[87:88], v[93:94], v[85:86]
	v_add_f64 v[71:72], v[71:72], -v[85:86]
	;; [unrolled: 8-line block ×19, first 2 shown]
	ds_read2_b64 v[85:88], v0 offset0:116 offset1:117
	s_waitcnt lgkmcnt(0)
	v_mul_f64 v[91:92], v[87:88], v[97:98]
	v_fma_f64 v[91:92], v[85:86], v[93:94], -v[91:92]
	v_mul_f64 v[85:86], v[85:86], v[97:98]
	buffer_store_dword v95, off, s[24:27], 0 offset:112 ; 4-byte Folded Spill
	s_nop 0
	buffer_store_dword v96, off, s[24:27], 0 offset:116 ; 4-byte Folded Spill
	buffer_store_dword v97, off, s[24:27], 0 offset:120 ; 4-byte Folded Spill
	;; [unrolled: 1-line block ×3, first 2 shown]
	v_add_f64 v[121:122], v[121:122], -v[91:92]
	v_fma_f64 v[85:86], v[87:88], v[93:94], v[85:86]
	v_add_f64 v[123:124], v[123:124], -v[85:86]
.LBB116_587:
	s_or_b64 exec, exec, s[0:1]
	s_waitcnt vmcnt(0)
	s_barrier
	buffer_load_dword v77, off, s[24:27], 0 offset:96 ; 4-byte Folded Reload
	buffer_load_dword v78, off, s[24:27], 0 offset:100 ; 4-byte Folded Reload
	;; [unrolled: 1-line block ×4, first 2 shown]
	v_lshl_add_u32 v85, v89, 4, v0
	s_cmp_lt_i32 s3, 30
	s_waitcnt vmcnt(0)
	ds_write2_b64 v85, v[77:78], v[79:80] offset1:1
	s_waitcnt lgkmcnt(0)
	s_barrier
	ds_read2_b64 v[117:120], v0 offset0:56 offset1:57
	v_mov_b32_e32 v85, 28
	s_cbranch_scc1 .LBB116_590
; %bb.588:
	v_add_u32_e32 v86, 0x1d0, v0
	s_mov_b32 s0, 29
	v_mov_b32_e32 v85, 28
.LBB116_589:                            ; =>This Inner Loop Header: Depth=1
	s_waitcnt lgkmcnt(0)
	v_cmp_gt_f64_e32 vcc, 0, v[117:118]
	v_xor_b32_e32 v87, 0x80000000, v118
	ds_read2_b64 v[91:94], v86 offset1:1
	v_xor_b32_e32 v95, 0x80000000, v120
	v_add_u32_e32 v86, 16, v86
	s_waitcnt lgkmcnt(0)
	v_xor_b32_e32 v97, 0x80000000, v94
	v_cndmask_b32_e32 v88, v118, v87, vcc
	v_cmp_gt_f64_e32 vcc, 0, v[119:120]
	v_mov_b32_e32 v87, v117
	v_cndmask_b32_e32 v96, v120, v95, vcc
	v_cmp_gt_f64_e32 vcc, 0, v[91:92]
	v_mov_b32_e32 v95, v119
	v_add_f64 v[87:88], v[87:88], v[95:96]
	v_xor_b32_e32 v95, 0x80000000, v92
	v_cndmask_b32_e32 v96, v92, v95, vcc
	v_cmp_gt_f64_e32 vcc, 0, v[93:94]
	v_mov_b32_e32 v95, v91
	v_cndmask_b32_e32 v98, v94, v97, vcc
	v_mov_b32_e32 v97, v93
	v_add_f64 v[95:96], v[95:96], v[97:98]
	v_cmp_lt_f64_e32 vcc, v[87:88], v[95:96]
	v_mov_b32_e32 v87, s0
	s_add_i32 s0, s0, 1
	s_cmp_lg_u32 s3, s0
	v_cndmask_b32_e32 v118, v118, v92, vcc
	v_cndmask_b32_e32 v117, v117, v91, vcc
	;; [unrolled: 1-line block ×5, first 2 shown]
	s_cbranch_scc1 .LBB116_589
.LBB116_590:
	s_waitcnt lgkmcnt(0)
	v_cmp_eq_f64_e32 vcc, 0, v[117:118]
	v_cmp_eq_f64_e64 s[0:1], 0, v[119:120]
	s_and_b64 s[0:1], vcc, s[0:1]
	s_and_saveexec_b64 s[18:19], s[0:1]
	s_xor_b64 s[0:1], exec, s[18:19]
; %bb.591:
	v_cmp_ne_u32_e32 vcc, 0, v90
	v_cndmask_b32_e32 v90, 29, v90, vcc
; %bb.592:
	s_andn2_saveexec_b64 s[0:1], s[0:1]
	s_cbranch_execz .LBB116_598
; %bb.593:
	v_cmp_ngt_f64_e64 s[18:19], |v[117:118]|, |v[119:120]|
	s_and_saveexec_b64 s[20:21], s[18:19]
	s_xor_b64 s[18:19], exec, s[20:21]
	s_cbranch_execz .LBB116_595
; %bb.594:
	v_div_scale_f64 v[86:87], s[20:21], v[119:120], v[119:120], v[117:118]
	v_rcp_f64_e32 v[91:92], v[86:87]
	v_fma_f64 v[93:94], -v[86:87], v[91:92], 1.0
	v_fma_f64 v[91:92], v[91:92], v[93:94], v[91:92]
	v_div_scale_f64 v[93:94], vcc, v[117:118], v[119:120], v[117:118]
	v_fma_f64 v[95:96], -v[86:87], v[91:92], 1.0
	v_fma_f64 v[91:92], v[91:92], v[95:96], v[91:92]
	v_mul_f64 v[95:96], v[93:94], v[91:92]
	v_fma_f64 v[86:87], -v[86:87], v[95:96], v[93:94]
	v_div_fmas_f64 v[86:87], v[86:87], v[91:92], v[95:96]
	v_div_fixup_f64 v[86:87], v[86:87], v[119:120], v[117:118]
	v_fma_f64 v[91:92], v[117:118], v[86:87], v[119:120]
	v_div_scale_f64 v[93:94], s[20:21], v[91:92], v[91:92], 1.0
	v_div_scale_f64 v[99:100], vcc, 1.0, v[91:92], 1.0
	v_rcp_f64_e32 v[95:96], v[93:94]
	v_fma_f64 v[97:98], -v[93:94], v[95:96], 1.0
	v_fma_f64 v[95:96], v[95:96], v[97:98], v[95:96]
	v_fma_f64 v[97:98], -v[93:94], v[95:96], 1.0
	v_fma_f64 v[95:96], v[95:96], v[97:98], v[95:96]
	v_mul_f64 v[97:98], v[99:100], v[95:96]
	v_fma_f64 v[93:94], -v[93:94], v[97:98], v[99:100]
	v_div_fmas_f64 v[93:94], v[93:94], v[95:96], v[97:98]
	v_div_fixup_f64 v[119:120], v[93:94], v[91:92], 1.0
	v_mul_f64 v[117:118], v[86:87], v[119:120]
	v_xor_b32_e32 v120, 0x80000000, v120
.LBB116_595:
	s_andn2_saveexec_b64 s[18:19], s[18:19]
	s_cbranch_execz .LBB116_597
; %bb.596:
	v_div_scale_f64 v[86:87], s[20:21], v[117:118], v[117:118], v[119:120]
	v_rcp_f64_e32 v[91:92], v[86:87]
	v_fma_f64 v[93:94], -v[86:87], v[91:92], 1.0
	v_fma_f64 v[91:92], v[91:92], v[93:94], v[91:92]
	v_div_scale_f64 v[93:94], vcc, v[119:120], v[117:118], v[119:120]
	v_fma_f64 v[95:96], -v[86:87], v[91:92], 1.0
	v_fma_f64 v[91:92], v[91:92], v[95:96], v[91:92]
	v_mul_f64 v[95:96], v[93:94], v[91:92]
	v_fma_f64 v[86:87], -v[86:87], v[95:96], v[93:94]
	v_div_fmas_f64 v[86:87], v[86:87], v[91:92], v[95:96]
	v_div_fixup_f64 v[86:87], v[86:87], v[117:118], v[119:120]
	v_fma_f64 v[91:92], v[119:120], v[86:87], v[117:118]
	v_div_scale_f64 v[93:94], s[20:21], v[91:92], v[91:92], 1.0
	v_div_scale_f64 v[99:100], vcc, 1.0, v[91:92], 1.0
	v_rcp_f64_e32 v[95:96], v[93:94]
	v_fma_f64 v[97:98], -v[93:94], v[95:96], 1.0
	v_fma_f64 v[95:96], v[95:96], v[97:98], v[95:96]
	v_fma_f64 v[97:98], -v[93:94], v[95:96], 1.0
	v_fma_f64 v[95:96], v[95:96], v[97:98], v[95:96]
	v_mul_f64 v[97:98], v[99:100], v[95:96]
	v_fma_f64 v[93:94], -v[93:94], v[97:98], v[99:100]
	v_div_fmas_f64 v[93:94], v[93:94], v[95:96], v[97:98]
	v_div_fixup_f64 v[117:118], v[93:94], v[91:92], 1.0
	v_mul_f64 v[119:120], v[86:87], -v[117:118]
.LBB116_597:
	s_or_b64 exec, exec, s[18:19]
.LBB116_598:
	s_or_b64 exec, exec, s[0:1]
	v_cmp_ne_u32_e32 vcc, v89, v85
	s_and_saveexec_b64 s[0:1], vcc
	s_xor_b64 s[0:1], exec, s[0:1]
	s_cbranch_execz .LBB116_604
; %bb.599:
	v_cmp_eq_u32_e32 vcc, 28, v89
	s_and_saveexec_b64 s[18:19], vcc
	s_cbranch_execz .LBB116_603
; %bb.600:
	v_cmp_ne_u32_e32 vcc, 28, v85
	s_xor_b64 s[20:21], s[6:7], -1
	s_and_b64 s[22:23], s[20:21], vcc
	s_and_saveexec_b64 s[20:21], s[22:23]
	s_cbranch_execz .LBB116_602
; %bb.601:
	v_mov_b32_e32 v77, v81
	v_mov_b32_e32 v78, v82
	;; [unrolled: 1-line block ×4, first 2 shown]
	buffer_load_dword v81, off, s[24:27], 0 offset:500 ; 4-byte Folded Reload
	buffer_load_dword v82, off, s[24:27], 0 offset:504 ; 4-byte Folded Reload
	v_ashrrev_i32_e32 v86, 31, v85
	v_lshlrev_b64 v[86:87], 2, v[85:86]
	s_waitcnt vmcnt(1)
	v_add_co_u32_e32 v86, vcc, v81, v86
	s_waitcnt vmcnt(0)
	v_addc_co_u32_e32 v87, vcc, v82, v87, vcc
	global_load_dword v88, v[86:87], off
	global_load_dword v89, v[81:82], off offset:112
	s_waitcnt vmcnt(1)
	global_store_dword v[81:82], v88, off offset:112
	v_mov_b32_e32 v84, v80
	v_mov_b32_e32 v83, v79
	;; [unrolled: 1-line block ×4, first 2 shown]
	s_waitcnt vmcnt(1)
	global_store_dword v[86:87], v89, off
.LBB116_602:
	s_or_b64 exec, exec, s[20:21]
	v_mov_b32_e32 v89, v85
	v_mov_b32_e32 v77, v85
	buffer_store_dword v77, off, s[24:27], 0 offset:432 ; 4-byte Folded Spill
.LBB116_603:
	s_or_b64 exec, exec, s[18:19]
.LBB116_604:
	s_andn2_saveexec_b64 s[0:1], s[0:1]
	s_cbranch_execz .LBB116_606
; %bb.605:
	buffer_load_dword v77, off, s[24:27], 0 offset:80 ; 4-byte Folded Reload
	buffer_load_dword v78, off, s[24:27], 0 offset:84 ; 4-byte Folded Reload
	;; [unrolled: 1-line block ×4, first 2 shown]
	v_mov_b32_e32 v89, 28
	s_waitcnt vmcnt(0)
	ds_write2_b64 v0, v[77:78], v[79:80] offset0:58 offset1:59
	buffer_load_dword v77, off, s[24:27], 0 offset:64 ; 4-byte Folded Reload
	buffer_load_dword v78, off, s[24:27], 0 offset:68 ; 4-byte Folded Reload
	buffer_load_dword v79, off, s[24:27], 0 offset:72 ; 4-byte Folded Reload
	buffer_load_dword v80, off, s[24:27], 0 offset:76 ; 4-byte Folded Reload
	s_waitcnt vmcnt(0)
	ds_write2_b64 v0, v[77:78], v[79:80] offset0:60 offset1:61
	buffer_load_dword v77, off, s[24:27], 0 offset:48 ; 4-byte Folded Reload
	buffer_load_dword v78, off, s[24:27], 0 offset:52 ; 4-byte Folded Reload
	buffer_load_dword v79, off, s[24:27], 0 offset:56 ; 4-byte Folded Reload
	buffer_load_dword v80, off, s[24:27], 0 offset:60 ; 4-byte Folded Reload
	;; [unrolled: 6-line block ×4, first 2 shown]
	s_waitcnt vmcnt(0)
	ds_write2_b64 v0, v[77:78], v[79:80] offset0:66 offset1:67
	ds_write2_b64 v0, v[81:82], v[83:84] offset0:68 offset1:69
	;; [unrolled: 1-line block ×5, first 2 shown]
	buffer_load_dword v77, off, s[24:27], 0 ; 4-byte Folded Reload
	buffer_load_dword v78, off, s[24:27], 0 offset:4 ; 4-byte Folded Reload
	buffer_load_dword v79, off, s[24:27], 0 offset:8 ; 4-byte Folded Reload
	;; [unrolled: 1-line block ×3, first 2 shown]
	s_waitcnt vmcnt(0)
	ds_write2_b64 v0, v[77:78], v[79:80] offset0:76 offset1:77
	ds_write2_b64 v0, v[73:74], v[75:76] offset0:78 offset1:79
	;; [unrolled: 1-line block ×21, first 2 shown]
.LBB116_606:
	s_or_b64 exec, exec, s[0:1]
	v_cmp_lt_i32_e32 vcc, 28, v89
	s_waitcnt vmcnt(0) lgkmcnt(0)
	s_barrier
	s_and_saveexec_b64 s[0:1], vcc
	s_cbranch_execz .LBB116_608
; %bb.607:
	buffer_load_dword v93, off, s[24:27], 0 offset:96 ; 4-byte Folded Reload
	buffer_load_dword v94, off, s[24:27], 0 offset:100 ; 4-byte Folded Reload
	;; [unrolled: 1-line block ×4, first 2 shown]
	s_waitcnt vmcnt(0)
	v_mul_f64 v[85:86], v[119:120], v[95:96]
	v_mul_f64 v[87:88], v[117:118], v[95:96]
	v_fma_f64 v[85:86], v[117:118], v[93:94], -v[85:86]
	v_fma_f64 v[95:96], v[119:120], v[93:94], v[87:88]
	ds_read2_b64 v[91:94], v0 offset0:58 offset1:59
	buffer_load_dword v77, off, s[24:27], 0 offset:80 ; 4-byte Folded Reload
	buffer_load_dword v78, off, s[24:27], 0 offset:84 ; 4-byte Folded Reload
	buffer_load_dword v79, off, s[24:27], 0 offset:88 ; 4-byte Folded Reload
	buffer_load_dword v80, off, s[24:27], 0 offset:92 ; 4-byte Folded Reload
	s_waitcnt lgkmcnt(0)
	v_mul_f64 v[87:88], v[93:94], v[95:96]
	v_fma_f64 v[87:88], v[91:92], v[85:86], -v[87:88]
	v_mul_f64 v[91:92], v[91:92], v[95:96]
	v_fma_f64 v[91:92], v[93:94], v[85:86], v[91:92]
	s_waitcnt vmcnt(2)
	v_add_f64 v[77:78], v[77:78], -v[87:88]
	s_waitcnt vmcnt(0)
	v_add_f64 v[79:80], v[79:80], -v[91:92]
	buffer_store_dword v77, off, s[24:27], 0 offset:80 ; 4-byte Folded Spill
	s_nop 0
	buffer_store_dword v78, off, s[24:27], 0 offset:84 ; 4-byte Folded Spill
	buffer_store_dword v79, off, s[24:27], 0 offset:88 ; 4-byte Folded Spill
	buffer_store_dword v80, off, s[24:27], 0 offset:92 ; 4-byte Folded Spill
	ds_read2_b64 v[91:94], v0 offset0:60 offset1:61
	buffer_load_dword v77, off, s[24:27], 0 offset:64 ; 4-byte Folded Reload
	buffer_load_dword v78, off, s[24:27], 0 offset:68 ; 4-byte Folded Reload
	buffer_load_dword v79, off, s[24:27], 0 offset:72 ; 4-byte Folded Reload
	buffer_load_dword v80, off, s[24:27], 0 offset:76 ; 4-byte Folded Reload
	s_waitcnt lgkmcnt(0)
	v_mul_f64 v[87:88], v[93:94], v[95:96]
	v_fma_f64 v[87:88], v[91:92], v[85:86], -v[87:88]
	v_mul_f64 v[91:92], v[91:92], v[95:96]
	v_fma_f64 v[91:92], v[93:94], v[85:86], v[91:92]
	s_waitcnt vmcnt(2)
	v_add_f64 v[77:78], v[77:78], -v[87:88]
	s_waitcnt vmcnt(0)
	v_add_f64 v[79:80], v[79:80], -v[91:92]
	buffer_store_dword v77, off, s[24:27], 0 offset:64 ; 4-byte Folded Spill
	s_nop 0
	buffer_store_dword v78, off, s[24:27], 0 offset:68 ; 4-byte Folded Spill
	buffer_store_dword v79, off, s[24:27], 0 offset:72 ; 4-byte Folded Spill
	buffer_store_dword v80, off, s[24:27], 0 offset:76 ; 4-byte Folded Spill
	;; [unrolled: 19-line block ×5, first 2 shown]
	ds_read2_b64 v[91:94], v0 offset0:68 offset1:69
	s_waitcnt lgkmcnt(0)
	v_mul_f64 v[87:88], v[93:94], v[95:96]
	v_fma_f64 v[87:88], v[91:92], v[85:86], -v[87:88]
	v_mul_f64 v[91:92], v[91:92], v[95:96]
	v_add_f64 v[81:82], v[81:82], -v[87:88]
	v_fma_f64 v[91:92], v[93:94], v[85:86], v[91:92]
	v_add_f64 v[83:84], v[83:84], -v[91:92]
	ds_read2_b64 v[91:94], v0 offset0:70 offset1:71
	s_waitcnt lgkmcnt(0)
	v_mul_f64 v[87:88], v[93:94], v[95:96]
	v_fma_f64 v[87:88], v[91:92], v[85:86], -v[87:88]
	v_mul_f64 v[91:92], v[91:92], v[95:96]
	v_add_f64 v[113:114], v[113:114], -v[87:88]
	v_fma_f64 v[91:92], v[93:94], v[85:86], v[91:92]
	v_add_f64 v[115:116], v[115:116], -v[91:92]
	ds_read2_b64 v[91:94], v0 offset0:72 offset1:73
	s_waitcnt lgkmcnt(0)
	v_mul_f64 v[87:88], v[93:94], v[95:96]
	v_fma_f64 v[87:88], v[91:92], v[85:86], -v[87:88]
	v_mul_f64 v[91:92], v[91:92], v[95:96]
	v_add_f64 v[109:110], v[109:110], -v[87:88]
	v_fma_f64 v[91:92], v[93:94], v[85:86], v[91:92]
	v_add_f64 v[111:112], v[111:112], -v[91:92]
	ds_read2_b64 v[91:94], v0 offset0:74 offset1:75
	s_waitcnt lgkmcnt(0)
	v_mul_f64 v[87:88], v[93:94], v[95:96]
	v_fma_f64 v[87:88], v[91:92], v[85:86], -v[87:88]
	v_mul_f64 v[91:92], v[91:92], v[95:96]
	v_add_f64 v[105:106], v[105:106], -v[87:88]
	v_fma_f64 v[91:92], v[93:94], v[85:86], v[91:92]
	v_add_f64 v[107:108], v[107:108], -v[91:92]
	ds_read2_b64 v[91:94], v0 offset0:76 offset1:77
	buffer_load_dword v77, off, s[24:27], 0 ; 4-byte Folded Reload
	buffer_load_dword v78, off, s[24:27], 0 offset:4 ; 4-byte Folded Reload
	buffer_load_dword v79, off, s[24:27], 0 offset:8 ; 4-byte Folded Reload
	;; [unrolled: 1-line block ×3, first 2 shown]
	s_waitcnt lgkmcnt(0)
	v_mul_f64 v[87:88], v[93:94], v[95:96]
	v_fma_f64 v[87:88], v[91:92], v[85:86], -v[87:88]
	v_mul_f64 v[91:92], v[91:92], v[95:96]
	v_fma_f64 v[91:92], v[93:94], v[85:86], v[91:92]
	s_waitcnt vmcnt(2)
	v_add_f64 v[77:78], v[77:78], -v[87:88]
	s_waitcnt vmcnt(0)
	v_add_f64 v[79:80], v[79:80], -v[91:92]
	buffer_store_dword v77, off, s[24:27], 0 ; 4-byte Folded Spill
	s_nop 0
	buffer_store_dword v78, off, s[24:27], 0 offset:4 ; 4-byte Folded Spill
	buffer_store_dword v79, off, s[24:27], 0 offset:8 ; 4-byte Folded Spill
	;; [unrolled: 1-line block ×3, first 2 shown]
	ds_read2_b64 v[91:94], v0 offset0:78 offset1:79
	s_waitcnt lgkmcnt(0)
	v_mul_f64 v[87:88], v[93:94], v[95:96]
	v_fma_f64 v[87:88], v[91:92], v[85:86], -v[87:88]
	v_mul_f64 v[91:92], v[91:92], v[95:96]
	v_add_f64 v[73:74], v[73:74], -v[87:88]
	v_fma_f64 v[91:92], v[93:94], v[85:86], v[91:92]
	v_add_f64 v[75:76], v[75:76], -v[91:92]
	ds_read2_b64 v[91:94], v0 offset0:80 offset1:81
	s_waitcnt lgkmcnt(0)
	v_mul_f64 v[87:88], v[93:94], v[95:96]
	v_fma_f64 v[87:88], v[91:92], v[85:86], -v[87:88]
	v_mul_f64 v[91:92], v[91:92], v[95:96]
	v_add_f64 v[69:70], v[69:70], -v[87:88]
	v_fma_f64 v[91:92], v[93:94], v[85:86], v[91:92]
	v_add_f64 v[71:72], v[71:72], -v[91:92]
	;; [unrolled: 8-line block ×19, first 2 shown]
	ds_read2_b64 v[91:94], v0 offset0:116 offset1:117
	s_waitcnt lgkmcnt(0)
	v_mul_f64 v[87:88], v[93:94], v[95:96]
	v_fma_f64 v[87:88], v[91:92], v[85:86], -v[87:88]
	v_mul_f64 v[91:92], v[91:92], v[95:96]
	v_add_f64 v[121:122], v[121:122], -v[87:88]
	v_fma_f64 v[91:92], v[93:94], v[85:86], v[91:92]
	v_mov_b32_e32 v94, v86
	v_mov_b32_e32 v93, v85
	buffer_store_dword v93, off, s[24:27], 0 offset:96 ; 4-byte Folded Spill
	s_nop 0
	buffer_store_dword v94, off, s[24:27], 0 offset:100 ; 4-byte Folded Spill
	buffer_store_dword v95, off, s[24:27], 0 offset:104 ; 4-byte Folded Spill
	;; [unrolled: 1-line block ×3, first 2 shown]
	v_add_f64 v[123:124], v[123:124], -v[91:92]
.LBB116_608:
	s_or_b64 exec, exec, s[0:1]
	s_waitcnt vmcnt(0)
	s_barrier
	buffer_load_dword v77, off, s[24:27], 0 offset:80 ; 4-byte Folded Reload
	buffer_load_dword v78, off, s[24:27], 0 offset:84 ; 4-byte Folded Reload
	;; [unrolled: 1-line block ×4, first 2 shown]
	v_lshl_add_u32 v85, v89, 4, v0
	s_cmp_lt_i32 s3, 31
	s_waitcnt vmcnt(0)
	ds_write2_b64 v85, v[77:78], v[79:80] offset1:1
	s_waitcnt lgkmcnt(0)
	s_barrier
	ds_read2_b64 v[117:120], v0 offset0:58 offset1:59
	v_mov_b32_e32 v85, 29
	s_cbranch_scc1 .LBB116_611
; %bb.609:
	v_add_u32_e32 v86, 0x1e0, v0
	s_mov_b32 s0, 30
	v_mov_b32_e32 v85, 29
.LBB116_610:                            ; =>This Inner Loop Header: Depth=1
	s_waitcnt lgkmcnt(0)
	v_cmp_gt_f64_e32 vcc, 0, v[117:118]
	v_xor_b32_e32 v87, 0x80000000, v118
	ds_read2_b64 v[91:94], v86 offset1:1
	v_xor_b32_e32 v95, 0x80000000, v120
	v_add_u32_e32 v86, 16, v86
	s_waitcnt lgkmcnt(0)
	v_xor_b32_e32 v97, 0x80000000, v94
	v_cndmask_b32_e32 v88, v118, v87, vcc
	v_cmp_gt_f64_e32 vcc, 0, v[119:120]
	v_mov_b32_e32 v87, v117
	v_cndmask_b32_e32 v96, v120, v95, vcc
	v_cmp_gt_f64_e32 vcc, 0, v[91:92]
	v_mov_b32_e32 v95, v119
	v_add_f64 v[87:88], v[87:88], v[95:96]
	v_xor_b32_e32 v95, 0x80000000, v92
	v_cndmask_b32_e32 v96, v92, v95, vcc
	v_cmp_gt_f64_e32 vcc, 0, v[93:94]
	v_mov_b32_e32 v95, v91
	v_cndmask_b32_e32 v98, v94, v97, vcc
	v_mov_b32_e32 v97, v93
	v_add_f64 v[95:96], v[95:96], v[97:98]
	v_cmp_lt_f64_e32 vcc, v[87:88], v[95:96]
	v_mov_b32_e32 v87, s0
	s_add_i32 s0, s0, 1
	s_cmp_lg_u32 s3, s0
	v_cndmask_b32_e32 v118, v118, v92, vcc
	v_cndmask_b32_e32 v117, v117, v91, vcc
	;; [unrolled: 1-line block ×5, first 2 shown]
	s_cbranch_scc1 .LBB116_610
.LBB116_611:
	s_waitcnt lgkmcnt(0)
	v_cmp_eq_f64_e32 vcc, 0, v[117:118]
	v_cmp_eq_f64_e64 s[0:1], 0, v[119:120]
	s_and_b64 s[0:1], vcc, s[0:1]
	s_and_saveexec_b64 s[18:19], s[0:1]
	s_xor_b64 s[0:1], exec, s[18:19]
; %bb.612:
	v_cmp_ne_u32_e32 vcc, 0, v90
	v_cndmask_b32_e32 v90, 30, v90, vcc
; %bb.613:
	s_andn2_saveexec_b64 s[0:1], s[0:1]
	s_cbranch_execz .LBB116_619
; %bb.614:
	v_cmp_ngt_f64_e64 s[18:19], |v[117:118]|, |v[119:120]|
	s_and_saveexec_b64 s[20:21], s[18:19]
	s_xor_b64 s[18:19], exec, s[20:21]
	s_cbranch_execz .LBB116_616
; %bb.615:
	v_div_scale_f64 v[86:87], s[20:21], v[119:120], v[119:120], v[117:118]
	v_rcp_f64_e32 v[91:92], v[86:87]
	v_fma_f64 v[93:94], -v[86:87], v[91:92], 1.0
	v_fma_f64 v[91:92], v[91:92], v[93:94], v[91:92]
	v_div_scale_f64 v[93:94], vcc, v[117:118], v[119:120], v[117:118]
	v_fma_f64 v[95:96], -v[86:87], v[91:92], 1.0
	v_fma_f64 v[91:92], v[91:92], v[95:96], v[91:92]
	v_mul_f64 v[95:96], v[93:94], v[91:92]
	v_fma_f64 v[86:87], -v[86:87], v[95:96], v[93:94]
	v_div_fmas_f64 v[86:87], v[86:87], v[91:92], v[95:96]
	v_div_fixup_f64 v[86:87], v[86:87], v[119:120], v[117:118]
	v_fma_f64 v[91:92], v[117:118], v[86:87], v[119:120]
	v_div_scale_f64 v[93:94], s[20:21], v[91:92], v[91:92], 1.0
	v_div_scale_f64 v[99:100], vcc, 1.0, v[91:92], 1.0
	v_rcp_f64_e32 v[95:96], v[93:94]
	v_fma_f64 v[97:98], -v[93:94], v[95:96], 1.0
	v_fma_f64 v[95:96], v[95:96], v[97:98], v[95:96]
	v_fma_f64 v[97:98], -v[93:94], v[95:96], 1.0
	v_fma_f64 v[95:96], v[95:96], v[97:98], v[95:96]
	v_mul_f64 v[97:98], v[99:100], v[95:96]
	v_fma_f64 v[93:94], -v[93:94], v[97:98], v[99:100]
	v_div_fmas_f64 v[93:94], v[93:94], v[95:96], v[97:98]
	v_div_fixup_f64 v[119:120], v[93:94], v[91:92], 1.0
	v_mul_f64 v[117:118], v[86:87], v[119:120]
	v_xor_b32_e32 v120, 0x80000000, v120
.LBB116_616:
	s_andn2_saveexec_b64 s[18:19], s[18:19]
	s_cbranch_execz .LBB116_618
; %bb.617:
	v_div_scale_f64 v[86:87], s[20:21], v[117:118], v[117:118], v[119:120]
	v_rcp_f64_e32 v[91:92], v[86:87]
	v_fma_f64 v[93:94], -v[86:87], v[91:92], 1.0
	v_fma_f64 v[91:92], v[91:92], v[93:94], v[91:92]
	v_div_scale_f64 v[93:94], vcc, v[119:120], v[117:118], v[119:120]
	v_fma_f64 v[95:96], -v[86:87], v[91:92], 1.0
	v_fma_f64 v[91:92], v[91:92], v[95:96], v[91:92]
	v_mul_f64 v[95:96], v[93:94], v[91:92]
	v_fma_f64 v[86:87], -v[86:87], v[95:96], v[93:94]
	v_div_fmas_f64 v[86:87], v[86:87], v[91:92], v[95:96]
	v_div_fixup_f64 v[86:87], v[86:87], v[117:118], v[119:120]
	v_fma_f64 v[91:92], v[119:120], v[86:87], v[117:118]
	v_div_scale_f64 v[93:94], s[20:21], v[91:92], v[91:92], 1.0
	v_div_scale_f64 v[99:100], vcc, 1.0, v[91:92], 1.0
	v_rcp_f64_e32 v[95:96], v[93:94]
	v_fma_f64 v[97:98], -v[93:94], v[95:96], 1.0
	v_fma_f64 v[95:96], v[95:96], v[97:98], v[95:96]
	v_fma_f64 v[97:98], -v[93:94], v[95:96], 1.0
	v_fma_f64 v[95:96], v[95:96], v[97:98], v[95:96]
	v_mul_f64 v[97:98], v[99:100], v[95:96]
	v_fma_f64 v[93:94], -v[93:94], v[97:98], v[99:100]
	v_div_fmas_f64 v[93:94], v[93:94], v[95:96], v[97:98]
	v_div_fixup_f64 v[117:118], v[93:94], v[91:92], 1.0
	v_mul_f64 v[119:120], v[86:87], -v[117:118]
.LBB116_618:
	s_or_b64 exec, exec, s[18:19]
.LBB116_619:
	s_or_b64 exec, exec, s[0:1]
	v_cmp_ne_u32_e32 vcc, v89, v85
	s_and_saveexec_b64 s[0:1], vcc
	s_xor_b64 s[0:1], exec, s[0:1]
	s_cbranch_execz .LBB116_625
; %bb.620:
	v_cmp_eq_u32_e32 vcc, 29, v89
	s_and_saveexec_b64 s[18:19], vcc
	s_cbranch_execz .LBB116_624
; %bb.621:
	v_cmp_ne_u32_e32 vcc, 29, v85
	s_xor_b64 s[20:21], s[6:7], -1
	s_and_b64 s[22:23], s[20:21], vcc
	s_and_saveexec_b64 s[20:21], s[22:23]
	s_cbranch_execz .LBB116_623
; %bb.622:
	v_mov_b32_e32 v77, v81
	v_mov_b32_e32 v78, v82
	;; [unrolled: 1-line block ×4, first 2 shown]
	buffer_load_dword v81, off, s[24:27], 0 offset:500 ; 4-byte Folded Reload
	buffer_load_dword v82, off, s[24:27], 0 offset:504 ; 4-byte Folded Reload
	v_ashrrev_i32_e32 v86, 31, v85
	v_lshlrev_b64 v[86:87], 2, v[85:86]
	s_waitcnt vmcnt(1)
	v_add_co_u32_e32 v86, vcc, v81, v86
	s_waitcnt vmcnt(0)
	v_addc_co_u32_e32 v87, vcc, v82, v87, vcc
	global_load_dword v88, v[86:87], off
	global_load_dword v89, v[81:82], off offset:116
	s_waitcnt vmcnt(1)
	global_store_dword v[81:82], v88, off offset:116
	v_mov_b32_e32 v84, v80
	v_mov_b32_e32 v83, v79
	;; [unrolled: 1-line block ×4, first 2 shown]
	s_waitcnt vmcnt(1)
	global_store_dword v[86:87], v89, off
.LBB116_623:
	s_or_b64 exec, exec, s[20:21]
	v_mov_b32_e32 v89, v85
	v_mov_b32_e32 v77, v85
	buffer_store_dword v77, off, s[24:27], 0 offset:432 ; 4-byte Folded Spill
.LBB116_624:
	s_or_b64 exec, exec, s[18:19]
.LBB116_625:
	s_andn2_saveexec_b64 s[0:1], s[0:1]
	s_cbranch_execz .LBB116_627
; %bb.626:
	buffer_load_dword v77, off, s[24:27], 0 offset:64 ; 4-byte Folded Reload
	buffer_load_dword v78, off, s[24:27], 0 offset:68 ; 4-byte Folded Reload
	;; [unrolled: 1-line block ×4, first 2 shown]
	v_mov_b32_e32 v89, 29
	s_waitcnt vmcnt(0)
	ds_write2_b64 v0, v[77:78], v[79:80] offset0:60 offset1:61
	buffer_load_dword v77, off, s[24:27], 0 offset:48 ; 4-byte Folded Reload
	buffer_load_dword v78, off, s[24:27], 0 offset:52 ; 4-byte Folded Reload
	buffer_load_dword v79, off, s[24:27], 0 offset:56 ; 4-byte Folded Reload
	buffer_load_dword v80, off, s[24:27], 0 offset:60 ; 4-byte Folded Reload
	s_waitcnt vmcnt(0)
	ds_write2_b64 v0, v[77:78], v[79:80] offset0:62 offset1:63
	buffer_load_dword v77, off, s[24:27], 0 offset:32 ; 4-byte Folded Reload
	buffer_load_dword v78, off, s[24:27], 0 offset:36 ; 4-byte Folded Reload
	buffer_load_dword v79, off, s[24:27], 0 offset:40 ; 4-byte Folded Reload
	buffer_load_dword v80, off, s[24:27], 0 offset:44 ; 4-byte Folded Reload
	;; [unrolled: 6-line block ×3, first 2 shown]
	s_waitcnt vmcnt(0)
	ds_write2_b64 v0, v[77:78], v[79:80] offset0:66 offset1:67
	ds_write2_b64 v0, v[81:82], v[83:84] offset0:68 offset1:69
	ds_write2_b64 v0, v[113:114], v[115:116] offset0:70 offset1:71
	ds_write2_b64 v0, v[109:110], v[111:112] offset0:72 offset1:73
	ds_write2_b64 v0, v[105:106], v[107:108] offset0:74 offset1:75
	buffer_load_dword v77, off, s[24:27], 0 ; 4-byte Folded Reload
	buffer_load_dword v78, off, s[24:27], 0 offset:4 ; 4-byte Folded Reload
	buffer_load_dword v79, off, s[24:27], 0 offset:8 ; 4-byte Folded Reload
	;; [unrolled: 1-line block ×3, first 2 shown]
	s_waitcnt vmcnt(0)
	ds_write2_b64 v0, v[77:78], v[79:80] offset0:76 offset1:77
	ds_write2_b64 v0, v[73:74], v[75:76] offset0:78 offset1:79
	;; [unrolled: 1-line block ×21, first 2 shown]
.LBB116_627:
	s_or_b64 exec, exec, s[0:1]
	v_cmp_lt_i32_e32 vcc, 29, v89
	s_waitcnt vmcnt(0) lgkmcnt(0)
	s_barrier
	s_and_saveexec_b64 s[0:1], vcc
	s_cbranch_execz .LBB116_629
; %bb.628:
	buffer_load_dword v93, off, s[24:27], 0 offset:80 ; 4-byte Folded Reload
	buffer_load_dword v94, off, s[24:27], 0 offset:84 ; 4-byte Folded Reload
	;; [unrolled: 1-line block ×4, first 2 shown]
	s_waitcnt vmcnt(0)
	v_mul_f64 v[85:86], v[119:120], v[95:96]
	v_mul_f64 v[87:88], v[117:118], v[95:96]
	v_fma_f64 v[85:86], v[117:118], v[93:94], -v[85:86]
	v_fma_f64 v[95:96], v[119:120], v[93:94], v[87:88]
	ds_read2_b64 v[91:94], v0 offset0:60 offset1:61
	buffer_load_dword v77, off, s[24:27], 0 offset:64 ; 4-byte Folded Reload
	buffer_load_dword v78, off, s[24:27], 0 offset:68 ; 4-byte Folded Reload
	buffer_load_dword v79, off, s[24:27], 0 offset:72 ; 4-byte Folded Reload
	buffer_load_dword v80, off, s[24:27], 0 offset:76 ; 4-byte Folded Reload
	s_waitcnt lgkmcnt(0)
	v_mul_f64 v[87:88], v[93:94], v[95:96]
	v_fma_f64 v[87:88], v[91:92], v[85:86], -v[87:88]
	v_mul_f64 v[91:92], v[91:92], v[95:96]
	v_fma_f64 v[91:92], v[93:94], v[85:86], v[91:92]
	s_waitcnt vmcnt(2)
	v_add_f64 v[77:78], v[77:78], -v[87:88]
	s_waitcnt vmcnt(0)
	v_add_f64 v[79:80], v[79:80], -v[91:92]
	buffer_store_dword v77, off, s[24:27], 0 offset:64 ; 4-byte Folded Spill
	s_nop 0
	buffer_store_dword v78, off, s[24:27], 0 offset:68 ; 4-byte Folded Spill
	buffer_store_dword v79, off, s[24:27], 0 offset:72 ; 4-byte Folded Spill
	buffer_store_dword v80, off, s[24:27], 0 offset:76 ; 4-byte Folded Spill
	ds_read2_b64 v[91:94], v0 offset0:62 offset1:63
	buffer_load_dword v77, off, s[24:27], 0 offset:48 ; 4-byte Folded Reload
	buffer_load_dword v78, off, s[24:27], 0 offset:52 ; 4-byte Folded Reload
	buffer_load_dword v79, off, s[24:27], 0 offset:56 ; 4-byte Folded Reload
	buffer_load_dword v80, off, s[24:27], 0 offset:60 ; 4-byte Folded Reload
	s_waitcnt lgkmcnt(0)
	v_mul_f64 v[87:88], v[93:94], v[95:96]
	v_fma_f64 v[87:88], v[91:92], v[85:86], -v[87:88]
	v_mul_f64 v[91:92], v[91:92], v[95:96]
	v_fma_f64 v[91:92], v[93:94], v[85:86], v[91:92]
	s_waitcnt vmcnt(2)
	v_add_f64 v[77:78], v[77:78], -v[87:88]
	s_waitcnt vmcnt(0)
	v_add_f64 v[79:80], v[79:80], -v[91:92]
	buffer_store_dword v77, off, s[24:27], 0 offset:48 ; 4-byte Folded Spill
	s_nop 0
	buffer_store_dword v78, off, s[24:27], 0 offset:52 ; 4-byte Folded Spill
	buffer_store_dword v79, off, s[24:27], 0 offset:56 ; 4-byte Folded Spill
	buffer_store_dword v80, off, s[24:27], 0 offset:60 ; 4-byte Folded Spill
	;; [unrolled: 19-line block ×4, first 2 shown]
	ds_read2_b64 v[91:94], v0 offset0:68 offset1:69
	s_waitcnt lgkmcnt(0)
	v_mul_f64 v[87:88], v[93:94], v[95:96]
	v_fma_f64 v[87:88], v[91:92], v[85:86], -v[87:88]
	v_mul_f64 v[91:92], v[91:92], v[95:96]
	v_add_f64 v[81:82], v[81:82], -v[87:88]
	v_fma_f64 v[91:92], v[93:94], v[85:86], v[91:92]
	v_add_f64 v[83:84], v[83:84], -v[91:92]
	ds_read2_b64 v[91:94], v0 offset0:70 offset1:71
	s_waitcnt lgkmcnt(0)
	v_mul_f64 v[87:88], v[93:94], v[95:96]
	v_fma_f64 v[87:88], v[91:92], v[85:86], -v[87:88]
	v_mul_f64 v[91:92], v[91:92], v[95:96]
	v_add_f64 v[113:114], v[113:114], -v[87:88]
	v_fma_f64 v[91:92], v[93:94], v[85:86], v[91:92]
	v_add_f64 v[115:116], v[115:116], -v[91:92]
	;; [unrolled: 8-line block ×4, first 2 shown]
	ds_read2_b64 v[91:94], v0 offset0:76 offset1:77
	buffer_load_dword v77, off, s[24:27], 0 ; 4-byte Folded Reload
	buffer_load_dword v78, off, s[24:27], 0 offset:4 ; 4-byte Folded Reload
	buffer_load_dword v79, off, s[24:27], 0 offset:8 ; 4-byte Folded Reload
	;; [unrolled: 1-line block ×3, first 2 shown]
	s_waitcnt lgkmcnt(0)
	v_mul_f64 v[87:88], v[93:94], v[95:96]
	v_fma_f64 v[87:88], v[91:92], v[85:86], -v[87:88]
	v_mul_f64 v[91:92], v[91:92], v[95:96]
	v_fma_f64 v[91:92], v[93:94], v[85:86], v[91:92]
	s_waitcnt vmcnt(2)
	v_add_f64 v[77:78], v[77:78], -v[87:88]
	s_waitcnt vmcnt(0)
	v_add_f64 v[79:80], v[79:80], -v[91:92]
	buffer_store_dword v77, off, s[24:27], 0 ; 4-byte Folded Spill
	s_nop 0
	buffer_store_dword v78, off, s[24:27], 0 offset:4 ; 4-byte Folded Spill
	buffer_store_dword v79, off, s[24:27], 0 offset:8 ; 4-byte Folded Spill
	;; [unrolled: 1-line block ×3, first 2 shown]
	ds_read2_b64 v[91:94], v0 offset0:78 offset1:79
	s_waitcnt lgkmcnt(0)
	v_mul_f64 v[87:88], v[93:94], v[95:96]
	v_fma_f64 v[87:88], v[91:92], v[85:86], -v[87:88]
	v_mul_f64 v[91:92], v[91:92], v[95:96]
	v_add_f64 v[73:74], v[73:74], -v[87:88]
	v_fma_f64 v[91:92], v[93:94], v[85:86], v[91:92]
	v_add_f64 v[75:76], v[75:76], -v[91:92]
	ds_read2_b64 v[91:94], v0 offset0:80 offset1:81
	s_waitcnt lgkmcnt(0)
	v_mul_f64 v[87:88], v[93:94], v[95:96]
	v_fma_f64 v[87:88], v[91:92], v[85:86], -v[87:88]
	v_mul_f64 v[91:92], v[91:92], v[95:96]
	v_add_f64 v[69:70], v[69:70], -v[87:88]
	v_fma_f64 v[91:92], v[93:94], v[85:86], v[91:92]
	v_add_f64 v[71:72], v[71:72], -v[91:92]
	;; [unrolled: 8-line block ×19, first 2 shown]
	ds_read2_b64 v[91:94], v0 offset0:116 offset1:117
	s_waitcnt lgkmcnt(0)
	v_mul_f64 v[87:88], v[93:94], v[95:96]
	v_fma_f64 v[87:88], v[91:92], v[85:86], -v[87:88]
	v_mul_f64 v[91:92], v[91:92], v[95:96]
	v_add_f64 v[121:122], v[121:122], -v[87:88]
	v_fma_f64 v[91:92], v[93:94], v[85:86], v[91:92]
	v_mov_b32_e32 v94, v86
	v_mov_b32_e32 v93, v85
	buffer_store_dword v93, off, s[24:27], 0 offset:80 ; 4-byte Folded Spill
	s_nop 0
	buffer_store_dword v94, off, s[24:27], 0 offset:84 ; 4-byte Folded Spill
	buffer_store_dword v95, off, s[24:27], 0 offset:88 ; 4-byte Folded Spill
	;; [unrolled: 1-line block ×3, first 2 shown]
	v_add_f64 v[123:124], v[123:124], -v[91:92]
.LBB116_629:
	s_or_b64 exec, exec, s[0:1]
	s_waitcnt vmcnt(0)
	s_barrier
	buffer_load_dword v77, off, s[24:27], 0 offset:64 ; 4-byte Folded Reload
	buffer_load_dword v78, off, s[24:27], 0 offset:68 ; 4-byte Folded Reload
	;; [unrolled: 1-line block ×4, first 2 shown]
	v_lshl_add_u32 v85, v89, 4, v0
	s_cmp_lt_i32 s3, 32
	s_waitcnt vmcnt(0)
	ds_write2_b64 v85, v[77:78], v[79:80] offset1:1
	s_waitcnt lgkmcnt(0)
	s_barrier
	ds_read2_b64 v[117:120], v0 offset0:60 offset1:61
	v_mov_b32_e32 v85, 30
	s_cbranch_scc1 .LBB116_632
; %bb.630:
	v_add_u32_e32 v86, 0x1f0, v0
	s_mov_b32 s0, 31
	v_mov_b32_e32 v85, 30
.LBB116_631:                            ; =>This Inner Loop Header: Depth=1
	s_waitcnt lgkmcnt(0)
	v_cmp_gt_f64_e32 vcc, 0, v[117:118]
	v_xor_b32_e32 v87, 0x80000000, v118
	ds_read2_b64 v[91:94], v86 offset1:1
	v_xor_b32_e32 v95, 0x80000000, v120
	v_add_u32_e32 v86, 16, v86
	s_waitcnt lgkmcnt(0)
	v_xor_b32_e32 v97, 0x80000000, v94
	v_cndmask_b32_e32 v88, v118, v87, vcc
	v_cmp_gt_f64_e32 vcc, 0, v[119:120]
	v_mov_b32_e32 v87, v117
	v_cndmask_b32_e32 v96, v120, v95, vcc
	v_cmp_gt_f64_e32 vcc, 0, v[91:92]
	v_mov_b32_e32 v95, v119
	v_add_f64 v[87:88], v[87:88], v[95:96]
	v_xor_b32_e32 v95, 0x80000000, v92
	v_cndmask_b32_e32 v96, v92, v95, vcc
	v_cmp_gt_f64_e32 vcc, 0, v[93:94]
	v_mov_b32_e32 v95, v91
	v_cndmask_b32_e32 v98, v94, v97, vcc
	v_mov_b32_e32 v97, v93
	v_add_f64 v[95:96], v[95:96], v[97:98]
	v_cmp_lt_f64_e32 vcc, v[87:88], v[95:96]
	v_mov_b32_e32 v87, s0
	s_add_i32 s0, s0, 1
	s_cmp_lg_u32 s3, s0
	v_cndmask_b32_e32 v118, v118, v92, vcc
	v_cndmask_b32_e32 v117, v117, v91, vcc
	;; [unrolled: 1-line block ×5, first 2 shown]
	s_cbranch_scc1 .LBB116_631
.LBB116_632:
	s_waitcnt lgkmcnt(0)
	v_cmp_eq_f64_e32 vcc, 0, v[117:118]
	v_cmp_eq_f64_e64 s[0:1], 0, v[119:120]
	s_and_b64 s[0:1], vcc, s[0:1]
	s_and_saveexec_b64 s[18:19], s[0:1]
	s_xor_b64 s[0:1], exec, s[18:19]
; %bb.633:
	v_cmp_ne_u32_e32 vcc, 0, v90
	v_cndmask_b32_e32 v90, 31, v90, vcc
; %bb.634:
	s_andn2_saveexec_b64 s[0:1], s[0:1]
	s_cbranch_execz .LBB116_640
; %bb.635:
	v_cmp_ngt_f64_e64 s[18:19], |v[117:118]|, |v[119:120]|
	s_and_saveexec_b64 s[20:21], s[18:19]
	s_xor_b64 s[18:19], exec, s[20:21]
	s_cbranch_execz .LBB116_637
; %bb.636:
	v_div_scale_f64 v[86:87], s[20:21], v[119:120], v[119:120], v[117:118]
	v_rcp_f64_e32 v[91:92], v[86:87]
	v_fma_f64 v[93:94], -v[86:87], v[91:92], 1.0
	v_fma_f64 v[91:92], v[91:92], v[93:94], v[91:92]
	v_div_scale_f64 v[93:94], vcc, v[117:118], v[119:120], v[117:118]
	v_fma_f64 v[95:96], -v[86:87], v[91:92], 1.0
	v_fma_f64 v[91:92], v[91:92], v[95:96], v[91:92]
	v_mul_f64 v[95:96], v[93:94], v[91:92]
	v_fma_f64 v[86:87], -v[86:87], v[95:96], v[93:94]
	v_div_fmas_f64 v[86:87], v[86:87], v[91:92], v[95:96]
	v_div_fixup_f64 v[86:87], v[86:87], v[119:120], v[117:118]
	v_fma_f64 v[91:92], v[117:118], v[86:87], v[119:120]
	v_div_scale_f64 v[93:94], s[20:21], v[91:92], v[91:92], 1.0
	v_div_scale_f64 v[99:100], vcc, 1.0, v[91:92], 1.0
	v_rcp_f64_e32 v[95:96], v[93:94]
	v_fma_f64 v[97:98], -v[93:94], v[95:96], 1.0
	v_fma_f64 v[95:96], v[95:96], v[97:98], v[95:96]
	v_fma_f64 v[97:98], -v[93:94], v[95:96], 1.0
	v_fma_f64 v[95:96], v[95:96], v[97:98], v[95:96]
	v_mul_f64 v[97:98], v[99:100], v[95:96]
	v_fma_f64 v[93:94], -v[93:94], v[97:98], v[99:100]
	v_div_fmas_f64 v[93:94], v[93:94], v[95:96], v[97:98]
	v_div_fixup_f64 v[119:120], v[93:94], v[91:92], 1.0
	v_mul_f64 v[117:118], v[86:87], v[119:120]
	v_xor_b32_e32 v120, 0x80000000, v120
.LBB116_637:
	s_andn2_saveexec_b64 s[18:19], s[18:19]
	s_cbranch_execz .LBB116_639
; %bb.638:
	v_div_scale_f64 v[86:87], s[20:21], v[117:118], v[117:118], v[119:120]
	v_rcp_f64_e32 v[91:92], v[86:87]
	v_fma_f64 v[93:94], -v[86:87], v[91:92], 1.0
	v_fma_f64 v[91:92], v[91:92], v[93:94], v[91:92]
	v_div_scale_f64 v[93:94], vcc, v[119:120], v[117:118], v[119:120]
	v_fma_f64 v[95:96], -v[86:87], v[91:92], 1.0
	v_fma_f64 v[91:92], v[91:92], v[95:96], v[91:92]
	v_mul_f64 v[95:96], v[93:94], v[91:92]
	v_fma_f64 v[86:87], -v[86:87], v[95:96], v[93:94]
	v_div_fmas_f64 v[86:87], v[86:87], v[91:92], v[95:96]
	v_div_fixup_f64 v[86:87], v[86:87], v[117:118], v[119:120]
	v_fma_f64 v[91:92], v[119:120], v[86:87], v[117:118]
	v_div_scale_f64 v[93:94], s[20:21], v[91:92], v[91:92], 1.0
	v_div_scale_f64 v[99:100], vcc, 1.0, v[91:92], 1.0
	v_rcp_f64_e32 v[95:96], v[93:94]
	v_fma_f64 v[97:98], -v[93:94], v[95:96], 1.0
	v_fma_f64 v[95:96], v[95:96], v[97:98], v[95:96]
	v_fma_f64 v[97:98], -v[93:94], v[95:96], 1.0
	v_fma_f64 v[95:96], v[95:96], v[97:98], v[95:96]
	v_mul_f64 v[97:98], v[99:100], v[95:96]
	v_fma_f64 v[93:94], -v[93:94], v[97:98], v[99:100]
	v_div_fmas_f64 v[93:94], v[93:94], v[95:96], v[97:98]
	v_div_fixup_f64 v[117:118], v[93:94], v[91:92], 1.0
	v_mul_f64 v[119:120], v[86:87], -v[117:118]
.LBB116_639:
	s_or_b64 exec, exec, s[18:19]
.LBB116_640:
	s_or_b64 exec, exec, s[0:1]
	v_cmp_ne_u32_e32 vcc, v89, v85
	s_and_saveexec_b64 s[0:1], vcc
	s_xor_b64 s[0:1], exec, s[0:1]
	s_cbranch_execz .LBB116_646
; %bb.641:
	v_cmp_eq_u32_e32 vcc, 30, v89
	s_and_saveexec_b64 s[18:19], vcc
	s_cbranch_execz .LBB116_645
; %bb.642:
	v_cmp_ne_u32_e32 vcc, 30, v85
	s_xor_b64 s[20:21], s[6:7], -1
	s_and_b64 s[22:23], s[20:21], vcc
	s_and_saveexec_b64 s[20:21], s[22:23]
	s_cbranch_execz .LBB116_644
; %bb.643:
	v_mov_b32_e32 v77, v81
	v_mov_b32_e32 v78, v82
	;; [unrolled: 1-line block ×4, first 2 shown]
	buffer_load_dword v81, off, s[24:27], 0 offset:500 ; 4-byte Folded Reload
	buffer_load_dword v82, off, s[24:27], 0 offset:504 ; 4-byte Folded Reload
	v_ashrrev_i32_e32 v86, 31, v85
	v_lshlrev_b64 v[86:87], 2, v[85:86]
	s_waitcnt vmcnt(1)
	v_add_co_u32_e32 v86, vcc, v81, v86
	s_waitcnt vmcnt(0)
	v_addc_co_u32_e32 v87, vcc, v82, v87, vcc
	global_load_dword v88, v[86:87], off
	global_load_dword v89, v[81:82], off offset:120
	s_waitcnt vmcnt(1)
	global_store_dword v[81:82], v88, off offset:120
	v_mov_b32_e32 v84, v80
	v_mov_b32_e32 v83, v79
	;; [unrolled: 1-line block ×4, first 2 shown]
	s_waitcnt vmcnt(1)
	global_store_dword v[86:87], v89, off
.LBB116_644:
	s_or_b64 exec, exec, s[20:21]
	v_mov_b32_e32 v89, v85
	v_mov_b32_e32 v77, v85
	buffer_store_dword v77, off, s[24:27], 0 offset:432 ; 4-byte Folded Spill
.LBB116_645:
	s_or_b64 exec, exec, s[18:19]
.LBB116_646:
	s_andn2_saveexec_b64 s[0:1], s[0:1]
	s_cbranch_execz .LBB116_648
; %bb.647:
	buffer_load_dword v77, off, s[24:27], 0 offset:48 ; 4-byte Folded Reload
	buffer_load_dword v78, off, s[24:27], 0 offset:52 ; 4-byte Folded Reload
	;; [unrolled: 1-line block ×4, first 2 shown]
	v_mov_b32_e32 v89, 30
	s_waitcnt vmcnt(0)
	ds_write2_b64 v0, v[77:78], v[79:80] offset0:62 offset1:63
	buffer_load_dword v77, off, s[24:27], 0 offset:32 ; 4-byte Folded Reload
	buffer_load_dword v78, off, s[24:27], 0 offset:36 ; 4-byte Folded Reload
	;; [unrolled: 1-line block ×4, first 2 shown]
	s_waitcnt vmcnt(0)
	ds_write2_b64 v0, v[77:78], v[79:80] offset0:64 offset1:65
	buffer_load_dword v77, off, s[24:27], 0 offset:16 ; 4-byte Folded Reload
	buffer_load_dword v78, off, s[24:27], 0 offset:20 ; 4-byte Folded Reload
	;; [unrolled: 1-line block ×4, first 2 shown]
	s_waitcnt vmcnt(0)
	ds_write2_b64 v0, v[77:78], v[79:80] offset0:66 offset1:67
	ds_write2_b64 v0, v[81:82], v[83:84] offset0:68 offset1:69
	;; [unrolled: 1-line block ×5, first 2 shown]
	buffer_load_dword v77, off, s[24:27], 0 ; 4-byte Folded Reload
	buffer_load_dword v78, off, s[24:27], 0 offset:4 ; 4-byte Folded Reload
	buffer_load_dword v79, off, s[24:27], 0 offset:8 ; 4-byte Folded Reload
	;; [unrolled: 1-line block ×3, first 2 shown]
	s_waitcnt vmcnt(0)
	ds_write2_b64 v0, v[77:78], v[79:80] offset0:76 offset1:77
	ds_write2_b64 v0, v[73:74], v[75:76] offset0:78 offset1:79
	ds_write2_b64 v0, v[69:70], v[71:72] offset0:80 offset1:81
	ds_write2_b64 v0, v[65:66], v[67:68] offset0:82 offset1:83
	ds_write2_b64 v0, v[61:62], v[63:64] offset0:84 offset1:85
	ds_write2_b64 v0, v[57:58], v[59:60] offset0:86 offset1:87
	ds_write2_b64 v0, v[53:54], v[55:56] offset0:88 offset1:89
	ds_write2_b64 v0, v[49:50], v[51:52] offset0:90 offset1:91
	ds_write2_b64 v0, v[45:46], v[47:48] offset0:92 offset1:93
	ds_write2_b64 v0, v[41:42], v[43:44] offset0:94 offset1:95
	ds_write2_b64 v0, v[37:38], v[39:40] offset0:96 offset1:97
	ds_write2_b64 v0, v[33:34], v[35:36] offset0:98 offset1:99
	ds_write2_b64 v0, v[29:30], v[31:32] offset0:100 offset1:101
	ds_write2_b64 v0, v[25:26], v[27:28] offset0:102 offset1:103
	ds_write2_b64 v0, v[21:22], v[23:24] offset0:104 offset1:105
	ds_write2_b64 v0, v[17:18], v[19:20] offset0:106 offset1:107
	ds_write2_b64 v0, v[13:14], v[15:16] offset0:108 offset1:109
	ds_write2_b64 v0, v[9:10], v[11:12] offset0:110 offset1:111
	ds_write2_b64 v0, v[5:6], v[7:8] offset0:112 offset1:113
	ds_write2_b64 v0, v[1:2], v[3:4] offset0:114 offset1:115
	ds_write2_b64 v0, v[121:122], v[123:124] offset0:116 offset1:117
.LBB116_648:
	s_or_b64 exec, exec, s[0:1]
	v_cmp_lt_i32_e32 vcc, 30, v89
	s_waitcnt vmcnt(0) lgkmcnt(0)
	s_barrier
	s_and_saveexec_b64 s[0:1], vcc
	s_cbranch_execz .LBB116_650
; %bb.649:
	buffer_load_dword v93, off, s[24:27], 0 offset:64 ; 4-byte Folded Reload
	buffer_load_dword v94, off, s[24:27], 0 offset:68 ; 4-byte Folded Reload
	;; [unrolled: 1-line block ×4, first 2 shown]
	s_waitcnt vmcnt(0)
	v_mul_f64 v[85:86], v[119:120], v[95:96]
	v_mul_f64 v[87:88], v[117:118], v[95:96]
	v_fma_f64 v[85:86], v[117:118], v[93:94], -v[85:86]
	v_fma_f64 v[95:96], v[119:120], v[93:94], v[87:88]
	ds_read2_b64 v[91:94], v0 offset0:62 offset1:63
	buffer_load_dword v77, off, s[24:27], 0 offset:48 ; 4-byte Folded Reload
	buffer_load_dword v78, off, s[24:27], 0 offset:52 ; 4-byte Folded Reload
	buffer_load_dword v79, off, s[24:27], 0 offset:56 ; 4-byte Folded Reload
	buffer_load_dword v80, off, s[24:27], 0 offset:60 ; 4-byte Folded Reload
	s_waitcnt lgkmcnt(0)
	v_mul_f64 v[87:88], v[93:94], v[95:96]
	v_fma_f64 v[87:88], v[91:92], v[85:86], -v[87:88]
	v_mul_f64 v[91:92], v[91:92], v[95:96]
	v_fma_f64 v[91:92], v[93:94], v[85:86], v[91:92]
	s_waitcnt vmcnt(2)
	v_add_f64 v[77:78], v[77:78], -v[87:88]
	s_waitcnt vmcnt(0)
	v_add_f64 v[79:80], v[79:80], -v[91:92]
	buffer_store_dword v77, off, s[24:27], 0 offset:48 ; 4-byte Folded Spill
	s_nop 0
	buffer_store_dword v78, off, s[24:27], 0 offset:52 ; 4-byte Folded Spill
	buffer_store_dword v79, off, s[24:27], 0 offset:56 ; 4-byte Folded Spill
	buffer_store_dword v80, off, s[24:27], 0 offset:60 ; 4-byte Folded Spill
	ds_read2_b64 v[91:94], v0 offset0:64 offset1:65
	buffer_load_dword v77, off, s[24:27], 0 offset:32 ; 4-byte Folded Reload
	buffer_load_dword v78, off, s[24:27], 0 offset:36 ; 4-byte Folded Reload
	buffer_load_dword v79, off, s[24:27], 0 offset:40 ; 4-byte Folded Reload
	buffer_load_dword v80, off, s[24:27], 0 offset:44 ; 4-byte Folded Reload
	s_waitcnt lgkmcnt(0)
	v_mul_f64 v[87:88], v[93:94], v[95:96]
	v_fma_f64 v[87:88], v[91:92], v[85:86], -v[87:88]
	v_mul_f64 v[91:92], v[91:92], v[95:96]
	v_fma_f64 v[91:92], v[93:94], v[85:86], v[91:92]
	s_waitcnt vmcnt(2)
	v_add_f64 v[77:78], v[77:78], -v[87:88]
	s_waitcnt vmcnt(0)
	v_add_f64 v[79:80], v[79:80], -v[91:92]
	buffer_store_dword v77, off, s[24:27], 0 offset:32 ; 4-byte Folded Spill
	s_nop 0
	buffer_store_dword v78, off, s[24:27], 0 offset:36 ; 4-byte Folded Spill
	buffer_store_dword v79, off, s[24:27], 0 offset:40 ; 4-byte Folded Spill
	buffer_store_dword v80, off, s[24:27], 0 offset:44 ; 4-byte Folded Spill
	;; [unrolled: 19-line block ×3, first 2 shown]
	ds_read2_b64 v[91:94], v0 offset0:68 offset1:69
	s_waitcnt lgkmcnt(0)
	v_mul_f64 v[87:88], v[93:94], v[95:96]
	v_fma_f64 v[87:88], v[91:92], v[85:86], -v[87:88]
	v_mul_f64 v[91:92], v[91:92], v[95:96]
	v_add_f64 v[81:82], v[81:82], -v[87:88]
	v_fma_f64 v[91:92], v[93:94], v[85:86], v[91:92]
	v_add_f64 v[83:84], v[83:84], -v[91:92]
	ds_read2_b64 v[91:94], v0 offset0:70 offset1:71
	s_waitcnt lgkmcnt(0)
	v_mul_f64 v[87:88], v[93:94], v[95:96]
	v_fma_f64 v[87:88], v[91:92], v[85:86], -v[87:88]
	v_mul_f64 v[91:92], v[91:92], v[95:96]
	v_add_f64 v[113:114], v[113:114], -v[87:88]
	v_fma_f64 v[91:92], v[93:94], v[85:86], v[91:92]
	v_add_f64 v[115:116], v[115:116], -v[91:92]
	ds_read2_b64 v[91:94], v0 offset0:72 offset1:73
	s_waitcnt lgkmcnt(0)
	v_mul_f64 v[87:88], v[93:94], v[95:96]
	v_fma_f64 v[87:88], v[91:92], v[85:86], -v[87:88]
	v_mul_f64 v[91:92], v[91:92], v[95:96]
	v_add_f64 v[109:110], v[109:110], -v[87:88]
	v_fma_f64 v[91:92], v[93:94], v[85:86], v[91:92]
	v_add_f64 v[111:112], v[111:112], -v[91:92]
	ds_read2_b64 v[91:94], v0 offset0:74 offset1:75
	s_waitcnt lgkmcnt(0)
	v_mul_f64 v[87:88], v[93:94], v[95:96]
	v_fma_f64 v[87:88], v[91:92], v[85:86], -v[87:88]
	v_mul_f64 v[91:92], v[91:92], v[95:96]
	v_add_f64 v[105:106], v[105:106], -v[87:88]
	v_fma_f64 v[91:92], v[93:94], v[85:86], v[91:92]
	v_add_f64 v[107:108], v[107:108], -v[91:92]
	ds_read2_b64 v[91:94], v0 offset0:76 offset1:77
	buffer_load_dword v77, off, s[24:27], 0 ; 4-byte Folded Reload
	buffer_load_dword v78, off, s[24:27], 0 offset:4 ; 4-byte Folded Reload
	buffer_load_dword v79, off, s[24:27], 0 offset:8 ; 4-byte Folded Reload
	;; [unrolled: 1-line block ×3, first 2 shown]
	s_waitcnt lgkmcnt(0)
	v_mul_f64 v[87:88], v[93:94], v[95:96]
	v_fma_f64 v[87:88], v[91:92], v[85:86], -v[87:88]
	v_mul_f64 v[91:92], v[91:92], v[95:96]
	v_fma_f64 v[91:92], v[93:94], v[85:86], v[91:92]
	s_waitcnt vmcnt(2)
	v_add_f64 v[77:78], v[77:78], -v[87:88]
	s_waitcnt vmcnt(0)
	v_add_f64 v[79:80], v[79:80], -v[91:92]
	buffer_store_dword v77, off, s[24:27], 0 ; 4-byte Folded Spill
	s_nop 0
	buffer_store_dword v78, off, s[24:27], 0 offset:4 ; 4-byte Folded Spill
	buffer_store_dword v79, off, s[24:27], 0 offset:8 ; 4-byte Folded Spill
	buffer_store_dword v80, off, s[24:27], 0 offset:12 ; 4-byte Folded Spill
	ds_read2_b64 v[91:94], v0 offset0:78 offset1:79
	s_waitcnt lgkmcnt(0)
	v_mul_f64 v[87:88], v[93:94], v[95:96]
	v_fma_f64 v[87:88], v[91:92], v[85:86], -v[87:88]
	v_mul_f64 v[91:92], v[91:92], v[95:96]
	v_add_f64 v[73:74], v[73:74], -v[87:88]
	v_fma_f64 v[91:92], v[93:94], v[85:86], v[91:92]
	v_add_f64 v[75:76], v[75:76], -v[91:92]
	ds_read2_b64 v[91:94], v0 offset0:80 offset1:81
	s_waitcnt lgkmcnt(0)
	v_mul_f64 v[87:88], v[93:94], v[95:96]
	v_fma_f64 v[87:88], v[91:92], v[85:86], -v[87:88]
	v_mul_f64 v[91:92], v[91:92], v[95:96]
	v_add_f64 v[69:70], v[69:70], -v[87:88]
	v_fma_f64 v[91:92], v[93:94], v[85:86], v[91:92]
	v_add_f64 v[71:72], v[71:72], -v[91:92]
	;; [unrolled: 8-line block ×19, first 2 shown]
	ds_read2_b64 v[91:94], v0 offset0:116 offset1:117
	s_waitcnt lgkmcnt(0)
	v_mul_f64 v[87:88], v[93:94], v[95:96]
	v_fma_f64 v[87:88], v[91:92], v[85:86], -v[87:88]
	v_mul_f64 v[91:92], v[91:92], v[95:96]
	v_add_f64 v[121:122], v[121:122], -v[87:88]
	v_fma_f64 v[91:92], v[93:94], v[85:86], v[91:92]
	v_mov_b32_e32 v94, v86
	v_mov_b32_e32 v93, v85
	buffer_store_dword v93, off, s[24:27], 0 offset:64 ; 4-byte Folded Spill
	s_nop 0
	buffer_store_dword v94, off, s[24:27], 0 offset:68 ; 4-byte Folded Spill
	buffer_store_dword v95, off, s[24:27], 0 offset:72 ; 4-byte Folded Spill
	;; [unrolled: 1-line block ×3, first 2 shown]
	v_add_f64 v[123:124], v[123:124], -v[91:92]
.LBB116_650:
	s_or_b64 exec, exec, s[0:1]
	s_waitcnt vmcnt(0)
	s_barrier
	buffer_load_dword v77, off, s[24:27], 0 offset:48 ; 4-byte Folded Reload
	buffer_load_dword v78, off, s[24:27], 0 offset:52 ; 4-byte Folded Reload
	;; [unrolled: 1-line block ×4, first 2 shown]
	v_lshl_add_u32 v85, v89, 4, v0
	s_cmp_lt_i32 s3, 33
	s_waitcnt vmcnt(0)
	ds_write2_b64 v85, v[77:78], v[79:80] offset1:1
	s_waitcnt lgkmcnt(0)
	s_barrier
	ds_read2_b64 v[117:120], v0 offset0:62 offset1:63
	v_mov_b32_e32 v85, 31
	s_cbranch_scc1 .LBB116_653
; %bb.651:
	v_add_u32_e32 v86, 0x200, v0
	s_mov_b32 s0, 32
	v_mov_b32_e32 v85, 31
.LBB116_652:                            ; =>This Inner Loop Header: Depth=1
	s_waitcnt lgkmcnt(0)
	v_cmp_gt_f64_e32 vcc, 0, v[117:118]
	v_xor_b32_e32 v87, 0x80000000, v118
	ds_read2_b64 v[91:94], v86 offset1:1
	v_xor_b32_e32 v95, 0x80000000, v120
	v_add_u32_e32 v86, 16, v86
	s_waitcnt lgkmcnt(0)
	v_xor_b32_e32 v97, 0x80000000, v94
	v_cndmask_b32_e32 v88, v118, v87, vcc
	v_cmp_gt_f64_e32 vcc, 0, v[119:120]
	v_mov_b32_e32 v87, v117
	v_cndmask_b32_e32 v96, v120, v95, vcc
	v_cmp_gt_f64_e32 vcc, 0, v[91:92]
	v_mov_b32_e32 v95, v119
	v_add_f64 v[87:88], v[87:88], v[95:96]
	v_xor_b32_e32 v95, 0x80000000, v92
	v_cndmask_b32_e32 v96, v92, v95, vcc
	v_cmp_gt_f64_e32 vcc, 0, v[93:94]
	v_mov_b32_e32 v95, v91
	v_cndmask_b32_e32 v98, v94, v97, vcc
	v_mov_b32_e32 v97, v93
	v_add_f64 v[95:96], v[95:96], v[97:98]
	v_cmp_lt_f64_e32 vcc, v[87:88], v[95:96]
	v_mov_b32_e32 v87, s0
	s_add_i32 s0, s0, 1
	s_cmp_lg_u32 s3, s0
	v_cndmask_b32_e32 v118, v118, v92, vcc
	v_cndmask_b32_e32 v117, v117, v91, vcc
	;; [unrolled: 1-line block ×5, first 2 shown]
	s_cbranch_scc1 .LBB116_652
.LBB116_653:
	s_waitcnt lgkmcnt(0)
	v_cmp_eq_f64_e32 vcc, 0, v[117:118]
	v_cmp_eq_f64_e64 s[0:1], 0, v[119:120]
	s_and_b64 s[0:1], vcc, s[0:1]
	s_and_saveexec_b64 s[18:19], s[0:1]
	s_xor_b64 s[0:1], exec, s[18:19]
; %bb.654:
	v_cmp_ne_u32_e32 vcc, 0, v90
	v_cndmask_b32_e32 v90, 32, v90, vcc
; %bb.655:
	s_andn2_saveexec_b64 s[0:1], s[0:1]
	s_cbranch_execz .LBB116_661
; %bb.656:
	v_cmp_ngt_f64_e64 s[18:19], |v[117:118]|, |v[119:120]|
	s_and_saveexec_b64 s[20:21], s[18:19]
	s_xor_b64 s[18:19], exec, s[20:21]
	s_cbranch_execz .LBB116_658
; %bb.657:
	v_div_scale_f64 v[86:87], s[20:21], v[119:120], v[119:120], v[117:118]
	v_rcp_f64_e32 v[91:92], v[86:87]
	v_fma_f64 v[93:94], -v[86:87], v[91:92], 1.0
	v_fma_f64 v[91:92], v[91:92], v[93:94], v[91:92]
	v_div_scale_f64 v[93:94], vcc, v[117:118], v[119:120], v[117:118]
	v_fma_f64 v[95:96], -v[86:87], v[91:92], 1.0
	v_fma_f64 v[91:92], v[91:92], v[95:96], v[91:92]
	v_mul_f64 v[95:96], v[93:94], v[91:92]
	v_fma_f64 v[86:87], -v[86:87], v[95:96], v[93:94]
	v_div_fmas_f64 v[86:87], v[86:87], v[91:92], v[95:96]
	v_div_fixup_f64 v[86:87], v[86:87], v[119:120], v[117:118]
	v_fma_f64 v[91:92], v[117:118], v[86:87], v[119:120]
	v_div_scale_f64 v[93:94], s[20:21], v[91:92], v[91:92], 1.0
	v_div_scale_f64 v[99:100], vcc, 1.0, v[91:92], 1.0
	v_rcp_f64_e32 v[95:96], v[93:94]
	v_fma_f64 v[97:98], -v[93:94], v[95:96], 1.0
	v_fma_f64 v[95:96], v[95:96], v[97:98], v[95:96]
	v_fma_f64 v[97:98], -v[93:94], v[95:96], 1.0
	v_fma_f64 v[95:96], v[95:96], v[97:98], v[95:96]
	v_mul_f64 v[97:98], v[99:100], v[95:96]
	v_fma_f64 v[93:94], -v[93:94], v[97:98], v[99:100]
	v_div_fmas_f64 v[93:94], v[93:94], v[95:96], v[97:98]
	v_div_fixup_f64 v[119:120], v[93:94], v[91:92], 1.0
	v_mul_f64 v[117:118], v[86:87], v[119:120]
	v_xor_b32_e32 v120, 0x80000000, v120
.LBB116_658:
	s_andn2_saveexec_b64 s[18:19], s[18:19]
	s_cbranch_execz .LBB116_660
; %bb.659:
	v_div_scale_f64 v[86:87], s[20:21], v[117:118], v[117:118], v[119:120]
	v_rcp_f64_e32 v[91:92], v[86:87]
	v_fma_f64 v[93:94], -v[86:87], v[91:92], 1.0
	v_fma_f64 v[91:92], v[91:92], v[93:94], v[91:92]
	v_div_scale_f64 v[93:94], vcc, v[119:120], v[117:118], v[119:120]
	v_fma_f64 v[95:96], -v[86:87], v[91:92], 1.0
	v_fma_f64 v[91:92], v[91:92], v[95:96], v[91:92]
	v_mul_f64 v[95:96], v[93:94], v[91:92]
	v_fma_f64 v[86:87], -v[86:87], v[95:96], v[93:94]
	v_div_fmas_f64 v[86:87], v[86:87], v[91:92], v[95:96]
	v_div_fixup_f64 v[86:87], v[86:87], v[117:118], v[119:120]
	v_fma_f64 v[91:92], v[119:120], v[86:87], v[117:118]
	v_div_scale_f64 v[93:94], s[20:21], v[91:92], v[91:92], 1.0
	v_div_scale_f64 v[99:100], vcc, 1.0, v[91:92], 1.0
	v_rcp_f64_e32 v[95:96], v[93:94]
	v_fma_f64 v[97:98], -v[93:94], v[95:96], 1.0
	v_fma_f64 v[95:96], v[95:96], v[97:98], v[95:96]
	v_fma_f64 v[97:98], -v[93:94], v[95:96], 1.0
	v_fma_f64 v[95:96], v[95:96], v[97:98], v[95:96]
	v_mul_f64 v[97:98], v[99:100], v[95:96]
	v_fma_f64 v[93:94], -v[93:94], v[97:98], v[99:100]
	v_div_fmas_f64 v[93:94], v[93:94], v[95:96], v[97:98]
	v_div_fixup_f64 v[117:118], v[93:94], v[91:92], 1.0
	v_mul_f64 v[119:120], v[86:87], -v[117:118]
.LBB116_660:
	s_or_b64 exec, exec, s[18:19]
.LBB116_661:
	s_or_b64 exec, exec, s[0:1]
	v_cmp_ne_u32_e32 vcc, v89, v85
	s_and_saveexec_b64 s[0:1], vcc
	s_xor_b64 s[0:1], exec, s[0:1]
	s_cbranch_execz .LBB116_667
; %bb.662:
	v_cmp_eq_u32_e32 vcc, 31, v89
	s_and_saveexec_b64 s[18:19], vcc
	s_cbranch_execz .LBB116_666
; %bb.663:
	v_cmp_ne_u32_e32 vcc, 31, v85
	s_xor_b64 s[20:21], s[6:7], -1
	s_and_b64 s[22:23], s[20:21], vcc
	s_and_saveexec_b64 s[20:21], s[22:23]
	s_cbranch_execz .LBB116_665
; %bb.664:
	v_mov_b32_e32 v77, v81
	v_mov_b32_e32 v78, v82
	;; [unrolled: 1-line block ×4, first 2 shown]
	buffer_load_dword v81, off, s[24:27], 0 offset:500 ; 4-byte Folded Reload
	buffer_load_dword v82, off, s[24:27], 0 offset:504 ; 4-byte Folded Reload
	v_ashrrev_i32_e32 v86, 31, v85
	v_lshlrev_b64 v[86:87], 2, v[85:86]
	s_waitcnt vmcnt(1)
	v_add_co_u32_e32 v86, vcc, v81, v86
	s_waitcnt vmcnt(0)
	v_addc_co_u32_e32 v87, vcc, v82, v87, vcc
	global_load_dword v88, v[86:87], off
	global_load_dword v89, v[81:82], off offset:124
	s_waitcnt vmcnt(1)
	global_store_dword v[81:82], v88, off offset:124
	v_mov_b32_e32 v84, v80
	v_mov_b32_e32 v83, v79
	;; [unrolled: 1-line block ×4, first 2 shown]
	s_waitcnt vmcnt(1)
	global_store_dword v[86:87], v89, off
.LBB116_665:
	s_or_b64 exec, exec, s[20:21]
	v_mov_b32_e32 v89, v85
	v_mov_b32_e32 v77, v85
	buffer_store_dword v77, off, s[24:27], 0 offset:432 ; 4-byte Folded Spill
.LBB116_666:
	s_or_b64 exec, exec, s[18:19]
.LBB116_667:
	s_andn2_saveexec_b64 s[0:1], s[0:1]
	s_cbranch_execz .LBB116_669
; %bb.668:
	buffer_load_dword v77, off, s[24:27], 0 offset:32 ; 4-byte Folded Reload
	buffer_load_dword v78, off, s[24:27], 0 offset:36 ; 4-byte Folded Reload
	;; [unrolled: 1-line block ×4, first 2 shown]
	v_mov_b32_e32 v89, 31
	s_waitcnt vmcnt(0)
	ds_write2_b64 v0, v[77:78], v[79:80] offset0:64 offset1:65
	buffer_load_dword v77, off, s[24:27], 0 offset:16 ; 4-byte Folded Reload
	buffer_load_dword v78, off, s[24:27], 0 offset:20 ; 4-byte Folded Reload
	buffer_load_dword v79, off, s[24:27], 0 offset:24 ; 4-byte Folded Reload
	buffer_load_dword v80, off, s[24:27], 0 offset:28 ; 4-byte Folded Reload
	s_waitcnt vmcnt(0)
	ds_write2_b64 v0, v[77:78], v[79:80] offset0:66 offset1:67
	ds_write2_b64 v0, v[81:82], v[83:84] offset0:68 offset1:69
	;; [unrolled: 1-line block ×5, first 2 shown]
	buffer_load_dword v77, off, s[24:27], 0 ; 4-byte Folded Reload
	buffer_load_dword v78, off, s[24:27], 0 offset:4 ; 4-byte Folded Reload
	buffer_load_dword v79, off, s[24:27], 0 offset:8 ; 4-byte Folded Reload
	buffer_load_dword v80, off, s[24:27], 0 offset:12 ; 4-byte Folded Reload
	s_waitcnt vmcnt(0)
	ds_write2_b64 v0, v[77:78], v[79:80] offset0:76 offset1:77
	ds_write2_b64 v0, v[73:74], v[75:76] offset0:78 offset1:79
	;; [unrolled: 1-line block ×21, first 2 shown]
.LBB116_669:
	s_or_b64 exec, exec, s[0:1]
	v_cmp_lt_i32_e32 vcc, 31, v89
	s_waitcnt vmcnt(0) lgkmcnt(0)
	s_barrier
	s_and_saveexec_b64 s[0:1], vcc
	s_cbranch_execz .LBB116_671
; %bb.670:
	buffer_load_dword v93, off, s[24:27], 0 offset:48 ; 4-byte Folded Reload
	buffer_load_dword v94, off, s[24:27], 0 offset:52 ; 4-byte Folded Reload
	;; [unrolled: 1-line block ×4, first 2 shown]
	s_waitcnt vmcnt(0)
	v_mul_f64 v[85:86], v[119:120], v[95:96]
	v_mul_f64 v[87:88], v[117:118], v[95:96]
	v_fma_f64 v[85:86], v[117:118], v[93:94], -v[85:86]
	v_fma_f64 v[95:96], v[119:120], v[93:94], v[87:88]
	ds_read2_b64 v[91:94], v0 offset0:64 offset1:65
	buffer_load_dword v77, off, s[24:27], 0 offset:32 ; 4-byte Folded Reload
	buffer_load_dword v78, off, s[24:27], 0 offset:36 ; 4-byte Folded Reload
	;; [unrolled: 1-line block ×4, first 2 shown]
	s_waitcnt lgkmcnt(0)
	v_mul_f64 v[87:88], v[93:94], v[95:96]
	v_fma_f64 v[87:88], v[91:92], v[85:86], -v[87:88]
	v_mul_f64 v[91:92], v[91:92], v[95:96]
	v_fma_f64 v[91:92], v[93:94], v[85:86], v[91:92]
	s_waitcnt vmcnt(2)
	v_add_f64 v[77:78], v[77:78], -v[87:88]
	s_waitcnt vmcnt(0)
	v_add_f64 v[79:80], v[79:80], -v[91:92]
	buffer_store_dword v77, off, s[24:27], 0 offset:32 ; 4-byte Folded Spill
	s_nop 0
	buffer_store_dword v78, off, s[24:27], 0 offset:36 ; 4-byte Folded Spill
	buffer_store_dword v79, off, s[24:27], 0 offset:40 ; 4-byte Folded Spill
	;; [unrolled: 1-line block ×3, first 2 shown]
	ds_read2_b64 v[91:94], v0 offset0:66 offset1:67
	buffer_load_dword v77, off, s[24:27], 0 offset:16 ; 4-byte Folded Reload
	buffer_load_dword v78, off, s[24:27], 0 offset:20 ; 4-byte Folded Reload
	;; [unrolled: 1-line block ×4, first 2 shown]
	s_waitcnt lgkmcnt(0)
	v_mul_f64 v[87:88], v[93:94], v[95:96]
	v_fma_f64 v[87:88], v[91:92], v[85:86], -v[87:88]
	v_mul_f64 v[91:92], v[91:92], v[95:96]
	v_fma_f64 v[91:92], v[93:94], v[85:86], v[91:92]
	s_waitcnt vmcnt(2)
	v_add_f64 v[77:78], v[77:78], -v[87:88]
	s_waitcnt vmcnt(0)
	v_add_f64 v[79:80], v[79:80], -v[91:92]
	buffer_store_dword v77, off, s[24:27], 0 offset:16 ; 4-byte Folded Spill
	s_nop 0
	buffer_store_dword v78, off, s[24:27], 0 offset:20 ; 4-byte Folded Spill
	buffer_store_dword v79, off, s[24:27], 0 offset:24 ; 4-byte Folded Spill
	;; [unrolled: 1-line block ×3, first 2 shown]
	ds_read2_b64 v[91:94], v0 offset0:68 offset1:69
	s_waitcnt lgkmcnt(0)
	v_mul_f64 v[87:88], v[93:94], v[95:96]
	v_fma_f64 v[87:88], v[91:92], v[85:86], -v[87:88]
	v_mul_f64 v[91:92], v[91:92], v[95:96]
	v_add_f64 v[81:82], v[81:82], -v[87:88]
	v_fma_f64 v[91:92], v[93:94], v[85:86], v[91:92]
	v_add_f64 v[83:84], v[83:84], -v[91:92]
	ds_read2_b64 v[91:94], v0 offset0:70 offset1:71
	s_waitcnt lgkmcnt(0)
	v_mul_f64 v[87:88], v[93:94], v[95:96]
	v_fma_f64 v[87:88], v[91:92], v[85:86], -v[87:88]
	v_mul_f64 v[91:92], v[91:92], v[95:96]
	v_add_f64 v[113:114], v[113:114], -v[87:88]
	v_fma_f64 v[91:92], v[93:94], v[85:86], v[91:92]
	v_add_f64 v[115:116], v[115:116], -v[91:92]
	;; [unrolled: 8-line block ×4, first 2 shown]
	ds_read2_b64 v[91:94], v0 offset0:76 offset1:77
	buffer_load_dword v77, off, s[24:27], 0 ; 4-byte Folded Reload
	buffer_load_dword v78, off, s[24:27], 0 offset:4 ; 4-byte Folded Reload
	buffer_load_dword v79, off, s[24:27], 0 offset:8 ; 4-byte Folded Reload
	;; [unrolled: 1-line block ×3, first 2 shown]
	s_waitcnt lgkmcnt(0)
	v_mul_f64 v[87:88], v[93:94], v[95:96]
	v_fma_f64 v[87:88], v[91:92], v[85:86], -v[87:88]
	v_mul_f64 v[91:92], v[91:92], v[95:96]
	v_fma_f64 v[91:92], v[93:94], v[85:86], v[91:92]
	s_waitcnt vmcnt(2)
	v_add_f64 v[77:78], v[77:78], -v[87:88]
	s_waitcnt vmcnt(0)
	v_add_f64 v[79:80], v[79:80], -v[91:92]
	buffer_store_dword v77, off, s[24:27], 0 ; 4-byte Folded Spill
	s_nop 0
	buffer_store_dword v78, off, s[24:27], 0 offset:4 ; 4-byte Folded Spill
	buffer_store_dword v79, off, s[24:27], 0 offset:8 ; 4-byte Folded Spill
	;; [unrolled: 1-line block ×3, first 2 shown]
	ds_read2_b64 v[91:94], v0 offset0:78 offset1:79
	s_waitcnt lgkmcnt(0)
	v_mul_f64 v[87:88], v[93:94], v[95:96]
	v_fma_f64 v[87:88], v[91:92], v[85:86], -v[87:88]
	v_mul_f64 v[91:92], v[91:92], v[95:96]
	v_add_f64 v[73:74], v[73:74], -v[87:88]
	v_fma_f64 v[91:92], v[93:94], v[85:86], v[91:92]
	v_add_f64 v[75:76], v[75:76], -v[91:92]
	ds_read2_b64 v[91:94], v0 offset0:80 offset1:81
	s_waitcnt lgkmcnt(0)
	v_mul_f64 v[87:88], v[93:94], v[95:96]
	v_fma_f64 v[87:88], v[91:92], v[85:86], -v[87:88]
	v_mul_f64 v[91:92], v[91:92], v[95:96]
	v_add_f64 v[69:70], v[69:70], -v[87:88]
	v_fma_f64 v[91:92], v[93:94], v[85:86], v[91:92]
	v_add_f64 v[71:72], v[71:72], -v[91:92]
	;; [unrolled: 8-line block ×19, first 2 shown]
	ds_read2_b64 v[91:94], v0 offset0:116 offset1:117
	s_waitcnt lgkmcnt(0)
	v_mul_f64 v[87:88], v[93:94], v[95:96]
	v_fma_f64 v[87:88], v[91:92], v[85:86], -v[87:88]
	v_mul_f64 v[91:92], v[91:92], v[95:96]
	v_add_f64 v[121:122], v[121:122], -v[87:88]
	v_fma_f64 v[91:92], v[93:94], v[85:86], v[91:92]
	v_mov_b32_e32 v94, v86
	v_mov_b32_e32 v93, v85
	buffer_store_dword v93, off, s[24:27], 0 offset:48 ; 4-byte Folded Spill
	s_nop 0
	buffer_store_dword v94, off, s[24:27], 0 offset:52 ; 4-byte Folded Spill
	buffer_store_dword v95, off, s[24:27], 0 offset:56 ; 4-byte Folded Spill
	;; [unrolled: 1-line block ×3, first 2 shown]
	v_add_f64 v[123:124], v[123:124], -v[91:92]
.LBB116_671:
	s_or_b64 exec, exec, s[0:1]
	s_waitcnt vmcnt(0)
	s_barrier
	buffer_load_dword v77, off, s[24:27], 0 offset:32 ; 4-byte Folded Reload
	buffer_load_dword v78, off, s[24:27], 0 offset:36 ; 4-byte Folded Reload
	;; [unrolled: 1-line block ×4, first 2 shown]
	v_lshl_add_u32 v85, v89, 4, v0
	s_cmp_lt_i32 s3, 34
	s_waitcnt vmcnt(0)
	ds_write2_b64 v85, v[77:78], v[79:80] offset1:1
	s_waitcnt lgkmcnt(0)
	s_barrier
	ds_read2_b64 v[117:120], v0 offset0:64 offset1:65
	v_mov_b32_e32 v85, 32
	s_cbranch_scc1 .LBB116_674
; %bb.672:
	v_add_u32_e32 v86, 0x210, v0
	s_mov_b32 s0, 33
	v_mov_b32_e32 v85, 32
.LBB116_673:                            ; =>This Inner Loop Header: Depth=1
	s_waitcnt lgkmcnt(0)
	v_cmp_gt_f64_e32 vcc, 0, v[117:118]
	v_xor_b32_e32 v87, 0x80000000, v118
	ds_read2_b64 v[91:94], v86 offset1:1
	v_xor_b32_e32 v95, 0x80000000, v120
	v_add_u32_e32 v86, 16, v86
	s_waitcnt lgkmcnt(0)
	v_xor_b32_e32 v97, 0x80000000, v94
	v_cndmask_b32_e32 v88, v118, v87, vcc
	v_cmp_gt_f64_e32 vcc, 0, v[119:120]
	v_mov_b32_e32 v87, v117
	v_cndmask_b32_e32 v96, v120, v95, vcc
	v_cmp_gt_f64_e32 vcc, 0, v[91:92]
	v_mov_b32_e32 v95, v119
	v_add_f64 v[87:88], v[87:88], v[95:96]
	v_xor_b32_e32 v95, 0x80000000, v92
	v_cndmask_b32_e32 v96, v92, v95, vcc
	v_cmp_gt_f64_e32 vcc, 0, v[93:94]
	v_mov_b32_e32 v95, v91
	v_cndmask_b32_e32 v98, v94, v97, vcc
	v_mov_b32_e32 v97, v93
	v_add_f64 v[95:96], v[95:96], v[97:98]
	v_cmp_lt_f64_e32 vcc, v[87:88], v[95:96]
	v_mov_b32_e32 v87, s0
	s_add_i32 s0, s0, 1
	s_cmp_lg_u32 s3, s0
	v_cndmask_b32_e32 v118, v118, v92, vcc
	v_cndmask_b32_e32 v117, v117, v91, vcc
	;; [unrolled: 1-line block ×5, first 2 shown]
	s_cbranch_scc1 .LBB116_673
.LBB116_674:
	s_waitcnt lgkmcnt(0)
	v_cmp_eq_f64_e32 vcc, 0, v[117:118]
	v_cmp_eq_f64_e64 s[0:1], 0, v[119:120]
	s_and_b64 s[0:1], vcc, s[0:1]
	s_and_saveexec_b64 s[18:19], s[0:1]
	s_xor_b64 s[0:1], exec, s[18:19]
; %bb.675:
	v_cmp_ne_u32_e32 vcc, 0, v90
	v_cndmask_b32_e32 v90, 33, v90, vcc
; %bb.676:
	s_andn2_saveexec_b64 s[0:1], s[0:1]
	s_cbranch_execz .LBB116_682
; %bb.677:
	v_cmp_ngt_f64_e64 s[18:19], |v[117:118]|, |v[119:120]|
	s_and_saveexec_b64 s[20:21], s[18:19]
	s_xor_b64 s[18:19], exec, s[20:21]
	s_cbranch_execz .LBB116_679
; %bb.678:
	v_div_scale_f64 v[86:87], s[20:21], v[119:120], v[119:120], v[117:118]
	v_rcp_f64_e32 v[91:92], v[86:87]
	v_fma_f64 v[93:94], -v[86:87], v[91:92], 1.0
	v_fma_f64 v[91:92], v[91:92], v[93:94], v[91:92]
	v_div_scale_f64 v[93:94], vcc, v[117:118], v[119:120], v[117:118]
	v_fma_f64 v[95:96], -v[86:87], v[91:92], 1.0
	v_fma_f64 v[91:92], v[91:92], v[95:96], v[91:92]
	v_mul_f64 v[95:96], v[93:94], v[91:92]
	v_fma_f64 v[86:87], -v[86:87], v[95:96], v[93:94]
	v_div_fmas_f64 v[86:87], v[86:87], v[91:92], v[95:96]
	v_div_fixup_f64 v[86:87], v[86:87], v[119:120], v[117:118]
	v_fma_f64 v[91:92], v[117:118], v[86:87], v[119:120]
	v_div_scale_f64 v[93:94], s[20:21], v[91:92], v[91:92], 1.0
	v_div_scale_f64 v[99:100], vcc, 1.0, v[91:92], 1.0
	v_rcp_f64_e32 v[95:96], v[93:94]
	v_fma_f64 v[97:98], -v[93:94], v[95:96], 1.0
	v_fma_f64 v[95:96], v[95:96], v[97:98], v[95:96]
	v_fma_f64 v[97:98], -v[93:94], v[95:96], 1.0
	v_fma_f64 v[95:96], v[95:96], v[97:98], v[95:96]
	v_mul_f64 v[97:98], v[99:100], v[95:96]
	v_fma_f64 v[93:94], -v[93:94], v[97:98], v[99:100]
	v_div_fmas_f64 v[93:94], v[93:94], v[95:96], v[97:98]
	v_div_fixup_f64 v[119:120], v[93:94], v[91:92], 1.0
	v_mul_f64 v[117:118], v[86:87], v[119:120]
	v_xor_b32_e32 v120, 0x80000000, v120
.LBB116_679:
	s_andn2_saveexec_b64 s[18:19], s[18:19]
	s_cbranch_execz .LBB116_681
; %bb.680:
	v_div_scale_f64 v[86:87], s[20:21], v[117:118], v[117:118], v[119:120]
	v_rcp_f64_e32 v[91:92], v[86:87]
	v_fma_f64 v[93:94], -v[86:87], v[91:92], 1.0
	v_fma_f64 v[91:92], v[91:92], v[93:94], v[91:92]
	v_div_scale_f64 v[93:94], vcc, v[119:120], v[117:118], v[119:120]
	v_fma_f64 v[95:96], -v[86:87], v[91:92], 1.0
	v_fma_f64 v[91:92], v[91:92], v[95:96], v[91:92]
	v_mul_f64 v[95:96], v[93:94], v[91:92]
	v_fma_f64 v[86:87], -v[86:87], v[95:96], v[93:94]
	v_div_fmas_f64 v[86:87], v[86:87], v[91:92], v[95:96]
	v_div_fixup_f64 v[86:87], v[86:87], v[117:118], v[119:120]
	v_fma_f64 v[91:92], v[119:120], v[86:87], v[117:118]
	v_div_scale_f64 v[93:94], s[20:21], v[91:92], v[91:92], 1.0
	v_div_scale_f64 v[99:100], vcc, 1.0, v[91:92], 1.0
	v_rcp_f64_e32 v[95:96], v[93:94]
	v_fma_f64 v[97:98], -v[93:94], v[95:96], 1.0
	v_fma_f64 v[95:96], v[95:96], v[97:98], v[95:96]
	v_fma_f64 v[97:98], -v[93:94], v[95:96], 1.0
	v_fma_f64 v[95:96], v[95:96], v[97:98], v[95:96]
	v_mul_f64 v[97:98], v[99:100], v[95:96]
	v_fma_f64 v[93:94], -v[93:94], v[97:98], v[99:100]
	v_div_fmas_f64 v[93:94], v[93:94], v[95:96], v[97:98]
	v_div_fixup_f64 v[117:118], v[93:94], v[91:92], 1.0
	v_mul_f64 v[119:120], v[86:87], -v[117:118]
.LBB116_681:
	s_or_b64 exec, exec, s[18:19]
.LBB116_682:
	s_or_b64 exec, exec, s[0:1]
	v_cmp_ne_u32_e32 vcc, v89, v85
	s_and_saveexec_b64 s[0:1], vcc
	s_xor_b64 s[0:1], exec, s[0:1]
	s_cbranch_execz .LBB116_688
; %bb.683:
	v_cmp_eq_u32_e32 vcc, 32, v89
	s_and_saveexec_b64 s[18:19], vcc
	s_cbranch_execz .LBB116_687
; %bb.684:
	v_cmp_ne_u32_e32 vcc, 32, v85
	s_xor_b64 s[20:21], s[6:7], -1
	s_and_b64 s[22:23], s[20:21], vcc
	s_and_saveexec_b64 s[20:21], s[22:23]
	s_cbranch_execz .LBB116_686
; %bb.685:
	v_mov_b32_e32 v77, v81
	v_mov_b32_e32 v78, v82
	v_mov_b32_e32 v79, v83
	v_mov_b32_e32 v80, v84
	buffer_load_dword v81, off, s[24:27], 0 offset:500 ; 4-byte Folded Reload
	buffer_load_dword v82, off, s[24:27], 0 offset:504 ; 4-byte Folded Reload
	v_ashrrev_i32_e32 v86, 31, v85
	v_lshlrev_b64 v[86:87], 2, v[85:86]
	s_waitcnt vmcnt(1)
	v_add_co_u32_e32 v86, vcc, v81, v86
	s_waitcnt vmcnt(0)
	v_addc_co_u32_e32 v87, vcc, v82, v87, vcc
	global_load_dword v88, v[86:87], off
	global_load_dword v89, v[81:82], off offset:128
	s_waitcnt vmcnt(1)
	global_store_dword v[81:82], v88, off offset:128
	v_mov_b32_e32 v84, v80
	v_mov_b32_e32 v83, v79
	;; [unrolled: 1-line block ×4, first 2 shown]
	s_waitcnt vmcnt(1)
	global_store_dword v[86:87], v89, off
.LBB116_686:
	s_or_b64 exec, exec, s[20:21]
	v_mov_b32_e32 v89, v85
	v_mov_b32_e32 v77, v85
	buffer_store_dword v77, off, s[24:27], 0 offset:432 ; 4-byte Folded Spill
.LBB116_687:
	s_or_b64 exec, exec, s[18:19]
.LBB116_688:
	s_andn2_saveexec_b64 s[0:1], s[0:1]
	s_cbranch_execz .LBB116_690
; %bb.689:
	buffer_load_dword v77, off, s[24:27], 0 offset:16 ; 4-byte Folded Reload
	buffer_load_dword v78, off, s[24:27], 0 offset:20 ; 4-byte Folded Reload
	;; [unrolled: 1-line block ×4, first 2 shown]
	v_mov_b32_e32 v89, 32
	s_waitcnt vmcnt(0)
	ds_write2_b64 v0, v[77:78], v[79:80] offset0:66 offset1:67
	ds_write2_b64 v0, v[81:82], v[83:84] offset0:68 offset1:69
	;; [unrolled: 1-line block ×5, first 2 shown]
	buffer_load_dword v77, off, s[24:27], 0 ; 4-byte Folded Reload
	buffer_load_dword v78, off, s[24:27], 0 offset:4 ; 4-byte Folded Reload
	buffer_load_dword v79, off, s[24:27], 0 offset:8 ; 4-byte Folded Reload
	;; [unrolled: 1-line block ×3, first 2 shown]
	s_waitcnt vmcnt(0)
	ds_write2_b64 v0, v[77:78], v[79:80] offset0:76 offset1:77
	ds_write2_b64 v0, v[73:74], v[75:76] offset0:78 offset1:79
	;; [unrolled: 1-line block ×21, first 2 shown]
.LBB116_690:
	s_or_b64 exec, exec, s[0:1]
	v_cmp_lt_i32_e32 vcc, 32, v89
	s_waitcnt vmcnt(0) lgkmcnt(0)
	s_barrier
	s_and_saveexec_b64 s[0:1], vcc
	s_cbranch_execz .LBB116_692
; %bb.691:
	buffer_load_dword v93, off, s[24:27], 0 offset:32 ; 4-byte Folded Reload
	buffer_load_dword v94, off, s[24:27], 0 offset:36 ; 4-byte Folded Reload
	;; [unrolled: 1-line block ×4, first 2 shown]
	s_waitcnt vmcnt(0)
	v_mul_f64 v[85:86], v[119:120], v[95:96]
	v_mul_f64 v[87:88], v[117:118], v[95:96]
	v_fma_f64 v[85:86], v[117:118], v[93:94], -v[85:86]
	v_fma_f64 v[95:96], v[119:120], v[93:94], v[87:88]
	ds_read2_b64 v[91:94], v0 offset0:66 offset1:67
	buffer_load_dword v77, off, s[24:27], 0 offset:16 ; 4-byte Folded Reload
	buffer_load_dword v78, off, s[24:27], 0 offset:20 ; 4-byte Folded Reload
	;; [unrolled: 1-line block ×4, first 2 shown]
	s_waitcnt lgkmcnt(0)
	v_mul_f64 v[87:88], v[93:94], v[95:96]
	v_fma_f64 v[87:88], v[91:92], v[85:86], -v[87:88]
	v_mul_f64 v[91:92], v[91:92], v[95:96]
	v_fma_f64 v[91:92], v[93:94], v[85:86], v[91:92]
	s_waitcnt vmcnt(2)
	v_add_f64 v[77:78], v[77:78], -v[87:88]
	s_waitcnt vmcnt(0)
	v_add_f64 v[79:80], v[79:80], -v[91:92]
	buffer_store_dword v77, off, s[24:27], 0 offset:16 ; 4-byte Folded Spill
	s_nop 0
	buffer_store_dword v78, off, s[24:27], 0 offset:20 ; 4-byte Folded Spill
	buffer_store_dword v79, off, s[24:27], 0 offset:24 ; 4-byte Folded Spill
	;; [unrolled: 1-line block ×3, first 2 shown]
	ds_read2_b64 v[91:94], v0 offset0:68 offset1:69
	s_waitcnt lgkmcnt(0)
	v_mul_f64 v[87:88], v[93:94], v[95:96]
	v_fma_f64 v[87:88], v[91:92], v[85:86], -v[87:88]
	v_mul_f64 v[91:92], v[91:92], v[95:96]
	v_add_f64 v[81:82], v[81:82], -v[87:88]
	v_fma_f64 v[91:92], v[93:94], v[85:86], v[91:92]
	v_add_f64 v[83:84], v[83:84], -v[91:92]
	ds_read2_b64 v[91:94], v0 offset0:70 offset1:71
	s_waitcnt lgkmcnt(0)
	v_mul_f64 v[87:88], v[93:94], v[95:96]
	v_fma_f64 v[87:88], v[91:92], v[85:86], -v[87:88]
	v_mul_f64 v[91:92], v[91:92], v[95:96]
	v_add_f64 v[113:114], v[113:114], -v[87:88]
	v_fma_f64 v[91:92], v[93:94], v[85:86], v[91:92]
	v_add_f64 v[115:116], v[115:116], -v[91:92]
	;; [unrolled: 8-line block ×4, first 2 shown]
	ds_read2_b64 v[91:94], v0 offset0:76 offset1:77
	buffer_load_dword v77, off, s[24:27], 0 ; 4-byte Folded Reload
	buffer_load_dword v78, off, s[24:27], 0 offset:4 ; 4-byte Folded Reload
	buffer_load_dword v79, off, s[24:27], 0 offset:8 ; 4-byte Folded Reload
	;; [unrolled: 1-line block ×3, first 2 shown]
	s_waitcnt lgkmcnt(0)
	v_mul_f64 v[87:88], v[93:94], v[95:96]
	v_fma_f64 v[87:88], v[91:92], v[85:86], -v[87:88]
	v_mul_f64 v[91:92], v[91:92], v[95:96]
	v_fma_f64 v[91:92], v[93:94], v[85:86], v[91:92]
	s_waitcnt vmcnt(2)
	v_add_f64 v[77:78], v[77:78], -v[87:88]
	s_waitcnt vmcnt(0)
	v_add_f64 v[79:80], v[79:80], -v[91:92]
	buffer_store_dword v77, off, s[24:27], 0 ; 4-byte Folded Spill
	s_nop 0
	buffer_store_dword v78, off, s[24:27], 0 offset:4 ; 4-byte Folded Spill
	buffer_store_dword v79, off, s[24:27], 0 offset:8 ; 4-byte Folded Spill
	;; [unrolled: 1-line block ×3, first 2 shown]
	ds_read2_b64 v[91:94], v0 offset0:78 offset1:79
	s_waitcnt lgkmcnt(0)
	v_mul_f64 v[87:88], v[93:94], v[95:96]
	v_fma_f64 v[87:88], v[91:92], v[85:86], -v[87:88]
	v_mul_f64 v[91:92], v[91:92], v[95:96]
	v_add_f64 v[73:74], v[73:74], -v[87:88]
	v_fma_f64 v[91:92], v[93:94], v[85:86], v[91:92]
	v_add_f64 v[75:76], v[75:76], -v[91:92]
	ds_read2_b64 v[91:94], v0 offset0:80 offset1:81
	s_waitcnt lgkmcnt(0)
	v_mul_f64 v[87:88], v[93:94], v[95:96]
	v_fma_f64 v[87:88], v[91:92], v[85:86], -v[87:88]
	v_mul_f64 v[91:92], v[91:92], v[95:96]
	v_add_f64 v[69:70], v[69:70], -v[87:88]
	v_fma_f64 v[91:92], v[93:94], v[85:86], v[91:92]
	v_add_f64 v[71:72], v[71:72], -v[91:92]
	ds_read2_b64 v[91:94], v0 offset0:82 offset1:83
	s_waitcnt lgkmcnt(0)
	v_mul_f64 v[87:88], v[93:94], v[95:96]
	v_fma_f64 v[87:88], v[91:92], v[85:86], -v[87:88]
	v_mul_f64 v[91:92], v[91:92], v[95:96]
	v_add_f64 v[65:66], v[65:66], -v[87:88]
	v_fma_f64 v[91:92], v[93:94], v[85:86], v[91:92]
	v_add_f64 v[67:68], v[67:68], -v[91:92]
	ds_read2_b64 v[91:94], v0 offset0:84 offset1:85
	s_waitcnt lgkmcnt(0)
	v_mul_f64 v[87:88], v[93:94], v[95:96]
	v_fma_f64 v[87:88], v[91:92], v[85:86], -v[87:88]
	v_mul_f64 v[91:92], v[91:92], v[95:96]
	v_add_f64 v[61:62], v[61:62], -v[87:88]
	v_fma_f64 v[91:92], v[93:94], v[85:86], v[91:92]
	v_add_f64 v[63:64], v[63:64], -v[91:92]
	ds_read2_b64 v[91:94], v0 offset0:86 offset1:87
	s_waitcnt lgkmcnt(0)
	v_mul_f64 v[87:88], v[93:94], v[95:96]
	v_fma_f64 v[87:88], v[91:92], v[85:86], -v[87:88]
	v_mul_f64 v[91:92], v[91:92], v[95:96]
	v_add_f64 v[57:58], v[57:58], -v[87:88]
	v_fma_f64 v[91:92], v[93:94], v[85:86], v[91:92]
	v_add_f64 v[59:60], v[59:60], -v[91:92]
	ds_read2_b64 v[91:94], v0 offset0:88 offset1:89
	s_waitcnt lgkmcnt(0)
	v_mul_f64 v[87:88], v[93:94], v[95:96]
	v_fma_f64 v[87:88], v[91:92], v[85:86], -v[87:88]
	v_mul_f64 v[91:92], v[91:92], v[95:96]
	v_add_f64 v[53:54], v[53:54], -v[87:88]
	v_fma_f64 v[91:92], v[93:94], v[85:86], v[91:92]
	v_add_f64 v[55:56], v[55:56], -v[91:92]
	ds_read2_b64 v[91:94], v0 offset0:90 offset1:91
	s_waitcnt lgkmcnt(0)
	v_mul_f64 v[87:88], v[93:94], v[95:96]
	v_fma_f64 v[87:88], v[91:92], v[85:86], -v[87:88]
	v_mul_f64 v[91:92], v[91:92], v[95:96]
	v_add_f64 v[49:50], v[49:50], -v[87:88]
	v_fma_f64 v[91:92], v[93:94], v[85:86], v[91:92]
	v_add_f64 v[51:52], v[51:52], -v[91:92]
	ds_read2_b64 v[91:94], v0 offset0:92 offset1:93
	s_waitcnt lgkmcnt(0)
	v_mul_f64 v[87:88], v[93:94], v[95:96]
	v_fma_f64 v[87:88], v[91:92], v[85:86], -v[87:88]
	v_mul_f64 v[91:92], v[91:92], v[95:96]
	v_add_f64 v[45:46], v[45:46], -v[87:88]
	v_fma_f64 v[91:92], v[93:94], v[85:86], v[91:92]
	v_add_f64 v[47:48], v[47:48], -v[91:92]
	ds_read2_b64 v[91:94], v0 offset0:94 offset1:95
	s_waitcnt lgkmcnt(0)
	v_mul_f64 v[87:88], v[93:94], v[95:96]
	v_fma_f64 v[87:88], v[91:92], v[85:86], -v[87:88]
	v_mul_f64 v[91:92], v[91:92], v[95:96]
	v_add_f64 v[41:42], v[41:42], -v[87:88]
	v_fma_f64 v[91:92], v[93:94], v[85:86], v[91:92]
	v_add_f64 v[43:44], v[43:44], -v[91:92]
	ds_read2_b64 v[91:94], v0 offset0:96 offset1:97
	s_waitcnt lgkmcnt(0)
	v_mul_f64 v[87:88], v[93:94], v[95:96]
	v_fma_f64 v[87:88], v[91:92], v[85:86], -v[87:88]
	v_mul_f64 v[91:92], v[91:92], v[95:96]
	v_add_f64 v[37:38], v[37:38], -v[87:88]
	v_fma_f64 v[91:92], v[93:94], v[85:86], v[91:92]
	v_add_f64 v[39:40], v[39:40], -v[91:92]
	ds_read2_b64 v[91:94], v0 offset0:98 offset1:99
	s_waitcnt lgkmcnt(0)
	v_mul_f64 v[87:88], v[93:94], v[95:96]
	v_fma_f64 v[87:88], v[91:92], v[85:86], -v[87:88]
	v_mul_f64 v[91:92], v[91:92], v[95:96]
	v_add_f64 v[33:34], v[33:34], -v[87:88]
	v_fma_f64 v[91:92], v[93:94], v[85:86], v[91:92]
	v_add_f64 v[35:36], v[35:36], -v[91:92]
	ds_read2_b64 v[91:94], v0 offset0:100 offset1:101
	s_waitcnt lgkmcnt(0)
	v_mul_f64 v[87:88], v[93:94], v[95:96]
	v_fma_f64 v[87:88], v[91:92], v[85:86], -v[87:88]
	v_mul_f64 v[91:92], v[91:92], v[95:96]
	v_add_f64 v[29:30], v[29:30], -v[87:88]
	v_fma_f64 v[91:92], v[93:94], v[85:86], v[91:92]
	v_add_f64 v[31:32], v[31:32], -v[91:92]
	ds_read2_b64 v[91:94], v0 offset0:102 offset1:103
	s_waitcnt lgkmcnt(0)
	v_mul_f64 v[87:88], v[93:94], v[95:96]
	v_fma_f64 v[87:88], v[91:92], v[85:86], -v[87:88]
	v_mul_f64 v[91:92], v[91:92], v[95:96]
	v_add_f64 v[25:26], v[25:26], -v[87:88]
	v_fma_f64 v[91:92], v[93:94], v[85:86], v[91:92]
	v_add_f64 v[27:28], v[27:28], -v[91:92]
	ds_read2_b64 v[91:94], v0 offset0:104 offset1:105
	s_waitcnt lgkmcnt(0)
	v_mul_f64 v[87:88], v[93:94], v[95:96]
	v_fma_f64 v[87:88], v[91:92], v[85:86], -v[87:88]
	v_mul_f64 v[91:92], v[91:92], v[95:96]
	v_add_f64 v[21:22], v[21:22], -v[87:88]
	v_fma_f64 v[91:92], v[93:94], v[85:86], v[91:92]
	v_add_f64 v[23:24], v[23:24], -v[91:92]
	ds_read2_b64 v[91:94], v0 offset0:106 offset1:107
	s_waitcnt lgkmcnt(0)
	v_mul_f64 v[87:88], v[93:94], v[95:96]
	v_fma_f64 v[87:88], v[91:92], v[85:86], -v[87:88]
	v_mul_f64 v[91:92], v[91:92], v[95:96]
	v_add_f64 v[17:18], v[17:18], -v[87:88]
	v_fma_f64 v[91:92], v[93:94], v[85:86], v[91:92]
	v_add_f64 v[19:20], v[19:20], -v[91:92]
	ds_read2_b64 v[91:94], v0 offset0:108 offset1:109
	s_waitcnt lgkmcnt(0)
	v_mul_f64 v[87:88], v[93:94], v[95:96]
	v_fma_f64 v[87:88], v[91:92], v[85:86], -v[87:88]
	v_mul_f64 v[91:92], v[91:92], v[95:96]
	v_add_f64 v[13:14], v[13:14], -v[87:88]
	v_fma_f64 v[91:92], v[93:94], v[85:86], v[91:92]
	v_add_f64 v[15:16], v[15:16], -v[91:92]
	ds_read2_b64 v[91:94], v0 offset0:110 offset1:111
	s_waitcnt lgkmcnt(0)
	v_mul_f64 v[87:88], v[93:94], v[95:96]
	v_fma_f64 v[87:88], v[91:92], v[85:86], -v[87:88]
	v_mul_f64 v[91:92], v[91:92], v[95:96]
	v_add_f64 v[9:10], v[9:10], -v[87:88]
	v_fma_f64 v[91:92], v[93:94], v[85:86], v[91:92]
	v_add_f64 v[11:12], v[11:12], -v[91:92]
	ds_read2_b64 v[91:94], v0 offset0:112 offset1:113
	s_waitcnt lgkmcnt(0)
	v_mul_f64 v[87:88], v[93:94], v[95:96]
	v_fma_f64 v[87:88], v[91:92], v[85:86], -v[87:88]
	v_mul_f64 v[91:92], v[91:92], v[95:96]
	v_add_f64 v[5:6], v[5:6], -v[87:88]
	v_fma_f64 v[91:92], v[93:94], v[85:86], v[91:92]
	v_add_f64 v[7:8], v[7:8], -v[91:92]
	ds_read2_b64 v[91:94], v0 offset0:114 offset1:115
	s_waitcnt lgkmcnt(0)
	v_mul_f64 v[87:88], v[93:94], v[95:96]
	v_fma_f64 v[87:88], v[91:92], v[85:86], -v[87:88]
	v_mul_f64 v[91:92], v[91:92], v[95:96]
	v_add_f64 v[1:2], v[1:2], -v[87:88]
	v_fma_f64 v[91:92], v[93:94], v[85:86], v[91:92]
	v_add_f64 v[3:4], v[3:4], -v[91:92]
	ds_read2_b64 v[91:94], v0 offset0:116 offset1:117
	s_waitcnt lgkmcnt(0)
	v_mul_f64 v[87:88], v[93:94], v[95:96]
	v_fma_f64 v[87:88], v[91:92], v[85:86], -v[87:88]
	v_mul_f64 v[91:92], v[91:92], v[95:96]
	v_add_f64 v[121:122], v[121:122], -v[87:88]
	v_fma_f64 v[91:92], v[93:94], v[85:86], v[91:92]
	v_mov_b32_e32 v94, v86
	v_mov_b32_e32 v93, v85
	buffer_store_dword v93, off, s[24:27], 0 offset:32 ; 4-byte Folded Spill
	s_nop 0
	buffer_store_dword v94, off, s[24:27], 0 offset:36 ; 4-byte Folded Spill
	buffer_store_dword v95, off, s[24:27], 0 offset:40 ; 4-byte Folded Spill
	;; [unrolled: 1-line block ×3, first 2 shown]
	v_add_f64 v[123:124], v[123:124], -v[91:92]
.LBB116_692:
	s_or_b64 exec, exec, s[0:1]
	s_waitcnt vmcnt(0)
	s_barrier
	buffer_load_dword v77, off, s[24:27], 0 offset:16 ; 4-byte Folded Reload
	buffer_load_dword v78, off, s[24:27], 0 offset:20 ; 4-byte Folded Reload
	;; [unrolled: 1-line block ×4, first 2 shown]
	v_lshl_add_u32 v85, v89, 4, v0
	s_cmp_lt_i32 s3, 35
	s_waitcnt vmcnt(0)
	ds_write2_b64 v85, v[77:78], v[79:80] offset1:1
	s_waitcnt lgkmcnt(0)
	s_barrier
	ds_read2_b64 v[117:120], v0 offset0:66 offset1:67
	v_mov_b32_e32 v85, 33
	s_cbranch_scc1 .LBB116_695
; %bb.693:
	v_add_u32_e32 v86, 0x220, v0
	s_mov_b32 s0, 34
	v_mov_b32_e32 v85, 33
.LBB116_694:                            ; =>This Inner Loop Header: Depth=1
	s_waitcnt lgkmcnt(0)
	v_cmp_gt_f64_e32 vcc, 0, v[117:118]
	v_xor_b32_e32 v87, 0x80000000, v118
	ds_read2_b64 v[91:94], v86 offset1:1
	v_xor_b32_e32 v95, 0x80000000, v120
	v_add_u32_e32 v86, 16, v86
	s_waitcnt lgkmcnt(0)
	v_xor_b32_e32 v97, 0x80000000, v94
	v_cndmask_b32_e32 v88, v118, v87, vcc
	v_cmp_gt_f64_e32 vcc, 0, v[119:120]
	v_mov_b32_e32 v87, v117
	v_cndmask_b32_e32 v96, v120, v95, vcc
	v_cmp_gt_f64_e32 vcc, 0, v[91:92]
	v_mov_b32_e32 v95, v119
	v_add_f64 v[87:88], v[87:88], v[95:96]
	v_xor_b32_e32 v95, 0x80000000, v92
	v_cndmask_b32_e32 v96, v92, v95, vcc
	v_cmp_gt_f64_e32 vcc, 0, v[93:94]
	v_mov_b32_e32 v95, v91
	v_cndmask_b32_e32 v98, v94, v97, vcc
	v_mov_b32_e32 v97, v93
	v_add_f64 v[95:96], v[95:96], v[97:98]
	v_cmp_lt_f64_e32 vcc, v[87:88], v[95:96]
	v_mov_b32_e32 v87, s0
	s_add_i32 s0, s0, 1
	s_cmp_lg_u32 s3, s0
	v_cndmask_b32_e32 v118, v118, v92, vcc
	v_cndmask_b32_e32 v117, v117, v91, vcc
	;; [unrolled: 1-line block ×5, first 2 shown]
	s_cbranch_scc1 .LBB116_694
.LBB116_695:
	s_waitcnt lgkmcnt(0)
	v_cmp_eq_f64_e32 vcc, 0, v[117:118]
	v_cmp_eq_f64_e64 s[0:1], 0, v[119:120]
	s_and_b64 s[0:1], vcc, s[0:1]
	s_and_saveexec_b64 s[18:19], s[0:1]
	s_xor_b64 s[0:1], exec, s[18:19]
; %bb.696:
	v_cmp_ne_u32_e32 vcc, 0, v90
	v_cndmask_b32_e32 v90, 34, v90, vcc
; %bb.697:
	s_andn2_saveexec_b64 s[0:1], s[0:1]
	s_cbranch_execz .LBB116_703
; %bb.698:
	v_cmp_ngt_f64_e64 s[18:19], |v[117:118]|, |v[119:120]|
	s_and_saveexec_b64 s[20:21], s[18:19]
	s_xor_b64 s[18:19], exec, s[20:21]
	s_cbranch_execz .LBB116_700
; %bb.699:
	v_div_scale_f64 v[86:87], s[20:21], v[119:120], v[119:120], v[117:118]
	v_rcp_f64_e32 v[91:92], v[86:87]
	v_fma_f64 v[93:94], -v[86:87], v[91:92], 1.0
	v_fma_f64 v[91:92], v[91:92], v[93:94], v[91:92]
	v_div_scale_f64 v[93:94], vcc, v[117:118], v[119:120], v[117:118]
	v_fma_f64 v[95:96], -v[86:87], v[91:92], 1.0
	v_fma_f64 v[91:92], v[91:92], v[95:96], v[91:92]
	v_mul_f64 v[95:96], v[93:94], v[91:92]
	v_fma_f64 v[86:87], -v[86:87], v[95:96], v[93:94]
	v_div_fmas_f64 v[86:87], v[86:87], v[91:92], v[95:96]
	v_div_fixup_f64 v[86:87], v[86:87], v[119:120], v[117:118]
	v_fma_f64 v[91:92], v[117:118], v[86:87], v[119:120]
	v_div_scale_f64 v[93:94], s[20:21], v[91:92], v[91:92], 1.0
	v_div_scale_f64 v[99:100], vcc, 1.0, v[91:92], 1.0
	v_rcp_f64_e32 v[95:96], v[93:94]
	v_fma_f64 v[97:98], -v[93:94], v[95:96], 1.0
	v_fma_f64 v[95:96], v[95:96], v[97:98], v[95:96]
	v_fma_f64 v[97:98], -v[93:94], v[95:96], 1.0
	v_fma_f64 v[95:96], v[95:96], v[97:98], v[95:96]
	v_mul_f64 v[97:98], v[99:100], v[95:96]
	v_fma_f64 v[93:94], -v[93:94], v[97:98], v[99:100]
	v_div_fmas_f64 v[93:94], v[93:94], v[95:96], v[97:98]
	v_div_fixup_f64 v[119:120], v[93:94], v[91:92], 1.0
	v_mul_f64 v[117:118], v[86:87], v[119:120]
	v_xor_b32_e32 v120, 0x80000000, v120
.LBB116_700:
	s_andn2_saveexec_b64 s[18:19], s[18:19]
	s_cbranch_execz .LBB116_702
; %bb.701:
	v_div_scale_f64 v[86:87], s[20:21], v[117:118], v[117:118], v[119:120]
	v_rcp_f64_e32 v[91:92], v[86:87]
	v_fma_f64 v[93:94], -v[86:87], v[91:92], 1.0
	v_fma_f64 v[91:92], v[91:92], v[93:94], v[91:92]
	v_div_scale_f64 v[93:94], vcc, v[119:120], v[117:118], v[119:120]
	v_fma_f64 v[95:96], -v[86:87], v[91:92], 1.0
	v_fma_f64 v[91:92], v[91:92], v[95:96], v[91:92]
	v_mul_f64 v[95:96], v[93:94], v[91:92]
	v_fma_f64 v[86:87], -v[86:87], v[95:96], v[93:94]
	v_div_fmas_f64 v[86:87], v[86:87], v[91:92], v[95:96]
	v_div_fixup_f64 v[86:87], v[86:87], v[117:118], v[119:120]
	v_fma_f64 v[91:92], v[119:120], v[86:87], v[117:118]
	v_div_scale_f64 v[93:94], s[20:21], v[91:92], v[91:92], 1.0
	v_div_scale_f64 v[99:100], vcc, 1.0, v[91:92], 1.0
	v_rcp_f64_e32 v[95:96], v[93:94]
	v_fma_f64 v[97:98], -v[93:94], v[95:96], 1.0
	v_fma_f64 v[95:96], v[95:96], v[97:98], v[95:96]
	v_fma_f64 v[97:98], -v[93:94], v[95:96], 1.0
	v_fma_f64 v[95:96], v[95:96], v[97:98], v[95:96]
	v_mul_f64 v[97:98], v[99:100], v[95:96]
	v_fma_f64 v[93:94], -v[93:94], v[97:98], v[99:100]
	v_div_fmas_f64 v[93:94], v[93:94], v[95:96], v[97:98]
	v_div_fixup_f64 v[117:118], v[93:94], v[91:92], 1.0
	v_mul_f64 v[119:120], v[86:87], -v[117:118]
.LBB116_702:
	s_or_b64 exec, exec, s[18:19]
.LBB116_703:
	s_or_b64 exec, exec, s[0:1]
	v_cmp_ne_u32_e32 vcc, v89, v85
	s_and_saveexec_b64 s[0:1], vcc
	s_xor_b64 s[0:1], exec, s[0:1]
	s_cbranch_execz .LBB116_709
; %bb.704:
	v_cmp_eq_u32_e32 vcc, 33, v89
	s_and_saveexec_b64 s[18:19], vcc
	s_cbranch_execz .LBB116_708
; %bb.705:
	v_cmp_ne_u32_e32 vcc, 33, v85
	s_xor_b64 s[20:21], s[6:7], -1
	s_and_b64 s[22:23], s[20:21], vcc
	s_and_saveexec_b64 s[20:21], s[22:23]
	s_cbranch_execz .LBB116_707
; %bb.706:
	v_mov_b32_e32 v77, v81
	v_mov_b32_e32 v78, v82
	;; [unrolled: 1-line block ×4, first 2 shown]
	buffer_load_dword v81, off, s[24:27], 0 offset:500 ; 4-byte Folded Reload
	buffer_load_dword v82, off, s[24:27], 0 offset:504 ; 4-byte Folded Reload
	v_ashrrev_i32_e32 v86, 31, v85
	v_lshlrev_b64 v[86:87], 2, v[85:86]
	s_waitcnt vmcnt(1)
	v_add_co_u32_e32 v86, vcc, v81, v86
	s_waitcnt vmcnt(0)
	v_addc_co_u32_e32 v87, vcc, v82, v87, vcc
	global_load_dword v88, v[86:87], off
	global_load_dword v89, v[81:82], off offset:132
	s_waitcnt vmcnt(1)
	global_store_dword v[81:82], v88, off offset:132
	v_mov_b32_e32 v84, v80
	v_mov_b32_e32 v83, v79
	v_mov_b32_e32 v82, v78
	v_mov_b32_e32 v81, v77
	s_waitcnt vmcnt(1)
	global_store_dword v[86:87], v89, off
.LBB116_707:
	s_or_b64 exec, exec, s[20:21]
	v_mov_b32_e32 v89, v85
	v_mov_b32_e32 v77, v85
	buffer_store_dword v77, off, s[24:27], 0 offset:432 ; 4-byte Folded Spill
.LBB116_708:
	s_or_b64 exec, exec, s[18:19]
.LBB116_709:
	s_andn2_saveexec_b64 s[0:1], s[0:1]
	s_cbranch_execz .LBB116_711
; %bb.710:
	ds_write2_b64 v0, v[81:82], v[83:84] offset0:68 offset1:69
	ds_write2_b64 v0, v[113:114], v[115:116] offset0:70 offset1:71
	;; [unrolled: 1-line block ×4, first 2 shown]
	buffer_load_dword v77, off, s[24:27], 0 ; 4-byte Folded Reload
	buffer_load_dword v78, off, s[24:27], 0 offset:4 ; 4-byte Folded Reload
	buffer_load_dword v79, off, s[24:27], 0 offset:8 ; 4-byte Folded Reload
	;; [unrolled: 1-line block ×3, first 2 shown]
	v_mov_b32_e32 v89, 33
	s_waitcnt vmcnt(0)
	ds_write2_b64 v0, v[77:78], v[79:80] offset0:76 offset1:77
	ds_write2_b64 v0, v[73:74], v[75:76] offset0:78 offset1:79
	;; [unrolled: 1-line block ×21, first 2 shown]
.LBB116_711:
	s_or_b64 exec, exec, s[0:1]
	v_cmp_lt_i32_e32 vcc, 33, v89
	s_waitcnt vmcnt(0) lgkmcnt(0)
	s_barrier
	s_and_saveexec_b64 s[0:1], vcc
	s_cbranch_execz .LBB116_713
; %bb.712:
	buffer_load_dword v93, off, s[24:27], 0 offset:16 ; 4-byte Folded Reload
	buffer_load_dword v94, off, s[24:27], 0 offset:20 ; 4-byte Folded Reload
	;; [unrolled: 1-line block ×4, first 2 shown]
	s_waitcnt vmcnt(0)
	v_mul_f64 v[87:88], v[117:118], v[95:96]
	v_mul_f64 v[85:86], v[119:120], v[95:96]
	v_fma_f64 v[95:96], v[119:120], v[93:94], v[87:88]
	v_fma_f64 v[85:86], v[117:118], v[93:94], -v[85:86]
	ds_read2_b64 v[91:94], v0 offset0:68 offset1:69
	s_waitcnt lgkmcnt(0)
	v_mul_f64 v[87:88], v[93:94], v[95:96]
	v_fma_f64 v[87:88], v[91:92], v[85:86], -v[87:88]
	v_mul_f64 v[91:92], v[91:92], v[95:96]
	v_add_f64 v[81:82], v[81:82], -v[87:88]
	v_fma_f64 v[91:92], v[93:94], v[85:86], v[91:92]
	v_add_f64 v[83:84], v[83:84], -v[91:92]
	ds_read2_b64 v[91:94], v0 offset0:70 offset1:71
	s_waitcnt lgkmcnt(0)
	v_mul_f64 v[87:88], v[93:94], v[95:96]
	v_fma_f64 v[87:88], v[91:92], v[85:86], -v[87:88]
	v_mul_f64 v[91:92], v[91:92], v[95:96]
	v_add_f64 v[113:114], v[113:114], -v[87:88]
	v_fma_f64 v[91:92], v[93:94], v[85:86], v[91:92]
	v_add_f64 v[115:116], v[115:116], -v[91:92]
	;; [unrolled: 8-line block ×4, first 2 shown]
	ds_read2_b64 v[91:94], v0 offset0:76 offset1:77
	buffer_load_dword v77, off, s[24:27], 0 ; 4-byte Folded Reload
	buffer_load_dword v78, off, s[24:27], 0 offset:4 ; 4-byte Folded Reload
	buffer_load_dword v79, off, s[24:27], 0 offset:8 ; 4-byte Folded Reload
	;; [unrolled: 1-line block ×3, first 2 shown]
	s_waitcnt lgkmcnt(0)
	v_mul_f64 v[87:88], v[93:94], v[95:96]
	v_fma_f64 v[87:88], v[91:92], v[85:86], -v[87:88]
	v_mul_f64 v[91:92], v[91:92], v[95:96]
	v_fma_f64 v[91:92], v[93:94], v[85:86], v[91:92]
	s_waitcnt vmcnt(2)
	v_add_f64 v[77:78], v[77:78], -v[87:88]
	s_waitcnt vmcnt(0)
	v_add_f64 v[79:80], v[79:80], -v[91:92]
	buffer_store_dword v77, off, s[24:27], 0 ; 4-byte Folded Spill
	s_nop 0
	buffer_store_dword v78, off, s[24:27], 0 offset:4 ; 4-byte Folded Spill
	buffer_store_dword v79, off, s[24:27], 0 offset:8 ; 4-byte Folded Spill
	buffer_store_dword v80, off, s[24:27], 0 offset:12 ; 4-byte Folded Spill
	ds_read2_b64 v[91:94], v0 offset0:78 offset1:79
	s_waitcnt lgkmcnt(0)
	v_mul_f64 v[87:88], v[93:94], v[95:96]
	v_fma_f64 v[87:88], v[91:92], v[85:86], -v[87:88]
	v_mul_f64 v[91:92], v[91:92], v[95:96]
	v_add_f64 v[73:74], v[73:74], -v[87:88]
	v_fma_f64 v[91:92], v[93:94], v[85:86], v[91:92]
	v_add_f64 v[75:76], v[75:76], -v[91:92]
	ds_read2_b64 v[91:94], v0 offset0:80 offset1:81
	s_waitcnt lgkmcnt(0)
	v_mul_f64 v[87:88], v[93:94], v[95:96]
	v_fma_f64 v[87:88], v[91:92], v[85:86], -v[87:88]
	v_mul_f64 v[91:92], v[91:92], v[95:96]
	v_add_f64 v[69:70], v[69:70], -v[87:88]
	v_fma_f64 v[91:92], v[93:94], v[85:86], v[91:92]
	v_add_f64 v[71:72], v[71:72], -v[91:92]
	;; [unrolled: 8-line block ×19, first 2 shown]
	ds_read2_b64 v[91:94], v0 offset0:116 offset1:117
	s_waitcnt lgkmcnt(0)
	v_mul_f64 v[87:88], v[93:94], v[95:96]
	v_fma_f64 v[87:88], v[91:92], v[85:86], -v[87:88]
	v_mul_f64 v[91:92], v[91:92], v[95:96]
	v_add_f64 v[121:122], v[121:122], -v[87:88]
	v_fma_f64 v[91:92], v[93:94], v[85:86], v[91:92]
	v_mov_b32_e32 v94, v86
	v_mov_b32_e32 v93, v85
	buffer_store_dword v93, off, s[24:27], 0 offset:16 ; 4-byte Folded Spill
	s_nop 0
	buffer_store_dword v94, off, s[24:27], 0 offset:20 ; 4-byte Folded Spill
	buffer_store_dword v95, off, s[24:27], 0 offset:24 ; 4-byte Folded Spill
	;; [unrolled: 1-line block ×3, first 2 shown]
	v_add_f64 v[123:124], v[123:124], -v[91:92]
.LBB116_713:
	s_or_b64 exec, exec, s[0:1]
	v_lshl_add_u32 v85, v89, 4, v0
	s_waitcnt vmcnt(0)
	s_barrier
	ds_write2_b64 v85, v[81:82], v[83:84] offset1:1
	s_waitcnt lgkmcnt(0)
	s_barrier
	ds_read2_b64 v[117:120], v0 offset0:68 offset1:69
	s_cmp_lt_i32 s3, 36
	v_mov_b32_e32 v85, 34
	s_cbranch_scc1 .LBB116_716
; %bb.714:
	v_add_u32_e32 v86, 0x230, v0
	s_mov_b32 s0, 35
	v_mov_b32_e32 v85, 34
.LBB116_715:                            ; =>This Inner Loop Header: Depth=1
	s_waitcnt lgkmcnt(0)
	v_cmp_gt_f64_e32 vcc, 0, v[117:118]
	v_xor_b32_e32 v87, 0x80000000, v118
	ds_read2_b64 v[91:94], v86 offset1:1
	v_xor_b32_e32 v95, 0x80000000, v120
	v_add_u32_e32 v86, 16, v86
	s_waitcnt lgkmcnt(0)
	v_xor_b32_e32 v97, 0x80000000, v94
	v_cndmask_b32_e32 v88, v118, v87, vcc
	v_cmp_gt_f64_e32 vcc, 0, v[119:120]
	v_mov_b32_e32 v87, v117
	v_cndmask_b32_e32 v96, v120, v95, vcc
	v_cmp_gt_f64_e32 vcc, 0, v[91:92]
	v_mov_b32_e32 v95, v119
	v_add_f64 v[87:88], v[87:88], v[95:96]
	v_xor_b32_e32 v95, 0x80000000, v92
	v_cndmask_b32_e32 v96, v92, v95, vcc
	v_cmp_gt_f64_e32 vcc, 0, v[93:94]
	v_mov_b32_e32 v95, v91
	v_cndmask_b32_e32 v98, v94, v97, vcc
	v_mov_b32_e32 v97, v93
	v_add_f64 v[95:96], v[95:96], v[97:98]
	v_cmp_lt_f64_e32 vcc, v[87:88], v[95:96]
	v_mov_b32_e32 v87, s0
	s_add_i32 s0, s0, 1
	s_cmp_lg_u32 s3, s0
	v_cndmask_b32_e32 v118, v118, v92, vcc
	v_cndmask_b32_e32 v117, v117, v91, vcc
	;; [unrolled: 1-line block ×5, first 2 shown]
	s_cbranch_scc1 .LBB116_715
.LBB116_716:
	s_waitcnt lgkmcnt(0)
	v_cmp_eq_f64_e32 vcc, 0, v[117:118]
	v_cmp_eq_f64_e64 s[0:1], 0, v[119:120]
	s_and_b64 s[0:1], vcc, s[0:1]
	s_and_saveexec_b64 s[18:19], s[0:1]
	s_xor_b64 s[0:1], exec, s[18:19]
; %bb.717:
	v_cmp_ne_u32_e32 vcc, 0, v90
	v_cndmask_b32_e32 v90, 35, v90, vcc
; %bb.718:
	s_andn2_saveexec_b64 s[0:1], s[0:1]
	s_cbranch_execz .LBB116_724
; %bb.719:
	v_cmp_ngt_f64_e64 s[18:19], |v[117:118]|, |v[119:120]|
	s_and_saveexec_b64 s[20:21], s[18:19]
	s_xor_b64 s[18:19], exec, s[20:21]
	s_cbranch_execz .LBB116_721
; %bb.720:
	v_div_scale_f64 v[86:87], s[20:21], v[119:120], v[119:120], v[117:118]
	v_rcp_f64_e32 v[91:92], v[86:87]
	v_fma_f64 v[93:94], -v[86:87], v[91:92], 1.0
	v_fma_f64 v[91:92], v[91:92], v[93:94], v[91:92]
	v_div_scale_f64 v[93:94], vcc, v[117:118], v[119:120], v[117:118]
	v_fma_f64 v[95:96], -v[86:87], v[91:92], 1.0
	v_fma_f64 v[91:92], v[91:92], v[95:96], v[91:92]
	v_mul_f64 v[95:96], v[93:94], v[91:92]
	v_fma_f64 v[86:87], -v[86:87], v[95:96], v[93:94]
	v_div_fmas_f64 v[86:87], v[86:87], v[91:92], v[95:96]
	v_div_fixup_f64 v[86:87], v[86:87], v[119:120], v[117:118]
	v_fma_f64 v[91:92], v[117:118], v[86:87], v[119:120]
	v_div_scale_f64 v[93:94], s[20:21], v[91:92], v[91:92], 1.0
	v_div_scale_f64 v[99:100], vcc, 1.0, v[91:92], 1.0
	v_rcp_f64_e32 v[95:96], v[93:94]
	v_fma_f64 v[97:98], -v[93:94], v[95:96], 1.0
	v_fma_f64 v[95:96], v[95:96], v[97:98], v[95:96]
	v_fma_f64 v[97:98], -v[93:94], v[95:96], 1.0
	v_fma_f64 v[95:96], v[95:96], v[97:98], v[95:96]
	v_mul_f64 v[97:98], v[99:100], v[95:96]
	v_fma_f64 v[93:94], -v[93:94], v[97:98], v[99:100]
	v_div_fmas_f64 v[93:94], v[93:94], v[95:96], v[97:98]
	v_div_fixup_f64 v[119:120], v[93:94], v[91:92], 1.0
	v_mul_f64 v[117:118], v[86:87], v[119:120]
	v_xor_b32_e32 v120, 0x80000000, v120
.LBB116_721:
	s_andn2_saveexec_b64 s[18:19], s[18:19]
	s_cbranch_execz .LBB116_723
; %bb.722:
	v_div_scale_f64 v[86:87], s[20:21], v[117:118], v[117:118], v[119:120]
	v_rcp_f64_e32 v[91:92], v[86:87]
	v_fma_f64 v[93:94], -v[86:87], v[91:92], 1.0
	v_fma_f64 v[91:92], v[91:92], v[93:94], v[91:92]
	v_div_scale_f64 v[93:94], vcc, v[119:120], v[117:118], v[119:120]
	v_fma_f64 v[95:96], -v[86:87], v[91:92], 1.0
	v_fma_f64 v[91:92], v[91:92], v[95:96], v[91:92]
	v_mul_f64 v[95:96], v[93:94], v[91:92]
	v_fma_f64 v[86:87], -v[86:87], v[95:96], v[93:94]
	v_div_fmas_f64 v[86:87], v[86:87], v[91:92], v[95:96]
	v_div_fixup_f64 v[86:87], v[86:87], v[117:118], v[119:120]
	v_fma_f64 v[91:92], v[119:120], v[86:87], v[117:118]
	v_div_scale_f64 v[93:94], s[20:21], v[91:92], v[91:92], 1.0
	v_div_scale_f64 v[99:100], vcc, 1.0, v[91:92], 1.0
	v_rcp_f64_e32 v[95:96], v[93:94]
	v_fma_f64 v[97:98], -v[93:94], v[95:96], 1.0
	v_fma_f64 v[95:96], v[95:96], v[97:98], v[95:96]
	v_fma_f64 v[97:98], -v[93:94], v[95:96], 1.0
	v_fma_f64 v[95:96], v[95:96], v[97:98], v[95:96]
	v_mul_f64 v[97:98], v[99:100], v[95:96]
	v_fma_f64 v[93:94], -v[93:94], v[97:98], v[99:100]
	v_div_fmas_f64 v[93:94], v[93:94], v[95:96], v[97:98]
	v_div_fixup_f64 v[117:118], v[93:94], v[91:92], 1.0
	v_mul_f64 v[119:120], v[86:87], -v[117:118]
.LBB116_723:
	s_or_b64 exec, exec, s[18:19]
.LBB116_724:
	s_or_b64 exec, exec, s[0:1]
	v_cmp_ne_u32_e32 vcc, v89, v85
	s_and_saveexec_b64 s[0:1], vcc
	s_xor_b64 s[0:1], exec, s[0:1]
	s_cbranch_execz .LBB116_730
; %bb.725:
	v_cmp_eq_u32_e32 vcc, 34, v89
	s_and_saveexec_b64 s[18:19], vcc
	s_cbranch_execz .LBB116_729
; %bb.726:
	v_cmp_ne_u32_e32 vcc, 34, v85
	s_xor_b64 s[20:21], s[6:7], -1
	s_and_b64 s[22:23], s[20:21], vcc
	s_and_saveexec_b64 s[20:21], s[22:23]
	s_cbranch_execz .LBB116_728
; %bb.727:
	v_mov_b32_e32 v77, v81
	v_mov_b32_e32 v78, v82
	v_mov_b32_e32 v79, v83
	v_mov_b32_e32 v80, v84
	buffer_load_dword v81, off, s[24:27], 0 offset:500 ; 4-byte Folded Reload
	buffer_load_dword v82, off, s[24:27], 0 offset:504 ; 4-byte Folded Reload
	v_ashrrev_i32_e32 v86, 31, v85
	v_lshlrev_b64 v[86:87], 2, v[85:86]
	s_waitcnt vmcnt(1)
	v_add_co_u32_e32 v86, vcc, v81, v86
	s_waitcnt vmcnt(0)
	v_addc_co_u32_e32 v87, vcc, v82, v87, vcc
	global_load_dword v88, v[86:87], off
	global_load_dword v89, v[81:82], off offset:136
	s_waitcnt vmcnt(1)
	global_store_dword v[81:82], v88, off offset:136
	v_mov_b32_e32 v84, v80
	v_mov_b32_e32 v83, v79
	;; [unrolled: 1-line block ×4, first 2 shown]
	s_waitcnt vmcnt(1)
	global_store_dword v[86:87], v89, off
.LBB116_728:
	s_or_b64 exec, exec, s[20:21]
	v_mov_b32_e32 v89, v85
	v_mov_b32_e32 v77, v85
	buffer_store_dword v77, off, s[24:27], 0 offset:432 ; 4-byte Folded Spill
.LBB116_729:
	s_or_b64 exec, exec, s[18:19]
.LBB116_730:
	s_andn2_saveexec_b64 s[0:1], s[0:1]
	s_cbranch_execz .LBB116_732
; %bb.731:
	ds_write2_b64 v0, v[113:114], v[115:116] offset0:70 offset1:71
	ds_write2_b64 v0, v[109:110], v[111:112] offset0:72 offset1:73
	;; [unrolled: 1-line block ×3, first 2 shown]
	buffer_load_dword v77, off, s[24:27], 0 ; 4-byte Folded Reload
	buffer_load_dword v78, off, s[24:27], 0 offset:4 ; 4-byte Folded Reload
	buffer_load_dword v79, off, s[24:27], 0 offset:8 ; 4-byte Folded Reload
	;; [unrolled: 1-line block ×3, first 2 shown]
	v_mov_b32_e32 v89, 34
	s_waitcnt vmcnt(0)
	ds_write2_b64 v0, v[77:78], v[79:80] offset0:76 offset1:77
	ds_write2_b64 v0, v[73:74], v[75:76] offset0:78 offset1:79
	;; [unrolled: 1-line block ×21, first 2 shown]
.LBB116_732:
	s_or_b64 exec, exec, s[0:1]
	v_cmp_lt_i32_e32 vcc, 34, v89
	s_waitcnt vmcnt(0) lgkmcnt(0)
	s_barrier
	s_and_saveexec_b64 s[0:1], vcc
	s_cbranch_execz .LBB116_734
; %bb.733:
	v_mul_f64 v[87:88], v[117:118], v[83:84]
	v_mul_f64 v[85:86], v[119:120], v[83:84]
	ds_read2_b64 v[91:94], v0 offset0:70 offset1:71
	v_fma_f64 v[83:84], v[119:120], v[81:82], v[87:88]
	v_fma_f64 v[85:86], v[117:118], v[81:82], -v[85:86]
	s_waitcnt lgkmcnt(0)
	v_mul_f64 v[87:88], v[93:94], v[83:84]
	v_mov_b32_e32 v81, v85
	v_mov_b32_e32 v82, v86
	v_fma_f64 v[87:88], v[91:92], v[85:86], -v[87:88]
	v_mul_f64 v[91:92], v[91:92], v[83:84]
	v_add_f64 v[113:114], v[113:114], -v[87:88]
	v_fma_f64 v[91:92], v[93:94], v[85:86], v[91:92]
	v_add_f64 v[115:116], v[115:116], -v[91:92]
	ds_read2_b64 v[91:94], v0 offset0:72 offset1:73
	s_waitcnt lgkmcnt(0)
	v_mul_f64 v[87:88], v[93:94], v[83:84]
	v_fma_f64 v[87:88], v[91:92], v[85:86], -v[87:88]
	v_mul_f64 v[91:92], v[91:92], v[83:84]
	v_add_f64 v[109:110], v[109:110], -v[87:88]
	v_fma_f64 v[91:92], v[93:94], v[85:86], v[91:92]
	v_add_f64 v[111:112], v[111:112], -v[91:92]
	ds_read2_b64 v[91:94], v0 offset0:74 offset1:75
	s_waitcnt lgkmcnt(0)
	v_mul_f64 v[87:88], v[93:94], v[83:84]
	v_fma_f64 v[87:88], v[91:92], v[85:86], -v[87:88]
	v_mul_f64 v[91:92], v[91:92], v[83:84]
	v_add_f64 v[105:106], v[105:106], -v[87:88]
	v_fma_f64 v[91:92], v[93:94], v[85:86], v[91:92]
	v_add_f64 v[107:108], v[107:108], -v[91:92]
	ds_read2_b64 v[91:94], v0 offset0:76 offset1:77
	buffer_load_dword v77, off, s[24:27], 0 ; 4-byte Folded Reload
	buffer_load_dword v78, off, s[24:27], 0 offset:4 ; 4-byte Folded Reload
	buffer_load_dword v79, off, s[24:27], 0 offset:8 ; 4-byte Folded Reload
	;; [unrolled: 1-line block ×3, first 2 shown]
	s_waitcnt lgkmcnt(0)
	v_mul_f64 v[87:88], v[93:94], v[83:84]
	v_fma_f64 v[87:88], v[91:92], v[85:86], -v[87:88]
	v_mul_f64 v[91:92], v[91:92], v[83:84]
	v_fma_f64 v[91:92], v[93:94], v[85:86], v[91:92]
	s_waitcnt vmcnt(2)
	v_add_f64 v[77:78], v[77:78], -v[87:88]
	s_waitcnt vmcnt(0)
	v_add_f64 v[79:80], v[79:80], -v[91:92]
	buffer_store_dword v77, off, s[24:27], 0 ; 4-byte Folded Spill
	s_nop 0
	buffer_store_dword v78, off, s[24:27], 0 offset:4 ; 4-byte Folded Spill
	buffer_store_dword v79, off, s[24:27], 0 offset:8 ; 4-byte Folded Spill
	;; [unrolled: 1-line block ×3, first 2 shown]
	ds_read2_b64 v[91:94], v0 offset0:78 offset1:79
	s_waitcnt lgkmcnt(0)
	v_mul_f64 v[87:88], v[93:94], v[83:84]
	v_fma_f64 v[87:88], v[91:92], v[85:86], -v[87:88]
	v_mul_f64 v[91:92], v[91:92], v[83:84]
	v_add_f64 v[73:74], v[73:74], -v[87:88]
	v_fma_f64 v[91:92], v[93:94], v[85:86], v[91:92]
	v_add_f64 v[75:76], v[75:76], -v[91:92]
	ds_read2_b64 v[91:94], v0 offset0:80 offset1:81
	s_waitcnt lgkmcnt(0)
	v_mul_f64 v[87:88], v[93:94], v[83:84]
	v_fma_f64 v[87:88], v[91:92], v[85:86], -v[87:88]
	v_mul_f64 v[91:92], v[91:92], v[83:84]
	v_add_f64 v[69:70], v[69:70], -v[87:88]
	v_fma_f64 v[91:92], v[93:94], v[85:86], v[91:92]
	v_add_f64 v[71:72], v[71:72], -v[91:92]
	;; [unrolled: 8-line block ×20, first 2 shown]
.LBB116_734:
	s_or_b64 exec, exec, s[0:1]
	v_lshl_add_u32 v85, v89, 4, v0
	s_waitcnt vmcnt(0)
	s_barrier
	ds_write2_b64 v85, v[113:114], v[115:116] offset1:1
	s_waitcnt lgkmcnt(0)
	s_barrier
	ds_read2_b64 v[117:120], v0 offset0:70 offset1:71
	s_cmp_lt_i32 s3, 37
	v_mov_b32_e32 v85, 35
	s_cbranch_scc1 .LBB116_737
; %bb.735:
	v_add_u32_e32 v86, 0x240, v0
	s_mov_b32 s0, 36
	v_mov_b32_e32 v85, 35
.LBB116_736:                            ; =>This Inner Loop Header: Depth=1
	s_waitcnt lgkmcnt(0)
	v_cmp_gt_f64_e32 vcc, 0, v[117:118]
	v_xor_b32_e32 v87, 0x80000000, v118
	ds_read2_b64 v[91:94], v86 offset1:1
	v_xor_b32_e32 v95, 0x80000000, v120
	v_add_u32_e32 v86, 16, v86
	s_waitcnt lgkmcnt(0)
	v_xor_b32_e32 v97, 0x80000000, v94
	v_cndmask_b32_e32 v88, v118, v87, vcc
	v_cmp_gt_f64_e32 vcc, 0, v[119:120]
	v_mov_b32_e32 v87, v117
	v_cndmask_b32_e32 v96, v120, v95, vcc
	v_cmp_gt_f64_e32 vcc, 0, v[91:92]
	v_mov_b32_e32 v95, v119
	v_add_f64 v[87:88], v[87:88], v[95:96]
	v_xor_b32_e32 v95, 0x80000000, v92
	v_cndmask_b32_e32 v96, v92, v95, vcc
	v_cmp_gt_f64_e32 vcc, 0, v[93:94]
	v_mov_b32_e32 v95, v91
	v_cndmask_b32_e32 v98, v94, v97, vcc
	v_mov_b32_e32 v97, v93
	v_add_f64 v[95:96], v[95:96], v[97:98]
	v_cmp_lt_f64_e32 vcc, v[87:88], v[95:96]
	v_mov_b32_e32 v87, s0
	s_add_i32 s0, s0, 1
	s_cmp_lg_u32 s3, s0
	v_cndmask_b32_e32 v118, v118, v92, vcc
	v_cndmask_b32_e32 v117, v117, v91, vcc
	;; [unrolled: 1-line block ×5, first 2 shown]
	s_cbranch_scc1 .LBB116_736
.LBB116_737:
	s_waitcnt lgkmcnt(0)
	v_cmp_eq_f64_e32 vcc, 0, v[117:118]
	v_cmp_eq_f64_e64 s[0:1], 0, v[119:120]
	s_and_b64 s[0:1], vcc, s[0:1]
	s_and_saveexec_b64 s[18:19], s[0:1]
	s_xor_b64 s[0:1], exec, s[18:19]
; %bb.738:
	v_cmp_ne_u32_e32 vcc, 0, v90
	v_cndmask_b32_e32 v90, 36, v90, vcc
; %bb.739:
	s_andn2_saveexec_b64 s[0:1], s[0:1]
	s_cbranch_execz .LBB116_745
; %bb.740:
	v_cmp_ngt_f64_e64 s[18:19], |v[117:118]|, |v[119:120]|
	s_and_saveexec_b64 s[20:21], s[18:19]
	s_xor_b64 s[18:19], exec, s[20:21]
	s_cbranch_execz .LBB116_742
; %bb.741:
	v_div_scale_f64 v[86:87], s[20:21], v[119:120], v[119:120], v[117:118]
	v_rcp_f64_e32 v[91:92], v[86:87]
	v_fma_f64 v[93:94], -v[86:87], v[91:92], 1.0
	v_fma_f64 v[91:92], v[91:92], v[93:94], v[91:92]
	v_div_scale_f64 v[93:94], vcc, v[117:118], v[119:120], v[117:118]
	v_fma_f64 v[95:96], -v[86:87], v[91:92], 1.0
	v_fma_f64 v[91:92], v[91:92], v[95:96], v[91:92]
	v_mul_f64 v[95:96], v[93:94], v[91:92]
	v_fma_f64 v[86:87], -v[86:87], v[95:96], v[93:94]
	v_div_fmas_f64 v[86:87], v[86:87], v[91:92], v[95:96]
	v_div_fixup_f64 v[86:87], v[86:87], v[119:120], v[117:118]
	v_fma_f64 v[91:92], v[117:118], v[86:87], v[119:120]
	v_div_scale_f64 v[93:94], s[20:21], v[91:92], v[91:92], 1.0
	v_div_scale_f64 v[99:100], vcc, 1.0, v[91:92], 1.0
	v_rcp_f64_e32 v[95:96], v[93:94]
	v_fma_f64 v[97:98], -v[93:94], v[95:96], 1.0
	v_fma_f64 v[95:96], v[95:96], v[97:98], v[95:96]
	v_fma_f64 v[97:98], -v[93:94], v[95:96], 1.0
	v_fma_f64 v[95:96], v[95:96], v[97:98], v[95:96]
	v_mul_f64 v[97:98], v[99:100], v[95:96]
	v_fma_f64 v[93:94], -v[93:94], v[97:98], v[99:100]
	v_div_fmas_f64 v[93:94], v[93:94], v[95:96], v[97:98]
	v_div_fixup_f64 v[119:120], v[93:94], v[91:92], 1.0
	v_mul_f64 v[117:118], v[86:87], v[119:120]
	v_xor_b32_e32 v120, 0x80000000, v120
.LBB116_742:
	s_andn2_saveexec_b64 s[18:19], s[18:19]
	s_cbranch_execz .LBB116_744
; %bb.743:
	v_div_scale_f64 v[86:87], s[20:21], v[117:118], v[117:118], v[119:120]
	v_rcp_f64_e32 v[91:92], v[86:87]
	v_fma_f64 v[93:94], -v[86:87], v[91:92], 1.0
	v_fma_f64 v[91:92], v[91:92], v[93:94], v[91:92]
	v_div_scale_f64 v[93:94], vcc, v[119:120], v[117:118], v[119:120]
	v_fma_f64 v[95:96], -v[86:87], v[91:92], 1.0
	v_fma_f64 v[91:92], v[91:92], v[95:96], v[91:92]
	v_mul_f64 v[95:96], v[93:94], v[91:92]
	v_fma_f64 v[86:87], -v[86:87], v[95:96], v[93:94]
	v_div_fmas_f64 v[86:87], v[86:87], v[91:92], v[95:96]
	v_div_fixup_f64 v[86:87], v[86:87], v[117:118], v[119:120]
	v_fma_f64 v[91:92], v[119:120], v[86:87], v[117:118]
	v_div_scale_f64 v[93:94], s[20:21], v[91:92], v[91:92], 1.0
	v_div_scale_f64 v[99:100], vcc, 1.0, v[91:92], 1.0
	v_rcp_f64_e32 v[95:96], v[93:94]
	v_fma_f64 v[97:98], -v[93:94], v[95:96], 1.0
	v_fma_f64 v[95:96], v[95:96], v[97:98], v[95:96]
	v_fma_f64 v[97:98], -v[93:94], v[95:96], 1.0
	v_fma_f64 v[95:96], v[95:96], v[97:98], v[95:96]
	v_mul_f64 v[97:98], v[99:100], v[95:96]
	v_fma_f64 v[93:94], -v[93:94], v[97:98], v[99:100]
	v_div_fmas_f64 v[93:94], v[93:94], v[95:96], v[97:98]
	v_div_fixup_f64 v[117:118], v[93:94], v[91:92], 1.0
	v_mul_f64 v[119:120], v[86:87], -v[117:118]
.LBB116_744:
	s_or_b64 exec, exec, s[18:19]
.LBB116_745:
	s_or_b64 exec, exec, s[0:1]
	v_cmp_ne_u32_e32 vcc, v89, v85
	s_mov_b64 s[0:1], exec
	s_and_b64 s[18:19], s[0:1], vcc
	v_mov_b32_e32 v104, v84
	s_xor_b64 s[0:1], s[18:19], s[0:1]
	v_mov_b32_e32 v103, v83
	v_mov_b32_e32 v102, v82
	;; [unrolled: 1-line block ×3, first 2 shown]
	s_mov_b64 exec, s[18:19]
	s_cbranch_execz .LBB116_751
; %bb.746:
	v_cmp_eq_u32_e32 vcc, 35, v89
	s_and_saveexec_b64 s[18:19], vcc
	s_cbranch_execz .LBB116_750
; %bb.747:
	v_cmp_ne_u32_e32 vcc, 35, v85
	s_xor_b64 s[20:21], s[6:7], -1
	s_and_b64 s[22:23], s[20:21], vcc
	s_and_saveexec_b64 s[20:21], s[22:23]
	s_cbranch_execz .LBB116_749
; %bb.748:
	buffer_load_dword v81, off, s[24:27], 0 offset:500 ; 4-byte Folded Reload
	buffer_load_dword v82, off, s[24:27], 0 offset:504 ; 4-byte Folded Reload
	v_ashrrev_i32_e32 v86, 31, v85
	v_lshlrev_b64 v[86:87], 2, v[85:86]
	s_waitcnt vmcnt(1)
	v_add_co_u32_e32 v86, vcc, v81, v86
	s_waitcnt vmcnt(0)
	v_addc_co_u32_e32 v87, vcc, v82, v87, vcc
	global_load_dword v88, v[86:87], off
	global_load_dword v89, v[81:82], off offset:140
	s_waitcnt vmcnt(1)
	global_store_dword v[81:82], v88, off offset:140
	v_mov_b32_e32 v81, v101
	v_mov_b32_e32 v82, v102
	;; [unrolled: 1-line block ×4, first 2 shown]
	s_waitcnt vmcnt(1)
	global_store_dword v[86:87], v89, off
.LBB116_749:
	s_or_b64 exec, exec, s[20:21]
	v_mov_b32_e32 v89, v85
	v_mov_b32_e32 v77, v85
	buffer_store_dword v77, off, s[24:27], 0 offset:432 ; 4-byte Folded Spill
.LBB116_750:
	s_or_b64 exec, exec, s[18:19]
.LBB116_751:
	s_andn2_saveexec_b64 s[0:1], s[0:1]
	s_cbranch_execz .LBB116_753
; %bb.752:
	ds_write2_b64 v0, v[109:110], v[111:112] offset0:72 offset1:73
	ds_write2_b64 v0, v[105:106], v[107:108] offset0:74 offset1:75
	buffer_load_dword v77, off, s[24:27], 0 ; 4-byte Folded Reload
	buffer_load_dword v78, off, s[24:27], 0 offset:4 ; 4-byte Folded Reload
	buffer_load_dword v79, off, s[24:27], 0 offset:8 ; 4-byte Folded Reload
	;; [unrolled: 1-line block ×3, first 2 shown]
	v_mov_b32_e32 v89, 35
	s_waitcnt vmcnt(0)
	ds_write2_b64 v0, v[77:78], v[79:80] offset0:76 offset1:77
	ds_write2_b64 v0, v[73:74], v[75:76] offset0:78 offset1:79
	;; [unrolled: 1-line block ×21, first 2 shown]
.LBB116_753:
	s_or_b64 exec, exec, s[0:1]
	v_cmp_lt_i32_e32 vcc, 35, v89
	s_waitcnt vmcnt(0) lgkmcnt(0)
	s_barrier
	s_and_saveexec_b64 s[0:1], vcc
	s_cbranch_execz .LBB116_755
; %bb.754:
	v_mul_f64 v[87:88], v[117:118], v[115:116]
	v_mul_f64 v[85:86], v[119:120], v[115:116]
	ds_read2_b64 v[91:94], v0 offset0:72 offset1:73
	v_fma_f64 v[115:116], v[119:120], v[113:114], v[87:88]
	v_fma_f64 v[85:86], v[117:118], v[113:114], -v[85:86]
	s_waitcnt lgkmcnt(0)
	v_mul_f64 v[87:88], v[93:94], v[115:116]
	v_mov_b32_e32 v114, v86
	v_mov_b32_e32 v113, v85
	v_fma_f64 v[87:88], v[91:92], v[85:86], -v[87:88]
	v_mul_f64 v[91:92], v[91:92], v[115:116]
	v_add_f64 v[109:110], v[109:110], -v[87:88]
	v_fma_f64 v[91:92], v[93:94], v[85:86], v[91:92]
	v_add_f64 v[111:112], v[111:112], -v[91:92]
	ds_read2_b64 v[91:94], v0 offset0:74 offset1:75
	s_waitcnt lgkmcnt(0)
	v_mul_f64 v[87:88], v[93:94], v[115:116]
	v_fma_f64 v[87:88], v[91:92], v[85:86], -v[87:88]
	v_mul_f64 v[91:92], v[91:92], v[115:116]
	v_add_f64 v[105:106], v[105:106], -v[87:88]
	v_fma_f64 v[91:92], v[93:94], v[85:86], v[91:92]
	v_add_f64 v[107:108], v[107:108], -v[91:92]
	ds_read2_b64 v[91:94], v0 offset0:76 offset1:77
	buffer_load_dword v77, off, s[24:27], 0 ; 4-byte Folded Reload
	buffer_load_dword v78, off, s[24:27], 0 offset:4 ; 4-byte Folded Reload
	buffer_load_dword v79, off, s[24:27], 0 offset:8 ; 4-byte Folded Reload
	;; [unrolled: 1-line block ×3, first 2 shown]
	s_waitcnt lgkmcnt(0)
	v_mul_f64 v[87:88], v[93:94], v[115:116]
	v_fma_f64 v[87:88], v[91:92], v[85:86], -v[87:88]
	v_mul_f64 v[91:92], v[91:92], v[115:116]
	v_fma_f64 v[91:92], v[93:94], v[85:86], v[91:92]
	s_waitcnt vmcnt(2)
	v_add_f64 v[77:78], v[77:78], -v[87:88]
	s_waitcnt vmcnt(0)
	v_add_f64 v[79:80], v[79:80], -v[91:92]
	buffer_store_dword v77, off, s[24:27], 0 ; 4-byte Folded Spill
	s_nop 0
	buffer_store_dword v78, off, s[24:27], 0 offset:4 ; 4-byte Folded Spill
	buffer_store_dword v79, off, s[24:27], 0 offset:8 ; 4-byte Folded Spill
	;; [unrolled: 1-line block ×3, first 2 shown]
	ds_read2_b64 v[91:94], v0 offset0:78 offset1:79
	s_waitcnt lgkmcnt(0)
	v_mul_f64 v[87:88], v[93:94], v[115:116]
	v_fma_f64 v[87:88], v[91:92], v[85:86], -v[87:88]
	v_mul_f64 v[91:92], v[91:92], v[115:116]
	v_add_f64 v[73:74], v[73:74], -v[87:88]
	v_fma_f64 v[91:92], v[93:94], v[85:86], v[91:92]
	v_add_f64 v[75:76], v[75:76], -v[91:92]
	ds_read2_b64 v[91:94], v0 offset0:80 offset1:81
	s_waitcnt lgkmcnt(0)
	v_mul_f64 v[87:88], v[93:94], v[115:116]
	v_fma_f64 v[87:88], v[91:92], v[85:86], -v[87:88]
	v_mul_f64 v[91:92], v[91:92], v[115:116]
	v_add_f64 v[69:70], v[69:70], -v[87:88]
	v_fma_f64 v[91:92], v[93:94], v[85:86], v[91:92]
	v_add_f64 v[71:72], v[71:72], -v[91:92]
	;; [unrolled: 8-line block ×20, first 2 shown]
.LBB116_755:
	s_or_b64 exec, exec, s[0:1]
	v_lshl_add_u32 v85, v89, 4, v0
	s_waitcnt vmcnt(0)
	s_barrier
	ds_write2_b64 v85, v[109:110], v[111:112] offset1:1
	s_waitcnt lgkmcnt(0)
	s_barrier
	ds_read2_b64 v[117:120], v0 offset0:72 offset1:73
	s_cmp_lt_i32 s3, 38
	v_mov_b32_e32 v85, 36
	s_cbranch_scc1 .LBB116_758
; %bb.756:
	v_add_u32_e32 v86, 0x250, v0
	s_mov_b32 s0, 37
	v_mov_b32_e32 v85, 36
.LBB116_757:                            ; =>This Inner Loop Header: Depth=1
	s_waitcnt lgkmcnt(0)
	v_cmp_gt_f64_e32 vcc, 0, v[117:118]
	v_xor_b32_e32 v87, 0x80000000, v118
	ds_read2_b64 v[91:94], v86 offset1:1
	v_xor_b32_e32 v95, 0x80000000, v120
	v_add_u32_e32 v86, 16, v86
	s_waitcnt lgkmcnt(0)
	v_xor_b32_e32 v97, 0x80000000, v94
	v_cndmask_b32_e32 v88, v118, v87, vcc
	v_cmp_gt_f64_e32 vcc, 0, v[119:120]
	v_mov_b32_e32 v87, v117
	v_cndmask_b32_e32 v96, v120, v95, vcc
	v_cmp_gt_f64_e32 vcc, 0, v[91:92]
	v_mov_b32_e32 v95, v119
	v_add_f64 v[87:88], v[87:88], v[95:96]
	v_xor_b32_e32 v95, 0x80000000, v92
	v_cndmask_b32_e32 v96, v92, v95, vcc
	v_cmp_gt_f64_e32 vcc, 0, v[93:94]
	v_mov_b32_e32 v95, v91
	v_cndmask_b32_e32 v98, v94, v97, vcc
	v_mov_b32_e32 v97, v93
	v_add_f64 v[95:96], v[95:96], v[97:98]
	v_cmp_lt_f64_e32 vcc, v[87:88], v[95:96]
	v_mov_b32_e32 v87, s0
	s_add_i32 s0, s0, 1
	s_cmp_lg_u32 s3, s0
	v_cndmask_b32_e32 v118, v118, v92, vcc
	v_cndmask_b32_e32 v117, v117, v91, vcc
	;; [unrolled: 1-line block ×5, first 2 shown]
	s_cbranch_scc1 .LBB116_757
.LBB116_758:
	s_waitcnt lgkmcnt(0)
	v_cmp_eq_f64_e32 vcc, 0, v[117:118]
	v_cmp_eq_f64_e64 s[0:1], 0, v[119:120]
	s_and_b64 s[0:1], vcc, s[0:1]
	s_and_saveexec_b64 s[18:19], s[0:1]
	s_xor_b64 s[0:1], exec, s[18:19]
; %bb.759:
	v_cmp_ne_u32_e32 vcc, 0, v90
	v_cndmask_b32_e32 v90, 37, v90, vcc
; %bb.760:
	s_andn2_saveexec_b64 s[0:1], s[0:1]
	s_cbranch_execz .LBB116_766
; %bb.761:
	v_cmp_ngt_f64_e64 s[18:19], |v[117:118]|, |v[119:120]|
	s_and_saveexec_b64 s[20:21], s[18:19]
	s_xor_b64 s[18:19], exec, s[20:21]
	s_cbranch_execz .LBB116_763
; %bb.762:
	v_div_scale_f64 v[86:87], s[20:21], v[119:120], v[119:120], v[117:118]
	v_rcp_f64_e32 v[91:92], v[86:87]
	v_fma_f64 v[93:94], -v[86:87], v[91:92], 1.0
	v_fma_f64 v[91:92], v[91:92], v[93:94], v[91:92]
	v_div_scale_f64 v[93:94], vcc, v[117:118], v[119:120], v[117:118]
	v_fma_f64 v[95:96], -v[86:87], v[91:92], 1.0
	v_fma_f64 v[91:92], v[91:92], v[95:96], v[91:92]
	v_mul_f64 v[95:96], v[93:94], v[91:92]
	v_fma_f64 v[86:87], -v[86:87], v[95:96], v[93:94]
	v_div_fmas_f64 v[86:87], v[86:87], v[91:92], v[95:96]
	v_div_fixup_f64 v[86:87], v[86:87], v[119:120], v[117:118]
	v_fma_f64 v[91:92], v[117:118], v[86:87], v[119:120]
	v_div_scale_f64 v[93:94], s[20:21], v[91:92], v[91:92], 1.0
	v_div_scale_f64 v[99:100], vcc, 1.0, v[91:92], 1.0
	v_rcp_f64_e32 v[95:96], v[93:94]
	v_fma_f64 v[97:98], -v[93:94], v[95:96], 1.0
	v_fma_f64 v[95:96], v[95:96], v[97:98], v[95:96]
	v_fma_f64 v[97:98], -v[93:94], v[95:96], 1.0
	v_fma_f64 v[95:96], v[95:96], v[97:98], v[95:96]
	v_mul_f64 v[97:98], v[99:100], v[95:96]
	v_fma_f64 v[93:94], -v[93:94], v[97:98], v[99:100]
	v_div_fmas_f64 v[93:94], v[93:94], v[95:96], v[97:98]
	v_div_fixup_f64 v[119:120], v[93:94], v[91:92], 1.0
	v_mul_f64 v[117:118], v[86:87], v[119:120]
	v_xor_b32_e32 v120, 0x80000000, v120
.LBB116_763:
	s_andn2_saveexec_b64 s[18:19], s[18:19]
	s_cbranch_execz .LBB116_765
; %bb.764:
	v_div_scale_f64 v[86:87], s[20:21], v[117:118], v[117:118], v[119:120]
	v_rcp_f64_e32 v[91:92], v[86:87]
	v_fma_f64 v[93:94], -v[86:87], v[91:92], 1.0
	v_fma_f64 v[91:92], v[91:92], v[93:94], v[91:92]
	v_div_scale_f64 v[93:94], vcc, v[119:120], v[117:118], v[119:120]
	v_fma_f64 v[95:96], -v[86:87], v[91:92], 1.0
	v_fma_f64 v[91:92], v[91:92], v[95:96], v[91:92]
	v_mul_f64 v[95:96], v[93:94], v[91:92]
	v_fma_f64 v[86:87], -v[86:87], v[95:96], v[93:94]
	v_div_fmas_f64 v[86:87], v[86:87], v[91:92], v[95:96]
	v_div_fixup_f64 v[86:87], v[86:87], v[117:118], v[119:120]
	v_fma_f64 v[91:92], v[119:120], v[86:87], v[117:118]
	v_div_scale_f64 v[93:94], s[20:21], v[91:92], v[91:92], 1.0
	v_div_scale_f64 v[99:100], vcc, 1.0, v[91:92], 1.0
	v_rcp_f64_e32 v[95:96], v[93:94]
	v_fma_f64 v[97:98], -v[93:94], v[95:96], 1.0
	v_fma_f64 v[95:96], v[95:96], v[97:98], v[95:96]
	v_fma_f64 v[97:98], -v[93:94], v[95:96], 1.0
	v_fma_f64 v[95:96], v[95:96], v[97:98], v[95:96]
	v_mul_f64 v[97:98], v[99:100], v[95:96]
	v_fma_f64 v[93:94], -v[93:94], v[97:98], v[99:100]
	v_div_fmas_f64 v[93:94], v[93:94], v[95:96], v[97:98]
	v_div_fixup_f64 v[117:118], v[93:94], v[91:92], 1.0
	v_mul_f64 v[119:120], v[86:87], -v[117:118]
.LBB116_765:
	s_or_b64 exec, exec, s[18:19]
.LBB116_766:
	s_or_b64 exec, exec, s[0:1]
	v_cmp_ne_u32_e32 vcc, v89, v85
	s_and_saveexec_b64 s[0:1], vcc
	s_xor_b64 s[0:1], exec, s[0:1]
	s_cbranch_execz .LBB116_772
; %bb.767:
	v_cmp_eq_u32_e32 vcc, 36, v89
	s_and_saveexec_b64 s[18:19], vcc
	s_cbranch_execz .LBB116_771
; %bb.768:
	v_cmp_ne_u32_e32 vcc, 36, v85
	s_xor_b64 s[20:21], s[6:7], -1
	s_and_b64 s[22:23], s[20:21], vcc
	s_and_saveexec_b64 s[20:21], s[22:23]
	s_cbranch_execz .LBB116_770
; %bb.769:
	buffer_load_dword v81, off, s[24:27], 0 offset:500 ; 4-byte Folded Reload
	buffer_load_dword v82, off, s[24:27], 0 offset:504 ; 4-byte Folded Reload
	v_ashrrev_i32_e32 v86, 31, v85
	v_lshlrev_b64 v[86:87], 2, v[85:86]
	s_waitcnt vmcnt(1)
	v_add_co_u32_e32 v86, vcc, v81, v86
	s_waitcnt vmcnt(0)
	v_addc_co_u32_e32 v87, vcc, v82, v87, vcc
	global_load_dword v88, v[86:87], off
	global_load_dword v89, v[81:82], off offset:144
	s_waitcnt vmcnt(1)
	global_store_dword v[81:82], v88, off offset:144
	v_mov_b32_e32 v81, v101
	v_mov_b32_e32 v82, v102
	;; [unrolled: 1-line block ×4, first 2 shown]
	s_waitcnt vmcnt(1)
	global_store_dword v[86:87], v89, off
.LBB116_770:
	s_or_b64 exec, exec, s[20:21]
	v_mov_b32_e32 v89, v85
	v_mov_b32_e32 v77, v85
	buffer_store_dword v77, off, s[24:27], 0 offset:432 ; 4-byte Folded Spill
.LBB116_771:
	s_or_b64 exec, exec, s[18:19]
.LBB116_772:
	s_andn2_saveexec_b64 s[0:1], s[0:1]
	s_cbranch_execz .LBB116_774
; %bb.773:
	ds_write2_b64 v0, v[105:106], v[107:108] offset0:74 offset1:75
	buffer_load_dword v77, off, s[24:27], 0 ; 4-byte Folded Reload
	buffer_load_dword v78, off, s[24:27], 0 offset:4 ; 4-byte Folded Reload
	buffer_load_dword v79, off, s[24:27], 0 offset:8 ; 4-byte Folded Reload
	;; [unrolled: 1-line block ×3, first 2 shown]
	v_mov_b32_e32 v89, 36
	s_waitcnt vmcnt(0)
	ds_write2_b64 v0, v[77:78], v[79:80] offset0:76 offset1:77
	ds_write2_b64 v0, v[73:74], v[75:76] offset0:78 offset1:79
	;; [unrolled: 1-line block ×21, first 2 shown]
.LBB116_774:
	s_or_b64 exec, exec, s[0:1]
	v_cmp_lt_i32_e32 vcc, 36, v89
	s_waitcnt vmcnt(0) lgkmcnt(0)
	s_barrier
	s_and_saveexec_b64 s[0:1], vcc
	s_cbranch_execz .LBB116_776
; %bb.775:
	v_mul_f64 v[87:88], v[117:118], v[111:112]
	v_mul_f64 v[85:86], v[119:120], v[111:112]
	ds_read2_b64 v[91:94], v0 offset0:74 offset1:75
	v_fma_f64 v[111:112], v[119:120], v[109:110], v[87:88]
	v_fma_f64 v[85:86], v[117:118], v[109:110], -v[85:86]
	s_waitcnt lgkmcnt(0)
	v_mul_f64 v[87:88], v[93:94], v[111:112]
	v_mov_b32_e32 v110, v86
	v_mov_b32_e32 v109, v85
	v_fma_f64 v[87:88], v[91:92], v[85:86], -v[87:88]
	v_mul_f64 v[91:92], v[91:92], v[111:112]
	v_add_f64 v[105:106], v[105:106], -v[87:88]
	v_fma_f64 v[91:92], v[93:94], v[85:86], v[91:92]
	v_add_f64 v[107:108], v[107:108], -v[91:92]
	ds_read2_b64 v[91:94], v0 offset0:76 offset1:77
	buffer_load_dword v77, off, s[24:27], 0 ; 4-byte Folded Reload
	buffer_load_dword v78, off, s[24:27], 0 offset:4 ; 4-byte Folded Reload
	buffer_load_dword v79, off, s[24:27], 0 offset:8 ; 4-byte Folded Reload
	;; [unrolled: 1-line block ×3, first 2 shown]
	s_waitcnt lgkmcnt(0)
	v_mul_f64 v[87:88], v[93:94], v[111:112]
	v_fma_f64 v[87:88], v[91:92], v[85:86], -v[87:88]
	v_mul_f64 v[91:92], v[91:92], v[111:112]
	v_fma_f64 v[91:92], v[93:94], v[85:86], v[91:92]
	s_waitcnt vmcnt(2)
	v_add_f64 v[77:78], v[77:78], -v[87:88]
	s_waitcnt vmcnt(0)
	v_add_f64 v[79:80], v[79:80], -v[91:92]
	buffer_store_dword v77, off, s[24:27], 0 ; 4-byte Folded Spill
	s_nop 0
	buffer_store_dword v78, off, s[24:27], 0 offset:4 ; 4-byte Folded Spill
	buffer_store_dword v79, off, s[24:27], 0 offset:8 ; 4-byte Folded Spill
	;; [unrolled: 1-line block ×3, first 2 shown]
	ds_read2_b64 v[91:94], v0 offset0:78 offset1:79
	s_waitcnt lgkmcnt(0)
	v_mul_f64 v[87:88], v[93:94], v[111:112]
	v_fma_f64 v[87:88], v[91:92], v[85:86], -v[87:88]
	v_mul_f64 v[91:92], v[91:92], v[111:112]
	v_add_f64 v[73:74], v[73:74], -v[87:88]
	v_fma_f64 v[91:92], v[93:94], v[85:86], v[91:92]
	v_add_f64 v[75:76], v[75:76], -v[91:92]
	ds_read2_b64 v[91:94], v0 offset0:80 offset1:81
	s_waitcnt lgkmcnt(0)
	v_mul_f64 v[87:88], v[93:94], v[111:112]
	v_fma_f64 v[87:88], v[91:92], v[85:86], -v[87:88]
	v_mul_f64 v[91:92], v[91:92], v[111:112]
	v_add_f64 v[69:70], v[69:70], -v[87:88]
	v_fma_f64 v[91:92], v[93:94], v[85:86], v[91:92]
	v_add_f64 v[71:72], v[71:72], -v[91:92]
	;; [unrolled: 8-line block ×20, first 2 shown]
.LBB116_776:
	s_or_b64 exec, exec, s[0:1]
	v_lshl_add_u32 v85, v89, 4, v0
	s_waitcnt vmcnt(0)
	s_barrier
	ds_write2_b64 v85, v[105:106], v[107:108] offset1:1
	s_waitcnt lgkmcnt(0)
	s_barrier
	ds_read2_b64 v[117:120], v0 offset0:74 offset1:75
	s_cmp_lt_i32 s3, 39
	v_mov_b32_e32 v85, 37
	s_cbranch_scc1 .LBB116_779
; %bb.777:
	v_add_u32_e32 v86, 0x260, v0
	s_mov_b32 s0, 38
	v_mov_b32_e32 v85, 37
.LBB116_778:                            ; =>This Inner Loop Header: Depth=1
	s_waitcnt lgkmcnt(0)
	v_cmp_gt_f64_e32 vcc, 0, v[117:118]
	v_xor_b32_e32 v87, 0x80000000, v118
	ds_read2_b64 v[91:94], v86 offset1:1
	v_xor_b32_e32 v95, 0x80000000, v120
	v_add_u32_e32 v86, 16, v86
	s_waitcnt lgkmcnt(0)
	v_xor_b32_e32 v97, 0x80000000, v94
	v_cndmask_b32_e32 v88, v118, v87, vcc
	v_cmp_gt_f64_e32 vcc, 0, v[119:120]
	v_mov_b32_e32 v87, v117
	v_cndmask_b32_e32 v96, v120, v95, vcc
	v_cmp_gt_f64_e32 vcc, 0, v[91:92]
	v_mov_b32_e32 v95, v119
	v_add_f64 v[87:88], v[87:88], v[95:96]
	v_xor_b32_e32 v95, 0x80000000, v92
	v_cndmask_b32_e32 v96, v92, v95, vcc
	v_cmp_gt_f64_e32 vcc, 0, v[93:94]
	v_mov_b32_e32 v95, v91
	v_cndmask_b32_e32 v98, v94, v97, vcc
	v_mov_b32_e32 v97, v93
	v_add_f64 v[95:96], v[95:96], v[97:98]
	v_cmp_lt_f64_e32 vcc, v[87:88], v[95:96]
	v_mov_b32_e32 v87, s0
	s_add_i32 s0, s0, 1
	s_cmp_lg_u32 s3, s0
	v_cndmask_b32_e32 v118, v118, v92, vcc
	v_cndmask_b32_e32 v117, v117, v91, vcc
	;; [unrolled: 1-line block ×5, first 2 shown]
	s_cbranch_scc1 .LBB116_778
.LBB116_779:
	s_waitcnt lgkmcnt(0)
	v_cmp_eq_f64_e32 vcc, 0, v[117:118]
	v_cmp_eq_f64_e64 s[0:1], 0, v[119:120]
	s_and_b64 s[0:1], vcc, s[0:1]
	s_and_saveexec_b64 s[18:19], s[0:1]
	s_xor_b64 s[0:1], exec, s[18:19]
; %bb.780:
	v_cmp_ne_u32_e32 vcc, 0, v90
	v_cndmask_b32_e32 v90, 38, v90, vcc
; %bb.781:
	s_andn2_saveexec_b64 s[0:1], s[0:1]
	s_cbranch_execz .LBB116_787
; %bb.782:
	v_cmp_ngt_f64_e64 s[18:19], |v[117:118]|, |v[119:120]|
	s_and_saveexec_b64 s[20:21], s[18:19]
	s_xor_b64 s[18:19], exec, s[20:21]
	s_cbranch_execz .LBB116_784
; %bb.783:
	v_div_scale_f64 v[86:87], s[20:21], v[119:120], v[119:120], v[117:118]
	v_rcp_f64_e32 v[91:92], v[86:87]
	v_fma_f64 v[93:94], -v[86:87], v[91:92], 1.0
	v_fma_f64 v[91:92], v[91:92], v[93:94], v[91:92]
	v_div_scale_f64 v[93:94], vcc, v[117:118], v[119:120], v[117:118]
	v_fma_f64 v[95:96], -v[86:87], v[91:92], 1.0
	v_fma_f64 v[91:92], v[91:92], v[95:96], v[91:92]
	v_mul_f64 v[95:96], v[93:94], v[91:92]
	v_fma_f64 v[86:87], -v[86:87], v[95:96], v[93:94]
	v_div_fmas_f64 v[86:87], v[86:87], v[91:92], v[95:96]
	v_div_fixup_f64 v[86:87], v[86:87], v[119:120], v[117:118]
	v_fma_f64 v[91:92], v[117:118], v[86:87], v[119:120]
	v_div_scale_f64 v[93:94], s[20:21], v[91:92], v[91:92], 1.0
	v_div_scale_f64 v[99:100], vcc, 1.0, v[91:92], 1.0
	v_rcp_f64_e32 v[95:96], v[93:94]
	v_fma_f64 v[97:98], -v[93:94], v[95:96], 1.0
	v_fma_f64 v[95:96], v[95:96], v[97:98], v[95:96]
	v_fma_f64 v[97:98], -v[93:94], v[95:96], 1.0
	v_fma_f64 v[95:96], v[95:96], v[97:98], v[95:96]
	v_mul_f64 v[97:98], v[99:100], v[95:96]
	v_fma_f64 v[93:94], -v[93:94], v[97:98], v[99:100]
	v_div_fmas_f64 v[93:94], v[93:94], v[95:96], v[97:98]
	v_div_fixup_f64 v[119:120], v[93:94], v[91:92], 1.0
	v_mul_f64 v[117:118], v[86:87], v[119:120]
	v_xor_b32_e32 v120, 0x80000000, v120
.LBB116_784:
	s_andn2_saveexec_b64 s[18:19], s[18:19]
	s_cbranch_execz .LBB116_786
; %bb.785:
	v_div_scale_f64 v[86:87], s[20:21], v[117:118], v[117:118], v[119:120]
	v_rcp_f64_e32 v[91:92], v[86:87]
	v_fma_f64 v[93:94], -v[86:87], v[91:92], 1.0
	v_fma_f64 v[91:92], v[91:92], v[93:94], v[91:92]
	v_div_scale_f64 v[93:94], vcc, v[119:120], v[117:118], v[119:120]
	v_fma_f64 v[95:96], -v[86:87], v[91:92], 1.0
	v_fma_f64 v[91:92], v[91:92], v[95:96], v[91:92]
	v_mul_f64 v[95:96], v[93:94], v[91:92]
	v_fma_f64 v[86:87], -v[86:87], v[95:96], v[93:94]
	v_div_fmas_f64 v[86:87], v[86:87], v[91:92], v[95:96]
	v_div_fixup_f64 v[86:87], v[86:87], v[117:118], v[119:120]
	v_fma_f64 v[91:92], v[119:120], v[86:87], v[117:118]
	v_div_scale_f64 v[93:94], s[20:21], v[91:92], v[91:92], 1.0
	v_div_scale_f64 v[99:100], vcc, 1.0, v[91:92], 1.0
	v_rcp_f64_e32 v[95:96], v[93:94]
	v_fma_f64 v[97:98], -v[93:94], v[95:96], 1.0
	v_fma_f64 v[95:96], v[95:96], v[97:98], v[95:96]
	v_fma_f64 v[97:98], -v[93:94], v[95:96], 1.0
	v_fma_f64 v[95:96], v[95:96], v[97:98], v[95:96]
	v_mul_f64 v[97:98], v[99:100], v[95:96]
	v_fma_f64 v[93:94], -v[93:94], v[97:98], v[99:100]
	v_div_fmas_f64 v[93:94], v[93:94], v[95:96], v[97:98]
	v_div_fixup_f64 v[117:118], v[93:94], v[91:92], 1.0
	v_mul_f64 v[119:120], v[86:87], -v[117:118]
.LBB116_786:
	s_or_b64 exec, exec, s[18:19]
.LBB116_787:
	s_or_b64 exec, exec, s[0:1]
	v_cmp_ne_u32_e32 vcc, v89, v85
	s_and_saveexec_b64 s[0:1], vcc
	s_xor_b64 s[0:1], exec, s[0:1]
	s_cbranch_execz .LBB116_793
; %bb.788:
	v_cmp_eq_u32_e32 vcc, 37, v89
	s_and_saveexec_b64 s[18:19], vcc
	s_cbranch_execz .LBB116_792
; %bb.789:
	v_cmp_ne_u32_e32 vcc, 37, v85
	s_xor_b64 s[20:21], s[6:7], -1
	s_and_b64 s[22:23], s[20:21], vcc
	s_and_saveexec_b64 s[20:21], s[22:23]
	s_cbranch_execz .LBB116_791
; %bb.790:
	buffer_load_dword v81, off, s[24:27], 0 offset:500 ; 4-byte Folded Reload
	buffer_load_dword v82, off, s[24:27], 0 offset:504 ; 4-byte Folded Reload
	v_ashrrev_i32_e32 v86, 31, v85
	v_lshlrev_b64 v[86:87], 2, v[85:86]
	s_waitcnt vmcnt(1)
	v_add_co_u32_e32 v86, vcc, v81, v86
	s_waitcnt vmcnt(0)
	v_addc_co_u32_e32 v87, vcc, v82, v87, vcc
	global_load_dword v88, v[86:87], off
	global_load_dword v89, v[81:82], off offset:148
	s_waitcnt vmcnt(1)
	global_store_dword v[81:82], v88, off offset:148
	v_mov_b32_e32 v81, v101
	v_mov_b32_e32 v82, v102
	;; [unrolled: 1-line block ×4, first 2 shown]
	s_waitcnt vmcnt(1)
	global_store_dword v[86:87], v89, off
.LBB116_791:
	s_or_b64 exec, exec, s[20:21]
	v_mov_b32_e32 v89, v85
	v_mov_b32_e32 v77, v85
	buffer_store_dword v77, off, s[24:27], 0 offset:432 ; 4-byte Folded Spill
.LBB116_792:
	s_or_b64 exec, exec, s[18:19]
.LBB116_793:
	s_andn2_saveexec_b64 s[0:1], s[0:1]
	s_cbranch_execz .LBB116_795
; %bb.794:
	buffer_load_dword v77, off, s[24:27], 0 ; 4-byte Folded Reload
	buffer_load_dword v78, off, s[24:27], 0 offset:4 ; 4-byte Folded Reload
	buffer_load_dword v79, off, s[24:27], 0 offset:8 ; 4-byte Folded Reload
	;; [unrolled: 1-line block ×3, first 2 shown]
	v_mov_b32_e32 v89, 37
	s_waitcnt vmcnt(0)
	ds_write2_b64 v0, v[77:78], v[79:80] offset0:76 offset1:77
	ds_write2_b64 v0, v[73:74], v[75:76] offset0:78 offset1:79
	;; [unrolled: 1-line block ×21, first 2 shown]
.LBB116_795:
	s_or_b64 exec, exec, s[0:1]
	v_cmp_lt_i32_e32 vcc, 37, v89
	s_waitcnt vmcnt(0) lgkmcnt(0)
	s_barrier
	s_and_saveexec_b64 s[0:1], vcc
	s_cbranch_execz .LBB116_797
; %bb.796:
	ds_read2_b64 v[91:94], v0 offset0:76 offset1:77
	buffer_load_dword v77, off, s[24:27], 0 ; 4-byte Folded Reload
	buffer_load_dword v78, off, s[24:27], 0 offset:4 ; 4-byte Folded Reload
	buffer_load_dword v79, off, s[24:27], 0 offset:8 ; 4-byte Folded Reload
	;; [unrolled: 1-line block ×3, first 2 shown]
	v_mul_f64 v[83:84], v[117:118], v[107:108]
	v_mul_f64 v[85:86], v[119:120], v[107:108]
	v_fma_f64 v[107:108], v[119:120], v[105:106], v[83:84]
	v_fma_f64 v[85:86], v[117:118], v[105:106], -v[85:86]
	s_waitcnt lgkmcnt(0)
	v_mul_f64 v[81:82], v[93:94], v[107:108]
	v_mul_f64 v[87:88], v[91:92], v[107:108]
	v_mov_b32_e32 v106, v86
	v_mov_b32_e32 v105, v85
	v_fma_f64 v[81:82], v[91:92], v[85:86], -v[81:82]
	v_fma_f64 v[87:88], v[93:94], v[85:86], v[87:88]
	s_waitcnt vmcnt(2)
	v_add_f64 v[77:78], v[77:78], -v[81:82]
	s_waitcnt vmcnt(0)
	v_add_f64 v[79:80], v[79:80], -v[87:88]
	buffer_store_dword v77, off, s[24:27], 0 ; 4-byte Folded Spill
	s_nop 0
	buffer_store_dword v78, off, s[24:27], 0 offset:4 ; 4-byte Folded Spill
	buffer_store_dword v79, off, s[24:27], 0 offset:8 ; 4-byte Folded Spill
	;; [unrolled: 1-line block ×3, first 2 shown]
	ds_read2_b64 v[91:94], v0 offset0:78 offset1:79
	s_waitcnt lgkmcnt(0)
	v_mul_f64 v[81:82], v[93:94], v[107:108]
	v_mul_f64 v[87:88], v[91:92], v[107:108]
	v_fma_f64 v[81:82], v[91:92], v[85:86], -v[81:82]
	v_fma_f64 v[87:88], v[93:94], v[85:86], v[87:88]
	ds_read2_b64 v[91:94], v0 offset0:80 offset1:81
	v_add_f64 v[73:74], v[73:74], -v[81:82]
	v_add_f64 v[75:76], v[75:76], -v[87:88]
	s_waitcnt lgkmcnt(0)
	v_mul_f64 v[81:82], v[93:94], v[107:108]
	v_mul_f64 v[87:88], v[91:92], v[107:108]
	v_fma_f64 v[81:82], v[91:92], v[85:86], -v[81:82]
	v_fma_f64 v[87:88], v[93:94], v[85:86], v[87:88]
	ds_read2_b64 v[91:94], v0 offset0:82 offset1:83
	v_add_f64 v[69:70], v[69:70], -v[81:82]
	v_add_f64 v[71:72], v[71:72], -v[87:88]
	;; [unrolled: 8-line block ×19, first 2 shown]
	s_waitcnt lgkmcnt(0)
	v_mul_f64 v[81:82], v[93:94], v[107:108]
	v_mul_f64 v[87:88], v[91:92], v[107:108]
	v_fma_f64 v[81:82], v[91:92], v[85:86], -v[81:82]
	v_fma_f64 v[87:88], v[93:94], v[85:86], v[87:88]
	v_add_f64 v[121:122], v[121:122], -v[81:82]
	v_add_f64 v[123:124], v[123:124], -v[87:88]
	v_mov_b32_e32 v81, v101
	v_mov_b32_e32 v82, v102
	;; [unrolled: 1-line block ×4, first 2 shown]
.LBB116_797:
	s_or_b64 exec, exec, s[0:1]
	s_waitcnt vmcnt(0)
	s_barrier
	buffer_load_dword v77, off, s[24:27], 0 ; 4-byte Folded Reload
	buffer_load_dword v78, off, s[24:27], 0 offset:4 ; 4-byte Folded Reload
	buffer_load_dword v79, off, s[24:27], 0 offset:8 ; 4-byte Folded Reload
	;; [unrolled: 1-line block ×3, first 2 shown]
	v_lshl_add_u32 v85, v89, 4, v0
	s_cmp_lt_i32 s3, 40
	s_waitcnt vmcnt(0)
	ds_write2_b64 v85, v[77:78], v[79:80] offset1:1
	s_waitcnt lgkmcnt(0)
	s_barrier
	ds_read2_b64 v[117:120], v0 offset0:76 offset1:77
	v_mov_b32_e32 v85, 38
	s_cbranch_scc1 .LBB116_800
; %bb.798:
	v_add_u32_e32 v86, 0x270, v0
	s_mov_b32 s0, 39
	v_mov_b32_e32 v85, 38
.LBB116_799:                            ; =>This Inner Loop Header: Depth=1
	s_waitcnt lgkmcnt(0)
	v_cmp_gt_f64_e32 vcc, 0, v[117:118]
	v_xor_b32_e32 v87, 0x80000000, v118
	ds_read2_b64 v[91:94], v86 offset1:1
	v_xor_b32_e32 v95, 0x80000000, v120
	v_add_u32_e32 v86, 16, v86
	s_waitcnt lgkmcnt(0)
	v_xor_b32_e32 v97, 0x80000000, v94
	v_cndmask_b32_e32 v88, v118, v87, vcc
	v_cmp_gt_f64_e32 vcc, 0, v[119:120]
	v_mov_b32_e32 v87, v117
	v_cndmask_b32_e32 v96, v120, v95, vcc
	v_cmp_gt_f64_e32 vcc, 0, v[91:92]
	v_mov_b32_e32 v95, v119
	v_add_f64 v[87:88], v[87:88], v[95:96]
	v_xor_b32_e32 v95, 0x80000000, v92
	v_cndmask_b32_e32 v96, v92, v95, vcc
	v_cmp_gt_f64_e32 vcc, 0, v[93:94]
	v_mov_b32_e32 v95, v91
	v_cndmask_b32_e32 v98, v94, v97, vcc
	v_mov_b32_e32 v97, v93
	v_add_f64 v[95:96], v[95:96], v[97:98]
	v_cmp_lt_f64_e32 vcc, v[87:88], v[95:96]
	v_mov_b32_e32 v87, s0
	s_add_i32 s0, s0, 1
	s_cmp_lg_u32 s3, s0
	v_cndmask_b32_e32 v118, v118, v92, vcc
	v_cndmask_b32_e32 v117, v117, v91, vcc
	;; [unrolled: 1-line block ×5, first 2 shown]
	s_cbranch_scc1 .LBB116_799
.LBB116_800:
	s_waitcnt lgkmcnt(0)
	v_cmp_eq_f64_e32 vcc, 0, v[117:118]
	v_cmp_eq_f64_e64 s[0:1], 0, v[119:120]
	s_and_b64 s[0:1], vcc, s[0:1]
	s_and_saveexec_b64 s[18:19], s[0:1]
	s_xor_b64 s[0:1], exec, s[18:19]
; %bb.801:
	v_cmp_ne_u32_e32 vcc, 0, v90
	v_cndmask_b32_e32 v90, 39, v90, vcc
; %bb.802:
	s_andn2_saveexec_b64 s[0:1], s[0:1]
	s_cbranch_execz .LBB116_808
; %bb.803:
	v_cmp_ngt_f64_e64 s[18:19], |v[117:118]|, |v[119:120]|
	s_and_saveexec_b64 s[20:21], s[18:19]
	s_xor_b64 s[18:19], exec, s[20:21]
	s_cbranch_execz .LBB116_805
; %bb.804:
	v_div_scale_f64 v[86:87], s[20:21], v[119:120], v[119:120], v[117:118]
	v_rcp_f64_e32 v[91:92], v[86:87]
	v_fma_f64 v[93:94], -v[86:87], v[91:92], 1.0
	v_fma_f64 v[91:92], v[91:92], v[93:94], v[91:92]
	v_div_scale_f64 v[93:94], vcc, v[117:118], v[119:120], v[117:118]
	v_fma_f64 v[95:96], -v[86:87], v[91:92], 1.0
	v_fma_f64 v[91:92], v[91:92], v[95:96], v[91:92]
	v_mul_f64 v[95:96], v[93:94], v[91:92]
	v_fma_f64 v[86:87], -v[86:87], v[95:96], v[93:94]
	v_div_fmas_f64 v[86:87], v[86:87], v[91:92], v[95:96]
	v_div_fixup_f64 v[86:87], v[86:87], v[119:120], v[117:118]
	v_fma_f64 v[91:92], v[117:118], v[86:87], v[119:120]
	v_div_scale_f64 v[93:94], s[20:21], v[91:92], v[91:92], 1.0
	v_div_scale_f64 v[99:100], vcc, 1.0, v[91:92], 1.0
	v_rcp_f64_e32 v[95:96], v[93:94]
	v_fma_f64 v[97:98], -v[93:94], v[95:96], 1.0
	v_fma_f64 v[95:96], v[95:96], v[97:98], v[95:96]
	v_fma_f64 v[97:98], -v[93:94], v[95:96], 1.0
	v_fma_f64 v[95:96], v[95:96], v[97:98], v[95:96]
	v_mul_f64 v[97:98], v[99:100], v[95:96]
	v_fma_f64 v[93:94], -v[93:94], v[97:98], v[99:100]
	v_div_fmas_f64 v[93:94], v[93:94], v[95:96], v[97:98]
	v_div_fixup_f64 v[119:120], v[93:94], v[91:92], 1.0
	v_mul_f64 v[117:118], v[86:87], v[119:120]
	v_xor_b32_e32 v120, 0x80000000, v120
.LBB116_805:
	s_andn2_saveexec_b64 s[18:19], s[18:19]
	s_cbranch_execz .LBB116_807
; %bb.806:
	v_div_scale_f64 v[86:87], s[20:21], v[117:118], v[117:118], v[119:120]
	v_rcp_f64_e32 v[91:92], v[86:87]
	v_fma_f64 v[93:94], -v[86:87], v[91:92], 1.0
	v_fma_f64 v[91:92], v[91:92], v[93:94], v[91:92]
	v_div_scale_f64 v[93:94], vcc, v[119:120], v[117:118], v[119:120]
	v_fma_f64 v[95:96], -v[86:87], v[91:92], 1.0
	v_fma_f64 v[91:92], v[91:92], v[95:96], v[91:92]
	v_mul_f64 v[95:96], v[93:94], v[91:92]
	v_fma_f64 v[86:87], -v[86:87], v[95:96], v[93:94]
	v_div_fmas_f64 v[86:87], v[86:87], v[91:92], v[95:96]
	v_div_fixup_f64 v[86:87], v[86:87], v[117:118], v[119:120]
	v_fma_f64 v[91:92], v[119:120], v[86:87], v[117:118]
	v_div_scale_f64 v[93:94], s[20:21], v[91:92], v[91:92], 1.0
	v_div_scale_f64 v[99:100], vcc, 1.0, v[91:92], 1.0
	v_rcp_f64_e32 v[95:96], v[93:94]
	v_fma_f64 v[97:98], -v[93:94], v[95:96], 1.0
	v_fma_f64 v[95:96], v[95:96], v[97:98], v[95:96]
	v_fma_f64 v[97:98], -v[93:94], v[95:96], 1.0
	v_fma_f64 v[95:96], v[95:96], v[97:98], v[95:96]
	v_mul_f64 v[97:98], v[99:100], v[95:96]
	v_fma_f64 v[93:94], -v[93:94], v[97:98], v[99:100]
	v_div_fmas_f64 v[93:94], v[93:94], v[95:96], v[97:98]
	v_div_fixup_f64 v[117:118], v[93:94], v[91:92], 1.0
	v_mul_f64 v[119:120], v[86:87], -v[117:118]
.LBB116_807:
	s_or_b64 exec, exec, s[18:19]
.LBB116_808:
	s_or_b64 exec, exec, s[0:1]
	v_cmp_ne_u32_e32 vcc, v89, v85
	s_and_saveexec_b64 s[0:1], vcc
	s_xor_b64 s[0:1], exec, s[0:1]
	s_cbranch_execz .LBB116_814
; %bb.809:
	v_cmp_eq_u32_e32 vcc, 38, v89
	s_and_saveexec_b64 s[18:19], vcc
	s_cbranch_execz .LBB116_813
; %bb.810:
	v_cmp_ne_u32_e32 vcc, 38, v85
	s_xor_b64 s[20:21], s[6:7], -1
	s_and_b64 s[22:23], s[20:21], vcc
	s_and_saveexec_b64 s[20:21], s[22:23]
	s_cbranch_execz .LBB116_812
; %bb.811:
	buffer_load_dword v81, off, s[24:27], 0 offset:500 ; 4-byte Folded Reload
	buffer_load_dword v82, off, s[24:27], 0 offset:504 ; 4-byte Folded Reload
	v_ashrrev_i32_e32 v86, 31, v85
	v_lshlrev_b64 v[86:87], 2, v[85:86]
	s_waitcnt vmcnt(1)
	v_add_co_u32_e32 v86, vcc, v81, v86
	s_waitcnt vmcnt(0)
	v_addc_co_u32_e32 v87, vcc, v82, v87, vcc
	global_load_dword v88, v[86:87], off
	global_load_dword v89, v[81:82], off offset:152
	s_waitcnt vmcnt(1)
	global_store_dword v[81:82], v88, off offset:152
	v_mov_b32_e32 v81, v101
	v_mov_b32_e32 v82, v102
	;; [unrolled: 1-line block ×4, first 2 shown]
	s_waitcnt vmcnt(1)
	global_store_dword v[86:87], v89, off
.LBB116_812:
	s_or_b64 exec, exec, s[20:21]
	v_mov_b32_e32 v89, v85
	v_mov_b32_e32 v77, v85
	buffer_store_dword v77, off, s[24:27], 0 offset:432 ; 4-byte Folded Spill
.LBB116_813:
	s_or_b64 exec, exec, s[18:19]
.LBB116_814:
	s_andn2_saveexec_b64 s[0:1], s[0:1]
	s_cbranch_execz .LBB116_816
; %bb.815:
	v_mov_b32_e32 v89, 38
	ds_write2_b64 v0, v[73:74], v[75:76] offset0:78 offset1:79
	ds_write2_b64 v0, v[69:70], v[71:72] offset0:80 offset1:81
	;; [unrolled: 1-line block ×20, first 2 shown]
.LBB116_816:
	s_or_b64 exec, exec, s[0:1]
	v_cmp_lt_i32_e32 vcc, 38, v89
	s_waitcnt vmcnt(0) lgkmcnt(0)
	s_barrier
	s_and_saveexec_b64 s[0:1], vcc
	s_cbranch_execz .LBB116_818
; %bb.817:
	buffer_load_dword v77, off, s[24:27], 0 ; 4-byte Folded Reload
	buffer_load_dword v78, off, s[24:27], 0 offset:4 ; 4-byte Folded Reload
	buffer_load_dword v79, off, s[24:27], 0 offset:8 ; 4-byte Folded Reload
	;; [unrolled: 1-line block ×3, first 2 shown]
	ds_read2_b64 v[91:94], v0 offset0:78 offset1:79
	s_waitcnt vmcnt(0)
	v_mul_f64 v[85:86], v[119:120], v[79:80]
	v_mul_f64 v[79:80], v[117:118], v[79:80]
	v_fma_f64 v[85:86], v[117:118], v[77:78], -v[85:86]
	v_fma_f64 v[79:80], v[119:120], v[77:78], v[79:80]
	s_waitcnt lgkmcnt(0)
	v_mul_f64 v[77:78], v[93:94], v[79:80]
	v_mul_f64 v[87:88], v[91:92], v[79:80]
	v_fma_f64 v[77:78], v[91:92], v[85:86], -v[77:78]
	v_fma_f64 v[87:88], v[93:94], v[85:86], v[87:88]
	ds_read2_b64 v[91:94], v0 offset0:80 offset1:81
	v_add_f64 v[73:74], v[73:74], -v[77:78]
	v_add_f64 v[75:76], v[75:76], -v[87:88]
	s_waitcnt lgkmcnt(0)
	v_mul_f64 v[77:78], v[93:94], v[79:80]
	v_mul_f64 v[87:88], v[91:92], v[79:80]
	v_fma_f64 v[77:78], v[91:92], v[85:86], -v[77:78]
	v_fma_f64 v[87:88], v[93:94], v[85:86], v[87:88]
	ds_read2_b64 v[91:94], v0 offset0:82 offset1:83
	v_add_f64 v[69:70], v[69:70], -v[77:78]
	v_add_f64 v[71:72], v[71:72], -v[87:88]
	;; [unrolled: 8-line block ×19, first 2 shown]
	s_waitcnt lgkmcnt(0)
	v_mul_f64 v[77:78], v[93:94], v[79:80]
	v_mul_f64 v[87:88], v[91:92], v[79:80]
	v_fma_f64 v[77:78], v[91:92], v[85:86], -v[77:78]
	v_fma_f64 v[87:88], v[93:94], v[85:86], v[87:88]
	v_add_f64 v[121:122], v[121:122], -v[77:78]
	v_add_f64 v[123:124], v[123:124], -v[87:88]
	v_mov_b32_e32 v77, v85
	v_mov_b32_e32 v78, v86
	buffer_store_dword v77, off, s[24:27], 0 ; 4-byte Folded Spill
	s_nop 0
	buffer_store_dword v78, off, s[24:27], 0 offset:4 ; 4-byte Folded Spill
	buffer_store_dword v79, off, s[24:27], 0 offset:8 ; 4-byte Folded Spill
	;; [unrolled: 1-line block ×3, first 2 shown]
.LBB116_818:
	s_or_b64 exec, exec, s[0:1]
	v_lshl_add_u32 v85, v89, 4, v0
	s_waitcnt vmcnt(0)
	s_barrier
	ds_write2_b64 v85, v[73:74], v[75:76] offset1:1
	s_waitcnt lgkmcnt(0)
	s_barrier
	ds_read2_b64 v[117:120], v0 offset0:78 offset1:79
	s_cmp_lt_i32 s3, 41
	v_mov_b32_e32 v85, 39
	s_cbranch_scc1 .LBB116_821
; %bb.819:
	v_add_u32_e32 v86, 0x280, v0
	s_mov_b32 s0, 40
	v_mov_b32_e32 v85, 39
.LBB116_820:                            ; =>This Inner Loop Header: Depth=1
	s_waitcnt lgkmcnt(0)
	v_cmp_gt_f64_e32 vcc, 0, v[117:118]
	v_xor_b32_e32 v87, 0x80000000, v118
	ds_read2_b64 v[91:94], v86 offset1:1
	v_xor_b32_e32 v95, 0x80000000, v120
	v_add_u32_e32 v86, 16, v86
	s_waitcnt lgkmcnt(0)
	v_xor_b32_e32 v97, 0x80000000, v94
	v_cndmask_b32_e32 v88, v118, v87, vcc
	v_cmp_gt_f64_e32 vcc, 0, v[119:120]
	v_mov_b32_e32 v87, v117
	v_cndmask_b32_e32 v96, v120, v95, vcc
	v_cmp_gt_f64_e32 vcc, 0, v[91:92]
	v_mov_b32_e32 v95, v119
	v_add_f64 v[87:88], v[87:88], v[95:96]
	v_xor_b32_e32 v95, 0x80000000, v92
	v_cndmask_b32_e32 v96, v92, v95, vcc
	v_cmp_gt_f64_e32 vcc, 0, v[93:94]
	v_mov_b32_e32 v95, v91
	v_cndmask_b32_e32 v98, v94, v97, vcc
	v_mov_b32_e32 v97, v93
	v_add_f64 v[95:96], v[95:96], v[97:98]
	v_cmp_lt_f64_e32 vcc, v[87:88], v[95:96]
	v_mov_b32_e32 v87, s0
	s_add_i32 s0, s0, 1
	s_cmp_lg_u32 s3, s0
	v_cndmask_b32_e32 v118, v118, v92, vcc
	v_cndmask_b32_e32 v117, v117, v91, vcc
	;; [unrolled: 1-line block ×5, first 2 shown]
	s_cbranch_scc1 .LBB116_820
.LBB116_821:
	s_waitcnt lgkmcnt(0)
	v_cmp_eq_f64_e32 vcc, 0, v[117:118]
	v_cmp_eq_f64_e64 s[0:1], 0, v[119:120]
	s_and_b64 s[0:1], vcc, s[0:1]
	s_and_saveexec_b64 s[18:19], s[0:1]
	s_xor_b64 s[0:1], exec, s[18:19]
; %bb.822:
	v_cmp_ne_u32_e32 vcc, 0, v90
	v_cndmask_b32_e32 v90, 40, v90, vcc
; %bb.823:
	s_andn2_saveexec_b64 s[0:1], s[0:1]
	s_cbranch_execz .LBB116_829
; %bb.824:
	v_cmp_ngt_f64_e64 s[18:19], |v[117:118]|, |v[119:120]|
	s_and_saveexec_b64 s[20:21], s[18:19]
	s_xor_b64 s[18:19], exec, s[20:21]
	s_cbranch_execz .LBB116_826
; %bb.825:
	v_div_scale_f64 v[86:87], s[20:21], v[119:120], v[119:120], v[117:118]
	v_rcp_f64_e32 v[91:92], v[86:87]
	v_fma_f64 v[93:94], -v[86:87], v[91:92], 1.0
	v_fma_f64 v[91:92], v[91:92], v[93:94], v[91:92]
	v_div_scale_f64 v[93:94], vcc, v[117:118], v[119:120], v[117:118]
	v_fma_f64 v[95:96], -v[86:87], v[91:92], 1.0
	v_fma_f64 v[91:92], v[91:92], v[95:96], v[91:92]
	v_mul_f64 v[95:96], v[93:94], v[91:92]
	v_fma_f64 v[86:87], -v[86:87], v[95:96], v[93:94]
	v_div_fmas_f64 v[86:87], v[86:87], v[91:92], v[95:96]
	v_div_fixup_f64 v[86:87], v[86:87], v[119:120], v[117:118]
	v_fma_f64 v[91:92], v[117:118], v[86:87], v[119:120]
	v_div_scale_f64 v[93:94], s[20:21], v[91:92], v[91:92], 1.0
	v_div_scale_f64 v[99:100], vcc, 1.0, v[91:92], 1.0
	v_rcp_f64_e32 v[95:96], v[93:94]
	v_fma_f64 v[97:98], -v[93:94], v[95:96], 1.0
	v_fma_f64 v[95:96], v[95:96], v[97:98], v[95:96]
	v_fma_f64 v[97:98], -v[93:94], v[95:96], 1.0
	v_fma_f64 v[95:96], v[95:96], v[97:98], v[95:96]
	v_mul_f64 v[97:98], v[99:100], v[95:96]
	v_fma_f64 v[93:94], -v[93:94], v[97:98], v[99:100]
	v_div_fmas_f64 v[93:94], v[93:94], v[95:96], v[97:98]
	v_div_fixup_f64 v[119:120], v[93:94], v[91:92], 1.0
	v_mul_f64 v[117:118], v[86:87], v[119:120]
	v_xor_b32_e32 v120, 0x80000000, v120
.LBB116_826:
	s_andn2_saveexec_b64 s[18:19], s[18:19]
	s_cbranch_execz .LBB116_828
; %bb.827:
	v_div_scale_f64 v[86:87], s[20:21], v[117:118], v[117:118], v[119:120]
	v_rcp_f64_e32 v[91:92], v[86:87]
	v_fma_f64 v[93:94], -v[86:87], v[91:92], 1.0
	v_fma_f64 v[91:92], v[91:92], v[93:94], v[91:92]
	v_div_scale_f64 v[93:94], vcc, v[119:120], v[117:118], v[119:120]
	v_fma_f64 v[95:96], -v[86:87], v[91:92], 1.0
	v_fma_f64 v[91:92], v[91:92], v[95:96], v[91:92]
	v_mul_f64 v[95:96], v[93:94], v[91:92]
	v_fma_f64 v[86:87], -v[86:87], v[95:96], v[93:94]
	v_div_fmas_f64 v[86:87], v[86:87], v[91:92], v[95:96]
	v_div_fixup_f64 v[86:87], v[86:87], v[117:118], v[119:120]
	v_fma_f64 v[91:92], v[119:120], v[86:87], v[117:118]
	v_div_scale_f64 v[93:94], s[20:21], v[91:92], v[91:92], 1.0
	v_div_scale_f64 v[99:100], vcc, 1.0, v[91:92], 1.0
	v_rcp_f64_e32 v[95:96], v[93:94]
	v_fma_f64 v[97:98], -v[93:94], v[95:96], 1.0
	v_fma_f64 v[95:96], v[95:96], v[97:98], v[95:96]
	v_fma_f64 v[97:98], -v[93:94], v[95:96], 1.0
	v_fma_f64 v[95:96], v[95:96], v[97:98], v[95:96]
	v_mul_f64 v[97:98], v[99:100], v[95:96]
	v_fma_f64 v[93:94], -v[93:94], v[97:98], v[99:100]
	v_div_fmas_f64 v[93:94], v[93:94], v[95:96], v[97:98]
	v_div_fixup_f64 v[117:118], v[93:94], v[91:92], 1.0
	v_mul_f64 v[119:120], v[86:87], -v[117:118]
.LBB116_828:
	s_or_b64 exec, exec, s[18:19]
.LBB116_829:
	s_or_b64 exec, exec, s[0:1]
	v_cmp_ne_u32_e32 vcc, v89, v85
	s_and_saveexec_b64 s[0:1], vcc
	s_xor_b64 s[0:1], exec, s[0:1]
	s_cbranch_execz .LBB116_835
; %bb.830:
	v_cmp_eq_u32_e32 vcc, 39, v89
	s_and_saveexec_b64 s[18:19], vcc
	s_cbranch_execz .LBB116_834
; %bb.831:
	v_cmp_ne_u32_e32 vcc, 39, v85
	s_xor_b64 s[20:21], s[6:7], -1
	s_and_b64 s[22:23], s[20:21], vcc
	s_and_saveexec_b64 s[20:21], s[22:23]
	s_cbranch_execz .LBB116_833
; %bb.832:
	buffer_load_dword v81, off, s[24:27], 0 offset:500 ; 4-byte Folded Reload
	buffer_load_dword v82, off, s[24:27], 0 offset:504 ; 4-byte Folded Reload
	v_ashrrev_i32_e32 v86, 31, v85
	v_lshlrev_b64 v[86:87], 2, v[85:86]
	s_waitcnt vmcnt(1)
	v_add_co_u32_e32 v86, vcc, v81, v86
	s_waitcnt vmcnt(0)
	v_addc_co_u32_e32 v87, vcc, v82, v87, vcc
	global_load_dword v88, v[86:87], off
	global_load_dword v89, v[81:82], off offset:156
	s_waitcnt vmcnt(1)
	global_store_dword v[81:82], v88, off offset:156
	v_mov_b32_e32 v81, v101
	v_mov_b32_e32 v82, v102
	;; [unrolled: 1-line block ×4, first 2 shown]
	s_waitcnt vmcnt(1)
	global_store_dword v[86:87], v89, off
.LBB116_833:
	s_or_b64 exec, exec, s[20:21]
	v_mov_b32_e32 v89, v85
	v_mov_b32_e32 v77, v85
	buffer_store_dword v77, off, s[24:27], 0 offset:432 ; 4-byte Folded Spill
.LBB116_834:
	s_or_b64 exec, exec, s[18:19]
.LBB116_835:
	s_andn2_saveexec_b64 s[0:1], s[0:1]
	s_cbranch_execz .LBB116_837
; %bb.836:
	v_mov_b32_e32 v89, 39
	ds_write2_b64 v0, v[69:70], v[71:72] offset0:80 offset1:81
	ds_write2_b64 v0, v[65:66], v[67:68] offset0:82 offset1:83
	ds_write2_b64 v0, v[61:62], v[63:64] offset0:84 offset1:85
	ds_write2_b64 v0, v[57:58], v[59:60] offset0:86 offset1:87
	ds_write2_b64 v0, v[53:54], v[55:56] offset0:88 offset1:89
	ds_write2_b64 v0, v[49:50], v[51:52] offset0:90 offset1:91
	ds_write2_b64 v0, v[45:46], v[47:48] offset0:92 offset1:93
	ds_write2_b64 v0, v[41:42], v[43:44] offset0:94 offset1:95
	ds_write2_b64 v0, v[37:38], v[39:40] offset0:96 offset1:97
	ds_write2_b64 v0, v[33:34], v[35:36] offset0:98 offset1:99
	ds_write2_b64 v0, v[29:30], v[31:32] offset0:100 offset1:101
	ds_write2_b64 v0, v[25:26], v[27:28] offset0:102 offset1:103
	ds_write2_b64 v0, v[21:22], v[23:24] offset0:104 offset1:105
	ds_write2_b64 v0, v[17:18], v[19:20] offset0:106 offset1:107
	ds_write2_b64 v0, v[13:14], v[15:16] offset0:108 offset1:109
	ds_write2_b64 v0, v[9:10], v[11:12] offset0:110 offset1:111
	ds_write2_b64 v0, v[5:6], v[7:8] offset0:112 offset1:113
	ds_write2_b64 v0, v[1:2], v[3:4] offset0:114 offset1:115
	ds_write2_b64 v0, v[121:122], v[123:124] offset0:116 offset1:117
.LBB116_837:
	s_or_b64 exec, exec, s[0:1]
	v_cmp_lt_i32_e32 vcc, 39, v89
	s_waitcnt vmcnt(0) lgkmcnt(0)
	s_barrier
	s_and_saveexec_b64 s[0:1], vcc
	s_cbranch_execz .LBB116_839
; %bb.838:
	v_mul_f64 v[85:86], v[119:120], v[75:76]
	v_mul_f64 v[75:76], v[117:118], v[75:76]
	ds_read2_b64 v[91:94], v0 offset0:80 offset1:81
	v_fma_f64 v[85:86], v[117:118], v[73:74], -v[85:86]
	v_fma_f64 v[75:76], v[119:120], v[73:74], v[75:76]
	s_waitcnt lgkmcnt(0)
	v_mul_f64 v[73:74], v[93:94], v[75:76]
	v_mul_f64 v[87:88], v[91:92], v[75:76]
	v_fma_f64 v[73:74], v[91:92], v[85:86], -v[73:74]
	v_fma_f64 v[87:88], v[93:94], v[85:86], v[87:88]
	ds_read2_b64 v[91:94], v0 offset0:82 offset1:83
	v_add_f64 v[69:70], v[69:70], -v[73:74]
	v_add_f64 v[71:72], v[71:72], -v[87:88]
	s_waitcnt lgkmcnt(0)
	v_mul_f64 v[73:74], v[93:94], v[75:76]
	v_mul_f64 v[87:88], v[91:92], v[75:76]
	v_fma_f64 v[73:74], v[91:92], v[85:86], -v[73:74]
	v_fma_f64 v[87:88], v[93:94], v[85:86], v[87:88]
	ds_read2_b64 v[91:94], v0 offset0:84 offset1:85
	v_add_f64 v[65:66], v[65:66], -v[73:74]
	v_add_f64 v[67:68], v[67:68], -v[87:88]
	;; [unrolled: 8-line block ×18, first 2 shown]
	s_waitcnt lgkmcnt(0)
	v_mul_f64 v[73:74], v[93:94], v[75:76]
	v_mul_f64 v[87:88], v[91:92], v[75:76]
	v_fma_f64 v[73:74], v[91:92], v[85:86], -v[73:74]
	v_fma_f64 v[87:88], v[93:94], v[85:86], v[87:88]
	v_add_f64 v[121:122], v[121:122], -v[73:74]
	v_add_f64 v[123:124], v[123:124], -v[87:88]
	v_mov_b32_e32 v73, v85
	v_mov_b32_e32 v74, v86
.LBB116_839:
	s_or_b64 exec, exec, s[0:1]
	v_lshl_add_u32 v85, v89, 4, v0
	s_barrier
	ds_write2_b64 v85, v[69:70], v[71:72] offset1:1
	s_waitcnt lgkmcnt(0)
	s_barrier
	ds_read2_b64 v[117:120], v0 offset0:80 offset1:81
	s_cmp_lt_i32 s3, 42
	v_mov_b32_e32 v85, 40
	s_cbranch_scc1 .LBB116_842
; %bb.840:
	v_add_u32_e32 v86, 0x290, v0
	s_mov_b32 s0, 41
	v_mov_b32_e32 v85, 40
.LBB116_841:                            ; =>This Inner Loop Header: Depth=1
	s_waitcnt lgkmcnt(0)
	v_cmp_gt_f64_e32 vcc, 0, v[117:118]
	v_xor_b32_e32 v87, 0x80000000, v118
	ds_read2_b64 v[91:94], v86 offset1:1
	v_xor_b32_e32 v95, 0x80000000, v120
	v_add_u32_e32 v86, 16, v86
	s_waitcnt lgkmcnt(0)
	v_xor_b32_e32 v97, 0x80000000, v94
	v_cndmask_b32_e32 v88, v118, v87, vcc
	v_cmp_gt_f64_e32 vcc, 0, v[119:120]
	v_mov_b32_e32 v87, v117
	v_cndmask_b32_e32 v96, v120, v95, vcc
	v_cmp_gt_f64_e32 vcc, 0, v[91:92]
	v_mov_b32_e32 v95, v119
	v_add_f64 v[87:88], v[87:88], v[95:96]
	v_xor_b32_e32 v95, 0x80000000, v92
	v_cndmask_b32_e32 v96, v92, v95, vcc
	v_cmp_gt_f64_e32 vcc, 0, v[93:94]
	v_mov_b32_e32 v95, v91
	v_cndmask_b32_e32 v98, v94, v97, vcc
	v_mov_b32_e32 v97, v93
	v_add_f64 v[95:96], v[95:96], v[97:98]
	v_cmp_lt_f64_e32 vcc, v[87:88], v[95:96]
	v_mov_b32_e32 v87, s0
	s_add_i32 s0, s0, 1
	s_cmp_lg_u32 s3, s0
	v_cndmask_b32_e32 v118, v118, v92, vcc
	v_cndmask_b32_e32 v117, v117, v91, vcc
	;; [unrolled: 1-line block ×5, first 2 shown]
	s_cbranch_scc1 .LBB116_841
.LBB116_842:
	s_waitcnt lgkmcnt(0)
	v_cmp_eq_f64_e32 vcc, 0, v[117:118]
	v_cmp_eq_f64_e64 s[0:1], 0, v[119:120]
	s_and_b64 s[0:1], vcc, s[0:1]
	s_and_saveexec_b64 s[18:19], s[0:1]
	s_xor_b64 s[0:1], exec, s[18:19]
; %bb.843:
	v_cmp_ne_u32_e32 vcc, 0, v90
	v_cndmask_b32_e32 v90, 41, v90, vcc
; %bb.844:
	s_andn2_saveexec_b64 s[0:1], s[0:1]
	s_cbranch_execz .LBB116_850
; %bb.845:
	v_cmp_ngt_f64_e64 s[18:19], |v[117:118]|, |v[119:120]|
	s_and_saveexec_b64 s[20:21], s[18:19]
	s_xor_b64 s[18:19], exec, s[20:21]
	s_cbranch_execz .LBB116_847
; %bb.846:
	v_div_scale_f64 v[86:87], s[20:21], v[119:120], v[119:120], v[117:118]
	v_rcp_f64_e32 v[91:92], v[86:87]
	v_fma_f64 v[93:94], -v[86:87], v[91:92], 1.0
	v_fma_f64 v[91:92], v[91:92], v[93:94], v[91:92]
	v_div_scale_f64 v[93:94], vcc, v[117:118], v[119:120], v[117:118]
	v_fma_f64 v[95:96], -v[86:87], v[91:92], 1.0
	v_fma_f64 v[91:92], v[91:92], v[95:96], v[91:92]
	v_mul_f64 v[95:96], v[93:94], v[91:92]
	v_fma_f64 v[86:87], -v[86:87], v[95:96], v[93:94]
	v_div_fmas_f64 v[86:87], v[86:87], v[91:92], v[95:96]
	v_div_fixup_f64 v[86:87], v[86:87], v[119:120], v[117:118]
	v_fma_f64 v[91:92], v[117:118], v[86:87], v[119:120]
	v_div_scale_f64 v[93:94], s[20:21], v[91:92], v[91:92], 1.0
	v_div_scale_f64 v[99:100], vcc, 1.0, v[91:92], 1.0
	v_rcp_f64_e32 v[95:96], v[93:94]
	v_fma_f64 v[97:98], -v[93:94], v[95:96], 1.0
	v_fma_f64 v[95:96], v[95:96], v[97:98], v[95:96]
	v_fma_f64 v[97:98], -v[93:94], v[95:96], 1.0
	v_fma_f64 v[95:96], v[95:96], v[97:98], v[95:96]
	v_mul_f64 v[97:98], v[99:100], v[95:96]
	v_fma_f64 v[93:94], -v[93:94], v[97:98], v[99:100]
	v_div_fmas_f64 v[93:94], v[93:94], v[95:96], v[97:98]
	v_div_fixup_f64 v[119:120], v[93:94], v[91:92], 1.0
	v_mul_f64 v[117:118], v[86:87], v[119:120]
	v_xor_b32_e32 v120, 0x80000000, v120
.LBB116_847:
	s_andn2_saveexec_b64 s[18:19], s[18:19]
	s_cbranch_execz .LBB116_849
; %bb.848:
	v_div_scale_f64 v[86:87], s[20:21], v[117:118], v[117:118], v[119:120]
	v_rcp_f64_e32 v[91:92], v[86:87]
	v_fma_f64 v[93:94], -v[86:87], v[91:92], 1.0
	v_fma_f64 v[91:92], v[91:92], v[93:94], v[91:92]
	v_div_scale_f64 v[93:94], vcc, v[119:120], v[117:118], v[119:120]
	v_fma_f64 v[95:96], -v[86:87], v[91:92], 1.0
	v_fma_f64 v[91:92], v[91:92], v[95:96], v[91:92]
	v_mul_f64 v[95:96], v[93:94], v[91:92]
	v_fma_f64 v[86:87], -v[86:87], v[95:96], v[93:94]
	v_div_fmas_f64 v[86:87], v[86:87], v[91:92], v[95:96]
	v_div_fixup_f64 v[86:87], v[86:87], v[117:118], v[119:120]
	v_fma_f64 v[91:92], v[119:120], v[86:87], v[117:118]
	v_div_scale_f64 v[93:94], s[20:21], v[91:92], v[91:92], 1.0
	v_div_scale_f64 v[99:100], vcc, 1.0, v[91:92], 1.0
	v_rcp_f64_e32 v[95:96], v[93:94]
	v_fma_f64 v[97:98], -v[93:94], v[95:96], 1.0
	v_fma_f64 v[95:96], v[95:96], v[97:98], v[95:96]
	v_fma_f64 v[97:98], -v[93:94], v[95:96], 1.0
	v_fma_f64 v[95:96], v[95:96], v[97:98], v[95:96]
	v_mul_f64 v[97:98], v[99:100], v[95:96]
	v_fma_f64 v[93:94], -v[93:94], v[97:98], v[99:100]
	v_div_fmas_f64 v[93:94], v[93:94], v[95:96], v[97:98]
	v_div_fixup_f64 v[117:118], v[93:94], v[91:92], 1.0
	v_mul_f64 v[119:120], v[86:87], -v[117:118]
.LBB116_849:
	s_or_b64 exec, exec, s[18:19]
.LBB116_850:
	s_or_b64 exec, exec, s[0:1]
	v_cmp_ne_u32_e32 vcc, v89, v85
	s_and_saveexec_b64 s[0:1], vcc
	s_xor_b64 s[0:1], exec, s[0:1]
	s_cbranch_execz .LBB116_856
; %bb.851:
	v_cmp_eq_u32_e32 vcc, 40, v89
	s_and_saveexec_b64 s[18:19], vcc
	s_cbranch_execz .LBB116_855
; %bb.852:
	v_cmp_ne_u32_e32 vcc, 40, v85
	s_xor_b64 s[20:21], s[6:7], -1
	s_and_b64 s[22:23], s[20:21], vcc
	s_and_saveexec_b64 s[20:21], s[22:23]
	s_cbranch_execz .LBB116_854
; %bb.853:
	buffer_load_dword v81, off, s[24:27], 0 offset:500 ; 4-byte Folded Reload
	buffer_load_dword v82, off, s[24:27], 0 offset:504 ; 4-byte Folded Reload
	v_ashrrev_i32_e32 v86, 31, v85
	v_lshlrev_b64 v[86:87], 2, v[85:86]
	s_waitcnt vmcnt(1)
	v_add_co_u32_e32 v86, vcc, v81, v86
	s_waitcnt vmcnt(0)
	v_addc_co_u32_e32 v87, vcc, v82, v87, vcc
	global_load_dword v88, v[86:87], off
	global_load_dword v89, v[81:82], off offset:160
	s_waitcnt vmcnt(1)
	global_store_dword v[81:82], v88, off offset:160
	v_mov_b32_e32 v81, v101
	v_mov_b32_e32 v82, v102
	;; [unrolled: 1-line block ×4, first 2 shown]
	s_waitcnt vmcnt(1)
	global_store_dword v[86:87], v89, off
.LBB116_854:
	s_or_b64 exec, exec, s[20:21]
	v_mov_b32_e32 v89, v85
	v_mov_b32_e32 v77, v85
	buffer_store_dword v77, off, s[24:27], 0 offset:432 ; 4-byte Folded Spill
.LBB116_855:
	s_or_b64 exec, exec, s[18:19]
.LBB116_856:
	s_andn2_saveexec_b64 s[0:1], s[0:1]
	s_cbranch_execz .LBB116_858
; %bb.857:
	v_mov_b32_e32 v89, 40
	ds_write2_b64 v0, v[65:66], v[67:68] offset0:82 offset1:83
	ds_write2_b64 v0, v[61:62], v[63:64] offset0:84 offset1:85
	ds_write2_b64 v0, v[57:58], v[59:60] offset0:86 offset1:87
	ds_write2_b64 v0, v[53:54], v[55:56] offset0:88 offset1:89
	ds_write2_b64 v0, v[49:50], v[51:52] offset0:90 offset1:91
	ds_write2_b64 v0, v[45:46], v[47:48] offset0:92 offset1:93
	ds_write2_b64 v0, v[41:42], v[43:44] offset0:94 offset1:95
	ds_write2_b64 v0, v[37:38], v[39:40] offset0:96 offset1:97
	ds_write2_b64 v0, v[33:34], v[35:36] offset0:98 offset1:99
	ds_write2_b64 v0, v[29:30], v[31:32] offset0:100 offset1:101
	ds_write2_b64 v0, v[25:26], v[27:28] offset0:102 offset1:103
	ds_write2_b64 v0, v[21:22], v[23:24] offset0:104 offset1:105
	ds_write2_b64 v0, v[17:18], v[19:20] offset0:106 offset1:107
	ds_write2_b64 v0, v[13:14], v[15:16] offset0:108 offset1:109
	ds_write2_b64 v0, v[9:10], v[11:12] offset0:110 offset1:111
	ds_write2_b64 v0, v[5:6], v[7:8] offset0:112 offset1:113
	ds_write2_b64 v0, v[1:2], v[3:4] offset0:114 offset1:115
	ds_write2_b64 v0, v[121:122], v[123:124] offset0:116 offset1:117
.LBB116_858:
	s_or_b64 exec, exec, s[0:1]
	v_cmp_lt_i32_e32 vcc, 40, v89
	s_waitcnt vmcnt(0) lgkmcnt(0)
	s_barrier
	s_and_saveexec_b64 s[0:1], vcc
	s_cbranch_execz .LBB116_860
; %bb.859:
	v_mul_f64 v[85:86], v[119:120], v[71:72]
	v_mul_f64 v[71:72], v[117:118], v[71:72]
	ds_read2_b64 v[91:94], v0 offset0:82 offset1:83
	v_fma_f64 v[85:86], v[117:118], v[69:70], -v[85:86]
	v_fma_f64 v[71:72], v[119:120], v[69:70], v[71:72]
	s_waitcnt lgkmcnt(0)
	v_mul_f64 v[69:70], v[93:94], v[71:72]
	v_mul_f64 v[87:88], v[91:92], v[71:72]
	v_fma_f64 v[69:70], v[91:92], v[85:86], -v[69:70]
	v_fma_f64 v[87:88], v[93:94], v[85:86], v[87:88]
	ds_read2_b64 v[91:94], v0 offset0:84 offset1:85
	v_add_f64 v[65:66], v[65:66], -v[69:70]
	v_add_f64 v[67:68], v[67:68], -v[87:88]
	s_waitcnt lgkmcnt(0)
	v_mul_f64 v[69:70], v[93:94], v[71:72]
	v_mul_f64 v[87:88], v[91:92], v[71:72]
	v_fma_f64 v[69:70], v[91:92], v[85:86], -v[69:70]
	v_fma_f64 v[87:88], v[93:94], v[85:86], v[87:88]
	ds_read2_b64 v[91:94], v0 offset0:86 offset1:87
	v_add_f64 v[61:62], v[61:62], -v[69:70]
	v_add_f64 v[63:64], v[63:64], -v[87:88]
	;; [unrolled: 8-line block ×17, first 2 shown]
	s_waitcnt lgkmcnt(0)
	v_mul_f64 v[69:70], v[93:94], v[71:72]
	v_mul_f64 v[87:88], v[91:92], v[71:72]
	v_fma_f64 v[69:70], v[91:92], v[85:86], -v[69:70]
	v_fma_f64 v[87:88], v[93:94], v[85:86], v[87:88]
	v_add_f64 v[121:122], v[121:122], -v[69:70]
	v_add_f64 v[123:124], v[123:124], -v[87:88]
	v_mov_b32_e32 v69, v85
	v_mov_b32_e32 v70, v86
.LBB116_860:
	s_or_b64 exec, exec, s[0:1]
	v_lshl_add_u32 v85, v89, 4, v0
	s_barrier
	ds_write2_b64 v85, v[65:66], v[67:68] offset1:1
	s_waitcnt lgkmcnt(0)
	s_barrier
	ds_read2_b64 v[117:120], v0 offset0:82 offset1:83
	s_cmp_lt_i32 s3, 43
	v_mov_b32_e32 v85, 41
	s_cbranch_scc1 .LBB116_863
; %bb.861:
	v_add_u32_e32 v86, 0x2a0, v0
	s_mov_b32 s0, 42
	v_mov_b32_e32 v85, 41
.LBB116_862:                            ; =>This Inner Loop Header: Depth=1
	s_waitcnt lgkmcnt(0)
	v_cmp_gt_f64_e32 vcc, 0, v[117:118]
	v_xor_b32_e32 v87, 0x80000000, v118
	ds_read2_b64 v[91:94], v86 offset1:1
	v_xor_b32_e32 v95, 0x80000000, v120
	v_add_u32_e32 v86, 16, v86
	s_waitcnt lgkmcnt(0)
	v_xor_b32_e32 v97, 0x80000000, v94
	v_cndmask_b32_e32 v88, v118, v87, vcc
	v_cmp_gt_f64_e32 vcc, 0, v[119:120]
	v_mov_b32_e32 v87, v117
	v_cndmask_b32_e32 v96, v120, v95, vcc
	v_cmp_gt_f64_e32 vcc, 0, v[91:92]
	v_mov_b32_e32 v95, v119
	v_add_f64 v[87:88], v[87:88], v[95:96]
	v_xor_b32_e32 v95, 0x80000000, v92
	v_cndmask_b32_e32 v96, v92, v95, vcc
	v_cmp_gt_f64_e32 vcc, 0, v[93:94]
	v_mov_b32_e32 v95, v91
	v_cndmask_b32_e32 v98, v94, v97, vcc
	v_mov_b32_e32 v97, v93
	v_add_f64 v[95:96], v[95:96], v[97:98]
	v_cmp_lt_f64_e32 vcc, v[87:88], v[95:96]
	v_mov_b32_e32 v87, s0
	s_add_i32 s0, s0, 1
	s_cmp_lg_u32 s3, s0
	v_cndmask_b32_e32 v118, v118, v92, vcc
	v_cndmask_b32_e32 v117, v117, v91, vcc
	;; [unrolled: 1-line block ×5, first 2 shown]
	s_cbranch_scc1 .LBB116_862
.LBB116_863:
	s_waitcnt lgkmcnt(0)
	v_cmp_eq_f64_e32 vcc, 0, v[117:118]
	v_cmp_eq_f64_e64 s[0:1], 0, v[119:120]
	s_and_b64 s[0:1], vcc, s[0:1]
	s_and_saveexec_b64 s[18:19], s[0:1]
	s_xor_b64 s[0:1], exec, s[18:19]
; %bb.864:
	v_cmp_ne_u32_e32 vcc, 0, v90
	v_cndmask_b32_e32 v90, 42, v90, vcc
; %bb.865:
	s_andn2_saveexec_b64 s[0:1], s[0:1]
	s_cbranch_execz .LBB116_871
; %bb.866:
	v_cmp_ngt_f64_e64 s[18:19], |v[117:118]|, |v[119:120]|
	s_and_saveexec_b64 s[20:21], s[18:19]
	s_xor_b64 s[18:19], exec, s[20:21]
	s_cbranch_execz .LBB116_868
; %bb.867:
	v_div_scale_f64 v[86:87], s[20:21], v[119:120], v[119:120], v[117:118]
	v_rcp_f64_e32 v[91:92], v[86:87]
	v_fma_f64 v[93:94], -v[86:87], v[91:92], 1.0
	v_fma_f64 v[91:92], v[91:92], v[93:94], v[91:92]
	v_div_scale_f64 v[93:94], vcc, v[117:118], v[119:120], v[117:118]
	v_fma_f64 v[95:96], -v[86:87], v[91:92], 1.0
	v_fma_f64 v[91:92], v[91:92], v[95:96], v[91:92]
	v_mul_f64 v[95:96], v[93:94], v[91:92]
	v_fma_f64 v[86:87], -v[86:87], v[95:96], v[93:94]
	v_div_fmas_f64 v[86:87], v[86:87], v[91:92], v[95:96]
	v_div_fixup_f64 v[86:87], v[86:87], v[119:120], v[117:118]
	v_fma_f64 v[91:92], v[117:118], v[86:87], v[119:120]
	v_div_scale_f64 v[93:94], s[20:21], v[91:92], v[91:92], 1.0
	v_div_scale_f64 v[99:100], vcc, 1.0, v[91:92], 1.0
	v_rcp_f64_e32 v[95:96], v[93:94]
	v_fma_f64 v[97:98], -v[93:94], v[95:96], 1.0
	v_fma_f64 v[95:96], v[95:96], v[97:98], v[95:96]
	v_fma_f64 v[97:98], -v[93:94], v[95:96], 1.0
	v_fma_f64 v[95:96], v[95:96], v[97:98], v[95:96]
	v_mul_f64 v[97:98], v[99:100], v[95:96]
	v_fma_f64 v[93:94], -v[93:94], v[97:98], v[99:100]
	v_div_fmas_f64 v[93:94], v[93:94], v[95:96], v[97:98]
	v_div_fixup_f64 v[119:120], v[93:94], v[91:92], 1.0
	v_mul_f64 v[117:118], v[86:87], v[119:120]
	v_xor_b32_e32 v120, 0x80000000, v120
.LBB116_868:
	s_andn2_saveexec_b64 s[18:19], s[18:19]
	s_cbranch_execz .LBB116_870
; %bb.869:
	v_div_scale_f64 v[86:87], s[20:21], v[117:118], v[117:118], v[119:120]
	v_rcp_f64_e32 v[91:92], v[86:87]
	v_fma_f64 v[93:94], -v[86:87], v[91:92], 1.0
	v_fma_f64 v[91:92], v[91:92], v[93:94], v[91:92]
	v_div_scale_f64 v[93:94], vcc, v[119:120], v[117:118], v[119:120]
	v_fma_f64 v[95:96], -v[86:87], v[91:92], 1.0
	v_fma_f64 v[91:92], v[91:92], v[95:96], v[91:92]
	v_mul_f64 v[95:96], v[93:94], v[91:92]
	v_fma_f64 v[86:87], -v[86:87], v[95:96], v[93:94]
	v_div_fmas_f64 v[86:87], v[86:87], v[91:92], v[95:96]
	v_div_fixup_f64 v[86:87], v[86:87], v[117:118], v[119:120]
	v_fma_f64 v[91:92], v[119:120], v[86:87], v[117:118]
	v_div_scale_f64 v[93:94], s[20:21], v[91:92], v[91:92], 1.0
	v_div_scale_f64 v[99:100], vcc, 1.0, v[91:92], 1.0
	v_rcp_f64_e32 v[95:96], v[93:94]
	v_fma_f64 v[97:98], -v[93:94], v[95:96], 1.0
	v_fma_f64 v[95:96], v[95:96], v[97:98], v[95:96]
	v_fma_f64 v[97:98], -v[93:94], v[95:96], 1.0
	v_fma_f64 v[95:96], v[95:96], v[97:98], v[95:96]
	v_mul_f64 v[97:98], v[99:100], v[95:96]
	v_fma_f64 v[93:94], -v[93:94], v[97:98], v[99:100]
	v_div_fmas_f64 v[93:94], v[93:94], v[95:96], v[97:98]
	v_div_fixup_f64 v[117:118], v[93:94], v[91:92], 1.0
	v_mul_f64 v[119:120], v[86:87], -v[117:118]
.LBB116_870:
	s_or_b64 exec, exec, s[18:19]
.LBB116_871:
	s_or_b64 exec, exec, s[0:1]
	v_cmp_ne_u32_e32 vcc, v89, v85
	s_and_saveexec_b64 s[0:1], vcc
	s_xor_b64 s[0:1], exec, s[0:1]
	s_cbranch_execz .LBB116_877
; %bb.872:
	v_cmp_eq_u32_e32 vcc, 41, v89
	s_and_saveexec_b64 s[18:19], vcc
	s_cbranch_execz .LBB116_876
; %bb.873:
	v_cmp_ne_u32_e32 vcc, 41, v85
	s_xor_b64 s[20:21], s[6:7], -1
	s_and_b64 s[22:23], s[20:21], vcc
	s_and_saveexec_b64 s[20:21], s[22:23]
	s_cbranch_execz .LBB116_875
; %bb.874:
	buffer_load_dword v81, off, s[24:27], 0 offset:500 ; 4-byte Folded Reload
	buffer_load_dword v82, off, s[24:27], 0 offset:504 ; 4-byte Folded Reload
	v_ashrrev_i32_e32 v86, 31, v85
	v_lshlrev_b64 v[86:87], 2, v[85:86]
	s_waitcnt vmcnt(1)
	v_add_co_u32_e32 v86, vcc, v81, v86
	s_waitcnt vmcnt(0)
	v_addc_co_u32_e32 v87, vcc, v82, v87, vcc
	global_load_dword v88, v[86:87], off
	global_load_dword v89, v[81:82], off offset:164
	s_waitcnt vmcnt(1)
	global_store_dword v[81:82], v88, off offset:164
	v_mov_b32_e32 v81, v101
	v_mov_b32_e32 v82, v102
	;; [unrolled: 1-line block ×4, first 2 shown]
	s_waitcnt vmcnt(1)
	global_store_dword v[86:87], v89, off
.LBB116_875:
	s_or_b64 exec, exec, s[20:21]
	v_mov_b32_e32 v89, v85
	v_mov_b32_e32 v77, v85
	buffer_store_dword v77, off, s[24:27], 0 offset:432 ; 4-byte Folded Spill
.LBB116_876:
	s_or_b64 exec, exec, s[18:19]
.LBB116_877:
	s_andn2_saveexec_b64 s[0:1], s[0:1]
	s_cbranch_execz .LBB116_879
; %bb.878:
	v_mov_b32_e32 v89, 41
	ds_write2_b64 v0, v[61:62], v[63:64] offset0:84 offset1:85
	ds_write2_b64 v0, v[57:58], v[59:60] offset0:86 offset1:87
	ds_write2_b64 v0, v[53:54], v[55:56] offset0:88 offset1:89
	ds_write2_b64 v0, v[49:50], v[51:52] offset0:90 offset1:91
	ds_write2_b64 v0, v[45:46], v[47:48] offset0:92 offset1:93
	ds_write2_b64 v0, v[41:42], v[43:44] offset0:94 offset1:95
	ds_write2_b64 v0, v[37:38], v[39:40] offset0:96 offset1:97
	ds_write2_b64 v0, v[33:34], v[35:36] offset0:98 offset1:99
	ds_write2_b64 v0, v[29:30], v[31:32] offset0:100 offset1:101
	ds_write2_b64 v0, v[25:26], v[27:28] offset0:102 offset1:103
	ds_write2_b64 v0, v[21:22], v[23:24] offset0:104 offset1:105
	ds_write2_b64 v0, v[17:18], v[19:20] offset0:106 offset1:107
	ds_write2_b64 v0, v[13:14], v[15:16] offset0:108 offset1:109
	ds_write2_b64 v0, v[9:10], v[11:12] offset0:110 offset1:111
	ds_write2_b64 v0, v[5:6], v[7:8] offset0:112 offset1:113
	ds_write2_b64 v0, v[1:2], v[3:4] offset0:114 offset1:115
	ds_write2_b64 v0, v[121:122], v[123:124] offset0:116 offset1:117
.LBB116_879:
	s_or_b64 exec, exec, s[0:1]
	v_cmp_lt_i32_e32 vcc, 41, v89
	s_waitcnt vmcnt(0) lgkmcnt(0)
	s_barrier
	s_and_saveexec_b64 s[0:1], vcc
	s_cbranch_execz .LBB116_881
; %bb.880:
	v_mul_f64 v[85:86], v[119:120], v[67:68]
	v_mul_f64 v[67:68], v[117:118], v[67:68]
	ds_read2_b64 v[91:94], v0 offset0:84 offset1:85
	v_fma_f64 v[85:86], v[117:118], v[65:66], -v[85:86]
	v_fma_f64 v[67:68], v[119:120], v[65:66], v[67:68]
	s_waitcnt lgkmcnt(0)
	v_mul_f64 v[65:66], v[93:94], v[67:68]
	v_mul_f64 v[87:88], v[91:92], v[67:68]
	v_fma_f64 v[65:66], v[91:92], v[85:86], -v[65:66]
	v_fma_f64 v[87:88], v[93:94], v[85:86], v[87:88]
	ds_read2_b64 v[91:94], v0 offset0:86 offset1:87
	v_add_f64 v[61:62], v[61:62], -v[65:66]
	v_add_f64 v[63:64], v[63:64], -v[87:88]
	s_waitcnt lgkmcnt(0)
	v_mul_f64 v[65:66], v[93:94], v[67:68]
	v_mul_f64 v[87:88], v[91:92], v[67:68]
	v_fma_f64 v[65:66], v[91:92], v[85:86], -v[65:66]
	v_fma_f64 v[87:88], v[93:94], v[85:86], v[87:88]
	ds_read2_b64 v[91:94], v0 offset0:88 offset1:89
	v_add_f64 v[57:58], v[57:58], -v[65:66]
	v_add_f64 v[59:60], v[59:60], -v[87:88]
	;; [unrolled: 8-line block ×16, first 2 shown]
	s_waitcnt lgkmcnt(0)
	v_mul_f64 v[65:66], v[93:94], v[67:68]
	v_mul_f64 v[87:88], v[91:92], v[67:68]
	v_fma_f64 v[65:66], v[91:92], v[85:86], -v[65:66]
	v_fma_f64 v[87:88], v[93:94], v[85:86], v[87:88]
	v_add_f64 v[121:122], v[121:122], -v[65:66]
	v_add_f64 v[123:124], v[123:124], -v[87:88]
	v_mov_b32_e32 v65, v85
	v_mov_b32_e32 v66, v86
.LBB116_881:
	s_or_b64 exec, exec, s[0:1]
	v_lshl_add_u32 v85, v89, 4, v0
	s_barrier
	ds_write2_b64 v85, v[61:62], v[63:64] offset1:1
	s_waitcnt lgkmcnt(0)
	s_barrier
	ds_read2_b64 v[117:120], v0 offset0:84 offset1:85
	s_cmp_lt_i32 s3, 44
	v_mov_b32_e32 v85, 42
	s_cbranch_scc1 .LBB116_884
; %bb.882:
	v_add_u32_e32 v86, 0x2b0, v0
	s_mov_b32 s0, 43
	v_mov_b32_e32 v85, 42
.LBB116_883:                            ; =>This Inner Loop Header: Depth=1
	s_waitcnt lgkmcnt(0)
	v_cmp_gt_f64_e32 vcc, 0, v[117:118]
	v_xor_b32_e32 v87, 0x80000000, v118
	ds_read2_b64 v[91:94], v86 offset1:1
	v_xor_b32_e32 v95, 0x80000000, v120
	v_add_u32_e32 v86, 16, v86
	s_waitcnt lgkmcnt(0)
	v_xor_b32_e32 v97, 0x80000000, v94
	v_cndmask_b32_e32 v88, v118, v87, vcc
	v_cmp_gt_f64_e32 vcc, 0, v[119:120]
	v_mov_b32_e32 v87, v117
	v_cndmask_b32_e32 v96, v120, v95, vcc
	v_cmp_gt_f64_e32 vcc, 0, v[91:92]
	v_mov_b32_e32 v95, v119
	v_add_f64 v[87:88], v[87:88], v[95:96]
	v_xor_b32_e32 v95, 0x80000000, v92
	v_cndmask_b32_e32 v96, v92, v95, vcc
	v_cmp_gt_f64_e32 vcc, 0, v[93:94]
	v_mov_b32_e32 v95, v91
	v_cndmask_b32_e32 v98, v94, v97, vcc
	v_mov_b32_e32 v97, v93
	v_add_f64 v[95:96], v[95:96], v[97:98]
	v_cmp_lt_f64_e32 vcc, v[87:88], v[95:96]
	v_mov_b32_e32 v87, s0
	s_add_i32 s0, s0, 1
	s_cmp_lg_u32 s3, s0
	v_cndmask_b32_e32 v118, v118, v92, vcc
	v_cndmask_b32_e32 v117, v117, v91, vcc
	;; [unrolled: 1-line block ×5, first 2 shown]
	s_cbranch_scc1 .LBB116_883
.LBB116_884:
	s_waitcnt lgkmcnt(0)
	v_cmp_eq_f64_e32 vcc, 0, v[117:118]
	v_cmp_eq_f64_e64 s[0:1], 0, v[119:120]
	s_and_b64 s[0:1], vcc, s[0:1]
	s_and_saveexec_b64 s[18:19], s[0:1]
	s_xor_b64 s[0:1], exec, s[18:19]
; %bb.885:
	v_cmp_ne_u32_e32 vcc, 0, v90
	v_cndmask_b32_e32 v90, 43, v90, vcc
; %bb.886:
	s_andn2_saveexec_b64 s[0:1], s[0:1]
	s_cbranch_execz .LBB116_892
; %bb.887:
	v_cmp_ngt_f64_e64 s[18:19], |v[117:118]|, |v[119:120]|
	s_and_saveexec_b64 s[20:21], s[18:19]
	s_xor_b64 s[18:19], exec, s[20:21]
	s_cbranch_execz .LBB116_889
; %bb.888:
	v_div_scale_f64 v[86:87], s[20:21], v[119:120], v[119:120], v[117:118]
	v_rcp_f64_e32 v[91:92], v[86:87]
	v_fma_f64 v[93:94], -v[86:87], v[91:92], 1.0
	v_fma_f64 v[91:92], v[91:92], v[93:94], v[91:92]
	v_div_scale_f64 v[93:94], vcc, v[117:118], v[119:120], v[117:118]
	v_fma_f64 v[95:96], -v[86:87], v[91:92], 1.0
	v_fma_f64 v[91:92], v[91:92], v[95:96], v[91:92]
	v_mul_f64 v[95:96], v[93:94], v[91:92]
	v_fma_f64 v[86:87], -v[86:87], v[95:96], v[93:94]
	v_div_fmas_f64 v[86:87], v[86:87], v[91:92], v[95:96]
	v_div_fixup_f64 v[86:87], v[86:87], v[119:120], v[117:118]
	v_fma_f64 v[91:92], v[117:118], v[86:87], v[119:120]
	v_div_scale_f64 v[93:94], s[20:21], v[91:92], v[91:92], 1.0
	v_div_scale_f64 v[99:100], vcc, 1.0, v[91:92], 1.0
	v_rcp_f64_e32 v[95:96], v[93:94]
	v_fma_f64 v[97:98], -v[93:94], v[95:96], 1.0
	v_fma_f64 v[95:96], v[95:96], v[97:98], v[95:96]
	v_fma_f64 v[97:98], -v[93:94], v[95:96], 1.0
	v_fma_f64 v[95:96], v[95:96], v[97:98], v[95:96]
	v_mul_f64 v[97:98], v[99:100], v[95:96]
	v_fma_f64 v[93:94], -v[93:94], v[97:98], v[99:100]
	v_div_fmas_f64 v[93:94], v[93:94], v[95:96], v[97:98]
	v_div_fixup_f64 v[119:120], v[93:94], v[91:92], 1.0
	v_mul_f64 v[117:118], v[86:87], v[119:120]
	v_xor_b32_e32 v120, 0x80000000, v120
.LBB116_889:
	s_andn2_saveexec_b64 s[18:19], s[18:19]
	s_cbranch_execz .LBB116_891
; %bb.890:
	v_div_scale_f64 v[86:87], s[20:21], v[117:118], v[117:118], v[119:120]
	v_rcp_f64_e32 v[91:92], v[86:87]
	v_fma_f64 v[93:94], -v[86:87], v[91:92], 1.0
	v_fma_f64 v[91:92], v[91:92], v[93:94], v[91:92]
	v_div_scale_f64 v[93:94], vcc, v[119:120], v[117:118], v[119:120]
	v_fma_f64 v[95:96], -v[86:87], v[91:92], 1.0
	v_fma_f64 v[91:92], v[91:92], v[95:96], v[91:92]
	v_mul_f64 v[95:96], v[93:94], v[91:92]
	v_fma_f64 v[86:87], -v[86:87], v[95:96], v[93:94]
	v_div_fmas_f64 v[86:87], v[86:87], v[91:92], v[95:96]
	v_div_fixup_f64 v[86:87], v[86:87], v[117:118], v[119:120]
	v_fma_f64 v[91:92], v[119:120], v[86:87], v[117:118]
	v_div_scale_f64 v[93:94], s[20:21], v[91:92], v[91:92], 1.0
	v_div_scale_f64 v[99:100], vcc, 1.0, v[91:92], 1.0
	v_rcp_f64_e32 v[95:96], v[93:94]
	v_fma_f64 v[97:98], -v[93:94], v[95:96], 1.0
	v_fma_f64 v[95:96], v[95:96], v[97:98], v[95:96]
	v_fma_f64 v[97:98], -v[93:94], v[95:96], 1.0
	v_fma_f64 v[95:96], v[95:96], v[97:98], v[95:96]
	v_mul_f64 v[97:98], v[99:100], v[95:96]
	v_fma_f64 v[93:94], -v[93:94], v[97:98], v[99:100]
	v_div_fmas_f64 v[93:94], v[93:94], v[95:96], v[97:98]
	v_div_fixup_f64 v[117:118], v[93:94], v[91:92], 1.0
	v_mul_f64 v[119:120], v[86:87], -v[117:118]
.LBB116_891:
	s_or_b64 exec, exec, s[18:19]
.LBB116_892:
	s_or_b64 exec, exec, s[0:1]
	v_cmp_ne_u32_e32 vcc, v89, v85
	s_and_saveexec_b64 s[0:1], vcc
	s_xor_b64 s[0:1], exec, s[0:1]
	s_cbranch_execz .LBB116_898
; %bb.893:
	v_cmp_eq_u32_e32 vcc, 42, v89
	s_and_saveexec_b64 s[18:19], vcc
	s_cbranch_execz .LBB116_897
; %bb.894:
	v_cmp_ne_u32_e32 vcc, 42, v85
	s_xor_b64 s[20:21], s[6:7], -1
	s_and_b64 s[22:23], s[20:21], vcc
	s_and_saveexec_b64 s[20:21], s[22:23]
	s_cbranch_execz .LBB116_896
; %bb.895:
	buffer_load_dword v81, off, s[24:27], 0 offset:500 ; 4-byte Folded Reload
	buffer_load_dword v82, off, s[24:27], 0 offset:504 ; 4-byte Folded Reload
	v_ashrrev_i32_e32 v86, 31, v85
	v_lshlrev_b64 v[86:87], 2, v[85:86]
	s_waitcnt vmcnt(1)
	v_add_co_u32_e32 v86, vcc, v81, v86
	s_waitcnt vmcnt(0)
	v_addc_co_u32_e32 v87, vcc, v82, v87, vcc
	global_load_dword v88, v[86:87], off
	global_load_dword v89, v[81:82], off offset:168
	s_waitcnt vmcnt(1)
	global_store_dword v[81:82], v88, off offset:168
	v_mov_b32_e32 v81, v101
	v_mov_b32_e32 v82, v102
	;; [unrolled: 1-line block ×4, first 2 shown]
	s_waitcnt vmcnt(1)
	global_store_dword v[86:87], v89, off
.LBB116_896:
	s_or_b64 exec, exec, s[20:21]
	v_mov_b32_e32 v89, v85
	v_mov_b32_e32 v77, v85
	buffer_store_dword v77, off, s[24:27], 0 offset:432 ; 4-byte Folded Spill
.LBB116_897:
	s_or_b64 exec, exec, s[18:19]
.LBB116_898:
	s_andn2_saveexec_b64 s[0:1], s[0:1]
	s_cbranch_execz .LBB116_900
; %bb.899:
	v_mov_b32_e32 v89, 42
	ds_write2_b64 v0, v[57:58], v[59:60] offset0:86 offset1:87
	ds_write2_b64 v0, v[53:54], v[55:56] offset0:88 offset1:89
	;; [unrolled: 1-line block ×16, first 2 shown]
.LBB116_900:
	s_or_b64 exec, exec, s[0:1]
	v_cmp_lt_i32_e32 vcc, 42, v89
	s_waitcnt vmcnt(0) lgkmcnt(0)
	s_barrier
	s_and_saveexec_b64 s[0:1], vcc
	s_cbranch_execz .LBB116_902
; %bb.901:
	v_mul_f64 v[85:86], v[117:118], v[63:64]
	v_mul_f64 v[63:64], v[119:120], v[63:64]
	ds_read2_b64 v[91:94], v0 offset0:86 offset1:87
	v_fma_f64 v[85:86], v[119:120], v[61:62], v[85:86]
	v_fma_f64 v[61:62], v[117:118], v[61:62], -v[63:64]
	s_waitcnt lgkmcnt(0)
	v_mul_f64 v[63:64], v[93:94], v[85:86]
	v_mul_f64 v[87:88], v[91:92], v[85:86]
	v_fma_f64 v[63:64], v[91:92], v[61:62], -v[63:64]
	v_fma_f64 v[87:88], v[93:94], v[61:62], v[87:88]
	ds_read2_b64 v[91:94], v0 offset0:88 offset1:89
	v_add_f64 v[57:58], v[57:58], -v[63:64]
	v_add_f64 v[59:60], v[59:60], -v[87:88]
	s_waitcnt lgkmcnt(0)
	v_mul_f64 v[63:64], v[93:94], v[85:86]
	v_mul_f64 v[87:88], v[91:92], v[85:86]
	v_fma_f64 v[63:64], v[91:92], v[61:62], -v[63:64]
	v_fma_f64 v[87:88], v[93:94], v[61:62], v[87:88]
	ds_read2_b64 v[91:94], v0 offset0:90 offset1:91
	v_add_f64 v[53:54], v[53:54], -v[63:64]
	v_add_f64 v[55:56], v[55:56], -v[87:88]
	;; [unrolled: 8-line block ×15, first 2 shown]
	s_waitcnt lgkmcnt(0)
	v_mul_f64 v[63:64], v[93:94], v[85:86]
	v_mul_f64 v[87:88], v[91:92], v[85:86]
	v_fma_f64 v[63:64], v[91:92], v[61:62], -v[63:64]
	v_fma_f64 v[87:88], v[93:94], v[61:62], v[87:88]
	v_add_f64 v[121:122], v[121:122], -v[63:64]
	v_add_f64 v[123:124], v[123:124], -v[87:88]
	v_mov_b32_e32 v63, v85
	v_mov_b32_e32 v64, v86
.LBB116_902:
	s_or_b64 exec, exec, s[0:1]
	v_lshl_add_u32 v85, v89, 4, v0
	s_barrier
	ds_write2_b64 v85, v[57:58], v[59:60] offset1:1
	s_waitcnt lgkmcnt(0)
	s_barrier
	ds_read2_b64 v[117:120], v0 offset0:86 offset1:87
	s_cmp_lt_i32 s3, 45
	v_mov_b32_e32 v85, 43
	s_cbranch_scc1 .LBB116_905
; %bb.903:
	v_add_u32_e32 v86, 0x2c0, v0
	s_mov_b32 s0, 44
	v_mov_b32_e32 v85, 43
.LBB116_904:                            ; =>This Inner Loop Header: Depth=1
	s_waitcnt lgkmcnt(0)
	v_cmp_gt_f64_e32 vcc, 0, v[117:118]
	v_xor_b32_e32 v87, 0x80000000, v118
	ds_read2_b64 v[91:94], v86 offset1:1
	v_xor_b32_e32 v95, 0x80000000, v120
	v_add_u32_e32 v86, 16, v86
	s_waitcnt lgkmcnt(0)
	v_xor_b32_e32 v97, 0x80000000, v94
	v_cndmask_b32_e32 v88, v118, v87, vcc
	v_cmp_gt_f64_e32 vcc, 0, v[119:120]
	v_mov_b32_e32 v87, v117
	v_cndmask_b32_e32 v96, v120, v95, vcc
	v_cmp_gt_f64_e32 vcc, 0, v[91:92]
	v_mov_b32_e32 v95, v119
	v_add_f64 v[87:88], v[87:88], v[95:96]
	v_xor_b32_e32 v95, 0x80000000, v92
	v_cndmask_b32_e32 v96, v92, v95, vcc
	v_cmp_gt_f64_e32 vcc, 0, v[93:94]
	v_mov_b32_e32 v95, v91
	v_cndmask_b32_e32 v98, v94, v97, vcc
	v_mov_b32_e32 v97, v93
	v_add_f64 v[95:96], v[95:96], v[97:98]
	v_cmp_lt_f64_e32 vcc, v[87:88], v[95:96]
	v_mov_b32_e32 v87, s0
	s_add_i32 s0, s0, 1
	s_cmp_lg_u32 s3, s0
	v_cndmask_b32_e32 v118, v118, v92, vcc
	v_cndmask_b32_e32 v117, v117, v91, vcc
	;; [unrolled: 1-line block ×5, first 2 shown]
	s_cbranch_scc1 .LBB116_904
.LBB116_905:
	s_waitcnt lgkmcnt(0)
	v_cmp_eq_f64_e32 vcc, 0, v[117:118]
	v_cmp_eq_f64_e64 s[0:1], 0, v[119:120]
	s_and_b64 s[0:1], vcc, s[0:1]
	s_and_saveexec_b64 s[18:19], s[0:1]
	s_xor_b64 s[0:1], exec, s[18:19]
; %bb.906:
	v_cmp_ne_u32_e32 vcc, 0, v90
	v_cndmask_b32_e32 v90, 44, v90, vcc
; %bb.907:
	s_andn2_saveexec_b64 s[0:1], s[0:1]
	s_cbranch_execz .LBB116_913
; %bb.908:
	v_cmp_ngt_f64_e64 s[18:19], |v[117:118]|, |v[119:120]|
	s_and_saveexec_b64 s[20:21], s[18:19]
	s_xor_b64 s[18:19], exec, s[20:21]
	s_cbranch_execz .LBB116_910
; %bb.909:
	v_div_scale_f64 v[86:87], s[20:21], v[119:120], v[119:120], v[117:118]
	v_rcp_f64_e32 v[91:92], v[86:87]
	v_fma_f64 v[93:94], -v[86:87], v[91:92], 1.0
	v_fma_f64 v[91:92], v[91:92], v[93:94], v[91:92]
	v_div_scale_f64 v[93:94], vcc, v[117:118], v[119:120], v[117:118]
	v_fma_f64 v[95:96], -v[86:87], v[91:92], 1.0
	v_fma_f64 v[91:92], v[91:92], v[95:96], v[91:92]
	v_mul_f64 v[95:96], v[93:94], v[91:92]
	v_fma_f64 v[86:87], -v[86:87], v[95:96], v[93:94]
	v_div_fmas_f64 v[86:87], v[86:87], v[91:92], v[95:96]
	v_div_fixup_f64 v[86:87], v[86:87], v[119:120], v[117:118]
	v_fma_f64 v[91:92], v[117:118], v[86:87], v[119:120]
	v_div_scale_f64 v[93:94], s[20:21], v[91:92], v[91:92], 1.0
	v_div_scale_f64 v[99:100], vcc, 1.0, v[91:92], 1.0
	v_rcp_f64_e32 v[95:96], v[93:94]
	v_fma_f64 v[97:98], -v[93:94], v[95:96], 1.0
	v_fma_f64 v[95:96], v[95:96], v[97:98], v[95:96]
	v_fma_f64 v[97:98], -v[93:94], v[95:96], 1.0
	v_fma_f64 v[95:96], v[95:96], v[97:98], v[95:96]
	v_mul_f64 v[97:98], v[99:100], v[95:96]
	v_fma_f64 v[93:94], -v[93:94], v[97:98], v[99:100]
	v_div_fmas_f64 v[93:94], v[93:94], v[95:96], v[97:98]
	v_div_fixup_f64 v[119:120], v[93:94], v[91:92], 1.0
	v_mul_f64 v[117:118], v[86:87], v[119:120]
	v_xor_b32_e32 v120, 0x80000000, v120
.LBB116_910:
	s_andn2_saveexec_b64 s[18:19], s[18:19]
	s_cbranch_execz .LBB116_912
; %bb.911:
	v_div_scale_f64 v[86:87], s[20:21], v[117:118], v[117:118], v[119:120]
	v_rcp_f64_e32 v[91:92], v[86:87]
	v_fma_f64 v[93:94], -v[86:87], v[91:92], 1.0
	v_fma_f64 v[91:92], v[91:92], v[93:94], v[91:92]
	v_div_scale_f64 v[93:94], vcc, v[119:120], v[117:118], v[119:120]
	v_fma_f64 v[95:96], -v[86:87], v[91:92], 1.0
	v_fma_f64 v[91:92], v[91:92], v[95:96], v[91:92]
	v_mul_f64 v[95:96], v[93:94], v[91:92]
	v_fma_f64 v[86:87], -v[86:87], v[95:96], v[93:94]
	v_div_fmas_f64 v[86:87], v[86:87], v[91:92], v[95:96]
	v_div_fixup_f64 v[86:87], v[86:87], v[117:118], v[119:120]
	v_fma_f64 v[91:92], v[119:120], v[86:87], v[117:118]
	v_div_scale_f64 v[93:94], s[20:21], v[91:92], v[91:92], 1.0
	v_div_scale_f64 v[99:100], vcc, 1.0, v[91:92], 1.0
	v_rcp_f64_e32 v[95:96], v[93:94]
	v_fma_f64 v[97:98], -v[93:94], v[95:96], 1.0
	v_fma_f64 v[95:96], v[95:96], v[97:98], v[95:96]
	v_fma_f64 v[97:98], -v[93:94], v[95:96], 1.0
	v_fma_f64 v[95:96], v[95:96], v[97:98], v[95:96]
	v_mul_f64 v[97:98], v[99:100], v[95:96]
	v_fma_f64 v[93:94], -v[93:94], v[97:98], v[99:100]
	v_div_fmas_f64 v[93:94], v[93:94], v[95:96], v[97:98]
	v_div_fixup_f64 v[117:118], v[93:94], v[91:92], 1.0
	v_mul_f64 v[119:120], v[86:87], -v[117:118]
.LBB116_912:
	s_or_b64 exec, exec, s[18:19]
.LBB116_913:
	s_or_b64 exec, exec, s[0:1]
	v_cmp_ne_u32_e32 vcc, v89, v85
	s_and_saveexec_b64 s[0:1], vcc
	s_xor_b64 s[0:1], exec, s[0:1]
	s_cbranch_execz .LBB116_919
; %bb.914:
	v_cmp_eq_u32_e32 vcc, 43, v89
	s_and_saveexec_b64 s[18:19], vcc
	s_cbranch_execz .LBB116_918
; %bb.915:
	v_cmp_ne_u32_e32 vcc, 43, v85
	s_xor_b64 s[20:21], s[6:7], -1
	s_and_b64 s[22:23], s[20:21], vcc
	s_and_saveexec_b64 s[20:21], s[22:23]
	s_cbranch_execz .LBB116_917
; %bb.916:
	buffer_load_dword v81, off, s[24:27], 0 offset:500 ; 4-byte Folded Reload
	buffer_load_dword v82, off, s[24:27], 0 offset:504 ; 4-byte Folded Reload
	v_ashrrev_i32_e32 v86, 31, v85
	v_lshlrev_b64 v[86:87], 2, v[85:86]
	s_waitcnt vmcnt(1)
	v_add_co_u32_e32 v86, vcc, v81, v86
	s_waitcnt vmcnt(0)
	v_addc_co_u32_e32 v87, vcc, v82, v87, vcc
	global_load_dword v88, v[86:87], off
	global_load_dword v89, v[81:82], off offset:172
	s_waitcnt vmcnt(1)
	global_store_dword v[81:82], v88, off offset:172
	v_mov_b32_e32 v81, v101
	v_mov_b32_e32 v82, v102
	;; [unrolled: 1-line block ×4, first 2 shown]
	s_waitcnt vmcnt(1)
	global_store_dword v[86:87], v89, off
.LBB116_917:
	s_or_b64 exec, exec, s[20:21]
	v_mov_b32_e32 v89, v85
	v_mov_b32_e32 v77, v85
	buffer_store_dword v77, off, s[24:27], 0 offset:432 ; 4-byte Folded Spill
.LBB116_918:
	s_or_b64 exec, exec, s[18:19]
.LBB116_919:
	s_andn2_saveexec_b64 s[0:1], s[0:1]
	s_cbranch_execz .LBB116_921
; %bb.920:
	v_mov_b32_e32 v89, 43
	ds_write2_b64 v0, v[53:54], v[55:56] offset0:88 offset1:89
	ds_write2_b64 v0, v[49:50], v[51:52] offset0:90 offset1:91
	;; [unrolled: 1-line block ×15, first 2 shown]
.LBB116_921:
	s_or_b64 exec, exec, s[0:1]
	v_cmp_lt_i32_e32 vcc, 43, v89
	s_waitcnt vmcnt(0) lgkmcnt(0)
	s_barrier
	s_and_saveexec_b64 s[0:1], vcc
	s_cbranch_execz .LBB116_923
; %bb.922:
	v_mul_f64 v[85:86], v[117:118], v[59:60]
	v_mul_f64 v[59:60], v[119:120], v[59:60]
	ds_read2_b64 v[91:94], v0 offset0:88 offset1:89
	v_fma_f64 v[85:86], v[119:120], v[57:58], v[85:86]
	v_fma_f64 v[57:58], v[117:118], v[57:58], -v[59:60]
	s_waitcnt lgkmcnt(0)
	v_mul_f64 v[59:60], v[93:94], v[85:86]
	v_mul_f64 v[87:88], v[91:92], v[85:86]
	v_fma_f64 v[59:60], v[91:92], v[57:58], -v[59:60]
	v_fma_f64 v[87:88], v[93:94], v[57:58], v[87:88]
	ds_read2_b64 v[91:94], v0 offset0:90 offset1:91
	v_add_f64 v[53:54], v[53:54], -v[59:60]
	v_add_f64 v[55:56], v[55:56], -v[87:88]
	s_waitcnt lgkmcnt(0)
	v_mul_f64 v[59:60], v[93:94], v[85:86]
	v_mul_f64 v[87:88], v[91:92], v[85:86]
	v_fma_f64 v[59:60], v[91:92], v[57:58], -v[59:60]
	v_fma_f64 v[87:88], v[93:94], v[57:58], v[87:88]
	ds_read2_b64 v[91:94], v0 offset0:92 offset1:93
	v_add_f64 v[49:50], v[49:50], -v[59:60]
	v_add_f64 v[51:52], v[51:52], -v[87:88]
	;; [unrolled: 8-line block ×14, first 2 shown]
	s_waitcnt lgkmcnt(0)
	v_mul_f64 v[59:60], v[93:94], v[85:86]
	v_mul_f64 v[87:88], v[91:92], v[85:86]
	v_fma_f64 v[59:60], v[91:92], v[57:58], -v[59:60]
	v_fma_f64 v[87:88], v[93:94], v[57:58], v[87:88]
	v_add_f64 v[121:122], v[121:122], -v[59:60]
	v_add_f64 v[123:124], v[123:124], -v[87:88]
	v_mov_b32_e32 v59, v85
	v_mov_b32_e32 v60, v86
.LBB116_923:
	s_or_b64 exec, exec, s[0:1]
	v_lshl_add_u32 v85, v89, 4, v0
	s_barrier
	ds_write2_b64 v85, v[53:54], v[55:56] offset1:1
	s_waitcnt lgkmcnt(0)
	s_barrier
	ds_read2_b64 v[117:120], v0 offset0:88 offset1:89
	s_cmp_lt_i32 s3, 46
	v_mov_b32_e32 v85, 44
	s_cbranch_scc1 .LBB116_926
; %bb.924:
	v_add_u32_e32 v86, 0x2d0, v0
	s_mov_b32 s0, 45
	v_mov_b32_e32 v85, 44
.LBB116_925:                            ; =>This Inner Loop Header: Depth=1
	s_waitcnt lgkmcnt(0)
	v_cmp_gt_f64_e32 vcc, 0, v[117:118]
	v_xor_b32_e32 v87, 0x80000000, v118
	ds_read2_b64 v[91:94], v86 offset1:1
	v_xor_b32_e32 v95, 0x80000000, v120
	v_add_u32_e32 v86, 16, v86
	s_waitcnt lgkmcnt(0)
	v_xor_b32_e32 v97, 0x80000000, v94
	v_cndmask_b32_e32 v88, v118, v87, vcc
	v_cmp_gt_f64_e32 vcc, 0, v[119:120]
	v_mov_b32_e32 v87, v117
	v_cndmask_b32_e32 v96, v120, v95, vcc
	v_cmp_gt_f64_e32 vcc, 0, v[91:92]
	v_mov_b32_e32 v95, v119
	v_add_f64 v[87:88], v[87:88], v[95:96]
	v_xor_b32_e32 v95, 0x80000000, v92
	v_cndmask_b32_e32 v96, v92, v95, vcc
	v_cmp_gt_f64_e32 vcc, 0, v[93:94]
	v_mov_b32_e32 v95, v91
	v_cndmask_b32_e32 v98, v94, v97, vcc
	v_mov_b32_e32 v97, v93
	v_add_f64 v[95:96], v[95:96], v[97:98]
	v_cmp_lt_f64_e32 vcc, v[87:88], v[95:96]
	v_mov_b32_e32 v87, s0
	s_add_i32 s0, s0, 1
	s_cmp_lg_u32 s3, s0
	v_cndmask_b32_e32 v118, v118, v92, vcc
	v_cndmask_b32_e32 v117, v117, v91, vcc
	;; [unrolled: 1-line block ×5, first 2 shown]
	s_cbranch_scc1 .LBB116_925
.LBB116_926:
	s_waitcnt lgkmcnt(0)
	v_cmp_eq_f64_e32 vcc, 0, v[117:118]
	v_cmp_eq_f64_e64 s[0:1], 0, v[119:120]
	s_and_b64 s[0:1], vcc, s[0:1]
	s_and_saveexec_b64 s[18:19], s[0:1]
	s_xor_b64 s[0:1], exec, s[18:19]
; %bb.927:
	v_cmp_ne_u32_e32 vcc, 0, v90
	v_cndmask_b32_e32 v90, 45, v90, vcc
; %bb.928:
	s_andn2_saveexec_b64 s[0:1], s[0:1]
	s_cbranch_execz .LBB116_934
; %bb.929:
	v_cmp_ngt_f64_e64 s[18:19], |v[117:118]|, |v[119:120]|
	s_and_saveexec_b64 s[20:21], s[18:19]
	s_xor_b64 s[18:19], exec, s[20:21]
	s_cbranch_execz .LBB116_931
; %bb.930:
	v_div_scale_f64 v[86:87], s[20:21], v[119:120], v[119:120], v[117:118]
	v_rcp_f64_e32 v[91:92], v[86:87]
	v_fma_f64 v[93:94], -v[86:87], v[91:92], 1.0
	v_fma_f64 v[91:92], v[91:92], v[93:94], v[91:92]
	v_div_scale_f64 v[93:94], vcc, v[117:118], v[119:120], v[117:118]
	v_fma_f64 v[95:96], -v[86:87], v[91:92], 1.0
	v_fma_f64 v[91:92], v[91:92], v[95:96], v[91:92]
	v_mul_f64 v[95:96], v[93:94], v[91:92]
	v_fma_f64 v[86:87], -v[86:87], v[95:96], v[93:94]
	v_div_fmas_f64 v[86:87], v[86:87], v[91:92], v[95:96]
	v_div_fixup_f64 v[86:87], v[86:87], v[119:120], v[117:118]
	v_fma_f64 v[91:92], v[117:118], v[86:87], v[119:120]
	v_div_scale_f64 v[93:94], s[20:21], v[91:92], v[91:92], 1.0
	v_div_scale_f64 v[99:100], vcc, 1.0, v[91:92], 1.0
	v_rcp_f64_e32 v[95:96], v[93:94]
	v_fma_f64 v[97:98], -v[93:94], v[95:96], 1.0
	v_fma_f64 v[95:96], v[95:96], v[97:98], v[95:96]
	v_fma_f64 v[97:98], -v[93:94], v[95:96], 1.0
	v_fma_f64 v[95:96], v[95:96], v[97:98], v[95:96]
	v_mul_f64 v[97:98], v[99:100], v[95:96]
	v_fma_f64 v[93:94], -v[93:94], v[97:98], v[99:100]
	v_div_fmas_f64 v[93:94], v[93:94], v[95:96], v[97:98]
	v_div_fixup_f64 v[119:120], v[93:94], v[91:92], 1.0
	v_mul_f64 v[117:118], v[86:87], v[119:120]
	v_xor_b32_e32 v120, 0x80000000, v120
.LBB116_931:
	s_andn2_saveexec_b64 s[18:19], s[18:19]
	s_cbranch_execz .LBB116_933
; %bb.932:
	v_div_scale_f64 v[86:87], s[20:21], v[117:118], v[117:118], v[119:120]
	v_rcp_f64_e32 v[91:92], v[86:87]
	v_fma_f64 v[93:94], -v[86:87], v[91:92], 1.0
	v_fma_f64 v[91:92], v[91:92], v[93:94], v[91:92]
	v_div_scale_f64 v[93:94], vcc, v[119:120], v[117:118], v[119:120]
	v_fma_f64 v[95:96], -v[86:87], v[91:92], 1.0
	v_fma_f64 v[91:92], v[91:92], v[95:96], v[91:92]
	v_mul_f64 v[95:96], v[93:94], v[91:92]
	v_fma_f64 v[86:87], -v[86:87], v[95:96], v[93:94]
	v_div_fmas_f64 v[86:87], v[86:87], v[91:92], v[95:96]
	v_div_fixup_f64 v[86:87], v[86:87], v[117:118], v[119:120]
	v_fma_f64 v[91:92], v[119:120], v[86:87], v[117:118]
	v_div_scale_f64 v[93:94], s[20:21], v[91:92], v[91:92], 1.0
	v_div_scale_f64 v[99:100], vcc, 1.0, v[91:92], 1.0
	v_rcp_f64_e32 v[95:96], v[93:94]
	v_fma_f64 v[97:98], -v[93:94], v[95:96], 1.0
	v_fma_f64 v[95:96], v[95:96], v[97:98], v[95:96]
	v_fma_f64 v[97:98], -v[93:94], v[95:96], 1.0
	v_fma_f64 v[95:96], v[95:96], v[97:98], v[95:96]
	v_mul_f64 v[97:98], v[99:100], v[95:96]
	v_fma_f64 v[93:94], -v[93:94], v[97:98], v[99:100]
	v_div_fmas_f64 v[93:94], v[93:94], v[95:96], v[97:98]
	v_div_fixup_f64 v[117:118], v[93:94], v[91:92], 1.0
	v_mul_f64 v[119:120], v[86:87], -v[117:118]
.LBB116_933:
	s_or_b64 exec, exec, s[18:19]
.LBB116_934:
	s_or_b64 exec, exec, s[0:1]
	v_cmp_ne_u32_e32 vcc, v89, v85
	s_and_saveexec_b64 s[0:1], vcc
	s_xor_b64 s[0:1], exec, s[0:1]
	s_cbranch_execz .LBB116_940
; %bb.935:
	v_cmp_eq_u32_e32 vcc, 44, v89
	s_and_saveexec_b64 s[18:19], vcc
	s_cbranch_execz .LBB116_939
; %bb.936:
	v_cmp_ne_u32_e32 vcc, 44, v85
	s_xor_b64 s[20:21], s[6:7], -1
	s_and_b64 s[22:23], s[20:21], vcc
	s_and_saveexec_b64 s[20:21], s[22:23]
	s_cbranch_execz .LBB116_938
; %bb.937:
	buffer_load_dword v81, off, s[24:27], 0 offset:500 ; 4-byte Folded Reload
	buffer_load_dword v82, off, s[24:27], 0 offset:504 ; 4-byte Folded Reload
	v_ashrrev_i32_e32 v86, 31, v85
	v_lshlrev_b64 v[86:87], 2, v[85:86]
	s_waitcnt vmcnt(1)
	v_add_co_u32_e32 v86, vcc, v81, v86
	s_waitcnt vmcnt(0)
	v_addc_co_u32_e32 v87, vcc, v82, v87, vcc
	global_load_dword v88, v[86:87], off
	global_load_dword v89, v[81:82], off offset:176
	s_waitcnt vmcnt(1)
	global_store_dword v[81:82], v88, off offset:176
	v_mov_b32_e32 v81, v101
	v_mov_b32_e32 v82, v102
	;; [unrolled: 1-line block ×4, first 2 shown]
	s_waitcnt vmcnt(1)
	global_store_dword v[86:87], v89, off
.LBB116_938:
	s_or_b64 exec, exec, s[20:21]
	v_mov_b32_e32 v89, v85
	v_mov_b32_e32 v77, v85
	buffer_store_dword v77, off, s[24:27], 0 offset:432 ; 4-byte Folded Spill
.LBB116_939:
	s_or_b64 exec, exec, s[18:19]
.LBB116_940:
	s_andn2_saveexec_b64 s[0:1], s[0:1]
	s_cbranch_execz .LBB116_942
; %bb.941:
	v_mov_b32_e32 v89, 44
	ds_write2_b64 v0, v[49:50], v[51:52] offset0:90 offset1:91
	ds_write2_b64 v0, v[45:46], v[47:48] offset0:92 offset1:93
	;; [unrolled: 1-line block ×14, first 2 shown]
.LBB116_942:
	s_or_b64 exec, exec, s[0:1]
	v_cmp_lt_i32_e32 vcc, 44, v89
	s_waitcnt vmcnt(0) lgkmcnt(0)
	s_barrier
	s_and_saveexec_b64 s[0:1], vcc
	s_cbranch_execz .LBB116_944
; %bb.943:
	v_mul_f64 v[85:86], v[117:118], v[55:56]
	v_mul_f64 v[55:56], v[119:120], v[55:56]
	ds_read2_b64 v[91:94], v0 offset0:90 offset1:91
	v_fma_f64 v[85:86], v[119:120], v[53:54], v[85:86]
	v_fma_f64 v[53:54], v[117:118], v[53:54], -v[55:56]
	s_waitcnt lgkmcnt(0)
	v_mul_f64 v[55:56], v[93:94], v[85:86]
	v_mul_f64 v[87:88], v[91:92], v[85:86]
	v_fma_f64 v[55:56], v[91:92], v[53:54], -v[55:56]
	v_fma_f64 v[87:88], v[93:94], v[53:54], v[87:88]
	ds_read2_b64 v[91:94], v0 offset0:92 offset1:93
	v_add_f64 v[49:50], v[49:50], -v[55:56]
	v_add_f64 v[51:52], v[51:52], -v[87:88]
	s_waitcnt lgkmcnt(0)
	v_mul_f64 v[55:56], v[93:94], v[85:86]
	v_mul_f64 v[87:88], v[91:92], v[85:86]
	v_fma_f64 v[55:56], v[91:92], v[53:54], -v[55:56]
	v_fma_f64 v[87:88], v[93:94], v[53:54], v[87:88]
	ds_read2_b64 v[91:94], v0 offset0:94 offset1:95
	v_add_f64 v[45:46], v[45:46], -v[55:56]
	v_add_f64 v[47:48], v[47:48], -v[87:88]
	;; [unrolled: 8-line block ×13, first 2 shown]
	s_waitcnt lgkmcnt(0)
	v_mul_f64 v[55:56], v[93:94], v[85:86]
	v_mul_f64 v[87:88], v[91:92], v[85:86]
	v_fma_f64 v[55:56], v[91:92], v[53:54], -v[55:56]
	v_fma_f64 v[87:88], v[93:94], v[53:54], v[87:88]
	v_add_f64 v[121:122], v[121:122], -v[55:56]
	v_add_f64 v[123:124], v[123:124], -v[87:88]
	v_mov_b32_e32 v55, v85
	v_mov_b32_e32 v56, v86
.LBB116_944:
	s_or_b64 exec, exec, s[0:1]
	v_lshl_add_u32 v85, v89, 4, v0
	s_barrier
	ds_write2_b64 v85, v[49:50], v[51:52] offset1:1
	s_waitcnt lgkmcnt(0)
	s_barrier
	ds_read2_b64 v[117:120], v0 offset0:90 offset1:91
	s_cmp_lt_i32 s3, 47
	v_mov_b32_e32 v85, 45
	s_cbranch_scc1 .LBB116_947
; %bb.945:
	v_add_u32_e32 v86, 0x2e0, v0
	s_mov_b32 s0, 46
	v_mov_b32_e32 v85, 45
.LBB116_946:                            ; =>This Inner Loop Header: Depth=1
	s_waitcnt lgkmcnt(0)
	v_cmp_gt_f64_e32 vcc, 0, v[117:118]
	v_xor_b32_e32 v87, 0x80000000, v118
	ds_read2_b64 v[91:94], v86 offset1:1
	v_xor_b32_e32 v95, 0x80000000, v120
	v_add_u32_e32 v86, 16, v86
	s_waitcnt lgkmcnt(0)
	v_xor_b32_e32 v97, 0x80000000, v94
	v_cndmask_b32_e32 v88, v118, v87, vcc
	v_cmp_gt_f64_e32 vcc, 0, v[119:120]
	v_mov_b32_e32 v87, v117
	v_cndmask_b32_e32 v96, v120, v95, vcc
	v_cmp_gt_f64_e32 vcc, 0, v[91:92]
	v_mov_b32_e32 v95, v119
	v_add_f64 v[87:88], v[87:88], v[95:96]
	v_xor_b32_e32 v95, 0x80000000, v92
	v_cndmask_b32_e32 v96, v92, v95, vcc
	v_cmp_gt_f64_e32 vcc, 0, v[93:94]
	v_mov_b32_e32 v95, v91
	v_cndmask_b32_e32 v98, v94, v97, vcc
	v_mov_b32_e32 v97, v93
	v_add_f64 v[95:96], v[95:96], v[97:98]
	v_cmp_lt_f64_e32 vcc, v[87:88], v[95:96]
	v_mov_b32_e32 v87, s0
	s_add_i32 s0, s0, 1
	s_cmp_lg_u32 s3, s0
	v_cndmask_b32_e32 v118, v118, v92, vcc
	v_cndmask_b32_e32 v117, v117, v91, vcc
	;; [unrolled: 1-line block ×5, first 2 shown]
	s_cbranch_scc1 .LBB116_946
.LBB116_947:
	s_waitcnt lgkmcnt(0)
	v_cmp_eq_f64_e32 vcc, 0, v[117:118]
	v_cmp_eq_f64_e64 s[0:1], 0, v[119:120]
	s_and_b64 s[0:1], vcc, s[0:1]
	s_and_saveexec_b64 s[18:19], s[0:1]
	s_xor_b64 s[0:1], exec, s[18:19]
; %bb.948:
	v_cmp_ne_u32_e32 vcc, 0, v90
	v_cndmask_b32_e32 v90, 46, v90, vcc
; %bb.949:
	s_andn2_saveexec_b64 s[0:1], s[0:1]
	s_cbranch_execz .LBB116_955
; %bb.950:
	v_cmp_ngt_f64_e64 s[18:19], |v[117:118]|, |v[119:120]|
	s_and_saveexec_b64 s[20:21], s[18:19]
	s_xor_b64 s[18:19], exec, s[20:21]
	s_cbranch_execz .LBB116_952
; %bb.951:
	v_div_scale_f64 v[86:87], s[20:21], v[119:120], v[119:120], v[117:118]
	v_rcp_f64_e32 v[91:92], v[86:87]
	v_fma_f64 v[93:94], -v[86:87], v[91:92], 1.0
	v_fma_f64 v[91:92], v[91:92], v[93:94], v[91:92]
	v_div_scale_f64 v[93:94], vcc, v[117:118], v[119:120], v[117:118]
	v_fma_f64 v[95:96], -v[86:87], v[91:92], 1.0
	v_fma_f64 v[91:92], v[91:92], v[95:96], v[91:92]
	v_mul_f64 v[95:96], v[93:94], v[91:92]
	v_fma_f64 v[86:87], -v[86:87], v[95:96], v[93:94]
	v_div_fmas_f64 v[86:87], v[86:87], v[91:92], v[95:96]
	v_div_fixup_f64 v[86:87], v[86:87], v[119:120], v[117:118]
	v_fma_f64 v[91:92], v[117:118], v[86:87], v[119:120]
	v_div_scale_f64 v[93:94], s[20:21], v[91:92], v[91:92], 1.0
	v_div_scale_f64 v[99:100], vcc, 1.0, v[91:92], 1.0
	v_rcp_f64_e32 v[95:96], v[93:94]
	v_fma_f64 v[97:98], -v[93:94], v[95:96], 1.0
	v_fma_f64 v[95:96], v[95:96], v[97:98], v[95:96]
	v_fma_f64 v[97:98], -v[93:94], v[95:96], 1.0
	v_fma_f64 v[95:96], v[95:96], v[97:98], v[95:96]
	v_mul_f64 v[97:98], v[99:100], v[95:96]
	v_fma_f64 v[93:94], -v[93:94], v[97:98], v[99:100]
	v_div_fmas_f64 v[93:94], v[93:94], v[95:96], v[97:98]
	v_div_fixup_f64 v[119:120], v[93:94], v[91:92], 1.0
	v_mul_f64 v[117:118], v[86:87], v[119:120]
	v_xor_b32_e32 v120, 0x80000000, v120
.LBB116_952:
	s_andn2_saveexec_b64 s[18:19], s[18:19]
	s_cbranch_execz .LBB116_954
; %bb.953:
	v_div_scale_f64 v[86:87], s[20:21], v[117:118], v[117:118], v[119:120]
	v_rcp_f64_e32 v[91:92], v[86:87]
	v_fma_f64 v[93:94], -v[86:87], v[91:92], 1.0
	v_fma_f64 v[91:92], v[91:92], v[93:94], v[91:92]
	v_div_scale_f64 v[93:94], vcc, v[119:120], v[117:118], v[119:120]
	v_fma_f64 v[95:96], -v[86:87], v[91:92], 1.0
	v_fma_f64 v[91:92], v[91:92], v[95:96], v[91:92]
	v_mul_f64 v[95:96], v[93:94], v[91:92]
	v_fma_f64 v[86:87], -v[86:87], v[95:96], v[93:94]
	v_div_fmas_f64 v[86:87], v[86:87], v[91:92], v[95:96]
	v_div_fixup_f64 v[86:87], v[86:87], v[117:118], v[119:120]
	v_fma_f64 v[91:92], v[119:120], v[86:87], v[117:118]
	v_div_scale_f64 v[93:94], s[20:21], v[91:92], v[91:92], 1.0
	v_div_scale_f64 v[99:100], vcc, 1.0, v[91:92], 1.0
	v_rcp_f64_e32 v[95:96], v[93:94]
	v_fma_f64 v[97:98], -v[93:94], v[95:96], 1.0
	v_fma_f64 v[95:96], v[95:96], v[97:98], v[95:96]
	v_fma_f64 v[97:98], -v[93:94], v[95:96], 1.0
	v_fma_f64 v[95:96], v[95:96], v[97:98], v[95:96]
	v_mul_f64 v[97:98], v[99:100], v[95:96]
	v_fma_f64 v[93:94], -v[93:94], v[97:98], v[99:100]
	v_div_fmas_f64 v[93:94], v[93:94], v[95:96], v[97:98]
	v_div_fixup_f64 v[117:118], v[93:94], v[91:92], 1.0
	v_mul_f64 v[119:120], v[86:87], -v[117:118]
.LBB116_954:
	s_or_b64 exec, exec, s[18:19]
.LBB116_955:
	s_or_b64 exec, exec, s[0:1]
	v_cmp_ne_u32_e32 vcc, v89, v85
	s_and_saveexec_b64 s[0:1], vcc
	s_xor_b64 s[0:1], exec, s[0:1]
	s_cbranch_execz .LBB116_961
; %bb.956:
	v_cmp_eq_u32_e32 vcc, 45, v89
	s_and_saveexec_b64 s[18:19], vcc
	s_cbranch_execz .LBB116_960
; %bb.957:
	v_cmp_ne_u32_e32 vcc, 45, v85
	s_xor_b64 s[20:21], s[6:7], -1
	s_and_b64 s[22:23], s[20:21], vcc
	s_and_saveexec_b64 s[20:21], s[22:23]
	s_cbranch_execz .LBB116_959
; %bb.958:
	buffer_load_dword v81, off, s[24:27], 0 offset:500 ; 4-byte Folded Reload
	buffer_load_dword v82, off, s[24:27], 0 offset:504 ; 4-byte Folded Reload
	v_ashrrev_i32_e32 v86, 31, v85
	v_lshlrev_b64 v[86:87], 2, v[85:86]
	s_waitcnt vmcnt(1)
	v_add_co_u32_e32 v86, vcc, v81, v86
	s_waitcnt vmcnt(0)
	v_addc_co_u32_e32 v87, vcc, v82, v87, vcc
	global_load_dword v88, v[86:87], off
	global_load_dword v89, v[81:82], off offset:180
	s_waitcnt vmcnt(1)
	global_store_dword v[81:82], v88, off offset:180
	v_mov_b32_e32 v81, v101
	v_mov_b32_e32 v82, v102
	;; [unrolled: 1-line block ×4, first 2 shown]
	s_waitcnt vmcnt(1)
	global_store_dword v[86:87], v89, off
.LBB116_959:
	s_or_b64 exec, exec, s[20:21]
	v_mov_b32_e32 v89, v85
	v_mov_b32_e32 v77, v85
	buffer_store_dword v77, off, s[24:27], 0 offset:432 ; 4-byte Folded Spill
.LBB116_960:
	s_or_b64 exec, exec, s[18:19]
.LBB116_961:
	s_andn2_saveexec_b64 s[0:1], s[0:1]
	s_cbranch_execz .LBB116_963
; %bb.962:
	v_mov_b32_e32 v89, 45
	ds_write2_b64 v0, v[45:46], v[47:48] offset0:92 offset1:93
	ds_write2_b64 v0, v[41:42], v[43:44] offset0:94 offset1:95
	ds_write2_b64 v0, v[37:38], v[39:40] offset0:96 offset1:97
	ds_write2_b64 v0, v[33:34], v[35:36] offset0:98 offset1:99
	ds_write2_b64 v0, v[29:30], v[31:32] offset0:100 offset1:101
	ds_write2_b64 v0, v[25:26], v[27:28] offset0:102 offset1:103
	ds_write2_b64 v0, v[21:22], v[23:24] offset0:104 offset1:105
	ds_write2_b64 v0, v[17:18], v[19:20] offset0:106 offset1:107
	ds_write2_b64 v0, v[13:14], v[15:16] offset0:108 offset1:109
	ds_write2_b64 v0, v[9:10], v[11:12] offset0:110 offset1:111
	ds_write2_b64 v0, v[5:6], v[7:8] offset0:112 offset1:113
	ds_write2_b64 v0, v[1:2], v[3:4] offset0:114 offset1:115
	ds_write2_b64 v0, v[121:122], v[123:124] offset0:116 offset1:117
.LBB116_963:
	s_or_b64 exec, exec, s[0:1]
	v_cmp_lt_i32_e32 vcc, 45, v89
	s_waitcnt vmcnt(0) lgkmcnt(0)
	s_barrier
	s_and_saveexec_b64 s[0:1], vcc
	s_cbranch_execz .LBB116_965
; %bb.964:
	v_mul_f64 v[85:86], v[117:118], v[51:52]
	v_mul_f64 v[51:52], v[119:120], v[51:52]
	ds_read2_b64 v[91:94], v0 offset0:92 offset1:93
	v_fma_f64 v[85:86], v[119:120], v[49:50], v[85:86]
	v_fma_f64 v[49:50], v[117:118], v[49:50], -v[51:52]
	s_waitcnt lgkmcnt(0)
	v_mul_f64 v[51:52], v[93:94], v[85:86]
	v_mul_f64 v[87:88], v[91:92], v[85:86]
	v_fma_f64 v[51:52], v[91:92], v[49:50], -v[51:52]
	v_fma_f64 v[87:88], v[93:94], v[49:50], v[87:88]
	ds_read2_b64 v[91:94], v0 offset0:94 offset1:95
	v_add_f64 v[45:46], v[45:46], -v[51:52]
	v_add_f64 v[47:48], v[47:48], -v[87:88]
	s_waitcnt lgkmcnt(0)
	v_mul_f64 v[51:52], v[93:94], v[85:86]
	v_mul_f64 v[87:88], v[91:92], v[85:86]
	v_fma_f64 v[51:52], v[91:92], v[49:50], -v[51:52]
	v_fma_f64 v[87:88], v[93:94], v[49:50], v[87:88]
	ds_read2_b64 v[91:94], v0 offset0:96 offset1:97
	v_add_f64 v[41:42], v[41:42], -v[51:52]
	v_add_f64 v[43:44], v[43:44], -v[87:88]
	;; [unrolled: 8-line block ×12, first 2 shown]
	s_waitcnt lgkmcnt(0)
	v_mul_f64 v[51:52], v[93:94], v[85:86]
	v_mul_f64 v[87:88], v[91:92], v[85:86]
	v_fma_f64 v[51:52], v[91:92], v[49:50], -v[51:52]
	v_fma_f64 v[87:88], v[93:94], v[49:50], v[87:88]
	v_add_f64 v[121:122], v[121:122], -v[51:52]
	v_add_f64 v[123:124], v[123:124], -v[87:88]
	v_mov_b32_e32 v51, v85
	v_mov_b32_e32 v52, v86
.LBB116_965:
	s_or_b64 exec, exec, s[0:1]
	v_lshl_add_u32 v85, v89, 4, v0
	s_barrier
	ds_write2_b64 v85, v[45:46], v[47:48] offset1:1
	s_waitcnt lgkmcnt(0)
	s_barrier
	ds_read2_b64 v[117:120], v0 offset0:92 offset1:93
	s_cmp_lt_i32 s3, 48
	v_mov_b32_e32 v85, 46
	s_cbranch_scc1 .LBB116_968
; %bb.966:
	v_add_u32_e32 v86, 0x2f0, v0
	s_mov_b32 s0, 47
	v_mov_b32_e32 v85, 46
.LBB116_967:                            ; =>This Inner Loop Header: Depth=1
	s_waitcnt lgkmcnt(0)
	v_cmp_gt_f64_e32 vcc, 0, v[117:118]
	v_xor_b32_e32 v87, 0x80000000, v118
	ds_read2_b64 v[91:94], v86 offset1:1
	v_xor_b32_e32 v95, 0x80000000, v120
	v_add_u32_e32 v86, 16, v86
	s_waitcnt lgkmcnt(0)
	v_xor_b32_e32 v97, 0x80000000, v94
	v_cndmask_b32_e32 v88, v118, v87, vcc
	v_cmp_gt_f64_e32 vcc, 0, v[119:120]
	v_mov_b32_e32 v87, v117
	v_cndmask_b32_e32 v96, v120, v95, vcc
	v_cmp_gt_f64_e32 vcc, 0, v[91:92]
	v_mov_b32_e32 v95, v119
	v_add_f64 v[87:88], v[87:88], v[95:96]
	v_xor_b32_e32 v95, 0x80000000, v92
	v_cndmask_b32_e32 v96, v92, v95, vcc
	v_cmp_gt_f64_e32 vcc, 0, v[93:94]
	v_mov_b32_e32 v95, v91
	v_cndmask_b32_e32 v98, v94, v97, vcc
	v_mov_b32_e32 v97, v93
	v_add_f64 v[95:96], v[95:96], v[97:98]
	v_cmp_lt_f64_e32 vcc, v[87:88], v[95:96]
	v_mov_b32_e32 v87, s0
	s_add_i32 s0, s0, 1
	s_cmp_lg_u32 s3, s0
	v_cndmask_b32_e32 v118, v118, v92, vcc
	v_cndmask_b32_e32 v117, v117, v91, vcc
	;; [unrolled: 1-line block ×5, first 2 shown]
	s_cbranch_scc1 .LBB116_967
.LBB116_968:
	s_waitcnt lgkmcnt(0)
	v_cmp_eq_f64_e32 vcc, 0, v[117:118]
	v_cmp_eq_f64_e64 s[0:1], 0, v[119:120]
	s_and_b64 s[0:1], vcc, s[0:1]
	s_and_saveexec_b64 s[18:19], s[0:1]
	s_xor_b64 s[0:1], exec, s[18:19]
; %bb.969:
	v_cmp_ne_u32_e32 vcc, 0, v90
	v_cndmask_b32_e32 v90, 47, v90, vcc
; %bb.970:
	s_andn2_saveexec_b64 s[0:1], s[0:1]
	s_cbranch_execz .LBB116_976
; %bb.971:
	v_cmp_ngt_f64_e64 s[18:19], |v[117:118]|, |v[119:120]|
	s_and_saveexec_b64 s[20:21], s[18:19]
	s_xor_b64 s[18:19], exec, s[20:21]
	s_cbranch_execz .LBB116_973
; %bb.972:
	v_div_scale_f64 v[86:87], s[20:21], v[119:120], v[119:120], v[117:118]
	v_rcp_f64_e32 v[91:92], v[86:87]
	v_fma_f64 v[93:94], -v[86:87], v[91:92], 1.0
	v_fma_f64 v[91:92], v[91:92], v[93:94], v[91:92]
	v_div_scale_f64 v[93:94], vcc, v[117:118], v[119:120], v[117:118]
	v_fma_f64 v[95:96], -v[86:87], v[91:92], 1.0
	v_fma_f64 v[91:92], v[91:92], v[95:96], v[91:92]
	v_mul_f64 v[95:96], v[93:94], v[91:92]
	v_fma_f64 v[86:87], -v[86:87], v[95:96], v[93:94]
	v_div_fmas_f64 v[86:87], v[86:87], v[91:92], v[95:96]
	v_div_fixup_f64 v[86:87], v[86:87], v[119:120], v[117:118]
	v_fma_f64 v[91:92], v[117:118], v[86:87], v[119:120]
	v_div_scale_f64 v[93:94], s[20:21], v[91:92], v[91:92], 1.0
	v_div_scale_f64 v[99:100], vcc, 1.0, v[91:92], 1.0
	v_rcp_f64_e32 v[95:96], v[93:94]
	v_fma_f64 v[97:98], -v[93:94], v[95:96], 1.0
	v_fma_f64 v[95:96], v[95:96], v[97:98], v[95:96]
	v_fma_f64 v[97:98], -v[93:94], v[95:96], 1.0
	v_fma_f64 v[95:96], v[95:96], v[97:98], v[95:96]
	v_mul_f64 v[97:98], v[99:100], v[95:96]
	v_fma_f64 v[93:94], -v[93:94], v[97:98], v[99:100]
	v_div_fmas_f64 v[93:94], v[93:94], v[95:96], v[97:98]
	v_div_fixup_f64 v[119:120], v[93:94], v[91:92], 1.0
	v_mul_f64 v[117:118], v[86:87], v[119:120]
	v_xor_b32_e32 v120, 0x80000000, v120
.LBB116_973:
	s_andn2_saveexec_b64 s[18:19], s[18:19]
	s_cbranch_execz .LBB116_975
; %bb.974:
	v_div_scale_f64 v[86:87], s[20:21], v[117:118], v[117:118], v[119:120]
	v_rcp_f64_e32 v[91:92], v[86:87]
	v_fma_f64 v[93:94], -v[86:87], v[91:92], 1.0
	v_fma_f64 v[91:92], v[91:92], v[93:94], v[91:92]
	v_div_scale_f64 v[93:94], vcc, v[119:120], v[117:118], v[119:120]
	v_fma_f64 v[95:96], -v[86:87], v[91:92], 1.0
	v_fma_f64 v[91:92], v[91:92], v[95:96], v[91:92]
	v_mul_f64 v[95:96], v[93:94], v[91:92]
	v_fma_f64 v[86:87], -v[86:87], v[95:96], v[93:94]
	v_div_fmas_f64 v[86:87], v[86:87], v[91:92], v[95:96]
	v_div_fixup_f64 v[86:87], v[86:87], v[117:118], v[119:120]
	v_fma_f64 v[91:92], v[119:120], v[86:87], v[117:118]
	v_div_scale_f64 v[93:94], s[20:21], v[91:92], v[91:92], 1.0
	v_div_scale_f64 v[99:100], vcc, 1.0, v[91:92], 1.0
	v_rcp_f64_e32 v[95:96], v[93:94]
	v_fma_f64 v[97:98], -v[93:94], v[95:96], 1.0
	v_fma_f64 v[95:96], v[95:96], v[97:98], v[95:96]
	v_fma_f64 v[97:98], -v[93:94], v[95:96], 1.0
	v_fma_f64 v[95:96], v[95:96], v[97:98], v[95:96]
	v_mul_f64 v[97:98], v[99:100], v[95:96]
	v_fma_f64 v[93:94], -v[93:94], v[97:98], v[99:100]
	v_div_fmas_f64 v[93:94], v[93:94], v[95:96], v[97:98]
	v_div_fixup_f64 v[117:118], v[93:94], v[91:92], 1.0
	v_mul_f64 v[119:120], v[86:87], -v[117:118]
.LBB116_975:
	s_or_b64 exec, exec, s[18:19]
.LBB116_976:
	s_or_b64 exec, exec, s[0:1]
	v_cmp_ne_u32_e32 vcc, v89, v85
	s_and_saveexec_b64 s[0:1], vcc
	s_xor_b64 s[0:1], exec, s[0:1]
	s_cbranch_execz .LBB116_982
; %bb.977:
	v_cmp_eq_u32_e32 vcc, 46, v89
	s_and_saveexec_b64 s[18:19], vcc
	s_cbranch_execz .LBB116_981
; %bb.978:
	v_cmp_ne_u32_e32 vcc, 46, v85
	s_xor_b64 s[20:21], s[6:7], -1
	s_and_b64 s[22:23], s[20:21], vcc
	s_and_saveexec_b64 s[20:21], s[22:23]
	s_cbranch_execz .LBB116_980
; %bb.979:
	buffer_load_dword v81, off, s[24:27], 0 offset:500 ; 4-byte Folded Reload
	buffer_load_dword v82, off, s[24:27], 0 offset:504 ; 4-byte Folded Reload
	v_ashrrev_i32_e32 v86, 31, v85
	v_lshlrev_b64 v[86:87], 2, v[85:86]
	s_waitcnt vmcnt(1)
	v_add_co_u32_e32 v86, vcc, v81, v86
	s_waitcnt vmcnt(0)
	v_addc_co_u32_e32 v87, vcc, v82, v87, vcc
	global_load_dword v88, v[86:87], off
	global_load_dword v89, v[81:82], off offset:184
	s_waitcnt vmcnt(1)
	global_store_dword v[81:82], v88, off offset:184
	v_mov_b32_e32 v81, v101
	v_mov_b32_e32 v82, v102
	;; [unrolled: 1-line block ×4, first 2 shown]
	s_waitcnt vmcnt(1)
	global_store_dword v[86:87], v89, off
.LBB116_980:
	s_or_b64 exec, exec, s[20:21]
	v_mov_b32_e32 v89, v85
	v_mov_b32_e32 v77, v85
	buffer_store_dword v77, off, s[24:27], 0 offset:432 ; 4-byte Folded Spill
.LBB116_981:
	s_or_b64 exec, exec, s[18:19]
.LBB116_982:
	s_andn2_saveexec_b64 s[0:1], s[0:1]
	s_cbranch_execz .LBB116_984
; %bb.983:
	v_mov_b32_e32 v89, 46
	ds_write2_b64 v0, v[41:42], v[43:44] offset0:94 offset1:95
	ds_write2_b64 v0, v[37:38], v[39:40] offset0:96 offset1:97
	ds_write2_b64 v0, v[33:34], v[35:36] offset0:98 offset1:99
	ds_write2_b64 v0, v[29:30], v[31:32] offset0:100 offset1:101
	ds_write2_b64 v0, v[25:26], v[27:28] offset0:102 offset1:103
	ds_write2_b64 v0, v[21:22], v[23:24] offset0:104 offset1:105
	ds_write2_b64 v0, v[17:18], v[19:20] offset0:106 offset1:107
	ds_write2_b64 v0, v[13:14], v[15:16] offset0:108 offset1:109
	ds_write2_b64 v0, v[9:10], v[11:12] offset0:110 offset1:111
	ds_write2_b64 v0, v[5:6], v[7:8] offset0:112 offset1:113
	ds_write2_b64 v0, v[1:2], v[3:4] offset0:114 offset1:115
	ds_write2_b64 v0, v[121:122], v[123:124] offset0:116 offset1:117
.LBB116_984:
	s_or_b64 exec, exec, s[0:1]
	v_cmp_lt_i32_e32 vcc, 46, v89
	s_waitcnt vmcnt(0) lgkmcnt(0)
	s_barrier
	s_and_saveexec_b64 s[0:1], vcc
	s_cbranch_execz .LBB116_986
; %bb.985:
	v_mul_f64 v[85:86], v[117:118], v[47:48]
	v_mul_f64 v[47:48], v[119:120], v[47:48]
	ds_read2_b64 v[91:94], v0 offset0:94 offset1:95
	v_fma_f64 v[85:86], v[119:120], v[45:46], v[85:86]
	v_fma_f64 v[45:46], v[117:118], v[45:46], -v[47:48]
	s_waitcnt lgkmcnt(0)
	v_mul_f64 v[47:48], v[93:94], v[85:86]
	v_mul_f64 v[87:88], v[91:92], v[85:86]
	v_fma_f64 v[47:48], v[91:92], v[45:46], -v[47:48]
	v_fma_f64 v[87:88], v[93:94], v[45:46], v[87:88]
	ds_read2_b64 v[91:94], v0 offset0:96 offset1:97
	v_add_f64 v[41:42], v[41:42], -v[47:48]
	v_add_f64 v[43:44], v[43:44], -v[87:88]
	s_waitcnt lgkmcnt(0)
	v_mul_f64 v[47:48], v[93:94], v[85:86]
	v_mul_f64 v[87:88], v[91:92], v[85:86]
	v_fma_f64 v[47:48], v[91:92], v[45:46], -v[47:48]
	v_fma_f64 v[87:88], v[93:94], v[45:46], v[87:88]
	ds_read2_b64 v[91:94], v0 offset0:98 offset1:99
	v_add_f64 v[37:38], v[37:38], -v[47:48]
	v_add_f64 v[39:40], v[39:40], -v[87:88]
	;; [unrolled: 8-line block ×11, first 2 shown]
	s_waitcnt lgkmcnt(0)
	v_mul_f64 v[47:48], v[93:94], v[85:86]
	v_mul_f64 v[87:88], v[91:92], v[85:86]
	v_fma_f64 v[47:48], v[91:92], v[45:46], -v[47:48]
	v_fma_f64 v[87:88], v[93:94], v[45:46], v[87:88]
	v_add_f64 v[121:122], v[121:122], -v[47:48]
	v_add_f64 v[123:124], v[123:124], -v[87:88]
	v_mov_b32_e32 v47, v85
	v_mov_b32_e32 v48, v86
.LBB116_986:
	s_or_b64 exec, exec, s[0:1]
	v_lshl_add_u32 v85, v89, 4, v0
	s_barrier
	ds_write2_b64 v85, v[41:42], v[43:44] offset1:1
	s_waitcnt lgkmcnt(0)
	s_barrier
	ds_read2_b64 v[117:120], v0 offset0:94 offset1:95
	s_cmp_lt_i32 s3, 49
	v_mov_b32_e32 v85, 47
	s_cbranch_scc1 .LBB116_989
; %bb.987:
	v_add_u32_e32 v86, 0x300, v0
	s_mov_b32 s0, 48
	v_mov_b32_e32 v85, 47
.LBB116_988:                            ; =>This Inner Loop Header: Depth=1
	s_waitcnt lgkmcnt(0)
	v_cmp_gt_f64_e32 vcc, 0, v[117:118]
	v_xor_b32_e32 v87, 0x80000000, v118
	ds_read2_b64 v[91:94], v86 offset1:1
	v_xor_b32_e32 v95, 0x80000000, v120
	v_add_u32_e32 v86, 16, v86
	s_waitcnt lgkmcnt(0)
	v_xor_b32_e32 v97, 0x80000000, v94
	v_cndmask_b32_e32 v88, v118, v87, vcc
	v_cmp_gt_f64_e32 vcc, 0, v[119:120]
	v_mov_b32_e32 v87, v117
	v_cndmask_b32_e32 v96, v120, v95, vcc
	v_cmp_gt_f64_e32 vcc, 0, v[91:92]
	v_mov_b32_e32 v95, v119
	v_add_f64 v[87:88], v[87:88], v[95:96]
	v_xor_b32_e32 v95, 0x80000000, v92
	v_cndmask_b32_e32 v96, v92, v95, vcc
	v_cmp_gt_f64_e32 vcc, 0, v[93:94]
	v_mov_b32_e32 v95, v91
	v_cndmask_b32_e32 v98, v94, v97, vcc
	v_mov_b32_e32 v97, v93
	v_add_f64 v[95:96], v[95:96], v[97:98]
	v_cmp_lt_f64_e32 vcc, v[87:88], v[95:96]
	v_mov_b32_e32 v87, s0
	s_add_i32 s0, s0, 1
	s_cmp_lg_u32 s3, s0
	v_cndmask_b32_e32 v118, v118, v92, vcc
	v_cndmask_b32_e32 v117, v117, v91, vcc
	;; [unrolled: 1-line block ×5, first 2 shown]
	s_cbranch_scc1 .LBB116_988
.LBB116_989:
	s_waitcnt lgkmcnt(0)
	v_cmp_eq_f64_e32 vcc, 0, v[117:118]
	v_cmp_eq_f64_e64 s[0:1], 0, v[119:120]
	s_and_b64 s[0:1], vcc, s[0:1]
	s_and_saveexec_b64 s[18:19], s[0:1]
	s_xor_b64 s[0:1], exec, s[18:19]
; %bb.990:
	v_cmp_ne_u32_e32 vcc, 0, v90
	v_cndmask_b32_e32 v90, 48, v90, vcc
; %bb.991:
	s_andn2_saveexec_b64 s[0:1], s[0:1]
	s_cbranch_execz .LBB116_997
; %bb.992:
	v_cmp_ngt_f64_e64 s[18:19], |v[117:118]|, |v[119:120]|
	s_and_saveexec_b64 s[20:21], s[18:19]
	s_xor_b64 s[18:19], exec, s[20:21]
	s_cbranch_execz .LBB116_994
; %bb.993:
	v_div_scale_f64 v[86:87], s[20:21], v[119:120], v[119:120], v[117:118]
	v_rcp_f64_e32 v[91:92], v[86:87]
	v_fma_f64 v[93:94], -v[86:87], v[91:92], 1.0
	v_fma_f64 v[91:92], v[91:92], v[93:94], v[91:92]
	v_div_scale_f64 v[93:94], vcc, v[117:118], v[119:120], v[117:118]
	v_fma_f64 v[95:96], -v[86:87], v[91:92], 1.0
	v_fma_f64 v[91:92], v[91:92], v[95:96], v[91:92]
	v_mul_f64 v[95:96], v[93:94], v[91:92]
	v_fma_f64 v[86:87], -v[86:87], v[95:96], v[93:94]
	v_div_fmas_f64 v[86:87], v[86:87], v[91:92], v[95:96]
	v_div_fixup_f64 v[86:87], v[86:87], v[119:120], v[117:118]
	v_fma_f64 v[91:92], v[117:118], v[86:87], v[119:120]
	v_div_scale_f64 v[93:94], s[20:21], v[91:92], v[91:92], 1.0
	v_div_scale_f64 v[99:100], vcc, 1.0, v[91:92], 1.0
	v_rcp_f64_e32 v[95:96], v[93:94]
	v_fma_f64 v[97:98], -v[93:94], v[95:96], 1.0
	v_fma_f64 v[95:96], v[95:96], v[97:98], v[95:96]
	v_fma_f64 v[97:98], -v[93:94], v[95:96], 1.0
	v_fma_f64 v[95:96], v[95:96], v[97:98], v[95:96]
	v_mul_f64 v[97:98], v[99:100], v[95:96]
	v_fma_f64 v[93:94], -v[93:94], v[97:98], v[99:100]
	v_div_fmas_f64 v[93:94], v[93:94], v[95:96], v[97:98]
	v_div_fixup_f64 v[119:120], v[93:94], v[91:92], 1.0
	v_mul_f64 v[117:118], v[86:87], v[119:120]
	v_xor_b32_e32 v120, 0x80000000, v120
.LBB116_994:
	s_andn2_saveexec_b64 s[18:19], s[18:19]
	s_cbranch_execz .LBB116_996
; %bb.995:
	v_div_scale_f64 v[86:87], s[20:21], v[117:118], v[117:118], v[119:120]
	v_rcp_f64_e32 v[91:92], v[86:87]
	v_fma_f64 v[93:94], -v[86:87], v[91:92], 1.0
	v_fma_f64 v[91:92], v[91:92], v[93:94], v[91:92]
	v_div_scale_f64 v[93:94], vcc, v[119:120], v[117:118], v[119:120]
	v_fma_f64 v[95:96], -v[86:87], v[91:92], 1.0
	v_fma_f64 v[91:92], v[91:92], v[95:96], v[91:92]
	v_mul_f64 v[95:96], v[93:94], v[91:92]
	v_fma_f64 v[86:87], -v[86:87], v[95:96], v[93:94]
	v_div_fmas_f64 v[86:87], v[86:87], v[91:92], v[95:96]
	v_div_fixup_f64 v[86:87], v[86:87], v[117:118], v[119:120]
	v_fma_f64 v[91:92], v[119:120], v[86:87], v[117:118]
	v_div_scale_f64 v[93:94], s[20:21], v[91:92], v[91:92], 1.0
	v_div_scale_f64 v[99:100], vcc, 1.0, v[91:92], 1.0
	v_rcp_f64_e32 v[95:96], v[93:94]
	v_fma_f64 v[97:98], -v[93:94], v[95:96], 1.0
	v_fma_f64 v[95:96], v[95:96], v[97:98], v[95:96]
	v_fma_f64 v[97:98], -v[93:94], v[95:96], 1.0
	v_fma_f64 v[95:96], v[95:96], v[97:98], v[95:96]
	v_mul_f64 v[97:98], v[99:100], v[95:96]
	v_fma_f64 v[93:94], -v[93:94], v[97:98], v[99:100]
	v_div_fmas_f64 v[93:94], v[93:94], v[95:96], v[97:98]
	v_div_fixup_f64 v[117:118], v[93:94], v[91:92], 1.0
	v_mul_f64 v[119:120], v[86:87], -v[117:118]
.LBB116_996:
	s_or_b64 exec, exec, s[18:19]
.LBB116_997:
	s_or_b64 exec, exec, s[0:1]
	v_cmp_ne_u32_e32 vcc, v89, v85
	s_and_saveexec_b64 s[0:1], vcc
	s_xor_b64 s[0:1], exec, s[0:1]
	s_cbranch_execz .LBB116_1003
; %bb.998:
	v_cmp_eq_u32_e32 vcc, 47, v89
	s_and_saveexec_b64 s[18:19], vcc
	s_cbranch_execz .LBB116_1002
; %bb.999:
	v_cmp_ne_u32_e32 vcc, 47, v85
	s_xor_b64 s[20:21], s[6:7], -1
	s_and_b64 s[22:23], s[20:21], vcc
	s_and_saveexec_b64 s[20:21], s[22:23]
	s_cbranch_execz .LBB116_1001
; %bb.1000:
	buffer_load_dword v81, off, s[24:27], 0 offset:500 ; 4-byte Folded Reload
	buffer_load_dword v82, off, s[24:27], 0 offset:504 ; 4-byte Folded Reload
	v_ashrrev_i32_e32 v86, 31, v85
	v_lshlrev_b64 v[86:87], 2, v[85:86]
	s_waitcnt vmcnt(1)
	v_add_co_u32_e32 v86, vcc, v81, v86
	s_waitcnt vmcnt(0)
	v_addc_co_u32_e32 v87, vcc, v82, v87, vcc
	global_load_dword v88, v[86:87], off
	global_load_dword v89, v[81:82], off offset:188
	s_waitcnt vmcnt(1)
	global_store_dword v[81:82], v88, off offset:188
	v_mov_b32_e32 v81, v101
	v_mov_b32_e32 v82, v102
	;; [unrolled: 1-line block ×4, first 2 shown]
	s_waitcnt vmcnt(1)
	global_store_dword v[86:87], v89, off
.LBB116_1001:
	s_or_b64 exec, exec, s[20:21]
	v_mov_b32_e32 v89, v85
	v_mov_b32_e32 v77, v85
	buffer_store_dword v77, off, s[24:27], 0 offset:432 ; 4-byte Folded Spill
.LBB116_1002:
	s_or_b64 exec, exec, s[18:19]
.LBB116_1003:
	s_andn2_saveexec_b64 s[0:1], s[0:1]
	s_cbranch_execz .LBB116_1005
; %bb.1004:
	v_mov_b32_e32 v89, 47
	ds_write2_b64 v0, v[37:38], v[39:40] offset0:96 offset1:97
	ds_write2_b64 v0, v[33:34], v[35:36] offset0:98 offset1:99
	;; [unrolled: 1-line block ×11, first 2 shown]
.LBB116_1005:
	s_or_b64 exec, exec, s[0:1]
	v_cmp_lt_i32_e32 vcc, 47, v89
	s_waitcnt vmcnt(0) lgkmcnt(0)
	s_barrier
	s_and_saveexec_b64 s[0:1], vcc
	s_cbranch_execz .LBB116_1007
; %bb.1006:
	v_mul_f64 v[85:86], v[117:118], v[43:44]
	v_mul_f64 v[43:44], v[119:120], v[43:44]
	ds_read2_b64 v[91:94], v0 offset0:96 offset1:97
	v_fma_f64 v[85:86], v[119:120], v[41:42], v[85:86]
	v_fma_f64 v[41:42], v[117:118], v[41:42], -v[43:44]
	s_waitcnt lgkmcnt(0)
	v_mul_f64 v[43:44], v[93:94], v[85:86]
	v_mul_f64 v[87:88], v[91:92], v[85:86]
	v_fma_f64 v[43:44], v[91:92], v[41:42], -v[43:44]
	v_fma_f64 v[87:88], v[93:94], v[41:42], v[87:88]
	ds_read2_b64 v[91:94], v0 offset0:98 offset1:99
	v_add_f64 v[37:38], v[37:38], -v[43:44]
	v_add_f64 v[39:40], v[39:40], -v[87:88]
	s_waitcnt lgkmcnt(0)
	v_mul_f64 v[43:44], v[93:94], v[85:86]
	v_mul_f64 v[87:88], v[91:92], v[85:86]
	v_fma_f64 v[43:44], v[91:92], v[41:42], -v[43:44]
	v_fma_f64 v[87:88], v[93:94], v[41:42], v[87:88]
	ds_read2_b64 v[91:94], v0 offset0:100 offset1:101
	v_add_f64 v[33:34], v[33:34], -v[43:44]
	v_add_f64 v[35:36], v[35:36], -v[87:88]
	;; [unrolled: 8-line block ×10, first 2 shown]
	s_waitcnt lgkmcnt(0)
	v_mul_f64 v[43:44], v[93:94], v[85:86]
	v_mul_f64 v[87:88], v[91:92], v[85:86]
	v_fma_f64 v[43:44], v[91:92], v[41:42], -v[43:44]
	v_fma_f64 v[87:88], v[93:94], v[41:42], v[87:88]
	v_add_f64 v[121:122], v[121:122], -v[43:44]
	v_add_f64 v[123:124], v[123:124], -v[87:88]
	v_mov_b32_e32 v43, v85
	v_mov_b32_e32 v44, v86
.LBB116_1007:
	s_or_b64 exec, exec, s[0:1]
	v_lshl_add_u32 v85, v89, 4, v0
	s_barrier
	ds_write2_b64 v85, v[37:38], v[39:40] offset1:1
	s_waitcnt lgkmcnt(0)
	s_barrier
	ds_read2_b64 v[117:120], v0 offset0:96 offset1:97
	s_cmp_lt_i32 s3, 50
	v_mov_b32_e32 v85, 48
	s_cbranch_scc1 .LBB116_1010
; %bb.1008:
	v_add_u32_e32 v86, 0x310, v0
	s_mov_b32 s0, 49
	v_mov_b32_e32 v85, 48
.LBB116_1009:                           ; =>This Inner Loop Header: Depth=1
	s_waitcnt lgkmcnt(0)
	v_cmp_gt_f64_e32 vcc, 0, v[117:118]
	v_xor_b32_e32 v87, 0x80000000, v118
	ds_read2_b64 v[91:94], v86 offset1:1
	v_xor_b32_e32 v95, 0x80000000, v120
	v_add_u32_e32 v86, 16, v86
	s_waitcnt lgkmcnt(0)
	v_xor_b32_e32 v97, 0x80000000, v94
	v_cndmask_b32_e32 v88, v118, v87, vcc
	v_cmp_gt_f64_e32 vcc, 0, v[119:120]
	v_mov_b32_e32 v87, v117
	v_cndmask_b32_e32 v96, v120, v95, vcc
	v_cmp_gt_f64_e32 vcc, 0, v[91:92]
	v_mov_b32_e32 v95, v119
	v_add_f64 v[87:88], v[87:88], v[95:96]
	v_xor_b32_e32 v95, 0x80000000, v92
	v_cndmask_b32_e32 v96, v92, v95, vcc
	v_cmp_gt_f64_e32 vcc, 0, v[93:94]
	v_mov_b32_e32 v95, v91
	v_cndmask_b32_e32 v98, v94, v97, vcc
	v_mov_b32_e32 v97, v93
	v_add_f64 v[95:96], v[95:96], v[97:98]
	v_cmp_lt_f64_e32 vcc, v[87:88], v[95:96]
	v_mov_b32_e32 v87, s0
	s_add_i32 s0, s0, 1
	s_cmp_lg_u32 s3, s0
	v_cndmask_b32_e32 v118, v118, v92, vcc
	v_cndmask_b32_e32 v117, v117, v91, vcc
	;; [unrolled: 1-line block ×5, first 2 shown]
	s_cbranch_scc1 .LBB116_1009
.LBB116_1010:
	s_waitcnt lgkmcnt(0)
	v_cmp_eq_f64_e32 vcc, 0, v[117:118]
	v_cmp_eq_f64_e64 s[0:1], 0, v[119:120]
	s_and_b64 s[0:1], vcc, s[0:1]
	s_and_saveexec_b64 s[18:19], s[0:1]
	s_xor_b64 s[0:1], exec, s[18:19]
; %bb.1011:
	v_cmp_ne_u32_e32 vcc, 0, v90
	v_cndmask_b32_e32 v90, 49, v90, vcc
; %bb.1012:
	s_andn2_saveexec_b64 s[0:1], s[0:1]
	s_cbranch_execz .LBB116_1018
; %bb.1013:
	v_cmp_ngt_f64_e64 s[18:19], |v[117:118]|, |v[119:120]|
	s_and_saveexec_b64 s[20:21], s[18:19]
	s_xor_b64 s[18:19], exec, s[20:21]
	s_cbranch_execz .LBB116_1015
; %bb.1014:
	v_div_scale_f64 v[86:87], s[20:21], v[119:120], v[119:120], v[117:118]
	v_rcp_f64_e32 v[91:92], v[86:87]
	v_fma_f64 v[93:94], -v[86:87], v[91:92], 1.0
	v_fma_f64 v[91:92], v[91:92], v[93:94], v[91:92]
	v_div_scale_f64 v[93:94], vcc, v[117:118], v[119:120], v[117:118]
	v_fma_f64 v[95:96], -v[86:87], v[91:92], 1.0
	v_fma_f64 v[91:92], v[91:92], v[95:96], v[91:92]
	v_mul_f64 v[95:96], v[93:94], v[91:92]
	v_fma_f64 v[86:87], -v[86:87], v[95:96], v[93:94]
	v_div_fmas_f64 v[86:87], v[86:87], v[91:92], v[95:96]
	v_div_fixup_f64 v[86:87], v[86:87], v[119:120], v[117:118]
	v_fma_f64 v[91:92], v[117:118], v[86:87], v[119:120]
	v_div_scale_f64 v[93:94], s[20:21], v[91:92], v[91:92], 1.0
	v_div_scale_f64 v[99:100], vcc, 1.0, v[91:92], 1.0
	v_rcp_f64_e32 v[95:96], v[93:94]
	v_fma_f64 v[97:98], -v[93:94], v[95:96], 1.0
	v_fma_f64 v[95:96], v[95:96], v[97:98], v[95:96]
	v_fma_f64 v[97:98], -v[93:94], v[95:96], 1.0
	v_fma_f64 v[95:96], v[95:96], v[97:98], v[95:96]
	v_mul_f64 v[97:98], v[99:100], v[95:96]
	v_fma_f64 v[93:94], -v[93:94], v[97:98], v[99:100]
	v_div_fmas_f64 v[93:94], v[93:94], v[95:96], v[97:98]
	v_div_fixup_f64 v[119:120], v[93:94], v[91:92], 1.0
	v_mul_f64 v[117:118], v[86:87], v[119:120]
	v_xor_b32_e32 v120, 0x80000000, v120
.LBB116_1015:
	s_andn2_saveexec_b64 s[18:19], s[18:19]
	s_cbranch_execz .LBB116_1017
; %bb.1016:
	v_div_scale_f64 v[86:87], s[20:21], v[117:118], v[117:118], v[119:120]
	v_rcp_f64_e32 v[91:92], v[86:87]
	v_fma_f64 v[93:94], -v[86:87], v[91:92], 1.0
	v_fma_f64 v[91:92], v[91:92], v[93:94], v[91:92]
	v_div_scale_f64 v[93:94], vcc, v[119:120], v[117:118], v[119:120]
	v_fma_f64 v[95:96], -v[86:87], v[91:92], 1.0
	v_fma_f64 v[91:92], v[91:92], v[95:96], v[91:92]
	v_mul_f64 v[95:96], v[93:94], v[91:92]
	v_fma_f64 v[86:87], -v[86:87], v[95:96], v[93:94]
	v_div_fmas_f64 v[86:87], v[86:87], v[91:92], v[95:96]
	v_div_fixup_f64 v[86:87], v[86:87], v[117:118], v[119:120]
	v_fma_f64 v[91:92], v[119:120], v[86:87], v[117:118]
	v_div_scale_f64 v[93:94], s[20:21], v[91:92], v[91:92], 1.0
	v_div_scale_f64 v[99:100], vcc, 1.0, v[91:92], 1.0
	v_rcp_f64_e32 v[95:96], v[93:94]
	v_fma_f64 v[97:98], -v[93:94], v[95:96], 1.0
	v_fma_f64 v[95:96], v[95:96], v[97:98], v[95:96]
	v_fma_f64 v[97:98], -v[93:94], v[95:96], 1.0
	v_fma_f64 v[95:96], v[95:96], v[97:98], v[95:96]
	v_mul_f64 v[97:98], v[99:100], v[95:96]
	v_fma_f64 v[93:94], -v[93:94], v[97:98], v[99:100]
	v_div_fmas_f64 v[93:94], v[93:94], v[95:96], v[97:98]
	v_div_fixup_f64 v[117:118], v[93:94], v[91:92], 1.0
	v_mul_f64 v[119:120], v[86:87], -v[117:118]
.LBB116_1017:
	s_or_b64 exec, exec, s[18:19]
.LBB116_1018:
	s_or_b64 exec, exec, s[0:1]
	v_cmp_ne_u32_e32 vcc, v89, v85
	s_and_saveexec_b64 s[0:1], vcc
	s_xor_b64 s[0:1], exec, s[0:1]
	s_cbranch_execz .LBB116_1024
; %bb.1019:
	v_cmp_eq_u32_e32 vcc, 48, v89
	s_and_saveexec_b64 s[18:19], vcc
	s_cbranch_execz .LBB116_1023
; %bb.1020:
	v_cmp_ne_u32_e32 vcc, 48, v85
	s_xor_b64 s[20:21], s[6:7], -1
	s_and_b64 s[22:23], s[20:21], vcc
	s_and_saveexec_b64 s[20:21], s[22:23]
	s_cbranch_execz .LBB116_1022
; %bb.1021:
	buffer_load_dword v81, off, s[24:27], 0 offset:500 ; 4-byte Folded Reload
	buffer_load_dword v82, off, s[24:27], 0 offset:504 ; 4-byte Folded Reload
	v_ashrrev_i32_e32 v86, 31, v85
	v_lshlrev_b64 v[86:87], 2, v[85:86]
	s_waitcnt vmcnt(1)
	v_add_co_u32_e32 v86, vcc, v81, v86
	s_waitcnt vmcnt(0)
	v_addc_co_u32_e32 v87, vcc, v82, v87, vcc
	global_load_dword v88, v[86:87], off
	global_load_dword v89, v[81:82], off offset:192
	s_waitcnt vmcnt(1)
	global_store_dword v[81:82], v88, off offset:192
	v_mov_b32_e32 v81, v101
	v_mov_b32_e32 v82, v102
	;; [unrolled: 1-line block ×4, first 2 shown]
	s_waitcnt vmcnt(1)
	global_store_dword v[86:87], v89, off
.LBB116_1022:
	s_or_b64 exec, exec, s[20:21]
	v_mov_b32_e32 v89, v85
	v_mov_b32_e32 v77, v85
	buffer_store_dword v77, off, s[24:27], 0 offset:432 ; 4-byte Folded Spill
.LBB116_1023:
	s_or_b64 exec, exec, s[18:19]
.LBB116_1024:
	s_andn2_saveexec_b64 s[0:1], s[0:1]
	s_cbranch_execz .LBB116_1026
; %bb.1025:
	v_mov_b32_e32 v89, 48
	ds_write2_b64 v0, v[33:34], v[35:36] offset0:98 offset1:99
	ds_write2_b64 v0, v[29:30], v[31:32] offset0:100 offset1:101
	;; [unrolled: 1-line block ×10, first 2 shown]
.LBB116_1026:
	s_or_b64 exec, exec, s[0:1]
	v_cmp_lt_i32_e32 vcc, 48, v89
	s_waitcnt vmcnt(0) lgkmcnt(0)
	s_barrier
	s_and_saveexec_b64 s[0:1], vcc
	s_cbranch_execz .LBB116_1028
; %bb.1027:
	v_mul_f64 v[85:86], v[117:118], v[39:40]
	v_mul_f64 v[39:40], v[119:120], v[39:40]
	ds_read2_b64 v[91:94], v0 offset0:98 offset1:99
	v_fma_f64 v[85:86], v[119:120], v[37:38], v[85:86]
	v_fma_f64 v[37:38], v[117:118], v[37:38], -v[39:40]
	s_waitcnt lgkmcnt(0)
	v_mul_f64 v[39:40], v[93:94], v[85:86]
	v_mul_f64 v[87:88], v[91:92], v[85:86]
	v_fma_f64 v[39:40], v[91:92], v[37:38], -v[39:40]
	v_fma_f64 v[87:88], v[93:94], v[37:38], v[87:88]
	ds_read2_b64 v[91:94], v0 offset0:100 offset1:101
	v_add_f64 v[33:34], v[33:34], -v[39:40]
	v_add_f64 v[35:36], v[35:36], -v[87:88]
	s_waitcnt lgkmcnt(0)
	v_mul_f64 v[39:40], v[93:94], v[85:86]
	v_mul_f64 v[87:88], v[91:92], v[85:86]
	v_fma_f64 v[39:40], v[91:92], v[37:38], -v[39:40]
	v_fma_f64 v[87:88], v[93:94], v[37:38], v[87:88]
	ds_read2_b64 v[91:94], v0 offset0:102 offset1:103
	v_add_f64 v[29:30], v[29:30], -v[39:40]
	v_add_f64 v[31:32], v[31:32], -v[87:88]
	;; [unrolled: 8-line block ×9, first 2 shown]
	s_waitcnt lgkmcnt(0)
	v_mul_f64 v[39:40], v[93:94], v[85:86]
	v_mul_f64 v[87:88], v[91:92], v[85:86]
	v_fma_f64 v[39:40], v[91:92], v[37:38], -v[39:40]
	v_fma_f64 v[87:88], v[93:94], v[37:38], v[87:88]
	v_add_f64 v[121:122], v[121:122], -v[39:40]
	v_add_f64 v[123:124], v[123:124], -v[87:88]
	v_mov_b32_e32 v39, v85
	v_mov_b32_e32 v40, v86
.LBB116_1028:
	s_or_b64 exec, exec, s[0:1]
	v_lshl_add_u32 v85, v89, 4, v0
	s_barrier
	ds_write2_b64 v85, v[33:34], v[35:36] offset1:1
	s_waitcnt lgkmcnt(0)
	s_barrier
	ds_read2_b64 v[117:120], v0 offset0:98 offset1:99
	s_cmp_lt_i32 s3, 51
	v_mov_b32_e32 v85, 49
	s_cbranch_scc1 .LBB116_1031
; %bb.1029:
	v_add_u32_e32 v86, 0x320, v0
	s_mov_b32 s0, 50
	v_mov_b32_e32 v85, 49
.LBB116_1030:                           ; =>This Inner Loop Header: Depth=1
	s_waitcnt lgkmcnt(0)
	v_cmp_gt_f64_e32 vcc, 0, v[117:118]
	v_xor_b32_e32 v87, 0x80000000, v118
	ds_read2_b64 v[91:94], v86 offset1:1
	v_xor_b32_e32 v95, 0x80000000, v120
	v_add_u32_e32 v86, 16, v86
	s_waitcnt lgkmcnt(0)
	v_xor_b32_e32 v97, 0x80000000, v94
	v_cndmask_b32_e32 v88, v118, v87, vcc
	v_cmp_gt_f64_e32 vcc, 0, v[119:120]
	v_mov_b32_e32 v87, v117
	v_cndmask_b32_e32 v96, v120, v95, vcc
	v_cmp_gt_f64_e32 vcc, 0, v[91:92]
	v_mov_b32_e32 v95, v119
	v_add_f64 v[87:88], v[87:88], v[95:96]
	v_xor_b32_e32 v95, 0x80000000, v92
	v_cndmask_b32_e32 v96, v92, v95, vcc
	v_cmp_gt_f64_e32 vcc, 0, v[93:94]
	v_mov_b32_e32 v95, v91
	v_cndmask_b32_e32 v98, v94, v97, vcc
	v_mov_b32_e32 v97, v93
	v_add_f64 v[95:96], v[95:96], v[97:98]
	v_cmp_lt_f64_e32 vcc, v[87:88], v[95:96]
	v_mov_b32_e32 v87, s0
	s_add_i32 s0, s0, 1
	s_cmp_lg_u32 s3, s0
	v_cndmask_b32_e32 v118, v118, v92, vcc
	v_cndmask_b32_e32 v117, v117, v91, vcc
	;; [unrolled: 1-line block ×5, first 2 shown]
	s_cbranch_scc1 .LBB116_1030
.LBB116_1031:
	s_waitcnt lgkmcnt(0)
	v_cmp_eq_f64_e32 vcc, 0, v[117:118]
	v_cmp_eq_f64_e64 s[0:1], 0, v[119:120]
	s_and_b64 s[0:1], vcc, s[0:1]
	s_and_saveexec_b64 s[18:19], s[0:1]
	s_xor_b64 s[0:1], exec, s[18:19]
; %bb.1032:
	v_cmp_ne_u32_e32 vcc, 0, v90
	v_cndmask_b32_e32 v90, 50, v90, vcc
; %bb.1033:
	s_andn2_saveexec_b64 s[0:1], s[0:1]
	s_cbranch_execz .LBB116_1039
; %bb.1034:
	v_cmp_ngt_f64_e64 s[18:19], |v[117:118]|, |v[119:120]|
	s_and_saveexec_b64 s[20:21], s[18:19]
	s_xor_b64 s[18:19], exec, s[20:21]
	s_cbranch_execz .LBB116_1036
; %bb.1035:
	v_div_scale_f64 v[86:87], s[20:21], v[119:120], v[119:120], v[117:118]
	v_rcp_f64_e32 v[91:92], v[86:87]
	v_fma_f64 v[93:94], -v[86:87], v[91:92], 1.0
	v_fma_f64 v[91:92], v[91:92], v[93:94], v[91:92]
	v_div_scale_f64 v[93:94], vcc, v[117:118], v[119:120], v[117:118]
	v_fma_f64 v[95:96], -v[86:87], v[91:92], 1.0
	v_fma_f64 v[91:92], v[91:92], v[95:96], v[91:92]
	v_mul_f64 v[95:96], v[93:94], v[91:92]
	v_fma_f64 v[86:87], -v[86:87], v[95:96], v[93:94]
	v_div_fmas_f64 v[86:87], v[86:87], v[91:92], v[95:96]
	v_div_fixup_f64 v[86:87], v[86:87], v[119:120], v[117:118]
	v_fma_f64 v[91:92], v[117:118], v[86:87], v[119:120]
	v_div_scale_f64 v[93:94], s[20:21], v[91:92], v[91:92], 1.0
	v_div_scale_f64 v[99:100], vcc, 1.0, v[91:92], 1.0
	v_rcp_f64_e32 v[95:96], v[93:94]
	v_fma_f64 v[97:98], -v[93:94], v[95:96], 1.0
	v_fma_f64 v[95:96], v[95:96], v[97:98], v[95:96]
	v_fma_f64 v[97:98], -v[93:94], v[95:96], 1.0
	v_fma_f64 v[95:96], v[95:96], v[97:98], v[95:96]
	v_mul_f64 v[97:98], v[99:100], v[95:96]
	v_fma_f64 v[93:94], -v[93:94], v[97:98], v[99:100]
	v_div_fmas_f64 v[93:94], v[93:94], v[95:96], v[97:98]
	v_div_fixup_f64 v[119:120], v[93:94], v[91:92], 1.0
	v_mul_f64 v[117:118], v[86:87], v[119:120]
	v_xor_b32_e32 v120, 0x80000000, v120
.LBB116_1036:
	s_andn2_saveexec_b64 s[18:19], s[18:19]
	s_cbranch_execz .LBB116_1038
; %bb.1037:
	v_div_scale_f64 v[86:87], s[20:21], v[117:118], v[117:118], v[119:120]
	v_rcp_f64_e32 v[91:92], v[86:87]
	v_fma_f64 v[93:94], -v[86:87], v[91:92], 1.0
	v_fma_f64 v[91:92], v[91:92], v[93:94], v[91:92]
	v_div_scale_f64 v[93:94], vcc, v[119:120], v[117:118], v[119:120]
	v_fma_f64 v[95:96], -v[86:87], v[91:92], 1.0
	v_fma_f64 v[91:92], v[91:92], v[95:96], v[91:92]
	v_mul_f64 v[95:96], v[93:94], v[91:92]
	v_fma_f64 v[86:87], -v[86:87], v[95:96], v[93:94]
	v_div_fmas_f64 v[86:87], v[86:87], v[91:92], v[95:96]
	v_div_fixup_f64 v[86:87], v[86:87], v[117:118], v[119:120]
	v_fma_f64 v[91:92], v[119:120], v[86:87], v[117:118]
	v_div_scale_f64 v[93:94], s[20:21], v[91:92], v[91:92], 1.0
	v_div_scale_f64 v[99:100], vcc, 1.0, v[91:92], 1.0
	v_rcp_f64_e32 v[95:96], v[93:94]
	v_fma_f64 v[97:98], -v[93:94], v[95:96], 1.0
	v_fma_f64 v[95:96], v[95:96], v[97:98], v[95:96]
	v_fma_f64 v[97:98], -v[93:94], v[95:96], 1.0
	v_fma_f64 v[95:96], v[95:96], v[97:98], v[95:96]
	v_mul_f64 v[97:98], v[99:100], v[95:96]
	v_fma_f64 v[93:94], -v[93:94], v[97:98], v[99:100]
	v_div_fmas_f64 v[93:94], v[93:94], v[95:96], v[97:98]
	v_div_fixup_f64 v[117:118], v[93:94], v[91:92], 1.0
	v_mul_f64 v[119:120], v[86:87], -v[117:118]
.LBB116_1038:
	s_or_b64 exec, exec, s[18:19]
.LBB116_1039:
	s_or_b64 exec, exec, s[0:1]
	v_cmp_ne_u32_e32 vcc, v89, v85
	s_and_saveexec_b64 s[0:1], vcc
	s_xor_b64 s[0:1], exec, s[0:1]
	s_cbranch_execz .LBB116_1045
; %bb.1040:
	v_cmp_eq_u32_e32 vcc, 49, v89
	s_and_saveexec_b64 s[18:19], vcc
	s_cbranch_execz .LBB116_1044
; %bb.1041:
	v_cmp_ne_u32_e32 vcc, 49, v85
	s_xor_b64 s[20:21], s[6:7], -1
	s_and_b64 s[22:23], s[20:21], vcc
	s_and_saveexec_b64 s[20:21], s[22:23]
	s_cbranch_execz .LBB116_1043
; %bb.1042:
	buffer_load_dword v81, off, s[24:27], 0 offset:500 ; 4-byte Folded Reload
	buffer_load_dword v82, off, s[24:27], 0 offset:504 ; 4-byte Folded Reload
	v_ashrrev_i32_e32 v86, 31, v85
	v_lshlrev_b64 v[86:87], 2, v[85:86]
	s_waitcnt vmcnt(1)
	v_add_co_u32_e32 v86, vcc, v81, v86
	s_waitcnt vmcnt(0)
	v_addc_co_u32_e32 v87, vcc, v82, v87, vcc
	global_load_dword v88, v[86:87], off
	global_load_dword v89, v[81:82], off offset:196
	s_waitcnt vmcnt(1)
	global_store_dword v[81:82], v88, off offset:196
	v_mov_b32_e32 v81, v101
	v_mov_b32_e32 v82, v102
	;; [unrolled: 1-line block ×4, first 2 shown]
	s_waitcnt vmcnt(1)
	global_store_dword v[86:87], v89, off
.LBB116_1043:
	s_or_b64 exec, exec, s[20:21]
	v_mov_b32_e32 v89, v85
	v_mov_b32_e32 v77, v85
	buffer_store_dword v77, off, s[24:27], 0 offset:432 ; 4-byte Folded Spill
.LBB116_1044:
	s_or_b64 exec, exec, s[18:19]
.LBB116_1045:
	s_andn2_saveexec_b64 s[0:1], s[0:1]
	s_cbranch_execz .LBB116_1047
; %bb.1046:
	v_mov_b32_e32 v89, 49
	ds_write2_b64 v0, v[29:30], v[31:32] offset0:100 offset1:101
	ds_write2_b64 v0, v[25:26], v[27:28] offset0:102 offset1:103
	;; [unrolled: 1-line block ×9, first 2 shown]
.LBB116_1047:
	s_or_b64 exec, exec, s[0:1]
	v_cmp_lt_i32_e32 vcc, 49, v89
	s_waitcnt vmcnt(0) lgkmcnt(0)
	s_barrier
	s_and_saveexec_b64 s[0:1], vcc
	s_cbranch_execz .LBB116_1049
; %bb.1048:
	v_mul_f64 v[85:86], v[117:118], v[35:36]
	v_mul_f64 v[35:36], v[119:120], v[35:36]
	ds_read2_b64 v[91:94], v0 offset0:100 offset1:101
	v_fma_f64 v[85:86], v[119:120], v[33:34], v[85:86]
	v_fma_f64 v[33:34], v[117:118], v[33:34], -v[35:36]
	s_waitcnt lgkmcnt(0)
	v_mul_f64 v[35:36], v[93:94], v[85:86]
	v_mul_f64 v[87:88], v[91:92], v[85:86]
	v_fma_f64 v[35:36], v[91:92], v[33:34], -v[35:36]
	v_fma_f64 v[87:88], v[93:94], v[33:34], v[87:88]
	ds_read2_b64 v[91:94], v0 offset0:102 offset1:103
	v_add_f64 v[29:30], v[29:30], -v[35:36]
	v_add_f64 v[31:32], v[31:32], -v[87:88]
	s_waitcnt lgkmcnt(0)
	v_mul_f64 v[35:36], v[93:94], v[85:86]
	v_mul_f64 v[87:88], v[91:92], v[85:86]
	v_fma_f64 v[35:36], v[91:92], v[33:34], -v[35:36]
	v_fma_f64 v[87:88], v[93:94], v[33:34], v[87:88]
	ds_read2_b64 v[91:94], v0 offset0:104 offset1:105
	v_add_f64 v[25:26], v[25:26], -v[35:36]
	v_add_f64 v[27:28], v[27:28], -v[87:88]
	;; [unrolled: 8-line block ×8, first 2 shown]
	s_waitcnt lgkmcnt(0)
	v_mul_f64 v[35:36], v[93:94], v[85:86]
	v_mul_f64 v[87:88], v[91:92], v[85:86]
	v_fma_f64 v[35:36], v[91:92], v[33:34], -v[35:36]
	v_fma_f64 v[87:88], v[93:94], v[33:34], v[87:88]
	v_add_f64 v[121:122], v[121:122], -v[35:36]
	v_add_f64 v[123:124], v[123:124], -v[87:88]
	v_mov_b32_e32 v35, v85
	v_mov_b32_e32 v36, v86
.LBB116_1049:
	s_or_b64 exec, exec, s[0:1]
	v_lshl_add_u32 v85, v89, 4, v0
	s_barrier
	ds_write2_b64 v85, v[29:30], v[31:32] offset1:1
	s_waitcnt lgkmcnt(0)
	s_barrier
	ds_read2_b64 v[117:120], v0 offset0:100 offset1:101
	s_cmp_lt_i32 s3, 52
	v_mov_b32_e32 v85, 50
	s_cbranch_scc1 .LBB116_1052
; %bb.1050:
	v_add_u32_e32 v86, 0x330, v0
	s_mov_b32 s0, 51
	v_mov_b32_e32 v85, 50
.LBB116_1051:                           ; =>This Inner Loop Header: Depth=1
	s_waitcnt lgkmcnt(0)
	v_cmp_gt_f64_e32 vcc, 0, v[117:118]
	v_xor_b32_e32 v87, 0x80000000, v118
	ds_read2_b64 v[91:94], v86 offset1:1
	v_xor_b32_e32 v95, 0x80000000, v120
	v_add_u32_e32 v86, 16, v86
	s_waitcnt lgkmcnt(0)
	v_xor_b32_e32 v97, 0x80000000, v94
	v_cndmask_b32_e32 v88, v118, v87, vcc
	v_cmp_gt_f64_e32 vcc, 0, v[119:120]
	v_mov_b32_e32 v87, v117
	v_cndmask_b32_e32 v96, v120, v95, vcc
	v_cmp_gt_f64_e32 vcc, 0, v[91:92]
	v_mov_b32_e32 v95, v119
	v_add_f64 v[87:88], v[87:88], v[95:96]
	v_xor_b32_e32 v95, 0x80000000, v92
	v_cndmask_b32_e32 v96, v92, v95, vcc
	v_cmp_gt_f64_e32 vcc, 0, v[93:94]
	v_mov_b32_e32 v95, v91
	v_cndmask_b32_e32 v98, v94, v97, vcc
	v_mov_b32_e32 v97, v93
	v_add_f64 v[95:96], v[95:96], v[97:98]
	v_cmp_lt_f64_e32 vcc, v[87:88], v[95:96]
	v_mov_b32_e32 v87, s0
	s_add_i32 s0, s0, 1
	s_cmp_lg_u32 s3, s0
	v_cndmask_b32_e32 v118, v118, v92, vcc
	v_cndmask_b32_e32 v117, v117, v91, vcc
	;; [unrolled: 1-line block ×5, first 2 shown]
	s_cbranch_scc1 .LBB116_1051
.LBB116_1052:
	s_waitcnt lgkmcnt(0)
	v_cmp_eq_f64_e32 vcc, 0, v[117:118]
	v_cmp_eq_f64_e64 s[0:1], 0, v[119:120]
	s_and_b64 s[0:1], vcc, s[0:1]
	s_and_saveexec_b64 s[18:19], s[0:1]
	s_xor_b64 s[0:1], exec, s[18:19]
; %bb.1053:
	v_cmp_ne_u32_e32 vcc, 0, v90
	v_cndmask_b32_e32 v90, 51, v90, vcc
; %bb.1054:
	s_andn2_saveexec_b64 s[0:1], s[0:1]
	s_cbranch_execz .LBB116_1060
; %bb.1055:
	v_cmp_ngt_f64_e64 s[18:19], |v[117:118]|, |v[119:120]|
	s_and_saveexec_b64 s[20:21], s[18:19]
	s_xor_b64 s[18:19], exec, s[20:21]
	s_cbranch_execz .LBB116_1057
; %bb.1056:
	v_div_scale_f64 v[86:87], s[20:21], v[119:120], v[119:120], v[117:118]
	v_rcp_f64_e32 v[91:92], v[86:87]
	v_fma_f64 v[93:94], -v[86:87], v[91:92], 1.0
	v_fma_f64 v[91:92], v[91:92], v[93:94], v[91:92]
	v_div_scale_f64 v[93:94], vcc, v[117:118], v[119:120], v[117:118]
	v_fma_f64 v[95:96], -v[86:87], v[91:92], 1.0
	v_fma_f64 v[91:92], v[91:92], v[95:96], v[91:92]
	v_mul_f64 v[95:96], v[93:94], v[91:92]
	v_fma_f64 v[86:87], -v[86:87], v[95:96], v[93:94]
	v_div_fmas_f64 v[86:87], v[86:87], v[91:92], v[95:96]
	v_div_fixup_f64 v[86:87], v[86:87], v[119:120], v[117:118]
	v_fma_f64 v[91:92], v[117:118], v[86:87], v[119:120]
	v_div_scale_f64 v[93:94], s[20:21], v[91:92], v[91:92], 1.0
	v_div_scale_f64 v[99:100], vcc, 1.0, v[91:92], 1.0
	v_rcp_f64_e32 v[95:96], v[93:94]
	v_fma_f64 v[97:98], -v[93:94], v[95:96], 1.0
	v_fma_f64 v[95:96], v[95:96], v[97:98], v[95:96]
	v_fma_f64 v[97:98], -v[93:94], v[95:96], 1.0
	v_fma_f64 v[95:96], v[95:96], v[97:98], v[95:96]
	v_mul_f64 v[97:98], v[99:100], v[95:96]
	v_fma_f64 v[93:94], -v[93:94], v[97:98], v[99:100]
	v_div_fmas_f64 v[93:94], v[93:94], v[95:96], v[97:98]
	v_div_fixup_f64 v[119:120], v[93:94], v[91:92], 1.0
	v_mul_f64 v[117:118], v[86:87], v[119:120]
	v_xor_b32_e32 v120, 0x80000000, v120
.LBB116_1057:
	s_andn2_saveexec_b64 s[18:19], s[18:19]
	s_cbranch_execz .LBB116_1059
; %bb.1058:
	v_div_scale_f64 v[86:87], s[20:21], v[117:118], v[117:118], v[119:120]
	v_rcp_f64_e32 v[91:92], v[86:87]
	v_fma_f64 v[93:94], -v[86:87], v[91:92], 1.0
	v_fma_f64 v[91:92], v[91:92], v[93:94], v[91:92]
	v_div_scale_f64 v[93:94], vcc, v[119:120], v[117:118], v[119:120]
	v_fma_f64 v[95:96], -v[86:87], v[91:92], 1.0
	v_fma_f64 v[91:92], v[91:92], v[95:96], v[91:92]
	v_mul_f64 v[95:96], v[93:94], v[91:92]
	v_fma_f64 v[86:87], -v[86:87], v[95:96], v[93:94]
	v_div_fmas_f64 v[86:87], v[86:87], v[91:92], v[95:96]
	v_div_fixup_f64 v[86:87], v[86:87], v[117:118], v[119:120]
	v_fma_f64 v[91:92], v[119:120], v[86:87], v[117:118]
	v_div_scale_f64 v[93:94], s[20:21], v[91:92], v[91:92], 1.0
	v_div_scale_f64 v[99:100], vcc, 1.0, v[91:92], 1.0
	v_rcp_f64_e32 v[95:96], v[93:94]
	v_fma_f64 v[97:98], -v[93:94], v[95:96], 1.0
	v_fma_f64 v[95:96], v[95:96], v[97:98], v[95:96]
	v_fma_f64 v[97:98], -v[93:94], v[95:96], 1.0
	v_fma_f64 v[95:96], v[95:96], v[97:98], v[95:96]
	v_mul_f64 v[97:98], v[99:100], v[95:96]
	v_fma_f64 v[93:94], -v[93:94], v[97:98], v[99:100]
	v_div_fmas_f64 v[93:94], v[93:94], v[95:96], v[97:98]
	v_div_fixup_f64 v[117:118], v[93:94], v[91:92], 1.0
	v_mul_f64 v[119:120], v[86:87], -v[117:118]
.LBB116_1059:
	s_or_b64 exec, exec, s[18:19]
.LBB116_1060:
	s_or_b64 exec, exec, s[0:1]
	v_cmp_ne_u32_e32 vcc, v89, v85
	s_and_saveexec_b64 s[0:1], vcc
	s_xor_b64 s[0:1], exec, s[0:1]
	s_cbranch_execz .LBB116_1066
; %bb.1061:
	v_cmp_eq_u32_e32 vcc, 50, v89
	s_and_saveexec_b64 s[18:19], vcc
	s_cbranch_execz .LBB116_1065
; %bb.1062:
	v_cmp_ne_u32_e32 vcc, 50, v85
	s_xor_b64 s[20:21], s[6:7], -1
	s_and_b64 s[22:23], s[20:21], vcc
	s_and_saveexec_b64 s[20:21], s[22:23]
	s_cbranch_execz .LBB116_1064
; %bb.1063:
	buffer_load_dword v81, off, s[24:27], 0 offset:500 ; 4-byte Folded Reload
	buffer_load_dword v82, off, s[24:27], 0 offset:504 ; 4-byte Folded Reload
	v_ashrrev_i32_e32 v86, 31, v85
	v_lshlrev_b64 v[86:87], 2, v[85:86]
	s_waitcnt vmcnt(1)
	v_add_co_u32_e32 v86, vcc, v81, v86
	s_waitcnt vmcnt(0)
	v_addc_co_u32_e32 v87, vcc, v82, v87, vcc
	global_load_dword v88, v[86:87], off
	global_load_dword v89, v[81:82], off offset:200
	s_waitcnt vmcnt(1)
	global_store_dword v[81:82], v88, off offset:200
	v_mov_b32_e32 v81, v101
	v_mov_b32_e32 v82, v102
	;; [unrolled: 1-line block ×4, first 2 shown]
	s_waitcnt vmcnt(1)
	global_store_dword v[86:87], v89, off
.LBB116_1064:
	s_or_b64 exec, exec, s[20:21]
	v_mov_b32_e32 v89, v85
	v_mov_b32_e32 v77, v85
	buffer_store_dword v77, off, s[24:27], 0 offset:432 ; 4-byte Folded Spill
.LBB116_1065:
	s_or_b64 exec, exec, s[18:19]
.LBB116_1066:
	s_andn2_saveexec_b64 s[0:1], s[0:1]
	s_cbranch_execz .LBB116_1068
; %bb.1067:
	v_mov_b32_e32 v89, 50
	ds_write2_b64 v0, v[25:26], v[27:28] offset0:102 offset1:103
	ds_write2_b64 v0, v[21:22], v[23:24] offset0:104 offset1:105
	;; [unrolled: 1-line block ×8, first 2 shown]
.LBB116_1068:
	s_or_b64 exec, exec, s[0:1]
	v_cmp_lt_i32_e32 vcc, 50, v89
	s_waitcnt vmcnt(0) lgkmcnt(0)
	s_barrier
	s_and_saveexec_b64 s[0:1], vcc
	s_cbranch_execz .LBB116_1070
; %bb.1069:
	v_mul_f64 v[85:86], v[117:118], v[31:32]
	v_mul_f64 v[31:32], v[119:120], v[31:32]
	ds_read2_b64 v[91:94], v0 offset0:102 offset1:103
	v_fma_f64 v[85:86], v[119:120], v[29:30], v[85:86]
	v_fma_f64 v[29:30], v[117:118], v[29:30], -v[31:32]
	s_waitcnt lgkmcnt(0)
	v_mul_f64 v[31:32], v[93:94], v[85:86]
	v_mul_f64 v[87:88], v[91:92], v[85:86]
	v_fma_f64 v[31:32], v[91:92], v[29:30], -v[31:32]
	v_fma_f64 v[87:88], v[93:94], v[29:30], v[87:88]
	ds_read2_b64 v[91:94], v0 offset0:104 offset1:105
	v_add_f64 v[25:26], v[25:26], -v[31:32]
	v_add_f64 v[27:28], v[27:28], -v[87:88]
	s_waitcnt lgkmcnt(0)
	v_mul_f64 v[31:32], v[93:94], v[85:86]
	v_mul_f64 v[87:88], v[91:92], v[85:86]
	v_fma_f64 v[31:32], v[91:92], v[29:30], -v[31:32]
	v_fma_f64 v[87:88], v[93:94], v[29:30], v[87:88]
	ds_read2_b64 v[91:94], v0 offset0:106 offset1:107
	v_add_f64 v[21:22], v[21:22], -v[31:32]
	v_add_f64 v[23:24], v[23:24], -v[87:88]
	;; [unrolled: 8-line block ×7, first 2 shown]
	s_waitcnt lgkmcnt(0)
	v_mul_f64 v[31:32], v[93:94], v[85:86]
	v_mul_f64 v[87:88], v[91:92], v[85:86]
	v_fma_f64 v[31:32], v[91:92], v[29:30], -v[31:32]
	v_fma_f64 v[87:88], v[93:94], v[29:30], v[87:88]
	v_add_f64 v[121:122], v[121:122], -v[31:32]
	v_add_f64 v[123:124], v[123:124], -v[87:88]
	v_mov_b32_e32 v31, v85
	v_mov_b32_e32 v32, v86
.LBB116_1070:
	s_or_b64 exec, exec, s[0:1]
	v_lshl_add_u32 v85, v89, 4, v0
	s_barrier
	ds_write2_b64 v85, v[25:26], v[27:28] offset1:1
	s_waitcnt lgkmcnt(0)
	s_barrier
	ds_read2_b64 v[117:120], v0 offset0:102 offset1:103
	s_cmp_lt_i32 s3, 53
	v_mov_b32_e32 v85, 51
	s_cbranch_scc1 .LBB116_1073
; %bb.1071:
	v_add_u32_e32 v86, 0x340, v0
	s_mov_b32 s0, 52
	v_mov_b32_e32 v85, 51
.LBB116_1072:                           ; =>This Inner Loop Header: Depth=1
	s_waitcnt lgkmcnt(0)
	v_cmp_gt_f64_e32 vcc, 0, v[117:118]
	v_xor_b32_e32 v87, 0x80000000, v118
	ds_read2_b64 v[91:94], v86 offset1:1
	v_xor_b32_e32 v95, 0x80000000, v120
	v_add_u32_e32 v86, 16, v86
	s_waitcnt lgkmcnt(0)
	v_xor_b32_e32 v97, 0x80000000, v94
	v_cndmask_b32_e32 v88, v118, v87, vcc
	v_cmp_gt_f64_e32 vcc, 0, v[119:120]
	v_mov_b32_e32 v87, v117
	v_cndmask_b32_e32 v96, v120, v95, vcc
	v_cmp_gt_f64_e32 vcc, 0, v[91:92]
	v_mov_b32_e32 v95, v119
	v_add_f64 v[87:88], v[87:88], v[95:96]
	v_xor_b32_e32 v95, 0x80000000, v92
	v_cndmask_b32_e32 v96, v92, v95, vcc
	v_cmp_gt_f64_e32 vcc, 0, v[93:94]
	v_mov_b32_e32 v95, v91
	v_cndmask_b32_e32 v98, v94, v97, vcc
	v_mov_b32_e32 v97, v93
	v_add_f64 v[95:96], v[95:96], v[97:98]
	v_cmp_lt_f64_e32 vcc, v[87:88], v[95:96]
	v_mov_b32_e32 v87, s0
	s_add_i32 s0, s0, 1
	s_cmp_lg_u32 s3, s0
	v_cndmask_b32_e32 v118, v118, v92, vcc
	v_cndmask_b32_e32 v117, v117, v91, vcc
	;; [unrolled: 1-line block ×5, first 2 shown]
	s_cbranch_scc1 .LBB116_1072
.LBB116_1073:
	s_waitcnt lgkmcnt(0)
	v_cmp_eq_f64_e32 vcc, 0, v[117:118]
	v_cmp_eq_f64_e64 s[0:1], 0, v[119:120]
	s_and_b64 s[0:1], vcc, s[0:1]
	s_and_saveexec_b64 s[18:19], s[0:1]
	s_xor_b64 s[0:1], exec, s[18:19]
; %bb.1074:
	v_cmp_ne_u32_e32 vcc, 0, v90
	v_cndmask_b32_e32 v90, 52, v90, vcc
; %bb.1075:
	s_andn2_saveexec_b64 s[0:1], s[0:1]
	s_cbranch_execz .LBB116_1081
; %bb.1076:
	v_cmp_ngt_f64_e64 s[18:19], |v[117:118]|, |v[119:120]|
	s_and_saveexec_b64 s[20:21], s[18:19]
	s_xor_b64 s[18:19], exec, s[20:21]
	s_cbranch_execz .LBB116_1078
; %bb.1077:
	v_div_scale_f64 v[86:87], s[20:21], v[119:120], v[119:120], v[117:118]
	v_rcp_f64_e32 v[91:92], v[86:87]
	v_fma_f64 v[93:94], -v[86:87], v[91:92], 1.0
	v_fma_f64 v[91:92], v[91:92], v[93:94], v[91:92]
	v_div_scale_f64 v[93:94], vcc, v[117:118], v[119:120], v[117:118]
	v_fma_f64 v[95:96], -v[86:87], v[91:92], 1.0
	v_fma_f64 v[91:92], v[91:92], v[95:96], v[91:92]
	v_mul_f64 v[95:96], v[93:94], v[91:92]
	v_fma_f64 v[86:87], -v[86:87], v[95:96], v[93:94]
	v_div_fmas_f64 v[86:87], v[86:87], v[91:92], v[95:96]
	v_div_fixup_f64 v[86:87], v[86:87], v[119:120], v[117:118]
	v_fma_f64 v[91:92], v[117:118], v[86:87], v[119:120]
	v_div_scale_f64 v[93:94], s[20:21], v[91:92], v[91:92], 1.0
	v_div_scale_f64 v[99:100], vcc, 1.0, v[91:92], 1.0
	v_rcp_f64_e32 v[95:96], v[93:94]
	v_fma_f64 v[97:98], -v[93:94], v[95:96], 1.0
	v_fma_f64 v[95:96], v[95:96], v[97:98], v[95:96]
	v_fma_f64 v[97:98], -v[93:94], v[95:96], 1.0
	v_fma_f64 v[95:96], v[95:96], v[97:98], v[95:96]
	v_mul_f64 v[97:98], v[99:100], v[95:96]
	v_fma_f64 v[93:94], -v[93:94], v[97:98], v[99:100]
	v_div_fmas_f64 v[93:94], v[93:94], v[95:96], v[97:98]
	v_div_fixup_f64 v[119:120], v[93:94], v[91:92], 1.0
	v_mul_f64 v[117:118], v[86:87], v[119:120]
	v_xor_b32_e32 v120, 0x80000000, v120
.LBB116_1078:
	s_andn2_saveexec_b64 s[18:19], s[18:19]
	s_cbranch_execz .LBB116_1080
; %bb.1079:
	v_div_scale_f64 v[86:87], s[20:21], v[117:118], v[117:118], v[119:120]
	v_rcp_f64_e32 v[91:92], v[86:87]
	v_fma_f64 v[93:94], -v[86:87], v[91:92], 1.0
	v_fma_f64 v[91:92], v[91:92], v[93:94], v[91:92]
	v_div_scale_f64 v[93:94], vcc, v[119:120], v[117:118], v[119:120]
	v_fma_f64 v[95:96], -v[86:87], v[91:92], 1.0
	v_fma_f64 v[91:92], v[91:92], v[95:96], v[91:92]
	v_mul_f64 v[95:96], v[93:94], v[91:92]
	v_fma_f64 v[86:87], -v[86:87], v[95:96], v[93:94]
	v_div_fmas_f64 v[86:87], v[86:87], v[91:92], v[95:96]
	v_div_fixup_f64 v[86:87], v[86:87], v[117:118], v[119:120]
	v_fma_f64 v[91:92], v[119:120], v[86:87], v[117:118]
	v_div_scale_f64 v[93:94], s[20:21], v[91:92], v[91:92], 1.0
	v_div_scale_f64 v[99:100], vcc, 1.0, v[91:92], 1.0
	v_rcp_f64_e32 v[95:96], v[93:94]
	v_fma_f64 v[97:98], -v[93:94], v[95:96], 1.0
	v_fma_f64 v[95:96], v[95:96], v[97:98], v[95:96]
	v_fma_f64 v[97:98], -v[93:94], v[95:96], 1.0
	v_fma_f64 v[95:96], v[95:96], v[97:98], v[95:96]
	v_mul_f64 v[97:98], v[99:100], v[95:96]
	v_fma_f64 v[93:94], -v[93:94], v[97:98], v[99:100]
	v_div_fmas_f64 v[93:94], v[93:94], v[95:96], v[97:98]
	v_div_fixup_f64 v[117:118], v[93:94], v[91:92], 1.0
	v_mul_f64 v[119:120], v[86:87], -v[117:118]
.LBB116_1080:
	s_or_b64 exec, exec, s[18:19]
.LBB116_1081:
	s_or_b64 exec, exec, s[0:1]
	v_cmp_ne_u32_e32 vcc, v89, v85
	s_and_saveexec_b64 s[0:1], vcc
	s_xor_b64 s[0:1], exec, s[0:1]
	s_cbranch_execz .LBB116_1087
; %bb.1082:
	v_cmp_eq_u32_e32 vcc, 51, v89
	s_and_saveexec_b64 s[18:19], vcc
	s_cbranch_execz .LBB116_1086
; %bb.1083:
	v_cmp_ne_u32_e32 vcc, 51, v85
	s_xor_b64 s[20:21], s[6:7], -1
	s_and_b64 s[22:23], s[20:21], vcc
	s_and_saveexec_b64 s[20:21], s[22:23]
	s_cbranch_execz .LBB116_1085
; %bb.1084:
	buffer_load_dword v81, off, s[24:27], 0 offset:500 ; 4-byte Folded Reload
	buffer_load_dword v82, off, s[24:27], 0 offset:504 ; 4-byte Folded Reload
	v_ashrrev_i32_e32 v86, 31, v85
	v_lshlrev_b64 v[86:87], 2, v[85:86]
	s_waitcnt vmcnt(1)
	v_add_co_u32_e32 v86, vcc, v81, v86
	s_waitcnt vmcnt(0)
	v_addc_co_u32_e32 v87, vcc, v82, v87, vcc
	global_load_dword v88, v[86:87], off
	global_load_dword v89, v[81:82], off offset:204
	s_waitcnt vmcnt(1)
	global_store_dword v[81:82], v88, off offset:204
	v_mov_b32_e32 v81, v101
	v_mov_b32_e32 v82, v102
	;; [unrolled: 1-line block ×4, first 2 shown]
	s_waitcnt vmcnt(1)
	global_store_dword v[86:87], v89, off
.LBB116_1085:
	s_or_b64 exec, exec, s[20:21]
	v_mov_b32_e32 v89, v85
	v_mov_b32_e32 v77, v85
	buffer_store_dword v77, off, s[24:27], 0 offset:432 ; 4-byte Folded Spill
.LBB116_1086:
	s_or_b64 exec, exec, s[18:19]
.LBB116_1087:
	s_andn2_saveexec_b64 s[0:1], s[0:1]
	s_cbranch_execz .LBB116_1089
; %bb.1088:
	v_mov_b32_e32 v89, 51
	ds_write2_b64 v0, v[21:22], v[23:24] offset0:104 offset1:105
	ds_write2_b64 v0, v[17:18], v[19:20] offset0:106 offset1:107
	;; [unrolled: 1-line block ×7, first 2 shown]
.LBB116_1089:
	s_or_b64 exec, exec, s[0:1]
	v_cmp_lt_i32_e32 vcc, 51, v89
	s_waitcnt vmcnt(0) lgkmcnt(0)
	s_barrier
	s_and_saveexec_b64 s[0:1], vcc
	s_cbranch_execz .LBB116_1091
; %bb.1090:
	v_mul_f64 v[85:86], v[117:118], v[27:28]
	v_mul_f64 v[27:28], v[119:120], v[27:28]
	ds_read2_b64 v[91:94], v0 offset0:104 offset1:105
	v_fma_f64 v[85:86], v[119:120], v[25:26], v[85:86]
	v_fma_f64 v[25:26], v[117:118], v[25:26], -v[27:28]
	s_waitcnt lgkmcnt(0)
	v_mul_f64 v[27:28], v[93:94], v[85:86]
	v_mul_f64 v[87:88], v[91:92], v[85:86]
	v_fma_f64 v[27:28], v[91:92], v[25:26], -v[27:28]
	v_fma_f64 v[87:88], v[93:94], v[25:26], v[87:88]
	ds_read2_b64 v[91:94], v0 offset0:106 offset1:107
	v_add_f64 v[21:22], v[21:22], -v[27:28]
	v_add_f64 v[23:24], v[23:24], -v[87:88]
	s_waitcnt lgkmcnt(0)
	v_mul_f64 v[27:28], v[93:94], v[85:86]
	v_mul_f64 v[87:88], v[91:92], v[85:86]
	v_fma_f64 v[27:28], v[91:92], v[25:26], -v[27:28]
	v_fma_f64 v[87:88], v[93:94], v[25:26], v[87:88]
	ds_read2_b64 v[91:94], v0 offset0:108 offset1:109
	v_add_f64 v[17:18], v[17:18], -v[27:28]
	v_add_f64 v[19:20], v[19:20], -v[87:88]
	;; [unrolled: 8-line block ×6, first 2 shown]
	s_waitcnt lgkmcnt(0)
	v_mul_f64 v[27:28], v[93:94], v[85:86]
	v_mul_f64 v[87:88], v[91:92], v[85:86]
	v_fma_f64 v[27:28], v[91:92], v[25:26], -v[27:28]
	v_fma_f64 v[87:88], v[93:94], v[25:26], v[87:88]
	v_add_f64 v[121:122], v[121:122], -v[27:28]
	v_add_f64 v[123:124], v[123:124], -v[87:88]
	v_mov_b32_e32 v27, v85
	v_mov_b32_e32 v28, v86
.LBB116_1091:
	s_or_b64 exec, exec, s[0:1]
	v_lshl_add_u32 v85, v89, 4, v0
	s_barrier
	ds_write2_b64 v85, v[21:22], v[23:24] offset1:1
	s_waitcnt lgkmcnt(0)
	s_barrier
	ds_read2_b64 v[117:120], v0 offset0:104 offset1:105
	s_cmp_lt_i32 s3, 54
	v_mov_b32_e32 v85, 52
	s_cbranch_scc1 .LBB116_1094
; %bb.1092:
	v_add_u32_e32 v86, 0x350, v0
	s_mov_b32 s0, 53
	v_mov_b32_e32 v85, 52
.LBB116_1093:                           ; =>This Inner Loop Header: Depth=1
	s_waitcnt lgkmcnt(0)
	v_cmp_gt_f64_e32 vcc, 0, v[117:118]
	v_xor_b32_e32 v87, 0x80000000, v118
	ds_read2_b64 v[91:94], v86 offset1:1
	v_xor_b32_e32 v95, 0x80000000, v120
	v_add_u32_e32 v86, 16, v86
	s_waitcnt lgkmcnt(0)
	v_xor_b32_e32 v97, 0x80000000, v94
	v_cndmask_b32_e32 v88, v118, v87, vcc
	v_cmp_gt_f64_e32 vcc, 0, v[119:120]
	v_mov_b32_e32 v87, v117
	v_cndmask_b32_e32 v96, v120, v95, vcc
	v_cmp_gt_f64_e32 vcc, 0, v[91:92]
	v_mov_b32_e32 v95, v119
	v_add_f64 v[87:88], v[87:88], v[95:96]
	v_xor_b32_e32 v95, 0x80000000, v92
	v_cndmask_b32_e32 v96, v92, v95, vcc
	v_cmp_gt_f64_e32 vcc, 0, v[93:94]
	v_mov_b32_e32 v95, v91
	v_cndmask_b32_e32 v98, v94, v97, vcc
	v_mov_b32_e32 v97, v93
	v_add_f64 v[95:96], v[95:96], v[97:98]
	v_cmp_lt_f64_e32 vcc, v[87:88], v[95:96]
	v_mov_b32_e32 v87, s0
	s_add_i32 s0, s0, 1
	s_cmp_lg_u32 s3, s0
	v_cndmask_b32_e32 v118, v118, v92, vcc
	v_cndmask_b32_e32 v117, v117, v91, vcc
	;; [unrolled: 1-line block ×5, first 2 shown]
	s_cbranch_scc1 .LBB116_1093
.LBB116_1094:
	s_waitcnt lgkmcnt(0)
	v_cmp_eq_f64_e32 vcc, 0, v[117:118]
	v_cmp_eq_f64_e64 s[0:1], 0, v[119:120]
	s_and_b64 s[0:1], vcc, s[0:1]
	s_and_saveexec_b64 s[18:19], s[0:1]
	s_xor_b64 s[0:1], exec, s[18:19]
; %bb.1095:
	v_cmp_ne_u32_e32 vcc, 0, v90
	v_cndmask_b32_e32 v90, 53, v90, vcc
; %bb.1096:
	s_andn2_saveexec_b64 s[0:1], s[0:1]
	s_cbranch_execz .LBB116_1102
; %bb.1097:
	v_cmp_ngt_f64_e64 s[18:19], |v[117:118]|, |v[119:120]|
	s_and_saveexec_b64 s[20:21], s[18:19]
	s_xor_b64 s[18:19], exec, s[20:21]
	s_cbranch_execz .LBB116_1099
; %bb.1098:
	v_div_scale_f64 v[86:87], s[20:21], v[119:120], v[119:120], v[117:118]
	v_rcp_f64_e32 v[91:92], v[86:87]
	v_fma_f64 v[93:94], -v[86:87], v[91:92], 1.0
	v_fma_f64 v[91:92], v[91:92], v[93:94], v[91:92]
	v_div_scale_f64 v[93:94], vcc, v[117:118], v[119:120], v[117:118]
	v_fma_f64 v[95:96], -v[86:87], v[91:92], 1.0
	v_fma_f64 v[91:92], v[91:92], v[95:96], v[91:92]
	v_mul_f64 v[95:96], v[93:94], v[91:92]
	v_fma_f64 v[86:87], -v[86:87], v[95:96], v[93:94]
	v_div_fmas_f64 v[86:87], v[86:87], v[91:92], v[95:96]
	v_div_fixup_f64 v[86:87], v[86:87], v[119:120], v[117:118]
	v_fma_f64 v[91:92], v[117:118], v[86:87], v[119:120]
	v_div_scale_f64 v[93:94], s[20:21], v[91:92], v[91:92], 1.0
	v_div_scale_f64 v[99:100], vcc, 1.0, v[91:92], 1.0
	v_rcp_f64_e32 v[95:96], v[93:94]
	v_fma_f64 v[97:98], -v[93:94], v[95:96], 1.0
	v_fma_f64 v[95:96], v[95:96], v[97:98], v[95:96]
	v_fma_f64 v[97:98], -v[93:94], v[95:96], 1.0
	v_fma_f64 v[95:96], v[95:96], v[97:98], v[95:96]
	v_mul_f64 v[97:98], v[99:100], v[95:96]
	v_fma_f64 v[93:94], -v[93:94], v[97:98], v[99:100]
	v_div_fmas_f64 v[93:94], v[93:94], v[95:96], v[97:98]
	v_div_fixup_f64 v[119:120], v[93:94], v[91:92], 1.0
	v_mul_f64 v[117:118], v[86:87], v[119:120]
	v_xor_b32_e32 v120, 0x80000000, v120
.LBB116_1099:
	s_andn2_saveexec_b64 s[18:19], s[18:19]
	s_cbranch_execz .LBB116_1101
; %bb.1100:
	v_div_scale_f64 v[86:87], s[20:21], v[117:118], v[117:118], v[119:120]
	v_rcp_f64_e32 v[91:92], v[86:87]
	v_fma_f64 v[93:94], -v[86:87], v[91:92], 1.0
	v_fma_f64 v[91:92], v[91:92], v[93:94], v[91:92]
	v_div_scale_f64 v[93:94], vcc, v[119:120], v[117:118], v[119:120]
	v_fma_f64 v[95:96], -v[86:87], v[91:92], 1.0
	v_fma_f64 v[91:92], v[91:92], v[95:96], v[91:92]
	v_mul_f64 v[95:96], v[93:94], v[91:92]
	v_fma_f64 v[86:87], -v[86:87], v[95:96], v[93:94]
	v_div_fmas_f64 v[86:87], v[86:87], v[91:92], v[95:96]
	v_div_fixup_f64 v[86:87], v[86:87], v[117:118], v[119:120]
	v_fma_f64 v[91:92], v[119:120], v[86:87], v[117:118]
	v_div_scale_f64 v[93:94], s[20:21], v[91:92], v[91:92], 1.0
	v_div_scale_f64 v[99:100], vcc, 1.0, v[91:92], 1.0
	v_rcp_f64_e32 v[95:96], v[93:94]
	v_fma_f64 v[97:98], -v[93:94], v[95:96], 1.0
	v_fma_f64 v[95:96], v[95:96], v[97:98], v[95:96]
	v_fma_f64 v[97:98], -v[93:94], v[95:96], 1.0
	v_fma_f64 v[95:96], v[95:96], v[97:98], v[95:96]
	v_mul_f64 v[97:98], v[99:100], v[95:96]
	v_fma_f64 v[93:94], -v[93:94], v[97:98], v[99:100]
	v_div_fmas_f64 v[93:94], v[93:94], v[95:96], v[97:98]
	v_div_fixup_f64 v[117:118], v[93:94], v[91:92], 1.0
	v_mul_f64 v[119:120], v[86:87], -v[117:118]
.LBB116_1101:
	s_or_b64 exec, exec, s[18:19]
.LBB116_1102:
	s_or_b64 exec, exec, s[0:1]
	v_cmp_ne_u32_e32 vcc, v89, v85
	s_and_saveexec_b64 s[0:1], vcc
	s_xor_b64 s[0:1], exec, s[0:1]
	s_cbranch_execz .LBB116_1108
; %bb.1103:
	v_cmp_eq_u32_e32 vcc, 52, v89
	s_and_saveexec_b64 s[18:19], vcc
	s_cbranch_execz .LBB116_1107
; %bb.1104:
	v_cmp_ne_u32_e32 vcc, 52, v85
	s_xor_b64 s[20:21], s[6:7], -1
	s_and_b64 s[22:23], s[20:21], vcc
	s_and_saveexec_b64 s[20:21], s[22:23]
	s_cbranch_execz .LBB116_1106
; %bb.1105:
	buffer_load_dword v81, off, s[24:27], 0 offset:500 ; 4-byte Folded Reload
	buffer_load_dword v82, off, s[24:27], 0 offset:504 ; 4-byte Folded Reload
	v_ashrrev_i32_e32 v86, 31, v85
	v_lshlrev_b64 v[86:87], 2, v[85:86]
	s_waitcnt vmcnt(1)
	v_add_co_u32_e32 v86, vcc, v81, v86
	s_waitcnt vmcnt(0)
	v_addc_co_u32_e32 v87, vcc, v82, v87, vcc
	global_load_dword v88, v[86:87], off
	global_load_dword v89, v[81:82], off offset:208
	s_waitcnt vmcnt(1)
	global_store_dword v[81:82], v88, off offset:208
	v_mov_b32_e32 v81, v101
	v_mov_b32_e32 v82, v102
	;; [unrolled: 1-line block ×4, first 2 shown]
	s_waitcnt vmcnt(1)
	global_store_dword v[86:87], v89, off
.LBB116_1106:
	s_or_b64 exec, exec, s[20:21]
	v_mov_b32_e32 v89, v85
	v_mov_b32_e32 v77, v85
	buffer_store_dword v77, off, s[24:27], 0 offset:432 ; 4-byte Folded Spill
.LBB116_1107:
	s_or_b64 exec, exec, s[18:19]
.LBB116_1108:
	s_andn2_saveexec_b64 s[0:1], s[0:1]
	s_cbranch_execz .LBB116_1110
; %bb.1109:
	v_mov_b32_e32 v89, 52
	ds_write2_b64 v0, v[17:18], v[19:20] offset0:106 offset1:107
	ds_write2_b64 v0, v[13:14], v[15:16] offset0:108 offset1:109
	;; [unrolled: 1-line block ×6, first 2 shown]
.LBB116_1110:
	s_or_b64 exec, exec, s[0:1]
	v_cmp_lt_i32_e32 vcc, 52, v89
	s_waitcnt vmcnt(0) lgkmcnt(0)
	s_barrier
	s_and_saveexec_b64 s[0:1], vcc
	s_cbranch_execz .LBB116_1112
; %bb.1111:
	v_mul_f64 v[85:86], v[117:118], v[23:24]
	v_mul_f64 v[23:24], v[119:120], v[23:24]
	ds_read2_b64 v[91:94], v0 offset0:106 offset1:107
	v_fma_f64 v[85:86], v[119:120], v[21:22], v[85:86]
	v_fma_f64 v[21:22], v[117:118], v[21:22], -v[23:24]
	s_waitcnt lgkmcnt(0)
	v_mul_f64 v[23:24], v[93:94], v[85:86]
	v_mul_f64 v[87:88], v[91:92], v[85:86]
	v_fma_f64 v[23:24], v[91:92], v[21:22], -v[23:24]
	v_fma_f64 v[87:88], v[93:94], v[21:22], v[87:88]
	ds_read2_b64 v[91:94], v0 offset0:108 offset1:109
	v_add_f64 v[17:18], v[17:18], -v[23:24]
	v_add_f64 v[19:20], v[19:20], -v[87:88]
	s_waitcnt lgkmcnt(0)
	v_mul_f64 v[23:24], v[93:94], v[85:86]
	v_mul_f64 v[87:88], v[91:92], v[85:86]
	v_fma_f64 v[23:24], v[91:92], v[21:22], -v[23:24]
	v_fma_f64 v[87:88], v[93:94], v[21:22], v[87:88]
	ds_read2_b64 v[91:94], v0 offset0:110 offset1:111
	v_add_f64 v[13:14], v[13:14], -v[23:24]
	v_add_f64 v[15:16], v[15:16], -v[87:88]
	;; [unrolled: 8-line block ×5, first 2 shown]
	s_waitcnt lgkmcnt(0)
	v_mul_f64 v[23:24], v[93:94], v[85:86]
	v_mul_f64 v[87:88], v[91:92], v[85:86]
	v_fma_f64 v[23:24], v[91:92], v[21:22], -v[23:24]
	v_fma_f64 v[87:88], v[93:94], v[21:22], v[87:88]
	v_add_f64 v[121:122], v[121:122], -v[23:24]
	v_add_f64 v[123:124], v[123:124], -v[87:88]
	v_mov_b32_e32 v23, v85
	v_mov_b32_e32 v24, v86
.LBB116_1112:
	s_or_b64 exec, exec, s[0:1]
	v_lshl_add_u32 v85, v89, 4, v0
	s_barrier
	ds_write2_b64 v85, v[17:18], v[19:20] offset1:1
	s_waitcnt lgkmcnt(0)
	s_barrier
	ds_read2_b64 v[117:120], v0 offset0:106 offset1:107
	s_cmp_lt_i32 s3, 55
	v_mov_b32_e32 v85, 53
	s_cbranch_scc1 .LBB116_1115
; %bb.1113:
	v_add_u32_e32 v86, 0x360, v0
	s_mov_b32 s0, 54
	v_mov_b32_e32 v85, 53
.LBB116_1114:                           ; =>This Inner Loop Header: Depth=1
	s_waitcnt lgkmcnt(0)
	v_cmp_gt_f64_e32 vcc, 0, v[117:118]
	v_xor_b32_e32 v87, 0x80000000, v118
	ds_read2_b64 v[91:94], v86 offset1:1
	v_xor_b32_e32 v95, 0x80000000, v120
	v_add_u32_e32 v86, 16, v86
	s_waitcnt lgkmcnt(0)
	v_xor_b32_e32 v97, 0x80000000, v94
	v_cndmask_b32_e32 v88, v118, v87, vcc
	v_cmp_gt_f64_e32 vcc, 0, v[119:120]
	v_mov_b32_e32 v87, v117
	v_cndmask_b32_e32 v96, v120, v95, vcc
	v_cmp_gt_f64_e32 vcc, 0, v[91:92]
	v_mov_b32_e32 v95, v119
	v_add_f64 v[87:88], v[87:88], v[95:96]
	v_xor_b32_e32 v95, 0x80000000, v92
	v_cndmask_b32_e32 v96, v92, v95, vcc
	v_cmp_gt_f64_e32 vcc, 0, v[93:94]
	v_mov_b32_e32 v95, v91
	v_cndmask_b32_e32 v98, v94, v97, vcc
	v_mov_b32_e32 v97, v93
	v_add_f64 v[95:96], v[95:96], v[97:98]
	v_cmp_lt_f64_e32 vcc, v[87:88], v[95:96]
	v_mov_b32_e32 v87, s0
	s_add_i32 s0, s0, 1
	s_cmp_lg_u32 s3, s0
	v_cndmask_b32_e32 v118, v118, v92, vcc
	v_cndmask_b32_e32 v117, v117, v91, vcc
	;; [unrolled: 1-line block ×5, first 2 shown]
	s_cbranch_scc1 .LBB116_1114
.LBB116_1115:
	s_waitcnt lgkmcnt(0)
	v_cmp_eq_f64_e32 vcc, 0, v[117:118]
	v_cmp_eq_f64_e64 s[0:1], 0, v[119:120]
	s_and_b64 s[0:1], vcc, s[0:1]
	s_and_saveexec_b64 s[18:19], s[0:1]
	s_xor_b64 s[0:1], exec, s[18:19]
; %bb.1116:
	v_cmp_ne_u32_e32 vcc, 0, v90
	v_cndmask_b32_e32 v90, 54, v90, vcc
; %bb.1117:
	s_andn2_saveexec_b64 s[0:1], s[0:1]
	s_cbranch_execz .LBB116_1123
; %bb.1118:
	v_cmp_ngt_f64_e64 s[18:19], |v[117:118]|, |v[119:120]|
	s_and_saveexec_b64 s[20:21], s[18:19]
	s_xor_b64 s[18:19], exec, s[20:21]
	s_cbranch_execz .LBB116_1120
; %bb.1119:
	v_div_scale_f64 v[86:87], s[20:21], v[119:120], v[119:120], v[117:118]
	v_rcp_f64_e32 v[91:92], v[86:87]
	v_fma_f64 v[93:94], -v[86:87], v[91:92], 1.0
	v_fma_f64 v[91:92], v[91:92], v[93:94], v[91:92]
	v_div_scale_f64 v[93:94], vcc, v[117:118], v[119:120], v[117:118]
	v_fma_f64 v[95:96], -v[86:87], v[91:92], 1.0
	v_fma_f64 v[91:92], v[91:92], v[95:96], v[91:92]
	v_mul_f64 v[95:96], v[93:94], v[91:92]
	v_fma_f64 v[86:87], -v[86:87], v[95:96], v[93:94]
	v_div_fmas_f64 v[86:87], v[86:87], v[91:92], v[95:96]
	v_div_fixup_f64 v[86:87], v[86:87], v[119:120], v[117:118]
	v_fma_f64 v[91:92], v[117:118], v[86:87], v[119:120]
	v_div_scale_f64 v[93:94], s[20:21], v[91:92], v[91:92], 1.0
	v_div_scale_f64 v[99:100], vcc, 1.0, v[91:92], 1.0
	v_rcp_f64_e32 v[95:96], v[93:94]
	v_fma_f64 v[97:98], -v[93:94], v[95:96], 1.0
	v_fma_f64 v[95:96], v[95:96], v[97:98], v[95:96]
	v_fma_f64 v[97:98], -v[93:94], v[95:96], 1.0
	v_fma_f64 v[95:96], v[95:96], v[97:98], v[95:96]
	v_mul_f64 v[97:98], v[99:100], v[95:96]
	v_fma_f64 v[93:94], -v[93:94], v[97:98], v[99:100]
	v_div_fmas_f64 v[93:94], v[93:94], v[95:96], v[97:98]
	v_div_fixup_f64 v[119:120], v[93:94], v[91:92], 1.0
	v_mul_f64 v[117:118], v[86:87], v[119:120]
	v_xor_b32_e32 v120, 0x80000000, v120
.LBB116_1120:
	s_andn2_saveexec_b64 s[18:19], s[18:19]
	s_cbranch_execz .LBB116_1122
; %bb.1121:
	v_div_scale_f64 v[86:87], s[20:21], v[117:118], v[117:118], v[119:120]
	v_rcp_f64_e32 v[91:92], v[86:87]
	v_fma_f64 v[93:94], -v[86:87], v[91:92], 1.0
	v_fma_f64 v[91:92], v[91:92], v[93:94], v[91:92]
	v_div_scale_f64 v[93:94], vcc, v[119:120], v[117:118], v[119:120]
	v_fma_f64 v[95:96], -v[86:87], v[91:92], 1.0
	v_fma_f64 v[91:92], v[91:92], v[95:96], v[91:92]
	v_mul_f64 v[95:96], v[93:94], v[91:92]
	v_fma_f64 v[86:87], -v[86:87], v[95:96], v[93:94]
	v_div_fmas_f64 v[86:87], v[86:87], v[91:92], v[95:96]
	v_div_fixup_f64 v[86:87], v[86:87], v[117:118], v[119:120]
	v_fma_f64 v[91:92], v[119:120], v[86:87], v[117:118]
	v_div_scale_f64 v[93:94], s[20:21], v[91:92], v[91:92], 1.0
	v_div_scale_f64 v[99:100], vcc, 1.0, v[91:92], 1.0
	v_rcp_f64_e32 v[95:96], v[93:94]
	v_fma_f64 v[97:98], -v[93:94], v[95:96], 1.0
	v_fma_f64 v[95:96], v[95:96], v[97:98], v[95:96]
	v_fma_f64 v[97:98], -v[93:94], v[95:96], 1.0
	v_fma_f64 v[95:96], v[95:96], v[97:98], v[95:96]
	v_mul_f64 v[97:98], v[99:100], v[95:96]
	v_fma_f64 v[93:94], -v[93:94], v[97:98], v[99:100]
	v_div_fmas_f64 v[93:94], v[93:94], v[95:96], v[97:98]
	v_div_fixup_f64 v[117:118], v[93:94], v[91:92], 1.0
	v_mul_f64 v[119:120], v[86:87], -v[117:118]
.LBB116_1122:
	s_or_b64 exec, exec, s[18:19]
.LBB116_1123:
	s_or_b64 exec, exec, s[0:1]
	v_cmp_ne_u32_e32 vcc, v89, v85
	s_and_saveexec_b64 s[0:1], vcc
	s_xor_b64 s[0:1], exec, s[0:1]
	s_cbranch_execz .LBB116_1129
; %bb.1124:
	v_cmp_eq_u32_e32 vcc, 53, v89
	s_and_saveexec_b64 s[18:19], vcc
	s_cbranch_execz .LBB116_1128
; %bb.1125:
	v_cmp_ne_u32_e32 vcc, 53, v85
	s_xor_b64 s[20:21], s[6:7], -1
	s_and_b64 s[22:23], s[20:21], vcc
	s_and_saveexec_b64 s[20:21], s[22:23]
	s_cbranch_execz .LBB116_1127
; %bb.1126:
	buffer_load_dword v81, off, s[24:27], 0 offset:500 ; 4-byte Folded Reload
	buffer_load_dword v82, off, s[24:27], 0 offset:504 ; 4-byte Folded Reload
	v_ashrrev_i32_e32 v86, 31, v85
	v_lshlrev_b64 v[86:87], 2, v[85:86]
	s_waitcnt vmcnt(1)
	v_add_co_u32_e32 v86, vcc, v81, v86
	s_waitcnt vmcnt(0)
	v_addc_co_u32_e32 v87, vcc, v82, v87, vcc
	global_load_dword v88, v[86:87], off
	global_load_dword v89, v[81:82], off offset:212
	s_waitcnt vmcnt(1)
	global_store_dword v[81:82], v88, off offset:212
	v_mov_b32_e32 v81, v101
	v_mov_b32_e32 v82, v102
	;; [unrolled: 1-line block ×4, first 2 shown]
	s_waitcnt vmcnt(1)
	global_store_dword v[86:87], v89, off
.LBB116_1127:
	s_or_b64 exec, exec, s[20:21]
	v_mov_b32_e32 v89, v85
	v_mov_b32_e32 v77, v85
	buffer_store_dword v77, off, s[24:27], 0 offset:432 ; 4-byte Folded Spill
.LBB116_1128:
	s_or_b64 exec, exec, s[18:19]
.LBB116_1129:
	s_andn2_saveexec_b64 s[0:1], s[0:1]
	s_cbranch_execz .LBB116_1131
; %bb.1130:
	v_mov_b32_e32 v89, 53
	ds_write2_b64 v0, v[13:14], v[15:16] offset0:108 offset1:109
	ds_write2_b64 v0, v[9:10], v[11:12] offset0:110 offset1:111
	;; [unrolled: 1-line block ×5, first 2 shown]
.LBB116_1131:
	s_or_b64 exec, exec, s[0:1]
	v_cmp_lt_i32_e32 vcc, 53, v89
	s_waitcnt vmcnt(0) lgkmcnt(0)
	s_barrier
	s_and_saveexec_b64 s[0:1], vcc
	s_cbranch_execz .LBB116_1133
; %bb.1132:
	v_mul_f64 v[85:86], v[117:118], v[19:20]
	v_mul_f64 v[19:20], v[119:120], v[19:20]
	v_fma_f64 v[91:92], v[119:120], v[17:18], v[85:86]
	ds_read2_b64 v[85:88], v0 offset0:108 offset1:109
	v_fma_f64 v[17:18], v[117:118], v[17:18], -v[19:20]
	s_waitcnt lgkmcnt(0)
	v_mul_f64 v[19:20], v[87:88], v[91:92]
	v_fma_f64 v[19:20], v[85:86], v[17:18], -v[19:20]
	v_mul_f64 v[85:86], v[85:86], v[91:92]
	v_add_f64 v[13:14], v[13:14], -v[19:20]
	v_fma_f64 v[85:86], v[87:88], v[17:18], v[85:86]
	v_add_f64 v[15:16], v[15:16], -v[85:86]
	ds_read2_b64 v[85:88], v0 offset0:110 offset1:111
	s_waitcnt lgkmcnt(0)
	v_mul_f64 v[19:20], v[87:88], v[91:92]
	v_fma_f64 v[19:20], v[85:86], v[17:18], -v[19:20]
	v_mul_f64 v[85:86], v[85:86], v[91:92]
	v_add_f64 v[9:10], v[9:10], -v[19:20]
	v_fma_f64 v[85:86], v[87:88], v[17:18], v[85:86]
	v_add_f64 v[11:12], v[11:12], -v[85:86]
	ds_read2_b64 v[85:88], v0 offset0:112 offset1:113
	;; [unrolled: 8-line block ×4, first 2 shown]
	s_waitcnt lgkmcnt(0)
	v_mul_f64 v[19:20], v[87:88], v[91:92]
	v_fma_f64 v[19:20], v[85:86], v[17:18], -v[19:20]
	v_mul_f64 v[85:86], v[85:86], v[91:92]
	v_add_f64 v[121:122], v[121:122], -v[19:20]
	v_fma_f64 v[85:86], v[87:88], v[17:18], v[85:86]
	v_mov_b32_e32 v19, v91
	v_mov_b32_e32 v20, v92
	v_add_f64 v[123:124], v[123:124], -v[85:86]
.LBB116_1133:
	s_or_b64 exec, exec, s[0:1]
	v_lshl_add_u32 v85, v89, 4, v0
	s_barrier
	ds_write2_b64 v85, v[13:14], v[15:16] offset1:1
	s_waitcnt lgkmcnt(0)
	s_barrier
	ds_read2_b64 v[117:120], v0 offset0:108 offset1:109
	s_cmp_lt_i32 s3, 56
	v_mov_b32_e32 v85, 54
	s_cbranch_scc1 .LBB116_1136
; %bb.1134:
	v_add_u32_e32 v86, 0x370, v0
	s_mov_b32 s0, 55
	v_mov_b32_e32 v85, 54
.LBB116_1135:                           ; =>This Inner Loop Header: Depth=1
	s_waitcnt lgkmcnt(0)
	v_cmp_gt_f64_e32 vcc, 0, v[117:118]
	v_xor_b32_e32 v87, 0x80000000, v118
	ds_read2_b64 v[91:94], v86 offset1:1
	v_xor_b32_e32 v95, 0x80000000, v120
	v_add_u32_e32 v86, 16, v86
	s_waitcnt lgkmcnt(0)
	v_xor_b32_e32 v97, 0x80000000, v94
	v_cndmask_b32_e32 v88, v118, v87, vcc
	v_cmp_gt_f64_e32 vcc, 0, v[119:120]
	v_mov_b32_e32 v87, v117
	v_cndmask_b32_e32 v96, v120, v95, vcc
	v_cmp_gt_f64_e32 vcc, 0, v[91:92]
	v_mov_b32_e32 v95, v119
	v_add_f64 v[87:88], v[87:88], v[95:96]
	v_xor_b32_e32 v95, 0x80000000, v92
	v_cndmask_b32_e32 v96, v92, v95, vcc
	v_cmp_gt_f64_e32 vcc, 0, v[93:94]
	v_mov_b32_e32 v95, v91
	v_cndmask_b32_e32 v98, v94, v97, vcc
	v_mov_b32_e32 v97, v93
	v_add_f64 v[95:96], v[95:96], v[97:98]
	v_cmp_lt_f64_e32 vcc, v[87:88], v[95:96]
	v_mov_b32_e32 v87, s0
	s_add_i32 s0, s0, 1
	s_cmp_lg_u32 s3, s0
	v_cndmask_b32_e32 v118, v118, v92, vcc
	v_cndmask_b32_e32 v117, v117, v91, vcc
	;; [unrolled: 1-line block ×5, first 2 shown]
	s_cbranch_scc1 .LBB116_1135
.LBB116_1136:
	s_waitcnt lgkmcnt(0)
	v_cmp_eq_f64_e32 vcc, 0, v[117:118]
	v_cmp_eq_f64_e64 s[0:1], 0, v[119:120]
	s_and_b64 s[0:1], vcc, s[0:1]
	s_and_saveexec_b64 s[18:19], s[0:1]
	s_xor_b64 s[0:1], exec, s[18:19]
; %bb.1137:
	v_cmp_ne_u32_e32 vcc, 0, v90
	v_cndmask_b32_e32 v90, 55, v90, vcc
; %bb.1138:
	s_andn2_saveexec_b64 s[0:1], s[0:1]
	s_cbranch_execz .LBB116_1144
; %bb.1139:
	v_cmp_ngt_f64_e64 s[18:19], |v[117:118]|, |v[119:120]|
	s_and_saveexec_b64 s[20:21], s[18:19]
	s_xor_b64 s[18:19], exec, s[20:21]
	s_cbranch_execz .LBB116_1141
; %bb.1140:
	v_div_scale_f64 v[86:87], s[20:21], v[119:120], v[119:120], v[117:118]
	v_rcp_f64_e32 v[91:92], v[86:87]
	v_fma_f64 v[93:94], -v[86:87], v[91:92], 1.0
	v_fma_f64 v[91:92], v[91:92], v[93:94], v[91:92]
	v_div_scale_f64 v[93:94], vcc, v[117:118], v[119:120], v[117:118]
	v_fma_f64 v[95:96], -v[86:87], v[91:92], 1.0
	v_fma_f64 v[91:92], v[91:92], v[95:96], v[91:92]
	v_mul_f64 v[95:96], v[93:94], v[91:92]
	v_fma_f64 v[86:87], -v[86:87], v[95:96], v[93:94]
	v_div_fmas_f64 v[86:87], v[86:87], v[91:92], v[95:96]
	v_div_fixup_f64 v[86:87], v[86:87], v[119:120], v[117:118]
	v_fma_f64 v[91:92], v[117:118], v[86:87], v[119:120]
	v_div_scale_f64 v[93:94], s[20:21], v[91:92], v[91:92], 1.0
	v_div_scale_f64 v[99:100], vcc, 1.0, v[91:92], 1.0
	v_rcp_f64_e32 v[95:96], v[93:94]
	v_fma_f64 v[97:98], -v[93:94], v[95:96], 1.0
	v_fma_f64 v[95:96], v[95:96], v[97:98], v[95:96]
	v_fma_f64 v[97:98], -v[93:94], v[95:96], 1.0
	v_fma_f64 v[95:96], v[95:96], v[97:98], v[95:96]
	v_mul_f64 v[97:98], v[99:100], v[95:96]
	v_fma_f64 v[93:94], -v[93:94], v[97:98], v[99:100]
	v_div_fmas_f64 v[93:94], v[93:94], v[95:96], v[97:98]
	v_div_fixup_f64 v[119:120], v[93:94], v[91:92], 1.0
	v_mul_f64 v[117:118], v[86:87], v[119:120]
	v_xor_b32_e32 v120, 0x80000000, v120
.LBB116_1141:
	s_andn2_saveexec_b64 s[18:19], s[18:19]
	s_cbranch_execz .LBB116_1143
; %bb.1142:
	v_div_scale_f64 v[86:87], s[20:21], v[117:118], v[117:118], v[119:120]
	v_rcp_f64_e32 v[91:92], v[86:87]
	v_fma_f64 v[93:94], -v[86:87], v[91:92], 1.0
	v_fma_f64 v[91:92], v[91:92], v[93:94], v[91:92]
	v_div_scale_f64 v[93:94], vcc, v[119:120], v[117:118], v[119:120]
	v_fma_f64 v[95:96], -v[86:87], v[91:92], 1.0
	v_fma_f64 v[91:92], v[91:92], v[95:96], v[91:92]
	v_mul_f64 v[95:96], v[93:94], v[91:92]
	v_fma_f64 v[86:87], -v[86:87], v[95:96], v[93:94]
	v_div_fmas_f64 v[86:87], v[86:87], v[91:92], v[95:96]
	v_div_fixup_f64 v[86:87], v[86:87], v[117:118], v[119:120]
	v_fma_f64 v[91:92], v[119:120], v[86:87], v[117:118]
	v_div_scale_f64 v[93:94], s[20:21], v[91:92], v[91:92], 1.0
	v_div_scale_f64 v[99:100], vcc, 1.0, v[91:92], 1.0
	v_rcp_f64_e32 v[95:96], v[93:94]
	v_fma_f64 v[97:98], -v[93:94], v[95:96], 1.0
	v_fma_f64 v[95:96], v[95:96], v[97:98], v[95:96]
	v_fma_f64 v[97:98], -v[93:94], v[95:96], 1.0
	v_fma_f64 v[95:96], v[95:96], v[97:98], v[95:96]
	v_mul_f64 v[97:98], v[99:100], v[95:96]
	v_fma_f64 v[93:94], -v[93:94], v[97:98], v[99:100]
	v_div_fmas_f64 v[93:94], v[93:94], v[95:96], v[97:98]
	v_div_fixup_f64 v[117:118], v[93:94], v[91:92], 1.0
	v_mul_f64 v[119:120], v[86:87], -v[117:118]
.LBB116_1143:
	s_or_b64 exec, exec, s[18:19]
.LBB116_1144:
	s_or_b64 exec, exec, s[0:1]
	v_cmp_ne_u32_e32 vcc, v89, v85
	s_and_saveexec_b64 s[0:1], vcc
	s_xor_b64 s[0:1], exec, s[0:1]
	s_cbranch_execz .LBB116_1150
; %bb.1145:
	v_cmp_eq_u32_e32 vcc, 54, v89
	s_and_saveexec_b64 s[18:19], vcc
	s_cbranch_execz .LBB116_1149
; %bb.1146:
	v_cmp_ne_u32_e32 vcc, 54, v85
	s_xor_b64 s[20:21], s[6:7], -1
	s_and_b64 s[22:23], s[20:21], vcc
	s_and_saveexec_b64 s[20:21], s[22:23]
	s_cbranch_execz .LBB116_1148
; %bb.1147:
	buffer_load_dword v81, off, s[24:27], 0 offset:500 ; 4-byte Folded Reload
	buffer_load_dword v82, off, s[24:27], 0 offset:504 ; 4-byte Folded Reload
	v_ashrrev_i32_e32 v86, 31, v85
	v_lshlrev_b64 v[86:87], 2, v[85:86]
	s_waitcnt vmcnt(1)
	v_add_co_u32_e32 v86, vcc, v81, v86
	s_waitcnt vmcnt(0)
	v_addc_co_u32_e32 v87, vcc, v82, v87, vcc
	global_load_dword v88, v[86:87], off
	global_load_dword v89, v[81:82], off offset:216
	s_waitcnt vmcnt(1)
	global_store_dword v[81:82], v88, off offset:216
	v_mov_b32_e32 v81, v101
	v_mov_b32_e32 v82, v102
	;; [unrolled: 1-line block ×4, first 2 shown]
	s_waitcnt vmcnt(1)
	global_store_dword v[86:87], v89, off
.LBB116_1148:
	s_or_b64 exec, exec, s[20:21]
	v_mov_b32_e32 v89, v85
	v_mov_b32_e32 v77, v85
	buffer_store_dword v77, off, s[24:27], 0 offset:432 ; 4-byte Folded Spill
.LBB116_1149:
	s_or_b64 exec, exec, s[18:19]
.LBB116_1150:
	s_andn2_saveexec_b64 s[0:1], s[0:1]
	s_cbranch_execz .LBB116_1152
; %bb.1151:
	v_mov_b32_e32 v89, 54
	ds_write2_b64 v0, v[9:10], v[11:12] offset0:110 offset1:111
	ds_write2_b64 v0, v[5:6], v[7:8] offset0:112 offset1:113
	;; [unrolled: 1-line block ×4, first 2 shown]
.LBB116_1152:
	s_or_b64 exec, exec, s[0:1]
	v_cmp_lt_i32_e32 vcc, 54, v89
	s_waitcnt vmcnt(0) lgkmcnt(0)
	s_barrier
	s_and_saveexec_b64 s[0:1], vcc
	s_cbranch_execz .LBB116_1154
; %bb.1153:
	v_mul_f64 v[85:86], v[117:118], v[15:16]
	v_mul_f64 v[15:16], v[119:120], v[15:16]
	v_fma_f64 v[91:92], v[119:120], v[13:14], v[85:86]
	ds_read2_b64 v[85:88], v0 offset0:110 offset1:111
	v_fma_f64 v[13:14], v[117:118], v[13:14], -v[15:16]
	s_waitcnt lgkmcnt(0)
	v_mul_f64 v[15:16], v[87:88], v[91:92]
	v_fma_f64 v[15:16], v[85:86], v[13:14], -v[15:16]
	v_mul_f64 v[85:86], v[85:86], v[91:92]
	v_add_f64 v[9:10], v[9:10], -v[15:16]
	v_fma_f64 v[85:86], v[87:88], v[13:14], v[85:86]
	v_add_f64 v[11:12], v[11:12], -v[85:86]
	ds_read2_b64 v[85:88], v0 offset0:112 offset1:113
	s_waitcnt lgkmcnt(0)
	v_mul_f64 v[15:16], v[87:88], v[91:92]
	v_fma_f64 v[15:16], v[85:86], v[13:14], -v[15:16]
	v_mul_f64 v[85:86], v[85:86], v[91:92]
	v_add_f64 v[5:6], v[5:6], -v[15:16]
	v_fma_f64 v[85:86], v[87:88], v[13:14], v[85:86]
	v_add_f64 v[7:8], v[7:8], -v[85:86]
	ds_read2_b64 v[85:88], v0 offset0:114 offset1:115
	;; [unrolled: 8-line block ×3, first 2 shown]
	s_waitcnt lgkmcnt(0)
	v_mul_f64 v[15:16], v[87:88], v[91:92]
	v_fma_f64 v[15:16], v[85:86], v[13:14], -v[15:16]
	v_mul_f64 v[85:86], v[85:86], v[91:92]
	v_add_f64 v[121:122], v[121:122], -v[15:16]
	v_fma_f64 v[85:86], v[87:88], v[13:14], v[85:86]
	v_mov_b32_e32 v15, v91
	v_mov_b32_e32 v16, v92
	v_add_f64 v[123:124], v[123:124], -v[85:86]
.LBB116_1154:
	s_or_b64 exec, exec, s[0:1]
	v_lshl_add_u32 v85, v89, 4, v0
	s_barrier
	ds_write2_b64 v85, v[9:10], v[11:12] offset1:1
	s_waitcnt lgkmcnt(0)
	s_barrier
	ds_read2_b64 v[117:120], v0 offset0:110 offset1:111
	s_cmp_lt_i32 s3, 57
	v_mov_b32_e32 v85, 55
	s_cbranch_scc1 .LBB116_1157
; %bb.1155:
	v_add_u32_e32 v86, 0x380, v0
	s_mov_b32 s0, 56
	v_mov_b32_e32 v85, 55
.LBB116_1156:                           ; =>This Inner Loop Header: Depth=1
	s_waitcnt lgkmcnt(0)
	v_cmp_gt_f64_e32 vcc, 0, v[117:118]
	v_xor_b32_e32 v87, 0x80000000, v118
	ds_read2_b64 v[91:94], v86 offset1:1
	v_xor_b32_e32 v95, 0x80000000, v120
	v_add_u32_e32 v86, 16, v86
	s_waitcnt lgkmcnt(0)
	v_xor_b32_e32 v97, 0x80000000, v94
	v_cndmask_b32_e32 v88, v118, v87, vcc
	v_cmp_gt_f64_e32 vcc, 0, v[119:120]
	v_mov_b32_e32 v87, v117
	v_cndmask_b32_e32 v96, v120, v95, vcc
	v_cmp_gt_f64_e32 vcc, 0, v[91:92]
	v_mov_b32_e32 v95, v119
	v_add_f64 v[87:88], v[87:88], v[95:96]
	v_xor_b32_e32 v95, 0x80000000, v92
	v_cndmask_b32_e32 v96, v92, v95, vcc
	v_cmp_gt_f64_e32 vcc, 0, v[93:94]
	v_mov_b32_e32 v95, v91
	v_cndmask_b32_e32 v98, v94, v97, vcc
	v_mov_b32_e32 v97, v93
	v_add_f64 v[95:96], v[95:96], v[97:98]
	v_cmp_lt_f64_e32 vcc, v[87:88], v[95:96]
	v_mov_b32_e32 v87, s0
	s_add_i32 s0, s0, 1
	s_cmp_lg_u32 s3, s0
	v_cndmask_b32_e32 v118, v118, v92, vcc
	v_cndmask_b32_e32 v117, v117, v91, vcc
	;; [unrolled: 1-line block ×5, first 2 shown]
	s_cbranch_scc1 .LBB116_1156
.LBB116_1157:
	s_waitcnt lgkmcnt(0)
	v_cmp_eq_f64_e32 vcc, 0, v[117:118]
	v_cmp_eq_f64_e64 s[0:1], 0, v[119:120]
	s_and_b64 s[0:1], vcc, s[0:1]
	s_and_saveexec_b64 s[18:19], s[0:1]
	s_xor_b64 s[0:1], exec, s[18:19]
; %bb.1158:
	v_cmp_ne_u32_e32 vcc, 0, v90
	v_cndmask_b32_e32 v90, 56, v90, vcc
; %bb.1159:
	s_andn2_saveexec_b64 s[0:1], s[0:1]
	s_cbranch_execz .LBB116_1165
; %bb.1160:
	v_cmp_ngt_f64_e64 s[18:19], |v[117:118]|, |v[119:120]|
	s_and_saveexec_b64 s[20:21], s[18:19]
	s_xor_b64 s[18:19], exec, s[20:21]
	s_cbranch_execz .LBB116_1162
; %bb.1161:
	v_div_scale_f64 v[86:87], s[20:21], v[119:120], v[119:120], v[117:118]
	v_rcp_f64_e32 v[91:92], v[86:87]
	v_fma_f64 v[93:94], -v[86:87], v[91:92], 1.0
	v_fma_f64 v[91:92], v[91:92], v[93:94], v[91:92]
	v_div_scale_f64 v[93:94], vcc, v[117:118], v[119:120], v[117:118]
	v_fma_f64 v[95:96], -v[86:87], v[91:92], 1.0
	v_fma_f64 v[91:92], v[91:92], v[95:96], v[91:92]
	v_mul_f64 v[95:96], v[93:94], v[91:92]
	v_fma_f64 v[86:87], -v[86:87], v[95:96], v[93:94]
	v_div_fmas_f64 v[86:87], v[86:87], v[91:92], v[95:96]
	v_div_fixup_f64 v[86:87], v[86:87], v[119:120], v[117:118]
	v_fma_f64 v[91:92], v[117:118], v[86:87], v[119:120]
	v_div_scale_f64 v[93:94], s[20:21], v[91:92], v[91:92], 1.0
	v_div_scale_f64 v[99:100], vcc, 1.0, v[91:92], 1.0
	v_rcp_f64_e32 v[95:96], v[93:94]
	v_fma_f64 v[97:98], -v[93:94], v[95:96], 1.0
	v_fma_f64 v[95:96], v[95:96], v[97:98], v[95:96]
	v_fma_f64 v[97:98], -v[93:94], v[95:96], 1.0
	v_fma_f64 v[95:96], v[95:96], v[97:98], v[95:96]
	v_mul_f64 v[97:98], v[99:100], v[95:96]
	v_fma_f64 v[93:94], -v[93:94], v[97:98], v[99:100]
	v_div_fmas_f64 v[93:94], v[93:94], v[95:96], v[97:98]
	v_div_fixup_f64 v[119:120], v[93:94], v[91:92], 1.0
	v_mul_f64 v[117:118], v[86:87], v[119:120]
	v_xor_b32_e32 v120, 0x80000000, v120
.LBB116_1162:
	s_andn2_saveexec_b64 s[18:19], s[18:19]
	s_cbranch_execz .LBB116_1164
; %bb.1163:
	v_div_scale_f64 v[86:87], s[20:21], v[117:118], v[117:118], v[119:120]
	v_rcp_f64_e32 v[91:92], v[86:87]
	v_fma_f64 v[93:94], -v[86:87], v[91:92], 1.0
	v_fma_f64 v[91:92], v[91:92], v[93:94], v[91:92]
	v_div_scale_f64 v[93:94], vcc, v[119:120], v[117:118], v[119:120]
	v_fma_f64 v[95:96], -v[86:87], v[91:92], 1.0
	v_fma_f64 v[91:92], v[91:92], v[95:96], v[91:92]
	v_mul_f64 v[95:96], v[93:94], v[91:92]
	v_fma_f64 v[86:87], -v[86:87], v[95:96], v[93:94]
	v_div_fmas_f64 v[86:87], v[86:87], v[91:92], v[95:96]
	v_div_fixup_f64 v[86:87], v[86:87], v[117:118], v[119:120]
	v_fma_f64 v[91:92], v[119:120], v[86:87], v[117:118]
	v_div_scale_f64 v[93:94], s[20:21], v[91:92], v[91:92], 1.0
	v_div_scale_f64 v[99:100], vcc, 1.0, v[91:92], 1.0
	v_rcp_f64_e32 v[95:96], v[93:94]
	v_fma_f64 v[97:98], -v[93:94], v[95:96], 1.0
	v_fma_f64 v[95:96], v[95:96], v[97:98], v[95:96]
	v_fma_f64 v[97:98], -v[93:94], v[95:96], 1.0
	v_fma_f64 v[95:96], v[95:96], v[97:98], v[95:96]
	v_mul_f64 v[97:98], v[99:100], v[95:96]
	v_fma_f64 v[93:94], -v[93:94], v[97:98], v[99:100]
	v_div_fmas_f64 v[93:94], v[93:94], v[95:96], v[97:98]
	v_div_fixup_f64 v[117:118], v[93:94], v[91:92], 1.0
	v_mul_f64 v[119:120], v[86:87], -v[117:118]
.LBB116_1164:
	s_or_b64 exec, exec, s[18:19]
.LBB116_1165:
	s_or_b64 exec, exec, s[0:1]
	v_cmp_ne_u32_e32 vcc, v89, v85
	s_and_saveexec_b64 s[0:1], vcc
	s_xor_b64 s[0:1], exec, s[0:1]
	s_cbranch_execz .LBB116_1171
; %bb.1166:
	v_cmp_eq_u32_e32 vcc, 55, v89
	s_and_saveexec_b64 s[18:19], vcc
	s_cbranch_execz .LBB116_1170
; %bb.1167:
	v_cmp_ne_u32_e32 vcc, 55, v85
	s_xor_b64 s[20:21], s[6:7], -1
	s_and_b64 s[22:23], s[20:21], vcc
	s_and_saveexec_b64 s[20:21], s[22:23]
	s_cbranch_execz .LBB116_1169
; %bb.1168:
	buffer_load_dword v81, off, s[24:27], 0 offset:500 ; 4-byte Folded Reload
	buffer_load_dword v82, off, s[24:27], 0 offset:504 ; 4-byte Folded Reload
	v_ashrrev_i32_e32 v86, 31, v85
	v_lshlrev_b64 v[86:87], 2, v[85:86]
	s_waitcnt vmcnt(1)
	v_add_co_u32_e32 v86, vcc, v81, v86
	s_waitcnt vmcnt(0)
	v_addc_co_u32_e32 v87, vcc, v82, v87, vcc
	global_load_dword v88, v[86:87], off
	global_load_dword v89, v[81:82], off offset:220
	s_waitcnt vmcnt(1)
	global_store_dword v[81:82], v88, off offset:220
	v_mov_b32_e32 v81, v101
	v_mov_b32_e32 v82, v102
	;; [unrolled: 1-line block ×4, first 2 shown]
	s_waitcnt vmcnt(1)
	global_store_dword v[86:87], v89, off
.LBB116_1169:
	s_or_b64 exec, exec, s[20:21]
	v_mov_b32_e32 v89, v85
	v_mov_b32_e32 v77, v85
	buffer_store_dword v77, off, s[24:27], 0 offset:432 ; 4-byte Folded Spill
.LBB116_1170:
	s_or_b64 exec, exec, s[18:19]
.LBB116_1171:
	s_andn2_saveexec_b64 s[0:1], s[0:1]
	s_cbranch_execz .LBB116_1173
; %bb.1172:
	v_mov_b32_e32 v89, 55
	ds_write2_b64 v0, v[5:6], v[7:8] offset0:112 offset1:113
	ds_write2_b64 v0, v[1:2], v[3:4] offset0:114 offset1:115
	ds_write2_b64 v0, v[121:122], v[123:124] offset0:116 offset1:117
.LBB116_1173:
	s_or_b64 exec, exec, s[0:1]
	v_cmp_lt_i32_e32 vcc, 55, v89
	s_waitcnt vmcnt(0) lgkmcnt(0)
	s_barrier
	s_and_saveexec_b64 s[0:1], vcc
	s_cbranch_execz .LBB116_1175
; %bb.1174:
	v_mul_f64 v[85:86], v[117:118], v[11:12]
	v_mul_f64 v[11:12], v[119:120], v[11:12]
	v_fma_f64 v[91:92], v[119:120], v[9:10], v[85:86]
	ds_read2_b64 v[85:88], v0 offset0:112 offset1:113
	v_fma_f64 v[9:10], v[117:118], v[9:10], -v[11:12]
	s_waitcnt lgkmcnt(0)
	v_mul_f64 v[11:12], v[87:88], v[91:92]
	v_fma_f64 v[11:12], v[85:86], v[9:10], -v[11:12]
	v_mul_f64 v[85:86], v[85:86], v[91:92]
	v_add_f64 v[5:6], v[5:6], -v[11:12]
	v_fma_f64 v[85:86], v[87:88], v[9:10], v[85:86]
	v_add_f64 v[7:8], v[7:8], -v[85:86]
	ds_read2_b64 v[85:88], v0 offset0:114 offset1:115
	s_waitcnt lgkmcnt(0)
	v_mul_f64 v[11:12], v[87:88], v[91:92]
	v_fma_f64 v[11:12], v[85:86], v[9:10], -v[11:12]
	v_mul_f64 v[85:86], v[85:86], v[91:92]
	v_add_f64 v[1:2], v[1:2], -v[11:12]
	v_fma_f64 v[85:86], v[87:88], v[9:10], v[85:86]
	v_add_f64 v[3:4], v[3:4], -v[85:86]
	ds_read2_b64 v[85:88], v0 offset0:116 offset1:117
	s_waitcnt lgkmcnt(0)
	v_mul_f64 v[11:12], v[87:88], v[91:92]
	v_fma_f64 v[11:12], v[85:86], v[9:10], -v[11:12]
	v_mul_f64 v[85:86], v[85:86], v[91:92]
	v_add_f64 v[121:122], v[121:122], -v[11:12]
	v_fma_f64 v[85:86], v[87:88], v[9:10], v[85:86]
	v_mov_b32_e32 v11, v91
	v_mov_b32_e32 v12, v92
	v_add_f64 v[123:124], v[123:124], -v[85:86]
.LBB116_1175:
	s_or_b64 exec, exec, s[0:1]
	v_lshl_add_u32 v85, v89, 4, v0
	s_barrier
	ds_write2_b64 v85, v[5:6], v[7:8] offset1:1
	s_waitcnt lgkmcnt(0)
	s_barrier
	ds_read2_b64 v[117:120], v0 offset0:112 offset1:113
	s_cmp_lt_i32 s3, 58
	v_mov_b32_e32 v85, 56
	s_cbranch_scc1 .LBB116_1178
; %bb.1176:
	v_add_u32_e32 v86, 0x390, v0
	s_mov_b32 s0, 57
	v_mov_b32_e32 v85, 56
.LBB116_1177:                           ; =>This Inner Loop Header: Depth=1
	s_waitcnt lgkmcnt(0)
	v_cmp_gt_f64_e32 vcc, 0, v[117:118]
	v_xor_b32_e32 v87, 0x80000000, v118
	ds_read2_b64 v[91:94], v86 offset1:1
	v_xor_b32_e32 v95, 0x80000000, v120
	v_add_u32_e32 v86, 16, v86
	s_waitcnt lgkmcnt(0)
	v_xor_b32_e32 v97, 0x80000000, v94
	v_cndmask_b32_e32 v88, v118, v87, vcc
	v_cmp_gt_f64_e32 vcc, 0, v[119:120]
	v_mov_b32_e32 v87, v117
	v_cndmask_b32_e32 v96, v120, v95, vcc
	v_cmp_gt_f64_e32 vcc, 0, v[91:92]
	v_mov_b32_e32 v95, v119
	v_add_f64 v[87:88], v[87:88], v[95:96]
	v_xor_b32_e32 v95, 0x80000000, v92
	v_cndmask_b32_e32 v96, v92, v95, vcc
	v_cmp_gt_f64_e32 vcc, 0, v[93:94]
	v_mov_b32_e32 v95, v91
	v_cndmask_b32_e32 v98, v94, v97, vcc
	v_mov_b32_e32 v97, v93
	v_add_f64 v[95:96], v[95:96], v[97:98]
	v_cmp_lt_f64_e32 vcc, v[87:88], v[95:96]
	v_mov_b32_e32 v87, s0
	s_add_i32 s0, s0, 1
	s_cmp_lg_u32 s3, s0
	v_cndmask_b32_e32 v118, v118, v92, vcc
	v_cndmask_b32_e32 v117, v117, v91, vcc
	;; [unrolled: 1-line block ×5, first 2 shown]
	s_cbranch_scc1 .LBB116_1177
.LBB116_1178:
	s_waitcnt lgkmcnt(0)
	v_cmp_eq_f64_e32 vcc, 0, v[117:118]
	v_cmp_eq_f64_e64 s[0:1], 0, v[119:120]
	s_and_b64 s[0:1], vcc, s[0:1]
	s_and_saveexec_b64 s[18:19], s[0:1]
	s_xor_b64 s[0:1], exec, s[18:19]
; %bb.1179:
	v_cmp_ne_u32_e32 vcc, 0, v90
	v_cndmask_b32_e32 v90, 57, v90, vcc
; %bb.1180:
	s_andn2_saveexec_b64 s[0:1], s[0:1]
	s_cbranch_execz .LBB116_1186
; %bb.1181:
	v_cmp_ngt_f64_e64 s[18:19], |v[117:118]|, |v[119:120]|
	s_and_saveexec_b64 s[20:21], s[18:19]
	s_xor_b64 s[18:19], exec, s[20:21]
	s_cbranch_execz .LBB116_1183
; %bb.1182:
	v_div_scale_f64 v[86:87], s[20:21], v[119:120], v[119:120], v[117:118]
	v_rcp_f64_e32 v[91:92], v[86:87]
	v_fma_f64 v[93:94], -v[86:87], v[91:92], 1.0
	v_fma_f64 v[91:92], v[91:92], v[93:94], v[91:92]
	v_div_scale_f64 v[93:94], vcc, v[117:118], v[119:120], v[117:118]
	v_fma_f64 v[95:96], -v[86:87], v[91:92], 1.0
	v_fma_f64 v[91:92], v[91:92], v[95:96], v[91:92]
	v_mul_f64 v[95:96], v[93:94], v[91:92]
	v_fma_f64 v[86:87], -v[86:87], v[95:96], v[93:94]
	v_div_fmas_f64 v[86:87], v[86:87], v[91:92], v[95:96]
	v_div_fixup_f64 v[86:87], v[86:87], v[119:120], v[117:118]
	v_fma_f64 v[91:92], v[117:118], v[86:87], v[119:120]
	v_div_scale_f64 v[93:94], s[20:21], v[91:92], v[91:92], 1.0
	v_div_scale_f64 v[99:100], vcc, 1.0, v[91:92], 1.0
	v_rcp_f64_e32 v[95:96], v[93:94]
	v_fma_f64 v[97:98], -v[93:94], v[95:96], 1.0
	v_fma_f64 v[95:96], v[95:96], v[97:98], v[95:96]
	v_fma_f64 v[97:98], -v[93:94], v[95:96], 1.0
	v_fma_f64 v[95:96], v[95:96], v[97:98], v[95:96]
	v_mul_f64 v[97:98], v[99:100], v[95:96]
	v_fma_f64 v[93:94], -v[93:94], v[97:98], v[99:100]
	v_div_fmas_f64 v[93:94], v[93:94], v[95:96], v[97:98]
	v_div_fixup_f64 v[119:120], v[93:94], v[91:92], 1.0
	v_mul_f64 v[117:118], v[86:87], v[119:120]
	v_xor_b32_e32 v120, 0x80000000, v120
.LBB116_1183:
	s_andn2_saveexec_b64 s[18:19], s[18:19]
	s_cbranch_execz .LBB116_1185
; %bb.1184:
	v_div_scale_f64 v[86:87], s[20:21], v[117:118], v[117:118], v[119:120]
	v_rcp_f64_e32 v[91:92], v[86:87]
	v_fma_f64 v[93:94], -v[86:87], v[91:92], 1.0
	v_fma_f64 v[91:92], v[91:92], v[93:94], v[91:92]
	v_div_scale_f64 v[93:94], vcc, v[119:120], v[117:118], v[119:120]
	v_fma_f64 v[95:96], -v[86:87], v[91:92], 1.0
	v_fma_f64 v[91:92], v[91:92], v[95:96], v[91:92]
	v_mul_f64 v[95:96], v[93:94], v[91:92]
	v_fma_f64 v[86:87], -v[86:87], v[95:96], v[93:94]
	v_div_fmas_f64 v[86:87], v[86:87], v[91:92], v[95:96]
	v_div_fixup_f64 v[86:87], v[86:87], v[117:118], v[119:120]
	v_fma_f64 v[91:92], v[119:120], v[86:87], v[117:118]
	v_div_scale_f64 v[93:94], s[20:21], v[91:92], v[91:92], 1.0
	v_div_scale_f64 v[99:100], vcc, 1.0, v[91:92], 1.0
	v_rcp_f64_e32 v[95:96], v[93:94]
	v_fma_f64 v[97:98], -v[93:94], v[95:96], 1.0
	v_fma_f64 v[95:96], v[95:96], v[97:98], v[95:96]
	v_fma_f64 v[97:98], -v[93:94], v[95:96], 1.0
	v_fma_f64 v[95:96], v[95:96], v[97:98], v[95:96]
	v_mul_f64 v[97:98], v[99:100], v[95:96]
	v_fma_f64 v[93:94], -v[93:94], v[97:98], v[99:100]
	v_div_fmas_f64 v[93:94], v[93:94], v[95:96], v[97:98]
	v_div_fixup_f64 v[117:118], v[93:94], v[91:92], 1.0
	v_mul_f64 v[119:120], v[86:87], -v[117:118]
.LBB116_1185:
	s_or_b64 exec, exec, s[18:19]
.LBB116_1186:
	s_or_b64 exec, exec, s[0:1]
	v_cmp_ne_u32_e32 vcc, v89, v85
	s_and_saveexec_b64 s[0:1], vcc
	s_xor_b64 s[0:1], exec, s[0:1]
	s_cbranch_execz .LBB116_1192
; %bb.1187:
	v_cmp_eq_u32_e32 vcc, 56, v89
	s_and_saveexec_b64 s[18:19], vcc
	s_cbranch_execz .LBB116_1191
; %bb.1188:
	v_cmp_ne_u32_e32 vcc, 56, v85
	s_xor_b64 s[20:21], s[6:7], -1
	s_and_b64 s[22:23], s[20:21], vcc
	s_and_saveexec_b64 s[20:21], s[22:23]
	s_cbranch_execz .LBB116_1190
; %bb.1189:
	buffer_load_dword v81, off, s[24:27], 0 offset:500 ; 4-byte Folded Reload
	buffer_load_dword v82, off, s[24:27], 0 offset:504 ; 4-byte Folded Reload
	v_ashrrev_i32_e32 v86, 31, v85
	v_lshlrev_b64 v[86:87], 2, v[85:86]
	s_waitcnt vmcnt(1)
	v_add_co_u32_e32 v86, vcc, v81, v86
	s_waitcnt vmcnt(0)
	v_addc_co_u32_e32 v87, vcc, v82, v87, vcc
	global_load_dword v88, v[86:87], off
	global_load_dword v89, v[81:82], off offset:224
	s_waitcnt vmcnt(1)
	global_store_dword v[81:82], v88, off offset:224
	v_mov_b32_e32 v81, v101
	v_mov_b32_e32 v82, v102
	;; [unrolled: 1-line block ×4, first 2 shown]
	s_waitcnt vmcnt(1)
	global_store_dword v[86:87], v89, off
.LBB116_1190:
	s_or_b64 exec, exec, s[20:21]
	v_mov_b32_e32 v89, v85
	v_mov_b32_e32 v77, v85
	buffer_store_dword v77, off, s[24:27], 0 offset:432 ; 4-byte Folded Spill
.LBB116_1191:
	s_or_b64 exec, exec, s[18:19]
.LBB116_1192:
	s_andn2_saveexec_b64 s[0:1], s[0:1]
	s_cbranch_execz .LBB116_1194
; %bb.1193:
	v_mov_b32_e32 v89, 56
	ds_write2_b64 v0, v[1:2], v[3:4] offset0:114 offset1:115
	ds_write2_b64 v0, v[121:122], v[123:124] offset0:116 offset1:117
.LBB116_1194:
	s_or_b64 exec, exec, s[0:1]
	v_cmp_lt_i32_e32 vcc, 56, v89
	s_waitcnt vmcnt(0) lgkmcnt(0)
	s_barrier
	s_and_saveexec_b64 s[0:1], vcc
	s_cbranch_execz .LBB116_1196
; %bb.1195:
	v_mul_f64 v[85:86], v[117:118], v[7:8]
	v_mul_f64 v[7:8], v[119:120], v[7:8]
	v_fma_f64 v[91:92], v[119:120], v[5:6], v[85:86]
	ds_read2_b64 v[85:88], v0 offset0:114 offset1:115
	v_fma_f64 v[5:6], v[117:118], v[5:6], -v[7:8]
	s_waitcnt lgkmcnt(0)
	v_mul_f64 v[7:8], v[87:88], v[91:92]
	v_fma_f64 v[7:8], v[85:86], v[5:6], -v[7:8]
	v_mul_f64 v[85:86], v[85:86], v[91:92]
	v_add_f64 v[1:2], v[1:2], -v[7:8]
	v_fma_f64 v[85:86], v[87:88], v[5:6], v[85:86]
	v_add_f64 v[3:4], v[3:4], -v[85:86]
	ds_read2_b64 v[85:88], v0 offset0:116 offset1:117
	s_waitcnt lgkmcnt(0)
	v_mul_f64 v[7:8], v[87:88], v[91:92]
	v_fma_f64 v[7:8], v[85:86], v[5:6], -v[7:8]
	v_mul_f64 v[85:86], v[85:86], v[91:92]
	v_add_f64 v[121:122], v[121:122], -v[7:8]
	v_fma_f64 v[85:86], v[87:88], v[5:6], v[85:86]
	v_mov_b32_e32 v7, v91
	v_mov_b32_e32 v8, v92
	v_add_f64 v[123:124], v[123:124], -v[85:86]
.LBB116_1196:
	s_or_b64 exec, exec, s[0:1]
	v_lshl_add_u32 v85, v89, 4, v0
	s_barrier
	ds_write2_b64 v85, v[1:2], v[3:4] offset1:1
	s_waitcnt lgkmcnt(0)
	s_barrier
	ds_read2_b64 v[117:120], v0 offset0:114 offset1:115
	s_cmp_lt_i32 s3, 59
	v_mov_b32_e32 v85, 57
	s_cbranch_scc1 .LBB116_1199
; %bb.1197:
	v_add_u32_e32 v86, 0x3a0, v0
	s_mov_b32 s0, 58
	v_mov_b32_e32 v85, 57
.LBB116_1198:                           ; =>This Inner Loop Header: Depth=1
	s_waitcnt lgkmcnt(0)
	v_cmp_gt_f64_e32 vcc, 0, v[117:118]
	v_xor_b32_e32 v87, 0x80000000, v118
	ds_read2_b64 v[91:94], v86 offset1:1
	v_xor_b32_e32 v95, 0x80000000, v120
	v_add_u32_e32 v86, 16, v86
	s_waitcnt lgkmcnt(0)
	v_xor_b32_e32 v97, 0x80000000, v94
	v_cndmask_b32_e32 v88, v118, v87, vcc
	v_cmp_gt_f64_e32 vcc, 0, v[119:120]
	v_mov_b32_e32 v87, v117
	v_cndmask_b32_e32 v96, v120, v95, vcc
	v_cmp_gt_f64_e32 vcc, 0, v[91:92]
	v_mov_b32_e32 v95, v119
	v_add_f64 v[87:88], v[87:88], v[95:96]
	v_xor_b32_e32 v95, 0x80000000, v92
	v_cndmask_b32_e32 v96, v92, v95, vcc
	v_cmp_gt_f64_e32 vcc, 0, v[93:94]
	v_mov_b32_e32 v95, v91
	v_cndmask_b32_e32 v98, v94, v97, vcc
	v_mov_b32_e32 v97, v93
	v_add_f64 v[95:96], v[95:96], v[97:98]
	v_cmp_lt_f64_e32 vcc, v[87:88], v[95:96]
	v_mov_b32_e32 v87, s0
	s_add_i32 s0, s0, 1
	s_cmp_lg_u32 s3, s0
	v_cndmask_b32_e32 v118, v118, v92, vcc
	v_cndmask_b32_e32 v117, v117, v91, vcc
	v_cndmask_b32_e32 v120, v120, v94, vcc
	v_cndmask_b32_e32 v119, v119, v93, vcc
	v_cndmask_b32_e32 v85, v85, v87, vcc
	s_cbranch_scc1 .LBB116_1198
.LBB116_1199:
	s_waitcnt lgkmcnt(0)
	v_cmp_eq_f64_e32 vcc, 0, v[117:118]
	v_cmp_eq_f64_e64 s[0:1], 0, v[119:120]
	s_and_b64 s[0:1], vcc, s[0:1]
	s_and_saveexec_b64 s[18:19], s[0:1]
	s_xor_b64 s[0:1], exec, s[18:19]
; %bb.1200:
	v_cmp_ne_u32_e32 vcc, 0, v90
	v_cndmask_b32_e32 v90, 58, v90, vcc
; %bb.1201:
	s_andn2_saveexec_b64 s[0:1], s[0:1]
	s_cbranch_execz .LBB116_1207
; %bb.1202:
	v_cmp_ngt_f64_e64 s[18:19], |v[117:118]|, |v[119:120]|
	s_and_saveexec_b64 s[20:21], s[18:19]
	s_xor_b64 s[18:19], exec, s[20:21]
	s_cbranch_execz .LBB116_1204
; %bb.1203:
	v_div_scale_f64 v[86:87], s[20:21], v[119:120], v[119:120], v[117:118]
	v_rcp_f64_e32 v[91:92], v[86:87]
	v_fma_f64 v[93:94], -v[86:87], v[91:92], 1.0
	v_fma_f64 v[91:92], v[91:92], v[93:94], v[91:92]
	v_div_scale_f64 v[93:94], vcc, v[117:118], v[119:120], v[117:118]
	v_fma_f64 v[95:96], -v[86:87], v[91:92], 1.0
	v_fma_f64 v[91:92], v[91:92], v[95:96], v[91:92]
	v_mul_f64 v[95:96], v[93:94], v[91:92]
	v_fma_f64 v[86:87], -v[86:87], v[95:96], v[93:94]
	v_div_fmas_f64 v[86:87], v[86:87], v[91:92], v[95:96]
	v_div_fixup_f64 v[86:87], v[86:87], v[119:120], v[117:118]
	v_fma_f64 v[91:92], v[117:118], v[86:87], v[119:120]
	v_div_scale_f64 v[93:94], s[20:21], v[91:92], v[91:92], 1.0
	v_div_scale_f64 v[99:100], vcc, 1.0, v[91:92], 1.0
	v_rcp_f64_e32 v[95:96], v[93:94]
	v_fma_f64 v[97:98], -v[93:94], v[95:96], 1.0
	v_fma_f64 v[95:96], v[95:96], v[97:98], v[95:96]
	v_fma_f64 v[97:98], -v[93:94], v[95:96], 1.0
	v_fma_f64 v[95:96], v[95:96], v[97:98], v[95:96]
	v_mul_f64 v[97:98], v[99:100], v[95:96]
	v_fma_f64 v[93:94], -v[93:94], v[97:98], v[99:100]
	v_div_fmas_f64 v[93:94], v[93:94], v[95:96], v[97:98]
	v_div_fixup_f64 v[119:120], v[93:94], v[91:92], 1.0
	v_mul_f64 v[117:118], v[86:87], v[119:120]
	v_xor_b32_e32 v120, 0x80000000, v120
.LBB116_1204:
	s_andn2_saveexec_b64 s[18:19], s[18:19]
	s_cbranch_execz .LBB116_1206
; %bb.1205:
	v_div_scale_f64 v[86:87], s[20:21], v[117:118], v[117:118], v[119:120]
	v_rcp_f64_e32 v[91:92], v[86:87]
	v_fma_f64 v[93:94], -v[86:87], v[91:92], 1.0
	v_fma_f64 v[91:92], v[91:92], v[93:94], v[91:92]
	v_div_scale_f64 v[93:94], vcc, v[119:120], v[117:118], v[119:120]
	v_fma_f64 v[95:96], -v[86:87], v[91:92], 1.0
	v_fma_f64 v[91:92], v[91:92], v[95:96], v[91:92]
	v_mul_f64 v[95:96], v[93:94], v[91:92]
	v_fma_f64 v[86:87], -v[86:87], v[95:96], v[93:94]
	v_div_fmas_f64 v[86:87], v[86:87], v[91:92], v[95:96]
	v_div_fixup_f64 v[86:87], v[86:87], v[117:118], v[119:120]
	v_fma_f64 v[91:92], v[119:120], v[86:87], v[117:118]
	v_div_scale_f64 v[93:94], s[20:21], v[91:92], v[91:92], 1.0
	v_div_scale_f64 v[99:100], vcc, 1.0, v[91:92], 1.0
	v_rcp_f64_e32 v[95:96], v[93:94]
	v_fma_f64 v[97:98], -v[93:94], v[95:96], 1.0
	v_fma_f64 v[95:96], v[95:96], v[97:98], v[95:96]
	v_fma_f64 v[97:98], -v[93:94], v[95:96], 1.0
	v_fma_f64 v[95:96], v[95:96], v[97:98], v[95:96]
	v_mul_f64 v[97:98], v[99:100], v[95:96]
	v_fma_f64 v[93:94], -v[93:94], v[97:98], v[99:100]
	v_div_fmas_f64 v[93:94], v[93:94], v[95:96], v[97:98]
	v_div_fixup_f64 v[117:118], v[93:94], v[91:92], 1.0
	v_mul_f64 v[119:120], v[86:87], -v[117:118]
.LBB116_1206:
	s_or_b64 exec, exec, s[18:19]
.LBB116_1207:
	s_or_b64 exec, exec, s[0:1]
	v_cmp_ne_u32_e32 vcc, v89, v85
	s_and_saveexec_b64 s[0:1], vcc
	s_xor_b64 s[0:1], exec, s[0:1]
	s_cbranch_execz .LBB116_1213
; %bb.1208:
	v_cmp_eq_u32_e32 vcc, 57, v89
	s_and_saveexec_b64 s[18:19], vcc
	s_cbranch_execz .LBB116_1212
; %bb.1209:
	v_cmp_ne_u32_e32 vcc, 57, v85
	s_xor_b64 s[20:21], s[6:7], -1
	s_and_b64 s[22:23], s[20:21], vcc
	s_and_saveexec_b64 s[20:21], s[22:23]
	s_cbranch_execz .LBB116_1211
; %bb.1210:
	buffer_load_dword v81, off, s[24:27], 0 offset:500 ; 4-byte Folded Reload
	buffer_load_dword v82, off, s[24:27], 0 offset:504 ; 4-byte Folded Reload
	v_ashrrev_i32_e32 v86, 31, v85
	v_lshlrev_b64 v[86:87], 2, v[85:86]
	s_waitcnt vmcnt(1)
	v_add_co_u32_e32 v86, vcc, v81, v86
	s_waitcnt vmcnt(0)
	v_addc_co_u32_e32 v87, vcc, v82, v87, vcc
	global_load_dword v88, v[86:87], off
	global_load_dword v89, v[81:82], off offset:228
	s_waitcnt vmcnt(1)
	global_store_dword v[81:82], v88, off offset:228
	v_mov_b32_e32 v81, v101
	v_mov_b32_e32 v82, v102
	v_mov_b32_e32 v83, v103
	v_mov_b32_e32 v84, v104
	s_waitcnt vmcnt(1)
	global_store_dword v[86:87], v89, off
.LBB116_1211:
	s_or_b64 exec, exec, s[20:21]
	v_mov_b32_e32 v89, v85
	v_mov_b32_e32 v77, v85
	buffer_store_dword v77, off, s[24:27], 0 offset:432 ; 4-byte Folded Spill
.LBB116_1212:
	s_or_b64 exec, exec, s[18:19]
.LBB116_1213:
	s_andn2_saveexec_b64 s[0:1], s[0:1]
; %bb.1214:
	v_mov_b32_e32 v89, 57
	ds_write2_b64 v0, v[121:122], v[123:124] offset0:116 offset1:117
; %bb.1215:
	s_or_b64 exec, exec, s[0:1]
	v_cmp_lt_i32_e32 vcc, 57, v89
	s_waitcnt vmcnt(0) lgkmcnt(0)
	s_barrier
	s_and_saveexec_b64 s[0:1], vcc
	s_cbranch_execz .LBB116_1217
; %bb.1216:
	v_mul_f64 v[85:86], v[117:118], v[3:4]
	v_mul_f64 v[3:4], v[119:120], v[3:4]
	v_fma_f64 v[91:92], v[119:120], v[1:2], v[85:86]
	ds_read2_b64 v[85:88], v0 offset0:116 offset1:117
	v_fma_f64 v[1:2], v[117:118], v[1:2], -v[3:4]
	s_waitcnt lgkmcnt(0)
	v_mul_f64 v[3:4], v[87:88], v[91:92]
	v_fma_f64 v[3:4], v[85:86], v[1:2], -v[3:4]
	v_mul_f64 v[85:86], v[85:86], v[91:92]
	v_add_f64 v[121:122], v[121:122], -v[3:4]
	v_fma_f64 v[85:86], v[87:88], v[1:2], v[85:86]
	v_mov_b32_e32 v3, v91
	v_mov_b32_e32 v4, v92
	v_add_f64 v[123:124], v[123:124], -v[85:86]
.LBB116_1217:
	s_or_b64 exec, exec, s[0:1]
	v_lshl_add_u32 v85, v89, 4, v0
	s_barrier
	ds_write2_b64 v85, v[121:122], v[123:124] offset1:1
	s_waitcnt lgkmcnt(0)
	s_barrier
	ds_read2_b64 v[117:120], v0 offset0:116 offset1:117
	s_cmp_lt_i32 s3, 60
	v_mov_b32_e32 v85, 58
	s_cbranch_scc1 .LBB116_1220
; %bb.1218:
	v_add_u32_e32 v0, 0x3b0, v0
	s_mov_b32 s0, 59
	v_mov_b32_e32 v85, 58
.LBB116_1219:                           ; =>This Inner Loop Header: Depth=1
	s_waitcnt lgkmcnt(0)
	v_cmp_gt_f64_e32 vcc, 0, v[117:118]
	v_xor_b32_e32 v86, 0x80000000, v118
	ds_read2_b64 v[91:94], v0 offset1:1
	v_xor_b32_e32 v88, 0x80000000, v120
	v_mov_b32_e32 v95, v119
	v_add_u32_e32 v0, 16, v0
	s_waitcnt lgkmcnt(0)
	v_mov_b32_e32 v97, v93
	v_cndmask_b32_e32 v87, v118, v86, vcc
	v_cmp_gt_f64_e32 vcc, 0, v[119:120]
	v_mov_b32_e32 v86, v117
	v_cndmask_b32_e32 v96, v120, v88, vcc
	v_cmp_gt_f64_e32 vcc, 0, v[91:92]
	v_xor_b32_e32 v88, 0x80000000, v92
	v_add_f64 v[86:87], v[86:87], v[95:96]
	v_mov_b32_e32 v95, v91
	v_cndmask_b32_e32 v96, v92, v88, vcc
	v_cmp_gt_f64_e32 vcc, 0, v[93:94]
	v_xor_b32_e32 v88, 0x80000000, v94
	v_cndmask_b32_e32 v98, v94, v88, vcc
	v_add_f64 v[95:96], v[95:96], v[97:98]
	v_cmp_lt_f64_e32 vcc, v[86:87], v[95:96]
	v_mov_b32_e32 v86, s0
	s_add_i32 s0, s0, 1
	s_cmp_lg_u32 s3, s0
	v_cndmask_b32_e32 v118, v118, v92, vcc
	v_cndmask_b32_e32 v117, v117, v91, vcc
	;; [unrolled: 1-line block ×5, first 2 shown]
	s_cbranch_scc1 .LBB116_1219
.LBB116_1220:
	s_waitcnt lgkmcnt(0)
	v_cmp_eq_f64_e32 vcc, 0, v[117:118]
	v_cmp_eq_f64_e64 s[0:1], 0, v[119:120]
	s_and_b64 s[0:1], vcc, s[0:1]
	s_and_saveexec_b64 s[18:19], s[0:1]
	s_xor_b64 s[0:1], exec, s[18:19]
; %bb.1221:
	v_cmp_ne_u32_e32 vcc, 0, v90
	v_cndmask_b32_e32 v90, 59, v90, vcc
; %bb.1222:
	s_andn2_saveexec_b64 s[0:1], s[0:1]
	s_cbranch_execz .LBB116_1228
; %bb.1223:
	v_cmp_ngt_f64_e64 s[18:19], |v[117:118]|, |v[119:120]|
	s_and_saveexec_b64 s[20:21], s[18:19]
	s_xor_b64 s[18:19], exec, s[20:21]
	s_cbranch_execz .LBB116_1225
; %bb.1224:
	v_div_scale_f64 v[86:87], s[20:21], v[119:120], v[119:120], v[117:118]
	v_rcp_f64_e32 v[91:92], v[86:87]
	v_fma_f64 v[93:94], -v[86:87], v[91:92], 1.0
	v_fma_f64 v[91:92], v[91:92], v[93:94], v[91:92]
	v_div_scale_f64 v[93:94], vcc, v[117:118], v[119:120], v[117:118]
	v_fma_f64 v[95:96], -v[86:87], v[91:92], 1.0
	v_fma_f64 v[91:92], v[91:92], v[95:96], v[91:92]
	v_mul_f64 v[95:96], v[93:94], v[91:92]
	v_fma_f64 v[86:87], -v[86:87], v[95:96], v[93:94]
	v_div_fmas_f64 v[86:87], v[86:87], v[91:92], v[95:96]
	v_div_fixup_f64 v[86:87], v[86:87], v[119:120], v[117:118]
	v_fma_f64 v[91:92], v[117:118], v[86:87], v[119:120]
	v_div_scale_f64 v[93:94], s[20:21], v[91:92], v[91:92], 1.0
	v_div_scale_f64 v[99:100], vcc, 1.0, v[91:92], 1.0
	v_rcp_f64_e32 v[95:96], v[93:94]
	v_fma_f64 v[97:98], -v[93:94], v[95:96], 1.0
	v_fma_f64 v[95:96], v[95:96], v[97:98], v[95:96]
	v_fma_f64 v[97:98], -v[93:94], v[95:96], 1.0
	v_fma_f64 v[95:96], v[95:96], v[97:98], v[95:96]
	v_mul_f64 v[97:98], v[99:100], v[95:96]
	v_fma_f64 v[93:94], -v[93:94], v[97:98], v[99:100]
	v_div_fmas_f64 v[93:94], v[93:94], v[95:96], v[97:98]
	v_div_fixup_f64 v[119:120], v[93:94], v[91:92], 1.0
	v_mul_f64 v[117:118], v[86:87], v[119:120]
	v_xor_b32_e32 v120, 0x80000000, v120
.LBB116_1225:
	s_andn2_saveexec_b64 s[18:19], s[18:19]
	s_cbranch_execz .LBB116_1227
; %bb.1226:
	v_div_scale_f64 v[86:87], s[20:21], v[117:118], v[117:118], v[119:120]
	v_rcp_f64_e32 v[91:92], v[86:87]
	v_fma_f64 v[93:94], -v[86:87], v[91:92], 1.0
	v_fma_f64 v[91:92], v[91:92], v[93:94], v[91:92]
	v_div_scale_f64 v[93:94], vcc, v[119:120], v[117:118], v[119:120]
	v_fma_f64 v[95:96], -v[86:87], v[91:92], 1.0
	v_fma_f64 v[91:92], v[91:92], v[95:96], v[91:92]
	v_mul_f64 v[95:96], v[93:94], v[91:92]
	v_fma_f64 v[86:87], -v[86:87], v[95:96], v[93:94]
	v_div_fmas_f64 v[86:87], v[86:87], v[91:92], v[95:96]
	v_div_fixup_f64 v[86:87], v[86:87], v[117:118], v[119:120]
	v_fma_f64 v[91:92], v[119:120], v[86:87], v[117:118]
	v_div_scale_f64 v[93:94], s[20:21], v[91:92], v[91:92], 1.0
	v_div_scale_f64 v[99:100], vcc, 1.0, v[91:92], 1.0
	v_rcp_f64_e32 v[95:96], v[93:94]
	v_fma_f64 v[97:98], -v[93:94], v[95:96], 1.0
	v_fma_f64 v[95:96], v[95:96], v[97:98], v[95:96]
	v_fma_f64 v[97:98], -v[93:94], v[95:96], 1.0
	v_fma_f64 v[95:96], v[95:96], v[97:98], v[95:96]
	v_mul_f64 v[97:98], v[99:100], v[95:96]
	v_fma_f64 v[93:94], -v[93:94], v[97:98], v[99:100]
	v_div_fmas_f64 v[93:94], v[93:94], v[95:96], v[97:98]
	v_div_fixup_f64 v[117:118], v[93:94], v[91:92], 1.0
	v_mul_f64 v[119:120], v[86:87], -v[117:118]
.LBB116_1227:
	s_or_b64 exec, exec, s[18:19]
.LBB116_1228:
	s_or_b64 exec, exec, s[0:1]
	v_cmp_ne_u32_e32 vcc, v89, v85
	v_mov_b32_e32 v86, 58
	s_and_saveexec_b64 s[0:1], vcc
	s_cbranch_execz .LBB116_1234
; %bb.1229:
	v_cmp_eq_u32_e32 vcc, 58, v89
	s_and_saveexec_b64 s[18:19], vcc
	s_cbranch_execz .LBB116_1233
; %bb.1230:
	v_cmp_ne_u32_e32 vcc, 58, v85
	s_xor_b64 s[6:7], s[6:7], -1
	s_and_b64 s[20:21], s[6:7], vcc
	s_and_saveexec_b64 s[6:7], s[20:21]
	s_cbranch_execz .LBB116_1232
; %bb.1231:
	buffer_load_dword v81, off, s[24:27], 0 offset:500 ; 4-byte Folded Reload
	buffer_load_dword v82, off, s[24:27], 0 offset:504 ; 4-byte Folded Reload
	v_ashrrev_i32_e32 v86, 31, v85
	v_lshlrev_b64 v[86:87], 2, v[85:86]
	s_waitcnt vmcnt(1)
	v_add_co_u32_e32 v86, vcc, v81, v86
	s_waitcnt vmcnt(0)
	v_addc_co_u32_e32 v87, vcc, v82, v87, vcc
	global_load_dword v0, v[86:87], off
	global_load_dword v88, v[81:82], off offset:232
	s_waitcnt vmcnt(1)
	global_store_dword v[81:82], v0, off offset:232
	v_mov_b32_e32 v81, v101
	v_mov_b32_e32 v82, v102
	;; [unrolled: 1-line block ×4, first 2 shown]
	s_waitcnt vmcnt(1)
	global_store_dword v[86:87], v88, off
.LBB116_1232:
	s_or_b64 exec, exec, s[6:7]
	v_mov_b32_e32 v89, v85
	v_mov_b32_e32 v0, v85
	buffer_store_dword v0, off, s[24:27], 0 offset:432 ; 4-byte Folded Spill
.LBB116_1233:
	s_or_b64 exec, exec, s[18:19]
	v_mov_b32_e32 v86, v89
.LBB116_1234:
	s_or_b64 exec, exec, s[0:1]
	v_cmp_gt_i32_e32 vcc, 59, v86
	v_ashrrev_i32_e32 v87, 31, v86
	s_waitcnt vmcnt(0)
	s_barrier
	s_barrier
	s_and_saveexec_b64 s[0:1], vcc
	s_cbranch_execz .LBB116_1236
; %bb.1235:
	buffer_load_dword v77, off, s[24:27], 0 offset:576 ; 4-byte Folded Reload
	buffer_load_dword v78, off, s[24:27], 0 offset:580 ; 4-byte Folded Reload
	s_waitcnt vmcnt(1)
	v_mul_lo_u32 v0, s15, v77
	s_waitcnt vmcnt(0)
	v_mul_lo_u32 v85, s14, v78
	v_mad_u64_u32 v[88:89], s[6:7], s14, v77, 0
	s_lshl_b64 s[6:7], s[12:13], 2
	v_add3_u32 v89, v89, v85, v0
	v_lshlrev_b64 v[88:89], 2, v[88:89]
	v_mov_b32_e32 v0, s11
	v_add_co_u32_e32 v85, vcc, s10, v88
	v_addc_co_u32_e32 v0, vcc, v0, v89, vcc
	v_mov_b32_e32 v88, s7
	v_add_co_u32_e32 v85, vcc, s6, v85
	v_addc_co_u32_e32 v0, vcc, v0, v88, vcc
	v_lshlrev_b64 v[88:89], 2, v[86:87]
	v_add_co_u32_e32 v88, vcc, v85, v88
	v_addc_co_u32_e32 v89, vcc, v0, v89, vcc
	buffer_load_dword v0, off, s[24:27], 0 offset:432 ; 4-byte Folded Reload
	s_waitcnt vmcnt(0)
	v_add3_u32 v0, v0, s17, 1
	global_store_dword v[88:89], v0, off
.LBB116_1236:
	s_or_b64 exec, exec, s[0:1]
	v_cmp_eq_u32_e32 vcc, 0, v86
	s_and_saveexec_b64 s[6:7], vcc
	s_cbranch_execz .LBB116_1239
; %bb.1237:
	buffer_load_dword v77, off, s[24:27], 0 offset:576 ; 4-byte Folded Reload
	buffer_load_dword v78, off, s[24:27], 0 offset:580 ; 4-byte Folded Reload
	v_mov_b32_e32 v0, s5
	v_cmp_ne_u32_e64 s[0:1], 0, v90
	s_waitcnt vmcnt(0)
	v_lshlrev_b64 v[88:89], 2, v[77:78]
	v_add_co_u32_e32 v88, vcc, s4, v88
	v_addc_co_u32_e32 v89, vcc, v0, v89, vcc
	global_load_dword v0, v[88:89], off
	s_waitcnt vmcnt(0)
	v_cmp_eq_u32_e32 vcc, 0, v0
	s_and_b64 s[0:1], vcc, s[0:1]
	s_and_b64 exec, exec, s[0:1]
	s_cbranch_execz .LBB116_1239
; %bb.1238:
	v_add_u32_e32 v0, s17, v90
	global_store_dword v[88:89], v0, off
.LBB116_1239:
	s_or_b64 exec, exec, s[6:7]
	v_mul_f64 v[90:91], v[119:120], v[123:124]
	v_mul_f64 v[88:89], v[117:118], v[123:124]
	v_cmp_lt_i32_e32 vcc, 58, v86
	v_mov_b32_e32 v0, s9
	v_add_u32_e32 v85, s16, v86
	v_fma_f64 v[90:91], v[117:118], v[121:122], -v[90:91]
	v_fma_f64 v[88:89], v[119:120], v[121:122], v[88:89]
	v_cndmask_b32_e32 v117, v121, v90, vcc
	buffer_load_dword v90, off, s[24:27], 0 offset:584 ; 4-byte Folded Reload
	v_cndmask_b32_e32 v120, v124, v89, vcc
	buffer_load_dword v89, off, s[24:27], 0 offset:572 ; 4-byte Folded Reload
	buffer_load_dword v77, off, s[24:27], 0 offset:556 ; 4-byte Folded Reload
	;; [unrolled: 1-line block ×5, first 2 shown]
	v_cndmask_b32_e32 v119, v123, v88, vcc
	v_lshlrev_b64 v[87:88], 4, v[86:87]
	v_cndmask_b32_e32 v118, v122, v91, vcc
	v_ashrrev_i32_e32 v86, 31, v85
	s_waitcnt vmcnt(5)
	v_add_co_u32_e32 v87, vcc, v90, v87
	s_waitcnt vmcnt(4)
	v_addc_co_u32_e32 v88, vcc, v89, v88, vcc
	s_waitcnt vmcnt(0)
	global_store_dwordx4 v[87:88], v[77:80], off
	buffer_load_dword v77, off, s[24:27], 0 offset:540 ; 4-byte Folded Reload
	s_nop 0
	buffer_load_dword v78, off, s[24:27], 0 offset:544 ; 4-byte Folded Reload
	buffer_load_dword v79, off, s[24:27], 0 offset:548 ; 4-byte Folded Reload
	;; [unrolled: 1-line block ×3, first 2 shown]
	v_add_co_u32_e32 v87, vcc, s8, v87
	v_addc_co_u32_e32 v88, vcc, v88, v0, vcc
	s_waitcnt vmcnt(0)
	global_store_dwordx4 v[87:88], v[77:80], off
	buffer_load_dword v77, off, s[24:27], 0 offset:524 ; 4-byte Folded Reload
	s_nop 0
	buffer_load_dword v78, off, s[24:27], 0 offset:528 ; 4-byte Folded Reload
	buffer_load_dword v79, off, s[24:27], 0 offset:532 ; 4-byte Folded Reload
	;; [unrolled: 1-line block ×3, first 2 shown]
	v_lshlrev_b64 v[86:87], 4, v[85:86]
	v_add_u32_e32 v85, s2, v85
	v_add_co_u32_e32 v86, vcc, v90, v86
	v_addc_co_u32_e32 v87, vcc, v89, v87, vcc
	s_waitcnt vmcnt(0)
	global_store_dwordx4 v[86:87], v[77:80], off
	buffer_load_dword v77, off, s[24:27], 0 offset:508 ; 4-byte Folded Reload
	s_nop 0
	buffer_load_dword v78, off, s[24:27], 0 offset:512 ; 4-byte Folded Reload
	buffer_load_dword v79, off, s[24:27], 0 offset:516 ; 4-byte Folded Reload
	buffer_load_dword v80, off, s[24:27], 0 offset:520 ; 4-byte Folded Reload
	v_ashrrev_i32_e32 v86, 31, v85
	v_lshlrev_b64 v[86:87], 4, v[85:86]
	v_add_u32_e32 v85, s2, v85
	v_add_co_u32_e32 v86, vcc, v90, v86
	v_addc_co_u32_e32 v87, vcc, v89, v87, vcc
	s_waitcnt vmcnt(0)
	global_store_dwordx4 v[86:87], v[77:80], off
	buffer_load_dword v77, off, s[24:27], 0 offset:484 ; 4-byte Folded Reload
	s_nop 0
	buffer_load_dword v78, off, s[24:27], 0 offset:488 ; 4-byte Folded Reload
	buffer_load_dword v79, off, s[24:27], 0 offset:492 ; 4-byte Folded Reload
	buffer_load_dword v80, off, s[24:27], 0 offset:496 ; 4-byte Folded Reload
	v_ashrrev_i32_e32 v86, 31, v85
	;; [unrolled: 12-line block ×31, first 2 shown]
	v_lshlrev_b64 v[86:87], 4, v[85:86]
	v_add_u32_e32 v85, s2, v85
	v_add_co_u32_e32 v86, vcc, v90, v86
	v_addc_co_u32_e32 v87, vcc, v89, v87, vcc
	s_waitcnt vmcnt(0)
	global_store_dwordx4 v[86:87], v[77:80], off
	v_ashrrev_i32_e32 v86, 31, v85
	v_lshlrev_b64 v[86:87], 4, v[85:86]
	v_add_u32_e32 v85, s2, v85
	v_add_co_u32_e32 v86, vcc, v90, v86
	v_addc_co_u32_e32 v87, vcc, v89, v87, vcc
	global_store_dwordx4 v[86:87], v[81:84], off
	v_ashrrev_i32_e32 v86, 31, v85
	v_lshlrev_b64 v[86:87], 4, v[85:86]
	v_add_u32_e32 v85, s2, v85
	v_add_co_u32_e32 v86, vcc, v90, v86
	v_addc_co_u32_e32 v87, vcc, v89, v87, vcc
	;; [unrolled: 6-line block ×4, first 2 shown]
	global_store_dwordx4 v[86:87], v[105:108], off
	buffer_load_dword v77, off, s[24:27], 0 ; 4-byte Folded Reload
	buffer_load_dword v78, off, s[24:27], 0 offset:4 ; 4-byte Folded Reload
	buffer_load_dword v79, off, s[24:27], 0 offset:8 ; 4-byte Folded Reload
	;; [unrolled: 1-line block ×3, first 2 shown]
	v_ashrrev_i32_e32 v82, 31, v81
	v_lshlrev_b64 v[82:83], 4, v[81:82]
	v_add_co_u32_e32 v82, vcc, v90, v82
	v_addc_co_u32_e32 v83, vcc, v89, v83, vcc
	s_waitcnt vmcnt(0)
	global_store_dwordx4 v[82:83], v[77:80], off
	s_nop 0
	v_add_u32_e32 v77, s2, v81
	v_ashrrev_i32_e32 v78, 31, v77
	v_lshlrev_b64 v[78:79], 4, v[77:78]
	v_add_co_u32_e32 v78, vcc, v90, v78
	v_addc_co_u32_e32 v79, vcc, v89, v79, vcc
	global_store_dwordx4 v[78:79], v[73:76], off
	s_nop 0
	v_add_u32_e32 v73, s2, v77
	v_ashrrev_i32_e32 v74, 31, v73
	v_lshlrev_b64 v[74:75], 4, v[73:74]
	v_add_co_u32_e32 v74, vcc, v90, v74
	v_addc_co_u32_e32 v75, vcc, v89, v75, vcc
	;; [unrolled: 7-line block ×18, first 2 shown]
	global_store_dwordx4 v[10:11], v[5:8], off
	s_nop 0
	v_add_u32_e32 v5, s2, v9
	v_ashrrev_i32_e32 v6, 31, v5
	v_lshlrev_b64 v[6:7], 4, v[5:6]
	v_add_u32_e32 v0, s2, v5
	v_add_co_u32_e32 v6, vcc, v90, v6
	v_addc_co_u32_e32 v7, vcc, v89, v7, vcc
	global_store_dwordx4 v[6:7], v[1:4], off
	s_nop 0
	v_ashrrev_i32_e32 v1, 31, v0
	v_lshlrev_b64 v[0:1], 4, v[0:1]
	v_add_co_u32_e32 v0, vcc, v90, v0
	v_addc_co_u32_e32 v1, vcc, v89, v1, vcc
	global_store_dwordx4 v[0:1], v[117:120], off
.LBB116_1240:
	s_endpgm
	.section	.rodata,"a",@progbits
	.p2align	6, 0x0
	.amdhsa_kernel _ZN9rocsolver6v33100L18getf2_small_kernelILi59E19rocblas_complex_numIdEiiPS3_EEvT1_T3_lS5_lPS5_llPT2_S5_S5_S7_l
		.amdhsa_group_segment_fixed_size 0
		.amdhsa_private_segment_fixed_size 592
		.amdhsa_kernarg_size 352
		.amdhsa_user_sgpr_count 6
		.amdhsa_user_sgpr_private_segment_buffer 1
		.amdhsa_user_sgpr_dispatch_ptr 0
		.amdhsa_user_sgpr_queue_ptr 0
		.amdhsa_user_sgpr_kernarg_segment_ptr 1
		.amdhsa_user_sgpr_dispatch_id 0
		.amdhsa_user_sgpr_flat_scratch_init 0
		.amdhsa_user_sgpr_private_segment_size 0
		.amdhsa_uses_dynamic_stack 0
		.amdhsa_system_sgpr_private_segment_wavefront_offset 1
		.amdhsa_system_sgpr_workgroup_id_x 1
		.amdhsa_system_sgpr_workgroup_id_y 1
		.amdhsa_system_sgpr_workgroup_id_z 0
		.amdhsa_system_sgpr_workgroup_info 0
		.amdhsa_system_vgpr_workitem_id 1
		.amdhsa_next_free_vgpr 128
		.amdhsa_next_free_sgpr 30
		.amdhsa_reserve_vcc 1
		.amdhsa_reserve_flat_scratch 0
		.amdhsa_float_round_mode_32 0
		.amdhsa_float_round_mode_16_64 0
		.amdhsa_float_denorm_mode_32 3
		.amdhsa_float_denorm_mode_16_64 3
		.amdhsa_dx10_clamp 1
		.amdhsa_ieee_mode 1
		.amdhsa_fp16_overflow 0
		.amdhsa_exception_fp_ieee_invalid_op 0
		.amdhsa_exception_fp_denorm_src 0
		.amdhsa_exception_fp_ieee_div_zero 0
		.amdhsa_exception_fp_ieee_overflow 0
		.amdhsa_exception_fp_ieee_underflow 0
		.amdhsa_exception_fp_ieee_inexact 0
		.amdhsa_exception_int_div_zero 0
	.end_amdhsa_kernel
	.section	.text._ZN9rocsolver6v33100L18getf2_small_kernelILi59E19rocblas_complex_numIdEiiPS3_EEvT1_T3_lS5_lPS5_llPT2_S5_S5_S7_l,"axG",@progbits,_ZN9rocsolver6v33100L18getf2_small_kernelILi59E19rocblas_complex_numIdEiiPS3_EEvT1_T3_lS5_lPS5_llPT2_S5_S5_S7_l,comdat
.Lfunc_end116:
	.size	_ZN9rocsolver6v33100L18getf2_small_kernelILi59E19rocblas_complex_numIdEiiPS3_EEvT1_T3_lS5_lPS5_llPT2_S5_S5_S7_l, .Lfunc_end116-_ZN9rocsolver6v33100L18getf2_small_kernelILi59E19rocblas_complex_numIdEiiPS3_EEvT1_T3_lS5_lPS5_llPT2_S5_S5_S7_l
                                        ; -- End function
	.set _ZN9rocsolver6v33100L18getf2_small_kernelILi59E19rocblas_complex_numIdEiiPS3_EEvT1_T3_lS5_lPS5_llPT2_S5_S5_S7_l.num_vgpr, 128
	.set _ZN9rocsolver6v33100L18getf2_small_kernelILi59E19rocblas_complex_numIdEiiPS3_EEvT1_T3_lS5_lPS5_llPT2_S5_S5_S7_l.num_agpr, 0
	.set _ZN9rocsolver6v33100L18getf2_small_kernelILi59E19rocblas_complex_numIdEiiPS3_EEvT1_T3_lS5_lPS5_llPT2_S5_S5_S7_l.numbered_sgpr, 30
	.set _ZN9rocsolver6v33100L18getf2_small_kernelILi59E19rocblas_complex_numIdEiiPS3_EEvT1_T3_lS5_lPS5_llPT2_S5_S5_S7_l.num_named_barrier, 0
	.set _ZN9rocsolver6v33100L18getf2_small_kernelILi59E19rocblas_complex_numIdEiiPS3_EEvT1_T3_lS5_lPS5_llPT2_S5_S5_S7_l.private_seg_size, 592
	.set _ZN9rocsolver6v33100L18getf2_small_kernelILi59E19rocblas_complex_numIdEiiPS3_EEvT1_T3_lS5_lPS5_llPT2_S5_S5_S7_l.uses_vcc, 1
	.set _ZN9rocsolver6v33100L18getf2_small_kernelILi59E19rocblas_complex_numIdEiiPS3_EEvT1_T3_lS5_lPS5_llPT2_S5_S5_S7_l.uses_flat_scratch, 0
	.set _ZN9rocsolver6v33100L18getf2_small_kernelILi59E19rocblas_complex_numIdEiiPS3_EEvT1_T3_lS5_lPS5_llPT2_S5_S5_S7_l.has_dyn_sized_stack, 0
	.set _ZN9rocsolver6v33100L18getf2_small_kernelILi59E19rocblas_complex_numIdEiiPS3_EEvT1_T3_lS5_lPS5_llPT2_S5_S5_S7_l.has_recursion, 0
	.set _ZN9rocsolver6v33100L18getf2_small_kernelILi59E19rocblas_complex_numIdEiiPS3_EEvT1_T3_lS5_lPS5_llPT2_S5_S5_S7_l.has_indirect_call, 0
	.section	.AMDGPU.csdata,"",@progbits
; Kernel info:
; codeLenInByte = 250036
; TotalNumSgprs: 34
; NumVgprs: 128
; ScratchSize: 592
; MemoryBound: 0
; FloatMode: 240
; IeeeMode: 1
; LDSByteSize: 0 bytes/workgroup (compile time only)
; SGPRBlocks: 4
; VGPRBlocks: 31
; NumSGPRsForWavesPerEU: 34
; NumVGPRsForWavesPerEU: 128
; Occupancy: 2
; WaveLimiterHint : 0
; COMPUTE_PGM_RSRC2:SCRATCH_EN: 1
; COMPUTE_PGM_RSRC2:USER_SGPR: 6
; COMPUTE_PGM_RSRC2:TRAP_HANDLER: 0
; COMPUTE_PGM_RSRC2:TGID_X_EN: 1
; COMPUTE_PGM_RSRC2:TGID_Y_EN: 1
; COMPUTE_PGM_RSRC2:TGID_Z_EN: 0
; COMPUTE_PGM_RSRC2:TIDIG_COMP_CNT: 1
	.section	.text._ZN9rocsolver6v33100L23getf2_npvt_small_kernelILi59E19rocblas_complex_numIdEiiPS3_EEvT1_T3_lS5_lPT2_S5_S5_,"axG",@progbits,_ZN9rocsolver6v33100L23getf2_npvt_small_kernelILi59E19rocblas_complex_numIdEiiPS3_EEvT1_T3_lS5_lPT2_S5_S5_,comdat
	.globl	_ZN9rocsolver6v33100L23getf2_npvt_small_kernelILi59E19rocblas_complex_numIdEiiPS3_EEvT1_T3_lS5_lPT2_S5_S5_ ; -- Begin function _ZN9rocsolver6v33100L23getf2_npvt_small_kernelILi59E19rocblas_complex_numIdEiiPS3_EEvT1_T3_lS5_lPT2_S5_S5_
	.p2align	8
	.type	_ZN9rocsolver6v33100L23getf2_npvt_small_kernelILi59E19rocblas_complex_numIdEiiPS3_EEvT1_T3_lS5_lPT2_S5_S5_,@function
_ZN9rocsolver6v33100L23getf2_npvt_small_kernelILi59E19rocblas_complex_numIdEiiPS3_EEvT1_T3_lS5_lPT2_S5_S5_: ; @_ZN9rocsolver6v33100L23getf2_npvt_small_kernelILi59E19rocblas_complex_numIdEiiPS3_EEvT1_T3_lS5_lPT2_S5_S5_
; %bb.0:
	s_mov_b64 s[22:23], s[2:3]
	s_mov_b64 s[20:21], s[0:1]
	s_load_dword s0, s[4:5], 0x44
	s_load_dwordx2 s[12:13], s[4:5], 0x30
	s_add_u32 s20, s20, s8
	s_addc_u32 s21, s21, 0
	s_waitcnt lgkmcnt(0)
	s_lshr_b32 s2, s0, 16
	s_mul_i32 s7, s7, s2
	v_add_u32_e32 v2, s7, v1
	v_cmp_gt_i32_e32 vcc, s12, v2
	s_and_saveexec_b64 s[0:1], vcc
	s_cbranch_execnz .LBB117_1
; %bb.535:
	s_getpc_b64 s[14:15]
.Lpost_getpc31:
	s_add_u32 s14, s14, (.LBB117_534-.Lpost_getpc31)&4294967295
	s_addc_u32 s15, s15, (.LBB117_534-.Lpost_getpc31)>>32
	s_setpc_b64 s[14:15]
.LBB117_1:
	s_load_dwordx4 s[8:11], s[4:5], 0x20
	s_load_dwordx4 s[16:19], s[4:5], 0x8
	v_ashrrev_i32_e32 v3, 31, v2
	s_mulk_i32 s2, 0x3b0
	s_waitcnt lgkmcnt(0)
	v_mul_lo_u32 v4, s9, v2
	v_mul_lo_u32 v5, s8, v3
	buffer_store_dword v2, off, s[20:23], 0 offset:1920 ; 4-byte Folded Spill
	s_nop 0
	buffer_store_dword v3, off, s[20:23], 0 offset:1924 ; 4-byte Folded Spill
	v_mov_b32_e32 v6, s17
	v_mad_u64_u32 v[2:3], s[0:1], s8, v2, 0
	s_load_dword s0, s[4:5], 0x18
	s_lshl_b64 s[4:5], s[18:19], 4
	v_add3_u32 v3, v3, v5, v4
	v_lshlrev_b64 v[2:3], 4, v[2:3]
	v_mov_b32_e32 v4, s5
	v_add_co_u32_e32 v2, vcc, s16, v2
	v_addc_co_u32_e32 v3, vcc, v6, v3, vcc
	v_add_co_u32_e32 v2, vcc, s4, v2
	s_waitcnt lgkmcnt(0)
	s_add_i32 s1, s0, s0
	v_addc_co_u32_e32 v3, vcc, v3, v4, vcc
	v_add_u32_e32 v4, s1, v0
	v_ashrrev_i32_e32 v5, 31, v4
	v_lshlrev_b64 v[5:6], 4, v[4:5]
	v_add_u32_e32 v4, s0, v4
	v_add_co_u32_e32 v73, vcc, v2, v5
	v_ashrrev_i32_e32 v5, 31, v4
	v_addc_co_u32_e32 v74, vcc, v3, v6, vcc
	v_lshlrev_b64 v[5:6], 4, v[4:5]
	v_add_u32_e32 v4, s0, v4
	v_add_co_u32_e32 v75, vcc, v2, v5
	v_ashrrev_i32_e32 v5, 31, v4
	v_addc_co_u32_e32 v76, vcc, v3, v6, vcc
	;; [unrolled: 5-line block ×55, first 2 shown]
	v_lshlrev_b64 v[5:6], 4, v[4:5]
	v_add_u32_e32 v4, s0, v4
	v_add_co_u32_e32 v119, vcc, v2, v5
	v_ashrrev_i32_e32 v5, 31, v4
	v_lshlrev_b64 v[4:5], 4, v[4:5]
	v_addc_co_u32_e32 v120, vcc, v3, v6, vcc
	v_add_co_u32_e32 v89, vcc, v2, v4
	v_addc_co_u32_e32 v90, vcc, v3, v5, vcc
	v_lshlrev_b32_e32 v4, 4, v0
	v_add_co_u32_e32 v4, vcc, v2, v4
	s_ashr_i32 s1, s0, 31
	v_addc_co_u32_e32 v5, vcc, 0, v3, vcc
	s_lshl_b64 s[0:1], s[0:1], 4
	v_mov_b32_e32 v2, s1
	v_add_co_u32_e32 v81, vcc, s0, v4
	v_addc_co_u32_e32 v82, vcc, v5, v2, vcc
	buffer_store_dword v4, off, s[20:23], 0 offset:1008 ; 4-byte Folded Spill
	s_nop 0
	buffer_store_dword v5, off, s[20:23], 0 offset:1012 ; 4-byte Folded Spill
	s_movk_i32 s0, 0x3b0
	s_add_i32 s1, s2, 0
	v_mad_u32_u24 v125, v1, s0, 0
	v_lshl_add_u32 v127, v1, 4, s1
	v_cmp_ne_u32_e64 s[2:3], 0, v0
	v_cmp_eq_u32_e64 s[0:1], 0, v0
	global_load_dwordx4 v[1:4], v[4:5], off
	s_waitcnt vmcnt(0)
	buffer_store_dword v1, off, s[20:23], 0 offset:544 ; 4-byte Folded Spill
	s_nop 0
	buffer_store_dword v2, off, s[20:23], 0 offset:548 ; 4-byte Folded Spill
	buffer_store_dword v3, off, s[20:23], 0 offset:552 ; 4-byte Folded Spill
	buffer_store_dword v4, off, s[20:23], 0 offset:556 ; 4-byte Folded Spill
	buffer_store_dword v81, off, s[20:23], 0 offset:1016 ; 4-byte Folded Spill
	s_nop 0
	buffer_store_dword v82, off, s[20:23], 0 offset:1020 ; 4-byte Folded Spill
	global_load_dwordx4 v[1:4], v[81:82], off
	s_waitcnt vmcnt(0)
	buffer_store_dword v1, off, s[20:23], 0 offset:528 ; 4-byte Folded Spill
	s_nop 0
	buffer_store_dword v2, off, s[20:23], 0 offset:532 ; 4-byte Folded Spill
	buffer_store_dword v3, off, s[20:23], 0 offset:536 ; 4-byte Folded Spill
	buffer_store_dword v4, off, s[20:23], 0 offset:540 ; 4-byte Folded Spill
	buffer_store_dword v73, off, s[20:23], 0 offset:952 ; 4-byte Folded Spill
	s_nop 0
	buffer_store_dword v74, off, s[20:23], 0 offset:956 ; 4-byte Folded Spill
	;; [unrolled: 10-line block ×6, first 2 shown]
	global_load_dwordx4 v[1:4], v[7:8], off
	s_waitcnt vmcnt(0)
	buffer_store_dword v1, off, s[20:23], 0 offset:448 ; 4-byte Folded Spill
	s_nop 0
	buffer_store_dword v2, off, s[20:23], 0 offset:452 ; 4-byte Folded Spill
	buffer_store_dword v3, off, s[20:23], 0 offset:456 ; 4-byte Folded Spill
	;; [unrolled: 1-line block ×3, first 2 shown]
	global_load_dwordx4 v[1:4], v[85:86], off
	s_waitcnt vmcnt(0)
	buffer_store_dword v1, off, s[20:23], 0 offset:432 ; 4-byte Folded Spill
	s_nop 0
	buffer_store_dword v2, off, s[20:23], 0 offset:436 ; 4-byte Folded Spill
	buffer_store_dword v3, off, s[20:23], 0 offset:440 ; 4-byte Folded Spill
	buffer_store_dword v4, off, s[20:23], 0 offset:444 ; 4-byte Folded Spill
	buffer_store_dword v9, off, s[20:23], 0 offset:568 ; 4-byte Folded Spill
	s_nop 0
	buffer_store_dword v10, off, s[20:23], 0 offset:572 ; 4-byte Folded Spill
	global_load_dwordx4 v[1:4], v[9:10], off
	s_waitcnt vmcnt(0)
	buffer_store_dword v1, off, s[20:23], 0 offset:416 ; 4-byte Folded Spill
	s_nop 0
	buffer_store_dword v2, off, s[20:23], 0 offset:420 ; 4-byte Folded Spill
	buffer_store_dword v3, off, s[20:23], 0 offset:424 ; 4-byte Folded Spill
	buffer_store_dword v4, off, s[20:23], 0 offset:428 ; 4-byte Folded Spill
	buffer_store_dword v11, off, s[20:23], 0 offset:576 ; 4-byte Folded Spill
	s_nop 0
	buffer_store_dword v12, off, s[20:23], 0 offset:580 ; 4-byte Folded Spill
	global_load_dwordx4 v[1:4], v[11:12], off
	s_waitcnt vmcnt(0)
	buffer_store_dword v1, off, s[20:23], 0 offset:400 ; 4-byte Folded Spill
	s_nop 0
	buffer_store_dword v2, off, s[20:23], 0 offset:404 ; 4-byte Folded Spill
	buffer_store_dword v3, off, s[20:23], 0 offset:408 ; 4-byte Folded Spill
	buffer_store_dword v4, off, s[20:23], 0 offset:412 ; 4-byte Folded Spill
	buffer_store_dword v13, off, s[20:23], 0 offset:584 ; 4-byte Folded Spill
	s_nop 0
	buffer_store_dword v14, off, s[20:23], 0 offset:588 ; 4-byte Folded Spill
	global_load_dwordx4 v[1:4], v[13:14], off
	s_waitcnt vmcnt(0)
	buffer_store_dword v1, off, s[20:23], 0 offset:384 ; 4-byte Folded Spill
	s_nop 0
	buffer_store_dword v2, off, s[20:23], 0 offset:388 ; 4-byte Folded Spill
	buffer_store_dword v3, off, s[20:23], 0 offset:392 ; 4-byte Folded Spill
	buffer_store_dword v4, off, s[20:23], 0 offset:396 ; 4-byte Folded Spill
	buffer_store_dword v15, off, s[20:23], 0 offset:592 ; 4-byte Folded Spill
	s_nop 0
	buffer_store_dword v16, off, s[20:23], 0 offset:596 ; 4-byte Folded Spill
	global_load_dwordx4 v[1:4], v[15:16], off
	s_waitcnt vmcnt(0)
	buffer_store_dword v1, off, s[20:23], 0 offset:368 ; 4-byte Folded Spill
	s_nop 0
	buffer_store_dword v2, off, s[20:23], 0 offset:372 ; 4-byte Folded Spill
	buffer_store_dword v3, off, s[20:23], 0 offset:376 ; 4-byte Folded Spill
	buffer_store_dword v4, off, s[20:23], 0 offset:380 ; 4-byte Folded Spill
	buffer_store_dword v17, off, s[20:23], 0 offset:600 ; 4-byte Folded Spill
	s_nop 0
	buffer_store_dword v18, off, s[20:23], 0 offset:604 ; 4-byte Folded Spill
	global_load_dwordx4 v[1:4], v[17:18], off
	s_waitcnt vmcnt(0)
	buffer_store_dword v1, off, s[20:23], 0 offset:352 ; 4-byte Folded Spill
	s_nop 0
	buffer_store_dword v2, off, s[20:23], 0 offset:356 ; 4-byte Folded Spill
	buffer_store_dword v3, off, s[20:23], 0 offset:360 ; 4-byte Folded Spill
	buffer_store_dword v4, off, s[20:23], 0 offset:364 ; 4-byte Folded Spill
	buffer_store_dword v19, off, s[20:23], 0 offset:608 ; 4-byte Folded Spill
	s_nop 0
	buffer_store_dword v20, off, s[20:23], 0 offset:612 ; 4-byte Folded Spill
	global_load_dwordx4 v[1:4], v[19:20], off
	s_waitcnt vmcnt(0)
	buffer_store_dword v1, off, s[20:23], 0 offset:336 ; 4-byte Folded Spill
	s_nop 0
	buffer_store_dword v2, off, s[20:23], 0 offset:340 ; 4-byte Folded Spill
	buffer_store_dword v3, off, s[20:23], 0 offset:344 ; 4-byte Folded Spill
	buffer_store_dword v4, off, s[20:23], 0 offset:348 ; 4-byte Folded Spill
	buffer_store_dword v21, off, s[20:23], 0 offset:616 ; 4-byte Folded Spill
	s_nop 0
	buffer_store_dword v22, off, s[20:23], 0 offset:620 ; 4-byte Folded Spill
	global_load_dwordx4 v[1:4], v[21:22], off
	s_waitcnt vmcnt(0)
	buffer_store_dword v1, off, s[20:23], 0 offset:320 ; 4-byte Folded Spill
	s_nop 0
	buffer_store_dword v2, off, s[20:23], 0 offset:324 ; 4-byte Folded Spill
	buffer_store_dword v3, off, s[20:23], 0 offset:328 ; 4-byte Folded Spill
	buffer_store_dword v4, off, s[20:23], 0 offset:332 ; 4-byte Folded Spill
	buffer_store_dword v23, off, s[20:23], 0 offset:624 ; 4-byte Folded Spill
	s_nop 0
	buffer_store_dword v24, off, s[20:23], 0 offset:628 ; 4-byte Folded Spill
	global_load_dwordx4 v[1:4], v[23:24], off
	s_waitcnt vmcnt(0)
	buffer_store_dword v1, off, s[20:23], 0 offset:304 ; 4-byte Folded Spill
	s_nop 0
	buffer_store_dword v2, off, s[20:23], 0 offset:308 ; 4-byte Folded Spill
	buffer_store_dword v3, off, s[20:23], 0 offset:312 ; 4-byte Folded Spill
	buffer_store_dword v4, off, s[20:23], 0 offset:316 ; 4-byte Folded Spill
	buffer_store_dword v25, off, s[20:23], 0 offset:632 ; 4-byte Folded Spill
	s_nop 0
	buffer_store_dword v26, off, s[20:23], 0 offset:636 ; 4-byte Folded Spill
	global_load_dwordx4 v[1:4], v[25:26], off
	s_waitcnt vmcnt(0)
	buffer_store_dword v1, off, s[20:23], 0 offset:288 ; 4-byte Folded Spill
	s_nop 0
	buffer_store_dword v2, off, s[20:23], 0 offset:292 ; 4-byte Folded Spill
	buffer_store_dword v3, off, s[20:23], 0 offset:296 ; 4-byte Folded Spill
	buffer_store_dword v4, off, s[20:23], 0 offset:300 ; 4-byte Folded Spill
	buffer_store_dword v27, off, s[20:23], 0 offset:640 ; 4-byte Folded Spill
	s_nop 0
	buffer_store_dword v28, off, s[20:23], 0 offset:644 ; 4-byte Folded Spill
	global_load_dwordx4 v[1:4], v[27:28], off
	s_waitcnt vmcnt(0)
	buffer_store_dword v1, off, s[20:23], 0 offset:272 ; 4-byte Folded Spill
	s_nop 0
	buffer_store_dword v2, off, s[20:23], 0 offset:276 ; 4-byte Folded Spill
	buffer_store_dword v3, off, s[20:23], 0 offset:280 ; 4-byte Folded Spill
	buffer_store_dword v4, off, s[20:23], 0 offset:284 ; 4-byte Folded Spill
	buffer_store_dword v29, off, s[20:23], 0 offset:648 ; 4-byte Folded Spill
	s_nop 0
	buffer_store_dword v30, off, s[20:23], 0 offset:652 ; 4-byte Folded Spill
	global_load_dwordx4 v[1:4], v[29:30], off
	s_waitcnt vmcnt(0)
	buffer_store_dword v1, off, s[20:23], 0 offset:256 ; 4-byte Folded Spill
	s_nop 0
	buffer_store_dword v2, off, s[20:23], 0 offset:260 ; 4-byte Folded Spill
	buffer_store_dword v3, off, s[20:23], 0 offset:264 ; 4-byte Folded Spill
	buffer_store_dword v4, off, s[20:23], 0 offset:268 ; 4-byte Folded Spill
	buffer_store_dword v31, off, s[20:23], 0 offset:656 ; 4-byte Folded Spill
	s_nop 0
	buffer_store_dword v32, off, s[20:23], 0 offset:660 ; 4-byte Folded Spill
	global_load_dwordx4 v[1:4], v[31:32], off
	s_waitcnt vmcnt(0)
	buffer_store_dword v1, off, s[20:23], 0 offset:240 ; 4-byte Folded Spill
	s_nop 0
	buffer_store_dword v2, off, s[20:23], 0 offset:244 ; 4-byte Folded Spill
	buffer_store_dword v3, off, s[20:23], 0 offset:248 ; 4-byte Folded Spill
	buffer_store_dword v4, off, s[20:23], 0 offset:252 ; 4-byte Folded Spill
	buffer_store_dword v33, off, s[20:23], 0 offset:664 ; 4-byte Folded Spill
	s_nop 0
	buffer_store_dword v34, off, s[20:23], 0 offset:668 ; 4-byte Folded Spill
	global_load_dwordx4 v[1:4], v[33:34], off
	s_waitcnt vmcnt(0)
	buffer_store_dword v1, off, s[20:23], 0 offset:224 ; 4-byte Folded Spill
	s_nop 0
	buffer_store_dword v2, off, s[20:23], 0 offset:228 ; 4-byte Folded Spill
	buffer_store_dword v3, off, s[20:23], 0 offset:232 ; 4-byte Folded Spill
	buffer_store_dword v4, off, s[20:23], 0 offset:236 ; 4-byte Folded Spill
	buffer_store_dword v35, off, s[20:23], 0 offset:672 ; 4-byte Folded Spill
	s_nop 0
	buffer_store_dword v36, off, s[20:23], 0 offset:676 ; 4-byte Folded Spill
	global_load_dwordx4 v[1:4], v[35:36], off
	s_waitcnt vmcnt(0)
	buffer_store_dword v1, off, s[20:23], 0 offset:208 ; 4-byte Folded Spill
	s_nop 0
	buffer_store_dword v2, off, s[20:23], 0 offset:212 ; 4-byte Folded Spill
	buffer_store_dword v3, off, s[20:23], 0 offset:216 ; 4-byte Folded Spill
	buffer_store_dword v4, off, s[20:23], 0 offset:220 ; 4-byte Folded Spill
	buffer_store_dword v37, off, s[20:23], 0 offset:680 ; 4-byte Folded Spill
	s_nop 0
	buffer_store_dword v38, off, s[20:23], 0 offset:684 ; 4-byte Folded Spill
	global_load_dwordx4 v[1:4], v[37:38], off
	s_waitcnt vmcnt(0)
	buffer_store_dword v1, off, s[20:23], 0 offset:192 ; 4-byte Folded Spill
	s_nop 0
	buffer_store_dword v2, off, s[20:23], 0 offset:196 ; 4-byte Folded Spill
	buffer_store_dword v3, off, s[20:23], 0 offset:200 ; 4-byte Folded Spill
	buffer_store_dword v4, off, s[20:23], 0 offset:204 ; 4-byte Folded Spill
	buffer_store_dword v39, off, s[20:23], 0 offset:688 ; 4-byte Folded Spill
	s_nop 0
	buffer_store_dword v40, off, s[20:23], 0 offset:692 ; 4-byte Folded Spill
	global_load_dwordx4 v[1:4], v[39:40], off
	s_waitcnt vmcnt(0)
	buffer_store_dword v1, off, s[20:23], 0 offset:176 ; 4-byte Folded Spill
	s_nop 0
	buffer_store_dword v2, off, s[20:23], 0 offset:180 ; 4-byte Folded Spill
	buffer_store_dword v3, off, s[20:23], 0 offset:184 ; 4-byte Folded Spill
	buffer_store_dword v4, off, s[20:23], 0 offset:188 ; 4-byte Folded Spill
	buffer_store_dword v41, off, s[20:23], 0 offset:696 ; 4-byte Folded Spill
	s_nop 0
	buffer_store_dword v42, off, s[20:23], 0 offset:700 ; 4-byte Folded Spill
	global_load_dwordx4 v[1:4], v[41:42], off
	s_waitcnt vmcnt(0)
	buffer_store_dword v1, off, s[20:23], 0 offset:160 ; 4-byte Folded Spill
	s_nop 0
	buffer_store_dword v2, off, s[20:23], 0 offset:164 ; 4-byte Folded Spill
	buffer_store_dword v3, off, s[20:23], 0 offset:168 ; 4-byte Folded Spill
	buffer_store_dword v4, off, s[20:23], 0 offset:172 ; 4-byte Folded Spill
	buffer_store_dword v43, off, s[20:23], 0 offset:704 ; 4-byte Folded Spill
	s_nop 0
	buffer_store_dword v44, off, s[20:23], 0 offset:708 ; 4-byte Folded Spill
	global_load_dwordx4 v[1:4], v[43:44], off
	s_waitcnt vmcnt(0)
	buffer_store_dword v1, off, s[20:23], 0 offset:144 ; 4-byte Folded Spill
	s_nop 0
	buffer_store_dword v2, off, s[20:23], 0 offset:148 ; 4-byte Folded Spill
	buffer_store_dword v3, off, s[20:23], 0 offset:152 ; 4-byte Folded Spill
	buffer_store_dword v4, off, s[20:23], 0 offset:156 ; 4-byte Folded Spill
	buffer_store_dword v45, off, s[20:23], 0 offset:712 ; 4-byte Folded Spill
	s_nop 0
	buffer_store_dword v46, off, s[20:23], 0 offset:716 ; 4-byte Folded Spill
	global_load_dwordx4 v[1:4], v[45:46], off
	s_waitcnt vmcnt(0)
	buffer_store_dword v1, off, s[20:23], 0 offset:128 ; 4-byte Folded Spill
	s_nop 0
	buffer_store_dword v2, off, s[20:23], 0 offset:132 ; 4-byte Folded Spill
	buffer_store_dword v3, off, s[20:23], 0 offset:136 ; 4-byte Folded Spill
	buffer_store_dword v4, off, s[20:23], 0 offset:140 ; 4-byte Folded Spill
	buffer_store_dword v47, off, s[20:23], 0 offset:720 ; 4-byte Folded Spill
	s_nop 0
	buffer_store_dword v48, off, s[20:23], 0 offset:724 ; 4-byte Folded Spill
	global_load_dwordx4 v[1:4], v[47:48], off
	s_waitcnt vmcnt(0)
	buffer_store_dword v1, off, s[20:23], 0 offset:112 ; 4-byte Folded Spill
	s_nop 0
	buffer_store_dword v2, off, s[20:23], 0 offset:116 ; 4-byte Folded Spill
	buffer_store_dword v3, off, s[20:23], 0 offset:120 ; 4-byte Folded Spill
	buffer_store_dword v4, off, s[20:23], 0 offset:124 ; 4-byte Folded Spill
	buffer_store_dword v49, off, s[20:23], 0 offset:728 ; 4-byte Folded Spill
	s_nop 0
	buffer_store_dword v50, off, s[20:23], 0 offset:732 ; 4-byte Folded Spill
	global_load_dwordx4 v[1:4], v[49:50], off
	s_waitcnt vmcnt(0)
	buffer_store_dword v1, off, s[20:23], 0 offset:96 ; 4-byte Folded Spill
	s_nop 0
	buffer_store_dword v2, off, s[20:23], 0 offset:100 ; 4-byte Folded Spill
	buffer_store_dword v3, off, s[20:23], 0 offset:104 ; 4-byte Folded Spill
	buffer_store_dword v4, off, s[20:23], 0 offset:108 ; 4-byte Folded Spill
	buffer_store_dword v51, off, s[20:23], 0 offset:736 ; 4-byte Folded Spill
	s_nop 0
	buffer_store_dword v52, off, s[20:23], 0 offset:740 ; 4-byte Folded Spill
	global_load_dwordx4 v[1:4], v[51:52], off
	s_waitcnt vmcnt(0)
	buffer_store_dword v1, off, s[20:23], 0 offset:80 ; 4-byte Folded Spill
	s_nop 0
	buffer_store_dword v2, off, s[20:23], 0 offset:84 ; 4-byte Folded Spill
	buffer_store_dword v3, off, s[20:23], 0 offset:88 ; 4-byte Folded Spill
	buffer_store_dword v4, off, s[20:23], 0 offset:92 ; 4-byte Folded Spill
	buffer_store_dword v53, off, s[20:23], 0 offset:744 ; 4-byte Folded Spill
	s_nop 0
	buffer_store_dword v54, off, s[20:23], 0 offset:748 ; 4-byte Folded Spill
	global_load_dwordx4 v[1:4], v[53:54], off
	s_waitcnt vmcnt(0)
	buffer_store_dword v1, off, s[20:23], 0 offset:64 ; 4-byte Folded Spill
	s_nop 0
	buffer_store_dword v2, off, s[20:23], 0 offset:68 ; 4-byte Folded Spill
	buffer_store_dword v3, off, s[20:23], 0 offset:72 ; 4-byte Folded Spill
	buffer_store_dword v4, off, s[20:23], 0 offset:76 ; 4-byte Folded Spill
	buffer_store_dword v55, off, s[20:23], 0 offset:752 ; 4-byte Folded Spill
	s_nop 0
	buffer_store_dword v56, off, s[20:23], 0 offset:756 ; 4-byte Folded Spill
	global_load_dwordx4 v[1:4], v[55:56], off
	s_waitcnt vmcnt(0)
	buffer_store_dword v1, off, s[20:23], 0 offset:48 ; 4-byte Folded Spill
	s_nop 0
	buffer_store_dword v2, off, s[20:23], 0 offset:52 ; 4-byte Folded Spill
	buffer_store_dword v3, off, s[20:23], 0 offset:56 ; 4-byte Folded Spill
	buffer_store_dword v4, off, s[20:23], 0 offset:60 ; 4-byte Folded Spill
	buffer_store_dword v57, off, s[20:23], 0 offset:760 ; 4-byte Folded Spill
	s_nop 0
	buffer_store_dword v58, off, s[20:23], 0 offset:764 ; 4-byte Folded Spill
	global_load_dwordx4 v[37:40], v[57:58], off
	s_nop 0
	buffer_store_dword v59, off, s[20:23], 0 offset:768 ; 4-byte Folded Spill
	s_nop 0
	buffer_store_dword v60, off, s[20:23], 0 offset:772 ; 4-byte Folded Spill
	global_load_dwordx4 v[9:12], v[59:60], off
	s_nop 0
	buffer_store_dword v61, off, s[20:23], 0 offset:776 ; 4-byte Folded Spill
	s_nop 0
	buffer_store_dword v62, off, s[20:23], 0 offset:780 ; 4-byte Folded Spill
	;; [unrolled: 5-line block ×16, first 2 shown]
	global_load_dwordx4 v[13:16], v[107:108], off
	s_waitcnt vmcnt(0)
	buffer_store_dword v13, off, s[20:23], 0 offset:32 ; 4-byte Folded Spill
	s_nop 0
	buffer_store_dword v14, off, s[20:23], 0 offset:36 ; 4-byte Folded Spill
	buffer_store_dword v15, off, s[20:23], 0 offset:40 ; 4-byte Folded Spill
	;; [unrolled: 1-line block ×4, first 2 shown]
	s_nop 0
	buffer_store_dword v110, off, s[20:23], 0 offset:900 ; 4-byte Folded Spill
	global_load_dwordx4 v[13:16], v[109:110], off
	s_waitcnt vmcnt(0)
	buffer_store_dword v13, off, s[20:23], 0 offset:16 ; 4-byte Folded Spill
	s_nop 0
	buffer_store_dword v14, off, s[20:23], 0 offset:20 ; 4-byte Folded Spill
	buffer_store_dword v15, off, s[20:23], 0 offset:24 ; 4-byte Folded Spill
	;; [unrolled: 1-line block ×4, first 2 shown]
	s_nop 0
	buffer_store_dword v112, off, s[20:23], 0 offset:908 ; 4-byte Folded Spill
	global_load_dwordx4 v[29:32], v[111:112], off
	s_nop 0
	buffer_store_dword v113, off, s[20:23], 0 offset:912 ; 4-byte Folded Spill
	s_nop 0
	buffer_store_dword v114, off, s[20:23], 0 offset:916 ; 4-byte Folded Spill
	v_mov_b32_e32 v112, v12
	v_mov_b32_e32 v111, v11
	;; [unrolled: 1-line block ×4, first 2 shown]
	global_load_dwordx4 v[25:28], v[113:114], off
	s_nop 0
	buffer_store_dword v115, off, s[20:23], 0 offset:920 ; 4-byte Folded Spill
	s_nop 0
	buffer_store_dword v116, off, s[20:23], 0 offset:924 ; 4-byte Folded Spill
	global_load_dwordx4 v[21:24], v[115:116], off
	s_nop 0
	buffer_store_dword v121, off, s[20:23], 0 offset:928 ; 4-byte Folded Spill
	s_nop 0
	buffer_store_dword v122, off, s[20:23], 0 offset:932 ; 4-byte Folded Spill
	v_mov_b32_e32 v116, v4
	v_mov_b32_e32 v115, v3
	;; [unrolled: 1-line block ×4, first 2 shown]
	global_load_dwordx4 v[17:20], v[121:122], off
	s_nop 0
	buffer_store_dword v123, off, s[20:23], 0 offset:936 ; 4-byte Folded Spill
	s_nop 0
	buffer_store_dword v124, off, s[20:23], 0 offset:940 ; 4-byte Folded Spill
	global_load_dwordx4 v[13:16], v[123:124], off
	s_nop 0
	buffer_store_dword v117, off, s[20:23], 0 offset:944 ; 4-byte Folded Spill
	s_nop 0
	buffer_store_dword v118, off, s[20:23], 0 offset:948 ; 4-byte Folded Spill
	v_mov_b32_e32 v124, v8
	v_mov_b32_e32 v123, v7
	;; [unrolled: 1-line block ×4, first 2 shown]
	global_load_dwordx4 v[9:12], v[117:118], off
	global_load_dwordx4 v[5:8], v[91:92], off
	;; [unrolled: 1-line block ×3, first 2 shown]
	s_nop 0
	buffer_store_dword v89, off, s[20:23], 0 offset:976 ; 4-byte Folded Spill
	s_nop 0
	buffer_store_dword v90, off, s[20:23], 0 offset:980 ; 4-byte Folded Spill
	v_mov_b32_e32 v118, v92
	v_mov_b32_e32 v117, v91
	global_load_dwordx4 v[87:90], v[89:90], off
	s_waitcnt vmcnt(0)
	buffer_store_dword v87, off, s[20:23], 0 ; 4-byte Folded Spill
	s_nop 0
	buffer_store_dword v88, off, s[20:23], 0 offset:4 ; 4-byte Folded Spill
	buffer_store_dword v89, off, s[20:23], 0 offset:8 ; 4-byte Folded Spill
	;; [unrolled: 1-line block ×3, first 2 shown]
	v_mov_b32_e32 v92, v84
	v_mov_b32_e32 v91, v83
	;; [unrolled: 1-line block ×52, first 2 shown]
	s_and_saveexec_b64 s[6:7], s[0:1]
	s_cbranch_execz .LBB117_8
; %bb.2:
	buffer_load_dword v37, off, s[20:23], 0 offset:544 ; 4-byte Folded Reload
	buffer_load_dword v38, off, s[20:23], 0 offset:548 ; 4-byte Folded Reload
	;; [unrolled: 1-line block ×4, first 2 shown]
	s_waitcnt vmcnt(0)
	ds_write2_b64 v127, v[37:38], v[39:40] offset1:1
	buffer_load_dword v37, off, s[20:23], 0 offset:528 ; 4-byte Folded Reload
	buffer_load_dword v38, off, s[20:23], 0 offset:532 ; 4-byte Folded Reload
	buffer_load_dword v39, off, s[20:23], 0 offset:536 ; 4-byte Folded Reload
	buffer_load_dword v40, off, s[20:23], 0 offset:540 ; 4-byte Folded Reload
	s_waitcnt vmcnt(0)
	ds_write2_b64 v125, v[37:38], v[39:40] offset0:2 offset1:3
	buffer_load_dword v37, off, s[20:23], 0 offset:512 ; 4-byte Folded Reload
	buffer_load_dword v38, off, s[20:23], 0 offset:516 ; 4-byte Folded Reload
	buffer_load_dword v39, off, s[20:23], 0 offset:520 ; 4-byte Folded Reload
	buffer_load_dword v40, off, s[20:23], 0 offset:524 ; 4-byte Folded Reload
	s_waitcnt vmcnt(0)
	ds_write2_b64 v125, v[37:38], v[39:40] offset0:4 offset1:5
	;; [unrolled: 6-line block ×31, first 2 shown]
	ds_write2_b64 v125, v[93:94], v[95:96] offset0:64 offset1:65
	ds_write2_b64 v125, v[109:110], v[111:112] offset0:66 offset1:67
	;; [unrolled: 1-line block ×16, first 2 shown]
	buffer_load_dword v37, off, s[20:23], 0 offset:32 ; 4-byte Folded Reload
	buffer_load_dword v38, off, s[20:23], 0 offset:36 ; 4-byte Folded Reload
	buffer_load_dword v39, off, s[20:23], 0 offset:40 ; 4-byte Folded Reload
	buffer_load_dword v40, off, s[20:23], 0 offset:44 ; 4-byte Folded Reload
	s_waitcnt vmcnt(0)
	ds_write2_b64 v125, v[37:38], v[39:40] offset0:96 offset1:97
	buffer_load_dword v33, off, s[20:23], 0 offset:16 ; 4-byte Folded Reload
	buffer_load_dword v34, off, s[20:23], 0 offset:20 ; 4-byte Folded Reload
	;; [unrolled: 1-line block ×4, first 2 shown]
	s_waitcnt vmcnt(0)
	ds_write2_b64 v125, v[33:34], v[35:36] offset0:98 offset1:99
	ds_write2_b64 v125, v[29:30], v[31:32] offset0:100 offset1:101
	;; [unrolled: 1-line block ×9, first 2 shown]
	buffer_load_dword v37, off, s[20:23], 0 ; 4-byte Folded Reload
	buffer_load_dword v38, off, s[20:23], 0 offset:4 ; 4-byte Folded Reload
	buffer_load_dword v39, off, s[20:23], 0 offset:8 ; 4-byte Folded Reload
	;; [unrolled: 1-line block ×3, first 2 shown]
	s_waitcnt vmcnt(0)
	ds_write2_b64 v125, v[37:38], v[39:40] offset0:116 offset1:117
	ds_read2_b64 v[97:100], v127 offset1:1
	s_waitcnt lgkmcnt(0)
	v_cmp_neq_f64_e32 vcc, 0, v[97:98]
	v_cmp_neq_f64_e64 s[4:5], 0, v[99:100]
	s_or_b64 s[4:5], vcc, s[4:5]
	s_and_b64 exec, exec, s[4:5]
	s_cbranch_execz .LBB117_8
; %bb.3:
	v_cmp_ngt_f64_e64 s[4:5], |v[97:98]|, |v[99:100]|
                                        ; implicit-def: $vgpr101_vgpr102
	s_and_saveexec_b64 s[8:9], s[4:5]
	s_xor_b64 s[4:5], exec, s[8:9]
                                        ; implicit-def: $vgpr103_vgpr104
	s_cbranch_execz .LBB117_5
; %bb.4:
	v_div_scale_f64 v[101:102], s[8:9], v[99:100], v[99:100], v[97:98]
	v_rcp_f64_e32 v[103:104], v[101:102]
	v_fma_f64 v[105:106], -v[101:102], v[103:104], 1.0
	v_fma_f64 v[103:104], v[103:104], v[105:106], v[103:104]
	v_div_scale_f64 v[105:106], vcc, v[97:98], v[99:100], v[97:98]
	v_fma_f64 v[107:108], -v[101:102], v[103:104], 1.0
	v_fma_f64 v[103:104], v[103:104], v[107:108], v[103:104]
	v_mul_f64 v[107:108], v[105:106], v[103:104]
	v_fma_f64 v[101:102], -v[101:102], v[107:108], v[105:106]
	v_div_fmas_f64 v[101:102], v[101:102], v[103:104], v[107:108]
	v_div_fixup_f64 v[101:102], v[101:102], v[99:100], v[97:98]
	v_fma_f64 v[97:98], v[97:98], v[101:102], v[99:100]
	v_div_scale_f64 v[99:100], s[8:9], v[97:98], v[97:98], 1.0
	v_div_scale_f64 v[107:108], vcc, 1.0, v[97:98], 1.0
	v_rcp_f64_e32 v[103:104], v[99:100]
	v_fma_f64 v[105:106], -v[99:100], v[103:104], 1.0
	v_fma_f64 v[103:104], v[103:104], v[105:106], v[103:104]
	v_fma_f64 v[105:106], -v[99:100], v[103:104], 1.0
	v_fma_f64 v[103:104], v[103:104], v[105:106], v[103:104]
	v_mul_f64 v[105:106], v[107:108], v[103:104]
	v_fma_f64 v[99:100], -v[99:100], v[105:106], v[107:108]
	v_div_fmas_f64 v[99:100], v[99:100], v[103:104], v[105:106]
	v_div_fixup_f64 v[103:104], v[99:100], v[97:98], 1.0
                                        ; implicit-def: $vgpr97_vgpr98
	v_mul_f64 v[101:102], v[101:102], v[103:104]
	v_xor_b32_e32 v104, 0x80000000, v104
.LBB117_5:
	s_andn2_saveexec_b64 s[4:5], s[4:5]
	s_cbranch_execz .LBB117_7
; %bb.6:
	v_div_scale_f64 v[101:102], s[8:9], v[97:98], v[97:98], v[99:100]
	v_rcp_f64_e32 v[103:104], v[101:102]
	v_fma_f64 v[105:106], -v[101:102], v[103:104], 1.0
	v_fma_f64 v[103:104], v[103:104], v[105:106], v[103:104]
	v_div_scale_f64 v[105:106], vcc, v[99:100], v[97:98], v[99:100]
	v_fma_f64 v[107:108], -v[101:102], v[103:104], 1.0
	v_fma_f64 v[103:104], v[103:104], v[107:108], v[103:104]
	v_mul_f64 v[107:108], v[105:106], v[103:104]
	v_fma_f64 v[101:102], -v[101:102], v[107:108], v[105:106]
	v_div_fmas_f64 v[101:102], v[101:102], v[103:104], v[107:108]
	v_div_fixup_f64 v[103:104], v[101:102], v[97:98], v[99:100]
	v_fma_f64 v[97:98], v[99:100], v[103:104], v[97:98]
	v_div_scale_f64 v[99:100], s[8:9], v[97:98], v[97:98], 1.0
	v_div_scale_f64 v[107:108], vcc, 1.0, v[97:98], 1.0
	v_rcp_f64_e32 v[101:102], v[99:100]
	v_fma_f64 v[105:106], -v[99:100], v[101:102], 1.0
	v_fma_f64 v[101:102], v[101:102], v[105:106], v[101:102]
	v_fma_f64 v[105:106], -v[99:100], v[101:102], 1.0
	v_fma_f64 v[101:102], v[101:102], v[105:106], v[101:102]
	v_mul_f64 v[105:106], v[107:108], v[101:102]
	v_fma_f64 v[99:100], -v[99:100], v[105:106], v[107:108]
	v_div_fmas_f64 v[99:100], v[99:100], v[101:102], v[105:106]
	v_div_fixup_f64 v[101:102], v[99:100], v[97:98], 1.0
	v_mul_f64 v[103:104], v[103:104], -v[101:102]
.LBB117_7:
	s_or_b64 exec, exec, s[4:5]
	ds_write2_b64 v127, v[101:102], v[103:104] offset1:1
.LBB117_8:
	s_or_b64 exec, exec, s[6:7]
	s_waitcnt vmcnt(0) lgkmcnt(0)
	s_barrier
	ds_read2_b64 v[37:40], v127 offset1:1
	s_waitcnt lgkmcnt(0)
	buffer_store_dword v37, off, s[20:23], 0 offset:1024 ; 4-byte Folded Spill
	s_nop 0
	buffer_store_dword v38, off, s[20:23], 0 offset:1028 ; 4-byte Folded Spill
	buffer_store_dword v39, off, s[20:23], 0 offset:1032 ; 4-byte Folded Spill
	;; [unrolled: 1-line block ×3, first 2 shown]
	s_and_saveexec_b64 s[4:5], s[2:3]
	s_cbranch_execz .LBB117_10
; %bb.9:
	buffer_load_dword v103, off, s[20:23], 0 offset:544 ; 4-byte Folded Reload
	buffer_load_dword v104, off, s[20:23], 0 offset:548 ; 4-byte Folded Reload
	;; [unrolled: 1-line block ×8, first 2 shown]
	s_waitcnt vmcnt(2)
	v_mul_f64 v[99:100], v[37:38], v[105:106]
	s_waitcnt vmcnt(0)
	v_mul_f64 v[97:98], v[39:40], v[105:106]
	v_fma_f64 v[105:106], v[39:40], v[103:104], v[99:100]
	ds_read2_b64 v[99:102], v125 offset0:2 offset1:3
	v_fma_f64 v[97:98], v[37:38], v[103:104], -v[97:98]
	buffer_load_dword v37, off, s[20:23], 0 offset:528 ; 4-byte Folded Reload
	buffer_load_dword v38, off, s[20:23], 0 offset:532 ; 4-byte Folded Reload
	buffer_load_dword v39, off, s[20:23], 0 offset:536 ; 4-byte Folded Reload
	buffer_load_dword v40, off, s[20:23], 0 offset:540 ; 4-byte Folded Reload
	s_waitcnt lgkmcnt(0)
	v_mul_f64 v[103:104], v[101:102], v[105:106]
	v_fma_f64 v[103:104], v[99:100], v[97:98], -v[103:104]
	v_mul_f64 v[99:100], v[99:100], v[105:106]
	v_fma_f64 v[99:100], v[101:102], v[97:98], v[99:100]
	s_waitcnt vmcnt(2)
	v_add_f64 v[37:38], v[37:38], -v[103:104]
	s_waitcnt vmcnt(0)
	v_add_f64 v[39:40], v[39:40], -v[99:100]
	buffer_store_dword v37, off, s[20:23], 0 offset:528 ; 4-byte Folded Spill
	s_nop 0
	buffer_store_dword v38, off, s[20:23], 0 offset:532 ; 4-byte Folded Spill
	buffer_store_dword v39, off, s[20:23], 0 offset:536 ; 4-byte Folded Spill
	buffer_store_dword v40, off, s[20:23], 0 offset:540 ; 4-byte Folded Spill
	ds_read2_b64 v[99:102], v125 offset0:4 offset1:5
	buffer_load_dword v37, off, s[20:23], 0 offset:512 ; 4-byte Folded Reload
	buffer_load_dword v38, off, s[20:23], 0 offset:516 ; 4-byte Folded Reload
	buffer_load_dword v39, off, s[20:23], 0 offset:520 ; 4-byte Folded Reload
	buffer_load_dword v40, off, s[20:23], 0 offset:524 ; 4-byte Folded Reload
	s_waitcnt lgkmcnt(0)
	v_mul_f64 v[103:104], v[101:102], v[105:106]
	v_fma_f64 v[103:104], v[99:100], v[97:98], -v[103:104]
	v_mul_f64 v[99:100], v[99:100], v[105:106]
	v_fma_f64 v[99:100], v[101:102], v[97:98], v[99:100]
	s_waitcnt vmcnt(2)
	v_add_f64 v[37:38], v[37:38], -v[103:104]
	s_waitcnt vmcnt(0)
	v_add_f64 v[39:40], v[39:40], -v[99:100]
	buffer_store_dword v37, off, s[20:23], 0 offset:512 ; 4-byte Folded Spill
	s_nop 0
	buffer_store_dword v38, off, s[20:23], 0 offset:516 ; 4-byte Folded Spill
	buffer_store_dword v39, off, s[20:23], 0 offset:520 ; 4-byte Folded Spill
	buffer_store_dword v40, off, s[20:23], 0 offset:524 ; 4-byte Folded Spill
	ds_read2_b64 v[99:102], v125 offset0:6 offset1:7
	;; [unrolled: 19-line block ×31, first 2 shown]
	s_waitcnt lgkmcnt(0)
	v_mul_f64 v[103:104], v[101:102], v[105:106]
	v_fma_f64 v[103:104], v[99:100], v[97:98], -v[103:104]
	v_mul_f64 v[99:100], v[99:100], v[105:106]
	v_add_f64 v[93:94], v[93:94], -v[103:104]
	v_fma_f64 v[99:100], v[101:102], v[97:98], v[99:100]
	v_add_f64 v[95:96], v[95:96], -v[99:100]
	ds_read2_b64 v[99:102], v125 offset0:66 offset1:67
	s_waitcnt lgkmcnt(0)
	v_mul_f64 v[103:104], v[101:102], v[105:106]
	v_fma_f64 v[103:104], v[99:100], v[97:98], -v[103:104]
	v_mul_f64 v[99:100], v[99:100], v[105:106]
	v_add_f64 v[109:110], v[109:110], -v[103:104]
	v_fma_f64 v[99:100], v[101:102], v[97:98], v[99:100]
	v_add_f64 v[111:112], v[111:112], -v[99:100]
	ds_read2_b64 v[99:102], v125 offset0:68 offset1:69
	;; [unrolled: 8-line block ×16, first 2 shown]
	buffer_load_dword v37, off, s[20:23], 0 offset:32 ; 4-byte Folded Reload
	buffer_load_dword v38, off, s[20:23], 0 offset:36 ; 4-byte Folded Reload
	buffer_load_dword v39, off, s[20:23], 0 offset:40 ; 4-byte Folded Reload
	buffer_load_dword v40, off, s[20:23], 0 offset:44 ; 4-byte Folded Reload
	s_waitcnt lgkmcnt(0)
	v_mul_f64 v[103:104], v[101:102], v[105:106]
	v_fma_f64 v[103:104], v[99:100], v[97:98], -v[103:104]
	v_mul_f64 v[99:100], v[99:100], v[105:106]
	v_fma_f64 v[99:100], v[101:102], v[97:98], v[99:100]
	s_waitcnt vmcnt(2)
	v_add_f64 v[37:38], v[37:38], -v[103:104]
	s_waitcnt vmcnt(0)
	v_add_f64 v[39:40], v[39:40], -v[99:100]
	buffer_store_dword v37, off, s[20:23], 0 offset:32 ; 4-byte Folded Spill
	s_nop 0
	buffer_store_dword v38, off, s[20:23], 0 offset:36 ; 4-byte Folded Spill
	buffer_store_dword v39, off, s[20:23], 0 offset:40 ; 4-byte Folded Spill
	;; [unrolled: 1-line block ×3, first 2 shown]
	ds_read2_b64 v[99:102], v125 offset0:98 offset1:99
	buffer_load_dword v33, off, s[20:23], 0 offset:16 ; 4-byte Folded Reload
	buffer_load_dword v34, off, s[20:23], 0 offset:20 ; 4-byte Folded Reload
	;; [unrolled: 1-line block ×4, first 2 shown]
	s_waitcnt lgkmcnt(0)
	v_mul_f64 v[103:104], v[101:102], v[105:106]
	v_fma_f64 v[103:104], v[99:100], v[97:98], -v[103:104]
	v_mul_f64 v[99:100], v[99:100], v[105:106]
	v_fma_f64 v[99:100], v[101:102], v[97:98], v[99:100]
	s_waitcnt vmcnt(2)
	v_add_f64 v[33:34], v[33:34], -v[103:104]
	s_waitcnt vmcnt(0)
	v_add_f64 v[35:36], v[35:36], -v[99:100]
	buffer_store_dword v33, off, s[20:23], 0 offset:16 ; 4-byte Folded Spill
	s_nop 0
	buffer_store_dword v34, off, s[20:23], 0 offset:20 ; 4-byte Folded Spill
	buffer_store_dword v35, off, s[20:23], 0 offset:24 ; 4-byte Folded Spill
	;; [unrolled: 1-line block ×3, first 2 shown]
	ds_read2_b64 v[99:102], v125 offset0:100 offset1:101
	s_waitcnt lgkmcnt(0)
	v_mul_f64 v[103:104], v[101:102], v[105:106]
	v_fma_f64 v[103:104], v[99:100], v[97:98], -v[103:104]
	v_mul_f64 v[99:100], v[99:100], v[105:106]
	v_add_f64 v[29:30], v[29:30], -v[103:104]
	v_fma_f64 v[99:100], v[101:102], v[97:98], v[99:100]
	v_add_f64 v[31:32], v[31:32], -v[99:100]
	ds_read2_b64 v[99:102], v125 offset0:102 offset1:103
	s_waitcnt lgkmcnt(0)
	v_mul_f64 v[103:104], v[101:102], v[105:106]
	v_fma_f64 v[103:104], v[99:100], v[97:98], -v[103:104]
	v_mul_f64 v[99:100], v[99:100], v[105:106]
	v_add_f64 v[25:26], v[25:26], -v[103:104]
	v_fma_f64 v[99:100], v[101:102], v[97:98], v[99:100]
	v_add_f64 v[27:28], v[27:28], -v[99:100]
	;; [unrolled: 8-line block ×7, first 2 shown]
	ds_read2_b64 v[99:102], v125 offset0:114 offset1:115
	s_waitcnt lgkmcnt(0)
	v_mul_f64 v[103:104], v[101:102], v[105:106]
	v_fma_f64 v[103:104], v[99:100], v[97:98], -v[103:104]
	v_mul_f64 v[99:100], v[99:100], v[105:106]
	v_add_f64 v[1:2], v[1:2], -v[103:104]
	v_fma_f64 v[99:100], v[101:102], v[97:98], v[99:100]
	ds_read2_b64 v[101:104], v125 offset0:116 offset1:117
	buffer_load_dword v37, off, s[20:23], 0 ; 4-byte Folded Reload
	buffer_load_dword v38, off, s[20:23], 0 offset:4 ; 4-byte Folded Reload
	buffer_load_dword v39, off, s[20:23], 0 offset:8 ; 4-byte Folded Reload
	;; [unrolled: 1-line block ×3, first 2 shown]
	v_add_f64 v[3:4], v[3:4], -v[99:100]
	s_waitcnt lgkmcnt(0)
	v_mul_f64 v[99:100], v[103:104], v[105:106]
	v_fma_f64 v[99:100], v[101:102], v[97:98], -v[99:100]
	v_mul_f64 v[101:102], v[101:102], v[105:106]
	v_fma_f64 v[101:102], v[103:104], v[97:98], v[101:102]
	v_mov_b32_e32 v104, v98
	v_mov_b32_e32 v103, v97
	s_waitcnt vmcnt(2)
	v_add_f64 v[37:38], v[37:38], -v[99:100]
	s_waitcnt vmcnt(0)
	v_add_f64 v[39:40], v[39:40], -v[101:102]
	buffer_store_dword v37, off, s[20:23], 0 ; 4-byte Folded Spill
	s_nop 0
	buffer_store_dword v38, off, s[20:23], 0 offset:4 ; 4-byte Folded Spill
	buffer_store_dword v39, off, s[20:23], 0 offset:8 ; 4-byte Folded Spill
	;; [unrolled: 1-line block ×4, first 2 shown]
	s_nop 0
	buffer_store_dword v104, off, s[20:23], 0 offset:548 ; 4-byte Folded Spill
	buffer_store_dword v105, off, s[20:23], 0 offset:552 ; 4-byte Folded Spill
	;; [unrolled: 1-line block ×3, first 2 shown]
.LBB117_10:
	s_or_b64 exec, exec, s[4:5]
	v_cmp_eq_u32_e32 vcc, 1, v0
	s_waitcnt vmcnt(0)
	s_barrier
	s_and_saveexec_b64 s[4:5], vcc
	s_cbranch_execz .LBB117_17
; %bb.11:
	buffer_load_dword v37, off, s[20:23], 0 offset:528 ; 4-byte Folded Reload
	buffer_load_dword v38, off, s[20:23], 0 offset:532 ; 4-byte Folded Reload
	buffer_load_dword v39, off, s[20:23], 0 offset:536 ; 4-byte Folded Reload
	buffer_load_dword v40, off, s[20:23], 0 offset:540 ; 4-byte Folded Reload
	s_waitcnt vmcnt(0)
	ds_write2_b64 v127, v[37:38], v[39:40] offset1:1
	buffer_load_dword v37, off, s[20:23], 0 offset:512 ; 4-byte Folded Reload
	buffer_load_dword v38, off, s[20:23], 0 offset:516 ; 4-byte Folded Reload
	buffer_load_dword v39, off, s[20:23], 0 offset:520 ; 4-byte Folded Reload
	buffer_load_dword v40, off, s[20:23], 0 offset:524 ; 4-byte Folded Reload
	s_waitcnt vmcnt(0)
	ds_write2_b64 v125, v[37:38], v[39:40] offset0:4 offset1:5
	buffer_load_dword v37, off, s[20:23], 0 offset:496 ; 4-byte Folded Reload
	buffer_load_dword v38, off, s[20:23], 0 offset:500 ; 4-byte Folded Reload
	buffer_load_dword v39, off, s[20:23], 0 offset:504 ; 4-byte Folded Reload
	buffer_load_dword v40, off, s[20:23], 0 offset:508 ; 4-byte Folded Reload
	s_waitcnt vmcnt(0)
	ds_write2_b64 v125, v[37:38], v[39:40] offset0:6 offset1:7
	;; [unrolled: 6-line block ×30, first 2 shown]
	ds_write2_b64 v125, v[93:94], v[95:96] offset0:64 offset1:65
	ds_write2_b64 v125, v[109:110], v[111:112] offset0:66 offset1:67
	;; [unrolled: 1-line block ×16, first 2 shown]
	buffer_load_dword v37, off, s[20:23], 0 offset:32 ; 4-byte Folded Reload
	buffer_load_dword v38, off, s[20:23], 0 offset:36 ; 4-byte Folded Reload
	;; [unrolled: 1-line block ×4, first 2 shown]
	s_waitcnt vmcnt(0)
	ds_write2_b64 v125, v[37:38], v[39:40] offset0:96 offset1:97
	buffer_load_dword v33, off, s[20:23], 0 offset:16 ; 4-byte Folded Reload
	buffer_load_dword v34, off, s[20:23], 0 offset:20 ; 4-byte Folded Reload
	;; [unrolled: 1-line block ×4, first 2 shown]
	s_waitcnt vmcnt(0)
	ds_write2_b64 v125, v[33:34], v[35:36] offset0:98 offset1:99
	ds_write2_b64 v125, v[29:30], v[31:32] offset0:100 offset1:101
	;; [unrolled: 1-line block ×9, first 2 shown]
	buffer_load_dword v37, off, s[20:23], 0 ; 4-byte Folded Reload
	buffer_load_dword v38, off, s[20:23], 0 offset:4 ; 4-byte Folded Reload
	buffer_load_dword v39, off, s[20:23], 0 offset:8 ; 4-byte Folded Reload
	;; [unrolled: 1-line block ×3, first 2 shown]
	s_waitcnt vmcnt(0)
	ds_write2_b64 v125, v[37:38], v[39:40] offset0:116 offset1:117
	ds_read2_b64 v[97:100], v127 offset1:1
	s_waitcnt lgkmcnt(0)
	v_cmp_neq_f64_e32 vcc, 0, v[97:98]
	v_cmp_neq_f64_e64 s[2:3], 0, v[99:100]
	s_or_b64 s[2:3], vcc, s[2:3]
	s_and_b64 exec, exec, s[2:3]
	s_cbranch_execz .LBB117_17
; %bb.12:
	v_cmp_ngt_f64_e64 s[2:3], |v[97:98]|, |v[99:100]|
                                        ; implicit-def: $vgpr101_vgpr102
	s_and_saveexec_b64 s[6:7], s[2:3]
	s_xor_b64 s[2:3], exec, s[6:7]
                                        ; implicit-def: $vgpr103_vgpr104
	s_cbranch_execz .LBB117_14
; %bb.13:
	v_div_scale_f64 v[101:102], s[6:7], v[99:100], v[99:100], v[97:98]
	v_rcp_f64_e32 v[103:104], v[101:102]
	v_fma_f64 v[105:106], -v[101:102], v[103:104], 1.0
	v_fma_f64 v[103:104], v[103:104], v[105:106], v[103:104]
	v_div_scale_f64 v[105:106], vcc, v[97:98], v[99:100], v[97:98]
	v_fma_f64 v[107:108], -v[101:102], v[103:104], 1.0
	v_fma_f64 v[103:104], v[103:104], v[107:108], v[103:104]
	v_mul_f64 v[107:108], v[105:106], v[103:104]
	v_fma_f64 v[101:102], -v[101:102], v[107:108], v[105:106]
	v_div_fmas_f64 v[101:102], v[101:102], v[103:104], v[107:108]
	v_div_fixup_f64 v[101:102], v[101:102], v[99:100], v[97:98]
	v_fma_f64 v[97:98], v[97:98], v[101:102], v[99:100]
	v_div_scale_f64 v[99:100], s[6:7], v[97:98], v[97:98], 1.0
	v_div_scale_f64 v[107:108], vcc, 1.0, v[97:98], 1.0
	v_rcp_f64_e32 v[103:104], v[99:100]
	v_fma_f64 v[105:106], -v[99:100], v[103:104], 1.0
	v_fma_f64 v[103:104], v[103:104], v[105:106], v[103:104]
	v_fma_f64 v[105:106], -v[99:100], v[103:104], 1.0
	v_fma_f64 v[103:104], v[103:104], v[105:106], v[103:104]
	v_mul_f64 v[105:106], v[107:108], v[103:104]
	v_fma_f64 v[99:100], -v[99:100], v[105:106], v[107:108]
	v_div_fmas_f64 v[99:100], v[99:100], v[103:104], v[105:106]
	v_div_fixup_f64 v[103:104], v[99:100], v[97:98], 1.0
                                        ; implicit-def: $vgpr97_vgpr98
	v_mul_f64 v[101:102], v[101:102], v[103:104]
	v_xor_b32_e32 v104, 0x80000000, v104
.LBB117_14:
	s_andn2_saveexec_b64 s[2:3], s[2:3]
	s_cbranch_execz .LBB117_16
; %bb.15:
	v_div_scale_f64 v[101:102], s[6:7], v[97:98], v[97:98], v[99:100]
	v_rcp_f64_e32 v[103:104], v[101:102]
	v_fma_f64 v[105:106], -v[101:102], v[103:104], 1.0
	v_fma_f64 v[103:104], v[103:104], v[105:106], v[103:104]
	v_div_scale_f64 v[105:106], vcc, v[99:100], v[97:98], v[99:100]
	v_fma_f64 v[107:108], -v[101:102], v[103:104], 1.0
	v_fma_f64 v[103:104], v[103:104], v[107:108], v[103:104]
	v_mul_f64 v[107:108], v[105:106], v[103:104]
	v_fma_f64 v[101:102], -v[101:102], v[107:108], v[105:106]
	v_div_fmas_f64 v[101:102], v[101:102], v[103:104], v[107:108]
	v_div_fixup_f64 v[103:104], v[101:102], v[97:98], v[99:100]
	v_fma_f64 v[97:98], v[99:100], v[103:104], v[97:98]
	v_div_scale_f64 v[99:100], s[6:7], v[97:98], v[97:98], 1.0
	v_div_scale_f64 v[107:108], vcc, 1.0, v[97:98], 1.0
	v_rcp_f64_e32 v[101:102], v[99:100]
	v_fma_f64 v[105:106], -v[99:100], v[101:102], 1.0
	v_fma_f64 v[101:102], v[101:102], v[105:106], v[101:102]
	v_fma_f64 v[105:106], -v[99:100], v[101:102], 1.0
	v_fma_f64 v[101:102], v[101:102], v[105:106], v[101:102]
	v_mul_f64 v[105:106], v[107:108], v[101:102]
	v_fma_f64 v[99:100], -v[99:100], v[105:106], v[107:108]
	v_div_fmas_f64 v[99:100], v[99:100], v[101:102], v[105:106]
	v_div_fixup_f64 v[101:102], v[99:100], v[97:98], 1.0
	v_mul_f64 v[103:104], v[103:104], -v[101:102]
.LBB117_16:
	s_or_b64 exec, exec, s[2:3]
	ds_write2_b64 v127, v[101:102], v[103:104] offset1:1
.LBB117_17:
	s_or_b64 exec, exec, s[4:5]
	s_waitcnt lgkmcnt(0)
	s_barrier
	ds_read2_b64 v[37:40], v127 offset1:1
	v_cmp_lt_u32_e32 vcc, 1, v0
	s_waitcnt lgkmcnt(0)
	buffer_store_dword v37, off, s[20:23], 0 offset:1040 ; 4-byte Folded Spill
	s_nop 0
	buffer_store_dword v38, off, s[20:23], 0 offset:1044 ; 4-byte Folded Spill
	buffer_store_dword v39, off, s[20:23], 0 offset:1048 ; 4-byte Folded Spill
	;; [unrolled: 1-line block ×3, first 2 shown]
	s_and_saveexec_b64 s[2:3], vcc
	s_cbranch_execz .LBB117_19
; %bb.18:
	buffer_load_dword v103, off, s[20:23], 0 offset:528 ; 4-byte Folded Reload
	buffer_load_dword v104, off, s[20:23], 0 offset:532 ; 4-byte Folded Reload
	;; [unrolled: 1-line block ×8, first 2 shown]
	s_waitcnt vmcnt(2)
	v_mul_f64 v[99:100], v[37:38], v[105:106]
	s_waitcnt vmcnt(0)
	v_mul_f64 v[97:98], v[39:40], v[105:106]
	v_fma_f64 v[105:106], v[39:40], v[103:104], v[99:100]
	ds_read2_b64 v[99:102], v125 offset0:4 offset1:5
	v_fma_f64 v[97:98], v[37:38], v[103:104], -v[97:98]
	buffer_load_dword v37, off, s[20:23], 0 offset:512 ; 4-byte Folded Reload
	buffer_load_dword v38, off, s[20:23], 0 offset:516 ; 4-byte Folded Reload
	buffer_load_dword v39, off, s[20:23], 0 offset:520 ; 4-byte Folded Reload
	buffer_load_dword v40, off, s[20:23], 0 offset:524 ; 4-byte Folded Reload
	s_waitcnt lgkmcnt(0)
	v_mul_f64 v[103:104], v[101:102], v[105:106]
	v_fma_f64 v[103:104], v[99:100], v[97:98], -v[103:104]
	v_mul_f64 v[99:100], v[99:100], v[105:106]
	v_fma_f64 v[99:100], v[101:102], v[97:98], v[99:100]
	s_waitcnt vmcnt(2)
	v_add_f64 v[37:38], v[37:38], -v[103:104]
	s_waitcnt vmcnt(0)
	v_add_f64 v[39:40], v[39:40], -v[99:100]
	buffer_store_dword v37, off, s[20:23], 0 offset:512 ; 4-byte Folded Spill
	s_nop 0
	buffer_store_dword v38, off, s[20:23], 0 offset:516 ; 4-byte Folded Spill
	buffer_store_dword v39, off, s[20:23], 0 offset:520 ; 4-byte Folded Spill
	buffer_store_dword v40, off, s[20:23], 0 offset:524 ; 4-byte Folded Spill
	ds_read2_b64 v[99:102], v125 offset0:6 offset1:7
	buffer_load_dword v37, off, s[20:23], 0 offset:496 ; 4-byte Folded Reload
	buffer_load_dword v38, off, s[20:23], 0 offset:500 ; 4-byte Folded Reload
	buffer_load_dword v39, off, s[20:23], 0 offset:504 ; 4-byte Folded Reload
	buffer_load_dword v40, off, s[20:23], 0 offset:508 ; 4-byte Folded Reload
	s_waitcnt lgkmcnt(0)
	v_mul_f64 v[103:104], v[101:102], v[105:106]
	v_fma_f64 v[103:104], v[99:100], v[97:98], -v[103:104]
	v_mul_f64 v[99:100], v[99:100], v[105:106]
	v_fma_f64 v[99:100], v[101:102], v[97:98], v[99:100]
	s_waitcnt vmcnt(2)
	v_add_f64 v[37:38], v[37:38], -v[103:104]
	s_waitcnt vmcnt(0)
	v_add_f64 v[39:40], v[39:40], -v[99:100]
	buffer_store_dword v37, off, s[20:23], 0 offset:496 ; 4-byte Folded Spill
	s_nop 0
	buffer_store_dword v38, off, s[20:23], 0 offset:500 ; 4-byte Folded Spill
	buffer_store_dword v39, off, s[20:23], 0 offset:504 ; 4-byte Folded Spill
	buffer_store_dword v40, off, s[20:23], 0 offset:508 ; 4-byte Folded Spill
	ds_read2_b64 v[99:102], v125 offset0:8 offset1:9
	;; [unrolled: 19-line block ×30, first 2 shown]
	s_waitcnt lgkmcnt(0)
	v_mul_f64 v[103:104], v[101:102], v[105:106]
	v_fma_f64 v[103:104], v[99:100], v[97:98], -v[103:104]
	v_mul_f64 v[99:100], v[99:100], v[105:106]
	v_add_f64 v[93:94], v[93:94], -v[103:104]
	v_fma_f64 v[99:100], v[101:102], v[97:98], v[99:100]
	v_add_f64 v[95:96], v[95:96], -v[99:100]
	ds_read2_b64 v[99:102], v125 offset0:66 offset1:67
	s_waitcnt lgkmcnt(0)
	v_mul_f64 v[103:104], v[101:102], v[105:106]
	v_fma_f64 v[103:104], v[99:100], v[97:98], -v[103:104]
	v_mul_f64 v[99:100], v[99:100], v[105:106]
	v_add_f64 v[109:110], v[109:110], -v[103:104]
	v_fma_f64 v[99:100], v[101:102], v[97:98], v[99:100]
	v_add_f64 v[111:112], v[111:112], -v[99:100]
	ds_read2_b64 v[99:102], v125 offset0:68 offset1:69
	;; [unrolled: 8-line block ×16, first 2 shown]
	buffer_load_dword v37, off, s[20:23], 0 offset:32 ; 4-byte Folded Reload
	buffer_load_dword v38, off, s[20:23], 0 offset:36 ; 4-byte Folded Reload
	;; [unrolled: 1-line block ×4, first 2 shown]
	s_waitcnt lgkmcnt(0)
	v_mul_f64 v[103:104], v[101:102], v[105:106]
	v_fma_f64 v[103:104], v[99:100], v[97:98], -v[103:104]
	v_mul_f64 v[99:100], v[99:100], v[105:106]
	v_fma_f64 v[99:100], v[101:102], v[97:98], v[99:100]
	s_waitcnt vmcnt(2)
	v_add_f64 v[37:38], v[37:38], -v[103:104]
	s_waitcnt vmcnt(0)
	v_add_f64 v[39:40], v[39:40], -v[99:100]
	buffer_store_dword v37, off, s[20:23], 0 offset:32 ; 4-byte Folded Spill
	s_nop 0
	buffer_store_dword v38, off, s[20:23], 0 offset:36 ; 4-byte Folded Spill
	buffer_store_dword v39, off, s[20:23], 0 offset:40 ; 4-byte Folded Spill
	buffer_store_dword v40, off, s[20:23], 0 offset:44 ; 4-byte Folded Spill
	ds_read2_b64 v[99:102], v125 offset0:98 offset1:99
	buffer_load_dword v33, off, s[20:23], 0 offset:16 ; 4-byte Folded Reload
	buffer_load_dword v34, off, s[20:23], 0 offset:20 ; 4-byte Folded Reload
	;; [unrolled: 1-line block ×4, first 2 shown]
	s_waitcnt lgkmcnt(0)
	v_mul_f64 v[103:104], v[101:102], v[105:106]
	v_fma_f64 v[103:104], v[99:100], v[97:98], -v[103:104]
	v_mul_f64 v[99:100], v[99:100], v[105:106]
	v_fma_f64 v[99:100], v[101:102], v[97:98], v[99:100]
	s_waitcnt vmcnt(2)
	v_add_f64 v[33:34], v[33:34], -v[103:104]
	s_waitcnt vmcnt(0)
	v_add_f64 v[35:36], v[35:36], -v[99:100]
	buffer_store_dword v33, off, s[20:23], 0 offset:16 ; 4-byte Folded Spill
	s_nop 0
	buffer_store_dword v34, off, s[20:23], 0 offset:20 ; 4-byte Folded Spill
	buffer_store_dword v35, off, s[20:23], 0 offset:24 ; 4-byte Folded Spill
	;; [unrolled: 1-line block ×3, first 2 shown]
	ds_read2_b64 v[99:102], v125 offset0:100 offset1:101
	s_waitcnt lgkmcnt(0)
	v_mul_f64 v[103:104], v[101:102], v[105:106]
	v_fma_f64 v[103:104], v[99:100], v[97:98], -v[103:104]
	v_mul_f64 v[99:100], v[99:100], v[105:106]
	v_add_f64 v[29:30], v[29:30], -v[103:104]
	v_fma_f64 v[99:100], v[101:102], v[97:98], v[99:100]
	v_add_f64 v[31:32], v[31:32], -v[99:100]
	ds_read2_b64 v[99:102], v125 offset0:102 offset1:103
	s_waitcnt lgkmcnt(0)
	v_mul_f64 v[103:104], v[101:102], v[105:106]
	v_fma_f64 v[103:104], v[99:100], v[97:98], -v[103:104]
	v_mul_f64 v[99:100], v[99:100], v[105:106]
	v_add_f64 v[25:26], v[25:26], -v[103:104]
	v_fma_f64 v[99:100], v[101:102], v[97:98], v[99:100]
	v_add_f64 v[27:28], v[27:28], -v[99:100]
	;; [unrolled: 8-line block ×7, first 2 shown]
	ds_read2_b64 v[99:102], v125 offset0:114 offset1:115
	s_waitcnt lgkmcnt(0)
	v_mul_f64 v[103:104], v[101:102], v[105:106]
	v_fma_f64 v[103:104], v[99:100], v[97:98], -v[103:104]
	v_mul_f64 v[99:100], v[99:100], v[105:106]
	v_add_f64 v[1:2], v[1:2], -v[103:104]
	v_fma_f64 v[99:100], v[101:102], v[97:98], v[99:100]
	ds_read2_b64 v[101:104], v125 offset0:116 offset1:117
	buffer_load_dword v37, off, s[20:23], 0 ; 4-byte Folded Reload
	buffer_load_dword v38, off, s[20:23], 0 offset:4 ; 4-byte Folded Reload
	buffer_load_dword v39, off, s[20:23], 0 offset:8 ; 4-byte Folded Reload
	;; [unrolled: 1-line block ×3, first 2 shown]
	v_add_f64 v[3:4], v[3:4], -v[99:100]
	s_waitcnt lgkmcnt(0)
	v_mul_f64 v[99:100], v[103:104], v[105:106]
	v_fma_f64 v[99:100], v[101:102], v[97:98], -v[99:100]
	v_mul_f64 v[101:102], v[101:102], v[105:106]
	v_fma_f64 v[101:102], v[103:104], v[97:98], v[101:102]
	v_mov_b32_e32 v104, v98
	v_mov_b32_e32 v103, v97
	s_waitcnt vmcnt(2)
	v_add_f64 v[37:38], v[37:38], -v[99:100]
	s_waitcnt vmcnt(0)
	v_add_f64 v[39:40], v[39:40], -v[101:102]
	buffer_store_dword v37, off, s[20:23], 0 ; 4-byte Folded Spill
	s_nop 0
	buffer_store_dword v38, off, s[20:23], 0 offset:4 ; 4-byte Folded Spill
	buffer_store_dword v39, off, s[20:23], 0 offset:8 ; 4-byte Folded Spill
	;; [unrolled: 1-line block ×4, first 2 shown]
	s_nop 0
	buffer_store_dword v104, off, s[20:23], 0 offset:532 ; 4-byte Folded Spill
	buffer_store_dword v105, off, s[20:23], 0 offset:536 ; 4-byte Folded Spill
	buffer_store_dword v106, off, s[20:23], 0 offset:540 ; 4-byte Folded Spill
.LBB117_19:
	s_or_b64 exec, exec, s[2:3]
	v_cmp_eq_u32_e32 vcc, 2, v0
	s_waitcnt vmcnt(0)
	s_barrier
	s_and_saveexec_b64 s[4:5], vcc
	s_cbranch_execz .LBB117_26
; %bb.20:
	buffer_load_dword v37, off, s[20:23], 0 offset:512 ; 4-byte Folded Reload
	buffer_load_dword v38, off, s[20:23], 0 offset:516 ; 4-byte Folded Reload
	;; [unrolled: 1-line block ×4, first 2 shown]
	s_waitcnt vmcnt(0)
	ds_write2_b64 v127, v[37:38], v[39:40] offset1:1
	buffer_load_dword v37, off, s[20:23], 0 offset:496 ; 4-byte Folded Reload
	buffer_load_dword v38, off, s[20:23], 0 offset:500 ; 4-byte Folded Reload
	buffer_load_dword v39, off, s[20:23], 0 offset:504 ; 4-byte Folded Reload
	buffer_load_dword v40, off, s[20:23], 0 offset:508 ; 4-byte Folded Reload
	s_waitcnt vmcnt(0)
	ds_write2_b64 v125, v[37:38], v[39:40] offset0:6 offset1:7
	buffer_load_dword v37, off, s[20:23], 0 offset:480 ; 4-byte Folded Reload
	buffer_load_dword v38, off, s[20:23], 0 offset:484 ; 4-byte Folded Reload
	buffer_load_dword v39, off, s[20:23], 0 offset:488 ; 4-byte Folded Reload
	buffer_load_dword v40, off, s[20:23], 0 offset:492 ; 4-byte Folded Reload
	s_waitcnt vmcnt(0)
	ds_write2_b64 v125, v[37:38], v[39:40] offset0:8 offset1:9
	;; [unrolled: 6-line block ×29, first 2 shown]
	ds_write2_b64 v125, v[93:94], v[95:96] offset0:64 offset1:65
	ds_write2_b64 v125, v[109:110], v[111:112] offset0:66 offset1:67
	;; [unrolled: 1-line block ×16, first 2 shown]
	buffer_load_dword v37, off, s[20:23], 0 offset:32 ; 4-byte Folded Reload
	buffer_load_dword v38, off, s[20:23], 0 offset:36 ; 4-byte Folded Reload
	;; [unrolled: 1-line block ×4, first 2 shown]
	s_waitcnt vmcnt(0)
	ds_write2_b64 v125, v[37:38], v[39:40] offset0:96 offset1:97
	buffer_load_dword v33, off, s[20:23], 0 offset:16 ; 4-byte Folded Reload
	buffer_load_dword v34, off, s[20:23], 0 offset:20 ; 4-byte Folded Reload
	;; [unrolled: 1-line block ×4, first 2 shown]
	s_waitcnt vmcnt(0)
	ds_write2_b64 v125, v[33:34], v[35:36] offset0:98 offset1:99
	ds_write2_b64 v125, v[29:30], v[31:32] offset0:100 offset1:101
	;; [unrolled: 1-line block ×9, first 2 shown]
	buffer_load_dword v37, off, s[20:23], 0 ; 4-byte Folded Reload
	buffer_load_dword v38, off, s[20:23], 0 offset:4 ; 4-byte Folded Reload
	buffer_load_dword v39, off, s[20:23], 0 offset:8 ; 4-byte Folded Reload
	;; [unrolled: 1-line block ×3, first 2 shown]
	s_waitcnt vmcnt(0)
	ds_write2_b64 v125, v[37:38], v[39:40] offset0:116 offset1:117
	ds_read2_b64 v[97:100], v127 offset1:1
	s_waitcnt lgkmcnt(0)
	v_cmp_neq_f64_e32 vcc, 0, v[97:98]
	v_cmp_neq_f64_e64 s[2:3], 0, v[99:100]
	s_or_b64 s[2:3], vcc, s[2:3]
	s_and_b64 exec, exec, s[2:3]
	s_cbranch_execz .LBB117_26
; %bb.21:
	v_cmp_ngt_f64_e64 s[2:3], |v[97:98]|, |v[99:100]|
                                        ; implicit-def: $vgpr101_vgpr102
	s_and_saveexec_b64 s[6:7], s[2:3]
	s_xor_b64 s[2:3], exec, s[6:7]
                                        ; implicit-def: $vgpr103_vgpr104
	s_cbranch_execz .LBB117_23
; %bb.22:
	v_div_scale_f64 v[101:102], s[6:7], v[99:100], v[99:100], v[97:98]
	v_rcp_f64_e32 v[103:104], v[101:102]
	v_fma_f64 v[105:106], -v[101:102], v[103:104], 1.0
	v_fma_f64 v[103:104], v[103:104], v[105:106], v[103:104]
	v_div_scale_f64 v[105:106], vcc, v[97:98], v[99:100], v[97:98]
	v_fma_f64 v[107:108], -v[101:102], v[103:104], 1.0
	v_fma_f64 v[103:104], v[103:104], v[107:108], v[103:104]
	v_mul_f64 v[107:108], v[105:106], v[103:104]
	v_fma_f64 v[101:102], -v[101:102], v[107:108], v[105:106]
	v_div_fmas_f64 v[101:102], v[101:102], v[103:104], v[107:108]
	v_div_fixup_f64 v[101:102], v[101:102], v[99:100], v[97:98]
	v_fma_f64 v[97:98], v[97:98], v[101:102], v[99:100]
	v_div_scale_f64 v[99:100], s[6:7], v[97:98], v[97:98], 1.0
	v_div_scale_f64 v[107:108], vcc, 1.0, v[97:98], 1.0
	v_rcp_f64_e32 v[103:104], v[99:100]
	v_fma_f64 v[105:106], -v[99:100], v[103:104], 1.0
	v_fma_f64 v[103:104], v[103:104], v[105:106], v[103:104]
	v_fma_f64 v[105:106], -v[99:100], v[103:104], 1.0
	v_fma_f64 v[103:104], v[103:104], v[105:106], v[103:104]
	v_mul_f64 v[105:106], v[107:108], v[103:104]
	v_fma_f64 v[99:100], -v[99:100], v[105:106], v[107:108]
	v_div_fmas_f64 v[99:100], v[99:100], v[103:104], v[105:106]
	v_div_fixup_f64 v[103:104], v[99:100], v[97:98], 1.0
                                        ; implicit-def: $vgpr97_vgpr98
	v_mul_f64 v[101:102], v[101:102], v[103:104]
	v_xor_b32_e32 v104, 0x80000000, v104
.LBB117_23:
	s_andn2_saveexec_b64 s[2:3], s[2:3]
	s_cbranch_execz .LBB117_25
; %bb.24:
	v_div_scale_f64 v[101:102], s[6:7], v[97:98], v[97:98], v[99:100]
	v_rcp_f64_e32 v[103:104], v[101:102]
	v_fma_f64 v[105:106], -v[101:102], v[103:104], 1.0
	v_fma_f64 v[103:104], v[103:104], v[105:106], v[103:104]
	v_div_scale_f64 v[105:106], vcc, v[99:100], v[97:98], v[99:100]
	v_fma_f64 v[107:108], -v[101:102], v[103:104], 1.0
	v_fma_f64 v[103:104], v[103:104], v[107:108], v[103:104]
	v_mul_f64 v[107:108], v[105:106], v[103:104]
	v_fma_f64 v[101:102], -v[101:102], v[107:108], v[105:106]
	v_div_fmas_f64 v[101:102], v[101:102], v[103:104], v[107:108]
	v_div_fixup_f64 v[103:104], v[101:102], v[97:98], v[99:100]
	v_fma_f64 v[97:98], v[99:100], v[103:104], v[97:98]
	v_div_scale_f64 v[99:100], s[6:7], v[97:98], v[97:98], 1.0
	v_div_scale_f64 v[107:108], vcc, 1.0, v[97:98], 1.0
	v_rcp_f64_e32 v[101:102], v[99:100]
	v_fma_f64 v[105:106], -v[99:100], v[101:102], 1.0
	v_fma_f64 v[101:102], v[101:102], v[105:106], v[101:102]
	v_fma_f64 v[105:106], -v[99:100], v[101:102], 1.0
	v_fma_f64 v[101:102], v[101:102], v[105:106], v[101:102]
	v_mul_f64 v[105:106], v[107:108], v[101:102]
	v_fma_f64 v[99:100], -v[99:100], v[105:106], v[107:108]
	v_div_fmas_f64 v[99:100], v[99:100], v[101:102], v[105:106]
	v_div_fixup_f64 v[101:102], v[99:100], v[97:98], 1.0
	v_mul_f64 v[103:104], v[103:104], -v[101:102]
.LBB117_25:
	s_or_b64 exec, exec, s[2:3]
	ds_write2_b64 v127, v[101:102], v[103:104] offset1:1
.LBB117_26:
	s_or_b64 exec, exec, s[4:5]
	s_waitcnt lgkmcnt(0)
	s_barrier
	ds_read2_b64 v[37:40], v127 offset1:1
	v_cmp_lt_u32_e32 vcc, 2, v0
	s_waitcnt lgkmcnt(0)
	buffer_store_dword v37, off, s[20:23], 0 offset:1056 ; 4-byte Folded Spill
	s_nop 0
	buffer_store_dword v38, off, s[20:23], 0 offset:1060 ; 4-byte Folded Spill
	buffer_store_dword v39, off, s[20:23], 0 offset:1064 ; 4-byte Folded Spill
	;; [unrolled: 1-line block ×3, first 2 shown]
	s_and_saveexec_b64 s[2:3], vcc
	s_cbranch_execz .LBB117_28
; %bb.27:
	buffer_load_dword v103, off, s[20:23], 0 offset:512 ; 4-byte Folded Reload
	buffer_load_dword v104, off, s[20:23], 0 offset:516 ; 4-byte Folded Reload
	;; [unrolled: 1-line block ×8, first 2 shown]
	s_waitcnt vmcnt(2)
	v_mul_f64 v[99:100], v[37:38], v[105:106]
	s_waitcnt vmcnt(0)
	v_mul_f64 v[97:98], v[39:40], v[105:106]
	v_fma_f64 v[105:106], v[39:40], v[103:104], v[99:100]
	ds_read2_b64 v[99:102], v125 offset0:6 offset1:7
	v_fma_f64 v[97:98], v[37:38], v[103:104], -v[97:98]
	buffer_load_dword v37, off, s[20:23], 0 offset:496 ; 4-byte Folded Reload
	buffer_load_dword v38, off, s[20:23], 0 offset:500 ; 4-byte Folded Reload
	buffer_load_dword v39, off, s[20:23], 0 offset:504 ; 4-byte Folded Reload
	buffer_load_dword v40, off, s[20:23], 0 offset:508 ; 4-byte Folded Reload
	s_waitcnt lgkmcnt(0)
	v_mul_f64 v[103:104], v[101:102], v[105:106]
	v_fma_f64 v[103:104], v[99:100], v[97:98], -v[103:104]
	v_mul_f64 v[99:100], v[99:100], v[105:106]
	v_fma_f64 v[99:100], v[101:102], v[97:98], v[99:100]
	s_waitcnt vmcnt(2)
	v_add_f64 v[37:38], v[37:38], -v[103:104]
	s_waitcnt vmcnt(0)
	v_add_f64 v[39:40], v[39:40], -v[99:100]
	buffer_store_dword v37, off, s[20:23], 0 offset:496 ; 4-byte Folded Spill
	s_nop 0
	buffer_store_dword v38, off, s[20:23], 0 offset:500 ; 4-byte Folded Spill
	buffer_store_dword v39, off, s[20:23], 0 offset:504 ; 4-byte Folded Spill
	buffer_store_dword v40, off, s[20:23], 0 offset:508 ; 4-byte Folded Spill
	ds_read2_b64 v[99:102], v125 offset0:8 offset1:9
	buffer_load_dword v37, off, s[20:23], 0 offset:480 ; 4-byte Folded Reload
	buffer_load_dword v38, off, s[20:23], 0 offset:484 ; 4-byte Folded Reload
	buffer_load_dword v39, off, s[20:23], 0 offset:488 ; 4-byte Folded Reload
	buffer_load_dword v40, off, s[20:23], 0 offset:492 ; 4-byte Folded Reload
	s_waitcnt lgkmcnt(0)
	v_mul_f64 v[103:104], v[101:102], v[105:106]
	v_fma_f64 v[103:104], v[99:100], v[97:98], -v[103:104]
	v_mul_f64 v[99:100], v[99:100], v[105:106]
	v_fma_f64 v[99:100], v[101:102], v[97:98], v[99:100]
	s_waitcnt vmcnt(2)
	v_add_f64 v[37:38], v[37:38], -v[103:104]
	s_waitcnt vmcnt(0)
	v_add_f64 v[39:40], v[39:40], -v[99:100]
	buffer_store_dword v37, off, s[20:23], 0 offset:480 ; 4-byte Folded Spill
	s_nop 0
	buffer_store_dword v38, off, s[20:23], 0 offset:484 ; 4-byte Folded Spill
	buffer_store_dword v39, off, s[20:23], 0 offset:488 ; 4-byte Folded Spill
	buffer_store_dword v40, off, s[20:23], 0 offset:492 ; 4-byte Folded Spill
	ds_read2_b64 v[99:102], v125 offset0:10 offset1:11
	;; [unrolled: 19-line block ×29, first 2 shown]
	s_waitcnt lgkmcnt(0)
	v_mul_f64 v[103:104], v[101:102], v[105:106]
	v_fma_f64 v[103:104], v[99:100], v[97:98], -v[103:104]
	v_mul_f64 v[99:100], v[99:100], v[105:106]
	v_add_f64 v[93:94], v[93:94], -v[103:104]
	v_fma_f64 v[99:100], v[101:102], v[97:98], v[99:100]
	v_add_f64 v[95:96], v[95:96], -v[99:100]
	ds_read2_b64 v[99:102], v125 offset0:66 offset1:67
	s_waitcnt lgkmcnt(0)
	v_mul_f64 v[103:104], v[101:102], v[105:106]
	v_fma_f64 v[103:104], v[99:100], v[97:98], -v[103:104]
	v_mul_f64 v[99:100], v[99:100], v[105:106]
	v_add_f64 v[109:110], v[109:110], -v[103:104]
	v_fma_f64 v[99:100], v[101:102], v[97:98], v[99:100]
	v_add_f64 v[111:112], v[111:112], -v[99:100]
	ds_read2_b64 v[99:102], v125 offset0:68 offset1:69
	;; [unrolled: 8-line block ×16, first 2 shown]
	buffer_load_dword v37, off, s[20:23], 0 offset:32 ; 4-byte Folded Reload
	buffer_load_dword v38, off, s[20:23], 0 offset:36 ; 4-byte Folded Reload
	;; [unrolled: 1-line block ×4, first 2 shown]
	s_waitcnt lgkmcnt(0)
	v_mul_f64 v[103:104], v[101:102], v[105:106]
	v_fma_f64 v[103:104], v[99:100], v[97:98], -v[103:104]
	v_mul_f64 v[99:100], v[99:100], v[105:106]
	v_fma_f64 v[99:100], v[101:102], v[97:98], v[99:100]
	s_waitcnt vmcnt(2)
	v_add_f64 v[37:38], v[37:38], -v[103:104]
	s_waitcnt vmcnt(0)
	v_add_f64 v[39:40], v[39:40], -v[99:100]
	buffer_store_dword v37, off, s[20:23], 0 offset:32 ; 4-byte Folded Spill
	s_nop 0
	buffer_store_dword v38, off, s[20:23], 0 offset:36 ; 4-byte Folded Spill
	buffer_store_dword v39, off, s[20:23], 0 offset:40 ; 4-byte Folded Spill
	;; [unrolled: 1-line block ×3, first 2 shown]
	ds_read2_b64 v[99:102], v125 offset0:98 offset1:99
	buffer_load_dword v33, off, s[20:23], 0 offset:16 ; 4-byte Folded Reload
	buffer_load_dword v34, off, s[20:23], 0 offset:20 ; 4-byte Folded Reload
	buffer_load_dword v35, off, s[20:23], 0 offset:24 ; 4-byte Folded Reload
	buffer_load_dword v36, off, s[20:23], 0 offset:28 ; 4-byte Folded Reload
	s_waitcnt lgkmcnt(0)
	v_mul_f64 v[103:104], v[101:102], v[105:106]
	v_fma_f64 v[103:104], v[99:100], v[97:98], -v[103:104]
	v_mul_f64 v[99:100], v[99:100], v[105:106]
	v_fma_f64 v[99:100], v[101:102], v[97:98], v[99:100]
	s_waitcnt vmcnt(2)
	v_add_f64 v[33:34], v[33:34], -v[103:104]
	s_waitcnt vmcnt(0)
	v_add_f64 v[35:36], v[35:36], -v[99:100]
	buffer_store_dword v33, off, s[20:23], 0 offset:16 ; 4-byte Folded Spill
	s_nop 0
	buffer_store_dword v34, off, s[20:23], 0 offset:20 ; 4-byte Folded Spill
	buffer_store_dword v35, off, s[20:23], 0 offset:24 ; 4-byte Folded Spill
	;; [unrolled: 1-line block ×3, first 2 shown]
	ds_read2_b64 v[99:102], v125 offset0:100 offset1:101
	s_waitcnt lgkmcnt(0)
	v_mul_f64 v[103:104], v[101:102], v[105:106]
	v_fma_f64 v[103:104], v[99:100], v[97:98], -v[103:104]
	v_mul_f64 v[99:100], v[99:100], v[105:106]
	v_add_f64 v[29:30], v[29:30], -v[103:104]
	v_fma_f64 v[99:100], v[101:102], v[97:98], v[99:100]
	v_add_f64 v[31:32], v[31:32], -v[99:100]
	ds_read2_b64 v[99:102], v125 offset0:102 offset1:103
	s_waitcnt lgkmcnt(0)
	v_mul_f64 v[103:104], v[101:102], v[105:106]
	v_fma_f64 v[103:104], v[99:100], v[97:98], -v[103:104]
	v_mul_f64 v[99:100], v[99:100], v[105:106]
	v_add_f64 v[25:26], v[25:26], -v[103:104]
	v_fma_f64 v[99:100], v[101:102], v[97:98], v[99:100]
	v_add_f64 v[27:28], v[27:28], -v[99:100]
	;; [unrolled: 8-line block ×7, first 2 shown]
	ds_read2_b64 v[99:102], v125 offset0:114 offset1:115
	s_waitcnt lgkmcnt(0)
	v_mul_f64 v[103:104], v[101:102], v[105:106]
	v_fma_f64 v[103:104], v[99:100], v[97:98], -v[103:104]
	v_mul_f64 v[99:100], v[99:100], v[105:106]
	v_add_f64 v[1:2], v[1:2], -v[103:104]
	v_fma_f64 v[99:100], v[101:102], v[97:98], v[99:100]
	ds_read2_b64 v[101:104], v125 offset0:116 offset1:117
	buffer_load_dword v37, off, s[20:23], 0 ; 4-byte Folded Reload
	buffer_load_dword v38, off, s[20:23], 0 offset:4 ; 4-byte Folded Reload
	buffer_load_dword v39, off, s[20:23], 0 offset:8 ; 4-byte Folded Reload
	;; [unrolled: 1-line block ×3, first 2 shown]
	v_add_f64 v[3:4], v[3:4], -v[99:100]
	s_waitcnt lgkmcnt(0)
	v_mul_f64 v[99:100], v[103:104], v[105:106]
	v_fma_f64 v[99:100], v[101:102], v[97:98], -v[99:100]
	v_mul_f64 v[101:102], v[101:102], v[105:106]
	v_fma_f64 v[101:102], v[103:104], v[97:98], v[101:102]
	v_mov_b32_e32 v104, v98
	v_mov_b32_e32 v103, v97
	s_waitcnt vmcnt(2)
	v_add_f64 v[37:38], v[37:38], -v[99:100]
	s_waitcnt vmcnt(0)
	v_add_f64 v[39:40], v[39:40], -v[101:102]
	buffer_store_dword v37, off, s[20:23], 0 ; 4-byte Folded Spill
	s_nop 0
	buffer_store_dword v38, off, s[20:23], 0 offset:4 ; 4-byte Folded Spill
	buffer_store_dword v39, off, s[20:23], 0 offset:8 ; 4-byte Folded Spill
	;; [unrolled: 1-line block ×4, first 2 shown]
	s_nop 0
	buffer_store_dword v104, off, s[20:23], 0 offset:516 ; 4-byte Folded Spill
	buffer_store_dword v105, off, s[20:23], 0 offset:520 ; 4-byte Folded Spill
	;; [unrolled: 1-line block ×3, first 2 shown]
.LBB117_28:
	s_or_b64 exec, exec, s[2:3]
	v_cmp_eq_u32_e32 vcc, 3, v0
	s_waitcnt vmcnt(0)
	s_barrier
	s_and_saveexec_b64 s[4:5], vcc
	s_cbranch_execz .LBB117_35
; %bb.29:
	buffer_load_dword v37, off, s[20:23], 0 offset:496 ; 4-byte Folded Reload
	buffer_load_dword v38, off, s[20:23], 0 offset:500 ; 4-byte Folded Reload
	;; [unrolled: 1-line block ×4, first 2 shown]
	s_waitcnt vmcnt(0)
	ds_write2_b64 v127, v[37:38], v[39:40] offset1:1
	buffer_load_dword v37, off, s[20:23], 0 offset:480 ; 4-byte Folded Reload
	buffer_load_dword v38, off, s[20:23], 0 offset:484 ; 4-byte Folded Reload
	buffer_load_dword v39, off, s[20:23], 0 offset:488 ; 4-byte Folded Reload
	buffer_load_dword v40, off, s[20:23], 0 offset:492 ; 4-byte Folded Reload
	s_waitcnt vmcnt(0)
	ds_write2_b64 v125, v[37:38], v[39:40] offset0:8 offset1:9
	buffer_load_dword v37, off, s[20:23], 0 offset:464 ; 4-byte Folded Reload
	buffer_load_dword v38, off, s[20:23], 0 offset:468 ; 4-byte Folded Reload
	buffer_load_dword v39, off, s[20:23], 0 offset:472 ; 4-byte Folded Reload
	buffer_load_dword v40, off, s[20:23], 0 offset:476 ; 4-byte Folded Reload
	s_waitcnt vmcnt(0)
	ds_write2_b64 v125, v[37:38], v[39:40] offset0:10 offset1:11
	;; [unrolled: 6-line block ×28, first 2 shown]
	ds_write2_b64 v125, v[93:94], v[95:96] offset0:64 offset1:65
	ds_write2_b64 v125, v[109:110], v[111:112] offset0:66 offset1:67
	;; [unrolled: 1-line block ×16, first 2 shown]
	buffer_load_dword v37, off, s[20:23], 0 offset:32 ; 4-byte Folded Reload
	buffer_load_dword v38, off, s[20:23], 0 offset:36 ; 4-byte Folded Reload
	;; [unrolled: 1-line block ×4, first 2 shown]
	s_waitcnt vmcnt(0)
	ds_write2_b64 v125, v[37:38], v[39:40] offset0:96 offset1:97
	buffer_load_dword v33, off, s[20:23], 0 offset:16 ; 4-byte Folded Reload
	buffer_load_dword v34, off, s[20:23], 0 offset:20 ; 4-byte Folded Reload
	;; [unrolled: 1-line block ×4, first 2 shown]
	s_waitcnt vmcnt(0)
	ds_write2_b64 v125, v[33:34], v[35:36] offset0:98 offset1:99
	ds_write2_b64 v125, v[29:30], v[31:32] offset0:100 offset1:101
	;; [unrolled: 1-line block ×9, first 2 shown]
	buffer_load_dword v37, off, s[20:23], 0 ; 4-byte Folded Reload
	buffer_load_dword v38, off, s[20:23], 0 offset:4 ; 4-byte Folded Reload
	buffer_load_dword v39, off, s[20:23], 0 offset:8 ; 4-byte Folded Reload
	;; [unrolled: 1-line block ×3, first 2 shown]
	s_waitcnt vmcnt(0)
	ds_write2_b64 v125, v[37:38], v[39:40] offset0:116 offset1:117
	ds_read2_b64 v[97:100], v127 offset1:1
	s_waitcnt lgkmcnt(0)
	v_cmp_neq_f64_e32 vcc, 0, v[97:98]
	v_cmp_neq_f64_e64 s[2:3], 0, v[99:100]
	s_or_b64 s[2:3], vcc, s[2:3]
	s_and_b64 exec, exec, s[2:3]
	s_cbranch_execz .LBB117_35
; %bb.30:
	v_cmp_ngt_f64_e64 s[2:3], |v[97:98]|, |v[99:100]|
                                        ; implicit-def: $vgpr101_vgpr102
	s_and_saveexec_b64 s[6:7], s[2:3]
	s_xor_b64 s[2:3], exec, s[6:7]
                                        ; implicit-def: $vgpr103_vgpr104
	s_cbranch_execz .LBB117_32
; %bb.31:
	v_div_scale_f64 v[101:102], s[6:7], v[99:100], v[99:100], v[97:98]
	v_rcp_f64_e32 v[103:104], v[101:102]
	v_fma_f64 v[105:106], -v[101:102], v[103:104], 1.0
	v_fma_f64 v[103:104], v[103:104], v[105:106], v[103:104]
	v_div_scale_f64 v[105:106], vcc, v[97:98], v[99:100], v[97:98]
	v_fma_f64 v[107:108], -v[101:102], v[103:104], 1.0
	v_fma_f64 v[103:104], v[103:104], v[107:108], v[103:104]
	v_mul_f64 v[107:108], v[105:106], v[103:104]
	v_fma_f64 v[101:102], -v[101:102], v[107:108], v[105:106]
	v_div_fmas_f64 v[101:102], v[101:102], v[103:104], v[107:108]
	v_div_fixup_f64 v[101:102], v[101:102], v[99:100], v[97:98]
	v_fma_f64 v[97:98], v[97:98], v[101:102], v[99:100]
	v_div_scale_f64 v[99:100], s[6:7], v[97:98], v[97:98], 1.0
	v_div_scale_f64 v[107:108], vcc, 1.0, v[97:98], 1.0
	v_rcp_f64_e32 v[103:104], v[99:100]
	v_fma_f64 v[105:106], -v[99:100], v[103:104], 1.0
	v_fma_f64 v[103:104], v[103:104], v[105:106], v[103:104]
	v_fma_f64 v[105:106], -v[99:100], v[103:104], 1.0
	v_fma_f64 v[103:104], v[103:104], v[105:106], v[103:104]
	v_mul_f64 v[105:106], v[107:108], v[103:104]
	v_fma_f64 v[99:100], -v[99:100], v[105:106], v[107:108]
	v_div_fmas_f64 v[99:100], v[99:100], v[103:104], v[105:106]
	v_div_fixup_f64 v[103:104], v[99:100], v[97:98], 1.0
                                        ; implicit-def: $vgpr97_vgpr98
	v_mul_f64 v[101:102], v[101:102], v[103:104]
	v_xor_b32_e32 v104, 0x80000000, v104
.LBB117_32:
	s_andn2_saveexec_b64 s[2:3], s[2:3]
	s_cbranch_execz .LBB117_34
; %bb.33:
	v_div_scale_f64 v[101:102], s[6:7], v[97:98], v[97:98], v[99:100]
	v_rcp_f64_e32 v[103:104], v[101:102]
	v_fma_f64 v[105:106], -v[101:102], v[103:104], 1.0
	v_fma_f64 v[103:104], v[103:104], v[105:106], v[103:104]
	v_div_scale_f64 v[105:106], vcc, v[99:100], v[97:98], v[99:100]
	v_fma_f64 v[107:108], -v[101:102], v[103:104], 1.0
	v_fma_f64 v[103:104], v[103:104], v[107:108], v[103:104]
	v_mul_f64 v[107:108], v[105:106], v[103:104]
	v_fma_f64 v[101:102], -v[101:102], v[107:108], v[105:106]
	v_div_fmas_f64 v[101:102], v[101:102], v[103:104], v[107:108]
	v_div_fixup_f64 v[103:104], v[101:102], v[97:98], v[99:100]
	v_fma_f64 v[97:98], v[99:100], v[103:104], v[97:98]
	v_div_scale_f64 v[99:100], s[6:7], v[97:98], v[97:98], 1.0
	v_div_scale_f64 v[107:108], vcc, 1.0, v[97:98], 1.0
	v_rcp_f64_e32 v[101:102], v[99:100]
	v_fma_f64 v[105:106], -v[99:100], v[101:102], 1.0
	v_fma_f64 v[101:102], v[101:102], v[105:106], v[101:102]
	v_fma_f64 v[105:106], -v[99:100], v[101:102], 1.0
	v_fma_f64 v[101:102], v[101:102], v[105:106], v[101:102]
	v_mul_f64 v[105:106], v[107:108], v[101:102]
	v_fma_f64 v[99:100], -v[99:100], v[105:106], v[107:108]
	v_div_fmas_f64 v[99:100], v[99:100], v[101:102], v[105:106]
	v_div_fixup_f64 v[101:102], v[99:100], v[97:98], 1.0
	v_mul_f64 v[103:104], v[103:104], -v[101:102]
.LBB117_34:
	s_or_b64 exec, exec, s[2:3]
	ds_write2_b64 v127, v[101:102], v[103:104] offset1:1
.LBB117_35:
	s_or_b64 exec, exec, s[4:5]
	s_waitcnt lgkmcnt(0)
	s_barrier
	ds_read2_b64 v[37:40], v127 offset1:1
	v_cmp_lt_u32_e32 vcc, 3, v0
	s_waitcnt lgkmcnt(0)
	buffer_store_dword v37, off, s[20:23], 0 offset:1072 ; 4-byte Folded Spill
	s_nop 0
	buffer_store_dword v38, off, s[20:23], 0 offset:1076 ; 4-byte Folded Spill
	buffer_store_dword v39, off, s[20:23], 0 offset:1080 ; 4-byte Folded Spill
	;; [unrolled: 1-line block ×3, first 2 shown]
	s_and_saveexec_b64 s[2:3], vcc
	s_cbranch_execz .LBB117_37
; %bb.36:
	buffer_load_dword v103, off, s[20:23], 0 offset:496 ; 4-byte Folded Reload
	buffer_load_dword v104, off, s[20:23], 0 offset:500 ; 4-byte Folded Reload
	;; [unrolled: 1-line block ×8, first 2 shown]
	s_waitcnt vmcnt(2)
	v_mul_f64 v[99:100], v[37:38], v[105:106]
	s_waitcnt vmcnt(0)
	v_mul_f64 v[97:98], v[39:40], v[105:106]
	v_fma_f64 v[105:106], v[39:40], v[103:104], v[99:100]
	ds_read2_b64 v[99:102], v125 offset0:8 offset1:9
	v_fma_f64 v[97:98], v[37:38], v[103:104], -v[97:98]
	buffer_load_dword v37, off, s[20:23], 0 offset:480 ; 4-byte Folded Reload
	buffer_load_dword v38, off, s[20:23], 0 offset:484 ; 4-byte Folded Reload
	buffer_load_dword v39, off, s[20:23], 0 offset:488 ; 4-byte Folded Reload
	buffer_load_dword v40, off, s[20:23], 0 offset:492 ; 4-byte Folded Reload
	s_waitcnt lgkmcnt(0)
	v_mul_f64 v[103:104], v[101:102], v[105:106]
	v_fma_f64 v[103:104], v[99:100], v[97:98], -v[103:104]
	v_mul_f64 v[99:100], v[99:100], v[105:106]
	v_fma_f64 v[99:100], v[101:102], v[97:98], v[99:100]
	s_waitcnt vmcnt(2)
	v_add_f64 v[37:38], v[37:38], -v[103:104]
	s_waitcnt vmcnt(0)
	v_add_f64 v[39:40], v[39:40], -v[99:100]
	buffer_store_dword v37, off, s[20:23], 0 offset:480 ; 4-byte Folded Spill
	s_nop 0
	buffer_store_dword v38, off, s[20:23], 0 offset:484 ; 4-byte Folded Spill
	buffer_store_dword v39, off, s[20:23], 0 offset:488 ; 4-byte Folded Spill
	buffer_store_dword v40, off, s[20:23], 0 offset:492 ; 4-byte Folded Spill
	ds_read2_b64 v[99:102], v125 offset0:10 offset1:11
	buffer_load_dword v37, off, s[20:23], 0 offset:464 ; 4-byte Folded Reload
	buffer_load_dword v38, off, s[20:23], 0 offset:468 ; 4-byte Folded Reload
	buffer_load_dword v39, off, s[20:23], 0 offset:472 ; 4-byte Folded Reload
	buffer_load_dword v40, off, s[20:23], 0 offset:476 ; 4-byte Folded Reload
	s_waitcnt lgkmcnt(0)
	v_mul_f64 v[103:104], v[101:102], v[105:106]
	v_fma_f64 v[103:104], v[99:100], v[97:98], -v[103:104]
	v_mul_f64 v[99:100], v[99:100], v[105:106]
	v_fma_f64 v[99:100], v[101:102], v[97:98], v[99:100]
	s_waitcnt vmcnt(2)
	v_add_f64 v[37:38], v[37:38], -v[103:104]
	s_waitcnt vmcnt(0)
	v_add_f64 v[39:40], v[39:40], -v[99:100]
	buffer_store_dword v37, off, s[20:23], 0 offset:464 ; 4-byte Folded Spill
	s_nop 0
	buffer_store_dword v38, off, s[20:23], 0 offset:468 ; 4-byte Folded Spill
	buffer_store_dword v39, off, s[20:23], 0 offset:472 ; 4-byte Folded Spill
	buffer_store_dword v40, off, s[20:23], 0 offset:476 ; 4-byte Folded Spill
	ds_read2_b64 v[99:102], v125 offset0:12 offset1:13
	;; [unrolled: 19-line block ×28, first 2 shown]
	s_waitcnt lgkmcnt(0)
	v_mul_f64 v[103:104], v[101:102], v[105:106]
	v_fma_f64 v[103:104], v[99:100], v[97:98], -v[103:104]
	v_mul_f64 v[99:100], v[99:100], v[105:106]
	v_add_f64 v[93:94], v[93:94], -v[103:104]
	v_fma_f64 v[99:100], v[101:102], v[97:98], v[99:100]
	v_add_f64 v[95:96], v[95:96], -v[99:100]
	ds_read2_b64 v[99:102], v125 offset0:66 offset1:67
	s_waitcnt lgkmcnt(0)
	v_mul_f64 v[103:104], v[101:102], v[105:106]
	v_fma_f64 v[103:104], v[99:100], v[97:98], -v[103:104]
	v_mul_f64 v[99:100], v[99:100], v[105:106]
	v_add_f64 v[109:110], v[109:110], -v[103:104]
	v_fma_f64 v[99:100], v[101:102], v[97:98], v[99:100]
	v_add_f64 v[111:112], v[111:112], -v[99:100]
	ds_read2_b64 v[99:102], v125 offset0:68 offset1:69
	;; [unrolled: 8-line block ×16, first 2 shown]
	buffer_load_dword v37, off, s[20:23], 0 offset:32 ; 4-byte Folded Reload
	buffer_load_dword v38, off, s[20:23], 0 offset:36 ; 4-byte Folded Reload
	;; [unrolled: 1-line block ×4, first 2 shown]
	s_waitcnt lgkmcnt(0)
	v_mul_f64 v[103:104], v[101:102], v[105:106]
	v_fma_f64 v[103:104], v[99:100], v[97:98], -v[103:104]
	v_mul_f64 v[99:100], v[99:100], v[105:106]
	v_fma_f64 v[99:100], v[101:102], v[97:98], v[99:100]
	s_waitcnt vmcnt(2)
	v_add_f64 v[37:38], v[37:38], -v[103:104]
	s_waitcnt vmcnt(0)
	v_add_f64 v[39:40], v[39:40], -v[99:100]
	buffer_store_dword v37, off, s[20:23], 0 offset:32 ; 4-byte Folded Spill
	s_nop 0
	buffer_store_dword v38, off, s[20:23], 0 offset:36 ; 4-byte Folded Spill
	buffer_store_dword v39, off, s[20:23], 0 offset:40 ; 4-byte Folded Spill
	;; [unrolled: 1-line block ×3, first 2 shown]
	ds_read2_b64 v[99:102], v125 offset0:98 offset1:99
	buffer_load_dword v33, off, s[20:23], 0 offset:16 ; 4-byte Folded Reload
	buffer_load_dword v34, off, s[20:23], 0 offset:20 ; 4-byte Folded Reload
	;; [unrolled: 1-line block ×4, first 2 shown]
	s_waitcnt lgkmcnt(0)
	v_mul_f64 v[103:104], v[101:102], v[105:106]
	v_fma_f64 v[103:104], v[99:100], v[97:98], -v[103:104]
	v_mul_f64 v[99:100], v[99:100], v[105:106]
	v_fma_f64 v[99:100], v[101:102], v[97:98], v[99:100]
	s_waitcnt vmcnt(2)
	v_add_f64 v[33:34], v[33:34], -v[103:104]
	s_waitcnt vmcnt(0)
	v_add_f64 v[35:36], v[35:36], -v[99:100]
	buffer_store_dword v33, off, s[20:23], 0 offset:16 ; 4-byte Folded Spill
	s_nop 0
	buffer_store_dword v34, off, s[20:23], 0 offset:20 ; 4-byte Folded Spill
	buffer_store_dword v35, off, s[20:23], 0 offset:24 ; 4-byte Folded Spill
	;; [unrolled: 1-line block ×3, first 2 shown]
	ds_read2_b64 v[99:102], v125 offset0:100 offset1:101
	s_waitcnt lgkmcnt(0)
	v_mul_f64 v[103:104], v[101:102], v[105:106]
	v_fma_f64 v[103:104], v[99:100], v[97:98], -v[103:104]
	v_mul_f64 v[99:100], v[99:100], v[105:106]
	v_add_f64 v[29:30], v[29:30], -v[103:104]
	v_fma_f64 v[99:100], v[101:102], v[97:98], v[99:100]
	v_add_f64 v[31:32], v[31:32], -v[99:100]
	ds_read2_b64 v[99:102], v125 offset0:102 offset1:103
	s_waitcnt lgkmcnt(0)
	v_mul_f64 v[103:104], v[101:102], v[105:106]
	v_fma_f64 v[103:104], v[99:100], v[97:98], -v[103:104]
	v_mul_f64 v[99:100], v[99:100], v[105:106]
	v_add_f64 v[25:26], v[25:26], -v[103:104]
	v_fma_f64 v[99:100], v[101:102], v[97:98], v[99:100]
	v_add_f64 v[27:28], v[27:28], -v[99:100]
	;; [unrolled: 8-line block ×7, first 2 shown]
	ds_read2_b64 v[99:102], v125 offset0:114 offset1:115
	s_waitcnt lgkmcnt(0)
	v_mul_f64 v[103:104], v[101:102], v[105:106]
	v_fma_f64 v[103:104], v[99:100], v[97:98], -v[103:104]
	v_mul_f64 v[99:100], v[99:100], v[105:106]
	v_add_f64 v[1:2], v[1:2], -v[103:104]
	v_fma_f64 v[99:100], v[101:102], v[97:98], v[99:100]
	ds_read2_b64 v[101:104], v125 offset0:116 offset1:117
	buffer_load_dword v37, off, s[20:23], 0 ; 4-byte Folded Reload
	buffer_load_dword v38, off, s[20:23], 0 offset:4 ; 4-byte Folded Reload
	buffer_load_dword v39, off, s[20:23], 0 offset:8 ; 4-byte Folded Reload
	;; [unrolled: 1-line block ×3, first 2 shown]
	v_add_f64 v[3:4], v[3:4], -v[99:100]
	s_waitcnt lgkmcnt(0)
	v_mul_f64 v[99:100], v[103:104], v[105:106]
	v_fma_f64 v[99:100], v[101:102], v[97:98], -v[99:100]
	v_mul_f64 v[101:102], v[101:102], v[105:106]
	v_fma_f64 v[101:102], v[103:104], v[97:98], v[101:102]
	v_mov_b32_e32 v104, v98
	v_mov_b32_e32 v103, v97
	s_waitcnt vmcnt(2)
	v_add_f64 v[37:38], v[37:38], -v[99:100]
	s_waitcnt vmcnt(0)
	v_add_f64 v[39:40], v[39:40], -v[101:102]
	buffer_store_dword v37, off, s[20:23], 0 ; 4-byte Folded Spill
	s_nop 0
	buffer_store_dword v38, off, s[20:23], 0 offset:4 ; 4-byte Folded Spill
	buffer_store_dword v39, off, s[20:23], 0 offset:8 ; 4-byte Folded Spill
	;; [unrolled: 1-line block ×4, first 2 shown]
	s_nop 0
	buffer_store_dword v104, off, s[20:23], 0 offset:500 ; 4-byte Folded Spill
	buffer_store_dword v105, off, s[20:23], 0 offset:504 ; 4-byte Folded Spill
	;; [unrolled: 1-line block ×3, first 2 shown]
.LBB117_37:
	s_or_b64 exec, exec, s[2:3]
	v_cmp_eq_u32_e32 vcc, 4, v0
	s_waitcnt vmcnt(0)
	s_barrier
	s_and_saveexec_b64 s[4:5], vcc
	s_cbranch_execz .LBB117_44
; %bb.38:
	buffer_load_dword v37, off, s[20:23], 0 offset:480 ; 4-byte Folded Reload
	buffer_load_dword v38, off, s[20:23], 0 offset:484 ; 4-byte Folded Reload
	;; [unrolled: 1-line block ×4, first 2 shown]
	s_waitcnt vmcnt(0)
	ds_write2_b64 v127, v[37:38], v[39:40] offset1:1
	buffer_load_dword v37, off, s[20:23], 0 offset:464 ; 4-byte Folded Reload
	buffer_load_dword v38, off, s[20:23], 0 offset:468 ; 4-byte Folded Reload
	buffer_load_dword v39, off, s[20:23], 0 offset:472 ; 4-byte Folded Reload
	buffer_load_dword v40, off, s[20:23], 0 offset:476 ; 4-byte Folded Reload
	s_waitcnt vmcnt(0)
	ds_write2_b64 v125, v[37:38], v[39:40] offset0:10 offset1:11
	buffer_load_dword v37, off, s[20:23], 0 offset:448 ; 4-byte Folded Reload
	buffer_load_dword v38, off, s[20:23], 0 offset:452 ; 4-byte Folded Reload
	buffer_load_dword v39, off, s[20:23], 0 offset:456 ; 4-byte Folded Reload
	buffer_load_dword v40, off, s[20:23], 0 offset:460 ; 4-byte Folded Reload
	s_waitcnt vmcnt(0)
	ds_write2_b64 v125, v[37:38], v[39:40] offset0:12 offset1:13
	;; [unrolled: 6-line block ×27, first 2 shown]
	ds_write2_b64 v125, v[93:94], v[95:96] offset0:64 offset1:65
	ds_write2_b64 v125, v[109:110], v[111:112] offset0:66 offset1:67
	;; [unrolled: 1-line block ×16, first 2 shown]
	buffer_load_dword v37, off, s[20:23], 0 offset:32 ; 4-byte Folded Reload
	buffer_load_dword v38, off, s[20:23], 0 offset:36 ; 4-byte Folded Reload
	;; [unrolled: 1-line block ×4, first 2 shown]
	s_waitcnt vmcnt(0)
	ds_write2_b64 v125, v[37:38], v[39:40] offset0:96 offset1:97
	buffer_load_dword v33, off, s[20:23], 0 offset:16 ; 4-byte Folded Reload
	buffer_load_dword v34, off, s[20:23], 0 offset:20 ; 4-byte Folded Reload
	;; [unrolled: 1-line block ×4, first 2 shown]
	s_waitcnt vmcnt(0)
	ds_write2_b64 v125, v[33:34], v[35:36] offset0:98 offset1:99
	ds_write2_b64 v125, v[29:30], v[31:32] offset0:100 offset1:101
	;; [unrolled: 1-line block ×9, first 2 shown]
	buffer_load_dword v37, off, s[20:23], 0 ; 4-byte Folded Reload
	buffer_load_dword v38, off, s[20:23], 0 offset:4 ; 4-byte Folded Reload
	buffer_load_dword v39, off, s[20:23], 0 offset:8 ; 4-byte Folded Reload
	;; [unrolled: 1-line block ×3, first 2 shown]
	s_waitcnt vmcnt(0)
	ds_write2_b64 v125, v[37:38], v[39:40] offset0:116 offset1:117
	ds_read2_b64 v[97:100], v127 offset1:1
	s_waitcnt lgkmcnt(0)
	v_cmp_neq_f64_e32 vcc, 0, v[97:98]
	v_cmp_neq_f64_e64 s[2:3], 0, v[99:100]
	s_or_b64 s[2:3], vcc, s[2:3]
	s_and_b64 exec, exec, s[2:3]
	s_cbranch_execz .LBB117_44
; %bb.39:
	v_cmp_ngt_f64_e64 s[2:3], |v[97:98]|, |v[99:100]|
                                        ; implicit-def: $vgpr101_vgpr102
	s_and_saveexec_b64 s[6:7], s[2:3]
	s_xor_b64 s[2:3], exec, s[6:7]
                                        ; implicit-def: $vgpr103_vgpr104
	s_cbranch_execz .LBB117_41
; %bb.40:
	v_div_scale_f64 v[101:102], s[6:7], v[99:100], v[99:100], v[97:98]
	v_rcp_f64_e32 v[103:104], v[101:102]
	v_fma_f64 v[105:106], -v[101:102], v[103:104], 1.0
	v_fma_f64 v[103:104], v[103:104], v[105:106], v[103:104]
	v_div_scale_f64 v[105:106], vcc, v[97:98], v[99:100], v[97:98]
	v_fma_f64 v[107:108], -v[101:102], v[103:104], 1.0
	v_fma_f64 v[103:104], v[103:104], v[107:108], v[103:104]
	v_mul_f64 v[107:108], v[105:106], v[103:104]
	v_fma_f64 v[101:102], -v[101:102], v[107:108], v[105:106]
	v_div_fmas_f64 v[101:102], v[101:102], v[103:104], v[107:108]
	v_div_fixup_f64 v[101:102], v[101:102], v[99:100], v[97:98]
	v_fma_f64 v[97:98], v[97:98], v[101:102], v[99:100]
	v_div_scale_f64 v[99:100], s[6:7], v[97:98], v[97:98], 1.0
	v_div_scale_f64 v[107:108], vcc, 1.0, v[97:98], 1.0
	v_rcp_f64_e32 v[103:104], v[99:100]
	v_fma_f64 v[105:106], -v[99:100], v[103:104], 1.0
	v_fma_f64 v[103:104], v[103:104], v[105:106], v[103:104]
	v_fma_f64 v[105:106], -v[99:100], v[103:104], 1.0
	v_fma_f64 v[103:104], v[103:104], v[105:106], v[103:104]
	v_mul_f64 v[105:106], v[107:108], v[103:104]
	v_fma_f64 v[99:100], -v[99:100], v[105:106], v[107:108]
	v_div_fmas_f64 v[99:100], v[99:100], v[103:104], v[105:106]
	v_div_fixup_f64 v[103:104], v[99:100], v[97:98], 1.0
                                        ; implicit-def: $vgpr97_vgpr98
	v_mul_f64 v[101:102], v[101:102], v[103:104]
	v_xor_b32_e32 v104, 0x80000000, v104
.LBB117_41:
	s_andn2_saveexec_b64 s[2:3], s[2:3]
	s_cbranch_execz .LBB117_43
; %bb.42:
	v_div_scale_f64 v[101:102], s[6:7], v[97:98], v[97:98], v[99:100]
	v_rcp_f64_e32 v[103:104], v[101:102]
	v_fma_f64 v[105:106], -v[101:102], v[103:104], 1.0
	v_fma_f64 v[103:104], v[103:104], v[105:106], v[103:104]
	v_div_scale_f64 v[105:106], vcc, v[99:100], v[97:98], v[99:100]
	v_fma_f64 v[107:108], -v[101:102], v[103:104], 1.0
	v_fma_f64 v[103:104], v[103:104], v[107:108], v[103:104]
	v_mul_f64 v[107:108], v[105:106], v[103:104]
	v_fma_f64 v[101:102], -v[101:102], v[107:108], v[105:106]
	v_div_fmas_f64 v[101:102], v[101:102], v[103:104], v[107:108]
	v_div_fixup_f64 v[103:104], v[101:102], v[97:98], v[99:100]
	v_fma_f64 v[97:98], v[99:100], v[103:104], v[97:98]
	v_div_scale_f64 v[99:100], s[6:7], v[97:98], v[97:98], 1.0
	v_div_scale_f64 v[107:108], vcc, 1.0, v[97:98], 1.0
	v_rcp_f64_e32 v[101:102], v[99:100]
	v_fma_f64 v[105:106], -v[99:100], v[101:102], 1.0
	v_fma_f64 v[101:102], v[101:102], v[105:106], v[101:102]
	v_fma_f64 v[105:106], -v[99:100], v[101:102], 1.0
	v_fma_f64 v[101:102], v[101:102], v[105:106], v[101:102]
	v_mul_f64 v[105:106], v[107:108], v[101:102]
	v_fma_f64 v[99:100], -v[99:100], v[105:106], v[107:108]
	v_div_fmas_f64 v[99:100], v[99:100], v[101:102], v[105:106]
	v_div_fixup_f64 v[101:102], v[99:100], v[97:98], 1.0
	v_mul_f64 v[103:104], v[103:104], -v[101:102]
.LBB117_43:
	s_or_b64 exec, exec, s[2:3]
	ds_write2_b64 v127, v[101:102], v[103:104] offset1:1
.LBB117_44:
	s_or_b64 exec, exec, s[4:5]
	s_waitcnt lgkmcnt(0)
	s_barrier
	ds_read2_b64 v[37:40], v127 offset1:1
	v_cmp_lt_u32_e32 vcc, 4, v0
	s_waitcnt lgkmcnt(0)
	buffer_store_dword v37, off, s[20:23], 0 offset:1088 ; 4-byte Folded Spill
	s_nop 0
	buffer_store_dword v38, off, s[20:23], 0 offset:1092 ; 4-byte Folded Spill
	buffer_store_dword v39, off, s[20:23], 0 offset:1096 ; 4-byte Folded Spill
	;; [unrolled: 1-line block ×3, first 2 shown]
	s_and_saveexec_b64 s[2:3], vcc
	s_cbranch_execz .LBB117_46
; %bb.45:
	buffer_load_dword v103, off, s[20:23], 0 offset:480 ; 4-byte Folded Reload
	buffer_load_dword v104, off, s[20:23], 0 offset:484 ; 4-byte Folded Reload
	;; [unrolled: 1-line block ×8, first 2 shown]
	s_waitcnt vmcnt(2)
	v_mul_f64 v[99:100], v[37:38], v[105:106]
	s_waitcnt vmcnt(0)
	v_mul_f64 v[97:98], v[39:40], v[105:106]
	v_fma_f64 v[105:106], v[39:40], v[103:104], v[99:100]
	ds_read2_b64 v[99:102], v125 offset0:10 offset1:11
	v_fma_f64 v[97:98], v[37:38], v[103:104], -v[97:98]
	buffer_load_dword v37, off, s[20:23], 0 offset:464 ; 4-byte Folded Reload
	buffer_load_dword v38, off, s[20:23], 0 offset:468 ; 4-byte Folded Reload
	buffer_load_dword v39, off, s[20:23], 0 offset:472 ; 4-byte Folded Reload
	buffer_load_dword v40, off, s[20:23], 0 offset:476 ; 4-byte Folded Reload
	s_waitcnt lgkmcnt(0)
	v_mul_f64 v[103:104], v[101:102], v[105:106]
	v_fma_f64 v[103:104], v[99:100], v[97:98], -v[103:104]
	v_mul_f64 v[99:100], v[99:100], v[105:106]
	v_fma_f64 v[99:100], v[101:102], v[97:98], v[99:100]
	s_waitcnt vmcnt(2)
	v_add_f64 v[37:38], v[37:38], -v[103:104]
	s_waitcnt vmcnt(0)
	v_add_f64 v[39:40], v[39:40], -v[99:100]
	buffer_store_dword v37, off, s[20:23], 0 offset:464 ; 4-byte Folded Spill
	s_nop 0
	buffer_store_dword v38, off, s[20:23], 0 offset:468 ; 4-byte Folded Spill
	buffer_store_dword v39, off, s[20:23], 0 offset:472 ; 4-byte Folded Spill
	buffer_store_dword v40, off, s[20:23], 0 offset:476 ; 4-byte Folded Spill
	ds_read2_b64 v[99:102], v125 offset0:12 offset1:13
	buffer_load_dword v37, off, s[20:23], 0 offset:448 ; 4-byte Folded Reload
	buffer_load_dword v38, off, s[20:23], 0 offset:452 ; 4-byte Folded Reload
	buffer_load_dword v39, off, s[20:23], 0 offset:456 ; 4-byte Folded Reload
	buffer_load_dword v40, off, s[20:23], 0 offset:460 ; 4-byte Folded Reload
	s_waitcnt lgkmcnt(0)
	v_mul_f64 v[103:104], v[101:102], v[105:106]
	v_fma_f64 v[103:104], v[99:100], v[97:98], -v[103:104]
	v_mul_f64 v[99:100], v[99:100], v[105:106]
	v_fma_f64 v[99:100], v[101:102], v[97:98], v[99:100]
	s_waitcnt vmcnt(2)
	v_add_f64 v[37:38], v[37:38], -v[103:104]
	s_waitcnt vmcnt(0)
	v_add_f64 v[39:40], v[39:40], -v[99:100]
	buffer_store_dword v37, off, s[20:23], 0 offset:448 ; 4-byte Folded Spill
	s_nop 0
	buffer_store_dword v38, off, s[20:23], 0 offset:452 ; 4-byte Folded Spill
	buffer_store_dword v39, off, s[20:23], 0 offset:456 ; 4-byte Folded Spill
	buffer_store_dword v40, off, s[20:23], 0 offset:460 ; 4-byte Folded Spill
	ds_read2_b64 v[99:102], v125 offset0:14 offset1:15
	;; [unrolled: 19-line block ×27, first 2 shown]
	s_waitcnt lgkmcnt(0)
	v_mul_f64 v[103:104], v[101:102], v[105:106]
	v_fma_f64 v[103:104], v[99:100], v[97:98], -v[103:104]
	v_mul_f64 v[99:100], v[99:100], v[105:106]
	v_add_f64 v[93:94], v[93:94], -v[103:104]
	v_fma_f64 v[99:100], v[101:102], v[97:98], v[99:100]
	v_add_f64 v[95:96], v[95:96], -v[99:100]
	ds_read2_b64 v[99:102], v125 offset0:66 offset1:67
	s_waitcnt lgkmcnt(0)
	v_mul_f64 v[103:104], v[101:102], v[105:106]
	v_fma_f64 v[103:104], v[99:100], v[97:98], -v[103:104]
	v_mul_f64 v[99:100], v[99:100], v[105:106]
	v_add_f64 v[109:110], v[109:110], -v[103:104]
	v_fma_f64 v[99:100], v[101:102], v[97:98], v[99:100]
	v_add_f64 v[111:112], v[111:112], -v[99:100]
	ds_read2_b64 v[99:102], v125 offset0:68 offset1:69
	;; [unrolled: 8-line block ×16, first 2 shown]
	buffer_load_dword v37, off, s[20:23], 0 offset:32 ; 4-byte Folded Reload
	buffer_load_dword v38, off, s[20:23], 0 offset:36 ; 4-byte Folded Reload
	;; [unrolled: 1-line block ×4, first 2 shown]
	s_waitcnt lgkmcnt(0)
	v_mul_f64 v[103:104], v[101:102], v[105:106]
	v_fma_f64 v[103:104], v[99:100], v[97:98], -v[103:104]
	v_mul_f64 v[99:100], v[99:100], v[105:106]
	v_fma_f64 v[99:100], v[101:102], v[97:98], v[99:100]
	s_waitcnt vmcnt(2)
	v_add_f64 v[37:38], v[37:38], -v[103:104]
	s_waitcnt vmcnt(0)
	v_add_f64 v[39:40], v[39:40], -v[99:100]
	buffer_store_dword v37, off, s[20:23], 0 offset:32 ; 4-byte Folded Spill
	s_nop 0
	buffer_store_dword v38, off, s[20:23], 0 offset:36 ; 4-byte Folded Spill
	buffer_store_dword v39, off, s[20:23], 0 offset:40 ; 4-byte Folded Spill
	;; [unrolled: 1-line block ×3, first 2 shown]
	ds_read2_b64 v[99:102], v125 offset0:98 offset1:99
	buffer_load_dword v33, off, s[20:23], 0 offset:16 ; 4-byte Folded Reload
	buffer_load_dword v34, off, s[20:23], 0 offset:20 ; 4-byte Folded Reload
	;; [unrolled: 1-line block ×4, first 2 shown]
	s_waitcnt lgkmcnt(0)
	v_mul_f64 v[103:104], v[101:102], v[105:106]
	v_fma_f64 v[103:104], v[99:100], v[97:98], -v[103:104]
	v_mul_f64 v[99:100], v[99:100], v[105:106]
	v_fma_f64 v[99:100], v[101:102], v[97:98], v[99:100]
	s_waitcnt vmcnt(2)
	v_add_f64 v[33:34], v[33:34], -v[103:104]
	s_waitcnt vmcnt(0)
	v_add_f64 v[35:36], v[35:36], -v[99:100]
	buffer_store_dword v33, off, s[20:23], 0 offset:16 ; 4-byte Folded Spill
	s_nop 0
	buffer_store_dword v34, off, s[20:23], 0 offset:20 ; 4-byte Folded Spill
	buffer_store_dword v35, off, s[20:23], 0 offset:24 ; 4-byte Folded Spill
	;; [unrolled: 1-line block ×3, first 2 shown]
	ds_read2_b64 v[99:102], v125 offset0:100 offset1:101
	s_waitcnt lgkmcnt(0)
	v_mul_f64 v[103:104], v[101:102], v[105:106]
	v_fma_f64 v[103:104], v[99:100], v[97:98], -v[103:104]
	v_mul_f64 v[99:100], v[99:100], v[105:106]
	v_add_f64 v[29:30], v[29:30], -v[103:104]
	v_fma_f64 v[99:100], v[101:102], v[97:98], v[99:100]
	v_add_f64 v[31:32], v[31:32], -v[99:100]
	ds_read2_b64 v[99:102], v125 offset0:102 offset1:103
	s_waitcnt lgkmcnt(0)
	v_mul_f64 v[103:104], v[101:102], v[105:106]
	v_fma_f64 v[103:104], v[99:100], v[97:98], -v[103:104]
	v_mul_f64 v[99:100], v[99:100], v[105:106]
	v_add_f64 v[25:26], v[25:26], -v[103:104]
	v_fma_f64 v[99:100], v[101:102], v[97:98], v[99:100]
	v_add_f64 v[27:28], v[27:28], -v[99:100]
	;; [unrolled: 8-line block ×7, first 2 shown]
	ds_read2_b64 v[99:102], v125 offset0:114 offset1:115
	s_waitcnt lgkmcnt(0)
	v_mul_f64 v[103:104], v[101:102], v[105:106]
	v_fma_f64 v[103:104], v[99:100], v[97:98], -v[103:104]
	v_mul_f64 v[99:100], v[99:100], v[105:106]
	v_add_f64 v[1:2], v[1:2], -v[103:104]
	v_fma_f64 v[99:100], v[101:102], v[97:98], v[99:100]
	ds_read2_b64 v[101:104], v125 offset0:116 offset1:117
	buffer_load_dword v37, off, s[20:23], 0 ; 4-byte Folded Reload
	buffer_load_dword v38, off, s[20:23], 0 offset:4 ; 4-byte Folded Reload
	buffer_load_dword v39, off, s[20:23], 0 offset:8 ; 4-byte Folded Reload
	;; [unrolled: 1-line block ×3, first 2 shown]
	v_add_f64 v[3:4], v[3:4], -v[99:100]
	s_waitcnt lgkmcnt(0)
	v_mul_f64 v[99:100], v[103:104], v[105:106]
	v_fma_f64 v[99:100], v[101:102], v[97:98], -v[99:100]
	v_mul_f64 v[101:102], v[101:102], v[105:106]
	v_fma_f64 v[101:102], v[103:104], v[97:98], v[101:102]
	v_mov_b32_e32 v104, v98
	v_mov_b32_e32 v103, v97
	s_waitcnt vmcnt(2)
	v_add_f64 v[37:38], v[37:38], -v[99:100]
	s_waitcnt vmcnt(0)
	v_add_f64 v[39:40], v[39:40], -v[101:102]
	buffer_store_dword v37, off, s[20:23], 0 ; 4-byte Folded Spill
	s_nop 0
	buffer_store_dword v38, off, s[20:23], 0 offset:4 ; 4-byte Folded Spill
	buffer_store_dword v39, off, s[20:23], 0 offset:8 ; 4-byte Folded Spill
	;; [unrolled: 1-line block ×4, first 2 shown]
	s_nop 0
	buffer_store_dword v104, off, s[20:23], 0 offset:484 ; 4-byte Folded Spill
	buffer_store_dword v105, off, s[20:23], 0 offset:488 ; 4-byte Folded Spill
	;; [unrolled: 1-line block ×3, first 2 shown]
.LBB117_46:
	s_or_b64 exec, exec, s[2:3]
	v_cmp_eq_u32_e32 vcc, 5, v0
	s_waitcnt vmcnt(0)
	s_barrier
	s_and_saveexec_b64 s[4:5], vcc
	s_cbranch_execz .LBB117_53
; %bb.47:
	buffer_load_dword v37, off, s[20:23], 0 offset:464 ; 4-byte Folded Reload
	buffer_load_dword v38, off, s[20:23], 0 offset:468 ; 4-byte Folded Reload
	;; [unrolled: 1-line block ×4, first 2 shown]
	s_waitcnt vmcnt(0)
	ds_write2_b64 v127, v[37:38], v[39:40] offset1:1
	buffer_load_dword v37, off, s[20:23], 0 offset:448 ; 4-byte Folded Reload
	buffer_load_dword v38, off, s[20:23], 0 offset:452 ; 4-byte Folded Reload
	buffer_load_dword v39, off, s[20:23], 0 offset:456 ; 4-byte Folded Reload
	buffer_load_dword v40, off, s[20:23], 0 offset:460 ; 4-byte Folded Reload
	s_waitcnt vmcnt(0)
	ds_write2_b64 v125, v[37:38], v[39:40] offset0:12 offset1:13
	buffer_load_dword v37, off, s[20:23], 0 offset:432 ; 4-byte Folded Reload
	buffer_load_dword v38, off, s[20:23], 0 offset:436 ; 4-byte Folded Reload
	buffer_load_dword v39, off, s[20:23], 0 offset:440 ; 4-byte Folded Reload
	buffer_load_dword v40, off, s[20:23], 0 offset:444 ; 4-byte Folded Reload
	s_waitcnt vmcnt(0)
	ds_write2_b64 v125, v[37:38], v[39:40] offset0:14 offset1:15
	;; [unrolled: 6-line block ×26, first 2 shown]
	ds_write2_b64 v125, v[93:94], v[95:96] offset0:64 offset1:65
	ds_write2_b64 v125, v[109:110], v[111:112] offset0:66 offset1:67
	;; [unrolled: 1-line block ×16, first 2 shown]
	buffer_load_dword v37, off, s[20:23], 0 offset:32 ; 4-byte Folded Reload
	buffer_load_dword v38, off, s[20:23], 0 offset:36 ; 4-byte Folded Reload
	;; [unrolled: 1-line block ×4, first 2 shown]
	s_waitcnt vmcnt(0)
	ds_write2_b64 v125, v[37:38], v[39:40] offset0:96 offset1:97
	buffer_load_dword v33, off, s[20:23], 0 offset:16 ; 4-byte Folded Reload
	buffer_load_dword v34, off, s[20:23], 0 offset:20 ; 4-byte Folded Reload
	;; [unrolled: 1-line block ×4, first 2 shown]
	s_waitcnt vmcnt(0)
	ds_write2_b64 v125, v[33:34], v[35:36] offset0:98 offset1:99
	ds_write2_b64 v125, v[29:30], v[31:32] offset0:100 offset1:101
	;; [unrolled: 1-line block ×9, first 2 shown]
	buffer_load_dword v37, off, s[20:23], 0 ; 4-byte Folded Reload
	buffer_load_dword v38, off, s[20:23], 0 offset:4 ; 4-byte Folded Reload
	buffer_load_dword v39, off, s[20:23], 0 offset:8 ; 4-byte Folded Reload
	;; [unrolled: 1-line block ×3, first 2 shown]
	s_waitcnt vmcnt(0)
	ds_write2_b64 v125, v[37:38], v[39:40] offset0:116 offset1:117
	ds_read2_b64 v[97:100], v127 offset1:1
	s_waitcnt lgkmcnt(0)
	v_cmp_neq_f64_e32 vcc, 0, v[97:98]
	v_cmp_neq_f64_e64 s[2:3], 0, v[99:100]
	s_or_b64 s[2:3], vcc, s[2:3]
	s_and_b64 exec, exec, s[2:3]
	s_cbranch_execz .LBB117_53
; %bb.48:
	v_cmp_ngt_f64_e64 s[2:3], |v[97:98]|, |v[99:100]|
                                        ; implicit-def: $vgpr101_vgpr102
	s_and_saveexec_b64 s[6:7], s[2:3]
	s_xor_b64 s[2:3], exec, s[6:7]
                                        ; implicit-def: $vgpr103_vgpr104
	s_cbranch_execz .LBB117_50
; %bb.49:
	v_div_scale_f64 v[101:102], s[6:7], v[99:100], v[99:100], v[97:98]
	v_rcp_f64_e32 v[103:104], v[101:102]
	v_fma_f64 v[105:106], -v[101:102], v[103:104], 1.0
	v_fma_f64 v[103:104], v[103:104], v[105:106], v[103:104]
	v_div_scale_f64 v[105:106], vcc, v[97:98], v[99:100], v[97:98]
	v_fma_f64 v[107:108], -v[101:102], v[103:104], 1.0
	v_fma_f64 v[103:104], v[103:104], v[107:108], v[103:104]
	v_mul_f64 v[107:108], v[105:106], v[103:104]
	v_fma_f64 v[101:102], -v[101:102], v[107:108], v[105:106]
	v_div_fmas_f64 v[101:102], v[101:102], v[103:104], v[107:108]
	v_div_fixup_f64 v[101:102], v[101:102], v[99:100], v[97:98]
	v_fma_f64 v[97:98], v[97:98], v[101:102], v[99:100]
	v_div_scale_f64 v[99:100], s[6:7], v[97:98], v[97:98], 1.0
	v_div_scale_f64 v[107:108], vcc, 1.0, v[97:98], 1.0
	v_rcp_f64_e32 v[103:104], v[99:100]
	v_fma_f64 v[105:106], -v[99:100], v[103:104], 1.0
	v_fma_f64 v[103:104], v[103:104], v[105:106], v[103:104]
	v_fma_f64 v[105:106], -v[99:100], v[103:104], 1.0
	v_fma_f64 v[103:104], v[103:104], v[105:106], v[103:104]
	v_mul_f64 v[105:106], v[107:108], v[103:104]
	v_fma_f64 v[99:100], -v[99:100], v[105:106], v[107:108]
	v_div_fmas_f64 v[99:100], v[99:100], v[103:104], v[105:106]
	v_div_fixup_f64 v[103:104], v[99:100], v[97:98], 1.0
                                        ; implicit-def: $vgpr97_vgpr98
	v_mul_f64 v[101:102], v[101:102], v[103:104]
	v_xor_b32_e32 v104, 0x80000000, v104
.LBB117_50:
	s_andn2_saveexec_b64 s[2:3], s[2:3]
	s_cbranch_execz .LBB117_52
; %bb.51:
	v_div_scale_f64 v[101:102], s[6:7], v[97:98], v[97:98], v[99:100]
	v_rcp_f64_e32 v[103:104], v[101:102]
	v_fma_f64 v[105:106], -v[101:102], v[103:104], 1.0
	v_fma_f64 v[103:104], v[103:104], v[105:106], v[103:104]
	v_div_scale_f64 v[105:106], vcc, v[99:100], v[97:98], v[99:100]
	v_fma_f64 v[107:108], -v[101:102], v[103:104], 1.0
	v_fma_f64 v[103:104], v[103:104], v[107:108], v[103:104]
	v_mul_f64 v[107:108], v[105:106], v[103:104]
	v_fma_f64 v[101:102], -v[101:102], v[107:108], v[105:106]
	v_div_fmas_f64 v[101:102], v[101:102], v[103:104], v[107:108]
	v_div_fixup_f64 v[103:104], v[101:102], v[97:98], v[99:100]
	v_fma_f64 v[97:98], v[99:100], v[103:104], v[97:98]
	v_div_scale_f64 v[99:100], s[6:7], v[97:98], v[97:98], 1.0
	v_div_scale_f64 v[107:108], vcc, 1.0, v[97:98], 1.0
	v_rcp_f64_e32 v[101:102], v[99:100]
	v_fma_f64 v[105:106], -v[99:100], v[101:102], 1.0
	v_fma_f64 v[101:102], v[101:102], v[105:106], v[101:102]
	v_fma_f64 v[105:106], -v[99:100], v[101:102], 1.0
	v_fma_f64 v[101:102], v[101:102], v[105:106], v[101:102]
	v_mul_f64 v[105:106], v[107:108], v[101:102]
	v_fma_f64 v[99:100], -v[99:100], v[105:106], v[107:108]
	v_div_fmas_f64 v[99:100], v[99:100], v[101:102], v[105:106]
	v_div_fixup_f64 v[101:102], v[99:100], v[97:98], 1.0
	v_mul_f64 v[103:104], v[103:104], -v[101:102]
.LBB117_52:
	s_or_b64 exec, exec, s[2:3]
	ds_write2_b64 v127, v[101:102], v[103:104] offset1:1
.LBB117_53:
	s_or_b64 exec, exec, s[4:5]
	s_waitcnt lgkmcnt(0)
	s_barrier
	ds_read2_b64 v[37:40], v127 offset1:1
	v_cmp_lt_u32_e32 vcc, 5, v0
	s_waitcnt lgkmcnt(0)
	buffer_store_dword v37, off, s[20:23], 0 offset:1104 ; 4-byte Folded Spill
	s_nop 0
	buffer_store_dword v38, off, s[20:23], 0 offset:1108 ; 4-byte Folded Spill
	buffer_store_dword v39, off, s[20:23], 0 offset:1112 ; 4-byte Folded Spill
	;; [unrolled: 1-line block ×3, first 2 shown]
	s_and_saveexec_b64 s[2:3], vcc
	s_cbranch_execz .LBB117_55
; %bb.54:
	buffer_load_dword v103, off, s[20:23], 0 offset:464 ; 4-byte Folded Reload
	buffer_load_dword v104, off, s[20:23], 0 offset:468 ; 4-byte Folded Reload
	;; [unrolled: 1-line block ×8, first 2 shown]
	s_waitcnt vmcnt(2)
	v_mul_f64 v[99:100], v[37:38], v[105:106]
	s_waitcnt vmcnt(0)
	v_mul_f64 v[97:98], v[39:40], v[105:106]
	v_fma_f64 v[105:106], v[39:40], v[103:104], v[99:100]
	ds_read2_b64 v[99:102], v125 offset0:12 offset1:13
	v_fma_f64 v[97:98], v[37:38], v[103:104], -v[97:98]
	buffer_load_dword v37, off, s[20:23], 0 offset:448 ; 4-byte Folded Reload
	buffer_load_dword v38, off, s[20:23], 0 offset:452 ; 4-byte Folded Reload
	buffer_load_dword v39, off, s[20:23], 0 offset:456 ; 4-byte Folded Reload
	buffer_load_dword v40, off, s[20:23], 0 offset:460 ; 4-byte Folded Reload
	s_waitcnt lgkmcnt(0)
	v_mul_f64 v[103:104], v[101:102], v[105:106]
	v_fma_f64 v[103:104], v[99:100], v[97:98], -v[103:104]
	v_mul_f64 v[99:100], v[99:100], v[105:106]
	v_fma_f64 v[99:100], v[101:102], v[97:98], v[99:100]
	s_waitcnt vmcnt(2)
	v_add_f64 v[37:38], v[37:38], -v[103:104]
	s_waitcnt vmcnt(0)
	v_add_f64 v[39:40], v[39:40], -v[99:100]
	buffer_store_dword v37, off, s[20:23], 0 offset:448 ; 4-byte Folded Spill
	s_nop 0
	buffer_store_dword v38, off, s[20:23], 0 offset:452 ; 4-byte Folded Spill
	buffer_store_dword v39, off, s[20:23], 0 offset:456 ; 4-byte Folded Spill
	buffer_store_dword v40, off, s[20:23], 0 offset:460 ; 4-byte Folded Spill
	ds_read2_b64 v[99:102], v125 offset0:14 offset1:15
	buffer_load_dword v37, off, s[20:23], 0 offset:432 ; 4-byte Folded Reload
	buffer_load_dword v38, off, s[20:23], 0 offset:436 ; 4-byte Folded Reload
	buffer_load_dword v39, off, s[20:23], 0 offset:440 ; 4-byte Folded Reload
	buffer_load_dword v40, off, s[20:23], 0 offset:444 ; 4-byte Folded Reload
	s_waitcnt lgkmcnt(0)
	v_mul_f64 v[103:104], v[101:102], v[105:106]
	v_fma_f64 v[103:104], v[99:100], v[97:98], -v[103:104]
	v_mul_f64 v[99:100], v[99:100], v[105:106]
	v_fma_f64 v[99:100], v[101:102], v[97:98], v[99:100]
	s_waitcnt vmcnt(2)
	v_add_f64 v[37:38], v[37:38], -v[103:104]
	s_waitcnt vmcnt(0)
	v_add_f64 v[39:40], v[39:40], -v[99:100]
	buffer_store_dword v37, off, s[20:23], 0 offset:432 ; 4-byte Folded Spill
	s_nop 0
	buffer_store_dword v38, off, s[20:23], 0 offset:436 ; 4-byte Folded Spill
	buffer_store_dword v39, off, s[20:23], 0 offset:440 ; 4-byte Folded Spill
	buffer_store_dword v40, off, s[20:23], 0 offset:444 ; 4-byte Folded Spill
	ds_read2_b64 v[99:102], v125 offset0:16 offset1:17
	;; [unrolled: 19-line block ×26, first 2 shown]
	s_waitcnt lgkmcnt(0)
	v_mul_f64 v[103:104], v[101:102], v[105:106]
	v_fma_f64 v[103:104], v[99:100], v[97:98], -v[103:104]
	v_mul_f64 v[99:100], v[99:100], v[105:106]
	v_add_f64 v[93:94], v[93:94], -v[103:104]
	v_fma_f64 v[99:100], v[101:102], v[97:98], v[99:100]
	v_add_f64 v[95:96], v[95:96], -v[99:100]
	ds_read2_b64 v[99:102], v125 offset0:66 offset1:67
	s_waitcnt lgkmcnt(0)
	v_mul_f64 v[103:104], v[101:102], v[105:106]
	v_fma_f64 v[103:104], v[99:100], v[97:98], -v[103:104]
	v_mul_f64 v[99:100], v[99:100], v[105:106]
	v_add_f64 v[109:110], v[109:110], -v[103:104]
	v_fma_f64 v[99:100], v[101:102], v[97:98], v[99:100]
	v_add_f64 v[111:112], v[111:112], -v[99:100]
	ds_read2_b64 v[99:102], v125 offset0:68 offset1:69
	;; [unrolled: 8-line block ×16, first 2 shown]
	buffer_load_dword v37, off, s[20:23], 0 offset:32 ; 4-byte Folded Reload
	buffer_load_dword v38, off, s[20:23], 0 offset:36 ; 4-byte Folded Reload
	;; [unrolled: 1-line block ×4, first 2 shown]
	s_waitcnt lgkmcnt(0)
	v_mul_f64 v[103:104], v[101:102], v[105:106]
	v_fma_f64 v[103:104], v[99:100], v[97:98], -v[103:104]
	v_mul_f64 v[99:100], v[99:100], v[105:106]
	v_fma_f64 v[99:100], v[101:102], v[97:98], v[99:100]
	s_waitcnt vmcnt(2)
	v_add_f64 v[37:38], v[37:38], -v[103:104]
	s_waitcnt vmcnt(0)
	v_add_f64 v[39:40], v[39:40], -v[99:100]
	buffer_store_dword v37, off, s[20:23], 0 offset:32 ; 4-byte Folded Spill
	s_nop 0
	buffer_store_dword v38, off, s[20:23], 0 offset:36 ; 4-byte Folded Spill
	buffer_store_dword v39, off, s[20:23], 0 offset:40 ; 4-byte Folded Spill
	;; [unrolled: 1-line block ×3, first 2 shown]
	ds_read2_b64 v[99:102], v125 offset0:98 offset1:99
	buffer_load_dword v33, off, s[20:23], 0 offset:16 ; 4-byte Folded Reload
	buffer_load_dword v34, off, s[20:23], 0 offset:20 ; 4-byte Folded Reload
	;; [unrolled: 1-line block ×4, first 2 shown]
	s_waitcnt lgkmcnt(0)
	v_mul_f64 v[103:104], v[101:102], v[105:106]
	v_fma_f64 v[103:104], v[99:100], v[97:98], -v[103:104]
	v_mul_f64 v[99:100], v[99:100], v[105:106]
	v_fma_f64 v[99:100], v[101:102], v[97:98], v[99:100]
	s_waitcnt vmcnt(2)
	v_add_f64 v[33:34], v[33:34], -v[103:104]
	s_waitcnt vmcnt(0)
	v_add_f64 v[35:36], v[35:36], -v[99:100]
	buffer_store_dword v33, off, s[20:23], 0 offset:16 ; 4-byte Folded Spill
	s_nop 0
	buffer_store_dword v34, off, s[20:23], 0 offset:20 ; 4-byte Folded Spill
	buffer_store_dword v35, off, s[20:23], 0 offset:24 ; 4-byte Folded Spill
	;; [unrolled: 1-line block ×3, first 2 shown]
	ds_read2_b64 v[99:102], v125 offset0:100 offset1:101
	s_waitcnt lgkmcnt(0)
	v_mul_f64 v[103:104], v[101:102], v[105:106]
	v_fma_f64 v[103:104], v[99:100], v[97:98], -v[103:104]
	v_mul_f64 v[99:100], v[99:100], v[105:106]
	v_add_f64 v[29:30], v[29:30], -v[103:104]
	v_fma_f64 v[99:100], v[101:102], v[97:98], v[99:100]
	v_add_f64 v[31:32], v[31:32], -v[99:100]
	ds_read2_b64 v[99:102], v125 offset0:102 offset1:103
	s_waitcnt lgkmcnt(0)
	v_mul_f64 v[103:104], v[101:102], v[105:106]
	v_fma_f64 v[103:104], v[99:100], v[97:98], -v[103:104]
	v_mul_f64 v[99:100], v[99:100], v[105:106]
	v_add_f64 v[25:26], v[25:26], -v[103:104]
	v_fma_f64 v[99:100], v[101:102], v[97:98], v[99:100]
	v_add_f64 v[27:28], v[27:28], -v[99:100]
	;; [unrolled: 8-line block ×7, first 2 shown]
	ds_read2_b64 v[99:102], v125 offset0:114 offset1:115
	s_waitcnt lgkmcnt(0)
	v_mul_f64 v[103:104], v[101:102], v[105:106]
	v_fma_f64 v[103:104], v[99:100], v[97:98], -v[103:104]
	v_mul_f64 v[99:100], v[99:100], v[105:106]
	v_add_f64 v[1:2], v[1:2], -v[103:104]
	v_fma_f64 v[99:100], v[101:102], v[97:98], v[99:100]
	ds_read2_b64 v[101:104], v125 offset0:116 offset1:117
	buffer_load_dword v37, off, s[20:23], 0 ; 4-byte Folded Reload
	buffer_load_dword v38, off, s[20:23], 0 offset:4 ; 4-byte Folded Reload
	buffer_load_dword v39, off, s[20:23], 0 offset:8 ; 4-byte Folded Reload
	;; [unrolled: 1-line block ×3, first 2 shown]
	v_add_f64 v[3:4], v[3:4], -v[99:100]
	s_waitcnt lgkmcnt(0)
	v_mul_f64 v[99:100], v[103:104], v[105:106]
	v_fma_f64 v[99:100], v[101:102], v[97:98], -v[99:100]
	v_mul_f64 v[101:102], v[101:102], v[105:106]
	v_fma_f64 v[101:102], v[103:104], v[97:98], v[101:102]
	v_mov_b32_e32 v104, v98
	v_mov_b32_e32 v103, v97
	s_waitcnt vmcnt(2)
	v_add_f64 v[37:38], v[37:38], -v[99:100]
	s_waitcnt vmcnt(0)
	v_add_f64 v[39:40], v[39:40], -v[101:102]
	buffer_store_dword v37, off, s[20:23], 0 ; 4-byte Folded Spill
	s_nop 0
	buffer_store_dword v38, off, s[20:23], 0 offset:4 ; 4-byte Folded Spill
	buffer_store_dword v39, off, s[20:23], 0 offset:8 ; 4-byte Folded Spill
	;; [unrolled: 1-line block ×4, first 2 shown]
	s_nop 0
	buffer_store_dword v104, off, s[20:23], 0 offset:468 ; 4-byte Folded Spill
	buffer_store_dword v105, off, s[20:23], 0 offset:472 ; 4-byte Folded Spill
	;; [unrolled: 1-line block ×3, first 2 shown]
.LBB117_55:
	s_or_b64 exec, exec, s[2:3]
	v_cmp_eq_u32_e32 vcc, 6, v0
	s_waitcnt vmcnt(0)
	s_barrier
	s_and_saveexec_b64 s[4:5], vcc
	s_cbranch_execz .LBB117_62
; %bb.56:
	buffer_load_dword v37, off, s[20:23], 0 offset:448 ; 4-byte Folded Reload
	buffer_load_dword v38, off, s[20:23], 0 offset:452 ; 4-byte Folded Reload
	;; [unrolled: 1-line block ×4, first 2 shown]
	s_waitcnt vmcnt(0)
	ds_write2_b64 v127, v[37:38], v[39:40] offset1:1
	buffer_load_dword v37, off, s[20:23], 0 offset:432 ; 4-byte Folded Reload
	buffer_load_dword v38, off, s[20:23], 0 offset:436 ; 4-byte Folded Reload
	buffer_load_dword v39, off, s[20:23], 0 offset:440 ; 4-byte Folded Reload
	buffer_load_dword v40, off, s[20:23], 0 offset:444 ; 4-byte Folded Reload
	s_waitcnt vmcnt(0)
	ds_write2_b64 v125, v[37:38], v[39:40] offset0:14 offset1:15
	buffer_load_dword v37, off, s[20:23], 0 offset:416 ; 4-byte Folded Reload
	buffer_load_dword v38, off, s[20:23], 0 offset:420 ; 4-byte Folded Reload
	buffer_load_dword v39, off, s[20:23], 0 offset:424 ; 4-byte Folded Reload
	buffer_load_dword v40, off, s[20:23], 0 offset:428 ; 4-byte Folded Reload
	s_waitcnt vmcnt(0)
	ds_write2_b64 v125, v[37:38], v[39:40] offset0:16 offset1:17
	;; [unrolled: 6-line block ×25, first 2 shown]
	ds_write2_b64 v125, v[93:94], v[95:96] offset0:64 offset1:65
	ds_write2_b64 v125, v[109:110], v[111:112] offset0:66 offset1:67
	;; [unrolled: 1-line block ×16, first 2 shown]
	buffer_load_dword v37, off, s[20:23], 0 offset:32 ; 4-byte Folded Reload
	buffer_load_dword v38, off, s[20:23], 0 offset:36 ; 4-byte Folded Reload
	;; [unrolled: 1-line block ×4, first 2 shown]
	s_waitcnt vmcnt(0)
	ds_write2_b64 v125, v[37:38], v[39:40] offset0:96 offset1:97
	buffer_load_dword v33, off, s[20:23], 0 offset:16 ; 4-byte Folded Reload
	buffer_load_dword v34, off, s[20:23], 0 offset:20 ; 4-byte Folded Reload
	buffer_load_dword v35, off, s[20:23], 0 offset:24 ; 4-byte Folded Reload
	buffer_load_dword v36, off, s[20:23], 0 offset:28 ; 4-byte Folded Reload
	s_waitcnt vmcnt(0)
	ds_write2_b64 v125, v[33:34], v[35:36] offset0:98 offset1:99
	ds_write2_b64 v125, v[29:30], v[31:32] offset0:100 offset1:101
	;; [unrolled: 1-line block ×9, first 2 shown]
	buffer_load_dword v37, off, s[20:23], 0 ; 4-byte Folded Reload
	buffer_load_dword v38, off, s[20:23], 0 offset:4 ; 4-byte Folded Reload
	buffer_load_dword v39, off, s[20:23], 0 offset:8 ; 4-byte Folded Reload
	buffer_load_dword v40, off, s[20:23], 0 offset:12 ; 4-byte Folded Reload
	s_waitcnt vmcnt(0)
	ds_write2_b64 v125, v[37:38], v[39:40] offset0:116 offset1:117
	ds_read2_b64 v[97:100], v127 offset1:1
	s_waitcnt lgkmcnt(0)
	v_cmp_neq_f64_e32 vcc, 0, v[97:98]
	v_cmp_neq_f64_e64 s[2:3], 0, v[99:100]
	s_or_b64 s[2:3], vcc, s[2:3]
	s_and_b64 exec, exec, s[2:3]
	s_cbranch_execz .LBB117_62
; %bb.57:
	v_cmp_ngt_f64_e64 s[2:3], |v[97:98]|, |v[99:100]|
                                        ; implicit-def: $vgpr101_vgpr102
	s_and_saveexec_b64 s[6:7], s[2:3]
	s_xor_b64 s[2:3], exec, s[6:7]
                                        ; implicit-def: $vgpr103_vgpr104
	s_cbranch_execz .LBB117_59
; %bb.58:
	v_div_scale_f64 v[101:102], s[6:7], v[99:100], v[99:100], v[97:98]
	v_rcp_f64_e32 v[103:104], v[101:102]
	v_fma_f64 v[105:106], -v[101:102], v[103:104], 1.0
	v_fma_f64 v[103:104], v[103:104], v[105:106], v[103:104]
	v_div_scale_f64 v[105:106], vcc, v[97:98], v[99:100], v[97:98]
	v_fma_f64 v[107:108], -v[101:102], v[103:104], 1.0
	v_fma_f64 v[103:104], v[103:104], v[107:108], v[103:104]
	v_mul_f64 v[107:108], v[105:106], v[103:104]
	v_fma_f64 v[101:102], -v[101:102], v[107:108], v[105:106]
	v_div_fmas_f64 v[101:102], v[101:102], v[103:104], v[107:108]
	v_div_fixup_f64 v[101:102], v[101:102], v[99:100], v[97:98]
	v_fma_f64 v[97:98], v[97:98], v[101:102], v[99:100]
	v_div_scale_f64 v[99:100], s[6:7], v[97:98], v[97:98], 1.0
	v_div_scale_f64 v[107:108], vcc, 1.0, v[97:98], 1.0
	v_rcp_f64_e32 v[103:104], v[99:100]
	v_fma_f64 v[105:106], -v[99:100], v[103:104], 1.0
	v_fma_f64 v[103:104], v[103:104], v[105:106], v[103:104]
	v_fma_f64 v[105:106], -v[99:100], v[103:104], 1.0
	v_fma_f64 v[103:104], v[103:104], v[105:106], v[103:104]
	v_mul_f64 v[105:106], v[107:108], v[103:104]
	v_fma_f64 v[99:100], -v[99:100], v[105:106], v[107:108]
	v_div_fmas_f64 v[99:100], v[99:100], v[103:104], v[105:106]
	v_div_fixup_f64 v[103:104], v[99:100], v[97:98], 1.0
                                        ; implicit-def: $vgpr97_vgpr98
	v_mul_f64 v[101:102], v[101:102], v[103:104]
	v_xor_b32_e32 v104, 0x80000000, v104
.LBB117_59:
	s_andn2_saveexec_b64 s[2:3], s[2:3]
	s_cbranch_execz .LBB117_61
; %bb.60:
	v_div_scale_f64 v[101:102], s[6:7], v[97:98], v[97:98], v[99:100]
	v_rcp_f64_e32 v[103:104], v[101:102]
	v_fma_f64 v[105:106], -v[101:102], v[103:104], 1.0
	v_fma_f64 v[103:104], v[103:104], v[105:106], v[103:104]
	v_div_scale_f64 v[105:106], vcc, v[99:100], v[97:98], v[99:100]
	v_fma_f64 v[107:108], -v[101:102], v[103:104], 1.0
	v_fma_f64 v[103:104], v[103:104], v[107:108], v[103:104]
	v_mul_f64 v[107:108], v[105:106], v[103:104]
	v_fma_f64 v[101:102], -v[101:102], v[107:108], v[105:106]
	v_div_fmas_f64 v[101:102], v[101:102], v[103:104], v[107:108]
	v_div_fixup_f64 v[103:104], v[101:102], v[97:98], v[99:100]
	v_fma_f64 v[97:98], v[99:100], v[103:104], v[97:98]
	v_div_scale_f64 v[99:100], s[6:7], v[97:98], v[97:98], 1.0
	v_div_scale_f64 v[107:108], vcc, 1.0, v[97:98], 1.0
	v_rcp_f64_e32 v[101:102], v[99:100]
	v_fma_f64 v[105:106], -v[99:100], v[101:102], 1.0
	v_fma_f64 v[101:102], v[101:102], v[105:106], v[101:102]
	v_fma_f64 v[105:106], -v[99:100], v[101:102], 1.0
	v_fma_f64 v[101:102], v[101:102], v[105:106], v[101:102]
	v_mul_f64 v[105:106], v[107:108], v[101:102]
	v_fma_f64 v[99:100], -v[99:100], v[105:106], v[107:108]
	v_div_fmas_f64 v[99:100], v[99:100], v[101:102], v[105:106]
	v_div_fixup_f64 v[101:102], v[99:100], v[97:98], 1.0
	v_mul_f64 v[103:104], v[103:104], -v[101:102]
.LBB117_61:
	s_or_b64 exec, exec, s[2:3]
	ds_write2_b64 v127, v[101:102], v[103:104] offset1:1
.LBB117_62:
	s_or_b64 exec, exec, s[4:5]
	s_waitcnt lgkmcnt(0)
	s_barrier
	ds_read2_b64 v[37:40], v127 offset1:1
	v_cmp_lt_u32_e32 vcc, 6, v0
	s_waitcnt lgkmcnt(0)
	buffer_store_dword v37, off, s[20:23], 0 offset:1120 ; 4-byte Folded Spill
	s_nop 0
	buffer_store_dword v38, off, s[20:23], 0 offset:1124 ; 4-byte Folded Spill
	buffer_store_dword v39, off, s[20:23], 0 offset:1128 ; 4-byte Folded Spill
	;; [unrolled: 1-line block ×3, first 2 shown]
	s_and_saveexec_b64 s[2:3], vcc
	s_cbranch_execz .LBB117_64
; %bb.63:
	buffer_load_dword v103, off, s[20:23], 0 offset:448 ; 4-byte Folded Reload
	buffer_load_dword v104, off, s[20:23], 0 offset:452 ; 4-byte Folded Reload
	buffer_load_dword v105, off, s[20:23], 0 offset:456 ; 4-byte Folded Reload
	buffer_load_dword v106, off, s[20:23], 0 offset:460 ; 4-byte Folded Reload
	buffer_load_dword v37, off, s[20:23], 0 offset:1120 ; 4-byte Folded Reload
	buffer_load_dword v38, off, s[20:23], 0 offset:1124 ; 4-byte Folded Reload
	buffer_load_dword v39, off, s[20:23], 0 offset:1128 ; 4-byte Folded Reload
	buffer_load_dword v40, off, s[20:23], 0 offset:1132 ; 4-byte Folded Reload
	s_waitcnt vmcnt(2)
	v_mul_f64 v[99:100], v[37:38], v[105:106]
	s_waitcnt vmcnt(0)
	v_mul_f64 v[97:98], v[39:40], v[105:106]
	v_fma_f64 v[105:106], v[39:40], v[103:104], v[99:100]
	ds_read2_b64 v[99:102], v125 offset0:14 offset1:15
	v_fma_f64 v[97:98], v[37:38], v[103:104], -v[97:98]
	buffer_load_dword v37, off, s[20:23], 0 offset:432 ; 4-byte Folded Reload
	buffer_load_dword v38, off, s[20:23], 0 offset:436 ; 4-byte Folded Reload
	buffer_load_dword v39, off, s[20:23], 0 offset:440 ; 4-byte Folded Reload
	buffer_load_dword v40, off, s[20:23], 0 offset:444 ; 4-byte Folded Reload
	s_waitcnt lgkmcnt(0)
	v_mul_f64 v[103:104], v[101:102], v[105:106]
	v_fma_f64 v[103:104], v[99:100], v[97:98], -v[103:104]
	v_mul_f64 v[99:100], v[99:100], v[105:106]
	v_fma_f64 v[99:100], v[101:102], v[97:98], v[99:100]
	s_waitcnt vmcnt(2)
	v_add_f64 v[37:38], v[37:38], -v[103:104]
	s_waitcnt vmcnt(0)
	v_add_f64 v[39:40], v[39:40], -v[99:100]
	buffer_store_dword v37, off, s[20:23], 0 offset:432 ; 4-byte Folded Spill
	s_nop 0
	buffer_store_dword v38, off, s[20:23], 0 offset:436 ; 4-byte Folded Spill
	buffer_store_dword v39, off, s[20:23], 0 offset:440 ; 4-byte Folded Spill
	buffer_store_dword v40, off, s[20:23], 0 offset:444 ; 4-byte Folded Spill
	ds_read2_b64 v[99:102], v125 offset0:16 offset1:17
	buffer_load_dword v37, off, s[20:23], 0 offset:416 ; 4-byte Folded Reload
	buffer_load_dword v38, off, s[20:23], 0 offset:420 ; 4-byte Folded Reload
	buffer_load_dword v39, off, s[20:23], 0 offset:424 ; 4-byte Folded Reload
	buffer_load_dword v40, off, s[20:23], 0 offset:428 ; 4-byte Folded Reload
	s_waitcnt lgkmcnt(0)
	v_mul_f64 v[103:104], v[101:102], v[105:106]
	v_fma_f64 v[103:104], v[99:100], v[97:98], -v[103:104]
	v_mul_f64 v[99:100], v[99:100], v[105:106]
	v_fma_f64 v[99:100], v[101:102], v[97:98], v[99:100]
	s_waitcnt vmcnt(2)
	v_add_f64 v[37:38], v[37:38], -v[103:104]
	s_waitcnt vmcnt(0)
	v_add_f64 v[39:40], v[39:40], -v[99:100]
	buffer_store_dword v37, off, s[20:23], 0 offset:416 ; 4-byte Folded Spill
	s_nop 0
	buffer_store_dword v38, off, s[20:23], 0 offset:420 ; 4-byte Folded Spill
	buffer_store_dword v39, off, s[20:23], 0 offset:424 ; 4-byte Folded Spill
	buffer_store_dword v40, off, s[20:23], 0 offset:428 ; 4-byte Folded Spill
	ds_read2_b64 v[99:102], v125 offset0:18 offset1:19
	;; [unrolled: 19-line block ×25, first 2 shown]
	s_waitcnt lgkmcnt(0)
	v_mul_f64 v[103:104], v[101:102], v[105:106]
	v_fma_f64 v[103:104], v[99:100], v[97:98], -v[103:104]
	v_mul_f64 v[99:100], v[99:100], v[105:106]
	v_add_f64 v[93:94], v[93:94], -v[103:104]
	v_fma_f64 v[99:100], v[101:102], v[97:98], v[99:100]
	v_add_f64 v[95:96], v[95:96], -v[99:100]
	ds_read2_b64 v[99:102], v125 offset0:66 offset1:67
	s_waitcnt lgkmcnt(0)
	v_mul_f64 v[103:104], v[101:102], v[105:106]
	v_fma_f64 v[103:104], v[99:100], v[97:98], -v[103:104]
	v_mul_f64 v[99:100], v[99:100], v[105:106]
	v_add_f64 v[109:110], v[109:110], -v[103:104]
	v_fma_f64 v[99:100], v[101:102], v[97:98], v[99:100]
	v_add_f64 v[111:112], v[111:112], -v[99:100]
	ds_read2_b64 v[99:102], v125 offset0:68 offset1:69
	;; [unrolled: 8-line block ×16, first 2 shown]
	buffer_load_dword v37, off, s[20:23], 0 offset:32 ; 4-byte Folded Reload
	buffer_load_dword v38, off, s[20:23], 0 offset:36 ; 4-byte Folded Reload
	;; [unrolled: 1-line block ×4, first 2 shown]
	s_waitcnt lgkmcnt(0)
	v_mul_f64 v[103:104], v[101:102], v[105:106]
	v_fma_f64 v[103:104], v[99:100], v[97:98], -v[103:104]
	v_mul_f64 v[99:100], v[99:100], v[105:106]
	v_fma_f64 v[99:100], v[101:102], v[97:98], v[99:100]
	s_waitcnt vmcnt(2)
	v_add_f64 v[37:38], v[37:38], -v[103:104]
	s_waitcnt vmcnt(0)
	v_add_f64 v[39:40], v[39:40], -v[99:100]
	buffer_store_dword v37, off, s[20:23], 0 offset:32 ; 4-byte Folded Spill
	s_nop 0
	buffer_store_dword v38, off, s[20:23], 0 offset:36 ; 4-byte Folded Spill
	buffer_store_dword v39, off, s[20:23], 0 offset:40 ; 4-byte Folded Spill
	;; [unrolled: 1-line block ×3, first 2 shown]
	ds_read2_b64 v[99:102], v125 offset0:98 offset1:99
	buffer_load_dword v33, off, s[20:23], 0 offset:16 ; 4-byte Folded Reload
	buffer_load_dword v34, off, s[20:23], 0 offset:20 ; 4-byte Folded Reload
	;; [unrolled: 1-line block ×4, first 2 shown]
	s_waitcnt lgkmcnt(0)
	v_mul_f64 v[103:104], v[101:102], v[105:106]
	v_fma_f64 v[103:104], v[99:100], v[97:98], -v[103:104]
	v_mul_f64 v[99:100], v[99:100], v[105:106]
	v_fma_f64 v[99:100], v[101:102], v[97:98], v[99:100]
	s_waitcnt vmcnt(2)
	v_add_f64 v[33:34], v[33:34], -v[103:104]
	s_waitcnt vmcnt(0)
	v_add_f64 v[35:36], v[35:36], -v[99:100]
	buffer_store_dword v33, off, s[20:23], 0 offset:16 ; 4-byte Folded Spill
	s_nop 0
	buffer_store_dword v34, off, s[20:23], 0 offset:20 ; 4-byte Folded Spill
	buffer_store_dword v35, off, s[20:23], 0 offset:24 ; 4-byte Folded Spill
	;; [unrolled: 1-line block ×3, first 2 shown]
	ds_read2_b64 v[99:102], v125 offset0:100 offset1:101
	s_waitcnt lgkmcnt(0)
	v_mul_f64 v[103:104], v[101:102], v[105:106]
	v_fma_f64 v[103:104], v[99:100], v[97:98], -v[103:104]
	v_mul_f64 v[99:100], v[99:100], v[105:106]
	v_add_f64 v[29:30], v[29:30], -v[103:104]
	v_fma_f64 v[99:100], v[101:102], v[97:98], v[99:100]
	v_add_f64 v[31:32], v[31:32], -v[99:100]
	ds_read2_b64 v[99:102], v125 offset0:102 offset1:103
	s_waitcnt lgkmcnt(0)
	v_mul_f64 v[103:104], v[101:102], v[105:106]
	v_fma_f64 v[103:104], v[99:100], v[97:98], -v[103:104]
	v_mul_f64 v[99:100], v[99:100], v[105:106]
	v_add_f64 v[25:26], v[25:26], -v[103:104]
	v_fma_f64 v[99:100], v[101:102], v[97:98], v[99:100]
	v_add_f64 v[27:28], v[27:28], -v[99:100]
	ds_read2_b64 v[99:102], v125 offset0:104 offset1:105
	s_waitcnt lgkmcnt(0)
	v_mul_f64 v[103:104], v[101:102], v[105:106]
	v_fma_f64 v[103:104], v[99:100], v[97:98], -v[103:104]
	v_mul_f64 v[99:100], v[99:100], v[105:106]
	v_add_f64 v[21:22], v[21:22], -v[103:104]
	v_fma_f64 v[99:100], v[101:102], v[97:98], v[99:100]
	v_add_f64 v[23:24], v[23:24], -v[99:100]
	ds_read2_b64 v[99:102], v125 offset0:106 offset1:107
	s_waitcnt lgkmcnt(0)
	v_mul_f64 v[103:104], v[101:102], v[105:106]
	v_fma_f64 v[103:104], v[99:100], v[97:98], -v[103:104]
	v_mul_f64 v[99:100], v[99:100], v[105:106]
	v_add_f64 v[17:18], v[17:18], -v[103:104]
	v_fma_f64 v[99:100], v[101:102], v[97:98], v[99:100]
	v_add_f64 v[19:20], v[19:20], -v[99:100]
	ds_read2_b64 v[99:102], v125 offset0:108 offset1:109
	s_waitcnt lgkmcnt(0)
	v_mul_f64 v[103:104], v[101:102], v[105:106]
	v_fma_f64 v[103:104], v[99:100], v[97:98], -v[103:104]
	v_mul_f64 v[99:100], v[99:100], v[105:106]
	v_add_f64 v[13:14], v[13:14], -v[103:104]
	v_fma_f64 v[99:100], v[101:102], v[97:98], v[99:100]
	v_add_f64 v[15:16], v[15:16], -v[99:100]
	ds_read2_b64 v[99:102], v125 offset0:110 offset1:111
	s_waitcnt lgkmcnt(0)
	v_mul_f64 v[103:104], v[101:102], v[105:106]
	v_fma_f64 v[103:104], v[99:100], v[97:98], -v[103:104]
	v_mul_f64 v[99:100], v[99:100], v[105:106]
	v_add_f64 v[9:10], v[9:10], -v[103:104]
	v_fma_f64 v[99:100], v[101:102], v[97:98], v[99:100]
	v_add_f64 v[11:12], v[11:12], -v[99:100]
	ds_read2_b64 v[99:102], v125 offset0:112 offset1:113
	s_waitcnt lgkmcnt(0)
	v_mul_f64 v[103:104], v[101:102], v[105:106]
	v_fma_f64 v[103:104], v[99:100], v[97:98], -v[103:104]
	v_mul_f64 v[99:100], v[99:100], v[105:106]
	v_add_f64 v[5:6], v[5:6], -v[103:104]
	v_fma_f64 v[99:100], v[101:102], v[97:98], v[99:100]
	v_add_f64 v[7:8], v[7:8], -v[99:100]
	ds_read2_b64 v[99:102], v125 offset0:114 offset1:115
	s_waitcnt lgkmcnt(0)
	v_mul_f64 v[103:104], v[101:102], v[105:106]
	v_fma_f64 v[103:104], v[99:100], v[97:98], -v[103:104]
	v_mul_f64 v[99:100], v[99:100], v[105:106]
	v_add_f64 v[1:2], v[1:2], -v[103:104]
	v_fma_f64 v[99:100], v[101:102], v[97:98], v[99:100]
	ds_read2_b64 v[101:104], v125 offset0:116 offset1:117
	buffer_load_dword v37, off, s[20:23], 0 ; 4-byte Folded Reload
	buffer_load_dword v38, off, s[20:23], 0 offset:4 ; 4-byte Folded Reload
	buffer_load_dword v39, off, s[20:23], 0 offset:8 ; 4-byte Folded Reload
	;; [unrolled: 1-line block ×3, first 2 shown]
	v_add_f64 v[3:4], v[3:4], -v[99:100]
	s_waitcnt lgkmcnt(0)
	v_mul_f64 v[99:100], v[103:104], v[105:106]
	v_fma_f64 v[99:100], v[101:102], v[97:98], -v[99:100]
	v_mul_f64 v[101:102], v[101:102], v[105:106]
	v_fma_f64 v[101:102], v[103:104], v[97:98], v[101:102]
	v_mov_b32_e32 v104, v98
	v_mov_b32_e32 v103, v97
	s_waitcnt vmcnt(2)
	v_add_f64 v[37:38], v[37:38], -v[99:100]
	s_waitcnt vmcnt(0)
	v_add_f64 v[39:40], v[39:40], -v[101:102]
	buffer_store_dword v37, off, s[20:23], 0 ; 4-byte Folded Spill
	s_nop 0
	buffer_store_dword v38, off, s[20:23], 0 offset:4 ; 4-byte Folded Spill
	buffer_store_dword v39, off, s[20:23], 0 offset:8 ; 4-byte Folded Spill
	;; [unrolled: 1-line block ×4, first 2 shown]
	s_nop 0
	buffer_store_dword v104, off, s[20:23], 0 offset:452 ; 4-byte Folded Spill
	buffer_store_dword v105, off, s[20:23], 0 offset:456 ; 4-byte Folded Spill
	;; [unrolled: 1-line block ×3, first 2 shown]
.LBB117_64:
	s_or_b64 exec, exec, s[2:3]
	v_cmp_eq_u32_e32 vcc, 7, v0
	s_waitcnt vmcnt(0)
	s_barrier
	s_and_saveexec_b64 s[4:5], vcc
	s_cbranch_execz .LBB117_71
; %bb.65:
	buffer_load_dword v37, off, s[20:23], 0 offset:432 ; 4-byte Folded Reload
	buffer_load_dword v38, off, s[20:23], 0 offset:436 ; 4-byte Folded Reload
	;; [unrolled: 1-line block ×4, first 2 shown]
	s_waitcnt vmcnt(0)
	ds_write2_b64 v127, v[37:38], v[39:40] offset1:1
	buffer_load_dword v37, off, s[20:23], 0 offset:416 ; 4-byte Folded Reload
	buffer_load_dword v38, off, s[20:23], 0 offset:420 ; 4-byte Folded Reload
	buffer_load_dword v39, off, s[20:23], 0 offset:424 ; 4-byte Folded Reload
	buffer_load_dword v40, off, s[20:23], 0 offset:428 ; 4-byte Folded Reload
	s_waitcnt vmcnt(0)
	ds_write2_b64 v125, v[37:38], v[39:40] offset0:16 offset1:17
	buffer_load_dword v37, off, s[20:23], 0 offset:400 ; 4-byte Folded Reload
	buffer_load_dword v38, off, s[20:23], 0 offset:404 ; 4-byte Folded Reload
	buffer_load_dword v39, off, s[20:23], 0 offset:408 ; 4-byte Folded Reload
	buffer_load_dword v40, off, s[20:23], 0 offset:412 ; 4-byte Folded Reload
	s_waitcnt vmcnt(0)
	ds_write2_b64 v125, v[37:38], v[39:40] offset0:18 offset1:19
	;; [unrolled: 6-line block ×24, first 2 shown]
	ds_write2_b64 v125, v[93:94], v[95:96] offset0:64 offset1:65
	ds_write2_b64 v125, v[109:110], v[111:112] offset0:66 offset1:67
	;; [unrolled: 1-line block ×16, first 2 shown]
	buffer_load_dword v37, off, s[20:23], 0 offset:32 ; 4-byte Folded Reload
	buffer_load_dword v38, off, s[20:23], 0 offset:36 ; 4-byte Folded Reload
	;; [unrolled: 1-line block ×4, first 2 shown]
	s_waitcnt vmcnt(0)
	ds_write2_b64 v125, v[37:38], v[39:40] offset0:96 offset1:97
	buffer_load_dword v33, off, s[20:23], 0 offset:16 ; 4-byte Folded Reload
	buffer_load_dword v34, off, s[20:23], 0 offset:20 ; 4-byte Folded Reload
	;; [unrolled: 1-line block ×4, first 2 shown]
	s_waitcnt vmcnt(0)
	ds_write2_b64 v125, v[33:34], v[35:36] offset0:98 offset1:99
	ds_write2_b64 v125, v[29:30], v[31:32] offset0:100 offset1:101
	;; [unrolled: 1-line block ×9, first 2 shown]
	buffer_load_dword v37, off, s[20:23], 0 ; 4-byte Folded Reload
	buffer_load_dword v38, off, s[20:23], 0 offset:4 ; 4-byte Folded Reload
	buffer_load_dword v39, off, s[20:23], 0 offset:8 ; 4-byte Folded Reload
	;; [unrolled: 1-line block ×3, first 2 shown]
	s_waitcnt vmcnt(0)
	ds_write2_b64 v125, v[37:38], v[39:40] offset0:116 offset1:117
	ds_read2_b64 v[97:100], v127 offset1:1
	s_waitcnt lgkmcnt(0)
	v_cmp_neq_f64_e32 vcc, 0, v[97:98]
	v_cmp_neq_f64_e64 s[2:3], 0, v[99:100]
	s_or_b64 s[2:3], vcc, s[2:3]
	s_and_b64 exec, exec, s[2:3]
	s_cbranch_execz .LBB117_71
; %bb.66:
	v_cmp_ngt_f64_e64 s[2:3], |v[97:98]|, |v[99:100]|
                                        ; implicit-def: $vgpr101_vgpr102
	s_and_saveexec_b64 s[6:7], s[2:3]
	s_xor_b64 s[2:3], exec, s[6:7]
                                        ; implicit-def: $vgpr103_vgpr104
	s_cbranch_execz .LBB117_68
; %bb.67:
	v_div_scale_f64 v[101:102], s[6:7], v[99:100], v[99:100], v[97:98]
	v_rcp_f64_e32 v[103:104], v[101:102]
	v_fma_f64 v[105:106], -v[101:102], v[103:104], 1.0
	v_fma_f64 v[103:104], v[103:104], v[105:106], v[103:104]
	v_div_scale_f64 v[105:106], vcc, v[97:98], v[99:100], v[97:98]
	v_fma_f64 v[107:108], -v[101:102], v[103:104], 1.0
	v_fma_f64 v[103:104], v[103:104], v[107:108], v[103:104]
	v_mul_f64 v[107:108], v[105:106], v[103:104]
	v_fma_f64 v[101:102], -v[101:102], v[107:108], v[105:106]
	v_div_fmas_f64 v[101:102], v[101:102], v[103:104], v[107:108]
	v_div_fixup_f64 v[101:102], v[101:102], v[99:100], v[97:98]
	v_fma_f64 v[97:98], v[97:98], v[101:102], v[99:100]
	v_div_scale_f64 v[99:100], s[6:7], v[97:98], v[97:98], 1.0
	v_div_scale_f64 v[107:108], vcc, 1.0, v[97:98], 1.0
	v_rcp_f64_e32 v[103:104], v[99:100]
	v_fma_f64 v[105:106], -v[99:100], v[103:104], 1.0
	v_fma_f64 v[103:104], v[103:104], v[105:106], v[103:104]
	v_fma_f64 v[105:106], -v[99:100], v[103:104], 1.0
	v_fma_f64 v[103:104], v[103:104], v[105:106], v[103:104]
	v_mul_f64 v[105:106], v[107:108], v[103:104]
	v_fma_f64 v[99:100], -v[99:100], v[105:106], v[107:108]
	v_div_fmas_f64 v[99:100], v[99:100], v[103:104], v[105:106]
	v_div_fixup_f64 v[103:104], v[99:100], v[97:98], 1.0
                                        ; implicit-def: $vgpr97_vgpr98
	v_mul_f64 v[101:102], v[101:102], v[103:104]
	v_xor_b32_e32 v104, 0x80000000, v104
.LBB117_68:
	s_andn2_saveexec_b64 s[2:3], s[2:3]
	s_cbranch_execz .LBB117_70
; %bb.69:
	v_div_scale_f64 v[101:102], s[6:7], v[97:98], v[97:98], v[99:100]
	v_rcp_f64_e32 v[103:104], v[101:102]
	v_fma_f64 v[105:106], -v[101:102], v[103:104], 1.0
	v_fma_f64 v[103:104], v[103:104], v[105:106], v[103:104]
	v_div_scale_f64 v[105:106], vcc, v[99:100], v[97:98], v[99:100]
	v_fma_f64 v[107:108], -v[101:102], v[103:104], 1.0
	v_fma_f64 v[103:104], v[103:104], v[107:108], v[103:104]
	v_mul_f64 v[107:108], v[105:106], v[103:104]
	v_fma_f64 v[101:102], -v[101:102], v[107:108], v[105:106]
	v_div_fmas_f64 v[101:102], v[101:102], v[103:104], v[107:108]
	v_div_fixup_f64 v[103:104], v[101:102], v[97:98], v[99:100]
	v_fma_f64 v[97:98], v[99:100], v[103:104], v[97:98]
	v_div_scale_f64 v[99:100], s[6:7], v[97:98], v[97:98], 1.0
	v_div_scale_f64 v[107:108], vcc, 1.0, v[97:98], 1.0
	v_rcp_f64_e32 v[101:102], v[99:100]
	v_fma_f64 v[105:106], -v[99:100], v[101:102], 1.0
	v_fma_f64 v[101:102], v[101:102], v[105:106], v[101:102]
	v_fma_f64 v[105:106], -v[99:100], v[101:102], 1.0
	v_fma_f64 v[101:102], v[101:102], v[105:106], v[101:102]
	v_mul_f64 v[105:106], v[107:108], v[101:102]
	v_fma_f64 v[99:100], -v[99:100], v[105:106], v[107:108]
	v_div_fmas_f64 v[99:100], v[99:100], v[101:102], v[105:106]
	v_div_fixup_f64 v[101:102], v[99:100], v[97:98], 1.0
	v_mul_f64 v[103:104], v[103:104], -v[101:102]
.LBB117_70:
	s_or_b64 exec, exec, s[2:3]
	ds_write2_b64 v127, v[101:102], v[103:104] offset1:1
.LBB117_71:
	s_or_b64 exec, exec, s[4:5]
	s_waitcnt lgkmcnt(0)
	s_barrier
	ds_read2_b64 v[37:40], v127 offset1:1
	v_cmp_lt_u32_e32 vcc, 7, v0
	s_waitcnt lgkmcnt(0)
	buffer_store_dword v37, off, s[20:23], 0 offset:1136 ; 4-byte Folded Spill
	s_nop 0
	buffer_store_dword v38, off, s[20:23], 0 offset:1140 ; 4-byte Folded Spill
	buffer_store_dword v39, off, s[20:23], 0 offset:1144 ; 4-byte Folded Spill
	;; [unrolled: 1-line block ×3, first 2 shown]
	s_and_saveexec_b64 s[2:3], vcc
	s_cbranch_execz .LBB117_73
; %bb.72:
	buffer_load_dword v103, off, s[20:23], 0 offset:432 ; 4-byte Folded Reload
	buffer_load_dword v104, off, s[20:23], 0 offset:436 ; 4-byte Folded Reload
	;; [unrolled: 1-line block ×8, first 2 shown]
	s_waitcnt vmcnt(2)
	v_mul_f64 v[99:100], v[37:38], v[105:106]
	s_waitcnt vmcnt(0)
	v_mul_f64 v[97:98], v[39:40], v[105:106]
	v_fma_f64 v[105:106], v[39:40], v[103:104], v[99:100]
	ds_read2_b64 v[99:102], v125 offset0:16 offset1:17
	v_fma_f64 v[97:98], v[37:38], v[103:104], -v[97:98]
	buffer_load_dword v37, off, s[20:23], 0 offset:416 ; 4-byte Folded Reload
	buffer_load_dword v38, off, s[20:23], 0 offset:420 ; 4-byte Folded Reload
	buffer_load_dword v39, off, s[20:23], 0 offset:424 ; 4-byte Folded Reload
	buffer_load_dword v40, off, s[20:23], 0 offset:428 ; 4-byte Folded Reload
	s_waitcnt lgkmcnt(0)
	v_mul_f64 v[103:104], v[101:102], v[105:106]
	v_fma_f64 v[103:104], v[99:100], v[97:98], -v[103:104]
	v_mul_f64 v[99:100], v[99:100], v[105:106]
	v_fma_f64 v[99:100], v[101:102], v[97:98], v[99:100]
	s_waitcnt vmcnt(2)
	v_add_f64 v[37:38], v[37:38], -v[103:104]
	s_waitcnt vmcnt(0)
	v_add_f64 v[39:40], v[39:40], -v[99:100]
	buffer_store_dword v37, off, s[20:23], 0 offset:416 ; 4-byte Folded Spill
	s_nop 0
	buffer_store_dword v38, off, s[20:23], 0 offset:420 ; 4-byte Folded Spill
	buffer_store_dword v39, off, s[20:23], 0 offset:424 ; 4-byte Folded Spill
	buffer_store_dword v40, off, s[20:23], 0 offset:428 ; 4-byte Folded Spill
	ds_read2_b64 v[99:102], v125 offset0:18 offset1:19
	buffer_load_dword v37, off, s[20:23], 0 offset:400 ; 4-byte Folded Reload
	buffer_load_dword v38, off, s[20:23], 0 offset:404 ; 4-byte Folded Reload
	buffer_load_dword v39, off, s[20:23], 0 offset:408 ; 4-byte Folded Reload
	buffer_load_dword v40, off, s[20:23], 0 offset:412 ; 4-byte Folded Reload
	s_waitcnt lgkmcnt(0)
	v_mul_f64 v[103:104], v[101:102], v[105:106]
	v_fma_f64 v[103:104], v[99:100], v[97:98], -v[103:104]
	v_mul_f64 v[99:100], v[99:100], v[105:106]
	v_fma_f64 v[99:100], v[101:102], v[97:98], v[99:100]
	s_waitcnt vmcnt(2)
	v_add_f64 v[37:38], v[37:38], -v[103:104]
	s_waitcnt vmcnt(0)
	v_add_f64 v[39:40], v[39:40], -v[99:100]
	buffer_store_dword v37, off, s[20:23], 0 offset:400 ; 4-byte Folded Spill
	s_nop 0
	buffer_store_dword v38, off, s[20:23], 0 offset:404 ; 4-byte Folded Spill
	buffer_store_dword v39, off, s[20:23], 0 offset:408 ; 4-byte Folded Spill
	buffer_store_dword v40, off, s[20:23], 0 offset:412 ; 4-byte Folded Spill
	ds_read2_b64 v[99:102], v125 offset0:20 offset1:21
	buffer_load_dword v37, off, s[20:23], 0 offset:384 ; 4-byte Folded Reload
	buffer_load_dword v38, off, s[20:23], 0 offset:388 ; 4-byte Folded Reload
	buffer_load_dword v39, off, s[20:23], 0 offset:392 ; 4-byte Folded Reload
	buffer_load_dword v40, off, s[20:23], 0 offset:396 ; 4-byte Folded Reload
	s_waitcnt lgkmcnt(0)
	v_mul_f64 v[103:104], v[101:102], v[105:106]
	v_fma_f64 v[103:104], v[99:100], v[97:98], -v[103:104]
	v_mul_f64 v[99:100], v[99:100], v[105:106]
	v_fma_f64 v[99:100], v[101:102], v[97:98], v[99:100]
	s_waitcnt vmcnt(2)
	v_add_f64 v[37:38], v[37:38], -v[103:104]
	s_waitcnt vmcnt(0)
	v_add_f64 v[39:40], v[39:40], -v[99:100]
	buffer_store_dword v37, off, s[20:23], 0 offset:384 ; 4-byte Folded Spill
	s_nop 0
	buffer_store_dword v38, off, s[20:23], 0 offset:388 ; 4-byte Folded Spill
	buffer_store_dword v39, off, s[20:23], 0 offset:392 ; 4-byte Folded Spill
	buffer_store_dword v40, off, s[20:23], 0 offset:396 ; 4-byte Folded Spill
	ds_read2_b64 v[99:102], v125 offset0:22 offset1:23
	buffer_load_dword v37, off, s[20:23], 0 offset:368 ; 4-byte Folded Reload
	buffer_load_dword v38, off, s[20:23], 0 offset:372 ; 4-byte Folded Reload
	buffer_load_dword v39, off, s[20:23], 0 offset:376 ; 4-byte Folded Reload
	buffer_load_dword v40, off, s[20:23], 0 offset:380 ; 4-byte Folded Reload
	s_waitcnt lgkmcnt(0)
	v_mul_f64 v[103:104], v[101:102], v[105:106]
	v_fma_f64 v[103:104], v[99:100], v[97:98], -v[103:104]
	v_mul_f64 v[99:100], v[99:100], v[105:106]
	v_fma_f64 v[99:100], v[101:102], v[97:98], v[99:100]
	s_waitcnt vmcnt(2)
	v_add_f64 v[37:38], v[37:38], -v[103:104]
	s_waitcnt vmcnt(0)
	v_add_f64 v[39:40], v[39:40], -v[99:100]
	buffer_store_dword v37, off, s[20:23], 0 offset:368 ; 4-byte Folded Spill
	s_nop 0
	buffer_store_dword v38, off, s[20:23], 0 offset:372 ; 4-byte Folded Spill
	buffer_store_dword v39, off, s[20:23], 0 offset:376 ; 4-byte Folded Spill
	buffer_store_dword v40, off, s[20:23], 0 offset:380 ; 4-byte Folded Spill
	ds_read2_b64 v[99:102], v125 offset0:24 offset1:25
	buffer_load_dword v37, off, s[20:23], 0 offset:352 ; 4-byte Folded Reload
	buffer_load_dword v38, off, s[20:23], 0 offset:356 ; 4-byte Folded Reload
	buffer_load_dword v39, off, s[20:23], 0 offset:360 ; 4-byte Folded Reload
	buffer_load_dword v40, off, s[20:23], 0 offset:364 ; 4-byte Folded Reload
	s_waitcnt lgkmcnt(0)
	v_mul_f64 v[103:104], v[101:102], v[105:106]
	v_fma_f64 v[103:104], v[99:100], v[97:98], -v[103:104]
	v_mul_f64 v[99:100], v[99:100], v[105:106]
	v_fma_f64 v[99:100], v[101:102], v[97:98], v[99:100]
	s_waitcnt vmcnt(2)
	v_add_f64 v[37:38], v[37:38], -v[103:104]
	s_waitcnt vmcnt(0)
	v_add_f64 v[39:40], v[39:40], -v[99:100]
	buffer_store_dword v37, off, s[20:23], 0 offset:352 ; 4-byte Folded Spill
	s_nop 0
	buffer_store_dword v38, off, s[20:23], 0 offset:356 ; 4-byte Folded Spill
	buffer_store_dword v39, off, s[20:23], 0 offset:360 ; 4-byte Folded Spill
	buffer_store_dword v40, off, s[20:23], 0 offset:364 ; 4-byte Folded Spill
	ds_read2_b64 v[99:102], v125 offset0:26 offset1:27
	buffer_load_dword v37, off, s[20:23], 0 offset:336 ; 4-byte Folded Reload
	buffer_load_dword v38, off, s[20:23], 0 offset:340 ; 4-byte Folded Reload
	buffer_load_dword v39, off, s[20:23], 0 offset:344 ; 4-byte Folded Reload
	buffer_load_dword v40, off, s[20:23], 0 offset:348 ; 4-byte Folded Reload
	s_waitcnt lgkmcnt(0)
	v_mul_f64 v[103:104], v[101:102], v[105:106]
	v_fma_f64 v[103:104], v[99:100], v[97:98], -v[103:104]
	v_mul_f64 v[99:100], v[99:100], v[105:106]
	v_fma_f64 v[99:100], v[101:102], v[97:98], v[99:100]
	s_waitcnt vmcnt(2)
	v_add_f64 v[37:38], v[37:38], -v[103:104]
	s_waitcnt vmcnt(0)
	v_add_f64 v[39:40], v[39:40], -v[99:100]
	buffer_store_dword v37, off, s[20:23], 0 offset:336 ; 4-byte Folded Spill
	s_nop 0
	buffer_store_dword v38, off, s[20:23], 0 offset:340 ; 4-byte Folded Spill
	buffer_store_dword v39, off, s[20:23], 0 offset:344 ; 4-byte Folded Spill
	buffer_store_dword v40, off, s[20:23], 0 offset:348 ; 4-byte Folded Spill
	ds_read2_b64 v[99:102], v125 offset0:28 offset1:29
	buffer_load_dword v37, off, s[20:23], 0 offset:320 ; 4-byte Folded Reload
	buffer_load_dword v38, off, s[20:23], 0 offset:324 ; 4-byte Folded Reload
	buffer_load_dword v39, off, s[20:23], 0 offset:328 ; 4-byte Folded Reload
	buffer_load_dword v40, off, s[20:23], 0 offset:332 ; 4-byte Folded Reload
	s_waitcnt lgkmcnt(0)
	v_mul_f64 v[103:104], v[101:102], v[105:106]
	v_fma_f64 v[103:104], v[99:100], v[97:98], -v[103:104]
	v_mul_f64 v[99:100], v[99:100], v[105:106]
	v_fma_f64 v[99:100], v[101:102], v[97:98], v[99:100]
	s_waitcnt vmcnt(2)
	v_add_f64 v[37:38], v[37:38], -v[103:104]
	s_waitcnt vmcnt(0)
	v_add_f64 v[39:40], v[39:40], -v[99:100]
	buffer_store_dword v37, off, s[20:23], 0 offset:320 ; 4-byte Folded Spill
	s_nop 0
	buffer_store_dword v38, off, s[20:23], 0 offset:324 ; 4-byte Folded Spill
	buffer_store_dword v39, off, s[20:23], 0 offset:328 ; 4-byte Folded Spill
	buffer_store_dword v40, off, s[20:23], 0 offset:332 ; 4-byte Folded Spill
	ds_read2_b64 v[99:102], v125 offset0:30 offset1:31
	buffer_load_dword v37, off, s[20:23], 0 offset:304 ; 4-byte Folded Reload
	buffer_load_dword v38, off, s[20:23], 0 offset:308 ; 4-byte Folded Reload
	buffer_load_dword v39, off, s[20:23], 0 offset:312 ; 4-byte Folded Reload
	buffer_load_dword v40, off, s[20:23], 0 offset:316 ; 4-byte Folded Reload
	s_waitcnt lgkmcnt(0)
	v_mul_f64 v[103:104], v[101:102], v[105:106]
	v_fma_f64 v[103:104], v[99:100], v[97:98], -v[103:104]
	v_mul_f64 v[99:100], v[99:100], v[105:106]
	v_fma_f64 v[99:100], v[101:102], v[97:98], v[99:100]
	s_waitcnt vmcnt(2)
	v_add_f64 v[37:38], v[37:38], -v[103:104]
	s_waitcnt vmcnt(0)
	v_add_f64 v[39:40], v[39:40], -v[99:100]
	buffer_store_dword v37, off, s[20:23], 0 offset:304 ; 4-byte Folded Spill
	s_nop 0
	buffer_store_dword v38, off, s[20:23], 0 offset:308 ; 4-byte Folded Spill
	buffer_store_dword v39, off, s[20:23], 0 offset:312 ; 4-byte Folded Spill
	buffer_store_dword v40, off, s[20:23], 0 offset:316 ; 4-byte Folded Spill
	ds_read2_b64 v[99:102], v125 offset0:32 offset1:33
	buffer_load_dword v37, off, s[20:23], 0 offset:288 ; 4-byte Folded Reload
	buffer_load_dword v38, off, s[20:23], 0 offset:292 ; 4-byte Folded Reload
	buffer_load_dword v39, off, s[20:23], 0 offset:296 ; 4-byte Folded Reload
	buffer_load_dword v40, off, s[20:23], 0 offset:300 ; 4-byte Folded Reload
	s_waitcnt lgkmcnt(0)
	v_mul_f64 v[103:104], v[101:102], v[105:106]
	v_fma_f64 v[103:104], v[99:100], v[97:98], -v[103:104]
	v_mul_f64 v[99:100], v[99:100], v[105:106]
	v_fma_f64 v[99:100], v[101:102], v[97:98], v[99:100]
	s_waitcnt vmcnt(2)
	v_add_f64 v[37:38], v[37:38], -v[103:104]
	s_waitcnt vmcnt(0)
	v_add_f64 v[39:40], v[39:40], -v[99:100]
	buffer_store_dword v37, off, s[20:23], 0 offset:288 ; 4-byte Folded Spill
	s_nop 0
	buffer_store_dword v38, off, s[20:23], 0 offset:292 ; 4-byte Folded Spill
	buffer_store_dword v39, off, s[20:23], 0 offset:296 ; 4-byte Folded Spill
	buffer_store_dword v40, off, s[20:23], 0 offset:300 ; 4-byte Folded Spill
	ds_read2_b64 v[99:102], v125 offset0:34 offset1:35
	buffer_load_dword v37, off, s[20:23], 0 offset:272 ; 4-byte Folded Reload
	buffer_load_dword v38, off, s[20:23], 0 offset:276 ; 4-byte Folded Reload
	buffer_load_dword v39, off, s[20:23], 0 offset:280 ; 4-byte Folded Reload
	buffer_load_dword v40, off, s[20:23], 0 offset:284 ; 4-byte Folded Reload
	s_waitcnt lgkmcnt(0)
	v_mul_f64 v[103:104], v[101:102], v[105:106]
	v_fma_f64 v[103:104], v[99:100], v[97:98], -v[103:104]
	v_mul_f64 v[99:100], v[99:100], v[105:106]
	v_fma_f64 v[99:100], v[101:102], v[97:98], v[99:100]
	s_waitcnt vmcnt(2)
	v_add_f64 v[37:38], v[37:38], -v[103:104]
	s_waitcnt vmcnt(0)
	v_add_f64 v[39:40], v[39:40], -v[99:100]
	buffer_store_dword v37, off, s[20:23], 0 offset:272 ; 4-byte Folded Spill
	s_nop 0
	buffer_store_dword v38, off, s[20:23], 0 offset:276 ; 4-byte Folded Spill
	buffer_store_dword v39, off, s[20:23], 0 offset:280 ; 4-byte Folded Spill
	buffer_store_dword v40, off, s[20:23], 0 offset:284 ; 4-byte Folded Spill
	ds_read2_b64 v[99:102], v125 offset0:36 offset1:37
	buffer_load_dword v37, off, s[20:23], 0 offset:256 ; 4-byte Folded Reload
	buffer_load_dword v38, off, s[20:23], 0 offset:260 ; 4-byte Folded Reload
	buffer_load_dword v39, off, s[20:23], 0 offset:264 ; 4-byte Folded Reload
	buffer_load_dword v40, off, s[20:23], 0 offset:268 ; 4-byte Folded Reload
	s_waitcnt lgkmcnt(0)
	v_mul_f64 v[103:104], v[101:102], v[105:106]
	v_fma_f64 v[103:104], v[99:100], v[97:98], -v[103:104]
	v_mul_f64 v[99:100], v[99:100], v[105:106]
	v_fma_f64 v[99:100], v[101:102], v[97:98], v[99:100]
	s_waitcnt vmcnt(2)
	v_add_f64 v[37:38], v[37:38], -v[103:104]
	s_waitcnt vmcnt(0)
	v_add_f64 v[39:40], v[39:40], -v[99:100]
	buffer_store_dword v37, off, s[20:23], 0 offset:256 ; 4-byte Folded Spill
	s_nop 0
	buffer_store_dword v38, off, s[20:23], 0 offset:260 ; 4-byte Folded Spill
	buffer_store_dword v39, off, s[20:23], 0 offset:264 ; 4-byte Folded Spill
	buffer_store_dword v40, off, s[20:23], 0 offset:268 ; 4-byte Folded Spill
	ds_read2_b64 v[99:102], v125 offset0:38 offset1:39
	buffer_load_dword v37, off, s[20:23], 0 offset:240 ; 4-byte Folded Reload
	buffer_load_dword v38, off, s[20:23], 0 offset:244 ; 4-byte Folded Reload
	buffer_load_dword v39, off, s[20:23], 0 offset:248 ; 4-byte Folded Reload
	buffer_load_dword v40, off, s[20:23], 0 offset:252 ; 4-byte Folded Reload
	s_waitcnt lgkmcnt(0)
	v_mul_f64 v[103:104], v[101:102], v[105:106]
	v_fma_f64 v[103:104], v[99:100], v[97:98], -v[103:104]
	v_mul_f64 v[99:100], v[99:100], v[105:106]
	v_fma_f64 v[99:100], v[101:102], v[97:98], v[99:100]
	s_waitcnt vmcnt(2)
	v_add_f64 v[37:38], v[37:38], -v[103:104]
	s_waitcnt vmcnt(0)
	v_add_f64 v[39:40], v[39:40], -v[99:100]
	buffer_store_dword v37, off, s[20:23], 0 offset:240 ; 4-byte Folded Spill
	s_nop 0
	buffer_store_dword v38, off, s[20:23], 0 offset:244 ; 4-byte Folded Spill
	buffer_store_dword v39, off, s[20:23], 0 offset:248 ; 4-byte Folded Spill
	buffer_store_dword v40, off, s[20:23], 0 offset:252 ; 4-byte Folded Spill
	ds_read2_b64 v[99:102], v125 offset0:40 offset1:41
	buffer_load_dword v37, off, s[20:23], 0 offset:224 ; 4-byte Folded Reload
	buffer_load_dword v38, off, s[20:23], 0 offset:228 ; 4-byte Folded Reload
	buffer_load_dword v39, off, s[20:23], 0 offset:232 ; 4-byte Folded Reload
	buffer_load_dword v40, off, s[20:23], 0 offset:236 ; 4-byte Folded Reload
	s_waitcnt lgkmcnt(0)
	v_mul_f64 v[103:104], v[101:102], v[105:106]
	v_fma_f64 v[103:104], v[99:100], v[97:98], -v[103:104]
	v_mul_f64 v[99:100], v[99:100], v[105:106]
	v_fma_f64 v[99:100], v[101:102], v[97:98], v[99:100]
	s_waitcnt vmcnt(2)
	v_add_f64 v[37:38], v[37:38], -v[103:104]
	s_waitcnt vmcnt(0)
	v_add_f64 v[39:40], v[39:40], -v[99:100]
	buffer_store_dword v37, off, s[20:23], 0 offset:224 ; 4-byte Folded Spill
	s_nop 0
	buffer_store_dword v38, off, s[20:23], 0 offset:228 ; 4-byte Folded Spill
	buffer_store_dword v39, off, s[20:23], 0 offset:232 ; 4-byte Folded Spill
	buffer_store_dword v40, off, s[20:23], 0 offset:236 ; 4-byte Folded Spill
	ds_read2_b64 v[99:102], v125 offset0:42 offset1:43
	buffer_load_dword v37, off, s[20:23], 0 offset:208 ; 4-byte Folded Reload
	buffer_load_dword v38, off, s[20:23], 0 offset:212 ; 4-byte Folded Reload
	buffer_load_dword v39, off, s[20:23], 0 offset:216 ; 4-byte Folded Reload
	buffer_load_dword v40, off, s[20:23], 0 offset:220 ; 4-byte Folded Reload
	s_waitcnt lgkmcnt(0)
	v_mul_f64 v[103:104], v[101:102], v[105:106]
	v_fma_f64 v[103:104], v[99:100], v[97:98], -v[103:104]
	v_mul_f64 v[99:100], v[99:100], v[105:106]
	v_fma_f64 v[99:100], v[101:102], v[97:98], v[99:100]
	s_waitcnt vmcnt(2)
	v_add_f64 v[37:38], v[37:38], -v[103:104]
	s_waitcnt vmcnt(0)
	v_add_f64 v[39:40], v[39:40], -v[99:100]
	buffer_store_dword v37, off, s[20:23], 0 offset:208 ; 4-byte Folded Spill
	s_nop 0
	buffer_store_dword v38, off, s[20:23], 0 offset:212 ; 4-byte Folded Spill
	buffer_store_dword v39, off, s[20:23], 0 offset:216 ; 4-byte Folded Spill
	buffer_store_dword v40, off, s[20:23], 0 offset:220 ; 4-byte Folded Spill
	ds_read2_b64 v[99:102], v125 offset0:44 offset1:45
	buffer_load_dword v37, off, s[20:23], 0 offset:192 ; 4-byte Folded Reload
	buffer_load_dword v38, off, s[20:23], 0 offset:196 ; 4-byte Folded Reload
	buffer_load_dword v39, off, s[20:23], 0 offset:200 ; 4-byte Folded Reload
	buffer_load_dword v40, off, s[20:23], 0 offset:204 ; 4-byte Folded Reload
	s_waitcnt lgkmcnt(0)
	v_mul_f64 v[103:104], v[101:102], v[105:106]
	v_fma_f64 v[103:104], v[99:100], v[97:98], -v[103:104]
	v_mul_f64 v[99:100], v[99:100], v[105:106]
	v_fma_f64 v[99:100], v[101:102], v[97:98], v[99:100]
	s_waitcnt vmcnt(2)
	v_add_f64 v[37:38], v[37:38], -v[103:104]
	s_waitcnt vmcnt(0)
	v_add_f64 v[39:40], v[39:40], -v[99:100]
	buffer_store_dword v37, off, s[20:23], 0 offset:192 ; 4-byte Folded Spill
	s_nop 0
	buffer_store_dword v38, off, s[20:23], 0 offset:196 ; 4-byte Folded Spill
	buffer_store_dword v39, off, s[20:23], 0 offset:200 ; 4-byte Folded Spill
	buffer_store_dword v40, off, s[20:23], 0 offset:204 ; 4-byte Folded Spill
	ds_read2_b64 v[99:102], v125 offset0:46 offset1:47
	buffer_load_dword v37, off, s[20:23], 0 offset:176 ; 4-byte Folded Reload
	buffer_load_dword v38, off, s[20:23], 0 offset:180 ; 4-byte Folded Reload
	buffer_load_dword v39, off, s[20:23], 0 offset:184 ; 4-byte Folded Reload
	buffer_load_dword v40, off, s[20:23], 0 offset:188 ; 4-byte Folded Reload
	s_waitcnt lgkmcnt(0)
	v_mul_f64 v[103:104], v[101:102], v[105:106]
	v_fma_f64 v[103:104], v[99:100], v[97:98], -v[103:104]
	v_mul_f64 v[99:100], v[99:100], v[105:106]
	v_fma_f64 v[99:100], v[101:102], v[97:98], v[99:100]
	s_waitcnt vmcnt(2)
	v_add_f64 v[37:38], v[37:38], -v[103:104]
	s_waitcnt vmcnt(0)
	v_add_f64 v[39:40], v[39:40], -v[99:100]
	buffer_store_dword v37, off, s[20:23], 0 offset:176 ; 4-byte Folded Spill
	s_nop 0
	buffer_store_dword v38, off, s[20:23], 0 offset:180 ; 4-byte Folded Spill
	buffer_store_dword v39, off, s[20:23], 0 offset:184 ; 4-byte Folded Spill
	buffer_store_dword v40, off, s[20:23], 0 offset:188 ; 4-byte Folded Spill
	ds_read2_b64 v[99:102], v125 offset0:48 offset1:49
	buffer_load_dword v37, off, s[20:23], 0 offset:160 ; 4-byte Folded Reload
	buffer_load_dword v38, off, s[20:23], 0 offset:164 ; 4-byte Folded Reload
	buffer_load_dword v39, off, s[20:23], 0 offset:168 ; 4-byte Folded Reload
	buffer_load_dword v40, off, s[20:23], 0 offset:172 ; 4-byte Folded Reload
	s_waitcnt lgkmcnt(0)
	v_mul_f64 v[103:104], v[101:102], v[105:106]
	v_fma_f64 v[103:104], v[99:100], v[97:98], -v[103:104]
	v_mul_f64 v[99:100], v[99:100], v[105:106]
	v_fma_f64 v[99:100], v[101:102], v[97:98], v[99:100]
	s_waitcnt vmcnt(2)
	v_add_f64 v[37:38], v[37:38], -v[103:104]
	s_waitcnt vmcnt(0)
	v_add_f64 v[39:40], v[39:40], -v[99:100]
	buffer_store_dword v37, off, s[20:23], 0 offset:160 ; 4-byte Folded Spill
	s_nop 0
	buffer_store_dword v38, off, s[20:23], 0 offset:164 ; 4-byte Folded Spill
	buffer_store_dword v39, off, s[20:23], 0 offset:168 ; 4-byte Folded Spill
	buffer_store_dword v40, off, s[20:23], 0 offset:172 ; 4-byte Folded Spill
	ds_read2_b64 v[99:102], v125 offset0:50 offset1:51
	buffer_load_dword v37, off, s[20:23], 0 offset:144 ; 4-byte Folded Reload
	buffer_load_dword v38, off, s[20:23], 0 offset:148 ; 4-byte Folded Reload
	buffer_load_dword v39, off, s[20:23], 0 offset:152 ; 4-byte Folded Reload
	buffer_load_dword v40, off, s[20:23], 0 offset:156 ; 4-byte Folded Reload
	s_waitcnt lgkmcnt(0)
	v_mul_f64 v[103:104], v[101:102], v[105:106]
	v_fma_f64 v[103:104], v[99:100], v[97:98], -v[103:104]
	v_mul_f64 v[99:100], v[99:100], v[105:106]
	v_fma_f64 v[99:100], v[101:102], v[97:98], v[99:100]
	s_waitcnt vmcnt(2)
	v_add_f64 v[37:38], v[37:38], -v[103:104]
	s_waitcnt vmcnt(0)
	v_add_f64 v[39:40], v[39:40], -v[99:100]
	buffer_store_dword v37, off, s[20:23], 0 offset:144 ; 4-byte Folded Spill
	s_nop 0
	buffer_store_dword v38, off, s[20:23], 0 offset:148 ; 4-byte Folded Spill
	buffer_store_dword v39, off, s[20:23], 0 offset:152 ; 4-byte Folded Spill
	buffer_store_dword v40, off, s[20:23], 0 offset:156 ; 4-byte Folded Spill
	ds_read2_b64 v[99:102], v125 offset0:52 offset1:53
	buffer_load_dword v37, off, s[20:23], 0 offset:128 ; 4-byte Folded Reload
	buffer_load_dword v38, off, s[20:23], 0 offset:132 ; 4-byte Folded Reload
	buffer_load_dword v39, off, s[20:23], 0 offset:136 ; 4-byte Folded Reload
	buffer_load_dword v40, off, s[20:23], 0 offset:140 ; 4-byte Folded Reload
	s_waitcnt lgkmcnt(0)
	v_mul_f64 v[103:104], v[101:102], v[105:106]
	v_fma_f64 v[103:104], v[99:100], v[97:98], -v[103:104]
	v_mul_f64 v[99:100], v[99:100], v[105:106]
	v_fma_f64 v[99:100], v[101:102], v[97:98], v[99:100]
	s_waitcnt vmcnt(2)
	v_add_f64 v[37:38], v[37:38], -v[103:104]
	s_waitcnt vmcnt(0)
	v_add_f64 v[39:40], v[39:40], -v[99:100]
	buffer_store_dword v37, off, s[20:23], 0 offset:128 ; 4-byte Folded Spill
	s_nop 0
	buffer_store_dword v38, off, s[20:23], 0 offset:132 ; 4-byte Folded Spill
	buffer_store_dword v39, off, s[20:23], 0 offset:136 ; 4-byte Folded Spill
	buffer_store_dword v40, off, s[20:23], 0 offset:140 ; 4-byte Folded Spill
	ds_read2_b64 v[99:102], v125 offset0:54 offset1:55
	buffer_load_dword v37, off, s[20:23], 0 offset:112 ; 4-byte Folded Reload
	buffer_load_dword v38, off, s[20:23], 0 offset:116 ; 4-byte Folded Reload
	buffer_load_dword v39, off, s[20:23], 0 offset:120 ; 4-byte Folded Reload
	buffer_load_dword v40, off, s[20:23], 0 offset:124 ; 4-byte Folded Reload
	s_waitcnt lgkmcnt(0)
	v_mul_f64 v[103:104], v[101:102], v[105:106]
	v_fma_f64 v[103:104], v[99:100], v[97:98], -v[103:104]
	v_mul_f64 v[99:100], v[99:100], v[105:106]
	v_fma_f64 v[99:100], v[101:102], v[97:98], v[99:100]
	s_waitcnt vmcnt(2)
	v_add_f64 v[37:38], v[37:38], -v[103:104]
	s_waitcnt vmcnt(0)
	v_add_f64 v[39:40], v[39:40], -v[99:100]
	buffer_store_dword v37, off, s[20:23], 0 offset:112 ; 4-byte Folded Spill
	s_nop 0
	buffer_store_dword v38, off, s[20:23], 0 offset:116 ; 4-byte Folded Spill
	buffer_store_dword v39, off, s[20:23], 0 offset:120 ; 4-byte Folded Spill
	buffer_store_dword v40, off, s[20:23], 0 offset:124 ; 4-byte Folded Spill
	ds_read2_b64 v[99:102], v125 offset0:56 offset1:57
	buffer_load_dword v37, off, s[20:23], 0 offset:96 ; 4-byte Folded Reload
	buffer_load_dword v38, off, s[20:23], 0 offset:100 ; 4-byte Folded Reload
	buffer_load_dword v39, off, s[20:23], 0 offset:104 ; 4-byte Folded Reload
	buffer_load_dword v40, off, s[20:23], 0 offset:108 ; 4-byte Folded Reload
	s_waitcnt lgkmcnt(0)
	v_mul_f64 v[103:104], v[101:102], v[105:106]
	v_fma_f64 v[103:104], v[99:100], v[97:98], -v[103:104]
	v_mul_f64 v[99:100], v[99:100], v[105:106]
	v_fma_f64 v[99:100], v[101:102], v[97:98], v[99:100]
	s_waitcnt vmcnt(2)
	v_add_f64 v[37:38], v[37:38], -v[103:104]
	s_waitcnt vmcnt(0)
	v_add_f64 v[39:40], v[39:40], -v[99:100]
	buffer_store_dword v37, off, s[20:23], 0 offset:96 ; 4-byte Folded Spill
	s_nop 0
	buffer_store_dword v38, off, s[20:23], 0 offset:100 ; 4-byte Folded Spill
	buffer_store_dword v39, off, s[20:23], 0 offset:104 ; 4-byte Folded Spill
	buffer_store_dword v40, off, s[20:23], 0 offset:108 ; 4-byte Folded Spill
	ds_read2_b64 v[99:102], v125 offset0:58 offset1:59
	buffer_load_dword v37, off, s[20:23], 0 offset:80 ; 4-byte Folded Reload
	buffer_load_dword v38, off, s[20:23], 0 offset:84 ; 4-byte Folded Reload
	buffer_load_dword v39, off, s[20:23], 0 offset:88 ; 4-byte Folded Reload
	buffer_load_dword v40, off, s[20:23], 0 offset:92 ; 4-byte Folded Reload
	s_waitcnt lgkmcnt(0)
	v_mul_f64 v[103:104], v[101:102], v[105:106]
	v_fma_f64 v[103:104], v[99:100], v[97:98], -v[103:104]
	v_mul_f64 v[99:100], v[99:100], v[105:106]
	v_fma_f64 v[99:100], v[101:102], v[97:98], v[99:100]
	s_waitcnt vmcnt(2)
	v_add_f64 v[37:38], v[37:38], -v[103:104]
	s_waitcnt vmcnt(0)
	v_add_f64 v[39:40], v[39:40], -v[99:100]
	buffer_store_dword v37, off, s[20:23], 0 offset:80 ; 4-byte Folded Spill
	s_nop 0
	buffer_store_dword v38, off, s[20:23], 0 offset:84 ; 4-byte Folded Spill
	buffer_store_dword v39, off, s[20:23], 0 offset:88 ; 4-byte Folded Spill
	buffer_store_dword v40, off, s[20:23], 0 offset:92 ; 4-byte Folded Spill
	ds_read2_b64 v[99:102], v125 offset0:60 offset1:61
	buffer_load_dword v37, off, s[20:23], 0 offset:64 ; 4-byte Folded Reload
	buffer_load_dword v38, off, s[20:23], 0 offset:68 ; 4-byte Folded Reload
	buffer_load_dword v39, off, s[20:23], 0 offset:72 ; 4-byte Folded Reload
	buffer_load_dword v40, off, s[20:23], 0 offset:76 ; 4-byte Folded Reload
	s_waitcnt lgkmcnt(0)
	v_mul_f64 v[103:104], v[101:102], v[105:106]
	v_fma_f64 v[103:104], v[99:100], v[97:98], -v[103:104]
	v_mul_f64 v[99:100], v[99:100], v[105:106]
	v_fma_f64 v[99:100], v[101:102], v[97:98], v[99:100]
	s_waitcnt vmcnt(2)
	v_add_f64 v[37:38], v[37:38], -v[103:104]
	s_waitcnt vmcnt(0)
	v_add_f64 v[39:40], v[39:40], -v[99:100]
	buffer_store_dword v37, off, s[20:23], 0 offset:64 ; 4-byte Folded Spill
	s_nop 0
	buffer_store_dword v38, off, s[20:23], 0 offset:68 ; 4-byte Folded Spill
	buffer_store_dword v39, off, s[20:23], 0 offset:72 ; 4-byte Folded Spill
	buffer_store_dword v40, off, s[20:23], 0 offset:76 ; 4-byte Folded Spill
	ds_read2_b64 v[99:102], v125 offset0:62 offset1:63
	buffer_load_dword v37, off, s[20:23], 0 offset:48 ; 4-byte Folded Reload
	buffer_load_dword v38, off, s[20:23], 0 offset:52 ; 4-byte Folded Reload
	buffer_load_dword v39, off, s[20:23], 0 offset:56 ; 4-byte Folded Reload
	buffer_load_dword v40, off, s[20:23], 0 offset:60 ; 4-byte Folded Reload
	s_waitcnt lgkmcnt(0)
	v_mul_f64 v[103:104], v[101:102], v[105:106]
	v_fma_f64 v[103:104], v[99:100], v[97:98], -v[103:104]
	v_mul_f64 v[99:100], v[99:100], v[105:106]
	v_fma_f64 v[99:100], v[101:102], v[97:98], v[99:100]
	s_waitcnt vmcnt(2)
	v_add_f64 v[37:38], v[37:38], -v[103:104]
	s_waitcnt vmcnt(0)
	v_add_f64 v[39:40], v[39:40], -v[99:100]
	buffer_store_dword v37, off, s[20:23], 0 offset:48 ; 4-byte Folded Spill
	s_nop 0
	buffer_store_dword v38, off, s[20:23], 0 offset:52 ; 4-byte Folded Spill
	buffer_store_dword v39, off, s[20:23], 0 offset:56 ; 4-byte Folded Spill
	buffer_store_dword v40, off, s[20:23], 0 offset:60 ; 4-byte Folded Spill
	ds_read2_b64 v[99:102], v125 offset0:64 offset1:65
	s_waitcnt lgkmcnt(0)
	v_mul_f64 v[103:104], v[101:102], v[105:106]
	v_fma_f64 v[103:104], v[99:100], v[97:98], -v[103:104]
	v_mul_f64 v[99:100], v[99:100], v[105:106]
	v_add_f64 v[93:94], v[93:94], -v[103:104]
	v_fma_f64 v[99:100], v[101:102], v[97:98], v[99:100]
	v_add_f64 v[95:96], v[95:96], -v[99:100]
	ds_read2_b64 v[99:102], v125 offset0:66 offset1:67
	s_waitcnt lgkmcnt(0)
	v_mul_f64 v[103:104], v[101:102], v[105:106]
	v_fma_f64 v[103:104], v[99:100], v[97:98], -v[103:104]
	v_mul_f64 v[99:100], v[99:100], v[105:106]
	v_add_f64 v[109:110], v[109:110], -v[103:104]
	v_fma_f64 v[99:100], v[101:102], v[97:98], v[99:100]
	v_add_f64 v[111:112], v[111:112], -v[99:100]
	ds_read2_b64 v[99:102], v125 offset0:68 offset1:69
	;; [unrolled: 8-line block ×16, first 2 shown]
	buffer_load_dword v37, off, s[20:23], 0 offset:32 ; 4-byte Folded Reload
	buffer_load_dword v38, off, s[20:23], 0 offset:36 ; 4-byte Folded Reload
	;; [unrolled: 1-line block ×4, first 2 shown]
	s_waitcnt lgkmcnt(0)
	v_mul_f64 v[103:104], v[101:102], v[105:106]
	v_fma_f64 v[103:104], v[99:100], v[97:98], -v[103:104]
	v_mul_f64 v[99:100], v[99:100], v[105:106]
	v_fma_f64 v[99:100], v[101:102], v[97:98], v[99:100]
	s_waitcnt vmcnt(2)
	v_add_f64 v[37:38], v[37:38], -v[103:104]
	s_waitcnt vmcnt(0)
	v_add_f64 v[39:40], v[39:40], -v[99:100]
	buffer_store_dword v37, off, s[20:23], 0 offset:32 ; 4-byte Folded Spill
	s_nop 0
	buffer_store_dword v38, off, s[20:23], 0 offset:36 ; 4-byte Folded Spill
	buffer_store_dword v39, off, s[20:23], 0 offset:40 ; 4-byte Folded Spill
	;; [unrolled: 1-line block ×3, first 2 shown]
	ds_read2_b64 v[99:102], v125 offset0:98 offset1:99
	buffer_load_dword v33, off, s[20:23], 0 offset:16 ; 4-byte Folded Reload
	buffer_load_dword v34, off, s[20:23], 0 offset:20 ; 4-byte Folded Reload
	;; [unrolled: 1-line block ×4, first 2 shown]
	s_waitcnt lgkmcnt(0)
	v_mul_f64 v[103:104], v[101:102], v[105:106]
	v_fma_f64 v[103:104], v[99:100], v[97:98], -v[103:104]
	v_mul_f64 v[99:100], v[99:100], v[105:106]
	v_fma_f64 v[99:100], v[101:102], v[97:98], v[99:100]
	s_waitcnt vmcnt(2)
	v_add_f64 v[33:34], v[33:34], -v[103:104]
	s_waitcnt vmcnt(0)
	v_add_f64 v[35:36], v[35:36], -v[99:100]
	buffer_store_dword v33, off, s[20:23], 0 offset:16 ; 4-byte Folded Spill
	s_nop 0
	buffer_store_dword v34, off, s[20:23], 0 offset:20 ; 4-byte Folded Spill
	buffer_store_dword v35, off, s[20:23], 0 offset:24 ; 4-byte Folded Spill
	;; [unrolled: 1-line block ×3, first 2 shown]
	ds_read2_b64 v[99:102], v125 offset0:100 offset1:101
	s_waitcnt lgkmcnt(0)
	v_mul_f64 v[103:104], v[101:102], v[105:106]
	v_fma_f64 v[103:104], v[99:100], v[97:98], -v[103:104]
	v_mul_f64 v[99:100], v[99:100], v[105:106]
	v_add_f64 v[29:30], v[29:30], -v[103:104]
	v_fma_f64 v[99:100], v[101:102], v[97:98], v[99:100]
	v_add_f64 v[31:32], v[31:32], -v[99:100]
	ds_read2_b64 v[99:102], v125 offset0:102 offset1:103
	s_waitcnt lgkmcnt(0)
	v_mul_f64 v[103:104], v[101:102], v[105:106]
	v_fma_f64 v[103:104], v[99:100], v[97:98], -v[103:104]
	v_mul_f64 v[99:100], v[99:100], v[105:106]
	v_add_f64 v[25:26], v[25:26], -v[103:104]
	v_fma_f64 v[99:100], v[101:102], v[97:98], v[99:100]
	v_add_f64 v[27:28], v[27:28], -v[99:100]
	;; [unrolled: 8-line block ×7, first 2 shown]
	ds_read2_b64 v[99:102], v125 offset0:114 offset1:115
	s_waitcnt lgkmcnt(0)
	v_mul_f64 v[103:104], v[101:102], v[105:106]
	v_fma_f64 v[103:104], v[99:100], v[97:98], -v[103:104]
	v_mul_f64 v[99:100], v[99:100], v[105:106]
	v_add_f64 v[1:2], v[1:2], -v[103:104]
	v_fma_f64 v[99:100], v[101:102], v[97:98], v[99:100]
	ds_read2_b64 v[101:104], v125 offset0:116 offset1:117
	buffer_load_dword v37, off, s[20:23], 0 ; 4-byte Folded Reload
	buffer_load_dword v38, off, s[20:23], 0 offset:4 ; 4-byte Folded Reload
	buffer_load_dword v39, off, s[20:23], 0 offset:8 ; 4-byte Folded Reload
	;; [unrolled: 1-line block ×3, first 2 shown]
	v_add_f64 v[3:4], v[3:4], -v[99:100]
	s_waitcnt lgkmcnt(0)
	v_mul_f64 v[99:100], v[103:104], v[105:106]
	v_fma_f64 v[99:100], v[101:102], v[97:98], -v[99:100]
	v_mul_f64 v[101:102], v[101:102], v[105:106]
	v_fma_f64 v[101:102], v[103:104], v[97:98], v[101:102]
	v_mov_b32_e32 v104, v98
	v_mov_b32_e32 v103, v97
	s_waitcnt vmcnt(2)
	v_add_f64 v[37:38], v[37:38], -v[99:100]
	s_waitcnt vmcnt(0)
	v_add_f64 v[39:40], v[39:40], -v[101:102]
	buffer_store_dword v37, off, s[20:23], 0 ; 4-byte Folded Spill
	s_nop 0
	buffer_store_dword v38, off, s[20:23], 0 offset:4 ; 4-byte Folded Spill
	buffer_store_dword v39, off, s[20:23], 0 offset:8 ; 4-byte Folded Spill
	;; [unrolled: 1-line block ×4, first 2 shown]
	s_nop 0
	buffer_store_dword v104, off, s[20:23], 0 offset:436 ; 4-byte Folded Spill
	buffer_store_dword v105, off, s[20:23], 0 offset:440 ; 4-byte Folded Spill
	;; [unrolled: 1-line block ×3, first 2 shown]
.LBB117_73:
	s_or_b64 exec, exec, s[2:3]
	v_cmp_eq_u32_e32 vcc, 8, v0
	s_waitcnt vmcnt(0)
	s_barrier
	s_and_saveexec_b64 s[4:5], vcc
	s_cbranch_execz .LBB117_80
; %bb.74:
	buffer_load_dword v37, off, s[20:23], 0 offset:416 ; 4-byte Folded Reload
	buffer_load_dword v38, off, s[20:23], 0 offset:420 ; 4-byte Folded Reload
	;; [unrolled: 1-line block ×4, first 2 shown]
	s_waitcnt vmcnt(0)
	ds_write2_b64 v127, v[37:38], v[39:40] offset1:1
	buffer_load_dword v37, off, s[20:23], 0 offset:400 ; 4-byte Folded Reload
	buffer_load_dword v38, off, s[20:23], 0 offset:404 ; 4-byte Folded Reload
	buffer_load_dword v39, off, s[20:23], 0 offset:408 ; 4-byte Folded Reload
	buffer_load_dword v40, off, s[20:23], 0 offset:412 ; 4-byte Folded Reload
	s_waitcnt vmcnt(0)
	ds_write2_b64 v125, v[37:38], v[39:40] offset0:18 offset1:19
	buffer_load_dword v37, off, s[20:23], 0 offset:384 ; 4-byte Folded Reload
	buffer_load_dword v38, off, s[20:23], 0 offset:388 ; 4-byte Folded Reload
	buffer_load_dword v39, off, s[20:23], 0 offset:392 ; 4-byte Folded Reload
	buffer_load_dword v40, off, s[20:23], 0 offset:396 ; 4-byte Folded Reload
	s_waitcnt vmcnt(0)
	ds_write2_b64 v125, v[37:38], v[39:40] offset0:20 offset1:21
	;; [unrolled: 6-line block ×23, first 2 shown]
	ds_write2_b64 v125, v[93:94], v[95:96] offset0:64 offset1:65
	ds_write2_b64 v125, v[109:110], v[111:112] offset0:66 offset1:67
	;; [unrolled: 1-line block ×16, first 2 shown]
	buffer_load_dword v37, off, s[20:23], 0 offset:32 ; 4-byte Folded Reload
	buffer_load_dword v38, off, s[20:23], 0 offset:36 ; 4-byte Folded Reload
	;; [unrolled: 1-line block ×4, first 2 shown]
	s_waitcnt vmcnt(0)
	ds_write2_b64 v125, v[37:38], v[39:40] offset0:96 offset1:97
	buffer_load_dword v33, off, s[20:23], 0 offset:16 ; 4-byte Folded Reload
	buffer_load_dword v34, off, s[20:23], 0 offset:20 ; 4-byte Folded Reload
	;; [unrolled: 1-line block ×4, first 2 shown]
	s_waitcnt vmcnt(0)
	ds_write2_b64 v125, v[33:34], v[35:36] offset0:98 offset1:99
	ds_write2_b64 v125, v[29:30], v[31:32] offset0:100 offset1:101
	;; [unrolled: 1-line block ×9, first 2 shown]
	buffer_load_dword v37, off, s[20:23], 0 ; 4-byte Folded Reload
	buffer_load_dword v38, off, s[20:23], 0 offset:4 ; 4-byte Folded Reload
	buffer_load_dword v39, off, s[20:23], 0 offset:8 ; 4-byte Folded Reload
	;; [unrolled: 1-line block ×3, first 2 shown]
	s_waitcnt vmcnt(0)
	ds_write2_b64 v125, v[37:38], v[39:40] offset0:116 offset1:117
	ds_read2_b64 v[97:100], v127 offset1:1
	s_waitcnt lgkmcnt(0)
	v_cmp_neq_f64_e32 vcc, 0, v[97:98]
	v_cmp_neq_f64_e64 s[2:3], 0, v[99:100]
	s_or_b64 s[2:3], vcc, s[2:3]
	s_and_b64 exec, exec, s[2:3]
	s_cbranch_execz .LBB117_80
; %bb.75:
	v_cmp_ngt_f64_e64 s[2:3], |v[97:98]|, |v[99:100]|
                                        ; implicit-def: $vgpr101_vgpr102
	s_and_saveexec_b64 s[6:7], s[2:3]
	s_xor_b64 s[2:3], exec, s[6:7]
                                        ; implicit-def: $vgpr103_vgpr104
	s_cbranch_execz .LBB117_77
; %bb.76:
	v_div_scale_f64 v[101:102], s[6:7], v[99:100], v[99:100], v[97:98]
	v_rcp_f64_e32 v[103:104], v[101:102]
	v_fma_f64 v[105:106], -v[101:102], v[103:104], 1.0
	v_fma_f64 v[103:104], v[103:104], v[105:106], v[103:104]
	v_div_scale_f64 v[105:106], vcc, v[97:98], v[99:100], v[97:98]
	v_fma_f64 v[107:108], -v[101:102], v[103:104], 1.0
	v_fma_f64 v[103:104], v[103:104], v[107:108], v[103:104]
	v_mul_f64 v[107:108], v[105:106], v[103:104]
	v_fma_f64 v[101:102], -v[101:102], v[107:108], v[105:106]
	v_div_fmas_f64 v[101:102], v[101:102], v[103:104], v[107:108]
	v_div_fixup_f64 v[101:102], v[101:102], v[99:100], v[97:98]
	v_fma_f64 v[97:98], v[97:98], v[101:102], v[99:100]
	v_div_scale_f64 v[99:100], s[6:7], v[97:98], v[97:98], 1.0
	v_div_scale_f64 v[107:108], vcc, 1.0, v[97:98], 1.0
	v_rcp_f64_e32 v[103:104], v[99:100]
	v_fma_f64 v[105:106], -v[99:100], v[103:104], 1.0
	v_fma_f64 v[103:104], v[103:104], v[105:106], v[103:104]
	v_fma_f64 v[105:106], -v[99:100], v[103:104], 1.0
	v_fma_f64 v[103:104], v[103:104], v[105:106], v[103:104]
	v_mul_f64 v[105:106], v[107:108], v[103:104]
	v_fma_f64 v[99:100], -v[99:100], v[105:106], v[107:108]
	v_div_fmas_f64 v[99:100], v[99:100], v[103:104], v[105:106]
	v_div_fixup_f64 v[103:104], v[99:100], v[97:98], 1.0
                                        ; implicit-def: $vgpr97_vgpr98
	v_mul_f64 v[101:102], v[101:102], v[103:104]
	v_xor_b32_e32 v104, 0x80000000, v104
.LBB117_77:
	s_andn2_saveexec_b64 s[2:3], s[2:3]
	s_cbranch_execz .LBB117_79
; %bb.78:
	v_div_scale_f64 v[101:102], s[6:7], v[97:98], v[97:98], v[99:100]
	v_rcp_f64_e32 v[103:104], v[101:102]
	v_fma_f64 v[105:106], -v[101:102], v[103:104], 1.0
	v_fma_f64 v[103:104], v[103:104], v[105:106], v[103:104]
	v_div_scale_f64 v[105:106], vcc, v[99:100], v[97:98], v[99:100]
	v_fma_f64 v[107:108], -v[101:102], v[103:104], 1.0
	v_fma_f64 v[103:104], v[103:104], v[107:108], v[103:104]
	v_mul_f64 v[107:108], v[105:106], v[103:104]
	v_fma_f64 v[101:102], -v[101:102], v[107:108], v[105:106]
	v_div_fmas_f64 v[101:102], v[101:102], v[103:104], v[107:108]
	v_div_fixup_f64 v[103:104], v[101:102], v[97:98], v[99:100]
	v_fma_f64 v[97:98], v[99:100], v[103:104], v[97:98]
	v_div_scale_f64 v[99:100], s[6:7], v[97:98], v[97:98], 1.0
	v_div_scale_f64 v[107:108], vcc, 1.0, v[97:98], 1.0
	v_rcp_f64_e32 v[101:102], v[99:100]
	v_fma_f64 v[105:106], -v[99:100], v[101:102], 1.0
	v_fma_f64 v[101:102], v[101:102], v[105:106], v[101:102]
	v_fma_f64 v[105:106], -v[99:100], v[101:102], 1.0
	v_fma_f64 v[101:102], v[101:102], v[105:106], v[101:102]
	v_mul_f64 v[105:106], v[107:108], v[101:102]
	v_fma_f64 v[99:100], -v[99:100], v[105:106], v[107:108]
	v_div_fmas_f64 v[99:100], v[99:100], v[101:102], v[105:106]
	v_div_fixup_f64 v[101:102], v[99:100], v[97:98], 1.0
	v_mul_f64 v[103:104], v[103:104], -v[101:102]
.LBB117_79:
	s_or_b64 exec, exec, s[2:3]
	ds_write2_b64 v127, v[101:102], v[103:104] offset1:1
.LBB117_80:
	s_or_b64 exec, exec, s[4:5]
	s_waitcnt lgkmcnt(0)
	s_barrier
	ds_read2_b64 v[37:40], v127 offset1:1
	v_cmp_lt_u32_e32 vcc, 8, v0
	s_waitcnt lgkmcnt(0)
	buffer_store_dword v37, off, s[20:23], 0 offset:1152 ; 4-byte Folded Spill
	s_nop 0
	buffer_store_dword v38, off, s[20:23], 0 offset:1156 ; 4-byte Folded Spill
	buffer_store_dword v39, off, s[20:23], 0 offset:1160 ; 4-byte Folded Spill
	;; [unrolled: 1-line block ×3, first 2 shown]
	s_and_saveexec_b64 s[2:3], vcc
	s_cbranch_execz .LBB117_82
; %bb.81:
	buffer_load_dword v103, off, s[20:23], 0 offset:416 ; 4-byte Folded Reload
	buffer_load_dword v104, off, s[20:23], 0 offset:420 ; 4-byte Folded Reload
	;; [unrolled: 1-line block ×8, first 2 shown]
	s_waitcnt vmcnt(2)
	v_mul_f64 v[99:100], v[37:38], v[105:106]
	s_waitcnt vmcnt(0)
	v_mul_f64 v[97:98], v[39:40], v[105:106]
	v_fma_f64 v[105:106], v[39:40], v[103:104], v[99:100]
	ds_read2_b64 v[99:102], v125 offset0:18 offset1:19
	v_fma_f64 v[97:98], v[37:38], v[103:104], -v[97:98]
	buffer_load_dword v37, off, s[20:23], 0 offset:400 ; 4-byte Folded Reload
	buffer_load_dword v38, off, s[20:23], 0 offset:404 ; 4-byte Folded Reload
	buffer_load_dword v39, off, s[20:23], 0 offset:408 ; 4-byte Folded Reload
	buffer_load_dword v40, off, s[20:23], 0 offset:412 ; 4-byte Folded Reload
	s_waitcnt lgkmcnt(0)
	v_mul_f64 v[103:104], v[101:102], v[105:106]
	v_fma_f64 v[103:104], v[99:100], v[97:98], -v[103:104]
	v_mul_f64 v[99:100], v[99:100], v[105:106]
	v_fma_f64 v[99:100], v[101:102], v[97:98], v[99:100]
	s_waitcnt vmcnt(2)
	v_add_f64 v[37:38], v[37:38], -v[103:104]
	s_waitcnt vmcnt(0)
	v_add_f64 v[39:40], v[39:40], -v[99:100]
	buffer_store_dword v37, off, s[20:23], 0 offset:400 ; 4-byte Folded Spill
	s_nop 0
	buffer_store_dword v38, off, s[20:23], 0 offset:404 ; 4-byte Folded Spill
	buffer_store_dword v39, off, s[20:23], 0 offset:408 ; 4-byte Folded Spill
	buffer_store_dword v40, off, s[20:23], 0 offset:412 ; 4-byte Folded Spill
	ds_read2_b64 v[99:102], v125 offset0:20 offset1:21
	buffer_load_dword v37, off, s[20:23], 0 offset:384 ; 4-byte Folded Reload
	buffer_load_dword v38, off, s[20:23], 0 offset:388 ; 4-byte Folded Reload
	buffer_load_dword v39, off, s[20:23], 0 offset:392 ; 4-byte Folded Reload
	buffer_load_dword v40, off, s[20:23], 0 offset:396 ; 4-byte Folded Reload
	s_waitcnt lgkmcnt(0)
	v_mul_f64 v[103:104], v[101:102], v[105:106]
	v_fma_f64 v[103:104], v[99:100], v[97:98], -v[103:104]
	v_mul_f64 v[99:100], v[99:100], v[105:106]
	v_fma_f64 v[99:100], v[101:102], v[97:98], v[99:100]
	s_waitcnt vmcnt(2)
	v_add_f64 v[37:38], v[37:38], -v[103:104]
	s_waitcnt vmcnt(0)
	v_add_f64 v[39:40], v[39:40], -v[99:100]
	buffer_store_dword v37, off, s[20:23], 0 offset:384 ; 4-byte Folded Spill
	s_nop 0
	buffer_store_dword v38, off, s[20:23], 0 offset:388 ; 4-byte Folded Spill
	buffer_store_dword v39, off, s[20:23], 0 offset:392 ; 4-byte Folded Spill
	buffer_store_dword v40, off, s[20:23], 0 offset:396 ; 4-byte Folded Spill
	ds_read2_b64 v[99:102], v125 offset0:22 offset1:23
	;; [unrolled: 19-line block ×23, first 2 shown]
	s_waitcnt lgkmcnt(0)
	v_mul_f64 v[103:104], v[101:102], v[105:106]
	v_fma_f64 v[103:104], v[99:100], v[97:98], -v[103:104]
	v_mul_f64 v[99:100], v[99:100], v[105:106]
	v_add_f64 v[93:94], v[93:94], -v[103:104]
	v_fma_f64 v[99:100], v[101:102], v[97:98], v[99:100]
	v_add_f64 v[95:96], v[95:96], -v[99:100]
	ds_read2_b64 v[99:102], v125 offset0:66 offset1:67
	s_waitcnt lgkmcnt(0)
	v_mul_f64 v[103:104], v[101:102], v[105:106]
	v_fma_f64 v[103:104], v[99:100], v[97:98], -v[103:104]
	v_mul_f64 v[99:100], v[99:100], v[105:106]
	v_add_f64 v[109:110], v[109:110], -v[103:104]
	v_fma_f64 v[99:100], v[101:102], v[97:98], v[99:100]
	v_add_f64 v[111:112], v[111:112], -v[99:100]
	ds_read2_b64 v[99:102], v125 offset0:68 offset1:69
	;; [unrolled: 8-line block ×16, first 2 shown]
	buffer_load_dword v37, off, s[20:23], 0 offset:32 ; 4-byte Folded Reload
	buffer_load_dword v38, off, s[20:23], 0 offset:36 ; 4-byte Folded Reload
	;; [unrolled: 1-line block ×4, first 2 shown]
	s_waitcnt lgkmcnt(0)
	v_mul_f64 v[103:104], v[101:102], v[105:106]
	v_fma_f64 v[103:104], v[99:100], v[97:98], -v[103:104]
	v_mul_f64 v[99:100], v[99:100], v[105:106]
	v_fma_f64 v[99:100], v[101:102], v[97:98], v[99:100]
	s_waitcnt vmcnt(2)
	v_add_f64 v[37:38], v[37:38], -v[103:104]
	s_waitcnt vmcnt(0)
	v_add_f64 v[39:40], v[39:40], -v[99:100]
	buffer_store_dword v37, off, s[20:23], 0 offset:32 ; 4-byte Folded Spill
	s_nop 0
	buffer_store_dword v38, off, s[20:23], 0 offset:36 ; 4-byte Folded Spill
	buffer_store_dword v39, off, s[20:23], 0 offset:40 ; 4-byte Folded Spill
	;; [unrolled: 1-line block ×3, first 2 shown]
	ds_read2_b64 v[99:102], v125 offset0:98 offset1:99
	buffer_load_dword v33, off, s[20:23], 0 offset:16 ; 4-byte Folded Reload
	buffer_load_dword v34, off, s[20:23], 0 offset:20 ; 4-byte Folded Reload
	;; [unrolled: 1-line block ×4, first 2 shown]
	s_waitcnt lgkmcnt(0)
	v_mul_f64 v[103:104], v[101:102], v[105:106]
	v_fma_f64 v[103:104], v[99:100], v[97:98], -v[103:104]
	v_mul_f64 v[99:100], v[99:100], v[105:106]
	v_fma_f64 v[99:100], v[101:102], v[97:98], v[99:100]
	s_waitcnt vmcnt(2)
	v_add_f64 v[33:34], v[33:34], -v[103:104]
	s_waitcnt vmcnt(0)
	v_add_f64 v[35:36], v[35:36], -v[99:100]
	buffer_store_dword v33, off, s[20:23], 0 offset:16 ; 4-byte Folded Spill
	s_nop 0
	buffer_store_dword v34, off, s[20:23], 0 offset:20 ; 4-byte Folded Spill
	buffer_store_dword v35, off, s[20:23], 0 offset:24 ; 4-byte Folded Spill
	;; [unrolled: 1-line block ×3, first 2 shown]
	ds_read2_b64 v[99:102], v125 offset0:100 offset1:101
	s_waitcnt lgkmcnt(0)
	v_mul_f64 v[103:104], v[101:102], v[105:106]
	v_fma_f64 v[103:104], v[99:100], v[97:98], -v[103:104]
	v_mul_f64 v[99:100], v[99:100], v[105:106]
	v_add_f64 v[29:30], v[29:30], -v[103:104]
	v_fma_f64 v[99:100], v[101:102], v[97:98], v[99:100]
	v_add_f64 v[31:32], v[31:32], -v[99:100]
	ds_read2_b64 v[99:102], v125 offset0:102 offset1:103
	s_waitcnt lgkmcnt(0)
	v_mul_f64 v[103:104], v[101:102], v[105:106]
	v_fma_f64 v[103:104], v[99:100], v[97:98], -v[103:104]
	v_mul_f64 v[99:100], v[99:100], v[105:106]
	v_add_f64 v[25:26], v[25:26], -v[103:104]
	v_fma_f64 v[99:100], v[101:102], v[97:98], v[99:100]
	v_add_f64 v[27:28], v[27:28], -v[99:100]
	;; [unrolled: 8-line block ×7, first 2 shown]
	ds_read2_b64 v[99:102], v125 offset0:114 offset1:115
	s_waitcnt lgkmcnt(0)
	v_mul_f64 v[103:104], v[101:102], v[105:106]
	v_fma_f64 v[103:104], v[99:100], v[97:98], -v[103:104]
	v_mul_f64 v[99:100], v[99:100], v[105:106]
	v_add_f64 v[1:2], v[1:2], -v[103:104]
	v_fma_f64 v[99:100], v[101:102], v[97:98], v[99:100]
	ds_read2_b64 v[101:104], v125 offset0:116 offset1:117
	buffer_load_dword v37, off, s[20:23], 0 ; 4-byte Folded Reload
	buffer_load_dword v38, off, s[20:23], 0 offset:4 ; 4-byte Folded Reload
	buffer_load_dword v39, off, s[20:23], 0 offset:8 ; 4-byte Folded Reload
	buffer_load_dword v40, off, s[20:23], 0 offset:12 ; 4-byte Folded Reload
	v_add_f64 v[3:4], v[3:4], -v[99:100]
	s_waitcnt lgkmcnt(0)
	v_mul_f64 v[99:100], v[103:104], v[105:106]
	v_fma_f64 v[99:100], v[101:102], v[97:98], -v[99:100]
	v_mul_f64 v[101:102], v[101:102], v[105:106]
	v_fma_f64 v[101:102], v[103:104], v[97:98], v[101:102]
	v_mov_b32_e32 v104, v98
	v_mov_b32_e32 v103, v97
	s_waitcnt vmcnt(2)
	v_add_f64 v[37:38], v[37:38], -v[99:100]
	s_waitcnt vmcnt(0)
	v_add_f64 v[39:40], v[39:40], -v[101:102]
	buffer_store_dword v37, off, s[20:23], 0 ; 4-byte Folded Spill
	s_nop 0
	buffer_store_dword v38, off, s[20:23], 0 offset:4 ; 4-byte Folded Spill
	buffer_store_dword v39, off, s[20:23], 0 offset:8 ; 4-byte Folded Spill
	;; [unrolled: 1-line block ×4, first 2 shown]
	s_nop 0
	buffer_store_dword v104, off, s[20:23], 0 offset:420 ; 4-byte Folded Spill
	buffer_store_dword v105, off, s[20:23], 0 offset:424 ; 4-byte Folded Spill
	;; [unrolled: 1-line block ×3, first 2 shown]
.LBB117_82:
	s_or_b64 exec, exec, s[2:3]
	v_cmp_eq_u32_e32 vcc, 9, v0
	s_waitcnt vmcnt(0)
	s_barrier
	s_and_saveexec_b64 s[4:5], vcc
	s_cbranch_execz .LBB117_89
; %bb.83:
	buffer_load_dword v37, off, s[20:23], 0 offset:400 ; 4-byte Folded Reload
	buffer_load_dword v38, off, s[20:23], 0 offset:404 ; 4-byte Folded Reload
	;; [unrolled: 1-line block ×4, first 2 shown]
	s_waitcnt vmcnt(0)
	ds_write2_b64 v127, v[37:38], v[39:40] offset1:1
	buffer_load_dword v37, off, s[20:23], 0 offset:384 ; 4-byte Folded Reload
	buffer_load_dword v38, off, s[20:23], 0 offset:388 ; 4-byte Folded Reload
	buffer_load_dword v39, off, s[20:23], 0 offset:392 ; 4-byte Folded Reload
	buffer_load_dword v40, off, s[20:23], 0 offset:396 ; 4-byte Folded Reload
	s_waitcnt vmcnt(0)
	ds_write2_b64 v125, v[37:38], v[39:40] offset0:20 offset1:21
	buffer_load_dword v37, off, s[20:23], 0 offset:368 ; 4-byte Folded Reload
	buffer_load_dword v38, off, s[20:23], 0 offset:372 ; 4-byte Folded Reload
	buffer_load_dword v39, off, s[20:23], 0 offset:376 ; 4-byte Folded Reload
	buffer_load_dword v40, off, s[20:23], 0 offset:380 ; 4-byte Folded Reload
	s_waitcnt vmcnt(0)
	ds_write2_b64 v125, v[37:38], v[39:40] offset0:22 offset1:23
	;; [unrolled: 6-line block ×22, first 2 shown]
	ds_write2_b64 v125, v[93:94], v[95:96] offset0:64 offset1:65
	ds_write2_b64 v125, v[109:110], v[111:112] offset0:66 offset1:67
	;; [unrolled: 1-line block ×16, first 2 shown]
	buffer_load_dword v37, off, s[20:23], 0 offset:32 ; 4-byte Folded Reload
	buffer_load_dword v38, off, s[20:23], 0 offset:36 ; 4-byte Folded Reload
	;; [unrolled: 1-line block ×4, first 2 shown]
	s_waitcnt vmcnt(0)
	ds_write2_b64 v125, v[37:38], v[39:40] offset0:96 offset1:97
	buffer_load_dword v33, off, s[20:23], 0 offset:16 ; 4-byte Folded Reload
	buffer_load_dword v34, off, s[20:23], 0 offset:20 ; 4-byte Folded Reload
	;; [unrolled: 1-line block ×4, first 2 shown]
	s_waitcnt vmcnt(0)
	ds_write2_b64 v125, v[33:34], v[35:36] offset0:98 offset1:99
	ds_write2_b64 v125, v[29:30], v[31:32] offset0:100 offset1:101
	;; [unrolled: 1-line block ×9, first 2 shown]
	buffer_load_dword v37, off, s[20:23], 0 ; 4-byte Folded Reload
	buffer_load_dword v38, off, s[20:23], 0 offset:4 ; 4-byte Folded Reload
	buffer_load_dword v39, off, s[20:23], 0 offset:8 ; 4-byte Folded Reload
	buffer_load_dword v40, off, s[20:23], 0 offset:12 ; 4-byte Folded Reload
	s_waitcnt vmcnt(0)
	ds_write2_b64 v125, v[37:38], v[39:40] offset0:116 offset1:117
	ds_read2_b64 v[97:100], v127 offset1:1
	s_waitcnt lgkmcnt(0)
	v_cmp_neq_f64_e32 vcc, 0, v[97:98]
	v_cmp_neq_f64_e64 s[2:3], 0, v[99:100]
	s_or_b64 s[2:3], vcc, s[2:3]
	s_and_b64 exec, exec, s[2:3]
	s_cbranch_execz .LBB117_89
; %bb.84:
	v_cmp_ngt_f64_e64 s[2:3], |v[97:98]|, |v[99:100]|
                                        ; implicit-def: $vgpr101_vgpr102
	s_and_saveexec_b64 s[6:7], s[2:3]
	s_xor_b64 s[2:3], exec, s[6:7]
                                        ; implicit-def: $vgpr103_vgpr104
	s_cbranch_execz .LBB117_86
; %bb.85:
	v_div_scale_f64 v[101:102], s[6:7], v[99:100], v[99:100], v[97:98]
	v_rcp_f64_e32 v[103:104], v[101:102]
	v_fma_f64 v[105:106], -v[101:102], v[103:104], 1.0
	v_fma_f64 v[103:104], v[103:104], v[105:106], v[103:104]
	v_div_scale_f64 v[105:106], vcc, v[97:98], v[99:100], v[97:98]
	v_fma_f64 v[107:108], -v[101:102], v[103:104], 1.0
	v_fma_f64 v[103:104], v[103:104], v[107:108], v[103:104]
	v_mul_f64 v[107:108], v[105:106], v[103:104]
	v_fma_f64 v[101:102], -v[101:102], v[107:108], v[105:106]
	v_div_fmas_f64 v[101:102], v[101:102], v[103:104], v[107:108]
	v_div_fixup_f64 v[101:102], v[101:102], v[99:100], v[97:98]
	v_fma_f64 v[97:98], v[97:98], v[101:102], v[99:100]
	v_div_scale_f64 v[99:100], s[6:7], v[97:98], v[97:98], 1.0
	v_div_scale_f64 v[107:108], vcc, 1.0, v[97:98], 1.0
	v_rcp_f64_e32 v[103:104], v[99:100]
	v_fma_f64 v[105:106], -v[99:100], v[103:104], 1.0
	v_fma_f64 v[103:104], v[103:104], v[105:106], v[103:104]
	v_fma_f64 v[105:106], -v[99:100], v[103:104], 1.0
	v_fma_f64 v[103:104], v[103:104], v[105:106], v[103:104]
	v_mul_f64 v[105:106], v[107:108], v[103:104]
	v_fma_f64 v[99:100], -v[99:100], v[105:106], v[107:108]
	v_div_fmas_f64 v[99:100], v[99:100], v[103:104], v[105:106]
	v_div_fixup_f64 v[103:104], v[99:100], v[97:98], 1.0
                                        ; implicit-def: $vgpr97_vgpr98
	v_mul_f64 v[101:102], v[101:102], v[103:104]
	v_xor_b32_e32 v104, 0x80000000, v104
.LBB117_86:
	s_andn2_saveexec_b64 s[2:3], s[2:3]
	s_cbranch_execz .LBB117_88
; %bb.87:
	v_div_scale_f64 v[101:102], s[6:7], v[97:98], v[97:98], v[99:100]
	v_rcp_f64_e32 v[103:104], v[101:102]
	v_fma_f64 v[105:106], -v[101:102], v[103:104], 1.0
	v_fma_f64 v[103:104], v[103:104], v[105:106], v[103:104]
	v_div_scale_f64 v[105:106], vcc, v[99:100], v[97:98], v[99:100]
	v_fma_f64 v[107:108], -v[101:102], v[103:104], 1.0
	v_fma_f64 v[103:104], v[103:104], v[107:108], v[103:104]
	v_mul_f64 v[107:108], v[105:106], v[103:104]
	v_fma_f64 v[101:102], -v[101:102], v[107:108], v[105:106]
	v_div_fmas_f64 v[101:102], v[101:102], v[103:104], v[107:108]
	v_div_fixup_f64 v[103:104], v[101:102], v[97:98], v[99:100]
	v_fma_f64 v[97:98], v[99:100], v[103:104], v[97:98]
	v_div_scale_f64 v[99:100], s[6:7], v[97:98], v[97:98], 1.0
	v_div_scale_f64 v[107:108], vcc, 1.0, v[97:98], 1.0
	v_rcp_f64_e32 v[101:102], v[99:100]
	v_fma_f64 v[105:106], -v[99:100], v[101:102], 1.0
	v_fma_f64 v[101:102], v[101:102], v[105:106], v[101:102]
	v_fma_f64 v[105:106], -v[99:100], v[101:102], 1.0
	v_fma_f64 v[101:102], v[101:102], v[105:106], v[101:102]
	v_mul_f64 v[105:106], v[107:108], v[101:102]
	v_fma_f64 v[99:100], -v[99:100], v[105:106], v[107:108]
	v_div_fmas_f64 v[99:100], v[99:100], v[101:102], v[105:106]
	v_div_fixup_f64 v[101:102], v[99:100], v[97:98], 1.0
	v_mul_f64 v[103:104], v[103:104], -v[101:102]
.LBB117_88:
	s_or_b64 exec, exec, s[2:3]
	ds_write2_b64 v127, v[101:102], v[103:104] offset1:1
.LBB117_89:
	s_or_b64 exec, exec, s[4:5]
	s_waitcnt lgkmcnt(0)
	s_barrier
	ds_read2_b64 v[37:40], v127 offset1:1
	v_cmp_lt_u32_e32 vcc, 9, v0
	s_waitcnt lgkmcnt(0)
	buffer_store_dword v37, off, s[20:23], 0 offset:1168 ; 4-byte Folded Spill
	s_nop 0
	buffer_store_dword v38, off, s[20:23], 0 offset:1172 ; 4-byte Folded Spill
	buffer_store_dword v39, off, s[20:23], 0 offset:1176 ; 4-byte Folded Spill
	;; [unrolled: 1-line block ×3, first 2 shown]
	s_and_saveexec_b64 s[2:3], vcc
	s_cbranch_execz .LBB117_91
; %bb.90:
	buffer_load_dword v103, off, s[20:23], 0 offset:400 ; 4-byte Folded Reload
	buffer_load_dword v104, off, s[20:23], 0 offset:404 ; 4-byte Folded Reload
	;; [unrolled: 1-line block ×8, first 2 shown]
	s_waitcnt vmcnt(2)
	v_mul_f64 v[99:100], v[37:38], v[105:106]
	s_waitcnt vmcnt(0)
	v_mul_f64 v[97:98], v[39:40], v[105:106]
	v_fma_f64 v[105:106], v[39:40], v[103:104], v[99:100]
	ds_read2_b64 v[99:102], v125 offset0:20 offset1:21
	v_fma_f64 v[97:98], v[37:38], v[103:104], -v[97:98]
	buffer_load_dword v37, off, s[20:23], 0 offset:384 ; 4-byte Folded Reload
	buffer_load_dword v38, off, s[20:23], 0 offset:388 ; 4-byte Folded Reload
	buffer_load_dword v39, off, s[20:23], 0 offset:392 ; 4-byte Folded Reload
	buffer_load_dword v40, off, s[20:23], 0 offset:396 ; 4-byte Folded Reload
	s_waitcnt lgkmcnt(0)
	v_mul_f64 v[103:104], v[101:102], v[105:106]
	v_fma_f64 v[103:104], v[99:100], v[97:98], -v[103:104]
	v_mul_f64 v[99:100], v[99:100], v[105:106]
	v_fma_f64 v[99:100], v[101:102], v[97:98], v[99:100]
	s_waitcnt vmcnt(2)
	v_add_f64 v[37:38], v[37:38], -v[103:104]
	s_waitcnt vmcnt(0)
	v_add_f64 v[39:40], v[39:40], -v[99:100]
	buffer_store_dword v37, off, s[20:23], 0 offset:384 ; 4-byte Folded Spill
	s_nop 0
	buffer_store_dword v38, off, s[20:23], 0 offset:388 ; 4-byte Folded Spill
	buffer_store_dword v39, off, s[20:23], 0 offset:392 ; 4-byte Folded Spill
	buffer_store_dword v40, off, s[20:23], 0 offset:396 ; 4-byte Folded Spill
	ds_read2_b64 v[99:102], v125 offset0:22 offset1:23
	buffer_load_dword v37, off, s[20:23], 0 offset:368 ; 4-byte Folded Reload
	buffer_load_dword v38, off, s[20:23], 0 offset:372 ; 4-byte Folded Reload
	buffer_load_dword v39, off, s[20:23], 0 offset:376 ; 4-byte Folded Reload
	buffer_load_dword v40, off, s[20:23], 0 offset:380 ; 4-byte Folded Reload
	s_waitcnt lgkmcnt(0)
	v_mul_f64 v[103:104], v[101:102], v[105:106]
	v_fma_f64 v[103:104], v[99:100], v[97:98], -v[103:104]
	v_mul_f64 v[99:100], v[99:100], v[105:106]
	v_fma_f64 v[99:100], v[101:102], v[97:98], v[99:100]
	s_waitcnt vmcnt(2)
	v_add_f64 v[37:38], v[37:38], -v[103:104]
	s_waitcnt vmcnt(0)
	v_add_f64 v[39:40], v[39:40], -v[99:100]
	buffer_store_dword v37, off, s[20:23], 0 offset:368 ; 4-byte Folded Spill
	s_nop 0
	buffer_store_dword v38, off, s[20:23], 0 offset:372 ; 4-byte Folded Spill
	buffer_store_dword v39, off, s[20:23], 0 offset:376 ; 4-byte Folded Spill
	buffer_store_dword v40, off, s[20:23], 0 offset:380 ; 4-byte Folded Spill
	ds_read2_b64 v[99:102], v125 offset0:24 offset1:25
	;; [unrolled: 19-line block ×22, first 2 shown]
	s_waitcnt lgkmcnt(0)
	v_mul_f64 v[103:104], v[101:102], v[105:106]
	v_fma_f64 v[103:104], v[99:100], v[97:98], -v[103:104]
	v_mul_f64 v[99:100], v[99:100], v[105:106]
	v_add_f64 v[93:94], v[93:94], -v[103:104]
	v_fma_f64 v[99:100], v[101:102], v[97:98], v[99:100]
	v_add_f64 v[95:96], v[95:96], -v[99:100]
	ds_read2_b64 v[99:102], v125 offset0:66 offset1:67
	s_waitcnt lgkmcnt(0)
	v_mul_f64 v[103:104], v[101:102], v[105:106]
	v_fma_f64 v[103:104], v[99:100], v[97:98], -v[103:104]
	v_mul_f64 v[99:100], v[99:100], v[105:106]
	v_add_f64 v[109:110], v[109:110], -v[103:104]
	v_fma_f64 v[99:100], v[101:102], v[97:98], v[99:100]
	v_add_f64 v[111:112], v[111:112], -v[99:100]
	ds_read2_b64 v[99:102], v125 offset0:68 offset1:69
	;; [unrolled: 8-line block ×16, first 2 shown]
	buffer_load_dword v37, off, s[20:23], 0 offset:32 ; 4-byte Folded Reload
	buffer_load_dword v38, off, s[20:23], 0 offset:36 ; 4-byte Folded Reload
	;; [unrolled: 1-line block ×4, first 2 shown]
	s_waitcnt lgkmcnt(0)
	v_mul_f64 v[103:104], v[101:102], v[105:106]
	v_fma_f64 v[103:104], v[99:100], v[97:98], -v[103:104]
	v_mul_f64 v[99:100], v[99:100], v[105:106]
	v_fma_f64 v[99:100], v[101:102], v[97:98], v[99:100]
	s_waitcnt vmcnt(2)
	v_add_f64 v[37:38], v[37:38], -v[103:104]
	s_waitcnt vmcnt(0)
	v_add_f64 v[39:40], v[39:40], -v[99:100]
	buffer_store_dword v37, off, s[20:23], 0 offset:32 ; 4-byte Folded Spill
	s_nop 0
	buffer_store_dword v38, off, s[20:23], 0 offset:36 ; 4-byte Folded Spill
	buffer_store_dword v39, off, s[20:23], 0 offset:40 ; 4-byte Folded Spill
	;; [unrolled: 1-line block ×3, first 2 shown]
	ds_read2_b64 v[99:102], v125 offset0:98 offset1:99
	buffer_load_dword v33, off, s[20:23], 0 offset:16 ; 4-byte Folded Reload
	buffer_load_dword v34, off, s[20:23], 0 offset:20 ; 4-byte Folded Reload
	buffer_load_dword v35, off, s[20:23], 0 offset:24 ; 4-byte Folded Reload
	buffer_load_dword v36, off, s[20:23], 0 offset:28 ; 4-byte Folded Reload
	s_waitcnt lgkmcnt(0)
	v_mul_f64 v[103:104], v[101:102], v[105:106]
	v_fma_f64 v[103:104], v[99:100], v[97:98], -v[103:104]
	v_mul_f64 v[99:100], v[99:100], v[105:106]
	v_fma_f64 v[99:100], v[101:102], v[97:98], v[99:100]
	s_waitcnt vmcnt(2)
	v_add_f64 v[33:34], v[33:34], -v[103:104]
	s_waitcnt vmcnt(0)
	v_add_f64 v[35:36], v[35:36], -v[99:100]
	buffer_store_dword v33, off, s[20:23], 0 offset:16 ; 4-byte Folded Spill
	s_nop 0
	buffer_store_dword v34, off, s[20:23], 0 offset:20 ; 4-byte Folded Spill
	buffer_store_dword v35, off, s[20:23], 0 offset:24 ; 4-byte Folded Spill
	buffer_store_dword v36, off, s[20:23], 0 offset:28 ; 4-byte Folded Spill
	ds_read2_b64 v[99:102], v125 offset0:100 offset1:101
	s_waitcnt lgkmcnt(0)
	v_mul_f64 v[103:104], v[101:102], v[105:106]
	v_fma_f64 v[103:104], v[99:100], v[97:98], -v[103:104]
	v_mul_f64 v[99:100], v[99:100], v[105:106]
	v_add_f64 v[29:30], v[29:30], -v[103:104]
	v_fma_f64 v[99:100], v[101:102], v[97:98], v[99:100]
	v_add_f64 v[31:32], v[31:32], -v[99:100]
	ds_read2_b64 v[99:102], v125 offset0:102 offset1:103
	s_waitcnt lgkmcnt(0)
	v_mul_f64 v[103:104], v[101:102], v[105:106]
	v_fma_f64 v[103:104], v[99:100], v[97:98], -v[103:104]
	v_mul_f64 v[99:100], v[99:100], v[105:106]
	v_add_f64 v[25:26], v[25:26], -v[103:104]
	v_fma_f64 v[99:100], v[101:102], v[97:98], v[99:100]
	v_add_f64 v[27:28], v[27:28], -v[99:100]
	ds_read2_b64 v[99:102], v125 offset0:104 offset1:105
	s_waitcnt lgkmcnt(0)
	v_mul_f64 v[103:104], v[101:102], v[105:106]
	v_fma_f64 v[103:104], v[99:100], v[97:98], -v[103:104]
	v_mul_f64 v[99:100], v[99:100], v[105:106]
	v_add_f64 v[21:22], v[21:22], -v[103:104]
	v_fma_f64 v[99:100], v[101:102], v[97:98], v[99:100]
	v_add_f64 v[23:24], v[23:24], -v[99:100]
	ds_read2_b64 v[99:102], v125 offset0:106 offset1:107
	s_waitcnt lgkmcnt(0)
	v_mul_f64 v[103:104], v[101:102], v[105:106]
	v_fma_f64 v[103:104], v[99:100], v[97:98], -v[103:104]
	v_mul_f64 v[99:100], v[99:100], v[105:106]
	v_add_f64 v[17:18], v[17:18], -v[103:104]
	v_fma_f64 v[99:100], v[101:102], v[97:98], v[99:100]
	v_add_f64 v[19:20], v[19:20], -v[99:100]
	ds_read2_b64 v[99:102], v125 offset0:108 offset1:109
	s_waitcnt lgkmcnt(0)
	v_mul_f64 v[103:104], v[101:102], v[105:106]
	v_fma_f64 v[103:104], v[99:100], v[97:98], -v[103:104]
	v_mul_f64 v[99:100], v[99:100], v[105:106]
	v_add_f64 v[13:14], v[13:14], -v[103:104]
	v_fma_f64 v[99:100], v[101:102], v[97:98], v[99:100]
	v_add_f64 v[15:16], v[15:16], -v[99:100]
	ds_read2_b64 v[99:102], v125 offset0:110 offset1:111
	s_waitcnt lgkmcnt(0)
	v_mul_f64 v[103:104], v[101:102], v[105:106]
	v_fma_f64 v[103:104], v[99:100], v[97:98], -v[103:104]
	v_mul_f64 v[99:100], v[99:100], v[105:106]
	v_add_f64 v[9:10], v[9:10], -v[103:104]
	v_fma_f64 v[99:100], v[101:102], v[97:98], v[99:100]
	v_add_f64 v[11:12], v[11:12], -v[99:100]
	ds_read2_b64 v[99:102], v125 offset0:112 offset1:113
	s_waitcnt lgkmcnt(0)
	v_mul_f64 v[103:104], v[101:102], v[105:106]
	v_fma_f64 v[103:104], v[99:100], v[97:98], -v[103:104]
	v_mul_f64 v[99:100], v[99:100], v[105:106]
	v_add_f64 v[5:6], v[5:6], -v[103:104]
	v_fma_f64 v[99:100], v[101:102], v[97:98], v[99:100]
	v_add_f64 v[7:8], v[7:8], -v[99:100]
	ds_read2_b64 v[99:102], v125 offset0:114 offset1:115
	s_waitcnt lgkmcnt(0)
	v_mul_f64 v[103:104], v[101:102], v[105:106]
	v_fma_f64 v[103:104], v[99:100], v[97:98], -v[103:104]
	v_mul_f64 v[99:100], v[99:100], v[105:106]
	v_add_f64 v[1:2], v[1:2], -v[103:104]
	v_fma_f64 v[99:100], v[101:102], v[97:98], v[99:100]
	ds_read2_b64 v[101:104], v125 offset0:116 offset1:117
	buffer_load_dword v37, off, s[20:23], 0 ; 4-byte Folded Reload
	buffer_load_dword v38, off, s[20:23], 0 offset:4 ; 4-byte Folded Reload
	buffer_load_dword v39, off, s[20:23], 0 offset:8 ; 4-byte Folded Reload
	;; [unrolled: 1-line block ×3, first 2 shown]
	v_add_f64 v[3:4], v[3:4], -v[99:100]
	s_waitcnt lgkmcnt(0)
	v_mul_f64 v[99:100], v[103:104], v[105:106]
	v_fma_f64 v[99:100], v[101:102], v[97:98], -v[99:100]
	v_mul_f64 v[101:102], v[101:102], v[105:106]
	v_fma_f64 v[101:102], v[103:104], v[97:98], v[101:102]
	v_mov_b32_e32 v104, v98
	v_mov_b32_e32 v103, v97
	s_waitcnt vmcnt(2)
	v_add_f64 v[37:38], v[37:38], -v[99:100]
	s_waitcnt vmcnt(0)
	v_add_f64 v[39:40], v[39:40], -v[101:102]
	buffer_store_dword v37, off, s[20:23], 0 ; 4-byte Folded Spill
	s_nop 0
	buffer_store_dword v38, off, s[20:23], 0 offset:4 ; 4-byte Folded Spill
	buffer_store_dword v39, off, s[20:23], 0 offset:8 ; 4-byte Folded Spill
	;; [unrolled: 1-line block ×4, first 2 shown]
	s_nop 0
	buffer_store_dword v104, off, s[20:23], 0 offset:404 ; 4-byte Folded Spill
	buffer_store_dword v105, off, s[20:23], 0 offset:408 ; 4-byte Folded Spill
	;; [unrolled: 1-line block ×3, first 2 shown]
.LBB117_91:
	s_or_b64 exec, exec, s[2:3]
	v_cmp_eq_u32_e32 vcc, 10, v0
	s_waitcnt vmcnt(0)
	s_barrier
	s_and_saveexec_b64 s[4:5], vcc
	s_cbranch_execz .LBB117_98
; %bb.92:
	buffer_load_dword v37, off, s[20:23], 0 offset:384 ; 4-byte Folded Reload
	buffer_load_dword v38, off, s[20:23], 0 offset:388 ; 4-byte Folded Reload
	;; [unrolled: 1-line block ×4, first 2 shown]
	s_waitcnt vmcnt(0)
	ds_write2_b64 v127, v[37:38], v[39:40] offset1:1
	buffer_load_dword v37, off, s[20:23], 0 offset:368 ; 4-byte Folded Reload
	buffer_load_dword v38, off, s[20:23], 0 offset:372 ; 4-byte Folded Reload
	buffer_load_dword v39, off, s[20:23], 0 offset:376 ; 4-byte Folded Reload
	buffer_load_dword v40, off, s[20:23], 0 offset:380 ; 4-byte Folded Reload
	s_waitcnt vmcnt(0)
	ds_write2_b64 v125, v[37:38], v[39:40] offset0:22 offset1:23
	buffer_load_dword v37, off, s[20:23], 0 offset:352 ; 4-byte Folded Reload
	buffer_load_dword v38, off, s[20:23], 0 offset:356 ; 4-byte Folded Reload
	buffer_load_dword v39, off, s[20:23], 0 offset:360 ; 4-byte Folded Reload
	buffer_load_dword v40, off, s[20:23], 0 offset:364 ; 4-byte Folded Reload
	s_waitcnt vmcnt(0)
	ds_write2_b64 v125, v[37:38], v[39:40] offset0:24 offset1:25
	;; [unrolled: 6-line block ×21, first 2 shown]
	ds_write2_b64 v125, v[93:94], v[95:96] offset0:64 offset1:65
	ds_write2_b64 v125, v[109:110], v[111:112] offset0:66 offset1:67
	ds_write2_b64 v125, v[121:122], v[123:124] offset0:68 offset1:69
	ds_write2_b64 v125, v[113:114], v[115:116] offset0:70 offset1:71
	ds_write2_b64 v125, v[89:90], v[91:92] offset0:72 offset1:73
	ds_write2_b64 v125, v[81:82], v[83:84] offset0:74 offset1:75
	ds_write2_b64 v125, v[77:78], v[79:80] offset0:76 offset1:77
	ds_write2_b64 v125, v[73:74], v[75:76] offset0:78 offset1:79
	ds_write2_b64 v125, v[69:70], v[71:72] offset0:80 offset1:81
	ds_write2_b64 v125, v[65:66], v[67:68] offset0:82 offset1:83
	ds_write2_b64 v125, v[61:62], v[63:64] offset0:84 offset1:85
	ds_write2_b64 v125, v[57:58], v[59:60] offset0:86 offset1:87
	ds_write2_b64 v125, v[53:54], v[55:56] offset0:88 offset1:89
	ds_write2_b64 v125, v[49:50], v[51:52] offset0:90 offset1:91
	ds_write2_b64 v125, v[45:46], v[47:48] offset0:92 offset1:93
	ds_write2_b64 v125, v[41:42], v[43:44] offset0:94 offset1:95
	buffer_load_dword v37, off, s[20:23], 0 offset:32 ; 4-byte Folded Reload
	buffer_load_dword v38, off, s[20:23], 0 offset:36 ; 4-byte Folded Reload
	;; [unrolled: 1-line block ×4, first 2 shown]
	s_waitcnt vmcnt(0)
	ds_write2_b64 v125, v[37:38], v[39:40] offset0:96 offset1:97
	buffer_load_dword v33, off, s[20:23], 0 offset:16 ; 4-byte Folded Reload
	buffer_load_dword v34, off, s[20:23], 0 offset:20 ; 4-byte Folded Reload
	;; [unrolled: 1-line block ×4, first 2 shown]
	s_waitcnt vmcnt(0)
	ds_write2_b64 v125, v[33:34], v[35:36] offset0:98 offset1:99
	ds_write2_b64 v125, v[29:30], v[31:32] offset0:100 offset1:101
	;; [unrolled: 1-line block ×9, first 2 shown]
	buffer_load_dword v37, off, s[20:23], 0 ; 4-byte Folded Reload
	buffer_load_dword v38, off, s[20:23], 0 offset:4 ; 4-byte Folded Reload
	buffer_load_dword v39, off, s[20:23], 0 offset:8 ; 4-byte Folded Reload
	;; [unrolled: 1-line block ×3, first 2 shown]
	s_waitcnt vmcnt(0)
	ds_write2_b64 v125, v[37:38], v[39:40] offset0:116 offset1:117
	ds_read2_b64 v[97:100], v127 offset1:1
	s_waitcnt lgkmcnt(0)
	v_cmp_neq_f64_e32 vcc, 0, v[97:98]
	v_cmp_neq_f64_e64 s[2:3], 0, v[99:100]
	s_or_b64 s[2:3], vcc, s[2:3]
	s_and_b64 exec, exec, s[2:3]
	s_cbranch_execz .LBB117_98
; %bb.93:
	v_cmp_ngt_f64_e64 s[2:3], |v[97:98]|, |v[99:100]|
                                        ; implicit-def: $vgpr101_vgpr102
	s_and_saveexec_b64 s[6:7], s[2:3]
	s_xor_b64 s[2:3], exec, s[6:7]
                                        ; implicit-def: $vgpr103_vgpr104
	s_cbranch_execz .LBB117_95
; %bb.94:
	v_div_scale_f64 v[101:102], s[6:7], v[99:100], v[99:100], v[97:98]
	v_rcp_f64_e32 v[103:104], v[101:102]
	v_fma_f64 v[105:106], -v[101:102], v[103:104], 1.0
	v_fma_f64 v[103:104], v[103:104], v[105:106], v[103:104]
	v_div_scale_f64 v[105:106], vcc, v[97:98], v[99:100], v[97:98]
	v_fma_f64 v[107:108], -v[101:102], v[103:104], 1.0
	v_fma_f64 v[103:104], v[103:104], v[107:108], v[103:104]
	v_mul_f64 v[107:108], v[105:106], v[103:104]
	v_fma_f64 v[101:102], -v[101:102], v[107:108], v[105:106]
	v_div_fmas_f64 v[101:102], v[101:102], v[103:104], v[107:108]
	v_div_fixup_f64 v[101:102], v[101:102], v[99:100], v[97:98]
	v_fma_f64 v[97:98], v[97:98], v[101:102], v[99:100]
	v_div_scale_f64 v[99:100], s[6:7], v[97:98], v[97:98], 1.0
	v_div_scale_f64 v[107:108], vcc, 1.0, v[97:98], 1.0
	v_rcp_f64_e32 v[103:104], v[99:100]
	v_fma_f64 v[105:106], -v[99:100], v[103:104], 1.0
	v_fma_f64 v[103:104], v[103:104], v[105:106], v[103:104]
	v_fma_f64 v[105:106], -v[99:100], v[103:104], 1.0
	v_fma_f64 v[103:104], v[103:104], v[105:106], v[103:104]
	v_mul_f64 v[105:106], v[107:108], v[103:104]
	v_fma_f64 v[99:100], -v[99:100], v[105:106], v[107:108]
	v_div_fmas_f64 v[99:100], v[99:100], v[103:104], v[105:106]
	v_div_fixup_f64 v[103:104], v[99:100], v[97:98], 1.0
                                        ; implicit-def: $vgpr97_vgpr98
	v_mul_f64 v[101:102], v[101:102], v[103:104]
	v_xor_b32_e32 v104, 0x80000000, v104
.LBB117_95:
	s_andn2_saveexec_b64 s[2:3], s[2:3]
	s_cbranch_execz .LBB117_97
; %bb.96:
	v_div_scale_f64 v[101:102], s[6:7], v[97:98], v[97:98], v[99:100]
	v_rcp_f64_e32 v[103:104], v[101:102]
	v_fma_f64 v[105:106], -v[101:102], v[103:104], 1.0
	v_fma_f64 v[103:104], v[103:104], v[105:106], v[103:104]
	v_div_scale_f64 v[105:106], vcc, v[99:100], v[97:98], v[99:100]
	v_fma_f64 v[107:108], -v[101:102], v[103:104], 1.0
	v_fma_f64 v[103:104], v[103:104], v[107:108], v[103:104]
	v_mul_f64 v[107:108], v[105:106], v[103:104]
	v_fma_f64 v[101:102], -v[101:102], v[107:108], v[105:106]
	v_div_fmas_f64 v[101:102], v[101:102], v[103:104], v[107:108]
	v_div_fixup_f64 v[103:104], v[101:102], v[97:98], v[99:100]
	v_fma_f64 v[97:98], v[99:100], v[103:104], v[97:98]
	v_div_scale_f64 v[99:100], s[6:7], v[97:98], v[97:98], 1.0
	v_div_scale_f64 v[107:108], vcc, 1.0, v[97:98], 1.0
	v_rcp_f64_e32 v[101:102], v[99:100]
	v_fma_f64 v[105:106], -v[99:100], v[101:102], 1.0
	v_fma_f64 v[101:102], v[101:102], v[105:106], v[101:102]
	v_fma_f64 v[105:106], -v[99:100], v[101:102], 1.0
	v_fma_f64 v[101:102], v[101:102], v[105:106], v[101:102]
	v_mul_f64 v[105:106], v[107:108], v[101:102]
	v_fma_f64 v[99:100], -v[99:100], v[105:106], v[107:108]
	v_div_fmas_f64 v[99:100], v[99:100], v[101:102], v[105:106]
	v_div_fixup_f64 v[101:102], v[99:100], v[97:98], 1.0
	v_mul_f64 v[103:104], v[103:104], -v[101:102]
.LBB117_97:
	s_or_b64 exec, exec, s[2:3]
	ds_write2_b64 v127, v[101:102], v[103:104] offset1:1
.LBB117_98:
	s_or_b64 exec, exec, s[4:5]
	s_waitcnt lgkmcnt(0)
	s_barrier
	ds_read2_b64 v[37:40], v127 offset1:1
	v_cmp_lt_u32_e32 vcc, 10, v0
	s_waitcnt lgkmcnt(0)
	buffer_store_dword v37, off, s[20:23], 0 offset:1184 ; 4-byte Folded Spill
	s_nop 0
	buffer_store_dword v38, off, s[20:23], 0 offset:1188 ; 4-byte Folded Spill
	buffer_store_dword v39, off, s[20:23], 0 offset:1192 ; 4-byte Folded Spill
	buffer_store_dword v40, off, s[20:23], 0 offset:1196 ; 4-byte Folded Spill
	s_and_saveexec_b64 s[2:3], vcc
	s_cbranch_execz .LBB117_100
; %bb.99:
	buffer_load_dword v103, off, s[20:23], 0 offset:384 ; 4-byte Folded Reload
	buffer_load_dword v104, off, s[20:23], 0 offset:388 ; 4-byte Folded Reload
	;; [unrolled: 1-line block ×8, first 2 shown]
	s_waitcnt vmcnt(2)
	v_mul_f64 v[99:100], v[37:38], v[105:106]
	s_waitcnt vmcnt(0)
	v_mul_f64 v[97:98], v[39:40], v[105:106]
	v_fma_f64 v[105:106], v[39:40], v[103:104], v[99:100]
	ds_read2_b64 v[99:102], v125 offset0:22 offset1:23
	v_fma_f64 v[97:98], v[37:38], v[103:104], -v[97:98]
	buffer_load_dword v37, off, s[20:23], 0 offset:368 ; 4-byte Folded Reload
	buffer_load_dword v38, off, s[20:23], 0 offset:372 ; 4-byte Folded Reload
	buffer_load_dword v39, off, s[20:23], 0 offset:376 ; 4-byte Folded Reload
	buffer_load_dword v40, off, s[20:23], 0 offset:380 ; 4-byte Folded Reload
	s_waitcnt lgkmcnt(0)
	v_mul_f64 v[103:104], v[101:102], v[105:106]
	v_fma_f64 v[103:104], v[99:100], v[97:98], -v[103:104]
	v_mul_f64 v[99:100], v[99:100], v[105:106]
	v_fma_f64 v[99:100], v[101:102], v[97:98], v[99:100]
	s_waitcnt vmcnt(2)
	v_add_f64 v[37:38], v[37:38], -v[103:104]
	s_waitcnt vmcnt(0)
	v_add_f64 v[39:40], v[39:40], -v[99:100]
	buffer_store_dword v37, off, s[20:23], 0 offset:368 ; 4-byte Folded Spill
	s_nop 0
	buffer_store_dword v38, off, s[20:23], 0 offset:372 ; 4-byte Folded Spill
	buffer_store_dword v39, off, s[20:23], 0 offset:376 ; 4-byte Folded Spill
	buffer_store_dword v40, off, s[20:23], 0 offset:380 ; 4-byte Folded Spill
	ds_read2_b64 v[99:102], v125 offset0:24 offset1:25
	buffer_load_dword v37, off, s[20:23], 0 offset:352 ; 4-byte Folded Reload
	buffer_load_dword v38, off, s[20:23], 0 offset:356 ; 4-byte Folded Reload
	buffer_load_dword v39, off, s[20:23], 0 offset:360 ; 4-byte Folded Reload
	buffer_load_dword v40, off, s[20:23], 0 offset:364 ; 4-byte Folded Reload
	s_waitcnt lgkmcnt(0)
	v_mul_f64 v[103:104], v[101:102], v[105:106]
	v_fma_f64 v[103:104], v[99:100], v[97:98], -v[103:104]
	v_mul_f64 v[99:100], v[99:100], v[105:106]
	v_fma_f64 v[99:100], v[101:102], v[97:98], v[99:100]
	s_waitcnt vmcnt(2)
	v_add_f64 v[37:38], v[37:38], -v[103:104]
	s_waitcnt vmcnt(0)
	v_add_f64 v[39:40], v[39:40], -v[99:100]
	buffer_store_dword v37, off, s[20:23], 0 offset:352 ; 4-byte Folded Spill
	s_nop 0
	buffer_store_dword v38, off, s[20:23], 0 offset:356 ; 4-byte Folded Spill
	buffer_store_dword v39, off, s[20:23], 0 offset:360 ; 4-byte Folded Spill
	buffer_store_dword v40, off, s[20:23], 0 offset:364 ; 4-byte Folded Spill
	ds_read2_b64 v[99:102], v125 offset0:26 offset1:27
	;; [unrolled: 19-line block ×21, first 2 shown]
	s_waitcnt lgkmcnt(0)
	v_mul_f64 v[103:104], v[101:102], v[105:106]
	v_fma_f64 v[103:104], v[99:100], v[97:98], -v[103:104]
	v_mul_f64 v[99:100], v[99:100], v[105:106]
	v_add_f64 v[93:94], v[93:94], -v[103:104]
	v_fma_f64 v[99:100], v[101:102], v[97:98], v[99:100]
	v_add_f64 v[95:96], v[95:96], -v[99:100]
	ds_read2_b64 v[99:102], v125 offset0:66 offset1:67
	s_waitcnt lgkmcnt(0)
	v_mul_f64 v[103:104], v[101:102], v[105:106]
	v_fma_f64 v[103:104], v[99:100], v[97:98], -v[103:104]
	v_mul_f64 v[99:100], v[99:100], v[105:106]
	v_add_f64 v[109:110], v[109:110], -v[103:104]
	v_fma_f64 v[99:100], v[101:102], v[97:98], v[99:100]
	v_add_f64 v[111:112], v[111:112], -v[99:100]
	ds_read2_b64 v[99:102], v125 offset0:68 offset1:69
	;; [unrolled: 8-line block ×16, first 2 shown]
	buffer_load_dword v37, off, s[20:23], 0 offset:32 ; 4-byte Folded Reload
	buffer_load_dword v38, off, s[20:23], 0 offset:36 ; 4-byte Folded Reload
	;; [unrolled: 1-line block ×4, first 2 shown]
	s_waitcnt lgkmcnt(0)
	v_mul_f64 v[103:104], v[101:102], v[105:106]
	v_fma_f64 v[103:104], v[99:100], v[97:98], -v[103:104]
	v_mul_f64 v[99:100], v[99:100], v[105:106]
	v_fma_f64 v[99:100], v[101:102], v[97:98], v[99:100]
	s_waitcnt vmcnt(2)
	v_add_f64 v[37:38], v[37:38], -v[103:104]
	s_waitcnt vmcnt(0)
	v_add_f64 v[39:40], v[39:40], -v[99:100]
	buffer_store_dword v37, off, s[20:23], 0 offset:32 ; 4-byte Folded Spill
	s_nop 0
	buffer_store_dword v38, off, s[20:23], 0 offset:36 ; 4-byte Folded Spill
	buffer_store_dword v39, off, s[20:23], 0 offset:40 ; 4-byte Folded Spill
	;; [unrolled: 1-line block ×3, first 2 shown]
	ds_read2_b64 v[99:102], v125 offset0:98 offset1:99
	buffer_load_dword v33, off, s[20:23], 0 offset:16 ; 4-byte Folded Reload
	buffer_load_dword v34, off, s[20:23], 0 offset:20 ; 4-byte Folded Reload
	;; [unrolled: 1-line block ×4, first 2 shown]
	s_waitcnt lgkmcnt(0)
	v_mul_f64 v[103:104], v[101:102], v[105:106]
	v_fma_f64 v[103:104], v[99:100], v[97:98], -v[103:104]
	v_mul_f64 v[99:100], v[99:100], v[105:106]
	v_fma_f64 v[99:100], v[101:102], v[97:98], v[99:100]
	s_waitcnt vmcnt(2)
	v_add_f64 v[33:34], v[33:34], -v[103:104]
	s_waitcnt vmcnt(0)
	v_add_f64 v[35:36], v[35:36], -v[99:100]
	buffer_store_dword v33, off, s[20:23], 0 offset:16 ; 4-byte Folded Spill
	s_nop 0
	buffer_store_dword v34, off, s[20:23], 0 offset:20 ; 4-byte Folded Spill
	buffer_store_dword v35, off, s[20:23], 0 offset:24 ; 4-byte Folded Spill
	;; [unrolled: 1-line block ×3, first 2 shown]
	ds_read2_b64 v[99:102], v125 offset0:100 offset1:101
	s_waitcnt lgkmcnt(0)
	v_mul_f64 v[103:104], v[101:102], v[105:106]
	v_fma_f64 v[103:104], v[99:100], v[97:98], -v[103:104]
	v_mul_f64 v[99:100], v[99:100], v[105:106]
	v_add_f64 v[29:30], v[29:30], -v[103:104]
	v_fma_f64 v[99:100], v[101:102], v[97:98], v[99:100]
	v_add_f64 v[31:32], v[31:32], -v[99:100]
	ds_read2_b64 v[99:102], v125 offset0:102 offset1:103
	s_waitcnt lgkmcnt(0)
	v_mul_f64 v[103:104], v[101:102], v[105:106]
	v_fma_f64 v[103:104], v[99:100], v[97:98], -v[103:104]
	v_mul_f64 v[99:100], v[99:100], v[105:106]
	v_add_f64 v[25:26], v[25:26], -v[103:104]
	v_fma_f64 v[99:100], v[101:102], v[97:98], v[99:100]
	v_add_f64 v[27:28], v[27:28], -v[99:100]
	;; [unrolled: 8-line block ×7, first 2 shown]
	ds_read2_b64 v[99:102], v125 offset0:114 offset1:115
	s_waitcnt lgkmcnt(0)
	v_mul_f64 v[103:104], v[101:102], v[105:106]
	v_fma_f64 v[103:104], v[99:100], v[97:98], -v[103:104]
	v_mul_f64 v[99:100], v[99:100], v[105:106]
	v_add_f64 v[1:2], v[1:2], -v[103:104]
	v_fma_f64 v[99:100], v[101:102], v[97:98], v[99:100]
	ds_read2_b64 v[101:104], v125 offset0:116 offset1:117
	buffer_load_dword v37, off, s[20:23], 0 ; 4-byte Folded Reload
	buffer_load_dword v38, off, s[20:23], 0 offset:4 ; 4-byte Folded Reload
	buffer_load_dword v39, off, s[20:23], 0 offset:8 ; 4-byte Folded Reload
	;; [unrolled: 1-line block ×3, first 2 shown]
	v_add_f64 v[3:4], v[3:4], -v[99:100]
	s_waitcnt lgkmcnt(0)
	v_mul_f64 v[99:100], v[103:104], v[105:106]
	v_fma_f64 v[99:100], v[101:102], v[97:98], -v[99:100]
	v_mul_f64 v[101:102], v[101:102], v[105:106]
	v_fma_f64 v[101:102], v[103:104], v[97:98], v[101:102]
	v_mov_b32_e32 v104, v98
	v_mov_b32_e32 v103, v97
	s_waitcnt vmcnt(2)
	v_add_f64 v[37:38], v[37:38], -v[99:100]
	s_waitcnt vmcnt(0)
	v_add_f64 v[39:40], v[39:40], -v[101:102]
	buffer_store_dword v37, off, s[20:23], 0 ; 4-byte Folded Spill
	s_nop 0
	buffer_store_dword v38, off, s[20:23], 0 offset:4 ; 4-byte Folded Spill
	buffer_store_dword v39, off, s[20:23], 0 offset:8 ; 4-byte Folded Spill
	buffer_store_dword v40, off, s[20:23], 0 offset:12 ; 4-byte Folded Spill
	buffer_store_dword v103, off, s[20:23], 0 offset:384 ; 4-byte Folded Spill
	s_nop 0
	buffer_store_dword v104, off, s[20:23], 0 offset:388 ; 4-byte Folded Spill
	buffer_store_dword v105, off, s[20:23], 0 offset:392 ; 4-byte Folded Spill
	;; [unrolled: 1-line block ×3, first 2 shown]
.LBB117_100:
	s_or_b64 exec, exec, s[2:3]
	v_cmp_eq_u32_e32 vcc, 11, v0
	s_waitcnt vmcnt(0)
	s_barrier
	s_and_saveexec_b64 s[4:5], vcc
	s_cbranch_execz .LBB117_107
; %bb.101:
	buffer_load_dword v37, off, s[20:23], 0 offset:368 ; 4-byte Folded Reload
	buffer_load_dword v38, off, s[20:23], 0 offset:372 ; 4-byte Folded Reload
	;; [unrolled: 1-line block ×4, first 2 shown]
	s_waitcnt vmcnt(0)
	ds_write2_b64 v127, v[37:38], v[39:40] offset1:1
	buffer_load_dword v37, off, s[20:23], 0 offset:352 ; 4-byte Folded Reload
	buffer_load_dword v38, off, s[20:23], 0 offset:356 ; 4-byte Folded Reload
	buffer_load_dword v39, off, s[20:23], 0 offset:360 ; 4-byte Folded Reload
	buffer_load_dword v40, off, s[20:23], 0 offset:364 ; 4-byte Folded Reload
	s_waitcnt vmcnt(0)
	ds_write2_b64 v125, v[37:38], v[39:40] offset0:24 offset1:25
	buffer_load_dword v37, off, s[20:23], 0 offset:336 ; 4-byte Folded Reload
	buffer_load_dword v38, off, s[20:23], 0 offset:340 ; 4-byte Folded Reload
	buffer_load_dword v39, off, s[20:23], 0 offset:344 ; 4-byte Folded Reload
	buffer_load_dword v40, off, s[20:23], 0 offset:348 ; 4-byte Folded Reload
	s_waitcnt vmcnt(0)
	ds_write2_b64 v125, v[37:38], v[39:40] offset0:26 offset1:27
	;; [unrolled: 6-line block ×20, first 2 shown]
	ds_write2_b64 v125, v[93:94], v[95:96] offset0:64 offset1:65
	ds_write2_b64 v125, v[109:110], v[111:112] offset0:66 offset1:67
	;; [unrolled: 1-line block ×16, first 2 shown]
	buffer_load_dword v37, off, s[20:23], 0 offset:32 ; 4-byte Folded Reload
	buffer_load_dword v38, off, s[20:23], 0 offset:36 ; 4-byte Folded Reload
	;; [unrolled: 1-line block ×4, first 2 shown]
	s_waitcnt vmcnt(0)
	ds_write2_b64 v125, v[37:38], v[39:40] offset0:96 offset1:97
	buffer_load_dword v33, off, s[20:23], 0 offset:16 ; 4-byte Folded Reload
	buffer_load_dword v34, off, s[20:23], 0 offset:20 ; 4-byte Folded Reload
	;; [unrolled: 1-line block ×4, first 2 shown]
	s_waitcnt vmcnt(0)
	ds_write2_b64 v125, v[33:34], v[35:36] offset0:98 offset1:99
	ds_write2_b64 v125, v[29:30], v[31:32] offset0:100 offset1:101
	;; [unrolled: 1-line block ×9, first 2 shown]
	buffer_load_dword v37, off, s[20:23], 0 ; 4-byte Folded Reload
	buffer_load_dword v38, off, s[20:23], 0 offset:4 ; 4-byte Folded Reload
	buffer_load_dword v39, off, s[20:23], 0 offset:8 ; 4-byte Folded Reload
	buffer_load_dword v40, off, s[20:23], 0 offset:12 ; 4-byte Folded Reload
	s_waitcnt vmcnt(0)
	ds_write2_b64 v125, v[37:38], v[39:40] offset0:116 offset1:117
	ds_read2_b64 v[97:100], v127 offset1:1
	s_waitcnt lgkmcnt(0)
	v_cmp_neq_f64_e32 vcc, 0, v[97:98]
	v_cmp_neq_f64_e64 s[2:3], 0, v[99:100]
	s_or_b64 s[2:3], vcc, s[2:3]
	s_and_b64 exec, exec, s[2:3]
	s_cbranch_execz .LBB117_107
; %bb.102:
	v_cmp_ngt_f64_e64 s[2:3], |v[97:98]|, |v[99:100]|
                                        ; implicit-def: $vgpr101_vgpr102
	s_and_saveexec_b64 s[6:7], s[2:3]
	s_xor_b64 s[2:3], exec, s[6:7]
                                        ; implicit-def: $vgpr103_vgpr104
	s_cbranch_execz .LBB117_104
; %bb.103:
	v_div_scale_f64 v[101:102], s[6:7], v[99:100], v[99:100], v[97:98]
	v_rcp_f64_e32 v[103:104], v[101:102]
	v_fma_f64 v[105:106], -v[101:102], v[103:104], 1.0
	v_fma_f64 v[103:104], v[103:104], v[105:106], v[103:104]
	v_div_scale_f64 v[105:106], vcc, v[97:98], v[99:100], v[97:98]
	v_fma_f64 v[107:108], -v[101:102], v[103:104], 1.0
	v_fma_f64 v[103:104], v[103:104], v[107:108], v[103:104]
	v_mul_f64 v[107:108], v[105:106], v[103:104]
	v_fma_f64 v[101:102], -v[101:102], v[107:108], v[105:106]
	v_div_fmas_f64 v[101:102], v[101:102], v[103:104], v[107:108]
	v_div_fixup_f64 v[101:102], v[101:102], v[99:100], v[97:98]
	v_fma_f64 v[97:98], v[97:98], v[101:102], v[99:100]
	v_div_scale_f64 v[99:100], s[6:7], v[97:98], v[97:98], 1.0
	v_div_scale_f64 v[107:108], vcc, 1.0, v[97:98], 1.0
	v_rcp_f64_e32 v[103:104], v[99:100]
	v_fma_f64 v[105:106], -v[99:100], v[103:104], 1.0
	v_fma_f64 v[103:104], v[103:104], v[105:106], v[103:104]
	v_fma_f64 v[105:106], -v[99:100], v[103:104], 1.0
	v_fma_f64 v[103:104], v[103:104], v[105:106], v[103:104]
	v_mul_f64 v[105:106], v[107:108], v[103:104]
	v_fma_f64 v[99:100], -v[99:100], v[105:106], v[107:108]
	v_div_fmas_f64 v[99:100], v[99:100], v[103:104], v[105:106]
	v_div_fixup_f64 v[103:104], v[99:100], v[97:98], 1.0
                                        ; implicit-def: $vgpr97_vgpr98
	v_mul_f64 v[101:102], v[101:102], v[103:104]
	v_xor_b32_e32 v104, 0x80000000, v104
.LBB117_104:
	s_andn2_saveexec_b64 s[2:3], s[2:3]
	s_cbranch_execz .LBB117_106
; %bb.105:
	v_div_scale_f64 v[101:102], s[6:7], v[97:98], v[97:98], v[99:100]
	v_rcp_f64_e32 v[103:104], v[101:102]
	v_fma_f64 v[105:106], -v[101:102], v[103:104], 1.0
	v_fma_f64 v[103:104], v[103:104], v[105:106], v[103:104]
	v_div_scale_f64 v[105:106], vcc, v[99:100], v[97:98], v[99:100]
	v_fma_f64 v[107:108], -v[101:102], v[103:104], 1.0
	v_fma_f64 v[103:104], v[103:104], v[107:108], v[103:104]
	v_mul_f64 v[107:108], v[105:106], v[103:104]
	v_fma_f64 v[101:102], -v[101:102], v[107:108], v[105:106]
	v_div_fmas_f64 v[101:102], v[101:102], v[103:104], v[107:108]
	v_div_fixup_f64 v[103:104], v[101:102], v[97:98], v[99:100]
	v_fma_f64 v[97:98], v[99:100], v[103:104], v[97:98]
	v_div_scale_f64 v[99:100], s[6:7], v[97:98], v[97:98], 1.0
	v_div_scale_f64 v[107:108], vcc, 1.0, v[97:98], 1.0
	v_rcp_f64_e32 v[101:102], v[99:100]
	v_fma_f64 v[105:106], -v[99:100], v[101:102], 1.0
	v_fma_f64 v[101:102], v[101:102], v[105:106], v[101:102]
	v_fma_f64 v[105:106], -v[99:100], v[101:102], 1.0
	v_fma_f64 v[101:102], v[101:102], v[105:106], v[101:102]
	v_mul_f64 v[105:106], v[107:108], v[101:102]
	v_fma_f64 v[99:100], -v[99:100], v[105:106], v[107:108]
	v_div_fmas_f64 v[99:100], v[99:100], v[101:102], v[105:106]
	v_div_fixup_f64 v[101:102], v[99:100], v[97:98], 1.0
	v_mul_f64 v[103:104], v[103:104], -v[101:102]
.LBB117_106:
	s_or_b64 exec, exec, s[2:3]
	ds_write2_b64 v127, v[101:102], v[103:104] offset1:1
.LBB117_107:
	s_or_b64 exec, exec, s[4:5]
	s_waitcnt lgkmcnt(0)
	s_barrier
	ds_read2_b64 v[37:40], v127 offset1:1
	v_cmp_lt_u32_e32 vcc, 11, v0
	s_waitcnt lgkmcnt(0)
	buffer_store_dword v37, off, s[20:23], 0 offset:1200 ; 4-byte Folded Spill
	s_nop 0
	buffer_store_dword v38, off, s[20:23], 0 offset:1204 ; 4-byte Folded Spill
	buffer_store_dword v39, off, s[20:23], 0 offset:1208 ; 4-byte Folded Spill
	;; [unrolled: 1-line block ×3, first 2 shown]
	s_and_saveexec_b64 s[2:3], vcc
	s_cbranch_execz .LBB117_109
; %bb.108:
	buffer_load_dword v103, off, s[20:23], 0 offset:368 ; 4-byte Folded Reload
	buffer_load_dword v104, off, s[20:23], 0 offset:372 ; 4-byte Folded Reload
	;; [unrolled: 1-line block ×8, first 2 shown]
	s_waitcnt vmcnt(2)
	v_mul_f64 v[99:100], v[37:38], v[105:106]
	s_waitcnt vmcnt(0)
	v_mul_f64 v[97:98], v[39:40], v[105:106]
	v_fma_f64 v[105:106], v[39:40], v[103:104], v[99:100]
	ds_read2_b64 v[99:102], v125 offset0:24 offset1:25
	v_fma_f64 v[97:98], v[37:38], v[103:104], -v[97:98]
	buffer_load_dword v37, off, s[20:23], 0 offset:352 ; 4-byte Folded Reload
	buffer_load_dword v38, off, s[20:23], 0 offset:356 ; 4-byte Folded Reload
	buffer_load_dword v39, off, s[20:23], 0 offset:360 ; 4-byte Folded Reload
	buffer_load_dword v40, off, s[20:23], 0 offset:364 ; 4-byte Folded Reload
	s_waitcnt lgkmcnt(0)
	v_mul_f64 v[103:104], v[101:102], v[105:106]
	v_fma_f64 v[103:104], v[99:100], v[97:98], -v[103:104]
	v_mul_f64 v[99:100], v[99:100], v[105:106]
	v_fma_f64 v[99:100], v[101:102], v[97:98], v[99:100]
	s_waitcnt vmcnt(2)
	v_add_f64 v[37:38], v[37:38], -v[103:104]
	s_waitcnt vmcnt(0)
	v_add_f64 v[39:40], v[39:40], -v[99:100]
	buffer_store_dword v37, off, s[20:23], 0 offset:352 ; 4-byte Folded Spill
	s_nop 0
	buffer_store_dword v38, off, s[20:23], 0 offset:356 ; 4-byte Folded Spill
	buffer_store_dword v39, off, s[20:23], 0 offset:360 ; 4-byte Folded Spill
	buffer_store_dword v40, off, s[20:23], 0 offset:364 ; 4-byte Folded Spill
	ds_read2_b64 v[99:102], v125 offset0:26 offset1:27
	buffer_load_dword v37, off, s[20:23], 0 offset:336 ; 4-byte Folded Reload
	buffer_load_dword v38, off, s[20:23], 0 offset:340 ; 4-byte Folded Reload
	buffer_load_dword v39, off, s[20:23], 0 offset:344 ; 4-byte Folded Reload
	buffer_load_dword v40, off, s[20:23], 0 offset:348 ; 4-byte Folded Reload
	s_waitcnt lgkmcnt(0)
	v_mul_f64 v[103:104], v[101:102], v[105:106]
	v_fma_f64 v[103:104], v[99:100], v[97:98], -v[103:104]
	v_mul_f64 v[99:100], v[99:100], v[105:106]
	v_fma_f64 v[99:100], v[101:102], v[97:98], v[99:100]
	s_waitcnt vmcnt(2)
	v_add_f64 v[37:38], v[37:38], -v[103:104]
	s_waitcnt vmcnt(0)
	v_add_f64 v[39:40], v[39:40], -v[99:100]
	buffer_store_dword v37, off, s[20:23], 0 offset:336 ; 4-byte Folded Spill
	s_nop 0
	buffer_store_dword v38, off, s[20:23], 0 offset:340 ; 4-byte Folded Spill
	buffer_store_dword v39, off, s[20:23], 0 offset:344 ; 4-byte Folded Spill
	buffer_store_dword v40, off, s[20:23], 0 offset:348 ; 4-byte Folded Spill
	ds_read2_b64 v[99:102], v125 offset0:28 offset1:29
	;; [unrolled: 19-line block ×20, first 2 shown]
	s_waitcnt lgkmcnt(0)
	v_mul_f64 v[103:104], v[101:102], v[105:106]
	v_fma_f64 v[103:104], v[99:100], v[97:98], -v[103:104]
	v_mul_f64 v[99:100], v[99:100], v[105:106]
	v_add_f64 v[93:94], v[93:94], -v[103:104]
	v_fma_f64 v[99:100], v[101:102], v[97:98], v[99:100]
	v_add_f64 v[95:96], v[95:96], -v[99:100]
	ds_read2_b64 v[99:102], v125 offset0:66 offset1:67
	s_waitcnt lgkmcnt(0)
	v_mul_f64 v[103:104], v[101:102], v[105:106]
	v_fma_f64 v[103:104], v[99:100], v[97:98], -v[103:104]
	v_mul_f64 v[99:100], v[99:100], v[105:106]
	v_add_f64 v[109:110], v[109:110], -v[103:104]
	v_fma_f64 v[99:100], v[101:102], v[97:98], v[99:100]
	v_add_f64 v[111:112], v[111:112], -v[99:100]
	ds_read2_b64 v[99:102], v125 offset0:68 offset1:69
	;; [unrolled: 8-line block ×16, first 2 shown]
	buffer_load_dword v37, off, s[20:23], 0 offset:32 ; 4-byte Folded Reload
	buffer_load_dword v38, off, s[20:23], 0 offset:36 ; 4-byte Folded Reload
	;; [unrolled: 1-line block ×4, first 2 shown]
	s_waitcnt lgkmcnt(0)
	v_mul_f64 v[103:104], v[101:102], v[105:106]
	v_fma_f64 v[103:104], v[99:100], v[97:98], -v[103:104]
	v_mul_f64 v[99:100], v[99:100], v[105:106]
	v_fma_f64 v[99:100], v[101:102], v[97:98], v[99:100]
	s_waitcnt vmcnt(2)
	v_add_f64 v[37:38], v[37:38], -v[103:104]
	s_waitcnt vmcnt(0)
	v_add_f64 v[39:40], v[39:40], -v[99:100]
	buffer_store_dword v37, off, s[20:23], 0 offset:32 ; 4-byte Folded Spill
	s_nop 0
	buffer_store_dword v38, off, s[20:23], 0 offset:36 ; 4-byte Folded Spill
	buffer_store_dword v39, off, s[20:23], 0 offset:40 ; 4-byte Folded Spill
	;; [unrolled: 1-line block ×3, first 2 shown]
	ds_read2_b64 v[99:102], v125 offset0:98 offset1:99
	buffer_load_dword v33, off, s[20:23], 0 offset:16 ; 4-byte Folded Reload
	buffer_load_dword v34, off, s[20:23], 0 offset:20 ; 4-byte Folded Reload
	;; [unrolled: 1-line block ×4, first 2 shown]
	s_waitcnt lgkmcnt(0)
	v_mul_f64 v[103:104], v[101:102], v[105:106]
	v_fma_f64 v[103:104], v[99:100], v[97:98], -v[103:104]
	v_mul_f64 v[99:100], v[99:100], v[105:106]
	v_fma_f64 v[99:100], v[101:102], v[97:98], v[99:100]
	s_waitcnt vmcnt(2)
	v_add_f64 v[33:34], v[33:34], -v[103:104]
	s_waitcnt vmcnt(0)
	v_add_f64 v[35:36], v[35:36], -v[99:100]
	buffer_store_dword v33, off, s[20:23], 0 offset:16 ; 4-byte Folded Spill
	s_nop 0
	buffer_store_dword v34, off, s[20:23], 0 offset:20 ; 4-byte Folded Spill
	buffer_store_dword v35, off, s[20:23], 0 offset:24 ; 4-byte Folded Spill
	;; [unrolled: 1-line block ×3, first 2 shown]
	ds_read2_b64 v[99:102], v125 offset0:100 offset1:101
	s_waitcnt lgkmcnt(0)
	v_mul_f64 v[103:104], v[101:102], v[105:106]
	v_fma_f64 v[103:104], v[99:100], v[97:98], -v[103:104]
	v_mul_f64 v[99:100], v[99:100], v[105:106]
	v_add_f64 v[29:30], v[29:30], -v[103:104]
	v_fma_f64 v[99:100], v[101:102], v[97:98], v[99:100]
	v_add_f64 v[31:32], v[31:32], -v[99:100]
	ds_read2_b64 v[99:102], v125 offset0:102 offset1:103
	s_waitcnt lgkmcnt(0)
	v_mul_f64 v[103:104], v[101:102], v[105:106]
	v_fma_f64 v[103:104], v[99:100], v[97:98], -v[103:104]
	v_mul_f64 v[99:100], v[99:100], v[105:106]
	v_add_f64 v[25:26], v[25:26], -v[103:104]
	v_fma_f64 v[99:100], v[101:102], v[97:98], v[99:100]
	v_add_f64 v[27:28], v[27:28], -v[99:100]
	;; [unrolled: 8-line block ×7, first 2 shown]
	ds_read2_b64 v[99:102], v125 offset0:114 offset1:115
	s_waitcnt lgkmcnt(0)
	v_mul_f64 v[103:104], v[101:102], v[105:106]
	v_fma_f64 v[103:104], v[99:100], v[97:98], -v[103:104]
	v_mul_f64 v[99:100], v[99:100], v[105:106]
	v_add_f64 v[1:2], v[1:2], -v[103:104]
	v_fma_f64 v[99:100], v[101:102], v[97:98], v[99:100]
	ds_read2_b64 v[101:104], v125 offset0:116 offset1:117
	buffer_load_dword v37, off, s[20:23], 0 ; 4-byte Folded Reload
	buffer_load_dword v38, off, s[20:23], 0 offset:4 ; 4-byte Folded Reload
	buffer_load_dword v39, off, s[20:23], 0 offset:8 ; 4-byte Folded Reload
	buffer_load_dword v40, off, s[20:23], 0 offset:12 ; 4-byte Folded Reload
	v_add_f64 v[3:4], v[3:4], -v[99:100]
	s_waitcnt lgkmcnt(0)
	v_mul_f64 v[99:100], v[103:104], v[105:106]
	v_fma_f64 v[99:100], v[101:102], v[97:98], -v[99:100]
	v_mul_f64 v[101:102], v[101:102], v[105:106]
	v_fma_f64 v[101:102], v[103:104], v[97:98], v[101:102]
	v_mov_b32_e32 v104, v98
	v_mov_b32_e32 v103, v97
	s_waitcnt vmcnt(2)
	v_add_f64 v[37:38], v[37:38], -v[99:100]
	s_waitcnt vmcnt(0)
	v_add_f64 v[39:40], v[39:40], -v[101:102]
	buffer_store_dword v37, off, s[20:23], 0 ; 4-byte Folded Spill
	s_nop 0
	buffer_store_dword v38, off, s[20:23], 0 offset:4 ; 4-byte Folded Spill
	buffer_store_dword v39, off, s[20:23], 0 offset:8 ; 4-byte Folded Spill
	;; [unrolled: 1-line block ×4, first 2 shown]
	s_nop 0
	buffer_store_dword v104, off, s[20:23], 0 offset:372 ; 4-byte Folded Spill
	buffer_store_dword v105, off, s[20:23], 0 offset:376 ; 4-byte Folded Spill
	;; [unrolled: 1-line block ×3, first 2 shown]
.LBB117_109:
	s_or_b64 exec, exec, s[2:3]
	v_cmp_eq_u32_e32 vcc, 12, v0
	s_waitcnt vmcnt(0)
	s_barrier
	s_and_saveexec_b64 s[4:5], vcc
	s_cbranch_execz .LBB117_116
; %bb.110:
	buffer_load_dword v37, off, s[20:23], 0 offset:352 ; 4-byte Folded Reload
	buffer_load_dword v38, off, s[20:23], 0 offset:356 ; 4-byte Folded Reload
	;; [unrolled: 1-line block ×4, first 2 shown]
	s_waitcnt vmcnt(0)
	ds_write2_b64 v127, v[37:38], v[39:40] offset1:1
	buffer_load_dword v37, off, s[20:23], 0 offset:336 ; 4-byte Folded Reload
	buffer_load_dword v38, off, s[20:23], 0 offset:340 ; 4-byte Folded Reload
	buffer_load_dword v39, off, s[20:23], 0 offset:344 ; 4-byte Folded Reload
	buffer_load_dword v40, off, s[20:23], 0 offset:348 ; 4-byte Folded Reload
	s_waitcnt vmcnt(0)
	ds_write2_b64 v125, v[37:38], v[39:40] offset0:26 offset1:27
	buffer_load_dword v37, off, s[20:23], 0 offset:320 ; 4-byte Folded Reload
	buffer_load_dword v38, off, s[20:23], 0 offset:324 ; 4-byte Folded Reload
	buffer_load_dword v39, off, s[20:23], 0 offset:328 ; 4-byte Folded Reload
	buffer_load_dword v40, off, s[20:23], 0 offset:332 ; 4-byte Folded Reload
	s_waitcnt vmcnt(0)
	ds_write2_b64 v125, v[37:38], v[39:40] offset0:28 offset1:29
	;; [unrolled: 6-line block ×19, first 2 shown]
	ds_write2_b64 v125, v[93:94], v[95:96] offset0:64 offset1:65
	ds_write2_b64 v125, v[109:110], v[111:112] offset0:66 offset1:67
	;; [unrolled: 1-line block ×16, first 2 shown]
	buffer_load_dword v37, off, s[20:23], 0 offset:32 ; 4-byte Folded Reload
	buffer_load_dword v38, off, s[20:23], 0 offset:36 ; 4-byte Folded Reload
	;; [unrolled: 1-line block ×4, first 2 shown]
	s_waitcnt vmcnt(0)
	ds_write2_b64 v125, v[37:38], v[39:40] offset0:96 offset1:97
	buffer_load_dword v33, off, s[20:23], 0 offset:16 ; 4-byte Folded Reload
	buffer_load_dword v34, off, s[20:23], 0 offset:20 ; 4-byte Folded Reload
	;; [unrolled: 1-line block ×4, first 2 shown]
	s_waitcnt vmcnt(0)
	ds_write2_b64 v125, v[33:34], v[35:36] offset0:98 offset1:99
	ds_write2_b64 v125, v[29:30], v[31:32] offset0:100 offset1:101
	;; [unrolled: 1-line block ×9, first 2 shown]
	buffer_load_dword v37, off, s[20:23], 0 ; 4-byte Folded Reload
	buffer_load_dword v38, off, s[20:23], 0 offset:4 ; 4-byte Folded Reload
	buffer_load_dword v39, off, s[20:23], 0 offset:8 ; 4-byte Folded Reload
	;; [unrolled: 1-line block ×3, first 2 shown]
	s_waitcnt vmcnt(0)
	ds_write2_b64 v125, v[37:38], v[39:40] offset0:116 offset1:117
	ds_read2_b64 v[97:100], v127 offset1:1
	s_waitcnt lgkmcnt(0)
	v_cmp_neq_f64_e32 vcc, 0, v[97:98]
	v_cmp_neq_f64_e64 s[2:3], 0, v[99:100]
	s_or_b64 s[2:3], vcc, s[2:3]
	s_and_b64 exec, exec, s[2:3]
	s_cbranch_execz .LBB117_116
; %bb.111:
	v_cmp_ngt_f64_e64 s[2:3], |v[97:98]|, |v[99:100]|
                                        ; implicit-def: $vgpr101_vgpr102
	s_and_saveexec_b64 s[6:7], s[2:3]
	s_xor_b64 s[2:3], exec, s[6:7]
                                        ; implicit-def: $vgpr103_vgpr104
	s_cbranch_execz .LBB117_113
; %bb.112:
	v_div_scale_f64 v[101:102], s[6:7], v[99:100], v[99:100], v[97:98]
	v_rcp_f64_e32 v[103:104], v[101:102]
	v_fma_f64 v[105:106], -v[101:102], v[103:104], 1.0
	v_fma_f64 v[103:104], v[103:104], v[105:106], v[103:104]
	v_div_scale_f64 v[105:106], vcc, v[97:98], v[99:100], v[97:98]
	v_fma_f64 v[107:108], -v[101:102], v[103:104], 1.0
	v_fma_f64 v[103:104], v[103:104], v[107:108], v[103:104]
	v_mul_f64 v[107:108], v[105:106], v[103:104]
	v_fma_f64 v[101:102], -v[101:102], v[107:108], v[105:106]
	v_div_fmas_f64 v[101:102], v[101:102], v[103:104], v[107:108]
	v_div_fixup_f64 v[101:102], v[101:102], v[99:100], v[97:98]
	v_fma_f64 v[97:98], v[97:98], v[101:102], v[99:100]
	v_div_scale_f64 v[99:100], s[6:7], v[97:98], v[97:98], 1.0
	v_div_scale_f64 v[107:108], vcc, 1.0, v[97:98], 1.0
	v_rcp_f64_e32 v[103:104], v[99:100]
	v_fma_f64 v[105:106], -v[99:100], v[103:104], 1.0
	v_fma_f64 v[103:104], v[103:104], v[105:106], v[103:104]
	v_fma_f64 v[105:106], -v[99:100], v[103:104], 1.0
	v_fma_f64 v[103:104], v[103:104], v[105:106], v[103:104]
	v_mul_f64 v[105:106], v[107:108], v[103:104]
	v_fma_f64 v[99:100], -v[99:100], v[105:106], v[107:108]
	v_div_fmas_f64 v[99:100], v[99:100], v[103:104], v[105:106]
	v_div_fixup_f64 v[103:104], v[99:100], v[97:98], 1.0
                                        ; implicit-def: $vgpr97_vgpr98
	v_mul_f64 v[101:102], v[101:102], v[103:104]
	v_xor_b32_e32 v104, 0x80000000, v104
.LBB117_113:
	s_andn2_saveexec_b64 s[2:3], s[2:3]
	s_cbranch_execz .LBB117_115
; %bb.114:
	v_div_scale_f64 v[101:102], s[6:7], v[97:98], v[97:98], v[99:100]
	v_rcp_f64_e32 v[103:104], v[101:102]
	v_fma_f64 v[105:106], -v[101:102], v[103:104], 1.0
	v_fma_f64 v[103:104], v[103:104], v[105:106], v[103:104]
	v_div_scale_f64 v[105:106], vcc, v[99:100], v[97:98], v[99:100]
	v_fma_f64 v[107:108], -v[101:102], v[103:104], 1.0
	v_fma_f64 v[103:104], v[103:104], v[107:108], v[103:104]
	v_mul_f64 v[107:108], v[105:106], v[103:104]
	v_fma_f64 v[101:102], -v[101:102], v[107:108], v[105:106]
	v_div_fmas_f64 v[101:102], v[101:102], v[103:104], v[107:108]
	v_div_fixup_f64 v[103:104], v[101:102], v[97:98], v[99:100]
	v_fma_f64 v[97:98], v[99:100], v[103:104], v[97:98]
	v_div_scale_f64 v[99:100], s[6:7], v[97:98], v[97:98], 1.0
	v_div_scale_f64 v[107:108], vcc, 1.0, v[97:98], 1.0
	v_rcp_f64_e32 v[101:102], v[99:100]
	v_fma_f64 v[105:106], -v[99:100], v[101:102], 1.0
	v_fma_f64 v[101:102], v[101:102], v[105:106], v[101:102]
	v_fma_f64 v[105:106], -v[99:100], v[101:102], 1.0
	v_fma_f64 v[101:102], v[101:102], v[105:106], v[101:102]
	v_mul_f64 v[105:106], v[107:108], v[101:102]
	v_fma_f64 v[99:100], -v[99:100], v[105:106], v[107:108]
	v_div_fmas_f64 v[99:100], v[99:100], v[101:102], v[105:106]
	v_div_fixup_f64 v[101:102], v[99:100], v[97:98], 1.0
	v_mul_f64 v[103:104], v[103:104], -v[101:102]
.LBB117_115:
	s_or_b64 exec, exec, s[2:3]
	ds_write2_b64 v127, v[101:102], v[103:104] offset1:1
.LBB117_116:
	s_or_b64 exec, exec, s[4:5]
	s_waitcnt lgkmcnt(0)
	s_barrier
	ds_read2_b64 v[37:40], v127 offset1:1
	v_cmp_lt_u32_e32 vcc, 12, v0
	s_waitcnt lgkmcnt(0)
	buffer_store_dword v37, off, s[20:23], 0 offset:1216 ; 4-byte Folded Spill
	s_nop 0
	buffer_store_dword v38, off, s[20:23], 0 offset:1220 ; 4-byte Folded Spill
	buffer_store_dword v39, off, s[20:23], 0 offset:1224 ; 4-byte Folded Spill
	;; [unrolled: 1-line block ×3, first 2 shown]
	s_and_saveexec_b64 s[2:3], vcc
	s_cbranch_execz .LBB117_118
; %bb.117:
	buffer_load_dword v103, off, s[20:23], 0 offset:352 ; 4-byte Folded Reload
	buffer_load_dword v104, off, s[20:23], 0 offset:356 ; 4-byte Folded Reload
	;; [unrolled: 1-line block ×8, first 2 shown]
	s_waitcnt vmcnt(2)
	v_mul_f64 v[99:100], v[37:38], v[105:106]
	s_waitcnt vmcnt(0)
	v_mul_f64 v[97:98], v[39:40], v[105:106]
	v_fma_f64 v[105:106], v[39:40], v[103:104], v[99:100]
	ds_read2_b64 v[99:102], v125 offset0:26 offset1:27
	v_fma_f64 v[97:98], v[37:38], v[103:104], -v[97:98]
	buffer_load_dword v37, off, s[20:23], 0 offset:336 ; 4-byte Folded Reload
	buffer_load_dword v38, off, s[20:23], 0 offset:340 ; 4-byte Folded Reload
	buffer_load_dword v39, off, s[20:23], 0 offset:344 ; 4-byte Folded Reload
	buffer_load_dword v40, off, s[20:23], 0 offset:348 ; 4-byte Folded Reload
	s_waitcnt lgkmcnt(0)
	v_mul_f64 v[103:104], v[101:102], v[105:106]
	v_fma_f64 v[103:104], v[99:100], v[97:98], -v[103:104]
	v_mul_f64 v[99:100], v[99:100], v[105:106]
	v_fma_f64 v[99:100], v[101:102], v[97:98], v[99:100]
	s_waitcnt vmcnt(2)
	v_add_f64 v[37:38], v[37:38], -v[103:104]
	s_waitcnt vmcnt(0)
	v_add_f64 v[39:40], v[39:40], -v[99:100]
	buffer_store_dword v37, off, s[20:23], 0 offset:336 ; 4-byte Folded Spill
	s_nop 0
	buffer_store_dword v38, off, s[20:23], 0 offset:340 ; 4-byte Folded Spill
	buffer_store_dword v39, off, s[20:23], 0 offset:344 ; 4-byte Folded Spill
	buffer_store_dword v40, off, s[20:23], 0 offset:348 ; 4-byte Folded Spill
	ds_read2_b64 v[99:102], v125 offset0:28 offset1:29
	buffer_load_dword v37, off, s[20:23], 0 offset:320 ; 4-byte Folded Reload
	buffer_load_dword v38, off, s[20:23], 0 offset:324 ; 4-byte Folded Reload
	buffer_load_dword v39, off, s[20:23], 0 offset:328 ; 4-byte Folded Reload
	buffer_load_dword v40, off, s[20:23], 0 offset:332 ; 4-byte Folded Reload
	s_waitcnt lgkmcnt(0)
	v_mul_f64 v[103:104], v[101:102], v[105:106]
	v_fma_f64 v[103:104], v[99:100], v[97:98], -v[103:104]
	v_mul_f64 v[99:100], v[99:100], v[105:106]
	v_fma_f64 v[99:100], v[101:102], v[97:98], v[99:100]
	s_waitcnt vmcnt(2)
	v_add_f64 v[37:38], v[37:38], -v[103:104]
	s_waitcnt vmcnt(0)
	v_add_f64 v[39:40], v[39:40], -v[99:100]
	buffer_store_dword v37, off, s[20:23], 0 offset:320 ; 4-byte Folded Spill
	s_nop 0
	buffer_store_dword v38, off, s[20:23], 0 offset:324 ; 4-byte Folded Spill
	buffer_store_dword v39, off, s[20:23], 0 offset:328 ; 4-byte Folded Spill
	buffer_store_dword v40, off, s[20:23], 0 offset:332 ; 4-byte Folded Spill
	ds_read2_b64 v[99:102], v125 offset0:30 offset1:31
	;; [unrolled: 19-line block ×19, first 2 shown]
	s_waitcnt lgkmcnt(0)
	v_mul_f64 v[103:104], v[101:102], v[105:106]
	v_fma_f64 v[103:104], v[99:100], v[97:98], -v[103:104]
	v_mul_f64 v[99:100], v[99:100], v[105:106]
	v_add_f64 v[93:94], v[93:94], -v[103:104]
	v_fma_f64 v[99:100], v[101:102], v[97:98], v[99:100]
	v_add_f64 v[95:96], v[95:96], -v[99:100]
	ds_read2_b64 v[99:102], v125 offset0:66 offset1:67
	s_waitcnt lgkmcnt(0)
	v_mul_f64 v[103:104], v[101:102], v[105:106]
	v_fma_f64 v[103:104], v[99:100], v[97:98], -v[103:104]
	v_mul_f64 v[99:100], v[99:100], v[105:106]
	v_add_f64 v[109:110], v[109:110], -v[103:104]
	v_fma_f64 v[99:100], v[101:102], v[97:98], v[99:100]
	v_add_f64 v[111:112], v[111:112], -v[99:100]
	ds_read2_b64 v[99:102], v125 offset0:68 offset1:69
	;; [unrolled: 8-line block ×16, first 2 shown]
	buffer_load_dword v37, off, s[20:23], 0 offset:32 ; 4-byte Folded Reload
	buffer_load_dword v38, off, s[20:23], 0 offset:36 ; 4-byte Folded Reload
	;; [unrolled: 1-line block ×4, first 2 shown]
	s_waitcnt lgkmcnt(0)
	v_mul_f64 v[103:104], v[101:102], v[105:106]
	v_fma_f64 v[103:104], v[99:100], v[97:98], -v[103:104]
	v_mul_f64 v[99:100], v[99:100], v[105:106]
	v_fma_f64 v[99:100], v[101:102], v[97:98], v[99:100]
	s_waitcnt vmcnt(2)
	v_add_f64 v[37:38], v[37:38], -v[103:104]
	s_waitcnt vmcnt(0)
	v_add_f64 v[39:40], v[39:40], -v[99:100]
	buffer_store_dword v37, off, s[20:23], 0 offset:32 ; 4-byte Folded Spill
	s_nop 0
	buffer_store_dword v38, off, s[20:23], 0 offset:36 ; 4-byte Folded Spill
	buffer_store_dword v39, off, s[20:23], 0 offset:40 ; 4-byte Folded Spill
	buffer_store_dword v40, off, s[20:23], 0 offset:44 ; 4-byte Folded Spill
	ds_read2_b64 v[99:102], v125 offset0:98 offset1:99
	buffer_load_dword v33, off, s[20:23], 0 offset:16 ; 4-byte Folded Reload
	buffer_load_dword v34, off, s[20:23], 0 offset:20 ; 4-byte Folded Reload
	;; [unrolled: 1-line block ×4, first 2 shown]
	s_waitcnt lgkmcnt(0)
	v_mul_f64 v[103:104], v[101:102], v[105:106]
	v_fma_f64 v[103:104], v[99:100], v[97:98], -v[103:104]
	v_mul_f64 v[99:100], v[99:100], v[105:106]
	v_fma_f64 v[99:100], v[101:102], v[97:98], v[99:100]
	s_waitcnt vmcnt(2)
	v_add_f64 v[33:34], v[33:34], -v[103:104]
	s_waitcnt vmcnt(0)
	v_add_f64 v[35:36], v[35:36], -v[99:100]
	buffer_store_dword v33, off, s[20:23], 0 offset:16 ; 4-byte Folded Spill
	s_nop 0
	buffer_store_dword v34, off, s[20:23], 0 offset:20 ; 4-byte Folded Spill
	buffer_store_dword v35, off, s[20:23], 0 offset:24 ; 4-byte Folded Spill
	;; [unrolled: 1-line block ×3, first 2 shown]
	ds_read2_b64 v[99:102], v125 offset0:100 offset1:101
	s_waitcnt lgkmcnt(0)
	v_mul_f64 v[103:104], v[101:102], v[105:106]
	v_fma_f64 v[103:104], v[99:100], v[97:98], -v[103:104]
	v_mul_f64 v[99:100], v[99:100], v[105:106]
	v_add_f64 v[29:30], v[29:30], -v[103:104]
	v_fma_f64 v[99:100], v[101:102], v[97:98], v[99:100]
	v_add_f64 v[31:32], v[31:32], -v[99:100]
	ds_read2_b64 v[99:102], v125 offset0:102 offset1:103
	s_waitcnt lgkmcnt(0)
	v_mul_f64 v[103:104], v[101:102], v[105:106]
	v_fma_f64 v[103:104], v[99:100], v[97:98], -v[103:104]
	v_mul_f64 v[99:100], v[99:100], v[105:106]
	v_add_f64 v[25:26], v[25:26], -v[103:104]
	v_fma_f64 v[99:100], v[101:102], v[97:98], v[99:100]
	v_add_f64 v[27:28], v[27:28], -v[99:100]
	;; [unrolled: 8-line block ×7, first 2 shown]
	ds_read2_b64 v[99:102], v125 offset0:114 offset1:115
	s_waitcnt lgkmcnt(0)
	v_mul_f64 v[103:104], v[101:102], v[105:106]
	v_fma_f64 v[103:104], v[99:100], v[97:98], -v[103:104]
	v_mul_f64 v[99:100], v[99:100], v[105:106]
	v_add_f64 v[1:2], v[1:2], -v[103:104]
	v_fma_f64 v[99:100], v[101:102], v[97:98], v[99:100]
	ds_read2_b64 v[101:104], v125 offset0:116 offset1:117
	buffer_load_dword v37, off, s[20:23], 0 ; 4-byte Folded Reload
	buffer_load_dword v38, off, s[20:23], 0 offset:4 ; 4-byte Folded Reload
	buffer_load_dword v39, off, s[20:23], 0 offset:8 ; 4-byte Folded Reload
	;; [unrolled: 1-line block ×3, first 2 shown]
	v_add_f64 v[3:4], v[3:4], -v[99:100]
	s_waitcnt lgkmcnt(0)
	v_mul_f64 v[99:100], v[103:104], v[105:106]
	v_fma_f64 v[99:100], v[101:102], v[97:98], -v[99:100]
	v_mul_f64 v[101:102], v[101:102], v[105:106]
	v_fma_f64 v[101:102], v[103:104], v[97:98], v[101:102]
	v_mov_b32_e32 v104, v98
	v_mov_b32_e32 v103, v97
	s_waitcnt vmcnt(2)
	v_add_f64 v[37:38], v[37:38], -v[99:100]
	s_waitcnt vmcnt(0)
	v_add_f64 v[39:40], v[39:40], -v[101:102]
	buffer_store_dword v37, off, s[20:23], 0 ; 4-byte Folded Spill
	s_nop 0
	buffer_store_dword v38, off, s[20:23], 0 offset:4 ; 4-byte Folded Spill
	buffer_store_dword v39, off, s[20:23], 0 offset:8 ; 4-byte Folded Spill
	;; [unrolled: 1-line block ×4, first 2 shown]
	s_nop 0
	buffer_store_dword v104, off, s[20:23], 0 offset:356 ; 4-byte Folded Spill
	buffer_store_dword v105, off, s[20:23], 0 offset:360 ; 4-byte Folded Spill
	;; [unrolled: 1-line block ×3, first 2 shown]
.LBB117_118:
	s_or_b64 exec, exec, s[2:3]
	v_cmp_eq_u32_e32 vcc, 13, v0
	s_waitcnt vmcnt(0)
	s_barrier
	s_and_saveexec_b64 s[4:5], vcc
	s_cbranch_execz .LBB117_125
; %bb.119:
	buffer_load_dword v37, off, s[20:23], 0 offset:336 ; 4-byte Folded Reload
	buffer_load_dword v38, off, s[20:23], 0 offset:340 ; 4-byte Folded Reload
	;; [unrolled: 1-line block ×4, first 2 shown]
	s_waitcnt vmcnt(0)
	ds_write2_b64 v127, v[37:38], v[39:40] offset1:1
	buffer_load_dword v37, off, s[20:23], 0 offset:320 ; 4-byte Folded Reload
	buffer_load_dword v38, off, s[20:23], 0 offset:324 ; 4-byte Folded Reload
	buffer_load_dword v39, off, s[20:23], 0 offset:328 ; 4-byte Folded Reload
	buffer_load_dword v40, off, s[20:23], 0 offset:332 ; 4-byte Folded Reload
	s_waitcnt vmcnt(0)
	ds_write2_b64 v125, v[37:38], v[39:40] offset0:28 offset1:29
	buffer_load_dword v37, off, s[20:23], 0 offset:304 ; 4-byte Folded Reload
	buffer_load_dword v38, off, s[20:23], 0 offset:308 ; 4-byte Folded Reload
	buffer_load_dword v39, off, s[20:23], 0 offset:312 ; 4-byte Folded Reload
	buffer_load_dword v40, off, s[20:23], 0 offset:316 ; 4-byte Folded Reload
	s_waitcnt vmcnt(0)
	ds_write2_b64 v125, v[37:38], v[39:40] offset0:30 offset1:31
	;; [unrolled: 6-line block ×18, first 2 shown]
	ds_write2_b64 v125, v[93:94], v[95:96] offset0:64 offset1:65
	ds_write2_b64 v125, v[109:110], v[111:112] offset0:66 offset1:67
	;; [unrolled: 1-line block ×16, first 2 shown]
	buffer_load_dword v37, off, s[20:23], 0 offset:32 ; 4-byte Folded Reload
	buffer_load_dword v38, off, s[20:23], 0 offset:36 ; 4-byte Folded Reload
	;; [unrolled: 1-line block ×4, first 2 shown]
	s_waitcnt vmcnt(0)
	ds_write2_b64 v125, v[37:38], v[39:40] offset0:96 offset1:97
	buffer_load_dword v33, off, s[20:23], 0 offset:16 ; 4-byte Folded Reload
	buffer_load_dword v34, off, s[20:23], 0 offset:20 ; 4-byte Folded Reload
	;; [unrolled: 1-line block ×4, first 2 shown]
	s_waitcnt vmcnt(0)
	ds_write2_b64 v125, v[33:34], v[35:36] offset0:98 offset1:99
	ds_write2_b64 v125, v[29:30], v[31:32] offset0:100 offset1:101
	;; [unrolled: 1-line block ×9, first 2 shown]
	buffer_load_dword v37, off, s[20:23], 0 ; 4-byte Folded Reload
	buffer_load_dword v38, off, s[20:23], 0 offset:4 ; 4-byte Folded Reload
	buffer_load_dword v39, off, s[20:23], 0 offset:8 ; 4-byte Folded Reload
	;; [unrolled: 1-line block ×3, first 2 shown]
	s_waitcnt vmcnt(0)
	ds_write2_b64 v125, v[37:38], v[39:40] offset0:116 offset1:117
	ds_read2_b64 v[97:100], v127 offset1:1
	s_waitcnt lgkmcnt(0)
	v_cmp_neq_f64_e32 vcc, 0, v[97:98]
	v_cmp_neq_f64_e64 s[2:3], 0, v[99:100]
	s_or_b64 s[2:3], vcc, s[2:3]
	s_and_b64 exec, exec, s[2:3]
	s_cbranch_execz .LBB117_125
; %bb.120:
	v_cmp_ngt_f64_e64 s[2:3], |v[97:98]|, |v[99:100]|
                                        ; implicit-def: $vgpr101_vgpr102
	s_and_saveexec_b64 s[6:7], s[2:3]
	s_xor_b64 s[2:3], exec, s[6:7]
                                        ; implicit-def: $vgpr103_vgpr104
	s_cbranch_execz .LBB117_122
; %bb.121:
	v_div_scale_f64 v[101:102], s[6:7], v[99:100], v[99:100], v[97:98]
	v_rcp_f64_e32 v[103:104], v[101:102]
	v_fma_f64 v[105:106], -v[101:102], v[103:104], 1.0
	v_fma_f64 v[103:104], v[103:104], v[105:106], v[103:104]
	v_div_scale_f64 v[105:106], vcc, v[97:98], v[99:100], v[97:98]
	v_fma_f64 v[107:108], -v[101:102], v[103:104], 1.0
	v_fma_f64 v[103:104], v[103:104], v[107:108], v[103:104]
	v_mul_f64 v[107:108], v[105:106], v[103:104]
	v_fma_f64 v[101:102], -v[101:102], v[107:108], v[105:106]
	v_div_fmas_f64 v[101:102], v[101:102], v[103:104], v[107:108]
	v_div_fixup_f64 v[101:102], v[101:102], v[99:100], v[97:98]
	v_fma_f64 v[97:98], v[97:98], v[101:102], v[99:100]
	v_div_scale_f64 v[99:100], s[6:7], v[97:98], v[97:98], 1.0
	v_div_scale_f64 v[107:108], vcc, 1.0, v[97:98], 1.0
	v_rcp_f64_e32 v[103:104], v[99:100]
	v_fma_f64 v[105:106], -v[99:100], v[103:104], 1.0
	v_fma_f64 v[103:104], v[103:104], v[105:106], v[103:104]
	v_fma_f64 v[105:106], -v[99:100], v[103:104], 1.0
	v_fma_f64 v[103:104], v[103:104], v[105:106], v[103:104]
	v_mul_f64 v[105:106], v[107:108], v[103:104]
	v_fma_f64 v[99:100], -v[99:100], v[105:106], v[107:108]
	v_div_fmas_f64 v[99:100], v[99:100], v[103:104], v[105:106]
	v_div_fixup_f64 v[103:104], v[99:100], v[97:98], 1.0
                                        ; implicit-def: $vgpr97_vgpr98
	v_mul_f64 v[101:102], v[101:102], v[103:104]
	v_xor_b32_e32 v104, 0x80000000, v104
.LBB117_122:
	s_andn2_saveexec_b64 s[2:3], s[2:3]
	s_cbranch_execz .LBB117_124
; %bb.123:
	v_div_scale_f64 v[101:102], s[6:7], v[97:98], v[97:98], v[99:100]
	v_rcp_f64_e32 v[103:104], v[101:102]
	v_fma_f64 v[105:106], -v[101:102], v[103:104], 1.0
	v_fma_f64 v[103:104], v[103:104], v[105:106], v[103:104]
	v_div_scale_f64 v[105:106], vcc, v[99:100], v[97:98], v[99:100]
	v_fma_f64 v[107:108], -v[101:102], v[103:104], 1.0
	v_fma_f64 v[103:104], v[103:104], v[107:108], v[103:104]
	v_mul_f64 v[107:108], v[105:106], v[103:104]
	v_fma_f64 v[101:102], -v[101:102], v[107:108], v[105:106]
	v_div_fmas_f64 v[101:102], v[101:102], v[103:104], v[107:108]
	v_div_fixup_f64 v[103:104], v[101:102], v[97:98], v[99:100]
	v_fma_f64 v[97:98], v[99:100], v[103:104], v[97:98]
	v_div_scale_f64 v[99:100], s[6:7], v[97:98], v[97:98], 1.0
	v_div_scale_f64 v[107:108], vcc, 1.0, v[97:98], 1.0
	v_rcp_f64_e32 v[101:102], v[99:100]
	v_fma_f64 v[105:106], -v[99:100], v[101:102], 1.0
	v_fma_f64 v[101:102], v[101:102], v[105:106], v[101:102]
	v_fma_f64 v[105:106], -v[99:100], v[101:102], 1.0
	v_fma_f64 v[101:102], v[101:102], v[105:106], v[101:102]
	v_mul_f64 v[105:106], v[107:108], v[101:102]
	v_fma_f64 v[99:100], -v[99:100], v[105:106], v[107:108]
	v_div_fmas_f64 v[99:100], v[99:100], v[101:102], v[105:106]
	v_div_fixup_f64 v[101:102], v[99:100], v[97:98], 1.0
	v_mul_f64 v[103:104], v[103:104], -v[101:102]
.LBB117_124:
	s_or_b64 exec, exec, s[2:3]
	ds_write2_b64 v127, v[101:102], v[103:104] offset1:1
.LBB117_125:
	s_or_b64 exec, exec, s[4:5]
	s_waitcnt lgkmcnt(0)
	s_barrier
	ds_read2_b64 v[37:40], v127 offset1:1
	v_cmp_lt_u32_e32 vcc, 13, v0
	s_waitcnt lgkmcnt(0)
	buffer_store_dword v37, off, s[20:23], 0 offset:1232 ; 4-byte Folded Spill
	s_nop 0
	buffer_store_dword v38, off, s[20:23], 0 offset:1236 ; 4-byte Folded Spill
	buffer_store_dword v39, off, s[20:23], 0 offset:1240 ; 4-byte Folded Spill
	;; [unrolled: 1-line block ×3, first 2 shown]
	s_and_saveexec_b64 s[2:3], vcc
	s_cbranch_execz .LBB117_127
; %bb.126:
	buffer_load_dword v103, off, s[20:23], 0 offset:336 ; 4-byte Folded Reload
	buffer_load_dword v104, off, s[20:23], 0 offset:340 ; 4-byte Folded Reload
	;; [unrolled: 1-line block ×8, first 2 shown]
	s_waitcnt vmcnt(2)
	v_mul_f64 v[99:100], v[37:38], v[105:106]
	s_waitcnt vmcnt(0)
	v_mul_f64 v[97:98], v[39:40], v[105:106]
	v_fma_f64 v[105:106], v[39:40], v[103:104], v[99:100]
	ds_read2_b64 v[99:102], v125 offset0:28 offset1:29
	v_fma_f64 v[97:98], v[37:38], v[103:104], -v[97:98]
	buffer_load_dword v37, off, s[20:23], 0 offset:320 ; 4-byte Folded Reload
	buffer_load_dword v38, off, s[20:23], 0 offset:324 ; 4-byte Folded Reload
	buffer_load_dword v39, off, s[20:23], 0 offset:328 ; 4-byte Folded Reload
	buffer_load_dword v40, off, s[20:23], 0 offset:332 ; 4-byte Folded Reload
	s_waitcnt lgkmcnt(0)
	v_mul_f64 v[103:104], v[101:102], v[105:106]
	v_fma_f64 v[103:104], v[99:100], v[97:98], -v[103:104]
	v_mul_f64 v[99:100], v[99:100], v[105:106]
	v_fma_f64 v[99:100], v[101:102], v[97:98], v[99:100]
	s_waitcnt vmcnt(2)
	v_add_f64 v[37:38], v[37:38], -v[103:104]
	s_waitcnt vmcnt(0)
	v_add_f64 v[39:40], v[39:40], -v[99:100]
	buffer_store_dword v37, off, s[20:23], 0 offset:320 ; 4-byte Folded Spill
	s_nop 0
	buffer_store_dword v38, off, s[20:23], 0 offset:324 ; 4-byte Folded Spill
	buffer_store_dword v39, off, s[20:23], 0 offset:328 ; 4-byte Folded Spill
	buffer_store_dword v40, off, s[20:23], 0 offset:332 ; 4-byte Folded Spill
	ds_read2_b64 v[99:102], v125 offset0:30 offset1:31
	buffer_load_dword v37, off, s[20:23], 0 offset:304 ; 4-byte Folded Reload
	buffer_load_dword v38, off, s[20:23], 0 offset:308 ; 4-byte Folded Reload
	buffer_load_dword v39, off, s[20:23], 0 offset:312 ; 4-byte Folded Reload
	buffer_load_dword v40, off, s[20:23], 0 offset:316 ; 4-byte Folded Reload
	s_waitcnt lgkmcnt(0)
	v_mul_f64 v[103:104], v[101:102], v[105:106]
	v_fma_f64 v[103:104], v[99:100], v[97:98], -v[103:104]
	v_mul_f64 v[99:100], v[99:100], v[105:106]
	v_fma_f64 v[99:100], v[101:102], v[97:98], v[99:100]
	s_waitcnt vmcnt(2)
	v_add_f64 v[37:38], v[37:38], -v[103:104]
	s_waitcnt vmcnt(0)
	v_add_f64 v[39:40], v[39:40], -v[99:100]
	buffer_store_dword v37, off, s[20:23], 0 offset:304 ; 4-byte Folded Spill
	s_nop 0
	buffer_store_dword v38, off, s[20:23], 0 offset:308 ; 4-byte Folded Spill
	buffer_store_dword v39, off, s[20:23], 0 offset:312 ; 4-byte Folded Spill
	buffer_store_dword v40, off, s[20:23], 0 offset:316 ; 4-byte Folded Spill
	ds_read2_b64 v[99:102], v125 offset0:32 offset1:33
	;; [unrolled: 19-line block ×18, first 2 shown]
	s_waitcnt lgkmcnt(0)
	v_mul_f64 v[103:104], v[101:102], v[105:106]
	v_fma_f64 v[103:104], v[99:100], v[97:98], -v[103:104]
	v_mul_f64 v[99:100], v[99:100], v[105:106]
	v_add_f64 v[93:94], v[93:94], -v[103:104]
	v_fma_f64 v[99:100], v[101:102], v[97:98], v[99:100]
	v_add_f64 v[95:96], v[95:96], -v[99:100]
	ds_read2_b64 v[99:102], v125 offset0:66 offset1:67
	s_waitcnt lgkmcnt(0)
	v_mul_f64 v[103:104], v[101:102], v[105:106]
	v_fma_f64 v[103:104], v[99:100], v[97:98], -v[103:104]
	v_mul_f64 v[99:100], v[99:100], v[105:106]
	v_add_f64 v[109:110], v[109:110], -v[103:104]
	v_fma_f64 v[99:100], v[101:102], v[97:98], v[99:100]
	v_add_f64 v[111:112], v[111:112], -v[99:100]
	ds_read2_b64 v[99:102], v125 offset0:68 offset1:69
	;; [unrolled: 8-line block ×16, first 2 shown]
	buffer_load_dword v37, off, s[20:23], 0 offset:32 ; 4-byte Folded Reload
	buffer_load_dword v38, off, s[20:23], 0 offset:36 ; 4-byte Folded Reload
	;; [unrolled: 1-line block ×4, first 2 shown]
	s_waitcnt lgkmcnt(0)
	v_mul_f64 v[103:104], v[101:102], v[105:106]
	v_fma_f64 v[103:104], v[99:100], v[97:98], -v[103:104]
	v_mul_f64 v[99:100], v[99:100], v[105:106]
	v_fma_f64 v[99:100], v[101:102], v[97:98], v[99:100]
	s_waitcnt vmcnt(2)
	v_add_f64 v[37:38], v[37:38], -v[103:104]
	s_waitcnt vmcnt(0)
	v_add_f64 v[39:40], v[39:40], -v[99:100]
	buffer_store_dword v37, off, s[20:23], 0 offset:32 ; 4-byte Folded Spill
	s_nop 0
	buffer_store_dword v38, off, s[20:23], 0 offset:36 ; 4-byte Folded Spill
	buffer_store_dword v39, off, s[20:23], 0 offset:40 ; 4-byte Folded Spill
	buffer_store_dword v40, off, s[20:23], 0 offset:44 ; 4-byte Folded Spill
	ds_read2_b64 v[99:102], v125 offset0:98 offset1:99
	buffer_load_dword v33, off, s[20:23], 0 offset:16 ; 4-byte Folded Reload
	buffer_load_dword v34, off, s[20:23], 0 offset:20 ; 4-byte Folded Reload
	;; [unrolled: 1-line block ×4, first 2 shown]
	s_waitcnt lgkmcnt(0)
	v_mul_f64 v[103:104], v[101:102], v[105:106]
	v_fma_f64 v[103:104], v[99:100], v[97:98], -v[103:104]
	v_mul_f64 v[99:100], v[99:100], v[105:106]
	v_fma_f64 v[99:100], v[101:102], v[97:98], v[99:100]
	s_waitcnt vmcnt(2)
	v_add_f64 v[33:34], v[33:34], -v[103:104]
	s_waitcnt vmcnt(0)
	v_add_f64 v[35:36], v[35:36], -v[99:100]
	buffer_store_dword v33, off, s[20:23], 0 offset:16 ; 4-byte Folded Spill
	s_nop 0
	buffer_store_dword v34, off, s[20:23], 0 offset:20 ; 4-byte Folded Spill
	buffer_store_dword v35, off, s[20:23], 0 offset:24 ; 4-byte Folded Spill
	;; [unrolled: 1-line block ×3, first 2 shown]
	ds_read2_b64 v[99:102], v125 offset0:100 offset1:101
	s_waitcnt lgkmcnt(0)
	v_mul_f64 v[103:104], v[101:102], v[105:106]
	v_fma_f64 v[103:104], v[99:100], v[97:98], -v[103:104]
	v_mul_f64 v[99:100], v[99:100], v[105:106]
	v_add_f64 v[29:30], v[29:30], -v[103:104]
	v_fma_f64 v[99:100], v[101:102], v[97:98], v[99:100]
	v_add_f64 v[31:32], v[31:32], -v[99:100]
	ds_read2_b64 v[99:102], v125 offset0:102 offset1:103
	s_waitcnt lgkmcnt(0)
	v_mul_f64 v[103:104], v[101:102], v[105:106]
	v_fma_f64 v[103:104], v[99:100], v[97:98], -v[103:104]
	v_mul_f64 v[99:100], v[99:100], v[105:106]
	v_add_f64 v[25:26], v[25:26], -v[103:104]
	v_fma_f64 v[99:100], v[101:102], v[97:98], v[99:100]
	v_add_f64 v[27:28], v[27:28], -v[99:100]
	;; [unrolled: 8-line block ×7, first 2 shown]
	ds_read2_b64 v[99:102], v125 offset0:114 offset1:115
	s_waitcnt lgkmcnt(0)
	v_mul_f64 v[103:104], v[101:102], v[105:106]
	v_fma_f64 v[103:104], v[99:100], v[97:98], -v[103:104]
	v_mul_f64 v[99:100], v[99:100], v[105:106]
	v_add_f64 v[1:2], v[1:2], -v[103:104]
	v_fma_f64 v[99:100], v[101:102], v[97:98], v[99:100]
	ds_read2_b64 v[101:104], v125 offset0:116 offset1:117
	buffer_load_dword v37, off, s[20:23], 0 ; 4-byte Folded Reload
	buffer_load_dword v38, off, s[20:23], 0 offset:4 ; 4-byte Folded Reload
	buffer_load_dword v39, off, s[20:23], 0 offset:8 ; 4-byte Folded Reload
	;; [unrolled: 1-line block ×3, first 2 shown]
	v_add_f64 v[3:4], v[3:4], -v[99:100]
	s_waitcnt lgkmcnt(0)
	v_mul_f64 v[99:100], v[103:104], v[105:106]
	v_fma_f64 v[99:100], v[101:102], v[97:98], -v[99:100]
	v_mul_f64 v[101:102], v[101:102], v[105:106]
	v_fma_f64 v[101:102], v[103:104], v[97:98], v[101:102]
	v_mov_b32_e32 v104, v98
	v_mov_b32_e32 v103, v97
	s_waitcnt vmcnt(2)
	v_add_f64 v[37:38], v[37:38], -v[99:100]
	s_waitcnt vmcnt(0)
	v_add_f64 v[39:40], v[39:40], -v[101:102]
	buffer_store_dword v37, off, s[20:23], 0 ; 4-byte Folded Spill
	s_nop 0
	buffer_store_dword v38, off, s[20:23], 0 offset:4 ; 4-byte Folded Spill
	buffer_store_dword v39, off, s[20:23], 0 offset:8 ; 4-byte Folded Spill
	;; [unrolled: 1-line block ×4, first 2 shown]
	s_nop 0
	buffer_store_dword v104, off, s[20:23], 0 offset:340 ; 4-byte Folded Spill
	buffer_store_dword v105, off, s[20:23], 0 offset:344 ; 4-byte Folded Spill
	;; [unrolled: 1-line block ×3, first 2 shown]
.LBB117_127:
	s_or_b64 exec, exec, s[2:3]
	v_cmp_eq_u32_e32 vcc, 14, v0
	s_waitcnt vmcnt(0)
	s_barrier
	s_and_saveexec_b64 s[4:5], vcc
	s_cbranch_execz .LBB117_134
; %bb.128:
	buffer_load_dword v37, off, s[20:23], 0 offset:320 ; 4-byte Folded Reload
	buffer_load_dword v38, off, s[20:23], 0 offset:324 ; 4-byte Folded Reload
	;; [unrolled: 1-line block ×4, first 2 shown]
	s_waitcnt vmcnt(0)
	ds_write2_b64 v127, v[37:38], v[39:40] offset1:1
	buffer_load_dword v37, off, s[20:23], 0 offset:304 ; 4-byte Folded Reload
	buffer_load_dword v38, off, s[20:23], 0 offset:308 ; 4-byte Folded Reload
	buffer_load_dword v39, off, s[20:23], 0 offset:312 ; 4-byte Folded Reload
	buffer_load_dword v40, off, s[20:23], 0 offset:316 ; 4-byte Folded Reload
	s_waitcnt vmcnt(0)
	ds_write2_b64 v125, v[37:38], v[39:40] offset0:30 offset1:31
	buffer_load_dword v37, off, s[20:23], 0 offset:288 ; 4-byte Folded Reload
	buffer_load_dword v38, off, s[20:23], 0 offset:292 ; 4-byte Folded Reload
	buffer_load_dword v39, off, s[20:23], 0 offset:296 ; 4-byte Folded Reload
	buffer_load_dword v40, off, s[20:23], 0 offset:300 ; 4-byte Folded Reload
	s_waitcnt vmcnt(0)
	ds_write2_b64 v125, v[37:38], v[39:40] offset0:32 offset1:33
	;; [unrolled: 6-line block ×17, first 2 shown]
	ds_write2_b64 v125, v[93:94], v[95:96] offset0:64 offset1:65
	ds_write2_b64 v125, v[109:110], v[111:112] offset0:66 offset1:67
	ds_write2_b64 v125, v[121:122], v[123:124] offset0:68 offset1:69
	ds_write2_b64 v125, v[113:114], v[115:116] offset0:70 offset1:71
	ds_write2_b64 v125, v[89:90], v[91:92] offset0:72 offset1:73
	ds_write2_b64 v125, v[81:82], v[83:84] offset0:74 offset1:75
	ds_write2_b64 v125, v[77:78], v[79:80] offset0:76 offset1:77
	ds_write2_b64 v125, v[73:74], v[75:76] offset0:78 offset1:79
	ds_write2_b64 v125, v[69:70], v[71:72] offset0:80 offset1:81
	ds_write2_b64 v125, v[65:66], v[67:68] offset0:82 offset1:83
	ds_write2_b64 v125, v[61:62], v[63:64] offset0:84 offset1:85
	ds_write2_b64 v125, v[57:58], v[59:60] offset0:86 offset1:87
	ds_write2_b64 v125, v[53:54], v[55:56] offset0:88 offset1:89
	ds_write2_b64 v125, v[49:50], v[51:52] offset0:90 offset1:91
	ds_write2_b64 v125, v[45:46], v[47:48] offset0:92 offset1:93
	ds_write2_b64 v125, v[41:42], v[43:44] offset0:94 offset1:95
	buffer_load_dword v37, off, s[20:23], 0 offset:32 ; 4-byte Folded Reload
	buffer_load_dword v38, off, s[20:23], 0 offset:36 ; 4-byte Folded Reload
	;; [unrolled: 1-line block ×4, first 2 shown]
	s_waitcnt vmcnt(0)
	ds_write2_b64 v125, v[37:38], v[39:40] offset0:96 offset1:97
	buffer_load_dword v33, off, s[20:23], 0 offset:16 ; 4-byte Folded Reload
	buffer_load_dword v34, off, s[20:23], 0 offset:20 ; 4-byte Folded Reload
	;; [unrolled: 1-line block ×4, first 2 shown]
	s_waitcnt vmcnt(0)
	ds_write2_b64 v125, v[33:34], v[35:36] offset0:98 offset1:99
	ds_write2_b64 v125, v[29:30], v[31:32] offset0:100 offset1:101
	;; [unrolled: 1-line block ×9, first 2 shown]
	buffer_load_dword v37, off, s[20:23], 0 ; 4-byte Folded Reload
	buffer_load_dword v38, off, s[20:23], 0 offset:4 ; 4-byte Folded Reload
	buffer_load_dword v39, off, s[20:23], 0 offset:8 ; 4-byte Folded Reload
	;; [unrolled: 1-line block ×3, first 2 shown]
	s_waitcnt vmcnt(0)
	ds_write2_b64 v125, v[37:38], v[39:40] offset0:116 offset1:117
	ds_read2_b64 v[97:100], v127 offset1:1
	s_waitcnt lgkmcnt(0)
	v_cmp_neq_f64_e32 vcc, 0, v[97:98]
	v_cmp_neq_f64_e64 s[2:3], 0, v[99:100]
	s_or_b64 s[2:3], vcc, s[2:3]
	s_and_b64 exec, exec, s[2:3]
	s_cbranch_execz .LBB117_134
; %bb.129:
	v_cmp_ngt_f64_e64 s[2:3], |v[97:98]|, |v[99:100]|
                                        ; implicit-def: $vgpr101_vgpr102
	s_and_saveexec_b64 s[6:7], s[2:3]
	s_xor_b64 s[2:3], exec, s[6:7]
                                        ; implicit-def: $vgpr103_vgpr104
	s_cbranch_execz .LBB117_131
; %bb.130:
	v_div_scale_f64 v[101:102], s[6:7], v[99:100], v[99:100], v[97:98]
	v_rcp_f64_e32 v[103:104], v[101:102]
	v_fma_f64 v[105:106], -v[101:102], v[103:104], 1.0
	v_fma_f64 v[103:104], v[103:104], v[105:106], v[103:104]
	v_div_scale_f64 v[105:106], vcc, v[97:98], v[99:100], v[97:98]
	v_fma_f64 v[107:108], -v[101:102], v[103:104], 1.0
	v_fma_f64 v[103:104], v[103:104], v[107:108], v[103:104]
	v_mul_f64 v[107:108], v[105:106], v[103:104]
	v_fma_f64 v[101:102], -v[101:102], v[107:108], v[105:106]
	v_div_fmas_f64 v[101:102], v[101:102], v[103:104], v[107:108]
	v_div_fixup_f64 v[101:102], v[101:102], v[99:100], v[97:98]
	v_fma_f64 v[97:98], v[97:98], v[101:102], v[99:100]
	v_div_scale_f64 v[99:100], s[6:7], v[97:98], v[97:98], 1.0
	v_div_scale_f64 v[107:108], vcc, 1.0, v[97:98], 1.0
	v_rcp_f64_e32 v[103:104], v[99:100]
	v_fma_f64 v[105:106], -v[99:100], v[103:104], 1.0
	v_fma_f64 v[103:104], v[103:104], v[105:106], v[103:104]
	v_fma_f64 v[105:106], -v[99:100], v[103:104], 1.0
	v_fma_f64 v[103:104], v[103:104], v[105:106], v[103:104]
	v_mul_f64 v[105:106], v[107:108], v[103:104]
	v_fma_f64 v[99:100], -v[99:100], v[105:106], v[107:108]
	v_div_fmas_f64 v[99:100], v[99:100], v[103:104], v[105:106]
	v_div_fixup_f64 v[103:104], v[99:100], v[97:98], 1.0
                                        ; implicit-def: $vgpr97_vgpr98
	v_mul_f64 v[101:102], v[101:102], v[103:104]
	v_xor_b32_e32 v104, 0x80000000, v104
.LBB117_131:
	s_andn2_saveexec_b64 s[2:3], s[2:3]
	s_cbranch_execz .LBB117_133
; %bb.132:
	v_div_scale_f64 v[101:102], s[6:7], v[97:98], v[97:98], v[99:100]
	v_rcp_f64_e32 v[103:104], v[101:102]
	v_fma_f64 v[105:106], -v[101:102], v[103:104], 1.0
	v_fma_f64 v[103:104], v[103:104], v[105:106], v[103:104]
	v_div_scale_f64 v[105:106], vcc, v[99:100], v[97:98], v[99:100]
	v_fma_f64 v[107:108], -v[101:102], v[103:104], 1.0
	v_fma_f64 v[103:104], v[103:104], v[107:108], v[103:104]
	v_mul_f64 v[107:108], v[105:106], v[103:104]
	v_fma_f64 v[101:102], -v[101:102], v[107:108], v[105:106]
	v_div_fmas_f64 v[101:102], v[101:102], v[103:104], v[107:108]
	v_div_fixup_f64 v[103:104], v[101:102], v[97:98], v[99:100]
	v_fma_f64 v[97:98], v[99:100], v[103:104], v[97:98]
	v_div_scale_f64 v[99:100], s[6:7], v[97:98], v[97:98], 1.0
	v_div_scale_f64 v[107:108], vcc, 1.0, v[97:98], 1.0
	v_rcp_f64_e32 v[101:102], v[99:100]
	v_fma_f64 v[105:106], -v[99:100], v[101:102], 1.0
	v_fma_f64 v[101:102], v[101:102], v[105:106], v[101:102]
	v_fma_f64 v[105:106], -v[99:100], v[101:102], 1.0
	v_fma_f64 v[101:102], v[101:102], v[105:106], v[101:102]
	v_mul_f64 v[105:106], v[107:108], v[101:102]
	v_fma_f64 v[99:100], -v[99:100], v[105:106], v[107:108]
	v_div_fmas_f64 v[99:100], v[99:100], v[101:102], v[105:106]
	v_div_fixup_f64 v[101:102], v[99:100], v[97:98], 1.0
	v_mul_f64 v[103:104], v[103:104], -v[101:102]
.LBB117_133:
	s_or_b64 exec, exec, s[2:3]
	ds_write2_b64 v127, v[101:102], v[103:104] offset1:1
.LBB117_134:
	s_or_b64 exec, exec, s[4:5]
	s_waitcnt lgkmcnt(0)
	s_barrier
	ds_read2_b64 v[37:40], v127 offset1:1
	v_cmp_lt_u32_e32 vcc, 14, v0
	s_waitcnt lgkmcnt(0)
	buffer_store_dword v37, off, s[20:23], 0 offset:1248 ; 4-byte Folded Spill
	s_nop 0
	buffer_store_dword v38, off, s[20:23], 0 offset:1252 ; 4-byte Folded Spill
	buffer_store_dword v39, off, s[20:23], 0 offset:1256 ; 4-byte Folded Spill
	;; [unrolled: 1-line block ×3, first 2 shown]
	s_and_saveexec_b64 s[2:3], vcc
	s_cbranch_execz .LBB117_136
; %bb.135:
	buffer_load_dword v103, off, s[20:23], 0 offset:320 ; 4-byte Folded Reload
	buffer_load_dword v104, off, s[20:23], 0 offset:324 ; 4-byte Folded Reload
	;; [unrolled: 1-line block ×8, first 2 shown]
	s_waitcnt vmcnt(2)
	v_mul_f64 v[99:100], v[37:38], v[105:106]
	s_waitcnt vmcnt(0)
	v_mul_f64 v[97:98], v[39:40], v[105:106]
	v_fma_f64 v[105:106], v[39:40], v[103:104], v[99:100]
	ds_read2_b64 v[99:102], v125 offset0:30 offset1:31
	v_fma_f64 v[97:98], v[37:38], v[103:104], -v[97:98]
	buffer_load_dword v37, off, s[20:23], 0 offset:304 ; 4-byte Folded Reload
	buffer_load_dword v38, off, s[20:23], 0 offset:308 ; 4-byte Folded Reload
	buffer_load_dword v39, off, s[20:23], 0 offset:312 ; 4-byte Folded Reload
	buffer_load_dword v40, off, s[20:23], 0 offset:316 ; 4-byte Folded Reload
	s_waitcnt lgkmcnt(0)
	v_mul_f64 v[103:104], v[101:102], v[105:106]
	v_fma_f64 v[103:104], v[99:100], v[97:98], -v[103:104]
	v_mul_f64 v[99:100], v[99:100], v[105:106]
	v_fma_f64 v[99:100], v[101:102], v[97:98], v[99:100]
	s_waitcnt vmcnt(2)
	v_add_f64 v[37:38], v[37:38], -v[103:104]
	s_waitcnt vmcnt(0)
	v_add_f64 v[39:40], v[39:40], -v[99:100]
	buffer_store_dword v37, off, s[20:23], 0 offset:304 ; 4-byte Folded Spill
	s_nop 0
	buffer_store_dword v38, off, s[20:23], 0 offset:308 ; 4-byte Folded Spill
	buffer_store_dword v39, off, s[20:23], 0 offset:312 ; 4-byte Folded Spill
	buffer_store_dword v40, off, s[20:23], 0 offset:316 ; 4-byte Folded Spill
	ds_read2_b64 v[99:102], v125 offset0:32 offset1:33
	buffer_load_dword v37, off, s[20:23], 0 offset:288 ; 4-byte Folded Reload
	buffer_load_dword v38, off, s[20:23], 0 offset:292 ; 4-byte Folded Reload
	buffer_load_dword v39, off, s[20:23], 0 offset:296 ; 4-byte Folded Reload
	buffer_load_dword v40, off, s[20:23], 0 offset:300 ; 4-byte Folded Reload
	s_waitcnt lgkmcnt(0)
	v_mul_f64 v[103:104], v[101:102], v[105:106]
	v_fma_f64 v[103:104], v[99:100], v[97:98], -v[103:104]
	v_mul_f64 v[99:100], v[99:100], v[105:106]
	v_fma_f64 v[99:100], v[101:102], v[97:98], v[99:100]
	s_waitcnt vmcnt(2)
	v_add_f64 v[37:38], v[37:38], -v[103:104]
	s_waitcnt vmcnt(0)
	v_add_f64 v[39:40], v[39:40], -v[99:100]
	buffer_store_dword v37, off, s[20:23], 0 offset:288 ; 4-byte Folded Spill
	s_nop 0
	buffer_store_dword v38, off, s[20:23], 0 offset:292 ; 4-byte Folded Spill
	buffer_store_dword v39, off, s[20:23], 0 offset:296 ; 4-byte Folded Spill
	buffer_store_dword v40, off, s[20:23], 0 offset:300 ; 4-byte Folded Spill
	ds_read2_b64 v[99:102], v125 offset0:34 offset1:35
	;; [unrolled: 19-line block ×17, first 2 shown]
	s_waitcnt lgkmcnt(0)
	v_mul_f64 v[103:104], v[101:102], v[105:106]
	v_fma_f64 v[103:104], v[99:100], v[97:98], -v[103:104]
	v_mul_f64 v[99:100], v[99:100], v[105:106]
	v_add_f64 v[93:94], v[93:94], -v[103:104]
	v_fma_f64 v[99:100], v[101:102], v[97:98], v[99:100]
	v_add_f64 v[95:96], v[95:96], -v[99:100]
	ds_read2_b64 v[99:102], v125 offset0:66 offset1:67
	s_waitcnt lgkmcnt(0)
	v_mul_f64 v[103:104], v[101:102], v[105:106]
	v_fma_f64 v[103:104], v[99:100], v[97:98], -v[103:104]
	v_mul_f64 v[99:100], v[99:100], v[105:106]
	v_add_f64 v[109:110], v[109:110], -v[103:104]
	v_fma_f64 v[99:100], v[101:102], v[97:98], v[99:100]
	v_add_f64 v[111:112], v[111:112], -v[99:100]
	ds_read2_b64 v[99:102], v125 offset0:68 offset1:69
	;; [unrolled: 8-line block ×16, first 2 shown]
	buffer_load_dword v37, off, s[20:23], 0 offset:32 ; 4-byte Folded Reload
	buffer_load_dword v38, off, s[20:23], 0 offset:36 ; 4-byte Folded Reload
	;; [unrolled: 1-line block ×4, first 2 shown]
	s_waitcnt lgkmcnt(0)
	v_mul_f64 v[103:104], v[101:102], v[105:106]
	v_fma_f64 v[103:104], v[99:100], v[97:98], -v[103:104]
	v_mul_f64 v[99:100], v[99:100], v[105:106]
	v_fma_f64 v[99:100], v[101:102], v[97:98], v[99:100]
	s_waitcnt vmcnt(2)
	v_add_f64 v[37:38], v[37:38], -v[103:104]
	s_waitcnt vmcnt(0)
	v_add_f64 v[39:40], v[39:40], -v[99:100]
	buffer_store_dword v37, off, s[20:23], 0 offset:32 ; 4-byte Folded Spill
	s_nop 0
	buffer_store_dword v38, off, s[20:23], 0 offset:36 ; 4-byte Folded Spill
	buffer_store_dword v39, off, s[20:23], 0 offset:40 ; 4-byte Folded Spill
	;; [unrolled: 1-line block ×3, first 2 shown]
	ds_read2_b64 v[99:102], v125 offset0:98 offset1:99
	buffer_load_dword v33, off, s[20:23], 0 offset:16 ; 4-byte Folded Reload
	buffer_load_dword v34, off, s[20:23], 0 offset:20 ; 4-byte Folded Reload
	;; [unrolled: 1-line block ×4, first 2 shown]
	s_waitcnt lgkmcnt(0)
	v_mul_f64 v[103:104], v[101:102], v[105:106]
	v_fma_f64 v[103:104], v[99:100], v[97:98], -v[103:104]
	v_mul_f64 v[99:100], v[99:100], v[105:106]
	v_fma_f64 v[99:100], v[101:102], v[97:98], v[99:100]
	s_waitcnt vmcnt(2)
	v_add_f64 v[33:34], v[33:34], -v[103:104]
	s_waitcnt vmcnt(0)
	v_add_f64 v[35:36], v[35:36], -v[99:100]
	buffer_store_dword v33, off, s[20:23], 0 offset:16 ; 4-byte Folded Spill
	s_nop 0
	buffer_store_dword v34, off, s[20:23], 0 offset:20 ; 4-byte Folded Spill
	buffer_store_dword v35, off, s[20:23], 0 offset:24 ; 4-byte Folded Spill
	;; [unrolled: 1-line block ×3, first 2 shown]
	ds_read2_b64 v[99:102], v125 offset0:100 offset1:101
	s_waitcnt lgkmcnt(0)
	v_mul_f64 v[103:104], v[101:102], v[105:106]
	v_fma_f64 v[103:104], v[99:100], v[97:98], -v[103:104]
	v_mul_f64 v[99:100], v[99:100], v[105:106]
	v_add_f64 v[29:30], v[29:30], -v[103:104]
	v_fma_f64 v[99:100], v[101:102], v[97:98], v[99:100]
	v_add_f64 v[31:32], v[31:32], -v[99:100]
	ds_read2_b64 v[99:102], v125 offset0:102 offset1:103
	s_waitcnt lgkmcnt(0)
	v_mul_f64 v[103:104], v[101:102], v[105:106]
	v_fma_f64 v[103:104], v[99:100], v[97:98], -v[103:104]
	v_mul_f64 v[99:100], v[99:100], v[105:106]
	v_add_f64 v[25:26], v[25:26], -v[103:104]
	v_fma_f64 v[99:100], v[101:102], v[97:98], v[99:100]
	v_add_f64 v[27:28], v[27:28], -v[99:100]
	ds_read2_b64 v[99:102], v125 offset0:104 offset1:105
	s_waitcnt lgkmcnt(0)
	v_mul_f64 v[103:104], v[101:102], v[105:106]
	v_fma_f64 v[103:104], v[99:100], v[97:98], -v[103:104]
	v_mul_f64 v[99:100], v[99:100], v[105:106]
	v_add_f64 v[21:22], v[21:22], -v[103:104]
	v_fma_f64 v[99:100], v[101:102], v[97:98], v[99:100]
	v_add_f64 v[23:24], v[23:24], -v[99:100]
	ds_read2_b64 v[99:102], v125 offset0:106 offset1:107
	s_waitcnt lgkmcnt(0)
	v_mul_f64 v[103:104], v[101:102], v[105:106]
	v_fma_f64 v[103:104], v[99:100], v[97:98], -v[103:104]
	v_mul_f64 v[99:100], v[99:100], v[105:106]
	v_add_f64 v[17:18], v[17:18], -v[103:104]
	v_fma_f64 v[99:100], v[101:102], v[97:98], v[99:100]
	v_add_f64 v[19:20], v[19:20], -v[99:100]
	ds_read2_b64 v[99:102], v125 offset0:108 offset1:109
	s_waitcnt lgkmcnt(0)
	v_mul_f64 v[103:104], v[101:102], v[105:106]
	v_fma_f64 v[103:104], v[99:100], v[97:98], -v[103:104]
	v_mul_f64 v[99:100], v[99:100], v[105:106]
	v_add_f64 v[13:14], v[13:14], -v[103:104]
	v_fma_f64 v[99:100], v[101:102], v[97:98], v[99:100]
	v_add_f64 v[15:16], v[15:16], -v[99:100]
	ds_read2_b64 v[99:102], v125 offset0:110 offset1:111
	s_waitcnt lgkmcnt(0)
	v_mul_f64 v[103:104], v[101:102], v[105:106]
	v_fma_f64 v[103:104], v[99:100], v[97:98], -v[103:104]
	v_mul_f64 v[99:100], v[99:100], v[105:106]
	v_add_f64 v[9:10], v[9:10], -v[103:104]
	v_fma_f64 v[99:100], v[101:102], v[97:98], v[99:100]
	v_add_f64 v[11:12], v[11:12], -v[99:100]
	ds_read2_b64 v[99:102], v125 offset0:112 offset1:113
	s_waitcnt lgkmcnt(0)
	v_mul_f64 v[103:104], v[101:102], v[105:106]
	v_fma_f64 v[103:104], v[99:100], v[97:98], -v[103:104]
	v_mul_f64 v[99:100], v[99:100], v[105:106]
	v_add_f64 v[5:6], v[5:6], -v[103:104]
	v_fma_f64 v[99:100], v[101:102], v[97:98], v[99:100]
	v_add_f64 v[7:8], v[7:8], -v[99:100]
	ds_read2_b64 v[99:102], v125 offset0:114 offset1:115
	s_waitcnt lgkmcnt(0)
	v_mul_f64 v[103:104], v[101:102], v[105:106]
	v_fma_f64 v[103:104], v[99:100], v[97:98], -v[103:104]
	v_mul_f64 v[99:100], v[99:100], v[105:106]
	v_add_f64 v[1:2], v[1:2], -v[103:104]
	v_fma_f64 v[99:100], v[101:102], v[97:98], v[99:100]
	ds_read2_b64 v[101:104], v125 offset0:116 offset1:117
	buffer_load_dword v37, off, s[20:23], 0 ; 4-byte Folded Reload
	buffer_load_dword v38, off, s[20:23], 0 offset:4 ; 4-byte Folded Reload
	buffer_load_dword v39, off, s[20:23], 0 offset:8 ; 4-byte Folded Reload
	;; [unrolled: 1-line block ×3, first 2 shown]
	v_add_f64 v[3:4], v[3:4], -v[99:100]
	s_waitcnt lgkmcnt(0)
	v_mul_f64 v[99:100], v[103:104], v[105:106]
	v_fma_f64 v[99:100], v[101:102], v[97:98], -v[99:100]
	v_mul_f64 v[101:102], v[101:102], v[105:106]
	v_fma_f64 v[101:102], v[103:104], v[97:98], v[101:102]
	v_mov_b32_e32 v104, v98
	v_mov_b32_e32 v103, v97
	s_waitcnt vmcnt(2)
	v_add_f64 v[37:38], v[37:38], -v[99:100]
	s_waitcnt vmcnt(0)
	v_add_f64 v[39:40], v[39:40], -v[101:102]
	buffer_store_dword v37, off, s[20:23], 0 ; 4-byte Folded Spill
	s_nop 0
	buffer_store_dword v38, off, s[20:23], 0 offset:4 ; 4-byte Folded Spill
	buffer_store_dword v39, off, s[20:23], 0 offset:8 ; 4-byte Folded Spill
	;; [unrolled: 1-line block ×4, first 2 shown]
	s_nop 0
	buffer_store_dword v104, off, s[20:23], 0 offset:324 ; 4-byte Folded Spill
	buffer_store_dword v105, off, s[20:23], 0 offset:328 ; 4-byte Folded Spill
	buffer_store_dword v106, off, s[20:23], 0 offset:332 ; 4-byte Folded Spill
.LBB117_136:
	s_or_b64 exec, exec, s[2:3]
	v_cmp_eq_u32_e32 vcc, 15, v0
	s_waitcnt vmcnt(0)
	s_barrier
	s_and_saveexec_b64 s[4:5], vcc
	s_cbranch_execz .LBB117_143
; %bb.137:
	buffer_load_dword v37, off, s[20:23], 0 offset:304 ; 4-byte Folded Reload
	buffer_load_dword v38, off, s[20:23], 0 offset:308 ; 4-byte Folded Reload
	;; [unrolled: 1-line block ×4, first 2 shown]
	s_waitcnt vmcnt(0)
	ds_write2_b64 v127, v[37:38], v[39:40] offset1:1
	buffer_load_dword v37, off, s[20:23], 0 offset:288 ; 4-byte Folded Reload
	buffer_load_dword v38, off, s[20:23], 0 offset:292 ; 4-byte Folded Reload
	buffer_load_dword v39, off, s[20:23], 0 offset:296 ; 4-byte Folded Reload
	buffer_load_dword v40, off, s[20:23], 0 offset:300 ; 4-byte Folded Reload
	s_waitcnt vmcnt(0)
	ds_write2_b64 v125, v[37:38], v[39:40] offset0:32 offset1:33
	buffer_load_dword v37, off, s[20:23], 0 offset:272 ; 4-byte Folded Reload
	buffer_load_dword v38, off, s[20:23], 0 offset:276 ; 4-byte Folded Reload
	buffer_load_dword v39, off, s[20:23], 0 offset:280 ; 4-byte Folded Reload
	buffer_load_dword v40, off, s[20:23], 0 offset:284 ; 4-byte Folded Reload
	s_waitcnt vmcnt(0)
	ds_write2_b64 v125, v[37:38], v[39:40] offset0:34 offset1:35
	;; [unrolled: 6-line block ×16, first 2 shown]
	ds_write2_b64 v125, v[93:94], v[95:96] offset0:64 offset1:65
	ds_write2_b64 v125, v[109:110], v[111:112] offset0:66 offset1:67
	;; [unrolled: 1-line block ×16, first 2 shown]
	buffer_load_dword v37, off, s[20:23], 0 offset:32 ; 4-byte Folded Reload
	buffer_load_dword v38, off, s[20:23], 0 offset:36 ; 4-byte Folded Reload
	;; [unrolled: 1-line block ×4, first 2 shown]
	s_waitcnt vmcnt(0)
	ds_write2_b64 v125, v[37:38], v[39:40] offset0:96 offset1:97
	buffer_load_dword v33, off, s[20:23], 0 offset:16 ; 4-byte Folded Reload
	buffer_load_dword v34, off, s[20:23], 0 offset:20 ; 4-byte Folded Reload
	;; [unrolled: 1-line block ×4, first 2 shown]
	s_waitcnt vmcnt(0)
	ds_write2_b64 v125, v[33:34], v[35:36] offset0:98 offset1:99
	ds_write2_b64 v125, v[29:30], v[31:32] offset0:100 offset1:101
	;; [unrolled: 1-line block ×9, first 2 shown]
	buffer_load_dword v37, off, s[20:23], 0 ; 4-byte Folded Reload
	buffer_load_dword v38, off, s[20:23], 0 offset:4 ; 4-byte Folded Reload
	buffer_load_dword v39, off, s[20:23], 0 offset:8 ; 4-byte Folded Reload
	;; [unrolled: 1-line block ×3, first 2 shown]
	s_waitcnt vmcnt(0)
	ds_write2_b64 v125, v[37:38], v[39:40] offset0:116 offset1:117
	ds_read2_b64 v[97:100], v127 offset1:1
	s_waitcnt lgkmcnt(0)
	v_cmp_neq_f64_e32 vcc, 0, v[97:98]
	v_cmp_neq_f64_e64 s[2:3], 0, v[99:100]
	s_or_b64 s[2:3], vcc, s[2:3]
	s_and_b64 exec, exec, s[2:3]
	s_cbranch_execz .LBB117_143
; %bb.138:
	v_cmp_ngt_f64_e64 s[2:3], |v[97:98]|, |v[99:100]|
                                        ; implicit-def: $vgpr101_vgpr102
	s_and_saveexec_b64 s[6:7], s[2:3]
	s_xor_b64 s[2:3], exec, s[6:7]
                                        ; implicit-def: $vgpr103_vgpr104
	s_cbranch_execz .LBB117_140
; %bb.139:
	v_div_scale_f64 v[101:102], s[6:7], v[99:100], v[99:100], v[97:98]
	v_rcp_f64_e32 v[103:104], v[101:102]
	v_fma_f64 v[105:106], -v[101:102], v[103:104], 1.0
	v_fma_f64 v[103:104], v[103:104], v[105:106], v[103:104]
	v_div_scale_f64 v[105:106], vcc, v[97:98], v[99:100], v[97:98]
	v_fma_f64 v[107:108], -v[101:102], v[103:104], 1.0
	v_fma_f64 v[103:104], v[103:104], v[107:108], v[103:104]
	v_mul_f64 v[107:108], v[105:106], v[103:104]
	v_fma_f64 v[101:102], -v[101:102], v[107:108], v[105:106]
	v_div_fmas_f64 v[101:102], v[101:102], v[103:104], v[107:108]
	v_div_fixup_f64 v[101:102], v[101:102], v[99:100], v[97:98]
	v_fma_f64 v[97:98], v[97:98], v[101:102], v[99:100]
	v_div_scale_f64 v[99:100], s[6:7], v[97:98], v[97:98], 1.0
	v_div_scale_f64 v[107:108], vcc, 1.0, v[97:98], 1.0
	v_rcp_f64_e32 v[103:104], v[99:100]
	v_fma_f64 v[105:106], -v[99:100], v[103:104], 1.0
	v_fma_f64 v[103:104], v[103:104], v[105:106], v[103:104]
	v_fma_f64 v[105:106], -v[99:100], v[103:104], 1.0
	v_fma_f64 v[103:104], v[103:104], v[105:106], v[103:104]
	v_mul_f64 v[105:106], v[107:108], v[103:104]
	v_fma_f64 v[99:100], -v[99:100], v[105:106], v[107:108]
	v_div_fmas_f64 v[99:100], v[99:100], v[103:104], v[105:106]
	v_div_fixup_f64 v[103:104], v[99:100], v[97:98], 1.0
                                        ; implicit-def: $vgpr97_vgpr98
	v_mul_f64 v[101:102], v[101:102], v[103:104]
	v_xor_b32_e32 v104, 0x80000000, v104
.LBB117_140:
	s_andn2_saveexec_b64 s[2:3], s[2:3]
	s_cbranch_execz .LBB117_142
; %bb.141:
	v_div_scale_f64 v[101:102], s[6:7], v[97:98], v[97:98], v[99:100]
	v_rcp_f64_e32 v[103:104], v[101:102]
	v_fma_f64 v[105:106], -v[101:102], v[103:104], 1.0
	v_fma_f64 v[103:104], v[103:104], v[105:106], v[103:104]
	v_div_scale_f64 v[105:106], vcc, v[99:100], v[97:98], v[99:100]
	v_fma_f64 v[107:108], -v[101:102], v[103:104], 1.0
	v_fma_f64 v[103:104], v[103:104], v[107:108], v[103:104]
	v_mul_f64 v[107:108], v[105:106], v[103:104]
	v_fma_f64 v[101:102], -v[101:102], v[107:108], v[105:106]
	v_div_fmas_f64 v[101:102], v[101:102], v[103:104], v[107:108]
	v_div_fixup_f64 v[103:104], v[101:102], v[97:98], v[99:100]
	v_fma_f64 v[97:98], v[99:100], v[103:104], v[97:98]
	v_div_scale_f64 v[99:100], s[6:7], v[97:98], v[97:98], 1.0
	v_div_scale_f64 v[107:108], vcc, 1.0, v[97:98], 1.0
	v_rcp_f64_e32 v[101:102], v[99:100]
	v_fma_f64 v[105:106], -v[99:100], v[101:102], 1.0
	v_fma_f64 v[101:102], v[101:102], v[105:106], v[101:102]
	v_fma_f64 v[105:106], -v[99:100], v[101:102], 1.0
	v_fma_f64 v[101:102], v[101:102], v[105:106], v[101:102]
	v_mul_f64 v[105:106], v[107:108], v[101:102]
	v_fma_f64 v[99:100], -v[99:100], v[105:106], v[107:108]
	v_div_fmas_f64 v[99:100], v[99:100], v[101:102], v[105:106]
	v_div_fixup_f64 v[101:102], v[99:100], v[97:98], 1.0
	v_mul_f64 v[103:104], v[103:104], -v[101:102]
.LBB117_142:
	s_or_b64 exec, exec, s[2:3]
	ds_write2_b64 v127, v[101:102], v[103:104] offset1:1
.LBB117_143:
	s_or_b64 exec, exec, s[4:5]
	s_waitcnt lgkmcnt(0)
	s_barrier
	ds_read2_b64 v[37:40], v127 offset1:1
	v_cmp_lt_u32_e32 vcc, 15, v0
	s_waitcnt lgkmcnt(0)
	buffer_store_dword v37, off, s[20:23], 0 offset:1264 ; 4-byte Folded Spill
	s_nop 0
	buffer_store_dword v38, off, s[20:23], 0 offset:1268 ; 4-byte Folded Spill
	buffer_store_dword v39, off, s[20:23], 0 offset:1272 ; 4-byte Folded Spill
	;; [unrolled: 1-line block ×3, first 2 shown]
	s_and_saveexec_b64 s[2:3], vcc
	s_cbranch_execz .LBB117_145
; %bb.144:
	buffer_load_dword v103, off, s[20:23], 0 offset:304 ; 4-byte Folded Reload
	buffer_load_dword v104, off, s[20:23], 0 offset:308 ; 4-byte Folded Reload
	;; [unrolled: 1-line block ×8, first 2 shown]
	s_waitcnt vmcnt(2)
	v_mul_f64 v[99:100], v[37:38], v[105:106]
	s_waitcnt vmcnt(0)
	v_mul_f64 v[97:98], v[39:40], v[105:106]
	v_fma_f64 v[105:106], v[39:40], v[103:104], v[99:100]
	ds_read2_b64 v[99:102], v125 offset0:32 offset1:33
	v_fma_f64 v[97:98], v[37:38], v[103:104], -v[97:98]
	buffer_load_dword v37, off, s[20:23], 0 offset:288 ; 4-byte Folded Reload
	buffer_load_dword v38, off, s[20:23], 0 offset:292 ; 4-byte Folded Reload
	buffer_load_dword v39, off, s[20:23], 0 offset:296 ; 4-byte Folded Reload
	buffer_load_dword v40, off, s[20:23], 0 offset:300 ; 4-byte Folded Reload
	s_waitcnt lgkmcnt(0)
	v_mul_f64 v[103:104], v[101:102], v[105:106]
	v_fma_f64 v[103:104], v[99:100], v[97:98], -v[103:104]
	v_mul_f64 v[99:100], v[99:100], v[105:106]
	v_fma_f64 v[99:100], v[101:102], v[97:98], v[99:100]
	s_waitcnt vmcnt(2)
	v_add_f64 v[37:38], v[37:38], -v[103:104]
	s_waitcnt vmcnt(0)
	v_add_f64 v[39:40], v[39:40], -v[99:100]
	buffer_store_dword v37, off, s[20:23], 0 offset:288 ; 4-byte Folded Spill
	s_nop 0
	buffer_store_dword v38, off, s[20:23], 0 offset:292 ; 4-byte Folded Spill
	buffer_store_dword v39, off, s[20:23], 0 offset:296 ; 4-byte Folded Spill
	buffer_store_dword v40, off, s[20:23], 0 offset:300 ; 4-byte Folded Spill
	ds_read2_b64 v[99:102], v125 offset0:34 offset1:35
	buffer_load_dword v37, off, s[20:23], 0 offset:272 ; 4-byte Folded Reload
	buffer_load_dword v38, off, s[20:23], 0 offset:276 ; 4-byte Folded Reload
	buffer_load_dword v39, off, s[20:23], 0 offset:280 ; 4-byte Folded Reload
	buffer_load_dword v40, off, s[20:23], 0 offset:284 ; 4-byte Folded Reload
	s_waitcnt lgkmcnt(0)
	v_mul_f64 v[103:104], v[101:102], v[105:106]
	v_fma_f64 v[103:104], v[99:100], v[97:98], -v[103:104]
	v_mul_f64 v[99:100], v[99:100], v[105:106]
	v_fma_f64 v[99:100], v[101:102], v[97:98], v[99:100]
	s_waitcnt vmcnt(2)
	v_add_f64 v[37:38], v[37:38], -v[103:104]
	s_waitcnt vmcnt(0)
	v_add_f64 v[39:40], v[39:40], -v[99:100]
	buffer_store_dword v37, off, s[20:23], 0 offset:272 ; 4-byte Folded Spill
	s_nop 0
	buffer_store_dword v38, off, s[20:23], 0 offset:276 ; 4-byte Folded Spill
	buffer_store_dword v39, off, s[20:23], 0 offset:280 ; 4-byte Folded Spill
	buffer_store_dword v40, off, s[20:23], 0 offset:284 ; 4-byte Folded Spill
	ds_read2_b64 v[99:102], v125 offset0:36 offset1:37
	;; [unrolled: 19-line block ×16, first 2 shown]
	s_waitcnt lgkmcnt(0)
	v_mul_f64 v[103:104], v[101:102], v[105:106]
	v_fma_f64 v[103:104], v[99:100], v[97:98], -v[103:104]
	v_mul_f64 v[99:100], v[99:100], v[105:106]
	v_add_f64 v[93:94], v[93:94], -v[103:104]
	v_fma_f64 v[99:100], v[101:102], v[97:98], v[99:100]
	v_add_f64 v[95:96], v[95:96], -v[99:100]
	ds_read2_b64 v[99:102], v125 offset0:66 offset1:67
	s_waitcnt lgkmcnt(0)
	v_mul_f64 v[103:104], v[101:102], v[105:106]
	v_fma_f64 v[103:104], v[99:100], v[97:98], -v[103:104]
	v_mul_f64 v[99:100], v[99:100], v[105:106]
	v_add_f64 v[109:110], v[109:110], -v[103:104]
	v_fma_f64 v[99:100], v[101:102], v[97:98], v[99:100]
	v_add_f64 v[111:112], v[111:112], -v[99:100]
	ds_read2_b64 v[99:102], v125 offset0:68 offset1:69
	;; [unrolled: 8-line block ×16, first 2 shown]
	buffer_load_dword v37, off, s[20:23], 0 offset:32 ; 4-byte Folded Reload
	buffer_load_dword v38, off, s[20:23], 0 offset:36 ; 4-byte Folded Reload
	;; [unrolled: 1-line block ×4, first 2 shown]
	s_waitcnt lgkmcnt(0)
	v_mul_f64 v[103:104], v[101:102], v[105:106]
	v_fma_f64 v[103:104], v[99:100], v[97:98], -v[103:104]
	v_mul_f64 v[99:100], v[99:100], v[105:106]
	v_fma_f64 v[99:100], v[101:102], v[97:98], v[99:100]
	s_waitcnt vmcnt(2)
	v_add_f64 v[37:38], v[37:38], -v[103:104]
	s_waitcnt vmcnt(0)
	v_add_f64 v[39:40], v[39:40], -v[99:100]
	buffer_store_dword v37, off, s[20:23], 0 offset:32 ; 4-byte Folded Spill
	s_nop 0
	buffer_store_dword v38, off, s[20:23], 0 offset:36 ; 4-byte Folded Spill
	buffer_store_dword v39, off, s[20:23], 0 offset:40 ; 4-byte Folded Spill
	;; [unrolled: 1-line block ×3, first 2 shown]
	ds_read2_b64 v[99:102], v125 offset0:98 offset1:99
	buffer_load_dword v33, off, s[20:23], 0 offset:16 ; 4-byte Folded Reload
	buffer_load_dword v34, off, s[20:23], 0 offset:20 ; 4-byte Folded Reload
	;; [unrolled: 1-line block ×4, first 2 shown]
	s_waitcnt lgkmcnt(0)
	v_mul_f64 v[103:104], v[101:102], v[105:106]
	v_fma_f64 v[103:104], v[99:100], v[97:98], -v[103:104]
	v_mul_f64 v[99:100], v[99:100], v[105:106]
	v_fma_f64 v[99:100], v[101:102], v[97:98], v[99:100]
	s_waitcnt vmcnt(2)
	v_add_f64 v[33:34], v[33:34], -v[103:104]
	s_waitcnt vmcnt(0)
	v_add_f64 v[35:36], v[35:36], -v[99:100]
	buffer_store_dword v33, off, s[20:23], 0 offset:16 ; 4-byte Folded Spill
	s_nop 0
	buffer_store_dword v34, off, s[20:23], 0 offset:20 ; 4-byte Folded Spill
	buffer_store_dword v35, off, s[20:23], 0 offset:24 ; 4-byte Folded Spill
	;; [unrolled: 1-line block ×3, first 2 shown]
	ds_read2_b64 v[99:102], v125 offset0:100 offset1:101
	s_waitcnt lgkmcnt(0)
	v_mul_f64 v[103:104], v[101:102], v[105:106]
	v_fma_f64 v[103:104], v[99:100], v[97:98], -v[103:104]
	v_mul_f64 v[99:100], v[99:100], v[105:106]
	v_add_f64 v[29:30], v[29:30], -v[103:104]
	v_fma_f64 v[99:100], v[101:102], v[97:98], v[99:100]
	v_add_f64 v[31:32], v[31:32], -v[99:100]
	ds_read2_b64 v[99:102], v125 offset0:102 offset1:103
	s_waitcnt lgkmcnt(0)
	v_mul_f64 v[103:104], v[101:102], v[105:106]
	v_fma_f64 v[103:104], v[99:100], v[97:98], -v[103:104]
	v_mul_f64 v[99:100], v[99:100], v[105:106]
	v_add_f64 v[25:26], v[25:26], -v[103:104]
	v_fma_f64 v[99:100], v[101:102], v[97:98], v[99:100]
	v_add_f64 v[27:28], v[27:28], -v[99:100]
	;; [unrolled: 8-line block ×7, first 2 shown]
	ds_read2_b64 v[99:102], v125 offset0:114 offset1:115
	s_waitcnt lgkmcnt(0)
	v_mul_f64 v[103:104], v[101:102], v[105:106]
	v_fma_f64 v[103:104], v[99:100], v[97:98], -v[103:104]
	v_mul_f64 v[99:100], v[99:100], v[105:106]
	v_add_f64 v[1:2], v[1:2], -v[103:104]
	v_fma_f64 v[99:100], v[101:102], v[97:98], v[99:100]
	ds_read2_b64 v[101:104], v125 offset0:116 offset1:117
	buffer_load_dword v37, off, s[20:23], 0 ; 4-byte Folded Reload
	buffer_load_dword v38, off, s[20:23], 0 offset:4 ; 4-byte Folded Reload
	buffer_load_dword v39, off, s[20:23], 0 offset:8 ; 4-byte Folded Reload
	;; [unrolled: 1-line block ×3, first 2 shown]
	v_add_f64 v[3:4], v[3:4], -v[99:100]
	s_waitcnt lgkmcnt(0)
	v_mul_f64 v[99:100], v[103:104], v[105:106]
	v_fma_f64 v[99:100], v[101:102], v[97:98], -v[99:100]
	v_mul_f64 v[101:102], v[101:102], v[105:106]
	v_fma_f64 v[101:102], v[103:104], v[97:98], v[101:102]
	v_mov_b32_e32 v104, v98
	v_mov_b32_e32 v103, v97
	s_waitcnt vmcnt(2)
	v_add_f64 v[37:38], v[37:38], -v[99:100]
	s_waitcnt vmcnt(0)
	v_add_f64 v[39:40], v[39:40], -v[101:102]
	buffer_store_dword v37, off, s[20:23], 0 ; 4-byte Folded Spill
	s_nop 0
	buffer_store_dword v38, off, s[20:23], 0 offset:4 ; 4-byte Folded Spill
	buffer_store_dword v39, off, s[20:23], 0 offset:8 ; 4-byte Folded Spill
	;; [unrolled: 1-line block ×4, first 2 shown]
	s_nop 0
	buffer_store_dword v104, off, s[20:23], 0 offset:308 ; 4-byte Folded Spill
	buffer_store_dword v105, off, s[20:23], 0 offset:312 ; 4-byte Folded Spill
	;; [unrolled: 1-line block ×3, first 2 shown]
.LBB117_145:
	s_or_b64 exec, exec, s[2:3]
	v_cmp_eq_u32_e32 vcc, 16, v0
	s_waitcnt vmcnt(0)
	s_barrier
	s_and_saveexec_b64 s[4:5], vcc
	s_cbranch_execz .LBB117_152
; %bb.146:
	buffer_load_dword v37, off, s[20:23], 0 offset:288 ; 4-byte Folded Reload
	buffer_load_dword v38, off, s[20:23], 0 offset:292 ; 4-byte Folded Reload
	;; [unrolled: 1-line block ×4, first 2 shown]
	s_waitcnt vmcnt(0)
	ds_write2_b64 v127, v[37:38], v[39:40] offset1:1
	buffer_load_dword v37, off, s[20:23], 0 offset:272 ; 4-byte Folded Reload
	buffer_load_dword v38, off, s[20:23], 0 offset:276 ; 4-byte Folded Reload
	buffer_load_dword v39, off, s[20:23], 0 offset:280 ; 4-byte Folded Reload
	buffer_load_dword v40, off, s[20:23], 0 offset:284 ; 4-byte Folded Reload
	s_waitcnt vmcnt(0)
	ds_write2_b64 v125, v[37:38], v[39:40] offset0:34 offset1:35
	buffer_load_dword v37, off, s[20:23], 0 offset:256 ; 4-byte Folded Reload
	buffer_load_dword v38, off, s[20:23], 0 offset:260 ; 4-byte Folded Reload
	buffer_load_dword v39, off, s[20:23], 0 offset:264 ; 4-byte Folded Reload
	buffer_load_dword v40, off, s[20:23], 0 offset:268 ; 4-byte Folded Reload
	s_waitcnt vmcnt(0)
	ds_write2_b64 v125, v[37:38], v[39:40] offset0:36 offset1:37
	;; [unrolled: 6-line block ×15, first 2 shown]
	ds_write2_b64 v125, v[93:94], v[95:96] offset0:64 offset1:65
	ds_write2_b64 v125, v[109:110], v[111:112] offset0:66 offset1:67
	;; [unrolled: 1-line block ×16, first 2 shown]
	buffer_load_dword v37, off, s[20:23], 0 offset:32 ; 4-byte Folded Reload
	buffer_load_dword v38, off, s[20:23], 0 offset:36 ; 4-byte Folded Reload
	;; [unrolled: 1-line block ×4, first 2 shown]
	s_waitcnt vmcnt(0)
	ds_write2_b64 v125, v[37:38], v[39:40] offset0:96 offset1:97
	buffer_load_dword v33, off, s[20:23], 0 offset:16 ; 4-byte Folded Reload
	buffer_load_dword v34, off, s[20:23], 0 offset:20 ; 4-byte Folded Reload
	;; [unrolled: 1-line block ×4, first 2 shown]
	s_waitcnt vmcnt(0)
	ds_write2_b64 v125, v[33:34], v[35:36] offset0:98 offset1:99
	ds_write2_b64 v125, v[29:30], v[31:32] offset0:100 offset1:101
	;; [unrolled: 1-line block ×9, first 2 shown]
	buffer_load_dword v37, off, s[20:23], 0 ; 4-byte Folded Reload
	buffer_load_dword v38, off, s[20:23], 0 offset:4 ; 4-byte Folded Reload
	buffer_load_dword v39, off, s[20:23], 0 offset:8 ; 4-byte Folded Reload
	;; [unrolled: 1-line block ×3, first 2 shown]
	s_waitcnt vmcnt(0)
	ds_write2_b64 v125, v[37:38], v[39:40] offset0:116 offset1:117
	ds_read2_b64 v[97:100], v127 offset1:1
	s_waitcnt lgkmcnt(0)
	v_cmp_neq_f64_e32 vcc, 0, v[97:98]
	v_cmp_neq_f64_e64 s[2:3], 0, v[99:100]
	s_or_b64 s[2:3], vcc, s[2:3]
	s_and_b64 exec, exec, s[2:3]
	s_cbranch_execz .LBB117_152
; %bb.147:
	v_cmp_ngt_f64_e64 s[2:3], |v[97:98]|, |v[99:100]|
                                        ; implicit-def: $vgpr101_vgpr102
	s_and_saveexec_b64 s[6:7], s[2:3]
	s_xor_b64 s[2:3], exec, s[6:7]
                                        ; implicit-def: $vgpr103_vgpr104
	s_cbranch_execz .LBB117_149
; %bb.148:
	v_div_scale_f64 v[101:102], s[6:7], v[99:100], v[99:100], v[97:98]
	v_rcp_f64_e32 v[103:104], v[101:102]
	v_fma_f64 v[105:106], -v[101:102], v[103:104], 1.0
	v_fma_f64 v[103:104], v[103:104], v[105:106], v[103:104]
	v_div_scale_f64 v[105:106], vcc, v[97:98], v[99:100], v[97:98]
	v_fma_f64 v[107:108], -v[101:102], v[103:104], 1.0
	v_fma_f64 v[103:104], v[103:104], v[107:108], v[103:104]
	v_mul_f64 v[107:108], v[105:106], v[103:104]
	v_fma_f64 v[101:102], -v[101:102], v[107:108], v[105:106]
	v_div_fmas_f64 v[101:102], v[101:102], v[103:104], v[107:108]
	v_div_fixup_f64 v[101:102], v[101:102], v[99:100], v[97:98]
	v_fma_f64 v[97:98], v[97:98], v[101:102], v[99:100]
	v_div_scale_f64 v[99:100], s[6:7], v[97:98], v[97:98], 1.0
	v_div_scale_f64 v[107:108], vcc, 1.0, v[97:98], 1.0
	v_rcp_f64_e32 v[103:104], v[99:100]
	v_fma_f64 v[105:106], -v[99:100], v[103:104], 1.0
	v_fma_f64 v[103:104], v[103:104], v[105:106], v[103:104]
	v_fma_f64 v[105:106], -v[99:100], v[103:104], 1.0
	v_fma_f64 v[103:104], v[103:104], v[105:106], v[103:104]
	v_mul_f64 v[105:106], v[107:108], v[103:104]
	v_fma_f64 v[99:100], -v[99:100], v[105:106], v[107:108]
	v_div_fmas_f64 v[99:100], v[99:100], v[103:104], v[105:106]
	v_div_fixup_f64 v[103:104], v[99:100], v[97:98], 1.0
                                        ; implicit-def: $vgpr97_vgpr98
	v_mul_f64 v[101:102], v[101:102], v[103:104]
	v_xor_b32_e32 v104, 0x80000000, v104
.LBB117_149:
	s_andn2_saveexec_b64 s[2:3], s[2:3]
	s_cbranch_execz .LBB117_151
; %bb.150:
	v_div_scale_f64 v[101:102], s[6:7], v[97:98], v[97:98], v[99:100]
	v_rcp_f64_e32 v[103:104], v[101:102]
	v_fma_f64 v[105:106], -v[101:102], v[103:104], 1.0
	v_fma_f64 v[103:104], v[103:104], v[105:106], v[103:104]
	v_div_scale_f64 v[105:106], vcc, v[99:100], v[97:98], v[99:100]
	v_fma_f64 v[107:108], -v[101:102], v[103:104], 1.0
	v_fma_f64 v[103:104], v[103:104], v[107:108], v[103:104]
	v_mul_f64 v[107:108], v[105:106], v[103:104]
	v_fma_f64 v[101:102], -v[101:102], v[107:108], v[105:106]
	v_div_fmas_f64 v[101:102], v[101:102], v[103:104], v[107:108]
	v_div_fixup_f64 v[103:104], v[101:102], v[97:98], v[99:100]
	v_fma_f64 v[97:98], v[99:100], v[103:104], v[97:98]
	v_div_scale_f64 v[99:100], s[6:7], v[97:98], v[97:98], 1.0
	v_div_scale_f64 v[107:108], vcc, 1.0, v[97:98], 1.0
	v_rcp_f64_e32 v[101:102], v[99:100]
	v_fma_f64 v[105:106], -v[99:100], v[101:102], 1.0
	v_fma_f64 v[101:102], v[101:102], v[105:106], v[101:102]
	v_fma_f64 v[105:106], -v[99:100], v[101:102], 1.0
	v_fma_f64 v[101:102], v[101:102], v[105:106], v[101:102]
	v_mul_f64 v[105:106], v[107:108], v[101:102]
	v_fma_f64 v[99:100], -v[99:100], v[105:106], v[107:108]
	v_div_fmas_f64 v[99:100], v[99:100], v[101:102], v[105:106]
	v_div_fixup_f64 v[101:102], v[99:100], v[97:98], 1.0
	v_mul_f64 v[103:104], v[103:104], -v[101:102]
.LBB117_151:
	s_or_b64 exec, exec, s[2:3]
	ds_write2_b64 v127, v[101:102], v[103:104] offset1:1
.LBB117_152:
	s_or_b64 exec, exec, s[4:5]
	s_waitcnt lgkmcnt(0)
	s_barrier
	ds_read2_b64 v[37:40], v127 offset1:1
	v_cmp_lt_u32_e32 vcc, 16, v0
	s_waitcnt lgkmcnt(0)
	buffer_store_dword v37, off, s[20:23], 0 offset:1280 ; 4-byte Folded Spill
	s_nop 0
	buffer_store_dword v38, off, s[20:23], 0 offset:1284 ; 4-byte Folded Spill
	buffer_store_dword v39, off, s[20:23], 0 offset:1288 ; 4-byte Folded Spill
	;; [unrolled: 1-line block ×3, first 2 shown]
	s_and_saveexec_b64 s[2:3], vcc
	s_cbranch_execz .LBB117_154
; %bb.153:
	buffer_load_dword v103, off, s[20:23], 0 offset:288 ; 4-byte Folded Reload
	buffer_load_dword v104, off, s[20:23], 0 offset:292 ; 4-byte Folded Reload
	;; [unrolled: 1-line block ×8, first 2 shown]
	s_waitcnt vmcnt(2)
	v_mul_f64 v[99:100], v[37:38], v[105:106]
	s_waitcnt vmcnt(0)
	v_mul_f64 v[97:98], v[39:40], v[105:106]
	v_fma_f64 v[105:106], v[39:40], v[103:104], v[99:100]
	ds_read2_b64 v[99:102], v125 offset0:34 offset1:35
	v_fma_f64 v[97:98], v[37:38], v[103:104], -v[97:98]
	buffer_load_dword v37, off, s[20:23], 0 offset:272 ; 4-byte Folded Reload
	buffer_load_dword v38, off, s[20:23], 0 offset:276 ; 4-byte Folded Reload
	buffer_load_dword v39, off, s[20:23], 0 offset:280 ; 4-byte Folded Reload
	buffer_load_dword v40, off, s[20:23], 0 offset:284 ; 4-byte Folded Reload
	s_waitcnt lgkmcnt(0)
	v_mul_f64 v[103:104], v[101:102], v[105:106]
	v_fma_f64 v[103:104], v[99:100], v[97:98], -v[103:104]
	v_mul_f64 v[99:100], v[99:100], v[105:106]
	v_fma_f64 v[99:100], v[101:102], v[97:98], v[99:100]
	s_waitcnt vmcnt(2)
	v_add_f64 v[37:38], v[37:38], -v[103:104]
	s_waitcnt vmcnt(0)
	v_add_f64 v[39:40], v[39:40], -v[99:100]
	buffer_store_dword v37, off, s[20:23], 0 offset:272 ; 4-byte Folded Spill
	s_nop 0
	buffer_store_dword v38, off, s[20:23], 0 offset:276 ; 4-byte Folded Spill
	buffer_store_dword v39, off, s[20:23], 0 offset:280 ; 4-byte Folded Spill
	buffer_store_dword v40, off, s[20:23], 0 offset:284 ; 4-byte Folded Spill
	ds_read2_b64 v[99:102], v125 offset0:36 offset1:37
	buffer_load_dword v37, off, s[20:23], 0 offset:256 ; 4-byte Folded Reload
	buffer_load_dword v38, off, s[20:23], 0 offset:260 ; 4-byte Folded Reload
	buffer_load_dword v39, off, s[20:23], 0 offset:264 ; 4-byte Folded Reload
	buffer_load_dword v40, off, s[20:23], 0 offset:268 ; 4-byte Folded Reload
	s_waitcnt lgkmcnt(0)
	v_mul_f64 v[103:104], v[101:102], v[105:106]
	v_fma_f64 v[103:104], v[99:100], v[97:98], -v[103:104]
	v_mul_f64 v[99:100], v[99:100], v[105:106]
	v_fma_f64 v[99:100], v[101:102], v[97:98], v[99:100]
	s_waitcnt vmcnt(2)
	v_add_f64 v[37:38], v[37:38], -v[103:104]
	s_waitcnt vmcnt(0)
	v_add_f64 v[39:40], v[39:40], -v[99:100]
	buffer_store_dword v37, off, s[20:23], 0 offset:256 ; 4-byte Folded Spill
	s_nop 0
	buffer_store_dword v38, off, s[20:23], 0 offset:260 ; 4-byte Folded Spill
	buffer_store_dword v39, off, s[20:23], 0 offset:264 ; 4-byte Folded Spill
	buffer_store_dword v40, off, s[20:23], 0 offset:268 ; 4-byte Folded Spill
	ds_read2_b64 v[99:102], v125 offset0:38 offset1:39
	;; [unrolled: 19-line block ×15, first 2 shown]
	s_waitcnt lgkmcnt(0)
	v_mul_f64 v[103:104], v[101:102], v[105:106]
	v_fma_f64 v[103:104], v[99:100], v[97:98], -v[103:104]
	v_mul_f64 v[99:100], v[99:100], v[105:106]
	v_add_f64 v[93:94], v[93:94], -v[103:104]
	v_fma_f64 v[99:100], v[101:102], v[97:98], v[99:100]
	v_add_f64 v[95:96], v[95:96], -v[99:100]
	ds_read2_b64 v[99:102], v125 offset0:66 offset1:67
	s_waitcnt lgkmcnt(0)
	v_mul_f64 v[103:104], v[101:102], v[105:106]
	v_fma_f64 v[103:104], v[99:100], v[97:98], -v[103:104]
	v_mul_f64 v[99:100], v[99:100], v[105:106]
	v_add_f64 v[109:110], v[109:110], -v[103:104]
	v_fma_f64 v[99:100], v[101:102], v[97:98], v[99:100]
	v_add_f64 v[111:112], v[111:112], -v[99:100]
	ds_read2_b64 v[99:102], v125 offset0:68 offset1:69
	;; [unrolled: 8-line block ×16, first 2 shown]
	buffer_load_dword v37, off, s[20:23], 0 offset:32 ; 4-byte Folded Reload
	buffer_load_dword v38, off, s[20:23], 0 offset:36 ; 4-byte Folded Reload
	;; [unrolled: 1-line block ×4, first 2 shown]
	s_waitcnt lgkmcnt(0)
	v_mul_f64 v[103:104], v[101:102], v[105:106]
	v_fma_f64 v[103:104], v[99:100], v[97:98], -v[103:104]
	v_mul_f64 v[99:100], v[99:100], v[105:106]
	v_fma_f64 v[99:100], v[101:102], v[97:98], v[99:100]
	s_waitcnt vmcnt(2)
	v_add_f64 v[37:38], v[37:38], -v[103:104]
	s_waitcnt vmcnt(0)
	v_add_f64 v[39:40], v[39:40], -v[99:100]
	buffer_store_dword v37, off, s[20:23], 0 offset:32 ; 4-byte Folded Spill
	s_nop 0
	buffer_store_dword v38, off, s[20:23], 0 offset:36 ; 4-byte Folded Spill
	buffer_store_dword v39, off, s[20:23], 0 offset:40 ; 4-byte Folded Spill
	buffer_store_dword v40, off, s[20:23], 0 offset:44 ; 4-byte Folded Spill
	ds_read2_b64 v[99:102], v125 offset0:98 offset1:99
	buffer_load_dword v33, off, s[20:23], 0 offset:16 ; 4-byte Folded Reload
	buffer_load_dword v34, off, s[20:23], 0 offset:20 ; 4-byte Folded Reload
	;; [unrolled: 1-line block ×4, first 2 shown]
	s_waitcnt lgkmcnt(0)
	v_mul_f64 v[103:104], v[101:102], v[105:106]
	v_fma_f64 v[103:104], v[99:100], v[97:98], -v[103:104]
	v_mul_f64 v[99:100], v[99:100], v[105:106]
	v_fma_f64 v[99:100], v[101:102], v[97:98], v[99:100]
	s_waitcnt vmcnt(2)
	v_add_f64 v[33:34], v[33:34], -v[103:104]
	s_waitcnt vmcnt(0)
	v_add_f64 v[35:36], v[35:36], -v[99:100]
	buffer_store_dword v33, off, s[20:23], 0 offset:16 ; 4-byte Folded Spill
	s_nop 0
	buffer_store_dword v34, off, s[20:23], 0 offset:20 ; 4-byte Folded Spill
	buffer_store_dword v35, off, s[20:23], 0 offset:24 ; 4-byte Folded Spill
	;; [unrolled: 1-line block ×3, first 2 shown]
	ds_read2_b64 v[99:102], v125 offset0:100 offset1:101
	s_waitcnt lgkmcnt(0)
	v_mul_f64 v[103:104], v[101:102], v[105:106]
	v_fma_f64 v[103:104], v[99:100], v[97:98], -v[103:104]
	v_mul_f64 v[99:100], v[99:100], v[105:106]
	v_add_f64 v[29:30], v[29:30], -v[103:104]
	v_fma_f64 v[99:100], v[101:102], v[97:98], v[99:100]
	v_add_f64 v[31:32], v[31:32], -v[99:100]
	ds_read2_b64 v[99:102], v125 offset0:102 offset1:103
	s_waitcnt lgkmcnt(0)
	v_mul_f64 v[103:104], v[101:102], v[105:106]
	v_fma_f64 v[103:104], v[99:100], v[97:98], -v[103:104]
	v_mul_f64 v[99:100], v[99:100], v[105:106]
	v_add_f64 v[25:26], v[25:26], -v[103:104]
	v_fma_f64 v[99:100], v[101:102], v[97:98], v[99:100]
	v_add_f64 v[27:28], v[27:28], -v[99:100]
	;; [unrolled: 8-line block ×8, first 2 shown]
	ds_read2_b64 v[99:102], v125 offset0:116 offset1:117
	buffer_load_dword v37, off, s[20:23], 0 ; 4-byte Folded Reload
	buffer_load_dword v38, off, s[20:23], 0 offset:4 ; 4-byte Folded Reload
	buffer_load_dword v39, off, s[20:23], 0 offset:8 ; 4-byte Folded Reload
	;; [unrolled: 1-line block ×3, first 2 shown]
	s_waitcnt lgkmcnt(0)
	v_mul_f64 v[103:104], v[101:102], v[105:106]
	v_fma_f64 v[103:104], v[99:100], v[97:98], -v[103:104]
	v_mul_f64 v[99:100], v[99:100], v[105:106]
	v_fma_f64 v[99:100], v[101:102], v[97:98], v[99:100]
	s_waitcnt vmcnt(2)
	v_add_f64 v[37:38], v[37:38], -v[103:104]
	v_mov_b32_e32 v104, v98
	s_waitcnt vmcnt(0)
	v_add_f64 v[39:40], v[39:40], -v[99:100]
	v_mov_b32_e32 v103, v97
	buffer_store_dword v37, off, s[20:23], 0 ; 4-byte Folded Spill
	s_nop 0
	buffer_store_dword v38, off, s[20:23], 0 offset:4 ; 4-byte Folded Spill
	buffer_store_dword v39, off, s[20:23], 0 offset:8 ; 4-byte Folded Spill
	;; [unrolled: 1-line block ×4, first 2 shown]
	s_nop 0
	buffer_store_dword v104, off, s[20:23], 0 offset:292 ; 4-byte Folded Spill
	buffer_store_dword v105, off, s[20:23], 0 offset:296 ; 4-byte Folded Spill
	;; [unrolled: 1-line block ×3, first 2 shown]
.LBB117_154:
	s_or_b64 exec, exec, s[2:3]
	v_cmp_eq_u32_e32 vcc, 17, v0
	s_waitcnt vmcnt(0)
	s_barrier
	s_and_saveexec_b64 s[4:5], vcc
	s_cbranch_execz .LBB117_161
; %bb.155:
	buffer_load_dword v37, off, s[20:23], 0 offset:272 ; 4-byte Folded Reload
	buffer_load_dword v38, off, s[20:23], 0 offset:276 ; 4-byte Folded Reload
	;; [unrolled: 1-line block ×4, first 2 shown]
	s_waitcnt vmcnt(0)
	ds_write2_b64 v127, v[37:38], v[39:40] offset1:1
	buffer_load_dword v37, off, s[20:23], 0 offset:256 ; 4-byte Folded Reload
	buffer_load_dword v38, off, s[20:23], 0 offset:260 ; 4-byte Folded Reload
	buffer_load_dword v39, off, s[20:23], 0 offset:264 ; 4-byte Folded Reload
	buffer_load_dword v40, off, s[20:23], 0 offset:268 ; 4-byte Folded Reload
	s_waitcnt vmcnt(0)
	ds_write2_b64 v125, v[37:38], v[39:40] offset0:36 offset1:37
	buffer_load_dword v37, off, s[20:23], 0 offset:240 ; 4-byte Folded Reload
	buffer_load_dword v38, off, s[20:23], 0 offset:244 ; 4-byte Folded Reload
	buffer_load_dword v39, off, s[20:23], 0 offset:248 ; 4-byte Folded Reload
	buffer_load_dword v40, off, s[20:23], 0 offset:252 ; 4-byte Folded Reload
	s_waitcnt vmcnt(0)
	ds_write2_b64 v125, v[37:38], v[39:40] offset0:38 offset1:39
	;; [unrolled: 6-line block ×14, first 2 shown]
	ds_write2_b64 v125, v[93:94], v[95:96] offset0:64 offset1:65
	ds_write2_b64 v125, v[109:110], v[111:112] offset0:66 offset1:67
	;; [unrolled: 1-line block ×16, first 2 shown]
	buffer_load_dword v37, off, s[20:23], 0 offset:32 ; 4-byte Folded Reload
	buffer_load_dword v38, off, s[20:23], 0 offset:36 ; 4-byte Folded Reload
	;; [unrolled: 1-line block ×4, first 2 shown]
	s_waitcnt vmcnt(0)
	ds_write2_b64 v125, v[37:38], v[39:40] offset0:96 offset1:97
	buffer_load_dword v33, off, s[20:23], 0 offset:16 ; 4-byte Folded Reload
	buffer_load_dword v34, off, s[20:23], 0 offset:20 ; 4-byte Folded Reload
	buffer_load_dword v35, off, s[20:23], 0 offset:24 ; 4-byte Folded Reload
	buffer_load_dword v36, off, s[20:23], 0 offset:28 ; 4-byte Folded Reload
	s_waitcnt vmcnt(0)
	ds_write2_b64 v125, v[33:34], v[35:36] offset0:98 offset1:99
	ds_write2_b64 v125, v[29:30], v[31:32] offset0:100 offset1:101
	;; [unrolled: 1-line block ×9, first 2 shown]
	buffer_load_dword v37, off, s[20:23], 0 ; 4-byte Folded Reload
	buffer_load_dword v38, off, s[20:23], 0 offset:4 ; 4-byte Folded Reload
	buffer_load_dword v39, off, s[20:23], 0 offset:8 ; 4-byte Folded Reload
	;; [unrolled: 1-line block ×3, first 2 shown]
	s_waitcnt vmcnt(0)
	ds_write2_b64 v125, v[37:38], v[39:40] offset0:116 offset1:117
	ds_read2_b64 v[97:100], v127 offset1:1
	s_waitcnt lgkmcnt(0)
	v_cmp_neq_f64_e32 vcc, 0, v[97:98]
	v_cmp_neq_f64_e64 s[2:3], 0, v[99:100]
	s_or_b64 s[2:3], vcc, s[2:3]
	s_and_b64 exec, exec, s[2:3]
	s_cbranch_execz .LBB117_161
; %bb.156:
	v_cmp_ngt_f64_e64 s[2:3], |v[97:98]|, |v[99:100]|
                                        ; implicit-def: $vgpr101_vgpr102
	s_and_saveexec_b64 s[6:7], s[2:3]
	s_xor_b64 s[2:3], exec, s[6:7]
                                        ; implicit-def: $vgpr103_vgpr104
	s_cbranch_execz .LBB117_158
; %bb.157:
	v_div_scale_f64 v[101:102], s[6:7], v[99:100], v[99:100], v[97:98]
	v_rcp_f64_e32 v[103:104], v[101:102]
	v_fma_f64 v[105:106], -v[101:102], v[103:104], 1.0
	v_fma_f64 v[103:104], v[103:104], v[105:106], v[103:104]
	v_div_scale_f64 v[105:106], vcc, v[97:98], v[99:100], v[97:98]
	v_fma_f64 v[107:108], -v[101:102], v[103:104], 1.0
	v_fma_f64 v[103:104], v[103:104], v[107:108], v[103:104]
	v_mul_f64 v[107:108], v[105:106], v[103:104]
	v_fma_f64 v[101:102], -v[101:102], v[107:108], v[105:106]
	v_div_fmas_f64 v[101:102], v[101:102], v[103:104], v[107:108]
	v_div_fixup_f64 v[101:102], v[101:102], v[99:100], v[97:98]
	v_fma_f64 v[97:98], v[97:98], v[101:102], v[99:100]
	v_div_scale_f64 v[99:100], s[6:7], v[97:98], v[97:98], 1.0
	v_div_scale_f64 v[107:108], vcc, 1.0, v[97:98], 1.0
	v_rcp_f64_e32 v[103:104], v[99:100]
	v_fma_f64 v[105:106], -v[99:100], v[103:104], 1.0
	v_fma_f64 v[103:104], v[103:104], v[105:106], v[103:104]
	v_fma_f64 v[105:106], -v[99:100], v[103:104], 1.0
	v_fma_f64 v[103:104], v[103:104], v[105:106], v[103:104]
	v_mul_f64 v[105:106], v[107:108], v[103:104]
	v_fma_f64 v[99:100], -v[99:100], v[105:106], v[107:108]
	v_div_fmas_f64 v[99:100], v[99:100], v[103:104], v[105:106]
	v_div_fixup_f64 v[103:104], v[99:100], v[97:98], 1.0
                                        ; implicit-def: $vgpr97_vgpr98
	v_mul_f64 v[101:102], v[101:102], v[103:104]
	v_xor_b32_e32 v104, 0x80000000, v104
.LBB117_158:
	s_andn2_saveexec_b64 s[2:3], s[2:3]
	s_cbranch_execz .LBB117_160
; %bb.159:
	v_div_scale_f64 v[101:102], s[6:7], v[97:98], v[97:98], v[99:100]
	v_rcp_f64_e32 v[103:104], v[101:102]
	v_fma_f64 v[105:106], -v[101:102], v[103:104], 1.0
	v_fma_f64 v[103:104], v[103:104], v[105:106], v[103:104]
	v_div_scale_f64 v[105:106], vcc, v[99:100], v[97:98], v[99:100]
	v_fma_f64 v[107:108], -v[101:102], v[103:104], 1.0
	v_fma_f64 v[103:104], v[103:104], v[107:108], v[103:104]
	v_mul_f64 v[107:108], v[105:106], v[103:104]
	v_fma_f64 v[101:102], -v[101:102], v[107:108], v[105:106]
	v_div_fmas_f64 v[101:102], v[101:102], v[103:104], v[107:108]
	v_div_fixup_f64 v[103:104], v[101:102], v[97:98], v[99:100]
	v_fma_f64 v[97:98], v[99:100], v[103:104], v[97:98]
	v_div_scale_f64 v[99:100], s[6:7], v[97:98], v[97:98], 1.0
	v_div_scale_f64 v[107:108], vcc, 1.0, v[97:98], 1.0
	v_rcp_f64_e32 v[101:102], v[99:100]
	v_fma_f64 v[105:106], -v[99:100], v[101:102], 1.0
	v_fma_f64 v[101:102], v[101:102], v[105:106], v[101:102]
	v_fma_f64 v[105:106], -v[99:100], v[101:102], 1.0
	v_fma_f64 v[101:102], v[101:102], v[105:106], v[101:102]
	v_mul_f64 v[105:106], v[107:108], v[101:102]
	v_fma_f64 v[99:100], -v[99:100], v[105:106], v[107:108]
	v_div_fmas_f64 v[99:100], v[99:100], v[101:102], v[105:106]
	v_div_fixup_f64 v[101:102], v[99:100], v[97:98], 1.0
	v_mul_f64 v[103:104], v[103:104], -v[101:102]
.LBB117_160:
	s_or_b64 exec, exec, s[2:3]
	ds_write2_b64 v127, v[101:102], v[103:104] offset1:1
.LBB117_161:
	s_or_b64 exec, exec, s[4:5]
	s_waitcnt lgkmcnt(0)
	s_barrier
	ds_read2_b64 v[37:40], v127 offset1:1
	v_cmp_lt_u32_e32 vcc, 17, v0
	s_waitcnt lgkmcnt(0)
	buffer_store_dword v37, off, s[20:23], 0 offset:1296 ; 4-byte Folded Spill
	s_nop 0
	buffer_store_dword v38, off, s[20:23], 0 offset:1300 ; 4-byte Folded Spill
	buffer_store_dword v39, off, s[20:23], 0 offset:1304 ; 4-byte Folded Spill
	;; [unrolled: 1-line block ×3, first 2 shown]
	s_and_saveexec_b64 s[2:3], vcc
	s_cbranch_execz .LBB117_163
; %bb.162:
	buffer_load_dword v103, off, s[20:23], 0 offset:272 ; 4-byte Folded Reload
	buffer_load_dword v104, off, s[20:23], 0 offset:276 ; 4-byte Folded Reload
	;; [unrolled: 1-line block ×8, first 2 shown]
	s_waitcnt vmcnt(2)
	v_mul_f64 v[99:100], v[37:38], v[105:106]
	s_waitcnt vmcnt(0)
	v_mul_f64 v[97:98], v[39:40], v[105:106]
	v_fma_f64 v[105:106], v[39:40], v[103:104], v[99:100]
	ds_read2_b64 v[99:102], v125 offset0:36 offset1:37
	v_fma_f64 v[97:98], v[37:38], v[103:104], -v[97:98]
	buffer_load_dword v37, off, s[20:23], 0 offset:256 ; 4-byte Folded Reload
	buffer_load_dword v38, off, s[20:23], 0 offset:260 ; 4-byte Folded Reload
	buffer_load_dword v39, off, s[20:23], 0 offset:264 ; 4-byte Folded Reload
	buffer_load_dword v40, off, s[20:23], 0 offset:268 ; 4-byte Folded Reload
	s_waitcnt lgkmcnt(0)
	v_mul_f64 v[103:104], v[101:102], v[105:106]
	v_fma_f64 v[103:104], v[99:100], v[97:98], -v[103:104]
	v_mul_f64 v[99:100], v[99:100], v[105:106]
	v_fma_f64 v[99:100], v[101:102], v[97:98], v[99:100]
	s_waitcnt vmcnt(2)
	v_add_f64 v[37:38], v[37:38], -v[103:104]
	s_waitcnt vmcnt(0)
	v_add_f64 v[39:40], v[39:40], -v[99:100]
	buffer_store_dword v37, off, s[20:23], 0 offset:256 ; 4-byte Folded Spill
	s_nop 0
	buffer_store_dword v38, off, s[20:23], 0 offset:260 ; 4-byte Folded Spill
	buffer_store_dword v39, off, s[20:23], 0 offset:264 ; 4-byte Folded Spill
	buffer_store_dword v40, off, s[20:23], 0 offset:268 ; 4-byte Folded Spill
	ds_read2_b64 v[99:102], v125 offset0:38 offset1:39
	buffer_load_dword v37, off, s[20:23], 0 offset:240 ; 4-byte Folded Reload
	buffer_load_dword v38, off, s[20:23], 0 offset:244 ; 4-byte Folded Reload
	buffer_load_dword v39, off, s[20:23], 0 offset:248 ; 4-byte Folded Reload
	buffer_load_dword v40, off, s[20:23], 0 offset:252 ; 4-byte Folded Reload
	s_waitcnt lgkmcnt(0)
	v_mul_f64 v[103:104], v[101:102], v[105:106]
	v_fma_f64 v[103:104], v[99:100], v[97:98], -v[103:104]
	v_mul_f64 v[99:100], v[99:100], v[105:106]
	v_fma_f64 v[99:100], v[101:102], v[97:98], v[99:100]
	s_waitcnt vmcnt(2)
	v_add_f64 v[37:38], v[37:38], -v[103:104]
	s_waitcnt vmcnt(0)
	v_add_f64 v[39:40], v[39:40], -v[99:100]
	buffer_store_dword v37, off, s[20:23], 0 offset:240 ; 4-byte Folded Spill
	s_nop 0
	buffer_store_dword v38, off, s[20:23], 0 offset:244 ; 4-byte Folded Spill
	buffer_store_dword v39, off, s[20:23], 0 offset:248 ; 4-byte Folded Spill
	buffer_store_dword v40, off, s[20:23], 0 offset:252 ; 4-byte Folded Spill
	ds_read2_b64 v[99:102], v125 offset0:40 offset1:41
	;; [unrolled: 19-line block ×14, first 2 shown]
	s_waitcnt lgkmcnt(0)
	v_mul_f64 v[103:104], v[101:102], v[105:106]
	v_fma_f64 v[103:104], v[99:100], v[97:98], -v[103:104]
	v_mul_f64 v[99:100], v[99:100], v[105:106]
	v_add_f64 v[93:94], v[93:94], -v[103:104]
	v_fma_f64 v[99:100], v[101:102], v[97:98], v[99:100]
	v_add_f64 v[95:96], v[95:96], -v[99:100]
	ds_read2_b64 v[99:102], v125 offset0:66 offset1:67
	s_waitcnt lgkmcnt(0)
	v_mul_f64 v[103:104], v[101:102], v[105:106]
	v_fma_f64 v[103:104], v[99:100], v[97:98], -v[103:104]
	v_mul_f64 v[99:100], v[99:100], v[105:106]
	v_add_f64 v[109:110], v[109:110], -v[103:104]
	v_fma_f64 v[99:100], v[101:102], v[97:98], v[99:100]
	v_add_f64 v[111:112], v[111:112], -v[99:100]
	ds_read2_b64 v[99:102], v125 offset0:68 offset1:69
	;; [unrolled: 8-line block ×16, first 2 shown]
	buffer_load_dword v37, off, s[20:23], 0 offset:32 ; 4-byte Folded Reload
	buffer_load_dword v38, off, s[20:23], 0 offset:36 ; 4-byte Folded Reload
	;; [unrolled: 1-line block ×4, first 2 shown]
	s_waitcnt lgkmcnt(0)
	v_mul_f64 v[103:104], v[101:102], v[105:106]
	v_fma_f64 v[103:104], v[99:100], v[97:98], -v[103:104]
	v_mul_f64 v[99:100], v[99:100], v[105:106]
	v_fma_f64 v[99:100], v[101:102], v[97:98], v[99:100]
	s_waitcnt vmcnt(2)
	v_add_f64 v[37:38], v[37:38], -v[103:104]
	s_waitcnt vmcnt(0)
	v_add_f64 v[39:40], v[39:40], -v[99:100]
	buffer_store_dword v37, off, s[20:23], 0 offset:32 ; 4-byte Folded Spill
	s_nop 0
	buffer_store_dword v38, off, s[20:23], 0 offset:36 ; 4-byte Folded Spill
	buffer_store_dword v39, off, s[20:23], 0 offset:40 ; 4-byte Folded Spill
	;; [unrolled: 1-line block ×3, first 2 shown]
	ds_read2_b64 v[99:102], v125 offset0:98 offset1:99
	buffer_load_dword v33, off, s[20:23], 0 offset:16 ; 4-byte Folded Reload
	buffer_load_dword v34, off, s[20:23], 0 offset:20 ; 4-byte Folded Reload
	buffer_load_dword v35, off, s[20:23], 0 offset:24 ; 4-byte Folded Reload
	buffer_load_dword v36, off, s[20:23], 0 offset:28 ; 4-byte Folded Reload
	s_waitcnt lgkmcnt(0)
	v_mul_f64 v[103:104], v[101:102], v[105:106]
	v_fma_f64 v[103:104], v[99:100], v[97:98], -v[103:104]
	v_mul_f64 v[99:100], v[99:100], v[105:106]
	v_fma_f64 v[99:100], v[101:102], v[97:98], v[99:100]
	s_waitcnt vmcnt(2)
	v_add_f64 v[33:34], v[33:34], -v[103:104]
	s_waitcnt vmcnt(0)
	v_add_f64 v[35:36], v[35:36], -v[99:100]
	buffer_store_dword v33, off, s[20:23], 0 offset:16 ; 4-byte Folded Spill
	s_nop 0
	buffer_store_dword v34, off, s[20:23], 0 offset:20 ; 4-byte Folded Spill
	buffer_store_dword v35, off, s[20:23], 0 offset:24 ; 4-byte Folded Spill
	;; [unrolled: 1-line block ×3, first 2 shown]
	ds_read2_b64 v[99:102], v125 offset0:100 offset1:101
	s_waitcnt lgkmcnt(0)
	v_mul_f64 v[103:104], v[101:102], v[105:106]
	v_fma_f64 v[103:104], v[99:100], v[97:98], -v[103:104]
	v_mul_f64 v[99:100], v[99:100], v[105:106]
	v_add_f64 v[29:30], v[29:30], -v[103:104]
	v_fma_f64 v[99:100], v[101:102], v[97:98], v[99:100]
	v_add_f64 v[31:32], v[31:32], -v[99:100]
	ds_read2_b64 v[99:102], v125 offset0:102 offset1:103
	s_waitcnt lgkmcnt(0)
	v_mul_f64 v[103:104], v[101:102], v[105:106]
	v_fma_f64 v[103:104], v[99:100], v[97:98], -v[103:104]
	v_mul_f64 v[99:100], v[99:100], v[105:106]
	v_add_f64 v[25:26], v[25:26], -v[103:104]
	v_fma_f64 v[99:100], v[101:102], v[97:98], v[99:100]
	v_add_f64 v[27:28], v[27:28], -v[99:100]
	;; [unrolled: 8-line block ×8, first 2 shown]
	ds_read2_b64 v[99:102], v125 offset0:116 offset1:117
	buffer_load_dword v37, off, s[20:23], 0 ; 4-byte Folded Reload
	buffer_load_dword v38, off, s[20:23], 0 offset:4 ; 4-byte Folded Reload
	buffer_load_dword v39, off, s[20:23], 0 offset:8 ; 4-byte Folded Reload
	;; [unrolled: 1-line block ×3, first 2 shown]
	s_waitcnt lgkmcnt(0)
	v_mul_f64 v[103:104], v[101:102], v[105:106]
	v_fma_f64 v[103:104], v[99:100], v[97:98], -v[103:104]
	v_mul_f64 v[99:100], v[99:100], v[105:106]
	v_fma_f64 v[99:100], v[101:102], v[97:98], v[99:100]
	s_waitcnt vmcnt(2)
	v_add_f64 v[37:38], v[37:38], -v[103:104]
	v_mov_b32_e32 v104, v98
	s_waitcnt vmcnt(0)
	v_add_f64 v[39:40], v[39:40], -v[99:100]
	v_mov_b32_e32 v103, v97
	buffer_store_dword v37, off, s[20:23], 0 ; 4-byte Folded Spill
	s_nop 0
	buffer_store_dword v38, off, s[20:23], 0 offset:4 ; 4-byte Folded Spill
	buffer_store_dword v39, off, s[20:23], 0 offset:8 ; 4-byte Folded Spill
	;; [unrolled: 1-line block ×4, first 2 shown]
	s_nop 0
	buffer_store_dword v104, off, s[20:23], 0 offset:276 ; 4-byte Folded Spill
	buffer_store_dword v105, off, s[20:23], 0 offset:280 ; 4-byte Folded Spill
	buffer_store_dword v106, off, s[20:23], 0 offset:284 ; 4-byte Folded Spill
.LBB117_163:
	s_or_b64 exec, exec, s[2:3]
	v_cmp_eq_u32_e32 vcc, 18, v0
	s_waitcnt vmcnt(0)
	s_barrier
	s_and_saveexec_b64 s[4:5], vcc
	s_cbranch_execz .LBB117_170
; %bb.164:
	buffer_load_dword v37, off, s[20:23], 0 offset:256 ; 4-byte Folded Reload
	buffer_load_dword v38, off, s[20:23], 0 offset:260 ; 4-byte Folded Reload
	buffer_load_dword v39, off, s[20:23], 0 offset:264 ; 4-byte Folded Reload
	buffer_load_dword v40, off, s[20:23], 0 offset:268 ; 4-byte Folded Reload
	s_waitcnt vmcnt(0)
	ds_write2_b64 v127, v[37:38], v[39:40] offset1:1
	buffer_load_dword v37, off, s[20:23], 0 offset:240 ; 4-byte Folded Reload
	buffer_load_dword v38, off, s[20:23], 0 offset:244 ; 4-byte Folded Reload
	buffer_load_dword v39, off, s[20:23], 0 offset:248 ; 4-byte Folded Reload
	buffer_load_dword v40, off, s[20:23], 0 offset:252 ; 4-byte Folded Reload
	s_waitcnt vmcnt(0)
	ds_write2_b64 v125, v[37:38], v[39:40] offset0:38 offset1:39
	buffer_load_dword v37, off, s[20:23], 0 offset:224 ; 4-byte Folded Reload
	buffer_load_dword v38, off, s[20:23], 0 offset:228 ; 4-byte Folded Reload
	buffer_load_dword v39, off, s[20:23], 0 offset:232 ; 4-byte Folded Reload
	buffer_load_dword v40, off, s[20:23], 0 offset:236 ; 4-byte Folded Reload
	s_waitcnt vmcnt(0)
	ds_write2_b64 v125, v[37:38], v[39:40] offset0:40 offset1:41
	;; [unrolled: 6-line block ×13, first 2 shown]
	ds_write2_b64 v125, v[93:94], v[95:96] offset0:64 offset1:65
	ds_write2_b64 v125, v[109:110], v[111:112] offset0:66 offset1:67
	;; [unrolled: 1-line block ×16, first 2 shown]
	buffer_load_dword v37, off, s[20:23], 0 offset:32 ; 4-byte Folded Reload
	buffer_load_dword v38, off, s[20:23], 0 offset:36 ; 4-byte Folded Reload
	;; [unrolled: 1-line block ×4, first 2 shown]
	s_waitcnt vmcnt(0)
	ds_write2_b64 v125, v[37:38], v[39:40] offset0:96 offset1:97
	buffer_load_dword v33, off, s[20:23], 0 offset:16 ; 4-byte Folded Reload
	buffer_load_dword v34, off, s[20:23], 0 offset:20 ; 4-byte Folded Reload
	;; [unrolled: 1-line block ×4, first 2 shown]
	s_waitcnt vmcnt(0)
	ds_write2_b64 v125, v[33:34], v[35:36] offset0:98 offset1:99
	ds_write2_b64 v125, v[29:30], v[31:32] offset0:100 offset1:101
	;; [unrolled: 1-line block ×9, first 2 shown]
	buffer_load_dword v37, off, s[20:23], 0 ; 4-byte Folded Reload
	buffer_load_dword v38, off, s[20:23], 0 offset:4 ; 4-byte Folded Reload
	buffer_load_dword v39, off, s[20:23], 0 offset:8 ; 4-byte Folded Reload
	;; [unrolled: 1-line block ×3, first 2 shown]
	s_waitcnt vmcnt(0)
	ds_write2_b64 v125, v[37:38], v[39:40] offset0:116 offset1:117
	ds_read2_b64 v[97:100], v127 offset1:1
	s_waitcnt lgkmcnt(0)
	v_cmp_neq_f64_e32 vcc, 0, v[97:98]
	v_cmp_neq_f64_e64 s[2:3], 0, v[99:100]
	s_or_b64 s[2:3], vcc, s[2:3]
	s_and_b64 exec, exec, s[2:3]
	s_cbranch_execz .LBB117_170
; %bb.165:
	v_cmp_ngt_f64_e64 s[2:3], |v[97:98]|, |v[99:100]|
                                        ; implicit-def: $vgpr101_vgpr102
	s_and_saveexec_b64 s[6:7], s[2:3]
	s_xor_b64 s[2:3], exec, s[6:7]
                                        ; implicit-def: $vgpr103_vgpr104
	s_cbranch_execz .LBB117_167
; %bb.166:
	v_div_scale_f64 v[101:102], s[6:7], v[99:100], v[99:100], v[97:98]
	v_rcp_f64_e32 v[103:104], v[101:102]
	v_fma_f64 v[105:106], -v[101:102], v[103:104], 1.0
	v_fma_f64 v[103:104], v[103:104], v[105:106], v[103:104]
	v_div_scale_f64 v[105:106], vcc, v[97:98], v[99:100], v[97:98]
	v_fma_f64 v[107:108], -v[101:102], v[103:104], 1.0
	v_fma_f64 v[103:104], v[103:104], v[107:108], v[103:104]
	v_mul_f64 v[107:108], v[105:106], v[103:104]
	v_fma_f64 v[101:102], -v[101:102], v[107:108], v[105:106]
	v_div_fmas_f64 v[101:102], v[101:102], v[103:104], v[107:108]
	v_div_fixup_f64 v[101:102], v[101:102], v[99:100], v[97:98]
	v_fma_f64 v[97:98], v[97:98], v[101:102], v[99:100]
	v_div_scale_f64 v[99:100], s[6:7], v[97:98], v[97:98], 1.0
	v_div_scale_f64 v[107:108], vcc, 1.0, v[97:98], 1.0
	v_rcp_f64_e32 v[103:104], v[99:100]
	v_fma_f64 v[105:106], -v[99:100], v[103:104], 1.0
	v_fma_f64 v[103:104], v[103:104], v[105:106], v[103:104]
	v_fma_f64 v[105:106], -v[99:100], v[103:104], 1.0
	v_fma_f64 v[103:104], v[103:104], v[105:106], v[103:104]
	v_mul_f64 v[105:106], v[107:108], v[103:104]
	v_fma_f64 v[99:100], -v[99:100], v[105:106], v[107:108]
	v_div_fmas_f64 v[99:100], v[99:100], v[103:104], v[105:106]
	v_div_fixup_f64 v[103:104], v[99:100], v[97:98], 1.0
                                        ; implicit-def: $vgpr97_vgpr98
	v_mul_f64 v[101:102], v[101:102], v[103:104]
	v_xor_b32_e32 v104, 0x80000000, v104
.LBB117_167:
	s_andn2_saveexec_b64 s[2:3], s[2:3]
	s_cbranch_execz .LBB117_169
; %bb.168:
	v_div_scale_f64 v[101:102], s[6:7], v[97:98], v[97:98], v[99:100]
	v_rcp_f64_e32 v[103:104], v[101:102]
	v_fma_f64 v[105:106], -v[101:102], v[103:104], 1.0
	v_fma_f64 v[103:104], v[103:104], v[105:106], v[103:104]
	v_div_scale_f64 v[105:106], vcc, v[99:100], v[97:98], v[99:100]
	v_fma_f64 v[107:108], -v[101:102], v[103:104], 1.0
	v_fma_f64 v[103:104], v[103:104], v[107:108], v[103:104]
	v_mul_f64 v[107:108], v[105:106], v[103:104]
	v_fma_f64 v[101:102], -v[101:102], v[107:108], v[105:106]
	v_div_fmas_f64 v[101:102], v[101:102], v[103:104], v[107:108]
	v_div_fixup_f64 v[103:104], v[101:102], v[97:98], v[99:100]
	v_fma_f64 v[97:98], v[99:100], v[103:104], v[97:98]
	v_div_scale_f64 v[99:100], s[6:7], v[97:98], v[97:98], 1.0
	v_div_scale_f64 v[107:108], vcc, 1.0, v[97:98], 1.0
	v_rcp_f64_e32 v[101:102], v[99:100]
	v_fma_f64 v[105:106], -v[99:100], v[101:102], 1.0
	v_fma_f64 v[101:102], v[101:102], v[105:106], v[101:102]
	v_fma_f64 v[105:106], -v[99:100], v[101:102], 1.0
	v_fma_f64 v[101:102], v[101:102], v[105:106], v[101:102]
	v_mul_f64 v[105:106], v[107:108], v[101:102]
	v_fma_f64 v[99:100], -v[99:100], v[105:106], v[107:108]
	v_div_fmas_f64 v[99:100], v[99:100], v[101:102], v[105:106]
	v_div_fixup_f64 v[101:102], v[99:100], v[97:98], 1.0
	v_mul_f64 v[103:104], v[103:104], -v[101:102]
.LBB117_169:
	s_or_b64 exec, exec, s[2:3]
	ds_write2_b64 v127, v[101:102], v[103:104] offset1:1
.LBB117_170:
	s_or_b64 exec, exec, s[4:5]
	s_waitcnt lgkmcnt(0)
	s_barrier
	ds_read2_b64 v[37:40], v127 offset1:1
	v_cmp_lt_u32_e32 vcc, 18, v0
	s_waitcnt lgkmcnt(0)
	buffer_store_dword v37, off, s[20:23], 0 offset:1312 ; 4-byte Folded Spill
	s_nop 0
	buffer_store_dword v38, off, s[20:23], 0 offset:1316 ; 4-byte Folded Spill
	buffer_store_dword v39, off, s[20:23], 0 offset:1320 ; 4-byte Folded Spill
	;; [unrolled: 1-line block ×3, first 2 shown]
	s_and_saveexec_b64 s[2:3], vcc
	s_cbranch_execz .LBB117_172
; %bb.171:
	buffer_load_dword v103, off, s[20:23], 0 offset:256 ; 4-byte Folded Reload
	buffer_load_dword v104, off, s[20:23], 0 offset:260 ; 4-byte Folded Reload
	;; [unrolled: 1-line block ×8, first 2 shown]
	s_waitcnt vmcnt(2)
	v_mul_f64 v[99:100], v[37:38], v[105:106]
	s_waitcnt vmcnt(0)
	v_mul_f64 v[97:98], v[39:40], v[105:106]
	v_fma_f64 v[105:106], v[39:40], v[103:104], v[99:100]
	ds_read2_b64 v[99:102], v125 offset0:38 offset1:39
	v_fma_f64 v[97:98], v[37:38], v[103:104], -v[97:98]
	buffer_load_dword v37, off, s[20:23], 0 offset:240 ; 4-byte Folded Reload
	buffer_load_dword v38, off, s[20:23], 0 offset:244 ; 4-byte Folded Reload
	buffer_load_dword v39, off, s[20:23], 0 offset:248 ; 4-byte Folded Reload
	buffer_load_dword v40, off, s[20:23], 0 offset:252 ; 4-byte Folded Reload
	s_waitcnt lgkmcnt(0)
	v_mul_f64 v[103:104], v[101:102], v[105:106]
	v_fma_f64 v[103:104], v[99:100], v[97:98], -v[103:104]
	v_mul_f64 v[99:100], v[99:100], v[105:106]
	v_fma_f64 v[99:100], v[101:102], v[97:98], v[99:100]
	s_waitcnt vmcnt(2)
	v_add_f64 v[37:38], v[37:38], -v[103:104]
	s_waitcnt vmcnt(0)
	v_add_f64 v[39:40], v[39:40], -v[99:100]
	buffer_store_dword v37, off, s[20:23], 0 offset:240 ; 4-byte Folded Spill
	s_nop 0
	buffer_store_dword v38, off, s[20:23], 0 offset:244 ; 4-byte Folded Spill
	buffer_store_dword v39, off, s[20:23], 0 offset:248 ; 4-byte Folded Spill
	buffer_store_dword v40, off, s[20:23], 0 offset:252 ; 4-byte Folded Spill
	ds_read2_b64 v[99:102], v125 offset0:40 offset1:41
	buffer_load_dword v37, off, s[20:23], 0 offset:224 ; 4-byte Folded Reload
	buffer_load_dword v38, off, s[20:23], 0 offset:228 ; 4-byte Folded Reload
	buffer_load_dword v39, off, s[20:23], 0 offset:232 ; 4-byte Folded Reload
	buffer_load_dword v40, off, s[20:23], 0 offset:236 ; 4-byte Folded Reload
	s_waitcnt lgkmcnt(0)
	v_mul_f64 v[103:104], v[101:102], v[105:106]
	v_fma_f64 v[103:104], v[99:100], v[97:98], -v[103:104]
	v_mul_f64 v[99:100], v[99:100], v[105:106]
	v_fma_f64 v[99:100], v[101:102], v[97:98], v[99:100]
	s_waitcnt vmcnt(2)
	v_add_f64 v[37:38], v[37:38], -v[103:104]
	s_waitcnt vmcnt(0)
	v_add_f64 v[39:40], v[39:40], -v[99:100]
	buffer_store_dword v37, off, s[20:23], 0 offset:224 ; 4-byte Folded Spill
	s_nop 0
	buffer_store_dword v38, off, s[20:23], 0 offset:228 ; 4-byte Folded Spill
	buffer_store_dword v39, off, s[20:23], 0 offset:232 ; 4-byte Folded Spill
	buffer_store_dword v40, off, s[20:23], 0 offset:236 ; 4-byte Folded Spill
	ds_read2_b64 v[99:102], v125 offset0:42 offset1:43
	;; [unrolled: 19-line block ×13, first 2 shown]
	s_waitcnt lgkmcnt(0)
	v_mul_f64 v[103:104], v[101:102], v[105:106]
	v_fma_f64 v[103:104], v[99:100], v[97:98], -v[103:104]
	v_mul_f64 v[99:100], v[99:100], v[105:106]
	v_add_f64 v[93:94], v[93:94], -v[103:104]
	v_fma_f64 v[99:100], v[101:102], v[97:98], v[99:100]
	v_add_f64 v[95:96], v[95:96], -v[99:100]
	ds_read2_b64 v[99:102], v125 offset0:66 offset1:67
	s_waitcnt lgkmcnt(0)
	v_mul_f64 v[103:104], v[101:102], v[105:106]
	v_fma_f64 v[103:104], v[99:100], v[97:98], -v[103:104]
	v_mul_f64 v[99:100], v[99:100], v[105:106]
	v_add_f64 v[109:110], v[109:110], -v[103:104]
	v_fma_f64 v[99:100], v[101:102], v[97:98], v[99:100]
	v_add_f64 v[111:112], v[111:112], -v[99:100]
	ds_read2_b64 v[99:102], v125 offset0:68 offset1:69
	;; [unrolled: 8-line block ×16, first 2 shown]
	buffer_load_dword v37, off, s[20:23], 0 offset:32 ; 4-byte Folded Reload
	buffer_load_dword v38, off, s[20:23], 0 offset:36 ; 4-byte Folded Reload
	buffer_load_dword v39, off, s[20:23], 0 offset:40 ; 4-byte Folded Reload
	buffer_load_dword v40, off, s[20:23], 0 offset:44 ; 4-byte Folded Reload
	s_waitcnt lgkmcnt(0)
	v_mul_f64 v[103:104], v[101:102], v[105:106]
	v_fma_f64 v[103:104], v[99:100], v[97:98], -v[103:104]
	v_mul_f64 v[99:100], v[99:100], v[105:106]
	v_fma_f64 v[99:100], v[101:102], v[97:98], v[99:100]
	s_waitcnt vmcnt(2)
	v_add_f64 v[37:38], v[37:38], -v[103:104]
	s_waitcnt vmcnt(0)
	v_add_f64 v[39:40], v[39:40], -v[99:100]
	buffer_store_dword v37, off, s[20:23], 0 offset:32 ; 4-byte Folded Spill
	s_nop 0
	buffer_store_dword v38, off, s[20:23], 0 offset:36 ; 4-byte Folded Spill
	buffer_store_dword v39, off, s[20:23], 0 offset:40 ; 4-byte Folded Spill
	;; [unrolled: 1-line block ×3, first 2 shown]
	ds_read2_b64 v[99:102], v125 offset0:98 offset1:99
	buffer_load_dword v33, off, s[20:23], 0 offset:16 ; 4-byte Folded Reload
	buffer_load_dword v34, off, s[20:23], 0 offset:20 ; 4-byte Folded Reload
	;; [unrolled: 1-line block ×4, first 2 shown]
	s_waitcnt lgkmcnt(0)
	v_mul_f64 v[103:104], v[101:102], v[105:106]
	v_fma_f64 v[103:104], v[99:100], v[97:98], -v[103:104]
	v_mul_f64 v[99:100], v[99:100], v[105:106]
	v_fma_f64 v[99:100], v[101:102], v[97:98], v[99:100]
	s_waitcnt vmcnt(2)
	v_add_f64 v[33:34], v[33:34], -v[103:104]
	s_waitcnt vmcnt(0)
	v_add_f64 v[35:36], v[35:36], -v[99:100]
	buffer_store_dword v33, off, s[20:23], 0 offset:16 ; 4-byte Folded Spill
	s_nop 0
	buffer_store_dword v34, off, s[20:23], 0 offset:20 ; 4-byte Folded Spill
	buffer_store_dword v35, off, s[20:23], 0 offset:24 ; 4-byte Folded Spill
	;; [unrolled: 1-line block ×3, first 2 shown]
	ds_read2_b64 v[99:102], v125 offset0:100 offset1:101
	s_waitcnt lgkmcnt(0)
	v_mul_f64 v[103:104], v[101:102], v[105:106]
	v_fma_f64 v[103:104], v[99:100], v[97:98], -v[103:104]
	v_mul_f64 v[99:100], v[99:100], v[105:106]
	v_add_f64 v[29:30], v[29:30], -v[103:104]
	v_fma_f64 v[99:100], v[101:102], v[97:98], v[99:100]
	v_add_f64 v[31:32], v[31:32], -v[99:100]
	ds_read2_b64 v[99:102], v125 offset0:102 offset1:103
	s_waitcnt lgkmcnt(0)
	v_mul_f64 v[103:104], v[101:102], v[105:106]
	v_fma_f64 v[103:104], v[99:100], v[97:98], -v[103:104]
	v_mul_f64 v[99:100], v[99:100], v[105:106]
	v_add_f64 v[25:26], v[25:26], -v[103:104]
	v_fma_f64 v[99:100], v[101:102], v[97:98], v[99:100]
	v_add_f64 v[27:28], v[27:28], -v[99:100]
	;; [unrolled: 8-line block ×8, first 2 shown]
	ds_read2_b64 v[99:102], v125 offset0:116 offset1:117
	buffer_load_dword v37, off, s[20:23], 0 ; 4-byte Folded Reload
	buffer_load_dword v38, off, s[20:23], 0 offset:4 ; 4-byte Folded Reload
	buffer_load_dword v39, off, s[20:23], 0 offset:8 ; 4-byte Folded Reload
	;; [unrolled: 1-line block ×3, first 2 shown]
	s_waitcnt lgkmcnt(0)
	v_mul_f64 v[103:104], v[101:102], v[105:106]
	v_fma_f64 v[103:104], v[99:100], v[97:98], -v[103:104]
	v_mul_f64 v[99:100], v[99:100], v[105:106]
	v_fma_f64 v[99:100], v[101:102], v[97:98], v[99:100]
	s_waitcnt vmcnt(2)
	v_add_f64 v[37:38], v[37:38], -v[103:104]
	v_mov_b32_e32 v104, v98
	s_waitcnt vmcnt(0)
	v_add_f64 v[39:40], v[39:40], -v[99:100]
	v_mov_b32_e32 v103, v97
	buffer_store_dword v37, off, s[20:23], 0 ; 4-byte Folded Spill
	s_nop 0
	buffer_store_dword v38, off, s[20:23], 0 offset:4 ; 4-byte Folded Spill
	buffer_store_dword v39, off, s[20:23], 0 offset:8 ; 4-byte Folded Spill
	buffer_store_dword v40, off, s[20:23], 0 offset:12 ; 4-byte Folded Spill
	buffer_store_dword v103, off, s[20:23], 0 offset:256 ; 4-byte Folded Spill
	s_nop 0
	buffer_store_dword v104, off, s[20:23], 0 offset:260 ; 4-byte Folded Spill
	buffer_store_dword v105, off, s[20:23], 0 offset:264 ; 4-byte Folded Spill
	;; [unrolled: 1-line block ×3, first 2 shown]
.LBB117_172:
	s_or_b64 exec, exec, s[2:3]
	v_cmp_eq_u32_e32 vcc, 19, v0
	s_waitcnt vmcnt(0)
	s_barrier
	s_and_saveexec_b64 s[4:5], vcc
	s_cbranch_execz .LBB117_179
; %bb.173:
	buffer_load_dword v37, off, s[20:23], 0 offset:240 ; 4-byte Folded Reload
	buffer_load_dword v38, off, s[20:23], 0 offset:244 ; 4-byte Folded Reload
	;; [unrolled: 1-line block ×4, first 2 shown]
	s_waitcnt vmcnt(0)
	ds_write2_b64 v127, v[37:38], v[39:40] offset1:1
	buffer_load_dword v37, off, s[20:23], 0 offset:224 ; 4-byte Folded Reload
	buffer_load_dword v38, off, s[20:23], 0 offset:228 ; 4-byte Folded Reload
	buffer_load_dword v39, off, s[20:23], 0 offset:232 ; 4-byte Folded Reload
	buffer_load_dword v40, off, s[20:23], 0 offset:236 ; 4-byte Folded Reload
	s_waitcnt vmcnt(0)
	ds_write2_b64 v125, v[37:38], v[39:40] offset0:40 offset1:41
	buffer_load_dword v37, off, s[20:23], 0 offset:208 ; 4-byte Folded Reload
	buffer_load_dword v38, off, s[20:23], 0 offset:212 ; 4-byte Folded Reload
	buffer_load_dword v39, off, s[20:23], 0 offset:216 ; 4-byte Folded Reload
	buffer_load_dword v40, off, s[20:23], 0 offset:220 ; 4-byte Folded Reload
	s_waitcnt vmcnt(0)
	ds_write2_b64 v125, v[37:38], v[39:40] offset0:42 offset1:43
	;; [unrolled: 6-line block ×12, first 2 shown]
	ds_write2_b64 v125, v[93:94], v[95:96] offset0:64 offset1:65
	ds_write2_b64 v125, v[109:110], v[111:112] offset0:66 offset1:67
	;; [unrolled: 1-line block ×16, first 2 shown]
	buffer_load_dword v37, off, s[20:23], 0 offset:32 ; 4-byte Folded Reload
	buffer_load_dword v38, off, s[20:23], 0 offset:36 ; 4-byte Folded Reload
	;; [unrolled: 1-line block ×4, first 2 shown]
	s_waitcnt vmcnt(0)
	ds_write2_b64 v125, v[37:38], v[39:40] offset0:96 offset1:97
	buffer_load_dword v33, off, s[20:23], 0 offset:16 ; 4-byte Folded Reload
	buffer_load_dword v34, off, s[20:23], 0 offset:20 ; 4-byte Folded Reload
	;; [unrolled: 1-line block ×4, first 2 shown]
	s_waitcnt vmcnt(0)
	ds_write2_b64 v125, v[33:34], v[35:36] offset0:98 offset1:99
	ds_write2_b64 v125, v[29:30], v[31:32] offset0:100 offset1:101
	;; [unrolled: 1-line block ×9, first 2 shown]
	buffer_load_dword v37, off, s[20:23], 0 ; 4-byte Folded Reload
	buffer_load_dword v38, off, s[20:23], 0 offset:4 ; 4-byte Folded Reload
	buffer_load_dword v39, off, s[20:23], 0 offset:8 ; 4-byte Folded Reload
	;; [unrolled: 1-line block ×3, first 2 shown]
	s_waitcnt vmcnt(0)
	ds_write2_b64 v125, v[37:38], v[39:40] offset0:116 offset1:117
	ds_read2_b64 v[97:100], v127 offset1:1
	s_waitcnt lgkmcnt(0)
	v_cmp_neq_f64_e32 vcc, 0, v[97:98]
	v_cmp_neq_f64_e64 s[2:3], 0, v[99:100]
	s_or_b64 s[2:3], vcc, s[2:3]
	s_and_b64 exec, exec, s[2:3]
	s_cbranch_execz .LBB117_179
; %bb.174:
	v_cmp_ngt_f64_e64 s[2:3], |v[97:98]|, |v[99:100]|
                                        ; implicit-def: $vgpr101_vgpr102
	s_and_saveexec_b64 s[6:7], s[2:3]
	s_xor_b64 s[2:3], exec, s[6:7]
                                        ; implicit-def: $vgpr103_vgpr104
	s_cbranch_execz .LBB117_176
; %bb.175:
	v_div_scale_f64 v[101:102], s[6:7], v[99:100], v[99:100], v[97:98]
	v_rcp_f64_e32 v[103:104], v[101:102]
	v_fma_f64 v[105:106], -v[101:102], v[103:104], 1.0
	v_fma_f64 v[103:104], v[103:104], v[105:106], v[103:104]
	v_div_scale_f64 v[105:106], vcc, v[97:98], v[99:100], v[97:98]
	v_fma_f64 v[107:108], -v[101:102], v[103:104], 1.0
	v_fma_f64 v[103:104], v[103:104], v[107:108], v[103:104]
	v_mul_f64 v[107:108], v[105:106], v[103:104]
	v_fma_f64 v[101:102], -v[101:102], v[107:108], v[105:106]
	v_div_fmas_f64 v[101:102], v[101:102], v[103:104], v[107:108]
	v_div_fixup_f64 v[101:102], v[101:102], v[99:100], v[97:98]
	v_fma_f64 v[97:98], v[97:98], v[101:102], v[99:100]
	v_div_scale_f64 v[99:100], s[6:7], v[97:98], v[97:98], 1.0
	v_div_scale_f64 v[107:108], vcc, 1.0, v[97:98], 1.0
	v_rcp_f64_e32 v[103:104], v[99:100]
	v_fma_f64 v[105:106], -v[99:100], v[103:104], 1.0
	v_fma_f64 v[103:104], v[103:104], v[105:106], v[103:104]
	v_fma_f64 v[105:106], -v[99:100], v[103:104], 1.0
	v_fma_f64 v[103:104], v[103:104], v[105:106], v[103:104]
	v_mul_f64 v[105:106], v[107:108], v[103:104]
	v_fma_f64 v[99:100], -v[99:100], v[105:106], v[107:108]
	v_div_fmas_f64 v[99:100], v[99:100], v[103:104], v[105:106]
	v_div_fixup_f64 v[103:104], v[99:100], v[97:98], 1.0
                                        ; implicit-def: $vgpr97_vgpr98
	v_mul_f64 v[101:102], v[101:102], v[103:104]
	v_xor_b32_e32 v104, 0x80000000, v104
.LBB117_176:
	s_andn2_saveexec_b64 s[2:3], s[2:3]
	s_cbranch_execz .LBB117_178
; %bb.177:
	v_div_scale_f64 v[101:102], s[6:7], v[97:98], v[97:98], v[99:100]
	v_rcp_f64_e32 v[103:104], v[101:102]
	v_fma_f64 v[105:106], -v[101:102], v[103:104], 1.0
	v_fma_f64 v[103:104], v[103:104], v[105:106], v[103:104]
	v_div_scale_f64 v[105:106], vcc, v[99:100], v[97:98], v[99:100]
	v_fma_f64 v[107:108], -v[101:102], v[103:104], 1.0
	v_fma_f64 v[103:104], v[103:104], v[107:108], v[103:104]
	v_mul_f64 v[107:108], v[105:106], v[103:104]
	v_fma_f64 v[101:102], -v[101:102], v[107:108], v[105:106]
	v_div_fmas_f64 v[101:102], v[101:102], v[103:104], v[107:108]
	v_div_fixup_f64 v[103:104], v[101:102], v[97:98], v[99:100]
	v_fma_f64 v[97:98], v[99:100], v[103:104], v[97:98]
	v_div_scale_f64 v[99:100], s[6:7], v[97:98], v[97:98], 1.0
	v_div_scale_f64 v[107:108], vcc, 1.0, v[97:98], 1.0
	v_rcp_f64_e32 v[101:102], v[99:100]
	v_fma_f64 v[105:106], -v[99:100], v[101:102], 1.0
	v_fma_f64 v[101:102], v[101:102], v[105:106], v[101:102]
	v_fma_f64 v[105:106], -v[99:100], v[101:102], 1.0
	v_fma_f64 v[101:102], v[101:102], v[105:106], v[101:102]
	v_mul_f64 v[105:106], v[107:108], v[101:102]
	v_fma_f64 v[99:100], -v[99:100], v[105:106], v[107:108]
	v_div_fmas_f64 v[99:100], v[99:100], v[101:102], v[105:106]
	v_div_fixup_f64 v[101:102], v[99:100], v[97:98], 1.0
	v_mul_f64 v[103:104], v[103:104], -v[101:102]
.LBB117_178:
	s_or_b64 exec, exec, s[2:3]
	ds_write2_b64 v127, v[101:102], v[103:104] offset1:1
.LBB117_179:
	s_or_b64 exec, exec, s[4:5]
	s_waitcnt lgkmcnt(0)
	s_barrier
	ds_read2_b64 v[37:40], v127 offset1:1
	v_cmp_lt_u32_e32 vcc, 19, v0
	s_waitcnt lgkmcnt(0)
	buffer_store_dword v37, off, s[20:23], 0 offset:1328 ; 4-byte Folded Spill
	s_nop 0
	buffer_store_dword v38, off, s[20:23], 0 offset:1332 ; 4-byte Folded Spill
	buffer_store_dword v39, off, s[20:23], 0 offset:1336 ; 4-byte Folded Spill
	;; [unrolled: 1-line block ×3, first 2 shown]
	s_and_saveexec_b64 s[2:3], vcc
	s_cbranch_execz .LBB117_181
; %bb.180:
	buffer_load_dword v103, off, s[20:23], 0 offset:240 ; 4-byte Folded Reload
	buffer_load_dword v104, off, s[20:23], 0 offset:244 ; 4-byte Folded Reload
	;; [unrolled: 1-line block ×8, first 2 shown]
	s_waitcnt vmcnt(2)
	v_mul_f64 v[99:100], v[37:38], v[105:106]
	s_waitcnt vmcnt(0)
	v_mul_f64 v[97:98], v[39:40], v[105:106]
	v_fma_f64 v[105:106], v[39:40], v[103:104], v[99:100]
	ds_read2_b64 v[99:102], v125 offset0:40 offset1:41
	v_fma_f64 v[97:98], v[37:38], v[103:104], -v[97:98]
	buffer_load_dword v37, off, s[20:23], 0 offset:224 ; 4-byte Folded Reload
	buffer_load_dword v38, off, s[20:23], 0 offset:228 ; 4-byte Folded Reload
	buffer_load_dword v39, off, s[20:23], 0 offset:232 ; 4-byte Folded Reload
	buffer_load_dword v40, off, s[20:23], 0 offset:236 ; 4-byte Folded Reload
	s_waitcnt lgkmcnt(0)
	v_mul_f64 v[103:104], v[101:102], v[105:106]
	v_fma_f64 v[103:104], v[99:100], v[97:98], -v[103:104]
	v_mul_f64 v[99:100], v[99:100], v[105:106]
	v_fma_f64 v[99:100], v[101:102], v[97:98], v[99:100]
	s_waitcnt vmcnt(2)
	v_add_f64 v[37:38], v[37:38], -v[103:104]
	s_waitcnt vmcnt(0)
	v_add_f64 v[39:40], v[39:40], -v[99:100]
	buffer_store_dword v37, off, s[20:23], 0 offset:224 ; 4-byte Folded Spill
	s_nop 0
	buffer_store_dword v38, off, s[20:23], 0 offset:228 ; 4-byte Folded Spill
	buffer_store_dword v39, off, s[20:23], 0 offset:232 ; 4-byte Folded Spill
	buffer_store_dword v40, off, s[20:23], 0 offset:236 ; 4-byte Folded Spill
	ds_read2_b64 v[99:102], v125 offset0:42 offset1:43
	buffer_load_dword v37, off, s[20:23], 0 offset:208 ; 4-byte Folded Reload
	buffer_load_dword v38, off, s[20:23], 0 offset:212 ; 4-byte Folded Reload
	buffer_load_dword v39, off, s[20:23], 0 offset:216 ; 4-byte Folded Reload
	buffer_load_dword v40, off, s[20:23], 0 offset:220 ; 4-byte Folded Reload
	s_waitcnt lgkmcnt(0)
	v_mul_f64 v[103:104], v[101:102], v[105:106]
	v_fma_f64 v[103:104], v[99:100], v[97:98], -v[103:104]
	v_mul_f64 v[99:100], v[99:100], v[105:106]
	v_fma_f64 v[99:100], v[101:102], v[97:98], v[99:100]
	s_waitcnt vmcnt(2)
	v_add_f64 v[37:38], v[37:38], -v[103:104]
	s_waitcnt vmcnt(0)
	v_add_f64 v[39:40], v[39:40], -v[99:100]
	buffer_store_dword v37, off, s[20:23], 0 offset:208 ; 4-byte Folded Spill
	s_nop 0
	buffer_store_dword v38, off, s[20:23], 0 offset:212 ; 4-byte Folded Spill
	buffer_store_dword v39, off, s[20:23], 0 offset:216 ; 4-byte Folded Spill
	buffer_store_dword v40, off, s[20:23], 0 offset:220 ; 4-byte Folded Spill
	ds_read2_b64 v[99:102], v125 offset0:44 offset1:45
	;; [unrolled: 19-line block ×12, first 2 shown]
	s_waitcnt lgkmcnt(0)
	v_mul_f64 v[103:104], v[101:102], v[105:106]
	v_fma_f64 v[103:104], v[99:100], v[97:98], -v[103:104]
	v_mul_f64 v[99:100], v[99:100], v[105:106]
	v_add_f64 v[93:94], v[93:94], -v[103:104]
	v_fma_f64 v[99:100], v[101:102], v[97:98], v[99:100]
	v_add_f64 v[95:96], v[95:96], -v[99:100]
	ds_read2_b64 v[99:102], v125 offset0:66 offset1:67
	s_waitcnt lgkmcnt(0)
	v_mul_f64 v[103:104], v[101:102], v[105:106]
	v_fma_f64 v[103:104], v[99:100], v[97:98], -v[103:104]
	v_mul_f64 v[99:100], v[99:100], v[105:106]
	v_add_f64 v[109:110], v[109:110], -v[103:104]
	v_fma_f64 v[99:100], v[101:102], v[97:98], v[99:100]
	v_add_f64 v[111:112], v[111:112], -v[99:100]
	ds_read2_b64 v[99:102], v125 offset0:68 offset1:69
	;; [unrolled: 8-line block ×16, first 2 shown]
	buffer_load_dword v37, off, s[20:23], 0 offset:32 ; 4-byte Folded Reload
	buffer_load_dword v38, off, s[20:23], 0 offset:36 ; 4-byte Folded Reload
	;; [unrolled: 1-line block ×4, first 2 shown]
	s_waitcnt lgkmcnt(0)
	v_mul_f64 v[103:104], v[101:102], v[105:106]
	v_fma_f64 v[103:104], v[99:100], v[97:98], -v[103:104]
	v_mul_f64 v[99:100], v[99:100], v[105:106]
	v_fma_f64 v[99:100], v[101:102], v[97:98], v[99:100]
	s_waitcnt vmcnt(2)
	v_add_f64 v[37:38], v[37:38], -v[103:104]
	s_waitcnt vmcnt(0)
	v_add_f64 v[39:40], v[39:40], -v[99:100]
	buffer_store_dword v37, off, s[20:23], 0 offset:32 ; 4-byte Folded Spill
	s_nop 0
	buffer_store_dword v38, off, s[20:23], 0 offset:36 ; 4-byte Folded Spill
	buffer_store_dword v39, off, s[20:23], 0 offset:40 ; 4-byte Folded Spill
	;; [unrolled: 1-line block ×3, first 2 shown]
	ds_read2_b64 v[99:102], v125 offset0:98 offset1:99
	buffer_load_dword v33, off, s[20:23], 0 offset:16 ; 4-byte Folded Reload
	buffer_load_dword v34, off, s[20:23], 0 offset:20 ; 4-byte Folded Reload
	buffer_load_dword v35, off, s[20:23], 0 offset:24 ; 4-byte Folded Reload
	buffer_load_dword v36, off, s[20:23], 0 offset:28 ; 4-byte Folded Reload
	s_waitcnt lgkmcnt(0)
	v_mul_f64 v[103:104], v[101:102], v[105:106]
	v_fma_f64 v[103:104], v[99:100], v[97:98], -v[103:104]
	v_mul_f64 v[99:100], v[99:100], v[105:106]
	v_fma_f64 v[99:100], v[101:102], v[97:98], v[99:100]
	s_waitcnt vmcnt(2)
	v_add_f64 v[33:34], v[33:34], -v[103:104]
	s_waitcnt vmcnt(0)
	v_add_f64 v[35:36], v[35:36], -v[99:100]
	buffer_store_dword v33, off, s[20:23], 0 offset:16 ; 4-byte Folded Spill
	s_nop 0
	buffer_store_dword v34, off, s[20:23], 0 offset:20 ; 4-byte Folded Spill
	buffer_store_dword v35, off, s[20:23], 0 offset:24 ; 4-byte Folded Spill
	;; [unrolled: 1-line block ×3, first 2 shown]
	ds_read2_b64 v[99:102], v125 offset0:100 offset1:101
	s_waitcnt lgkmcnt(0)
	v_mul_f64 v[103:104], v[101:102], v[105:106]
	v_fma_f64 v[103:104], v[99:100], v[97:98], -v[103:104]
	v_mul_f64 v[99:100], v[99:100], v[105:106]
	v_add_f64 v[29:30], v[29:30], -v[103:104]
	v_fma_f64 v[99:100], v[101:102], v[97:98], v[99:100]
	v_add_f64 v[31:32], v[31:32], -v[99:100]
	ds_read2_b64 v[99:102], v125 offset0:102 offset1:103
	s_waitcnt lgkmcnt(0)
	v_mul_f64 v[103:104], v[101:102], v[105:106]
	v_fma_f64 v[103:104], v[99:100], v[97:98], -v[103:104]
	v_mul_f64 v[99:100], v[99:100], v[105:106]
	v_add_f64 v[25:26], v[25:26], -v[103:104]
	v_fma_f64 v[99:100], v[101:102], v[97:98], v[99:100]
	v_add_f64 v[27:28], v[27:28], -v[99:100]
	;; [unrolled: 8-line block ×8, first 2 shown]
	ds_read2_b64 v[99:102], v125 offset0:116 offset1:117
	buffer_load_dword v37, off, s[20:23], 0 ; 4-byte Folded Reload
	buffer_load_dword v38, off, s[20:23], 0 offset:4 ; 4-byte Folded Reload
	buffer_load_dword v39, off, s[20:23], 0 offset:8 ; 4-byte Folded Reload
	;; [unrolled: 1-line block ×3, first 2 shown]
	s_waitcnt lgkmcnt(0)
	v_mul_f64 v[103:104], v[101:102], v[105:106]
	v_fma_f64 v[103:104], v[99:100], v[97:98], -v[103:104]
	v_mul_f64 v[99:100], v[99:100], v[105:106]
	v_fma_f64 v[99:100], v[101:102], v[97:98], v[99:100]
	s_waitcnt vmcnt(2)
	v_add_f64 v[37:38], v[37:38], -v[103:104]
	v_mov_b32_e32 v104, v98
	s_waitcnt vmcnt(0)
	v_add_f64 v[39:40], v[39:40], -v[99:100]
	v_mov_b32_e32 v103, v97
	buffer_store_dword v37, off, s[20:23], 0 ; 4-byte Folded Spill
	s_nop 0
	buffer_store_dword v38, off, s[20:23], 0 offset:4 ; 4-byte Folded Spill
	buffer_store_dword v39, off, s[20:23], 0 offset:8 ; 4-byte Folded Spill
	;; [unrolled: 1-line block ×4, first 2 shown]
	s_nop 0
	buffer_store_dword v104, off, s[20:23], 0 offset:244 ; 4-byte Folded Spill
	buffer_store_dword v105, off, s[20:23], 0 offset:248 ; 4-byte Folded Spill
	;; [unrolled: 1-line block ×3, first 2 shown]
.LBB117_181:
	s_or_b64 exec, exec, s[2:3]
	v_cmp_eq_u32_e32 vcc, 20, v0
	s_waitcnt vmcnt(0)
	s_barrier
	s_and_saveexec_b64 s[4:5], vcc
	s_cbranch_execz .LBB117_188
; %bb.182:
	buffer_load_dword v37, off, s[20:23], 0 offset:224 ; 4-byte Folded Reload
	buffer_load_dword v38, off, s[20:23], 0 offset:228 ; 4-byte Folded Reload
	;; [unrolled: 1-line block ×4, first 2 shown]
	s_waitcnt vmcnt(0)
	ds_write2_b64 v127, v[37:38], v[39:40] offset1:1
	buffer_load_dword v37, off, s[20:23], 0 offset:208 ; 4-byte Folded Reload
	buffer_load_dword v38, off, s[20:23], 0 offset:212 ; 4-byte Folded Reload
	buffer_load_dword v39, off, s[20:23], 0 offset:216 ; 4-byte Folded Reload
	buffer_load_dword v40, off, s[20:23], 0 offset:220 ; 4-byte Folded Reload
	s_waitcnt vmcnt(0)
	ds_write2_b64 v125, v[37:38], v[39:40] offset0:42 offset1:43
	buffer_load_dword v37, off, s[20:23], 0 offset:192 ; 4-byte Folded Reload
	buffer_load_dword v38, off, s[20:23], 0 offset:196 ; 4-byte Folded Reload
	buffer_load_dword v39, off, s[20:23], 0 offset:200 ; 4-byte Folded Reload
	buffer_load_dword v40, off, s[20:23], 0 offset:204 ; 4-byte Folded Reload
	s_waitcnt vmcnt(0)
	ds_write2_b64 v125, v[37:38], v[39:40] offset0:44 offset1:45
	;; [unrolled: 6-line block ×11, first 2 shown]
	ds_write2_b64 v125, v[93:94], v[95:96] offset0:64 offset1:65
	ds_write2_b64 v125, v[109:110], v[111:112] offset0:66 offset1:67
	ds_write2_b64 v125, v[121:122], v[123:124] offset0:68 offset1:69
	ds_write2_b64 v125, v[113:114], v[115:116] offset0:70 offset1:71
	ds_write2_b64 v125, v[89:90], v[91:92] offset0:72 offset1:73
	ds_write2_b64 v125, v[81:82], v[83:84] offset0:74 offset1:75
	ds_write2_b64 v125, v[77:78], v[79:80] offset0:76 offset1:77
	ds_write2_b64 v125, v[73:74], v[75:76] offset0:78 offset1:79
	ds_write2_b64 v125, v[69:70], v[71:72] offset0:80 offset1:81
	ds_write2_b64 v125, v[65:66], v[67:68] offset0:82 offset1:83
	ds_write2_b64 v125, v[61:62], v[63:64] offset0:84 offset1:85
	ds_write2_b64 v125, v[57:58], v[59:60] offset0:86 offset1:87
	ds_write2_b64 v125, v[53:54], v[55:56] offset0:88 offset1:89
	ds_write2_b64 v125, v[49:50], v[51:52] offset0:90 offset1:91
	ds_write2_b64 v125, v[45:46], v[47:48] offset0:92 offset1:93
	ds_write2_b64 v125, v[41:42], v[43:44] offset0:94 offset1:95
	buffer_load_dword v37, off, s[20:23], 0 offset:32 ; 4-byte Folded Reload
	buffer_load_dword v38, off, s[20:23], 0 offset:36 ; 4-byte Folded Reload
	;; [unrolled: 1-line block ×4, first 2 shown]
	s_waitcnt vmcnt(0)
	ds_write2_b64 v125, v[37:38], v[39:40] offset0:96 offset1:97
	buffer_load_dword v33, off, s[20:23], 0 offset:16 ; 4-byte Folded Reload
	buffer_load_dword v34, off, s[20:23], 0 offset:20 ; 4-byte Folded Reload
	;; [unrolled: 1-line block ×4, first 2 shown]
	s_waitcnt vmcnt(0)
	ds_write2_b64 v125, v[33:34], v[35:36] offset0:98 offset1:99
	ds_write2_b64 v125, v[29:30], v[31:32] offset0:100 offset1:101
	;; [unrolled: 1-line block ×9, first 2 shown]
	buffer_load_dword v37, off, s[20:23], 0 ; 4-byte Folded Reload
	buffer_load_dword v38, off, s[20:23], 0 offset:4 ; 4-byte Folded Reload
	buffer_load_dword v39, off, s[20:23], 0 offset:8 ; 4-byte Folded Reload
	;; [unrolled: 1-line block ×3, first 2 shown]
	s_waitcnt vmcnt(0)
	ds_write2_b64 v125, v[37:38], v[39:40] offset0:116 offset1:117
	ds_read2_b64 v[97:100], v127 offset1:1
	s_waitcnt lgkmcnt(0)
	v_cmp_neq_f64_e32 vcc, 0, v[97:98]
	v_cmp_neq_f64_e64 s[2:3], 0, v[99:100]
	s_or_b64 s[2:3], vcc, s[2:3]
	s_and_b64 exec, exec, s[2:3]
	s_cbranch_execz .LBB117_188
; %bb.183:
	v_cmp_ngt_f64_e64 s[2:3], |v[97:98]|, |v[99:100]|
                                        ; implicit-def: $vgpr101_vgpr102
	s_and_saveexec_b64 s[6:7], s[2:3]
	s_xor_b64 s[2:3], exec, s[6:7]
                                        ; implicit-def: $vgpr103_vgpr104
	s_cbranch_execz .LBB117_185
; %bb.184:
	v_div_scale_f64 v[101:102], s[6:7], v[99:100], v[99:100], v[97:98]
	v_rcp_f64_e32 v[103:104], v[101:102]
	v_fma_f64 v[105:106], -v[101:102], v[103:104], 1.0
	v_fma_f64 v[103:104], v[103:104], v[105:106], v[103:104]
	v_div_scale_f64 v[105:106], vcc, v[97:98], v[99:100], v[97:98]
	v_fma_f64 v[107:108], -v[101:102], v[103:104], 1.0
	v_fma_f64 v[103:104], v[103:104], v[107:108], v[103:104]
	v_mul_f64 v[107:108], v[105:106], v[103:104]
	v_fma_f64 v[101:102], -v[101:102], v[107:108], v[105:106]
	v_div_fmas_f64 v[101:102], v[101:102], v[103:104], v[107:108]
	v_div_fixup_f64 v[101:102], v[101:102], v[99:100], v[97:98]
	v_fma_f64 v[97:98], v[97:98], v[101:102], v[99:100]
	v_div_scale_f64 v[99:100], s[6:7], v[97:98], v[97:98], 1.0
	v_div_scale_f64 v[107:108], vcc, 1.0, v[97:98], 1.0
	v_rcp_f64_e32 v[103:104], v[99:100]
	v_fma_f64 v[105:106], -v[99:100], v[103:104], 1.0
	v_fma_f64 v[103:104], v[103:104], v[105:106], v[103:104]
	v_fma_f64 v[105:106], -v[99:100], v[103:104], 1.0
	v_fma_f64 v[103:104], v[103:104], v[105:106], v[103:104]
	v_mul_f64 v[105:106], v[107:108], v[103:104]
	v_fma_f64 v[99:100], -v[99:100], v[105:106], v[107:108]
	v_div_fmas_f64 v[99:100], v[99:100], v[103:104], v[105:106]
	v_div_fixup_f64 v[103:104], v[99:100], v[97:98], 1.0
                                        ; implicit-def: $vgpr97_vgpr98
	v_mul_f64 v[101:102], v[101:102], v[103:104]
	v_xor_b32_e32 v104, 0x80000000, v104
.LBB117_185:
	s_andn2_saveexec_b64 s[2:3], s[2:3]
	s_cbranch_execz .LBB117_187
; %bb.186:
	v_div_scale_f64 v[101:102], s[6:7], v[97:98], v[97:98], v[99:100]
	v_rcp_f64_e32 v[103:104], v[101:102]
	v_fma_f64 v[105:106], -v[101:102], v[103:104], 1.0
	v_fma_f64 v[103:104], v[103:104], v[105:106], v[103:104]
	v_div_scale_f64 v[105:106], vcc, v[99:100], v[97:98], v[99:100]
	v_fma_f64 v[107:108], -v[101:102], v[103:104], 1.0
	v_fma_f64 v[103:104], v[103:104], v[107:108], v[103:104]
	v_mul_f64 v[107:108], v[105:106], v[103:104]
	v_fma_f64 v[101:102], -v[101:102], v[107:108], v[105:106]
	v_div_fmas_f64 v[101:102], v[101:102], v[103:104], v[107:108]
	v_div_fixup_f64 v[103:104], v[101:102], v[97:98], v[99:100]
	v_fma_f64 v[97:98], v[99:100], v[103:104], v[97:98]
	v_div_scale_f64 v[99:100], s[6:7], v[97:98], v[97:98], 1.0
	v_div_scale_f64 v[107:108], vcc, 1.0, v[97:98], 1.0
	v_rcp_f64_e32 v[101:102], v[99:100]
	v_fma_f64 v[105:106], -v[99:100], v[101:102], 1.0
	v_fma_f64 v[101:102], v[101:102], v[105:106], v[101:102]
	v_fma_f64 v[105:106], -v[99:100], v[101:102], 1.0
	v_fma_f64 v[101:102], v[101:102], v[105:106], v[101:102]
	v_mul_f64 v[105:106], v[107:108], v[101:102]
	v_fma_f64 v[99:100], -v[99:100], v[105:106], v[107:108]
	v_div_fmas_f64 v[99:100], v[99:100], v[101:102], v[105:106]
	v_div_fixup_f64 v[101:102], v[99:100], v[97:98], 1.0
	v_mul_f64 v[103:104], v[103:104], -v[101:102]
.LBB117_187:
	s_or_b64 exec, exec, s[2:3]
	ds_write2_b64 v127, v[101:102], v[103:104] offset1:1
.LBB117_188:
	s_or_b64 exec, exec, s[4:5]
	s_waitcnt lgkmcnt(0)
	s_barrier
	ds_read2_b64 v[37:40], v127 offset1:1
	v_cmp_lt_u32_e32 vcc, 20, v0
	s_waitcnt lgkmcnt(0)
	buffer_store_dword v37, off, s[20:23], 0 offset:1344 ; 4-byte Folded Spill
	s_nop 0
	buffer_store_dword v38, off, s[20:23], 0 offset:1348 ; 4-byte Folded Spill
	buffer_store_dword v39, off, s[20:23], 0 offset:1352 ; 4-byte Folded Spill
	;; [unrolled: 1-line block ×3, first 2 shown]
	s_and_saveexec_b64 s[2:3], vcc
	s_cbranch_execz .LBB117_190
; %bb.189:
	buffer_load_dword v103, off, s[20:23], 0 offset:224 ; 4-byte Folded Reload
	buffer_load_dword v104, off, s[20:23], 0 offset:228 ; 4-byte Folded Reload
	;; [unrolled: 1-line block ×8, first 2 shown]
	s_waitcnt vmcnt(2)
	v_mul_f64 v[99:100], v[37:38], v[105:106]
	s_waitcnt vmcnt(0)
	v_mul_f64 v[97:98], v[39:40], v[105:106]
	v_fma_f64 v[105:106], v[39:40], v[103:104], v[99:100]
	ds_read2_b64 v[99:102], v125 offset0:42 offset1:43
	v_fma_f64 v[97:98], v[37:38], v[103:104], -v[97:98]
	buffer_load_dword v37, off, s[20:23], 0 offset:208 ; 4-byte Folded Reload
	buffer_load_dword v38, off, s[20:23], 0 offset:212 ; 4-byte Folded Reload
	buffer_load_dword v39, off, s[20:23], 0 offset:216 ; 4-byte Folded Reload
	buffer_load_dword v40, off, s[20:23], 0 offset:220 ; 4-byte Folded Reload
	s_waitcnt lgkmcnt(0)
	v_mul_f64 v[103:104], v[101:102], v[105:106]
	v_fma_f64 v[103:104], v[99:100], v[97:98], -v[103:104]
	v_mul_f64 v[99:100], v[99:100], v[105:106]
	v_fma_f64 v[99:100], v[101:102], v[97:98], v[99:100]
	s_waitcnt vmcnt(2)
	v_add_f64 v[37:38], v[37:38], -v[103:104]
	s_waitcnt vmcnt(0)
	v_add_f64 v[39:40], v[39:40], -v[99:100]
	buffer_store_dword v37, off, s[20:23], 0 offset:208 ; 4-byte Folded Spill
	s_nop 0
	buffer_store_dword v38, off, s[20:23], 0 offset:212 ; 4-byte Folded Spill
	buffer_store_dword v39, off, s[20:23], 0 offset:216 ; 4-byte Folded Spill
	buffer_store_dword v40, off, s[20:23], 0 offset:220 ; 4-byte Folded Spill
	ds_read2_b64 v[99:102], v125 offset0:44 offset1:45
	buffer_load_dword v37, off, s[20:23], 0 offset:192 ; 4-byte Folded Reload
	buffer_load_dword v38, off, s[20:23], 0 offset:196 ; 4-byte Folded Reload
	buffer_load_dword v39, off, s[20:23], 0 offset:200 ; 4-byte Folded Reload
	buffer_load_dword v40, off, s[20:23], 0 offset:204 ; 4-byte Folded Reload
	s_waitcnt lgkmcnt(0)
	v_mul_f64 v[103:104], v[101:102], v[105:106]
	v_fma_f64 v[103:104], v[99:100], v[97:98], -v[103:104]
	v_mul_f64 v[99:100], v[99:100], v[105:106]
	v_fma_f64 v[99:100], v[101:102], v[97:98], v[99:100]
	s_waitcnt vmcnt(2)
	v_add_f64 v[37:38], v[37:38], -v[103:104]
	s_waitcnt vmcnt(0)
	v_add_f64 v[39:40], v[39:40], -v[99:100]
	buffer_store_dword v37, off, s[20:23], 0 offset:192 ; 4-byte Folded Spill
	s_nop 0
	buffer_store_dword v38, off, s[20:23], 0 offset:196 ; 4-byte Folded Spill
	buffer_store_dword v39, off, s[20:23], 0 offset:200 ; 4-byte Folded Spill
	buffer_store_dword v40, off, s[20:23], 0 offset:204 ; 4-byte Folded Spill
	ds_read2_b64 v[99:102], v125 offset0:46 offset1:47
	;; [unrolled: 19-line block ×11, first 2 shown]
	s_waitcnt lgkmcnt(0)
	v_mul_f64 v[103:104], v[101:102], v[105:106]
	v_fma_f64 v[103:104], v[99:100], v[97:98], -v[103:104]
	v_mul_f64 v[99:100], v[99:100], v[105:106]
	v_add_f64 v[93:94], v[93:94], -v[103:104]
	v_fma_f64 v[99:100], v[101:102], v[97:98], v[99:100]
	v_add_f64 v[95:96], v[95:96], -v[99:100]
	ds_read2_b64 v[99:102], v125 offset0:66 offset1:67
	s_waitcnt lgkmcnt(0)
	v_mul_f64 v[103:104], v[101:102], v[105:106]
	v_fma_f64 v[103:104], v[99:100], v[97:98], -v[103:104]
	v_mul_f64 v[99:100], v[99:100], v[105:106]
	v_add_f64 v[109:110], v[109:110], -v[103:104]
	v_fma_f64 v[99:100], v[101:102], v[97:98], v[99:100]
	v_add_f64 v[111:112], v[111:112], -v[99:100]
	ds_read2_b64 v[99:102], v125 offset0:68 offset1:69
	;; [unrolled: 8-line block ×16, first 2 shown]
	buffer_load_dword v37, off, s[20:23], 0 offset:32 ; 4-byte Folded Reload
	buffer_load_dword v38, off, s[20:23], 0 offset:36 ; 4-byte Folded Reload
	;; [unrolled: 1-line block ×4, first 2 shown]
	s_waitcnt lgkmcnt(0)
	v_mul_f64 v[103:104], v[101:102], v[105:106]
	v_fma_f64 v[103:104], v[99:100], v[97:98], -v[103:104]
	v_mul_f64 v[99:100], v[99:100], v[105:106]
	v_fma_f64 v[99:100], v[101:102], v[97:98], v[99:100]
	s_waitcnt vmcnt(2)
	v_add_f64 v[37:38], v[37:38], -v[103:104]
	s_waitcnt vmcnt(0)
	v_add_f64 v[39:40], v[39:40], -v[99:100]
	buffer_store_dword v37, off, s[20:23], 0 offset:32 ; 4-byte Folded Spill
	s_nop 0
	buffer_store_dword v38, off, s[20:23], 0 offset:36 ; 4-byte Folded Spill
	buffer_store_dword v39, off, s[20:23], 0 offset:40 ; 4-byte Folded Spill
	buffer_store_dword v40, off, s[20:23], 0 offset:44 ; 4-byte Folded Spill
	ds_read2_b64 v[99:102], v125 offset0:98 offset1:99
	buffer_load_dword v33, off, s[20:23], 0 offset:16 ; 4-byte Folded Reload
	buffer_load_dword v34, off, s[20:23], 0 offset:20 ; 4-byte Folded Reload
	;; [unrolled: 1-line block ×4, first 2 shown]
	s_waitcnt lgkmcnt(0)
	v_mul_f64 v[103:104], v[101:102], v[105:106]
	v_fma_f64 v[103:104], v[99:100], v[97:98], -v[103:104]
	v_mul_f64 v[99:100], v[99:100], v[105:106]
	v_fma_f64 v[99:100], v[101:102], v[97:98], v[99:100]
	s_waitcnt vmcnt(2)
	v_add_f64 v[33:34], v[33:34], -v[103:104]
	s_waitcnt vmcnt(0)
	v_add_f64 v[35:36], v[35:36], -v[99:100]
	buffer_store_dword v33, off, s[20:23], 0 offset:16 ; 4-byte Folded Spill
	s_nop 0
	buffer_store_dword v34, off, s[20:23], 0 offset:20 ; 4-byte Folded Spill
	buffer_store_dword v35, off, s[20:23], 0 offset:24 ; 4-byte Folded Spill
	;; [unrolled: 1-line block ×3, first 2 shown]
	ds_read2_b64 v[99:102], v125 offset0:100 offset1:101
	s_waitcnt lgkmcnt(0)
	v_mul_f64 v[103:104], v[101:102], v[105:106]
	v_fma_f64 v[103:104], v[99:100], v[97:98], -v[103:104]
	v_mul_f64 v[99:100], v[99:100], v[105:106]
	v_add_f64 v[29:30], v[29:30], -v[103:104]
	v_fma_f64 v[99:100], v[101:102], v[97:98], v[99:100]
	v_add_f64 v[31:32], v[31:32], -v[99:100]
	ds_read2_b64 v[99:102], v125 offset0:102 offset1:103
	s_waitcnt lgkmcnt(0)
	v_mul_f64 v[103:104], v[101:102], v[105:106]
	v_fma_f64 v[103:104], v[99:100], v[97:98], -v[103:104]
	v_mul_f64 v[99:100], v[99:100], v[105:106]
	v_add_f64 v[25:26], v[25:26], -v[103:104]
	v_fma_f64 v[99:100], v[101:102], v[97:98], v[99:100]
	v_add_f64 v[27:28], v[27:28], -v[99:100]
	;; [unrolled: 8-line block ×8, first 2 shown]
	ds_read2_b64 v[99:102], v125 offset0:116 offset1:117
	buffer_load_dword v37, off, s[20:23], 0 ; 4-byte Folded Reload
	buffer_load_dword v38, off, s[20:23], 0 offset:4 ; 4-byte Folded Reload
	buffer_load_dword v39, off, s[20:23], 0 offset:8 ; 4-byte Folded Reload
	;; [unrolled: 1-line block ×3, first 2 shown]
	s_waitcnt lgkmcnt(0)
	v_mul_f64 v[103:104], v[101:102], v[105:106]
	v_fma_f64 v[103:104], v[99:100], v[97:98], -v[103:104]
	v_mul_f64 v[99:100], v[99:100], v[105:106]
	v_fma_f64 v[99:100], v[101:102], v[97:98], v[99:100]
	s_waitcnt vmcnt(2)
	v_add_f64 v[37:38], v[37:38], -v[103:104]
	v_mov_b32_e32 v104, v98
	s_waitcnt vmcnt(0)
	v_add_f64 v[39:40], v[39:40], -v[99:100]
	v_mov_b32_e32 v103, v97
	buffer_store_dword v37, off, s[20:23], 0 ; 4-byte Folded Spill
	s_nop 0
	buffer_store_dword v38, off, s[20:23], 0 offset:4 ; 4-byte Folded Spill
	buffer_store_dword v39, off, s[20:23], 0 offset:8 ; 4-byte Folded Spill
	;; [unrolled: 1-line block ×4, first 2 shown]
	s_nop 0
	buffer_store_dword v104, off, s[20:23], 0 offset:228 ; 4-byte Folded Spill
	buffer_store_dword v105, off, s[20:23], 0 offset:232 ; 4-byte Folded Spill
	;; [unrolled: 1-line block ×3, first 2 shown]
.LBB117_190:
	s_or_b64 exec, exec, s[2:3]
	v_cmp_eq_u32_e32 vcc, 21, v0
	s_waitcnt vmcnt(0)
	s_barrier
	s_and_saveexec_b64 s[4:5], vcc
	s_cbranch_execz .LBB117_197
; %bb.191:
	buffer_load_dword v37, off, s[20:23], 0 offset:208 ; 4-byte Folded Reload
	buffer_load_dword v38, off, s[20:23], 0 offset:212 ; 4-byte Folded Reload
	;; [unrolled: 1-line block ×4, first 2 shown]
	s_waitcnt vmcnt(0)
	ds_write2_b64 v127, v[37:38], v[39:40] offset1:1
	buffer_load_dword v37, off, s[20:23], 0 offset:192 ; 4-byte Folded Reload
	buffer_load_dword v38, off, s[20:23], 0 offset:196 ; 4-byte Folded Reload
	buffer_load_dword v39, off, s[20:23], 0 offset:200 ; 4-byte Folded Reload
	buffer_load_dword v40, off, s[20:23], 0 offset:204 ; 4-byte Folded Reload
	s_waitcnt vmcnt(0)
	ds_write2_b64 v125, v[37:38], v[39:40] offset0:44 offset1:45
	buffer_load_dword v37, off, s[20:23], 0 offset:176 ; 4-byte Folded Reload
	buffer_load_dword v38, off, s[20:23], 0 offset:180 ; 4-byte Folded Reload
	buffer_load_dword v39, off, s[20:23], 0 offset:184 ; 4-byte Folded Reload
	buffer_load_dword v40, off, s[20:23], 0 offset:188 ; 4-byte Folded Reload
	s_waitcnt vmcnt(0)
	ds_write2_b64 v125, v[37:38], v[39:40] offset0:46 offset1:47
	;; [unrolled: 6-line block ×10, first 2 shown]
	ds_write2_b64 v125, v[93:94], v[95:96] offset0:64 offset1:65
	ds_write2_b64 v125, v[109:110], v[111:112] offset0:66 offset1:67
	;; [unrolled: 1-line block ×16, first 2 shown]
	buffer_load_dword v37, off, s[20:23], 0 offset:32 ; 4-byte Folded Reload
	buffer_load_dword v38, off, s[20:23], 0 offset:36 ; 4-byte Folded Reload
	;; [unrolled: 1-line block ×4, first 2 shown]
	s_waitcnt vmcnt(0)
	ds_write2_b64 v125, v[37:38], v[39:40] offset0:96 offset1:97
	buffer_load_dword v33, off, s[20:23], 0 offset:16 ; 4-byte Folded Reload
	buffer_load_dword v34, off, s[20:23], 0 offset:20 ; 4-byte Folded Reload
	;; [unrolled: 1-line block ×4, first 2 shown]
	s_waitcnt vmcnt(0)
	ds_write2_b64 v125, v[33:34], v[35:36] offset0:98 offset1:99
	ds_write2_b64 v125, v[29:30], v[31:32] offset0:100 offset1:101
	;; [unrolled: 1-line block ×9, first 2 shown]
	buffer_load_dword v37, off, s[20:23], 0 ; 4-byte Folded Reload
	buffer_load_dword v38, off, s[20:23], 0 offset:4 ; 4-byte Folded Reload
	buffer_load_dword v39, off, s[20:23], 0 offset:8 ; 4-byte Folded Reload
	;; [unrolled: 1-line block ×3, first 2 shown]
	s_waitcnt vmcnt(0)
	ds_write2_b64 v125, v[37:38], v[39:40] offset0:116 offset1:117
	ds_read2_b64 v[97:100], v127 offset1:1
	s_waitcnt lgkmcnt(0)
	v_cmp_neq_f64_e32 vcc, 0, v[97:98]
	v_cmp_neq_f64_e64 s[2:3], 0, v[99:100]
	s_or_b64 s[2:3], vcc, s[2:3]
	s_and_b64 exec, exec, s[2:3]
	s_cbranch_execz .LBB117_197
; %bb.192:
	v_cmp_ngt_f64_e64 s[2:3], |v[97:98]|, |v[99:100]|
                                        ; implicit-def: $vgpr101_vgpr102
	s_and_saveexec_b64 s[6:7], s[2:3]
	s_xor_b64 s[2:3], exec, s[6:7]
                                        ; implicit-def: $vgpr103_vgpr104
	s_cbranch_execz .LBB117_194
; %bb.193:
	v_div_scale_f64 v[101:102], s[6:7], v[99:100], v[99:100], v[97:98]
	v_rcp_f64_e32 v[103:104], v[101:102]
	v_fma_f64 v[105:106], -v[101:102], v[103:104], 1.0
	v_fma_f64 v[103:104], v[103:104], v[105:106], v[103:104]
	v_div_scale_f64 v[105:106], vcc, v[97:98], v[99:100], v[97:98]
	v_fma_f64 v[107:108], -v[101:102], v[103:104], 1.0
	v_fma_f64 v[103:104], v[103:104], v[107:108], v[103:104]
	v_mul_f64 v[107:108], v[105:106], v[103:104]
	v_fma_f64 v[101:102], -v[101:102], v[107:108], v[105:106]
	v_div_fmas_f64 v[101:102], v[101:102], v[103:104], v[107:108]
	v_div_fixup_f64 v[101:102], v[101:102], v[99:100], v[97:98]
	v_fma_f64 v[97:98], v[97:98], v[101:102], v[99:100]
	v_div_scale_f64 v[99:100], s[6:7], v[97:98], v[97:98], 1.0
	v_div_scale_f64 v[107:108], vcc, 1.0, v[97:98], 1.0
	v_rcp_f64_e32 v[103:104], v[99:100]
	v_fma_f64 v[105:106], -v[99:100], v[103:104], 1.0
	v_fma_f64 v[103:104], v[103:104], v[105:106], v[103:104]
	v_fma_f64 v[105:106], -v[99:100], v[103:104], 1.0
	v_fma_f64 v[103:104], v[103:104], v[105:106], v[103:104]
	v_mul_f64 v[105:106], v[107:108], v[103:104]
	v_fma_f64 v[99:100], -v[99:100], v[105:106], v[107:108]
	v_div_fmas_f64 v[99:100], v[99:100], v[103:104], v[105:106]
	v_div_fixup_f64 v[103:104], v[99:100], v[97:98], 1.0
                                        ; implicit-def: $vgpr97_vgpr98
	v_mul_f64 v[101:102], v[101:102], v[103:104]
	v_xor_b32_e32 v104, 0x80000000, v104
.LBB117_194:
	s_andn2_saveexec_b64 s[2:3], s[2:3]
	s_cbranch_execz .LBB117_196
; %bb.195:
	v_div_scale_f64 v[101:102], s[6:7], v[97:98], v[97:98], v[99:100]
	v_rcp_f64_e32 v[103:104], v[101:102]
	v_fma_f64 v[105:106], -v[101:102], v[103:104], 1.0
	v_fma_f64 v[103:104], v[103:104], v[105:106], v[103:104]
	v_div_scale_f64 v[105:106], vcc, v[99:100], v[97:98], v[99:100]
	v_fma_f64 v[107:108], -v[101:102], v[103:104], 1.0
	v_fma_f64 v[103:104], v[103:104], v[107:108], v[103:104]
	v_mul_f64 v[107:108], v[105:106], v[103:104]
	v_fma_f64 v[101:102], -v[101:102], v[107:108], v[105:106]
	v_div_fmas_f64 v[101:102], v[101:102], v[103:104], v[107:108]
	v_div_fixup_f64 v[103:104], v[101:102], v[97:98], v[99:100]
	v_fma_f64 v[97:98], v[99:100], v[103:104], v[97:98]
	v_div_scale_f64 v[99:100], s[6:7], v[97:98], v[97:98], 1.0
	v_div_scale_f64 v[107:108], vcc, 1.0, v[97:98], 1.0
	v_rcp_f64_e32 v[101:102], v[99:100]
	v_fma_f64 v[105:106], -v[99:100], v[101:102], 1.0
	v_fma_f64 v[101:102], v[101:102], v[105:106], v[101:102]
	v_fma_f64 v[105:106], -v[99:100], v[101:102], 1.0
	v_fma_f64 v[101:102], v[101:102], v[105:106], v[101:102]
	v_mul_f64 v[105:106], v[107:108], v[101:102]
	v_fma_f64 v[99:100], -v[99:100], v[105:106], v[107:108]
	v_div_fmas_f64 v[99:100], v[99:100], v[101:102], v[105:106]
	v_div_fixup_f64 v[101:102], v[99:100], v[97:98], 1.0
	v_mul_f64 v[103:104], v[103:104], -v[101:102]
.LBB117_196:
	s_or_b64 exec, exec, s[2:3]
	ds_write2_b64 v127, v[101:102], v[103:104] offset1:1
.LBB117_197:
	s_or_b64 exec, exec, s[4:5]
	s_waitcnt lgkmcnt(0)
	s_barrier
	ds_read2_b64 v[37:40], v127 offset1:1
	v_cmp_lt_u32_e32 vcc, 21, v0
	s_waitcnt lgkmcnt(0)
	buffer_store_dword v37, off, s[20:23], 0 offset:1360 ; 4-byte Folded Spill
	s_nop 0
	buffer_store_dword v38, off, s[20:23], 0 offset:1364 ; 4-byte Folded Spill
	buffer_store_dword v39, off, s[20:23], 0 offset:1368 ; 4-byte Folded Spill
	buffer_store_dword v40, off, s[20:23], 0 offset:1372 ; 4-byte Folded Spill
	s_and_saveexec_b64 s[2:3], vcc
	s_cbranch_execz .LBB117_199
; %bb.198:
	buffer_load_dword v103, off, s[20:23], 0 offset:208 ; 4-byte Folded Reload
	buffer_load_dword v104, off, s[20:23], 0 offset:212 ; 4-byte Folded Reload
	;; [unrolled: 1-line block ×8, first 2 shown]
	s_waitcnt vmcnt(2)
	v_mul_f64 v[99:100], v[37:38], v[105:106]
	s_waitcnt vmcnt(0)
	v_mul_f64 v[97:98], v[39:40], v[105:106]
	v_fma_f64 v[105:106], v[39:40], v[103:104], v[99:100]
	ds_read2_b64 v[99:102], v125 offset0:44 offset1:45
	v_fma_f64 v[97:98], v[37:38], v[103:104], -v[97:98]
	buffer_load_dword v37, off, s[20:23], 0 offset:192 ; 4-byte Folded Reload
	buffer_load_dword v38, off, s[20:23], 0 offset:196 ; 4-byte Folded Reload
	buffer_load_dword v39, off, s[20:23], 0 offset:200 ; 4-byte Folded Reload
	buffer_load_dword v40, off, s[20:23], 0 offset:204 ; 4-byte Folded Reload
	s_waitcnt lgkmcnt(0)
	v_mul_f64 v[103:104], v[101:102], v[105:106]
	v_fma_f64 v[103:104], v[99:100], v[97:98], -v[103:104]
	v_mul_f64 v[99:100], v[99:100], v[105:106]
	v_fma_f64 v[99:100], v[101:102], v[97:98], v[99:100]
	s_waitcnt vmcnt(2)
	v_add_f64 v[37:38], v[37:38], -v[103:104]
	s_waitcnt vmcnt(0)
	v_add_f64 v[39:40], v[39:40], -v[99:100]
	buffer_store_dword v37, off, s[20:23], 0 offset:192 ; 4-byte Folded Spill
	s_nop 0
	buffer_store_dword v38, off, s[20:23], 0 offset:196 ; 4-byte Folded Spill
	buffer_store_dword v39, off, s[20:23], 0 offset:200 ; 4-byte Folded Spill
	buffer_store_dword v40, off, s[20:23], 0 offset:204 ; 4-byte Folded Spill
	ds_read2_b64 v[99:102], v125 offset0:46 offset1:47
	buffer_load_dword v37, off, s[20:23], 0 offset:176 ; 4-byte Folded Reload
	buffer_load_dword v38, off, s[20:23], 0 offset:180 ; 4-byte Folded Reload
	buffer_load_dword v39, off, s[20:23], 0 offset:184 ; 4-byte Folded Reload
	buffer_load_dword v40, off, s[20:23], 0 offset:188 ; 4-byte Folded Reload
	s_waitcnt lgkmcnt(0)
	v_mul_f64 v[103:104], v[101:102], v[105:106]
	v_fma_f64 v[103:104], v[99:100], v[97:98], -v[103:104]
	v_mul_f64 v[99:100], v[99:100], v[105:106]
	v_fma_f64 v[99:100], v[101:102], v[97:98], v[99:100]
	s_waitcnt vmcnt(2)
	v_add_f64 v[37:38], v[37:38], -v[103:104]
	s_waitcnt vmcnt(0)
	v_add_f64 v[39:40], v[39:40], -v[99:100]
	buffer_store_dword v37, off, s[20:23], 0 offset:176 ; 4-byte Folded Spill
	s_nop 0
	buffer_store_dword v38, off, s[20:23], 0 offset:180 ; 4-byte Folded Spill
	buffer_store_dword v39, off, s[20:23], 0 offset:184 ; 4-byte Folded Spill
	buffer_store_dword v40, off, s[20:23], 0 offset:188 ; 4-byte Folded Spill
	ds_read2_b64 v[99:102], v125 offset0:48 offset1:49
	;; [unrolled: 19-line block ×10, first 2 shown]
	s_waitcnt lgkmcnt(0)
	v_mul_f64 v[103:104], v[101:102], v[105:106]
	v_fma_f64 v[103:104], v[99:100], v[97:98], -v[103:104]
	v_mul_f64 v[99:100], v[99:100], v[105:106]
	v_add_f64 v[93:94], v[93:94], -v[103:104]
	v_fma_f64 v[99:100], v[101:102], v[97:98], v[99:100]
	v_add_f64 v[95:96], v[95:96], -v[99:100]
	ds_read2_b64 v[99:102], v125 offset0:66 offset1:67
	s_waitcnt lgkmcnt(0)
	v_mul_f64 v[103:104], v[101:102], v[105:106]
	v_fma_f64 v[103:104], v[99:100], v[97:98], -v[103:104]
	v_mul_f64 v[99:100], v[99:100], v[105:106]
	v_add_f64 v[109:110], v[109:110], -v[103:104]
	v_fma_f64 v[99:100], v[101:102], v[97:98], v[99:100]
	v_add_f64 v[111:112], v[111:112], -v[99:100]
	ds_read2_b64 v[99:102], v125 offset0:68 offset1:69
	;; [unrolled: 8-line block ×16, first 2 shown]
	buffer_load_dword v37, off, s[20:23], 0 offset:32 ; 4-byte Folded Reload
	buffer_load_dword v38, off, s[20:23], 0 offset:36 ; 4-byte Folded Reload
	buffer_load_dword v39, off, s[20:23], 0 offset:40 ; 4-byte Folded Reload
	buffer_load_dword v40, off, s[20:23], 0 offset:44 ; 4-byte Folded Reload
	s_waitcnt lgkmcnt(0)
	v_mul_f64 v[103:104], v[101:102], v[105:106]
	v_fma_f64 v[103:104], v[99:100], v[97:98], -v[103:104]
	v_mul_f64 v[99:100], v[99:100], v[105:106]
	v_fma_f64 v[99:100], v[101:102], v[97:98], v[99:100]
	s_waitcnt vmcnt(2)
	v_add_f64 v[37:38], v[37:38], -v[103:104]
	s_waitcnt vmcnt(0)
	v_add_f64 v[39:40], v[39:40], -v[99:100]
	buffer_store_dword v37, off, s[20:23], 0 offset:32 ; 4-byte Folded Spill
	s_nop 0
	buffer_store_dword v38, off, s[20:23], 0 offset:36 ; 4-byte Folded Spill
	buffer_store_dword v39, off, s[20:23], 0 offset:40 ; 4-byte Folded Spill
	;; [unrolled: 1-line block ×3, first 2 shown]
	ds_read2_b64 v[99:102], v125 offset0:98 offset1:99
	buffer_load_dword v33, off, s[20:23], 0 offset:16 ; 4-byte Folded Reload
	buffer_load_dword v34, off, s[20:23], 0 offset:20 ; 4-byte Folded Reload
	;; [unrolled: 1-line block ×4, first 2 shown]
	s_waitcnt lgkmcnt(0)
	v_mul_f64 v[103:104], v[101:102], v[105:106]
	v_fma_f64 v[103:104], v[99:100], v[97:98], -v[103:104]
	v_mul_f64 v[99:100], v[99:100], v[105:106]
	v_fma_f64 v[99:100], v[101:102], v[97:98], v[99:100]
	s_waitcnt vmcnt(2)
	v_add_f64 v[33:34], v[33:34], -v[103:104]
	s_waitcnt vmcnt(0)
	v_add_f64 v[35:36], v[35:36], -v[99:100]
	buffer_store_dword v33, off, s[20:23], 0 offset:16 ; 4-byte Folded Spill
	s_nop 0
	buffer_store_dword v34, off, s[20:23], 0 offset:20 ; 4-byte Folded Spill
	buffer_store_dword v35, off, s[20:23], 0 offset:24 ; 4-byte Folded Spill
	;; [unrolled: 1-line block ×3, first 2 shown]
	ds_read2_b64 v[99:102], v125 offset0:100 offset1:101
	s_waitcnt lgkmcnt(0)
	v_mul_f64 v[103:104], v[101:102], v[105:106]
	v_fma_f64 v[103:104], v[99:100], v[97:98], -v[103:104]
	v_mul_f64 v[99:100], v[99:100], v[105:106]
	v_add_f64 v[29:30], v[29:30], -v[103:104]
	v_fma_f64 v[99:100], v[101:102], v[97:98], v[99:100]
	v_add_f64 v[31:32], v[31:32], -v[99:100]
	ds_read2_b64 v[99:102], v125 offset0:102 offset1:103
	s_waitcnt lgkmcnt(0)
	v_mul_f64 v[103:104], v[101:102], v[105:106]
	v_fma_f64 v[103:104], v[99:100], v[97:98], -v[103:104]
	v_mul_f64 v[99:100], v[99:100], v[105:106]
	v_add_f64 v[25:26], v[25:26], -v[103:104]
	v_fma_f64 v[99:100], v[101:102], v[97:98], v[99:100]
	v_add_f64 v[27:28], v[27:28], -v[99:100]
	;; [unrolled: 8-line block ×8, first 2 shown]
	ds_read2_b64 v[99:102], v125 offset0:116 offset1:117
	buffer_load_dword v37, off, s[20:23], 0 ; 4-byte Folded Reload
	buffer_load_dword v38, off, s[20:23], 0 offset:4 ; 4-byte Folded Reload
	buffer_load_dword v39, off, s[20:23], 0 offset:8 ; 4-byte Folded Reload
	;; [unrolled: 1-line block ×3, first 2 shown]
	s_waitcnt lgkmcnt(0)
	v_mul_f64 v[103:104], v[101:102], v[105:106]
	v_fma_f64 v[103:104], v[99:100], v[97:98], -v[103:104]
	v_mul_f64 v[99:100], v[99:100], v[105:106]
	v_fma_f64 v[99:100], v[101:102], v[97:98], v[99:100]
	s_waitcnt vmcnt(2)
	v_add_f64 v[37:38], v[37:38], -v[103:104]
	v_mov_b32_e32 v104, v98
	s_waitcnt vmcnt(0)
	v_add_f64 v[39:40], v[39:40], -v[99:100]
	v_mov_b32_e32 v103, v97
	buffer_store_dword v37, off, s[20:23], 0 ; 4-byte Folded Spill
	s_nop 0
	buffer_store_dword v38, off, s[20:23], 0 offset:4 ; 4-byte Folded Spill
	buffer_store_dword v39, off, s[20:23], 0 offset:8 ; 4-byte Folded Spill
	;; [unrolled: 1-line block ×4, first 2 shown]
	s_nop 0
	buffer_store_dword v104, off, s[20:23], 0 offset:212 ; 4-byte Folded Spill
	buffer_store_dword v105, off, s[20:23], 0 offset:216 ; 4-byte Folded Spill
	buffer_store_dword v106, off, s[20:23], 0 offset:220 ; 4-byte Folded Spill
.LBB117_199:
	s_or_b64 exec, exec, s[2:3]
	v_cmp_eq_u32_e32 vcc, 22, v0
	s_waitcnt vmcnt(0)
	s_barrier
	s_and_saveexec_b64 s[4:5], vcc
	s_cbranch_execz .LBB117_206
; %bb.200:
	buffer_load_dword v37, off, s[20:23], 0 offset:192 ; 4-byte Folded Reload
	buffer_load_dword v38, off, s[20:23], 0 offset:196 ; 4-byte Folded Reload
	;; [unrolled: 1-line block ×4, first 2 shown]
	s_waitcnt vmcnt(0)
	ds_write2_b64 v127, v[37:38], v[39:40] offset1:1
	buffer_load_dword v37, off, s[20:23], 0 offset:176 ; 4-byte Folded Reload
	buffer_load_dword v38, off, s[20:23], 0 offset:180 ; 4-byte Folded Reload
	buffer_load_dword v39, off, s[20:23], 0 offset:184 ; 4-byte Folded Reload
	buffer_load_dword v40, off, s[20:23], 0 offset:188 ; 4-byte Folded Reload
	s_waitcnt vmcnt(0)
	ds_write2_b64 v125, v[37:38], v[39:40] offset0:46 offset1:47
	buffer_load_dword v37, off, s[20:23], 0 offset:160 ; 4-byte Folded Reload
	buffer_load_dword v38, off, s[20:23], 0 offset:164 ; 4-byte Folded Reload
	buffer_load_dword v39, off, s[20:23], 0 offset:168 ; 4-byte Folded Reload
	buffer_load_dword v40, off, s[20:23], 0 offset:172 ; 4-byte Folded Reload
	s_waitcnt vmcnt(0)
	ds_write2_b64 v125, v[37:38], v[39:40] offset0:48 offset1:49
	;; [unrolled: 6-line block ×9, first 2 shown]
	ds_write2_b64 v125, v[93:94], v[95:96] offset0:64 offset1:65
	ds_write2_b64 v125, v[109:110], v[111:112] offset0:66 offset1:67
	ds_write2_b64 v125, v[121:122], v[123:124] offset0:68 offset1:69
	ds_write2_b64 v125, v[113:114], v[115:116] offset0:70 offset1:71
	ds_write2_b64 v125, v[89:90], v[91:92] offset0:72 offset1:73
	ds_write2_b64 v125, v[81:82], v[83:84] offset0:74 offset1:75
	ds_write2_b64 v125, v[77:78], v[79:80] offset0:76 offset1:77
	ds_write2_b64 v125, v[73:74], v[75:76] offset0:78 offset1:79
	ds_write2_b64 v125, v[69:70], v[71:72] offset0:80 offset1:81
	ds_write2_b64 v125, v[65:66], v[67:68] offset0:82 offset1:83
	ds_write2_b64 v125, v[61:62], v[63:64] offset0:84 offset1:85
	ds_write2_b64 v125, v[57:58], v[59:60] offset0:86 offset1:87
	ds_write2_b64 v125, v[53:54], v[55:56] offset0:88 offset1:89
	ds_write2_b64 v125, v[49:50], v[51:52] offset0:90 offset1:91
	ds_write2_b64 v125, v[45:46], v[47:48] offset0:92 offset1:93
	ds_write2_b64 v125, v[41:42], v[43:44] offset0:94 offset1:95
	buffer_load_dword v37, off, s[20:23], 0 offset:32 ; 4-byte Folded Reload
	buffer_load_dword v38, off, s[20:23], 0 offset:36 ; 4-byte Folded Reload
	;; [unrolled: 1-line block ×4, first 2 shown]
	s_waitcnt vmcnt(0)
	ds_write2_b64 v125, v[37:38], v[39:40] offset0:96 offset1:97
	buffer_load_dword v33, off, s[20:23], 0 offset:16 ; 4-byte Folded Reload
	buffer_load_dword v34, off, s[20:23], 0 offset:20 ; 4-byte Folded Reload
	;; [unrolled: 1-line block ×4, first 2 shown]
	s_waitcnt vmcnt(0)
	ds_write2_b64 v125, v[33:34], v[35:36] offset0:98 offset1:99
	ds_write2_b64 v125, v[29:30], v[31:32] offset0:100 offset1:101
	;; [unrolled: 1-line block ×9, first 2 shown]
	buffer_load_dword v37, off, s[20:23], 0 ; 4-byte Folded Reload
	buffer_load_dword v38, off, s[20:23], 0 offset:4 ; 4-byte Folded Reload
	buffer_load_dword v39, off, s[20:23], 0 offset:8 ; 4-byte Folded Reload
	;; [unrolled: 1-line block ×3, first 2 shown]
	s_waitcnt vmcnt(0)
	ds_write2_b64 v125, v[37:38], v[39:40] offset0:116 offset1:117
	ds_read2_b64 v[97:100], v127 offset1:1
	s_waitcnt lgkmcnt(0)
	v_cmp_neq_f64_e32 vcc, 0, v[97:98]
	v_cmp_neq_f64_e64 s[2:3], 0, v[99:100]
	s_or_b64 s[2:3], vcc, s[2:3]
	s_and_b64 exec, exec, s[2:3]
	s_cbranch_execz .LBB117_206
; %bb.201:
	v_cmp_ngt_f64_e64 s[2:3], |v[97:98]|, |v[99:100]|
                                        ; implicit-def: $vgpr101_vgpr102
	s_and_saveexec_b64 s[6:7], s[2:3]
	s_xor_b64 s[2:3], exec, s[6:7]
                                        ; implicit-def: $vgpr103_vgpr104
	s_cbranch_execz .LBB117_203
; %bb.202:
	v_div_scale_f64 v[101:102], s[6:7], v[99:100], v[99:100], v[97:98]
	v_rcp_f64_e32 v[103:104], v[101:102]
	v_fma_f64 v[105:106], -v[101:102], v[103:104], 1.0
	v_fma_f64 v[103:104], v[103:104], v[105:106], v[103:104]
	v_div_scale_f64 v[105:106], vcc, v[97:98], v[99:100], v[97:98]
	v_fma_f64 v[107:108], -v[101:102], v[103:104], 1.0
	v_fma_f64 v[103:104], v[103:104], v[107:108], v[103:104]
	v_mul_f64 v[107:108], v[105:106], v[103:104]
	v_fma_f64 v[101:102], -v[101:102], v[107:108], v[105:106]
	v_div_fmas_f64 v[101:102], v[101:102], v[103:104], v[107:108]
	v_div_fixup_f64 v[101:102], v[101:102], v[99:100], v[97:98]
	v_fma_f64 v[97:98], v[97:98], v[101:102], v[99:100]
	v_div_scale_f64 v[99:100], s[6:7], v[97:98], v[97:98], 1.0
	v_div_scale_f64 v[107:108], vcc, 1.0, v[97:98], 1.0
	v_rcp_f64_e32 v[103:104], v[99:100]
	v_fma_f64 v[105:106], -v[99:100], v[103:104], 1.0
	v_fma_f64 v[103:104], v[103:104], v[105:106], v[103:104]
	v_fma_f64 v[105:106], -v[99:100], v[103:104], 1.0
	v_fma_f64 v[103:104], v[103:104], v[105:106], v[103:104]
	v_mul_f64 v[105:106], v[107:108], v[103:104]
	v_fma_f64 v[99:100], -v[99:100], v[105:106], v[107:108]
	v_div_fmas_f64 v[99:100], v[99:100], v[103:104], v[105:106]
	v_div_fixup_f64 v[103:104], v[99:100], v[97:98], 1.0
                                        ; implicit-def: $vgpr97_vgpr98
	v_mul_f64 v[101:102], v[101:102], v[103:104]
	v_xor_b32_e32 v104, 0x80000000, v104
.LBB117_203:
	s_andn2_saveexec_b64 s[2:3], s[2:3]
	s_cbranch_execz .LBB117_205
; %bb.204:
	v_div_scale_f64 v[101:102], s[6:7], v[97:98], v[97:98], v[99:100]
	v_rcp_f64_e32 v[103:104], v[101:102]
	v_fma_f64 v[105:106], -v[101:102], v[103:104], 1.0
	v_fma_f64 v[103:104], v[103:104], v[105:106], v[103:104]
	v_div_scale_f64 v[105:106], vcc, v[99:100], v[97:98], v[99:100]
	v_fma_f64 v[107:108], -v[101:102], v[103:104], 1.0
	v_fma_f64 v[103:104], v[103:104], v[107:108], v[103:104]
	v_mul_f64 v[107:108], v[105:106], v[103:104]
	v_fma_f64 v[101:102], -v[101:102], v[107:108], v[105:106]
	v_div_fmas_f64 v[101:102], v[101:102], v[103:104], v[107:108]
	v_div_fixup_f64 v[103:104], v[101:102], v[97:98], v[99:100]
	v_fma_f64 v[97:98], v[99:100], v[103:104], v[97:98]
	v_div_scale_f64 v[99:100], s[6:7], v[97:98], v[97:98], 1.0
	v_div_scale_f64 v[107:108], vcc, 1.0, v[97:98], 1.0
	v_rcp_f64_e32 v[101:102], v[99:100]
	v_fma_f64 v[105:106], -v[99:100], v[101:102], 1.0
	v_fma_f64 v[101:102], v[101:102], v[105:106], v[101:102]
	v_fma_f64 v[105:106], -v[99:100], v[101:102], 1.0
	v_fma_f64 v[101:102], v[101:102], v[105:106], v[101:102]
	v_mul_f64 v[105:106], v[107:108], v[101:102]
	v_fma_f64 v[99:100], -v[99:100], v[105:106], v[107:108]
	v_div_fmas_f64 v[99:100], v[99:100], v[101:102], v[105:106]
	v_div_fixup_f64 v[101:102], v[99:100], v[97:98], 1.0
	v_mul_f64 v[103:104], v[103:104], -v[101:102]
.LBB117_205:
	s_or_b64 exec, exec, s[2:3]
	ds_write2_b64 v127, v[101:102], v[103:104] offset1:1
.LBB117_206:
	s_or_b64 exec, exec, s[4:5]
	s_waitcnt lgkmcnt(0)
	s_barrier
	ds_read2_b64 v[37:40], v127 offset1:1
	v_cmp_lt_u32_e32 vcc, 22, v0
	s_waitcnt lgkmcnt(0)
	buffer_store_dword v37, off, s[20:23], 0 offset:1376 ; 4-byte Folded Spill
	s_nop 0
	buffer_store_dword v38, off, s[20:23], 0 offset:1380 ; 4-byte Folded Spill
	buffer_store_dword v39, off, s[20:23], 0 offset:1384 ; 4-byte Folded Spill
	;; [unrolled: 1-line block ×3, first 2 shown]
	s_and_saveexec_b64 s[2:3], vcc
	s_cbranch_execz .LBB117_208
; %bb.207:
	buffer_load_dword v103, off, s[20:23], 0 offset:192 ; 4-byte Folded Reload
	buffer_load_dword v104, off, s[20:23], 0 offset:196 ; 4-byte Folded Reload
	;; [unrolled: 1-line block ×8, first 2 shown]
	s_waitcnt vmcnt(2)
	v_mul_f64 v[99:100], v[37:38], v[105:106]
	s_waitcnt vmcnt(0)
	v_mul_f64 v[97:98], v[39:40], v[105:106]
	v_fma_f64 v[105:106], v[39:40], v[103:104], v[99:100]
	ds_read2_b64 v[99:102], v125 offset0:46 offset1:47
	v_fma_f64 v[97:98], v[37:38], v[103:104], -v[97:98]
	buffer_load_dword v37, off, s[20:23], 0 offset:176 ; 4-byte Folded Reload
	buffer_load_dword v38, off, s[20:23], 0 offset:180 ; 4-byte Folded Reload
	buffer_load_dword v39, off, s[20:23], 0 offset:184 ; 4-byte Folded Reload
	buffer_load_dword v40, off, s[20:23], 0 offset:188 ; 4-byte Folded Reload
	s_waitcnt lgkmcnt(0)
	v_mul_f64 v[103:104], v[101:102], v[105:106]
	v_fma_f64 v[103:104], v[99:100], v[97:98], -v[103:104]
	v_mul_f64 v[99:100], v[99:100], v[105:106]
	v_fma_f64 v[99:100], v[101:102], v[97:98], v[99:100]
	s_waitcnt vmcnt(2)
	v_add_f64 v[37:38], v[37:38], -v[103:104]
	s_waitcnt vmcnt(0)
	v_add_f64 v[39:40], v[39:40], -v[99:100]
	buffer_store_dword v37, off, s[20:23], 0 offset:176 ; 4-byte Folded Spill
	s_nop 0
	buffer_store_dword v38, off, s[20:23], 0 offset:180 ; 4-byte Folded Spill
	buffer_store_dword v39, off, s[20:23], 0 offset:184 ; 4-byte Folded Spill
	buffer_store_dword v40, off, s[20:23], 0 offset:188 ; 4-byte Folded Spill
	ds_read2_b64 v[99:102], v125 offset0:48 offset1:49
	buffer_load_dword v37, off, s[20:23], 0 offset:160 ; 4-byte Folded Reload
	buffer_load_dword v38, off, s[20:23], 0 offset:164 ; 4-byte Folded Reload
	buffer_load_dword v39, off, s[20:23], 0 offset:168 ; 4-byte Folded Reload
	buffer_load_dword v40, off, s[20:23], 0 offset:172 ; 4-byte Folded Reload
	s_waitcnt lgkmcnt(0)
	v_mul_f64 v[103:104], v[101:102], v[105:106]
	v_fma_f64 v[103:104], v[99:100], v[97:98], -v[103:104]
	v_mul_f64 v[99:100], v[99:100], v[105:106]
	v_fma_f64 v[99:100], v[101:102], v[97:98], v[99:100]
	s_waitcnt vmcnt(2)
	v_add_f64 v[37:38], v[37:38], -v[103:104]
	s_waitcnt vmcnt(0)
	v_add_f64 v[39:40], v[39:40], -v[99:100]
	buffer_store_dword v37, off, s[20:23], 0 offset:160 ; 4-byte Folded Spill
	s_nop 0
	buffer_store_dword v38, off, s[20:23], 0 offset:164 ; 4-byte Folded Spill
	buffer_store_dword v39, off, s[20:23], 0 offset:168 ; 4-byte Folded Spill
	buffer_store_dword v40, off, s[20:23], 0 offset:172 ; 4-byte Folded Spill
	ds_read2_b64 v[99:102], v125 offset0:50 offset1:51
	;; [unrolled: 19-line block ×9, first 2 shown]
	s_waitcnt lgkmcnt(0)
	v_mul_f64 v[103:104], v[101:102], v[105:106]
	v_fma_f64 v[103:104], v[99:100], v[97:98], -v[103:104]
	v_mul_f64 v[99:100], v[99:100], v[105:106]
	v_add_f64 v[93:94], v[93:94], -v[103:104]
	v_fma_f64 v[99:100], v[101:102], v[97:98], v[99:100]
	v_add_f64 v[95:96], v[95:96], -v[99:100]
	ds_read2_b64 v[99:102], v125 offset0:66 offset1:67
	s_waitcnt lgkmcnt(0)
	v_mul_f64 v[103:104], v[101:102], v[105:106]
	v_fma_f64 v[103:104], v[99:100], v[97:98], -v[103:104]
	v_mul_f64 v[99:100], v[99:100], v[105:106]
	v_add_f64 v[109:110], v[109:110], -v[103:104]
	v_fma_f64 v[99:100], v[101:102], v[97:98], v[99:100]
	v_add_f64 v[111:112], v[111:112], -v[99:100]
	ds_read2_b64 v[99:102], v125 offset0:68 offset1:69
	s_waitcnt lgkmcnt(0)
	v_mul_f64 v[103:104], v[101:102], v[105:106]
	v_fma_f64 v[103:104], v[99:100], v[97:98], -v[103:104]
	v_mul_f64 v[99:100], v[99:100], v[105:106]
	v_add_f64 v[121:122], v[121:122], -v[103:104]
	v_fma_f64 v[99:100], v[101:102], v[97:98], v[99:100]
	v_add_f64 v[123:124], v[123:124], -v[99:100]
	ds_read2_b64 v[99:102], v125 offset0:70 offset1:71
	s_waitcnt lgkmcnt(0)
	v_mul_f64 v[103:104], v[101:102], v[105:106]
	v_fma_f64 v[103:104], v[99:100], v[97:98], -v[103:104]
	v_mul_f64 v[99:100], v[99:100], v[105:106]
	v_add_f64 v[113:114], v[113:114], -v[103:104]
	v_fma_f64 v[99:100], v[101:102], v[97:98], v[99:100]
	v_add_f64 v[115:116], v[115:116], -v[99:100]
	ds_read2_b64 v[99:102], v125 offset0:72 offset1:73
	s_waitcnt lgkmcnt(0)
	v_mul_f64 v[103:104], v[101:102], v[105:106]
	v_fma_f64 v[103:104], v[99:100], v[97:98], -v[103:104]
	v_mul_f64 v[99:100], v[99:100], v[105:106]
	v_add_f64 v[89:90], v[89:90], -v[103:104]
	v_fma_f64 v[99:100], v[101:102], v[97:98], v[99:100]
	v_add_f64 v[91:92], v[91:92], -v[99:100]
	ds_read2_b64 v[99:102], v125 offset0:74 offset1:75
	s_waitcnt lgkmcnt(0)
	v_mul_f64 v[103:104], v[101:102], v[105:106]
	v_fma_f64 v[103:104], v[99:100], v[97:98], -v[103:104]
	v_mul_f64 v[99:100], v[99:100], v[105:106]
	v_add_f64 v[81:82], v[81:82], -v[103:104]
	v_fma_f64 v[99:100], v[101:102], v[97:98], v[99:100]
	v_add_f64 v[83:84], v[83:84], -v[99:100]
	ds_read2_b64 v[99:102], v125 offset0:76 offset1:77
	s_waitcnt lgkmcnt(0)
	v_mul_f64 v[103:104], v[101:102], v[105:106]
	v_fma_f64 v[103:104], v[99:100], v[97:98], -v[103:104]
	v_mul_f64 v[99:100], v[99:100], v[105:106]
	v_add_f64 v[77:78], v[77:78], -v[103:104]
	v_fma_f64 v[99:100], v[101:102], v[97:98], v[99:100]
	v_add_f64 v[79:80], v[79:80], -v[99:100]
	ds_read2_b64 v[99:102], v125 offset0:78 offset1:79
	s_waitcnt lgkmcnt(0)
	v_mul_f64 v[103:104], v[101:102], v[105:106]
	v_fma_f64 v[103:104], v[99:100], v[97:98], -v[103:104]
	v_mul_f64 v[99:100], v[99:100], v[105:106]
	v_add_f64 v[73:74], v[73:74], -v[103:104]
	v_fma_f64 v[99:100], v[101:102], v[97:98], v[99:100]
	v_add_f64 v[75:76], v[75:76], -v[99:100]
	ds_read2_b64 v[99:102], v125 offset0:80 offset1:81
	s_waitcnt lgkmcnt(0)
	v_mul_f64 v[103:104], v[101:102], v[105:106]
	v_fma_f64 v[103:104], v[99:100], v[97:98], -v[103:104]
	v_mul_f64 v[99:100], v[99:100], v[105:106]
	v_add_f64 v[69:70], v[69:70], -v[103:104]
	v_fma_f64 v[99:100], v[101:102], v[97:98], v[99:100]
	v_add_f64 v[71:72], v[71:72], -v[99:100]
	ds_read2_b64 v[99:102], v125 offset0:82 offset1:83
	s_waitcnt lgkmcnt(0)
	v_mul_f64 v[103:104], v[101:102], v[105:106]
	v_fma_f64 v[103:104], v[99:100], v[97:98], -v[103:104]
	v_mul_f64 v[99:100], v[99:100], v[105:106]
	v_add_f64 v[65:66], v[65:66], -v[103:104]
	v_fma_f64 v[99:100], v[101:102], v[97:98], v[99:100]
	v_add_f64 v[67:68], v[67:68], -v[99:100]
	ds_read2_b64 v[99:102], v125 offset0:84 offset1:85
	s_waitcnt lgkmcnt(0)
	v_mul_f64 v[103:104], v[101:102], v[105:106]
	v_fma_f64 v[103:104], v[99:100], v[97:98], -v[103:104]
	v_mul_f64 v[99:100], v[99:100], v[105:106]
	v_add_f64 v[61:62], v[61:62], -v[103:104]
	v_fma_f64 v[99:100], v[101:102], v[97:98], v[99:100]
	v_add_f64 v[63:64], v[63:64], -v[99:100]
	ds_read2_b64 v[99:102], v125 offset0:86 offset1:87
	s_waitcnt lgkmcnt(0)
	v_mul_f64 v[103:104], v[101:102], v[105:106]
	v_fma_f64 v[103:104], v[99:100], v[97:98], -v[103:104]
	v_mul_f64 v[99:100], v[99:100], v[105:106]
	v_add_f64 v[57:58], v[57:58], -v[103:104]
	v_fma_f64 v[99:100], v[101:102], v[97:98], v[99:100]
	v_add_f64 v[59:60], v[59:60], -v[99:100]
	ds_read2_b64 v[99:102], v125 offset0:88 offset1:89
	s_waitcnt lgkmcnt(0)
	v_mul_f64 v[103:104], v[101:102], v[105:106]
	v_fma_f64 v[103:104], v[99:100], v[97:98], -v[103:104]
	v_mul_f64 v[99:100], v[99:100], v[105:106]
	v_add_f64 v[53:54], v[53:54], -v[103:104]
	v_fma_f64 v[99:100], v[101:102], v[97:98], v[99:100]
	v_add_f64 v[55:56], v[55:56], -v[99:100]
	ds_read2_b64 v[99:102], v125 offset0:90 offset1:91
	s_waitcnt lgkmcnt(0)
	v_mul_f64 v[103:104], v[101:102], v[105:106]
	v_fma_f64 v[103:104], v[99:100], v[97:98], -v[103:104]
	v_mul_f64 v[99:100], v[99:100], v[105:106]
	v_add_f64 v[49:50], v[49:50], -v[103:104]
	v_fma_f64 v[99:100], v[101:102], v[97:98], v[99:100]
	v_add_f64 v[51:52], v[51:52], -v[99:100]
	ds_read2_b64 v[99:102], v125 offset0:92 offset1:93
	s_waitcnt lgkmcnt(0)
	v_mul_f64 v[103:104], v[101:102], v[105:106]
	v_fma_f64 v[103:104], v[99:100], v[97:98], -v[103:104]
	v_mul_f64 v[99:100], v[99:100], v[105:106]
	v_add_f64 v[45:46], v[45:46], -v[103:104]
	v_fma_f64 v[99:100], v[101:102], v[97:98], v[99:100]
	v_add_f64 v[47:48], v[47:48], -v[99:100]
	ds_read2_b64 v[99:102], v125 offset0:94 offset1:95
	s_waitcnt lgkmcnt(0)
	v_mul_f64 v[103:104], v[101:102], v[105:106]
	v_fma_f64 v[103:104], v[99:100], v[97:98], -v[103:104]
	v_mul_f64 v[99:100], v[99:100], v[105:106]
	v_add_f64 v[41:42], v[41:42], -v[103:104]
	v_fma_f64 v[99:100], v[101:102], v[97:98], v[99:100]
	v_add_f64 v[43:44], v[43:44], -v[99:100]
	ds_read2_b64 v[99:102], v125 offset0:96 offset1:97
	buffer_load_dword v37, off, s[20:23], 0 offset:32 ; 4-byte Folded Reload
	buffer_load_dword v38, off, s[20:23], 0 offset:36 ; 4-byte Folded Reload
	;; [unrolled: 1-line block ×4, first 2 shown]
	s_waitcnt lgkmcnt(0)
	v_mul_f64 v[103:104], v[101:102], v[105:106]
	v_fma_f64 v[103:104], v[99:100], v[97:98], -v[103:104]
	v_mul_f64 v[99:100], v[99:100], v[105:106]
	v_fma_f64 v[99:100], v[101:102], v[97:98], v[99:100]
	s_waitcnt vmcnt(2)
	v_add_f64 v[37:38], v[37:38], -v[103:104]
	s_waitcnt vmcnt(0)
	v_add_f64 v[39:40], v[39:40], -v[99:100]
	buffer_store_dword v37, off, s[20:23], 0 offset:32 ; 4-byte Folded Spill
	s_nop 0
	buffer_store_dword v38, off, s[20:23], 0 offset:36 ; 4-byte Folded Spill
	buffer_store_dword v39, off, s[20:23], 0 offset:40 ; 4-byte Folded Spill
	;; [unrolled: 1-line block ×3, first 2 shown]
	ds_read2_b64 v[99:102], v125 offset0:98 offset1:99
	buffer_load_dword v33, off, s[20:23], 0 offset:16 ; 4-byte Folded Reload
	buffer_load_dword v34, off, s[20:23], 0 offset:20 ; 4-byte Folded Reload
	;; [unrolled: 1-line block ×4, first 2 shown]
	s_waitcnt lgkmcnt(0)
	v_mul_f64 v[103:104], v[101:102], v[105:106]
	v_fma_f64 v[103:104], v[99:100], v[97:98], -v[103:104]
	v_mul_f64 v[99:100], v[99:100], v[105:106]
	v_fma_f64 v[99:100], v[101:102], v[97:98], v[99:100]
	s_waitcnt vmcnt(2)
	v_add_f64 v[33:34], v[33:34], -v[103:104]
	s_waitcnt vmcnt(0)
	v_add_f64 v[35:36], v[35:36], -v[99:100]
	buffer_store_dword v33, off, s[20:23], 0 offset:16 ; 4-byte Folded Spill
	s_nop 0
	buffer_store_dword v34, off, s[20:23], 0 offset:20 ; 4-byte Folded Spill
	buffer_store_dword v35, off, s[20:23], 0 offset:24 ; 4-byte Folded Spill
	;; [unrolled: 1-line block ×3, first 2 shown]
	ds_read2_b64 v[99:102], v125 offset0:100 offset1:101
	s_waitcnt lgkmcnt(0)
	v_mul_f64 v[103:104], v[101:102], v[105:106]
	v_fma_f64 v[103:104], v[99:100], v[97:98], -v[103:104]
	v_mul_f64 v[99:100], v[99:100], v[105:106]
	v_add_f64 v[29:30], v[29:30], -v[103:104]
	v_fma_f64 v[99:100], v[101:102], v[97:98], v[99:100]
	v_add_f64 v[31:32], v[31:32], -v[99:100]
	ds_read2_b64 v[99:102], v125 offset0:102 offset1:103
	s_waitcnt lgkmcnt(0)
	v_mul_f64 v[103:104], v[101:102], v[105:106]
	v_fma_f64 v[103:104], v[99:100], v[97:98], -v[103:104]
	v_mul_f64 v[99:100], v[99:100], v[105:106]
	v_add_f64 v[25:26], v[25:26], -v[103:104]
	v_fma_f64 v[99:100], v[101:102], v[97:98], v[99:100]
	v_add_f64 v[27:28], v[27:28], -v[99:100]
	;; [unrolled: 8-line block ×8, first 2 shown]
	ds_read2_b64 v[99:102], v125 offset0:116 offset1:117
	buffer_load_dword v37, off, s[20:23], 0 ; 4-byte Folded Reload
	buffer_load_dword v38, off, s[20:23], 0 offset:4 ; 4-byte Folded Reload
	buffer_load_dword v39, off, s[20:23], 0 offset:8 ; 4-byte Folded Reload
	buffer_load_dword v40, off, s[20:23], 0 offset:12 ; 4-byte Folded Reload
	s_waitcnt lgkmcnt(0)
	v_mul_f64 v[103:104], v[101:102], v[105:106]
	v_fma_f64 v[103:104], v[99:100], v[97:98], -v[103:104]
	v_mul_f64 v[99:100], v[99:100], v[105:106]
	v_fma_f64 v[99:100], v[101:102], v[97:98], v[99:100]
	s_waitcnt vmcnt(2)
	v_add_f64 v[37:38], v[37:38], -v[103:104]
	v_mov_b32_e32 v104, v98
	s_waitcnt vmcnt(0)
	v_add_f64 v[39:40], v[39:40], -v[99:100]
	v_mov_b32_e32 v103, v97
	buffer_store_dword v37, off, s[20:23], 0 ; 4-byte Folded Spill
	s_nop 0
	buffer_store_dword v38, off, s[20:23], 0 offset:4 ; 4-byte Folded Spill
	buffer_store_dword v39, off, s[20:23], 0 offset:8 ; 4-byte Folded Spill
	;; [unrolled: 1-line block ×4, first 2 shown]
	s_nop 0
	buffer_store_dword v104, off, s[20:23], 0 offset:196 ; 4-byte Folded Spill
	buffer_store_dword v105, off, s[20:23], 0 offset:200 ; 4-byte Folded Spill
	;; [unrolled: 1-line block ×3, first 2 shown]
.LBB117_208:
	s_or_b64 exec, exec, s[2:3]
	v_cmp_eq_u32_e32 vcc, 23, v0
	s_waitcnt vmcnt(0)
	s_barrier
	s_and_saveexec_b64 s[4:5], vcc
	s_cbranch_execz .LBB117_215
; %bb.209:
	buffer_load_dword v37, off, s[20:23], 0 offset:176 ; 4-byte Folded Reload
	buffer_load_dword v38, off, s[20:23], 0 offset:180 ; 4-byte Folded Reload
	;; [unrolled: 1-line block ×4, first 2 shown]
	s_waitcnt vmcnt(0)
	ds_write2_b64 v127, v[37:38], v[39:40] offset1:1
	buffer_load_dword v37, off, s[20:23], 0 offset:160 ; 4-byte Folded Reload
	buffer_load_dword v38, off, s[20:23], 0 offset:164 ; 4-byte Folded Reload
	buffer_load_dword v39, off, s[20:23], 0 offset:168 ; 4-byte Folded Reload
	buffer_load_dword v40, off, s[20:23], 0 offset:172 ; 4-byte Folded Reload
	s_waitcnt vmcnt(0)
	ds_write2_b64 v125, v[37:38], v[39:40] offset0:48 offset1:49
	buffer_load_dword v37, off, s[20:23], 0 offset:144 ; 4-byte Folded Reload
	buffer_load_dword v38, off, s[20:23], 0 offset:148 ; 4-byte Folded Reload
	buffer_load_dword v39, off, s[20:23], 0 offset:152 ; 4-byte Folded Reload
	buffer_load_dword v40, off, s[20:23], 0 offset:156 ; 4-byte Folded Reload
	s_waitcnt vmcnt(0)
	ds_write2_b64 v125, v[37:38], v[39:40] offset0:50 offset1:51
	;; [unrolled: 6-line block ×8, first 2 shown]
	ds_write2_b64 v125, v[93:94], v[95:96] offset0:64 offset1:65
	ds_write2_b64 v125, v[109:110], v[111:112] offset0:66 offset1:67
	ds_write2_b64 v125, v[121:122], v[123:124] offset0:68 offset1:69
	ds_write2_b64 v125, v[113:114], v[115:116] offset0:70 offset1:71
	ds_write2_b64 v125, v[89:90], v[91:92] offset0:72 offset1:73
	ds_write2_b64 v125, v[81:82], v[83:84] offset0:74 offset1:75
	ds_write2_b64 v125, v[77:78], v[79:80] offset0:76 offset1:77
	ds_write2_b64 v125, v[73:74], v[75:76] offset0:78 offset1:79
	ds_write2_b64 v125, v[69:70], v[71:72] offset0:80 offset1:81
	ds_write2_b64 v125, v[65:66], v[67:68] offset0:82 offset1:83
	ds_write2_b64 v125, v[61:62], v[63:64] offset0:84 offset1:85
	ds_write2_b64 v125, v[57:58], v[59:60] offset0:86 offset1:87
	ds_write2_b64 v125, v[53:54], v[55:56] offset0:88 offset1:89
	ds_write2_b64 v125, v[49:50], v[51:52] offset0:90 offset1:91
	ds_write2_b64 v125, v[45:46], v[47:48] offset0:92 offset1:93
	ds_write2_b64 v125, v[41:42], v[43:44] offset0:94 offset1:95
	buffer_load_dword v37, off, s[20:23], 0 offset:32 ; 4-byte Folded Reload
	buffer_load_dword v38, off, s[20:23], 0 offset:36 ; 4-byte Folded Reload
	;; [unrolled: 1-line block ×4, first 2 shown]
	s_waitcnt vmcnt(0)
	ds_write2_b64 v125, v[37:38], v[39:40] offset0:96 offset1:97
	buffer_load_dword v33, off, s[20:23], 0 offset:16 ; 4-byte Folded Reload
	buffer_load_dword v34, off, s[20:23], 0 offset:20 ; 4-byte Folded Reload
	;; [unrolled: 1-line block ×4, first 2 shown]
	s_waitcnt vmcnt(0)
	ds_write2_b64 v125, v[33:34], v[35:36] offset0:98 offset1:99
	ds_write2_b64 v125, v[29:30], v[31:32] offset0:100 offset1:101
	;; [unrolled: 1-line block ×9, first 2 shown]
	buffer_load_dword v37, off, s[20:23], 0 ; 4-byte Folded Reload
	buffer_load_dword v38, off, s[20:23], 0 offset:4 ; 4-byte Folded Reload
	buffer_load_dword v39, off, s[20:23], 0 offset:8 ; 4-byte Folded Reload
	;; [unrolled: 1-line block ×3, first 2 shown]
	s_waitcnt vmcnt(0)
	ds_write2_b64 v125, v[37:38], v[39:40] offset0:116 offset1:117
	ds_read2_b64 v[97:100], v127 offset1:1
	s_waitcnt lgkmcnt(0)
	v_cmp_neq_f64_e32 vcc, 0, v[97:98]
	v_cmp_neq_f64_e64 s[2:3], 0, v[99:100]
	s_or_b64 s[2:3], vcc, s[2:3]
	s_and_b64 exec, exec, s[2:3]
	s_cbranch_execz .LBB117_215
; %bb.210:
	v_cmp_ngt_f64_e64 s[2:3], |v[97:98]|, |v[99:100]|
                                        ; implicit-def: $vgpr101_vgpr102
	s_and_saveexec_b64 s[6:7], s[2:3]
	s_xor_b64 s[2:3], exec, s[6:7]
                                        ; implicit-def: $vgpr103_vgpr104
	s_cbranch_execz .LBB117_212
; %bb.211:
	v_div_scale_f64 v[101:102], s[6:7], v[99:100], v[99:100], v[97:98]
	v_rcp_f64_e32 v[103:104], v[101:102]
	v_fma_f64 v[105:106], -v[101:102], v[103:104], 1.0
	v_fma_f64 v[103:104], v[103:104], v[105:106], v[103:104]
	v_div_scale_f64 v[105:106], vcc, v[97:98], v[99:100], v[97:98]
	v_fma_f64 v[107:108], -v[101:102], v[103:104], 1.0
	v_fma_f64 v[103:104], v[103:104], v[107:108], v[103:104]
	v_mul_f64 v[107:108], v[105:106], v[103:104]
	v_fma_f64 v[101:102], -v[101:102], v[107:108], v[105:106]
	v_div_fmas_f64 v[101:102], v[101:102], v[103:104], v[107:108]
	v_div_fixup_f64 v[101:102], v[101:102], v[99:100], v[97:98]
	v_fma_f64 v[97:98], v[97:98], v[101:102], v[99:100]
	v_div_scale_f64 v[99:100], s[6:7], v[97:98], v[97:98], 1.0
	v_div_scale_f64 v[107:108], vcc, 1.0, v[97:98], 1.0
	v_rcp_f64_e32 v[103:104], v[99:100]
	v_fma_f64 v[105:106], -v[99:100], v[103:104], 1.0
	v_fma_f64 v[103:104], v[103:104], v[105:106], v[103:104]
	v_fma_f64 v[105:106], -v[99:100], v[103:104], 1.0
	v_fma_f64 v[103:104], v[103:104], v[105:106], v[103:104]
	v_mul_f64 v[105:106], v[107:108], v[103:104]
	v_fma_f64 v[99:100], -v[99:100], v[105:106], v[107:108]
	v_div_fmas_f64 v[99:100], v[99:100], v[103:104], v[105:106]
	v_div_fixup_f64 v[103:104], v[99:100], v[97:98], 1.0
                                        ; implicit-def: $vgpr97_vgpr98
	v_mul_f64 v[101:102], v[101:102], v[103:104]
	v_xor_b32_e32 v104, 0x80000000, v104
.LBB117_212:
	s_andn2_saveexec_b64 s[2:3], s[2:3]
	s_cbranch_execz .LBB117_214
; %bb.213:
	v_div_scale_f64 v[101:102], s[6:7], v[97:98], v[97:98], v[99:100]
	v_rcp_f64_e32 v[103:104], v[101:102]
	v_fma_f64 v[105:106], -v[101:102], v[103:104], 1.0
	v_fma_f64 v[103:104], v[103:104], v[105:106], v[103:104]
	v_div_scale_f64 v[105:106], vcc, v[99:100], v[97:98], v[99:100]
	v_fma_f64 v[107:108], -v[101:102], v[103:104], 1.0
	v_fma_f64 v[103:104], v[103:104], v[107:108], v[103:104]
	v_mul_f64 v[107:108], v[105:106], v[103:104]
	v_fma_f64 v[101:102], -v[101:102], v[107:108], v[105:106]
	v_div_fmas_f64 v[101:102], v[101:102], v[103:104], v[107:108]
	v_div_fixup_f64 v[103:104], v[101:102], v[97:98], v[99:100]
	v_fma_f64 v[97:98], v[99:100], v[103:104], v[97:98]
	v_div_scale_f64 v[99:100], s[6:7], v[97:98], v[97:98], 1.0
	v_div_scale_f64 v[107:108], vcc, 1.0, v[97:98], 1.0
	v_rcp_f64_e32 v[101:102], v[99:100]
	v_fma_f64 v[105:106], -v[99:100], v[101:102], 1.0
	v_fma_f64 v[101:102], v[101:102], v[105:106], v[101:102]
	v_fma_f64 v[105:106], -v[99:100], v[101:102], 1.0
	v_fma_f64 v[101:102], v[101:102], v[105:106], v[101:102]
	v_mul_f64 v[105:106], v[107:108], v[101:102]
	v_fma_f64 v[99:100], -v[99:100], v[105:106], v[107:108]
	v_div_fmas_f64 v[99:100], v[99:100], v[101:102], v[105:106]
	v_div_fixup_f64 v[101:102], v[99:100], v[97:98], 1.0
	v_mul_f64 v[103:104], v[103:104], -v[101:102]
.LBB117_214:
	s_or_b64 exec, exec, s[2:3]
	ds_write2_b64 v127, v[101:102], v[103:104] offset1:1
.LBB117_215:
	s_or_b64 exec, exec, s[4:5]
	s_waitcnt lgkmcnt(0)
	s_barrier
	ds_read2_b64 v[37:40], v127 offset1:1
	v_cmp_lt_u32_e32 vcc, 23, v0
	s_waitcnt lgkmcnt(0)
	buffer_store_dword v37, off, s[20:23], 0 offset:1392 ; 4-byte Folded Spill
	s_nop 0
	buffer_store_dword v38, off, s[20:23], 0 offset:1396 ; 4-byte Folded Spill
	buffer_store_dword v39, off, s[20:23], 0 offset:1400 ; 4-byte Folded Spill
	;; [unrolled: 1-line block ×3, first 2 shown]
	s_and_saveexec_b64 s[2:3], vcc
	s_cbranch_execz .LBB117_217
; %bb.216:
	buffer_load_dword v103, off, s[20:23], 0 offset:176 ; 4-byte Folded Reload
	buffer_load_dword v104, off, s[20:23], 0 offset:180 ; 4-byte Folded Reload
	;; [unrolled: 1-line block ×8, first 2 shown]
	s_waitcnt vmcnt(2)
	v_mul_f64 v[99:100], v[37:38], v[105:106]
	s_waitcnt vmcnt(0)
	v_mul_f64 v[97:98], v[39:40], v[105:106]
	v_fma_f64 v[105:106], v[39:40], v[103:104], v[99:100]
	ds_read2_b64 v[99:102], v125 offset0:48 offset1:49
	v_fma_f64 v[97:98], v[37:38], v[103:104], -v[97:98]
	buffer_load_dword v37, off, s[20:23], 0 offset:160 ; 4-byte Folded Reload
	buffer_load_dword v38, off, s[20:23], 0 offset:164 ; 4-byte Folded Reload
	buffer_load_dword v39, off, s[20:23], 0 offset:168 ; 4-byte Folded Reload
	buffer_load_dword v40, off, s[20:23], 0 offset:172 ; 4-byte Folded Reload
	s_waitcnt lgkmcnt(0)
	v_mul_f64 v[103:104], v[101:102], v[105:106]
	v_fma_f64 v[103:104], v[99:100], v[97:98], -v[103:104]
	v_mul_f64 v[99:100], v[99:100], v[105:106]
	v_fma_f64 v[99:100], v[101:102], v[97:98], v[99:100]
	s_waitcnt vmcnt(2)
	v_add_f64 v[37:38], v[37:38], -v[103:104]
	s_waitcnt vmcnt(0)
	v_add_f64 v[39:40], v[39:40], -v[99:100]
	buffer_store_dword v37, off, s[20:23], 0 offset:160 ; 4-byte Folded Spill
	s_nop 0
	buffer_store_dword v38, off, s[20:23], 0 offset:164 ; 4-byte Folded Spill
	buffer_store_dword v39, off, s[20:23], 0 offset:168 ; 4-byte Folded Spill
	buffer_store_dword v40, off, s[20:23], 0 offset:172 ; 4-byte Folded Spill
	ds_read2_b64 v[99:102], v125 offset0:50 offset1:51
	buffer_load_dword v37, off, s[20:23], 0 offset:144 ; 4-byte Folded Reload
	buffer_load_dword v38, off, s[20:23], 0 offset:148 ; 4-byte Folded Reload
	buffer_load_dword v39, off, s[20:23], 0 offset:152 ; 4-byte Folded Reload
	buffer_load_dword v40, off, s[20:23], 0 offset:156 ; 4-byte Folded Reload
	s_waitcnt lgkmcnt(0)
	v_mul_f64 v[103:104], v[101:102], v[105:106]
	v_fma_f64 v[103:104], v[99:100], v[97:98], -v[103:104]
	v_mul_f64 v[99:100], v[99:100], v[105:106]
	v_fma_f64 v[99:100], v[101:102], v[97:98], v[99:100]
	s_waitcnt vmcnt(2)
	v_add_f64 v[37:38], v[37:38], -v[103:104]
	s_waitcnt vmcnt(0)
	v_add_f64 v[39:40], v[39:40], -v[99:100]
	buffer_store_dword v37, off, s[20:23], 0 offset:144 ; 4-byte Folded Spill
	s_nop 0
	buffer_store_dword v38, off, s[20:23], 0 offset:148 ; 4-byte Folded Spill
	buffer_store_dword v39, off, s[20:23], 0 offset:152 ; 4-byte Folded Spill
	buffer_store_dword v40, off, s[20:23], 0 offset:156 ; 4-byte Folded Spill
	ds_read2_b64 v[99:102], v125 offset0:52 offset1:53
	;; [unrolled: 19-line block ×8, first 2 shown]
	s_waitcnt lgkmcnt(0)
	v_mul_f64 v[103:104], v[101:102], v[105:106]
	v_fma_f64 v[103:104], v[99:100], v[97:98], -v[103:104]
	v_mul_f64 v[99:100], v[99:100], v[105:106]
	v_add_f64 v[93:94], v[93:94], -v[103:104]
	v_fma_f64 v[99:100], v[101:102], v[97:98], v[99:100]
	v_add_f64 v[95:96], v[95:96], -v[99:100]
	ds_read2_b64 v[99:102], v125 offset0:66 offset1:67
	s_waitcnt lgkmcnt(0)
	v_mul_f64 v[103:104], v[101:102], v[105:106]
	v_fma_f64 v[103:104], v[99:100], v[97:98], -v[103:104]
	v_mul_f64 v[99:100], v[99:100], v[105:106]
	v_add_f64 v[109:110], v[109:110], -v[103:104]
	v_fma_f64 v[99:100], v[101:102], v[97:98], v[99:100]
	v_add_f64 v[111:112], v[111:112], -v[99:100]
	ds_read2_b64 v[99:102], v125 offset0:68 offset1:69
	;; [unrolled: 8-line block ×16, first 2 shown]
	buffer_load_dword v37, off, s[20:23], 0 offset:32 ; 4-byte Folded Reload
	buffer_load_dword v38, off, s[20:23], 0 offset:36 ; 4-byte Folded Reload
	;; [unrolled: 1-line block ×4, first 2 shown]
	s_waitcnt lgkmcnt(0)
	v_mul_f64 v[103:104], v[101:102], v[105:106]
	v_fma_f64 v[103:104], v[99:100], v[97:98], -v[103:104]
	v_mul_f64 v[99:100], v[99:100], v[105:106]
	v_fma_f64 v[99:100], v[101:102], v[97:98], v[99:100]
	s_waitcnt vmcnt(2)
	v_add_f64 v[37:38], v[37:38], -v[103:104]
	s_waitcnt vmcnt(0)
	v_add_f64 v[39:40], v[39:40], -v[99:100]
	buffer_store_dword v37, off, s[20:23], 0 offset:32 ; 4-byte Folded Spill
	s_nop 0
	buffer_store_dword v38, off, s[20:23], 0 offset:36 ; 4-byte Folded Spill
	buffer_store_dword v39, off, s[20:23], 0 offset:40 ; 4-byte Folded Spill
	;; [unrolled: 1-line block ×3, first 2 shown]
	ds_read2_b64 v[99:102], v125 offset0:98 offset1:99
	buffer_load_dword v33, off, s[20:23], 0 offset:16 ; 4-byte Folded Reload
	buffer_load_dword v34, off, s[20:23], 0 offset:20 ; 4-byte Folded Reload
	buffer_load_dword v35, off, s[20:23], 0 offset:24 ; 4-byte Folded Reload
	buffer_load_dword v36, off, s[20:23], 0 offset:28 ; 4-byte Folded Reload
	s_waitcnt lgkmcnt(0)
	v_mul_f64 v[103:104], v[101:102], v[105:106]
	v_fma_f64 v[103:104], v[99:100], v[97:98], -v[103:104]
	v_mul_f64 v[99:100], v[99:100], v[105:106]
	v_fma_f64 v[99:100], v[101:102], v[97:98], v[99:100]
	s_waitcnt vmcnt(2)
	v_add_f64 v[33:34], v[33:34], -v[103:104]
	s_waitcnt vmcnt(0)
	v_add_f64 v[35:36], v[35:36], -v[99:100]
	buffer_store_dword v33, off, s[20:23], 0 offset:16 ; 4-byte Folded Spill
	s_nop 0
	buffer_store_dword v34, off, s[20:23], 0 offset:20 ; 4-byte Folded Spill
	buffer_store_dword v35, off, s[20:23], 0 offset:24 ; 4-byte Folded Spill
	;; [unrolled: 1-line block ×3, first 2 shown]
	ds_read2_b64 v[99:102], v125 offset0:100 offset1:101
	s_waitcnt lgkmcnt(0)
	v_mul_f64 v[103:104], v[101:102], v[105:106]
	v_fma_f64 v[103:104], v[99:100], v[97:98], -v[103:104]
	v_mul_f64 v[99:100], v[99:100], v[105:106]
	v_add_f64 v[29:30], v[29:30], -v[103:104]
	v_fma_f64 v[99:100], v[101:102], v[97:98], v[99:100]
	v_add_f64 v[31:32], v[31:32], -v[99:100]
	ds_read2_b64 v[99:102], v125 offset0:102 offset1:103
	s_waitcnt lgkmcnt(0)
	v_mul_f64 v[103:104], v[101:102], v[105:106]
	v_fma_f64 v[103:104], v[99:100], v[97:98], -v[103:104]
	v_mul_f64 v[99:100], v[99:100], v[105:106]
	v_add_f64 v[25:26], v[25:26], -v[103:104]
	v_fma_f64 v[99:100], v[101:102], v[97:98], v[99:100]
	v_add_f64 v[27:28], v[27:28], -v[99:100]
	;; [unrolled: 8-line block ×8, first 2 shown]
	ds_read2_b64 v[99:102], v125 offset0:116 offset1:117
	buffer_load_dword v37, off, s[20:23], 0 ; 4-byte Folded Reload
	buffer_load_dword v38, off, s[20:23], 0 offset:4 ; 4-byte Folded Reload
	buffer_load_dword v39, off, s[20:23], 0 offset:8 ; 4-byte Folded Reload
	;; [unrolled: 1-line block ×3, first 2 shown]
	s_waitcnt lgkmcnt(0)
	v_mul_f64 v[103:104], v[101:102], v[105:106]
	v_fma_f64 v[103:104], v[99:100], v[97:98], -v[103:104]
	v_mul_f64 v[99:100], v[99:100], v[105:106]
	v_fma_f64 v[99:100], v[101:102], v[97:98], v[99:100]
	s_waitcnt vmcnt(2)
	v_add_f64 v[37:38], v[37:38], -v[103:104]
	v_mov_b32_e32 v104, v98
	s_waitcnt vmcnt(0)
	v_add_f64 v[39:40], v[39:40], -v[99:100]
	v_mov_b32_e32 v103, v97
	buffer_store_dword v37, off, s[20:23], 0 ; 4-byte Folded Spill
	s_nop 0
	buffer_store_dword v38, off, s[20:23], 0 offset:4 ; 4-byte Folded Spill
	buffer_store_dword v39, off, s[20:23], 0 offset:8 ; 4-byte Folded Spill
	;; [unrolled: 1-line block ×4, first 2 shown]
	s_nop 0
	buffer_store_dword v104, off, s[20:23], 0 offset:180 ; 4-byte Folded Spill
	buffer_store_dword v105, off, s[20:23], 0 offset:184 ; 4-byte Folded Spill
	;; [unrolled: 1-line block ×3, first 2 shown]
.LBB117_217:
	s_or_b64 exec, exec, s[2:3]
	v_cmp_eq_u32_e32 vcc, 24, v0
	s_waitcnt vmcnt(0)
	s_barrier
	s_and_saveexec_b64 s[4:5], vcc
	s_cbranch_execz .LBB117_224
; %bb.218:
	buffer_load_dword v37, off, s[20:23], 0 offset:160 ; 4-byte Folded Reload
	buffer_load_dword v38, off, s[20:23], 0 offset:164 ; 4-byte Folded Reload
	;; [unrolled: 1-line block ×4, first 2 shown]
	s_waitcnt vmcnt(0)
	ds_write2_b64 v127, v[37:38], v[39:40] offset1:1
	buffer_load_dword v37, off, s[20:23], 0 offset:144 ; 4-byte Folded Reload
	buffer_load_dword v38, off, s[20:23], 0 offset:148 ; 4-byte Folded Reload
	buffer_load_dword v39, off, s[20:23], 0 offset:152 ; 4-byte Folded Reload
	buffer_load_dword v40, off, s[20:23], 0 offset:156 ; 4-byte Folded Reload
	s_waitcnt vmcnt(0)
	ds_write2_b64 v125, v[37:38], v[39:40] offset0:50 offset1:51
	buffer_load_dword v37, off, s[20:23], 0 offset:128 ; 4-byte Folded Reload
	buffer_load_dword v38, off, s[20:23], 0 offset:132 ; 4-byte Folded Reload
	buffer_load_dword v39, off, s[20:23], 0 offset:136 ; 4-byte Folded Reload
	buffer_load_dword v40, off, s[20:23], 0 offset:140 ; 4-byte Folded Reload
	s_waitcnt vmcnt(0)
	ds_write2_b64 v125, v[37:38], v[39:40] offset0:52 offset1:53
	;; [unrolled: 6-line block ×7, first 2 shown]
	ds_write2_b64 v125, v[93:94], v[95:96] offset0:64 offset1:65
	ds_write2_b64 v125, v[109:110], v[111:112] offset0:66 offset1:67
	;; [unrolled: 1-line block ×16, first 2 shown]
	buffer_load_dword v37, off, s[20:23], 0 offset:32 ; 4-byte Folded Reload
	buffer_load_dword v38, off, s[20:23], 0 offset:36 ; 4-byte Folded Reload
	;; [unrolled: 1-line block ×4, first 2 shown]
	s_waitcnt vmcnt(0)
	ds_write2_b64 v125, v[37:38], v[39:40] offset0:96 offset1:97
	buffer_load_dword v33, off, s[20:23], 0 offset:16 ; 4-byte Folded Reload
	buffer_load_dword v34, off, s[20:23], 0 offset:20 ; 4-byte Folded Reload
	;; [unrolled: 1-line block ×4, first 2 shown]
	s_waitcnt vmcnt(0)
	ds_write2_b64 v125, v[33:34], v[35:36] offset0:98 offset1:99
	ds_write2_b64 v125, v[29:30], v[31:32] offset0:100 offset1:101
	;; [unrolled: 1-line block ×9, first 2 shown]
	buffer_load_dword v37, off, s[20:23], 0 ; 4-byte Folded Reload
	buffer_load_dword v38, off, s[20:23], 0 offset:4 ; 4-byte Folded Reload
	buffer_load_dword v39, off, s[20:23], 0 offset:8 ; 4-byte Folded Reload
	;; [unrolled: 1-line block ×3, first 2 shown]
	s_waitcnt vmcnt(0)
	ds_write2_b64 v125, v[37:38], v[39:40] offset0:116 offset1:117
	ds_read2_b64 v[97:100], v127 offset1:1
	s_waitcnt lgkmcnt(0)
	v_cmp_neq_f64_e32 vcc, 0, v[97:98]
	v_cmp_neq_f64_e64 s[2:3], 0, v[99:100]
	s_or_b64 s[2:3], vcc, s[2:3]
	s_and_b64 exec, exec, s[2:3]
	s_cbranch_execz .LBB117_224
; %bb.219:
	v_cmp_ngt_f64_e64 s[2:3], |v[97:98]|, |v[99:100]|
                                        ; implicit-def: $vgpr101_vgpr102
	s_and_saveexec_b64 s[6:7], s[2:3]
	s_xor_b64 s[2:3], exec, s[6:7]
                                        ; implicit-def: $vgpr103_vgpr104
	s_cbranch_execz .LBB117_221
; %bb.220:
	v_div_scale_f64 v[101:102], s[6:7], v[99:100], v[99:100], v[97:98]
	v_rcp_f64_e32 v[103:104], v[101:102]
	v_fma_f64 v[105:106], -v[101:102], v[103:104], 1.0
	v_fma_f64 v[103:104], v[103:104], v[105:106], v[103:104]
	v_div_scale_f64 v[105:106], vcc, v[97:98], v[99:100], v[97:98]
	v_fma_f64 v[107:108], -v[101:102], v[103:104], 1.0
	v_fma_f64 v[103:104], v[103:104], v[107:108], v[103:104]
	v_mul_f64 v[107:108], v[105:106], v[103:104]
	v_fma_f64 v[101:102], -v[101:102], v[107:108], v[105:106]
	v_div_fmas_f64 v[101:102], v[101:102], v[103:104], v[107:108]
	v_div_fixup_f64 v[101:102], v[101:102], v[99:100], v[97:98]
	v_fma_f64 v[97:98], v[97:98], v[101:102], v[99:100]
	v_div_scale_f64 v[99:100], s[6:7], v[97:98], v[97:98], 1.0
	v_div_scale_f64 v[107:108], vcc, 1.0, v[97:98], 1.0
	v_rcp_f64_e32 v[103:104], v[99:100]
	v_fma_f64 v[105:106], -v[99:100], v[103:104], 1.0
	v_fma_f64 v[103:104], v[103:104], v[105:106], v[103:104]
	v_fma_f64 v[105:106], -v[99:100], v[103:104], 1.0
	v_fma_f64 v[103:104], v[103:104], v[105:106], v[103:104]
	v_mul_f64 v[105:106], v[107:108], v[103:104]
	v_fma_f64 v[99:100], -v[99:100], v[105:106], v[107:108]
	v_div_fmas_f64 v[99:100], v[99:100], v[103:104], v[105:106]
	v_div_fixup_f64 v[103:104], v[99:100], v[97:98], 1.0
                                        ; implicit-def: $vgpr97_vgpr98
	v_mul_f64 v[101:102], v[101:102], v[103:104]
	v_xor_b32_e32 v104, 0x80000000, v104
.LBB117_221:
	s_andn2_saveexec_b64 s[2:3], s[2:3]
	s_cbranch_execz .LBB117_223
; %bb.222:
	v_div_scale_f64 v[101:102], s[6:7], v[97:98], v[97:98], v[99:100]
	v_rcp_f64_e32 v[103:104], v[101:102]
	v_fma_f64 v[105:106], -v[101:102], v[103:104], 1.0
	v_fma_f64 v[103:104], v[103:104], v[105:106], v[103:104]
	v_div_scale_f64 v[105:106], vcc, v[99:100], v[97:98], v[99:100]
	v_fma_f64 v[107:108], -v[101:102], v[103:104], 1.0
	v_fma_f64 v[103:104], v[103:104], v[107:108], v[103:104]
	v_mul_f64 v[107:108], v[105:106], v[103:104]
	v_fma_f64 v[101:102], -v[101:102], v[107:108], v[105:106]
	v_div_fmas_f64 v[101:102], v[101:102], v[103:104], v[107:108]
	v_div_fixup_f64 v[103:104], v[101:102], v[97:98], v[99:100]
	v_fma_f64 v[97:98], v[99:100], v[103:104], v[97:98]
	v_div_scale_f64 v[99:100], s[6:7], v[97:98], v[97:98], 1.0
	v_div_scale_f64 v[107:108], vcc, 1.0, v[97:98], 1.0
	v_rcp_f64_e32 v[101:102], v[99:100]
	v_fma_f64 v[105:106], -v[99:100], v[101:102], 1.0
	v_fma_f64 v[101:102], v[101:102], v[105:106], v[101:102]
	v_fma_f64 v[105:106], -v[99:100], v[101:102], 1.0
	v_fma_f64 v[101:102], v[101:102], v[105:106], v[101:102]
	v_mul_f64 v[105:106], v[107:108], v[101:102]
	v_fma_f64 v[99:100], -v[99:100], v[105:106], v[107:108]
	v_div_fmas_f64 v[99:100], v[99:100], v[101:102], v[105:106]
	v_div_fixup_f64 v[101:102], v[99:100], v[97:98], 1.0
	v_mul_f64 v[103:104], v[103:104], -v[101:102]
.LBB117_223:
	s_or_b64 exec, exec, s[2:3]
	ds_write2_b64 v127, v[101:102], v[103:104] offset1:1
.LBB117_224:
	s_or_b64 exec, exec, s[4:5]
	s_waitcnt lgkmcnt(0)
	s_barrier
	ds_read2_b64 v[37:40], v127 offset1:1
	v_cmp_lt_u32_e32 vcc, 24, v0
	s_waitcnt lgkmcnt(0)
	buffer_store_dword v37, off, s[20:23], 0 offset:1408 ; 4-byte Folded Spill
	s_nop 0
	buffer_store_dword v38, off, s[20:23], 0 offset:1412 ; 4-byte Folded Spill
	buffer_store_dword v39, off, s[20:23], 0 offset:1416 ; 4-byte Folded Spill
	;; [unrolled: 1-line block ×3, first 2 shown]
	s_and_saveexec_b64 s[2:3], vcc
	s_cbranch_execz .LBB117_226
; %bb.225:
	buffer_load_dword v103, off, s[20:23], 0 offset:160 ; 4-byte Folded Reload
	buffer_load_dword v104, off, s[20:23], 0 offset:164 ; 4-byte Folded Reload
	;; [unrolled: 1-line block ×8, first 2 shown]
	s_waitcnt vmcnt(2)
	v_mul_f64 v[99:100], v[37:38], v[105:106]
	s_waitcnt vmcnt(0)
	v_mul_f64 v[97:98], v[39:40], v[105:106]
	v_fma_f64 v[105:106], v[39:40], v[103:104], v[99:100]
	ds_read2_b64 v[99:102], v125 offset0:50 offset1:51
	v_fma_f64 v[97:98], v[37:38], v[103:104], -v[97:98]
	buffer_load_dword v37, off, s[20:23], 0 offset:144 ; 4-byte Folded Reload
	buffer_load_dword v38, off, s[20:23], 0 offset:148 ; 4-byte Folded Reload
	buffer_load_dword v39, off, s[20:23], 0 offset:152 ; 4-byte Folded Reload
	buffer_load_dword v40, off, s[20:23], 0 offset:156 ; 4-byte Folded Reload
	s_waitcnt lgkmcnt(0)
	v_mul_f64 v[103:104], v[101:102], v[105:106]
	v_fma_f64 v[103:104], v[99:100], v[97:98], -v[103:104]
	v_mul_f64 v[99:100], v[99:100], v[105:106]
	v_fma_f64 v[99:100], v[101:102], v[97:98], v[99:100]
	s_waitcnt vmcnt(2)
	v_add_f64 v[37:38], v[37:38], -v[103:104]
	s_waitcnt vmcnt(0)
	v_add_f64 v[39:40], v[39:40], -v[99:100]
	buffer_store_dword v37, off, s[20:23], 0 offset:144 ; 4-byte Folded Spill
	s_nop 0
	buffer_store_dword v38, off, s[20:23], 0 offset:148 ; 4-byte Folded Spill
	buffer_store_dword v39, off, s[20:23], 0 offset:152 ; 4-byte Folded Spill
	buffer_store_dword v40, off, s[20:23], 0 offset:156 ; 4-byte Folded Spill
	ds_read2_b64 v[99:102], v125 offset0:52 offset1:53
	buffer_load_dword v37, off, s[20:23], 0 offset:128 ; 4-byte Folded Reload
	buffer_load_dword v38, off, s[20:23], 0 offset:132 ; 4-byte Folded Reload
	buffer_load_dword v39, off, s[20:23], 0 offset:136 ; 4-byte Folded Reload
	buffer_load_dword v40, off, s[20:23], 0 offset:140 ; 4-byte Folded Reload
	s_waitcnt lgkmcnt(0)
	v_mul_f64 v[103:104], v[101:102], v[105:106]
	v_fma_f64 v[103:104], v[99:100], v[97:98], -v[103:104]
	v_mul_f64 v[99:100], v[99:100], v[105:106]
	v_fma_f64 v[99:100], v[101:102], v[97:98], v[99:100]
	s_waitcnt vmcnt(2)
	v_add_f64 v[37:38], v[37:38], -v[103:104]
	s_waitcnt vmcnt(0)
	v_add_f64 v[39:40], v[39:40], -v[99:100]
	buffer_store_dword v37, off, s[20:23], 0 offset:128 ; 4-byte Folded Spill
	s_nop 0
	buffer_store_dword v38, off, s[20:23], 0 offset:132 ; 4-byte Folded Spill
	buffer_store_dword v39, off, s[20:23], 0 offset:136 ; 4-byte Folded Spill
	buffer_store_dword v40, off, s[20:23], 0 offset:140 ; 4-byte Folded Spill
	ds_read2_b64 v[99:102], v125 offset0:54 offset1:55
	;; [unrolled: 19-line block ×7, first 2 shown]
	s_waitcnt lgkmcnt(0)
	v_mul_f64 v[103:104], v[101:102], v[105:106]
	v_fma_f64 v[103:104], v[99:100], v[97:98], -v[103:104]
	v_mul_f64 v[99:100], v[99:100], v[105:106]
	v_add_f64 v[93:94], v[93:94], -v[103:104]
	v_fma_f64 v[99:100], v[101:102], v[97:98], v[99:100]
	v_add_f64 v[95:96], v[95:96], -v[99:100]
	ds_read2_b64 v[99:102], v125 offset0:66 offset1:67
	s_waitcnt lgkmcnt(0)
	v_mul_f64 v[103:104], v[101:102], v[105:106]
	v_fma_f64 v[103:104], v[99:100], v[97:98], -v[103:104]
	v_mul_f64 v[99:100], v[99:100], v[105:106]
	v_add_f64 v[109:110], v[109:110], -v[103:104]
	v_fma_f64 v[99:100], v[101:102], v[97:98], v[99:100]
	v_add_f64 v[111:112], v[111:112], -v[99:100]
	ds_read2_b64 v[99:102], v125 offset0:68 offset1:69
	;; [unrolled: 8-line block ×16, first 2 shown]
	buffer_load_dword v37, off, s[20:23], 0 offset:32 ; 4-byte Folded Reload
	buffer_load_dword v38, off, s[20:23], 0 offset:36 ; 4-byte Folded Reload
	;; [unrolled: 1-line block ×4, first 2 shown]
	s_waitcnt lgkmcnt(0)
	v_mul_f64 v[103:104], v[101:102], v[105:106]
	v_fma_f64 v[103:104], v[99:100], v[97:98], -v[103:104]
	v_mul_f64 v[99:100], v[99:100], v[105:106]
	v_fma_f64 v[99:100], v[101:102], v[97:98], v[99:100]
	s_waitcnt vmcnt(2)
	v_add_f64 v[37:38], v[37:38], -v[103:104]
	s_waitcnt vmcnt(0)
	v_add_f64 v[39:40], v[39:40], -v[99:100]
	buffer_store_dword v37, off, s[20:23], 0 offset:32 ; 4-byte Folded Spill
	s_nop 0
	buffer_store_dword v38, off, s[20:23], 0 offset:36 ; 4-byte Folded Spill
	buffer_store_dword v39, off, s[20:23], 0 offset:40 ; 4-byte Folded Spill
	;; [unrolled: 1-line block ×3, first 2 shown]
	ds_read2_b64 v[99:102], v125 offset0:98 offset1:99
	buffer_load_dword v33, off, s[20:23], 0 offset:16 ; 4-byte Folded Reload
	buffer_load_dword v34, off, s[20:23], 0 offset:20 ; 4-byte Folded Reload
	;; [unrolled: 1-line block ×4, first 2 shown]
	s_waitcnt lgkmcnt(0)
	v_mul_f64 v[103:104], v[101:102], v[105:106]
	v_fma_f64 v[103:104], v[99:100], v[97:98], -v[103:104]
	v_mul_f64 v[99:100], v[99:100], v[105:106]
	v_fma_f64 v[99:100], v[101:102], v[97:98], v[99:100]
	s_waitcnt vmcnt(2)
	v_add_f64 v[33:34], v[33:34], -v[103:104]
	s_waitcnt vmcnt(0)
	v_add_f64 v[35:36], v[35:36], -v[99:100]
	buffer_store_dword v33, off, s[20:23], 0 offset:16 ; 4-byte Folded Spill
	s_nop 0
	buffer_store_dword v34, off, s[20:23], 0 offset:20 ; 4-byte Folded Spill
	buffer_store_dword v35, off, s[20:23], 0 offset:24 ; 4-byte Folded Spill
	;; [unrolled: 1-line block ×3, first 2 shown]
	ds_read2_b64 v[99:102], v125 offset0:100 offset1:101
	s_waitcnt lgkmcnt(0)
	v_mul_f64 v[103:104], v[101:102], v[105:106]
	v_fma_f64 v[103:104], v[99:100], v[97:98], -v[103:104]
	v_mul_f64 v[99:100], v[99:100], v[105:106]
	v_add_f64 v[29:30], v[29:30], -v[103:104]
	v_fma_f64 v[99:100], v[101:102], v[97:98], v[99:100]
	v_add_f64 v[31:32], v[31:32], -v[99:100]
	ds_read2_b64 v[99:102], v125 offset0:102 offset1:103
	s_waitcnt lgkmcnt(0)
	v_mul_f64 v[103:104], v[101:102], v[105:106]
	v_fma_f64 v[103:104], v[99:100], v[97:98], -v[103:104]
	v_mul_f64 v[99:100], v[99:100], v[105:106]
	v_add_f64 v[25:26], v[25:26], -v[103:104]
	v_fma_f64 v[99:100], v[101:102], v[97:98], v[99:100]
	v_add_f64 v[27:28], v[27:28], -v[99:100]
	ds_read2_b64 v[99:102], v125 offset0:104 offset1:105
	s_waitcnt lgkmcnt(0)
	v_mul_f64 v[103:104], v[101:102], v[105:106]
	v_fma_f64 v[103:104], v[99:100], v[97:98], -v[103:104]
	v_mul_f64 v[99:100], v[99:100], v[105:106]
	v_add_f64 v[21:22], v[21:22], -v[103:104]
	v_fma_f64 v[99:100], v[101:102], v[97:98], v[99:100]
	v_add_f64 v[23:24], v[23:24], -v[99:100]
	ds_read2_b64 v[99:102], v125 offset0:106 offset1:107
	s_waitcnt lgkmcnt(0)
	v_mul_f64 v[103:104], v[101:102], v[105:106]
	v_fma_f64 v[103:104], v[99:100], v[97:98], -v[103:104]
	v_mul_f64 v[99:100], v[99:100], v[105:106]
	v_add_f64 v[17:18], v[17:18], -v[103:104]
	v_fma_f64 v[99:100], v[101:102], v[97:98], v[99:100]
	v_add_f64 v[19:20], v[19:20], -v[99:100]
	ds_read2_b64 v[99:102], v125 offset0:108 offset1:109
	s_waitcnt lgkmcnt(0)
	v_mul_f64 v[103:104], v[101:102], v[105:106]
	v_fma_f64 v[103:104], v[99:100], v[97:98], -v[103:104]
	v_mul_f64 v[99:100], v[99:100], v[105:106]
	v_add_f64 v[13:14], v[13:14], -v[103:104]
	v_fma_f64 v[99:100], v[101:102], v[97:98], v[99:100]
	v_add_f64 v[15:16], v[15:16], -v[99:100]
	ds_read2_b64 v[99:102], v125 offset0:110 offset1:111
	s_waitcnt lgkmcnt(0)
	v_mul_f64 v[103:104], v[101:102], v[105:106]
	v_fma_f64 v[103:104], v[99:100], v[97:98], -v[103:104]
	v_mul_f64 v[99:100], v[99:100], v[105:106]
	v_add_f64 v[9:10], v[9:10], -v[103:104]
	v_fma_f64 v[99:100], v[101:102], v[97:98], v[99:100]
	v_add_f64 v[11:12], v[11:12], -v[99:100]
	ds_read2_b64 v[99:102], v125 offset0:112 offset1:113
	s_waitcnt lgkmcnt(0)
	v_mul_f64 v[103:104], v[101:102], v[105:106]
	v_fma_f64 v[103:104], v[99:100], v[97:98], -v[103:104]
	v_mul_f64 v[99:100], v[99:100], v[105:106]
	v_add_f64 v[5:6], v[5:6], -v[103:104]
	v_fma_f64 v[99:100], v[101:102], v[97:98], v[99:100]
	v_add_f64 v[7:8], v[7:8], -v[99:100]
	ds_read2_b64 v[99:102], v125 offset0:114 offset1:115
	s_waitcnt lgkmcnt(0)
	v_mul_f64 v[103:104], v[101:102], v[105:106]
	v_fma_f64 v[103:104], v[99:100], v[97:98], -v[103:104]
	v_mul_f64 v[99:100], v[99:100], v[105:106]
	v_add_f64 v[1:2], v[1:2], -v[103:104]
	v_fma_f64 v[99:100], v[101:102], v[97:98], v[99:100]
	v_add_f64 v[3:4], v[3:4], -v[99:100]
	ds_read2_b64 v[99:102], v125 offset0:116 offset1:117
	buffer_load_dword v37, off, s[20:23], 0 ; 4-byte Folded Reload
	buffer_load_dword v38, off, s[20:23], 0 offset:4 ; 4-byte Folded Reload
	buffer_load_dword v39, off, s[20:23], 0 offset:8 ; 4-byte Folded Reload
	;; [unrolled: 1-line block ×3, first 2 shown]
	s_waitcnt lgkmcnt(0)
	v_mul_f64 v[103:104], v[101:102], v[105:106]
	v_fma_f64 v[103:104], v[99:100], v[97:98], -v[103:104]
	v_mul_f64 v[99:100], v[99:100], v[105:106]
	v_fma_f64 v[99:100], v[101:102], v[97:98], v[99:100]
	s_waitcnt vmcnt(2)
	v_add_f64 v[37:38], v[37:38], -v[103:104]
	v_mov_b32_e32 v104, v98
	s_waitcnt vmcnt(0)
	v_add_f64 v[39:40], v[39:40], -v[99:100]
	v_mov_b32_e32 v103, v97
	buffer_store_dword v37, off, s[20:23], 0 ; 4-byte Folded Spill
	s_nop 0
	buffer_store_dword v38, off, s[20:23], 0 offset:4 ; 4-byte Folded Spill
	buffer_store_dword v39, off, s[20:23], 0 offset:8 ; 4-byte Folded Spill
	;; [unrolled: 1-line block ×4, first 2 shown]
	s_nop 0
	buffer_store_dword v104, off, s[20:23], 0 offset:164 ; 4-byte Folded Spill
	buffer_store_dword v105, off, s[20:23], 0 offset:168 ; 4-byte Folded Spill
	;; [unrolled: 1-line block ×3, first 2 shown]
.LBB117_226:
	s_or_b64 exec, exec, s[2:3]
	v_cmp_eq_u32_e32 vcc, 25, v0
	s_waitcnt vmcnt(0)
	s_barrier
	s_and_saveexec_b64 s[4:5], vcc
	s_cbranch_execz .LBB117_233
; %bb.227:
	buffer_load_dword v37, off, s[20:23], 0 offset:144 ; 4-byte Folded Reload
	buffer_load_dword v38, off, s[20:23], 0 offset:148 ; 4-byte Folded Reload
	;; [unrolled: 1-line block ×4, first 2 shown]
	s_waitcnt vmcnt(0)
	ds_write2_b64 v127, v[37:38], v[39:40] offset1:1
	buffer_load_dword v37, off, s[20:23], 0 offset:128 ; 4-byte Folded Reload
	buffer_load_dword v38, off, s[20:23], 0 offset:132 ; 4-byte Folded Reload
	buffer_load_dword v39, off, s[20:23], 0 offset:136 ; 4-byte Folded Reload
	buffer_load_dword v40, off, s[20:23], 0 offset:140 ; 4-byte Folded Reload
	s_waitcnt vmcnt(0)
	ds_write2_b64 v125, v[37:38], v[39:40] offset0:52 offset1:53
	buffer_load_dword v37, off, s[20:23], 0 offset:112 ; 4-byte Folded Reload
	buffer_load_dword v38, off, s[20:23], 0 offset:116 ; 4-byte Folded Reload
	buffer_load_dword v39, off, s[20:23], 0 offset:120 ; 4-byte Folded Reload
	buffer_load_dword v40, off, s[20:23], 0 offset:124 ; 4-byte Folded Reload
	s_waitcnt vmcnt(0)
	ds_write2_b64 v125, v[37:38], v[39:40] offset0:54 offset1:55
	;; [unrolled: 6-line block ×6, first 2 shown]
	ds_write2_b64 v125, v[93:94], v[95:96] offset0:64 offset1:65
	ds_write2_b64 v125, v[109:110], v[111:112] offset0:66 offset1:67
	;; [unrolled: 1-line block ×16, first 2 shown]
	buffer_load_dword v37, off, s[20:23], 0 offset:32 ; 4-byte Folded Reload
	buffer_load_dword v38, off, s[20:23], 0 offset:36 ; 4-byte Folded Reload
	;; [unrolled: 1-line block ×4, first 2 shown]
	s_waitcnt vmcnt(0)
	ds_write2_b64 v125, v[37:38], v[39:40] offset0:96 offset1:97
	buffer_load_dword v33, off, s[20:23], 0 offset:16 ; 4-byte Folded Reload
	buffer_load_dword v34, off, s[20:23], 0 offset:20 ; 4-byte Folded Reload
	;; [unrolled: 1-line block ×4, first 2 shown]
	s_waitcnt vmcnt(0)
	ds_write2_b64 v125, v[33:34], v[35:36] offset0:98 offset1:99
	ds_write2_b64 v125, v[29:30], v[31:32] offset0:100 offset1:101
	ds_write2_b64 v125, v[25:26], v[27:28] offset0:102 offset1:103
	ds_write2_b64 v125, v[21:22], v[23:24] offset0:104 offset1:105
	ds_write2_b64 v125, v[17:18], v[19:20] offset0:106 offset1:107
	ds_write2_b64 v125, v[13:14], v[15:16] offset0:108 offset1:109
	ds_write2_b64 v125, v[9:10], v[11:12] offset0:110 offset1:111
	ds_write2_b64 v125, v[5:6], v[7:8] offset0:112 offset1:113
	ds_write2_b64 v125, v[1:2], v[3:4] offset0:114 offset1:115
	buffer_load_dword v37, off, s[20:23], 0 ; 4-byte Folded Reload
	buffer_load_dword v38, off, s[20:23], 0 offset:4 ; 4-byte Folded Reload
	buffer_load_dword v39, off, s[20:23], 0 offset:8 ; 4-byte Folded Reload
	;; [unrolled: 1-line block ×3, first 2 shown]
	s_waitcnt vmcnt(0)
	ds_write2_b64 v125, v[37:38], v[39:40] offset0:116 offset1:117
	ds_read2_b64 v[97:100], v127 offset1:1
	s_waitcnt lgkmcnt(0)
	v_cmp_neq_f64_e32 vcc, 0, v[97:98]
	v_cmp_neq_f64_e64 s[2:3], 0, v[99:100]
	s_or_b64 s[2:3], vcc, s[2:3]
	s_and_b64 exec, exec, s[2:3]
	s_cbranch_execz .LBB117_233
; %bb.228:
	v_cmp_ngt_f64_e64 s[2:3], |v[97:98]|, |v[99:100]|
                                        ; implicit-def: $vgpr101_vgpr102
	s_and_saveexec_b64 s[6:7], s[2:3]
	s_xor_b64 s[2:3], exec, s[6:7]
                                        ; implicit-def: $vgpr103_vgpr104
	s_cbranch_execz .LBB117_230
; %bb.229:
	v_div_scale_f64 v[101:102], s[6:7], v[99:100], v[99:100], v[97:98]
	v_rcp_f64_e32 v[103:104], v[101:102]
	v_fma_f64 v[105:106], -v[101:102], v[103:104], 1.0
	v_fma_f64 v[103:104], v[103:104], v[105:106], v[103:104]
	v_div_scale_f64 v[105:106], vcc, v[97:98], v[99:100], v[97:98]
	v_fma_f64 v[107:108], -v[101:102], v[103:104], 1.0
	v_fma_f64 v[103:104], v[103:104], v[107:108], v[103:104]
	v_mul_f64 v[107:108], v[105:106], v[103:104]
	v_fma_f64 v[101:102], -v[101:102], v[107:108], v[105:106]
	v_div_fmas_f64 v[101:102], v[101:102], v[103:104], v[107:108]
	v_div_fixup_f64 v[101:102], v[101:102], v[99:100], v[97:98]
	v_fma_f64 v[97:98], v[97:98], v[101:102], v[99:100]
	v_div_scale_f64 v[99:100], s[6:7], v[97:98], v[97:98], 1.0
	v_div_scale_f64 v[107:108], vcc, 1.0, v[97:98], 1.0
	v_rcp_f64_e32 v[103:104], v[99:100]
	v_fma_f64 v[105:106], -v[99:100], v[103:104], 1.0
	v_fma_f64 v[103:104], v[103:104], v[105:106], v[103:104]
	v_fma_f64 v[105:106], -v[99:100], v[103:104], 1.0
	v_fma_f64 v[103:104], v[103:104], v[105:106], v[103:104]
	v_mul_f64 v[105:106], v[107:108], v[103:104]
	v_fma_f64 v[99:100], -v[99:100], v[105:106], v[107:108]
	v_div_fmas_f64 v[99:100], v[99:100], v[103:104], v[105:106]
	v_div_fixup_f64 v[103:104], v[99:100], v[97:98], 1.0
                                        ; implicit-def: $vgpr97_vgpr98
	v_mul_f64 v[101:102], v[101:102], v[103:104]
	v_xor_b32_e32 v104, 0x80000000, v104
.LBB117_230:
	s_andn2_saveexec_b64 s[2:3], s[2:3]
	s_cbranch_execz .LBB117_232
; %bb.231:
	v_div_scale_f64 v[101:102], s[6:7], v[97:98], v[97:98], v[99:100]
	v_rcp_f64_e32 v[103:104], v[101:102]
	v_fma_f64 v[105:106], -v[101:102], v[103:104], 1.0
	v_fma_f64 v[103:104], v[103:104], v[105:106], v[103:104]
	v_div_scale_f64 v[105:106], vcc, v[99:100], v[97:98], v[99:100]
	v_fma_f64 v[107:108], -v[101:102], v[103:104], 1.0
	v_fma_f64 v[103:104], v[103:104], v[107:108], v[103:104]
	v_mul_f64 v[107:108], v[105:106], v[103:104]
	v_fma_f64 v[101:102], -v[101:102], v[107:108], v[105:106]
	v_div_fmas_f64 v[101:102], v[101:102], v[103:104], v[107:108]
	v_div_fixup_f64 v[103:104], v[101:102], v[97:98], v[99:100]
	v_fma_f64 v[97:98], v[99:100], v[103:104], v[97:98]
	v_div_scale_f64 v[99:100], s[6:7], v[97:98], v[97:98], 1.0
	v_div_scale_f64 v[107:108], vcc, 1.0, v[97:98], 1.0
	v_rcp_f64_e32 v[101:102], v[99:100]
	v_fma_f64 v[105:106], -v[99:100], v[101:102], 1.0
	v_fma_f64 v[101:102], v[101:102], v[105:106], v[101:102]
	v_fma_f64 v[105:106], -v[99:100], v[101:102], 1.0
	v_fma_f64 v[101:102], v[101:102], v[105:106], v[101:102]
	v_mul_f64 v[105:106], v[107:108], v[101:102]
	v_fma_f64 v[99:100], -v[99:100], v[105:106], v[107:108]
	v_div_fmas_f64 v[99:100], v[99:100], v[101:102], v[105:106]
	v_div_fixup_f64 v[101:102], v[99:100], v[97:98], 1.0
	v_mul_f64 v[103:104], v[103:104], -v[101:102]
.LBB117_232:
	s_or_b64 exec, exec, s[2:3]
	ds_write2_b64 v127, v[101:102], v[103:104] offset1:1
.LBB117_233:
	s_or_b64 exec, exec, s[4:5]
	s_waitcnt lgkmcnt(0)
	s_barrier
	ds_read2_b64 v[37:40], v127 offset1:1
	v_cmp_lt_u32_e32 vcc, 25, v0
	s_waitcnt lgkmcnt(0)
	buffer_store_dword v37, off, s[20:23], 0 offset:1424 ; 4-byte Folded Spill
	s_nop 0
	buffer_store_dword v38, off, s[20:23], 0 offset:1428 ; 4-byte Folded Spill
	buffer_store_dword v39, off, s[20:23], 0 offset:1432 ; 4-byte Folded Spill
	;; [unrolled: 1-line block ×3, first 2 shown]
	s_and_saveexec_b64 s[2:3], vcc
	s_cbranch_execz .LBB117_235
; %bb.234:
	buffer_load_dword v103, off, s[20:23], 0 offset:144 ; 4-byte Folded Reload
	buffer_load_dword v104, off, s[20:23], 0 offset:148 ; 4-byte Folded Reload
	;; [unrolled: 1-line block ×8, first 2 shown]
	s_waitcnt vmcnt(2)
	v_mul_f64 v[99:100], v[37:38], v[105:106]
	s_waitcnt vmcnt(0)
	v_mul_f64 v[97:98], v[39:40], v[105:106]
	v_fma_f64 v[105:106], v[39:40], v[103:104], v[99:100]
	ds_read2_b64 v[99:102], v125 offset0:52 offset1:53
	v_fma_f64 v[97:98], v[37:38], v[103:104], -v[97:98]
	buffer_load_dword v37, off, s[20:23], 0 offset:128 ; 4-byte Folded Reload
	buffer_load_dword v38, off, s[20:23], 0 offset:132 ; 4-byte Folded Reload
	buffer_load_dword v39, off, s[20:23], 0 offset:136 ; 4-byte Folded Reload
	buffer_load_dword v40, off, s[20:23], 0 offset:140 ; 4-byte Folded Reload
	s_waitcnt lgkmcnt(0)
	v_mul_f64 v[103:104], v[101:102], v[105:106]
	v_fma_f64 v[103:104], v[99:100], v[97:98], -v[103:104]
	v_mul_f64 v[99:100], v[99:100], v[105:106]
	v_fma_f64 v[99:100], v[101:102], v[97:98], v[99:100]
	s_waitcnt vmcnt(2)
	v_add_f64 v[37:38], v[37:38], -v[103:104]
	s_waitcnt vmcnt(0)
	v_add_f64 v[39:40], v[39:40], -v[99:100]
	buffer_store_dword v37, off, s[20:23], 0 offset:128 ; 4-byte Folded Spill
	s_nop 0
	buffer_store_dword v38, off, s[20:23], 0 offset:132 ; 4-byte Folded Spill
	buffer_store_dword v39, off, s[20:23], 0 offset:136 ; 4-byte Folded Spill
	buffer_store_dword v40, off, s[20:23], 0 offset:140 ; 4-byte Folded Spill
	ds_read2_b64 v[99:102], v125 offset0:54 offset1:55
	buffer_load_dword v37, off, s[20:23], 0 offset:112 ; 4-byte Folded Reload
	buffer_load_dword v38, off, s[20:23], 0 offset:116 ; 4-byte Folded Reload
	buffer_load_dword v39, off, s[20:23], 0 offset:120 ; 4-byte Folded Reload
	buffer_load_dword v40, off, s[20:23], 0 offset:124 ; 4-byte Folded Reload
	s_waitcnt lgkmcnt(0)
	v_mul_f64 v[103:104], v[101:102], v[105:106]
	v_fma_f64 v[103:104], v[99:100], v[97:98], -v[103:104]
	v_mul_f64 v[99:100], v[99:100], v[105:106]
	v_fma_f64 v[99:100], v[101:102], v[97:98], v[99:100]
	s_waitcnt vmcnt(2)
	v_add_f64 v[37:38], v[37:38], -v[103:104]
	s_waitcnt vmcnt(0)
	v_add_f64 v[39:40], v[39:40], -v[99:100]
	buffer_store_dword v37, off, s[20:23], 0 offset:112 ; 4-byte Folded Spill
	s_nop 0
	buffer_store_dword v38, off, s[20:23], 0 offset:116 ; 4-byte Folded Spill
	buffer_store_dword v39, off, s[20:23], 0 offset:120 ; 4-byte Folded Spill
	buffer_store_dword v40, off, s[20:23], 0 offset:124 ; 4-byte Folded Spill
	ds_read2_b64 v[99:102], v125 offset0:56 offset1:57
	;; [unrolled: 19-line block ×6, first 2 shown]
	s_waitcnt lgkmcnt(0)
	v_mul_f64 v[103:104], v[101:102], v[105:106]
	v_fma_f64 v[103:104], v[99:100], v[97:98], -v[103:104]
	v_mul_f64 v[99:100], v[99:100], v[105:106]
	v_add_f64 v[93:94], v[93:94], -v[103:104]
	v_fma_f64 v[99:100], v[101:102], v[97:98], v[99:100]
	v_add_f64 v[95:96], v[95:96], -v[99:100]
	ds_read2_b64 v[99:102], v125 offset0:66 offset1:67
	s_waitcnt lgkmcnt(0)
	v_mul_f64 v[103:104], v[101:102], v[105:106]
	v_fma_f64 v[103:104], v[99:100], v[97:98], -v[103:104]
	v_mul_f64 v[99:100], v[99:100], v[105:106]
	v_add_f64 v[109:110], v[109:110], -v[103:104]
	v_fma_f64 v[99:100], v[101:102], v[97:98], v[99:100]
	v_add_f64 v[111:112], v[111:112], -v[99:100]
	ds_read2_b64 v[99:102], v125 offset0:68 offset1:69
	;; [unrolled: 8-line block ×16, first 2 shown]
	buffer_load_dword v37, off, s[20:23], 0 offset:32 ; 4-byte Folded Reload
	buffer_load_dword v38, off, s[20:23], 0 offset:36 ; 4-byte Folded Reload
	;; [unrolled: 1-line block ×4, first 2 shown]
	s_waitcnt lgkmcnt(0)
	v_mul_f64 v[103:104], v[101:102], v[105:106]
	v_fma_f64 v[103:104], v[99:100], v[97:98], -v[103:104]
	v_mul_f64 v[99:100], v[99:100], v[105:106]
	v_fma_f64 v[99:100], v[101:102], v[97:98], v[99:100]
	s_waitcnt vmcnt(2)
	v_add_f64 v[37:38], v[37:38], -v[103:104]
	s_waitcnt vmcnt(0)
	v_add_f64 v[39:40], v[39:40], -v[99:100]
	buffer_store_dword v37, off, s[20:23], 0 offset:32 ; 4-byte Folded Spill
	s_nop 0
	buffer_store_dword v38, off, s[20:23], 0 offset:36 ; 4-byte Folded Spill
	buffer_store_dword v39, off, s[20:23], 0 offset:40 ; 4-byte Folded Spill
	;; [unrolled: 1-line block ×3, first 2 shown]
	ds_read2_b64 v[99:102], v125 offset0:98 offset1:99
	buffer_load_dword v33, off, s[20:23], 0 offset:16 ; 4-byte Folded Reload
	buffer_load_dword v34, off, s[20:23], 0 offset:20 ; 4-byte Folded Reload
	;; [unrolled: 1-line block ×4, first 2 shown]
	s_waitcnt lgkmcnt(0)
	v_mul_f64 v[103:104], v[101:102], v[105:106]
	v_fma_f64 v[103:104], v[99:100], v[97:98], -v[103:104]
	v_mul_f64 v[99:100], v[99:100], v[105:106]
	v_fma_f64 v[99:100], v[101:102], v[97:98], v[99:100]
	s_waitcnt vmcnt(2)
	v_add_f64 v[33:34], v[33:34], -v[103:104]
	s_waitcnt vmcnt(0)
	v_add_f64 v[35:36], v[35:36], -v[99:100]
	buffer_store_dword v33, off, s[20:23], 0 offset:16 ; 4-byte Folded Spill
	s_nop 0
	buffer_store_dword v34, off, s[20:23], 0 offset:20 ; 4-byte Folded Spill
	buffer_store_dword v35, off, s[20:23], 0 offset:24 ; 4-byte Folded Spill
	;; [unrolled: 1-line block ×3, first 2 shown]
	ds_read2_b64 v[99:102], v125 offset0:100 offset1:101
	s_waitcnt lgkmcnt(0)
	v_mul_f64 v[103:104], v[101:102], v[105:106]
	v_fma_f64 v[103:104], v[99:100], v[97:98], -v[103:104]
	v_mul_f64 v[99:100], v[99:100], v[105:106]
	v_add_f64 v[29:30], v[29:30], -v[103:104]
	v_fma_f64 v[99:100], v[101:102], v[97:98], v[99:100]
	v_add_f64 v[31:32], v[31:32], -v[99:100]
	ds_read2_b64 v[99:102], v125 offset0:102 offset1:103
	s_waitcnt lgkmcnt(0)
	v_mul_f64 v[103:104], v[101:102], v[105:106]
	v_fma_f64 v[103:104], v[99:100], v[97:98], -v[103:104]
	v_mul_f64 v[99:100], v[99:100], v[105:106]
	v_add_f64 v[25:26], v[25:26], -v[103:104]
	v_fma_f64 v[99:100], v[101:102], v[97:98], v[99:100]
	v_add_f64 v[27:28], v[27:28], -v[99:100]
	;; [unrolled: 8-line block ×8, first 2 shown]
	ds_read2_b64 v[99:102], v125 offset0:116 offset1:117
	buffer_load_dword v37, off, s[20:23], 0 ; 4-byte Folded Reload
	buffer_load_dword v38, off, s[20:23], 0 offset:4 ; 4-byte Folded Reload
	buffer_load_dword v39, off, s[20:23], 0 offset:8 ; 4-byte Folded Reload
	;; [unrolled: 1-line block ×3, first 2 shown]
	s_waitcnt lgkmcnt(0)
	v_mul_f64 v[103:104], v[101:102], v[105:106]
	v_fma_f64 v[103:104], v[99:100], v[97:98], -v[103:104]
	v_mul_f64 v[99:100], v[99:100], v[105:106]
	v_fma_f64 v[99:100], v[101:102], v[97:98], v[99:100]
	s_waitcnt vmcnt(2)
	v_add_f64 v[37:38], v[37:38], -v[103:104]
	v_mov_b32_e32 v104, v98
	s_waitcnt vmcnt(0)
	v_add_f64 v[39:40], v[39:40], -v[99:100]
	v_mov_b32_e32 v103, v97
	buffer_store_dword v37, off, s[20:23], 0 ; 4-byte Folded Spill
	s_nop 0
	buffer_store_dword v38, off, s[20:23], 0 offset:4 ; 4-byte Folded Spill
	buffer_store_dword v39, off, s[20:23], 0 offset:8 ; 4-byte Folded Spill
	;; [unrolled: 1-line block ×4, first 2 shown]
	s_nop 0
	buffer_store_dword v104, off, s[20:23], 0 offset:148 ; 4-byte Folded Spill
	buffer_store_dword v105, off, s[20:23], 0 offset:152 ; 4-byte Folded Spill
	;; [unrolled: 1-line block ×3, first 2 shown]
.LBB117_235:
	s_or_b64 exec, exec, s[2:3]
	v_cmp_eq_u32_e32 vcc, 26, v0
	s_waitcnt vmcnt(0)
	s_barrier
	s_and_saveexec_b64 s[4:5], vcc
	s_cbranch_execz .LBB117_242
; %bb.236:
	buffer_load_dword v37, off, s[20:23], 0 offset:128 ; 4-byte Folded Reload
	buffer_load_dword v38, off, s[20:23], 0 offset:132 ; 4-byte Folded Reload
	;; [unrolled: 1-line block ×4, first 2 shown]
	s_waitcnt vmcnt(0)
	ds_write2_b64 v127, v[37:38], v[39:40] offset1:1
	buffer_load_dword v37, off, s[20:23], 0 offset:112 ; 4-byte Folded Reload
	buffer_load_dword v38, off, s[20:23], 0 offset:116 ; 4-byte Folded Reload
	buffer_load_dword v39, off, s[20:23], 0 offset:120 ; 4-byte Folded Reload
	buffer_load_dword v40, off, s[20:23], 0 offset:124 ; 4-byte Folded Reload
	s_waitcnt vmcnt(0)
	ds_write2_b64 v125, v[37:38], v[39:40] offset0:54 offset1:55
	buffer_load_dword v37, off, s[20:23], 0 offset:96 ; 4-byte Folded Reload
	buffer_load_dword v38, off, s[20:23], 0 offset:100 ; 4-byte Folded Reload
	buffer_load_dword v39, off, s[20:23], 0 offset:104 ; 4-byte Folded Reload
	buffer_load_dword v40, off, s[20:23], 0 offset:108 ; 4-byte Folded Reload
	s_waitcnt vmcnt(0)
	ds_write2_b64 v125, v[37:38], v[39:40] offset0:56 offset1:57
	;; [unrolled: 6-line block ×5, first 2 shown]
	ds_write2_b64 v125, v[93:94], v[95:96] offset0:64 offset1:65
	ds_write2_b64 v125, v[109:110], v[111:112] offset0:66 offset1:67
	;; [unrolled: 1-line block ×16, first 2 shown]
	buffer_load_dword v37, off, s[20:23], 0 offset:32 ; 4-byte Folded Reload
	buffer_load_dword v38, off, s[20:23], 0 offset:36 ; 4-byte Folded Reload
	;; [unrolled: 1-line block ×4, first 2 shown]
	s_waitcnt vmcnt(0)
	ds_write2_b64 v125, v[37:38], v[39:40] offset0:96 offset1:97
	buffer_load_dword v33, off, s[20:23], 0 offset:16 ; 4-byte Folded Reload
	buffer_load_dword v34, off, s[20:23], 0 offset:20 ; 4-byte Folded Reload
	;; [unrolled: 1-line block ×4, first 2 shown]
	s_waitcnt vmcnt(0)
	ds_write2_b64 v125, v[33:34], v[35:36] offset0:98 offset1:99
	ds_write2_b64 v125, v[29:30], v[31:32] offset0:100 offset1:101
	;; [unrolled: 1-line block ×9, first 2 shown]
	buffer_load_dword v37, off, s[20:23], 0 ; 4-byte Folded Reload
	buffer_load_dword v38, off, s[20:23], 0 offset:4 ; 4-byte Folded Reload
	buffer_load_dword v39, off, s[20:23], 0 offset:8 ; 4-byte Folded Reload
	;; [unrolled: 1-line block ×3, first 2 shown]
	s_waitcnt vmcnt(0)
	ds_write2_b64 v125, v[37:38], v[39:40] offset0:116 offset1:117
	ds_read2_b64 v[97:100], v127 offset1:1
	s_waitcnt lgkmcnt(0)
	v_cmp_neq_f64_e32 vcc, 0, v[97:98]
	v_cmp_neq_f64_e64 s[2:3], 0, v[99:100]
	s_or_b64 s[2:3], vcc, s[2:3]
	s_and_b64 exec, exec, s[2:3]
	s_cbranch_execz .LBB117_242
; %bb.237:
	v_cmp_ngt_f64_e64 s[2:3], |v[97:98]|, |v[99:100]|
                                        ; implicit-def: $vgpr101_vgpr102
	s_and_saveexec_b64 s[6:7], s[2:3]
	s_xor_b64 s[2:3], exec, s[6:7]
                                        ; implicit-def: $vgpr103_vgpr104
	s_cbranch_execz .LBB117_239
; %bb.238:
	v_div_scale_f64 v[101:102], s[6:7], v[99:100], v[99:100], v[97:98]
	v_rcp_f64_e32 v[103:104], v[101:102]
	v_fma_f64 v[105:106], -v[101:102], v[103:104], 1.0
	v_fma_f64 v[103:104], v[103:104], v[105:106], v[103:104]
	v_div_scale_f64 v[105:106], vcc, v[97:98], v[99:100], v[97:98]
	v_fma_f64 v[107:108], -v[101:102], v[103:104], 1.0
	v_fma_f64 v[103:104], v[103:104], v[107:108], v[103:104]
	v_mul_f64 v[107:108], v[105:106], v[103:104]
	v_fma_f64 v[101:102], -v[101:102], v[107:108], v[105:106]
	v_div_fmas_f64 v[101:102], v[101:102], v[103:104], v[107:108]
	v_div_fixup_f64 v[101:102], v[101:102], v[99:100], v[97:98]
	v_fma_f64 v[97:98], v[97:98], v[101:102], v[99:100]
	v_div_scale_f64 v[99:100], s[6:7], v[97:98], v[97:98], 1.0
	v_div_scale_f64 v[107:108], vcc, 1.0, v[97:98], 1.0
	v_rcp_f64_e32 v[103:104], v[99:100]
	v_fma_f64 v[105:106], -v[99:100], v[103:104], 1.0
	v_fma_f64 v[103:104], v[103:104], v[105:106], v[103:104]
	v_fma_f64 v[105:106], -v[99:100], v[103:104], 1.0
	v_fma_f64 v[103:104], v[103:104], v[105:106], v[103:104]
	v_mul_f64 v[105:106], v[107:108], v[103:104]
	v_fma_f64 v[99:100], -v[99:100], v[105:106], v[107:108]
	v_div_fmas_f64 v[99:100], v[99:100], v[103:104], v[105:106]
	v_div_fixup_f64 v[103:104], v[99:100], v[97:98], 1.0
                                        ; implicit-def: $vgpr97_vgpr98
	v_mul_f64 v[101:102], v[101:102], v[103:104]
	v_xor_b32_e32 v104, 0x80000000, v104
.LBB117_239:
	s_andn2_saveexec_b64 s[2:3], s[2:3]
	s_cbranch_execz .LBB117_241
; %bb.240:
	v_div_scale_f64 v[101:102], s[6:7], v[97:98], v[97:98], v[99:100]
	v_rcp_f64_e32 v[103:104], v[101:102]
	v_fma_f64 v[105:106], -v[101:102], v[103:104], 1.0
	v_fma_f64 v[103:104], v[103:104], v[105:106], v[103:104]
	v_div_scale_f64 v[105:106], vcc, v[99:100], v[97:98], v[99:100]
	v_fma_f64 v[107:108], -v[101:102], v[103:104], 1.0
	v_fma_f64 v[103:104], v[103:104], v[107:108], v[103:104]
	v_mul_f64 v[107:108], v[105:106], v[103:104]
	v_fma_f64 v[101:102], -v[101:102], v[107:108], v[105:106]
	v_div_fmas_f64 v[101:102], v[101:102], v[103:104], v[107:108]
	v_div_fixup_f64 v[103:104], v[101:102], v[97:98], v[99:100]
	v_fma_f64 v[97:98], v[99:100], v[103:104], v[97:98]
	v_div_scale_f64 v[99:100], s[6:7], v[97:98], v[97:98], 1.0
	v_div_scale_f64 v[107:108], vcc, 1.0, v[97:98], 1.0
	v_rcp_f64_e32 v[101:102], v[99:100]
	v_fma_f64 v[105:106], -v[99:100], v[101:102], 1.0
	v_fma_f64 v[101:102], v[101:102], v[105:106], v[101:102]
	v_fma_f64 v[105:106], -v[99:100], v[101:102], 1.0
	v_fma_f64 v[101:102], v[101:102], v[105:106], v[101:102]
	v_mul_f64 v[105:106], v[107:108], v[101:102]
	v_fma_f64 v[99:100], -v[99:100], v[105:106], v[107:108]
	v_div_fmas_f64 v[99:100], v[99:100], v[101:102], v[105:106]
	v_div_fixup_f64 v[101:102], v[99:100], v[97:98], 1.0
	v_mul_f64 v[103:104], v[103:104], -v[101:102]
.LBB117_241:
	s_or_b64 exec, exec, s[2:3]
	ds_write2_b64 v127, v[101:102], v[103:104] offset1:1
.LBB117_242:
	s_or_b64 exec, exec, s[4:5]
	s_waitcnt lgkmcnt(0)
	s_barrier
	ds_read2_b64 v[37:40], v127 offset1:1
	v_cmp_lt_u32_e32 vcc, 26, v0
	s_waitcnt lgkmcnt(0)
	buffer_store_dword v37, off, s[20:23], 0 offset:1440 ; 4-byte Folded Spill
	s_nop 0
	buffer_store_dword v38, off, s[20:23], 0 offset:1444 ; 4-byte Folded Spill
	buffer_store_dword v39, off, s[20:23], 0 offset:1448 ; 4-byte Folded Spill
	;; [unrolled: 1-line block ×3, first 2 shown]
	s_and_saveexec_b64 s[2:3], vcc
	s_cbranch_execz .LBB117_244
; %bb.243:
	buffer_load_dword v103, off, s[20:23], 0 offset:128 ; 4-byte Folded Reload
	buffer_load_dword v104, off, s[20:23], 0 offset:132 ; 4-byte Folded Reload
	buffer_load_dword v105, off, s[20:23], 0 offset:136 ; 4-byte Folded Reload
	buffer_load_dword v106, off, s[20:23], 0 offset:140 ; 4-byte Folded Reload
	buffer_load_dword v37, off, s[20:23], 0 offset:1440 ; 4-byte Folded Reload
	buffer_load_dword v38, off, s[20:23], 0 offset:1444 ; 4-byte Folded Reload
	buffer_load_dword v39, off, s[20:23], 0 offset:1448 ; 4-byte Folded Reload
	buffer_load_dword v40, off, s[20:23], 0 offset:1452 ; 4-byte Folded Reload
	s_waitcnt vmcnt(2)
	v_mul_f64 v[99:100], v[37:38], v[105:106]
	s_waitcnt vmcnt(0)
	v_mul_f64 v[97:98], v[39:40], v[105:106]
	v_fma_f64 v[105:106], v[39:40], v[103:104], v[99:100]
	ds_read2_b64 v[99:102], v125 offset0:54 offset1:55
	v_fma_f64 v[97:98], v[37:38], v[103:104], -v[97:98]
	buffer_load_dword v37, off, s[20:23], 0 offset:112 ; 4-byte Folded Reload
	buffer_load_dword v38, off, s[20:23], 0 offset:116 ; 4-byte Folded Reload
	buffer_load_dword v39, off, s[20:23], 0 offset:120 ; 4-byte Folded Reload
	buffer_load_dword v40, off, s[20:23], 0 offset:124 ; 4-byte Folded Reload
	s_waitcnt lgkmcnt(0)
	v_mul_f64 v[103:104], v[101:102], v[105:106]
	v_fma_f64 v[103:104], v[99:100], v[97:98], -v[103:104]
	v_mul_f64 v[99:100], v[99:100], v[105:106]
	v_fma_f64 v[99:100], v[101:102], v[97:98], v[99:100]
	s_waitcnt vmcnt(2)
	v_add_f64 v[37:38], v[37:38], -v[103:104]
	s_waitcnt vmcnt(0)
	v_add_f64 v[39:40], v[39:40], -v[99:100]
	buffer_store_dword v37, off, s[20:23], 0 offset:112 ; 4-byte Folded Spill
	s_nop 0
	buffer_store_dword v38, off, s[20:23], 0 offset:116 ; 4-byte Folded Spill
	buffer_store_dword v39, off, s[20:23], 0 offset:120 ; 4-byte Folded Spill
	buffer_store_dword v40, off, s[20:23], 0 offset:124 ; 4-byte Folded Spill
	ds_read2_b64 v[99:102], v125 offset0:56 offset1:57
	buffer_load_dword v37, off, s[20:23], 0 offset:96 ; 4-byte Folded Reload
	buffer_load_dword v38, off, s[20:23], 0 offset:100 ; 4-byte Folded Reload
	buffer_load_dword v39, off, s[20:23], 0 offset:104 ; 4-byte Folded Reload
	buffer_load_dword v40, off, s[20:23], 0 offset:108 ; 4-byte Folded Reload
	s_waitcnt lgkmcnt(0)
	v_mul_f64 v[103:104], v[101:102], v[105:106]
	v_fma_f64 v[103:104], v[99:100], v[97:98], -v[103:104]
	v_mul_f64 v[99:100], v[99:100], v[105:106]
	v_fma_f64 v[99:100], v[101:102], v[97:98], v[99:100]
	s_waitcnt vmcnt(2)
	v_add_f64 v[37:38], v[37:38], -v[103:104]
	s_waitcnt vmcnt(0)
	v_add_f64 v[39:40], v[39:40], -v[99:100]
	buffer_store_dword v37, off, s[20:23], 0 offset:96 ; 4-byte Folded Spill
	s_nop 0
	buffer_store_dword v38, off, s[20:23], 0 offset:100 ; 4-byte Folded Spill
	buffer_store_dword v39, off, s[20:23], 0 offset:104 ; 4-byte Folded Spill
	buffer_store_dword v40, off, s[20:23], 0 offset:108 ; 4-byte Folded Spill
	ds_read2_b64 v[99:102], v125 offset0:58 offset1:59
	;; [unrolled: 19-line block ×5, first 2 shown]
	s_waitcnt lgkmcnt(0)
	v_mul_f64 v[103:104], v[101:102], v[105:106]
	v_fma_f64 v[103:104], v[99:100], v[97:98], -v[103:104]
	v_mul_f64 v[99:100], v[99:100], v[105:106]
	v_add_f64 v[93:94], v[93:94], -v[103:104]
	v_fma_f64 v[99:100], v[101:102], v[97:98], v[99:100]
	v_add_f64 v[95:96], v[95:96], -v[99:100]
	ds_read2_b64 v[99:102], v125 offset0:66 offset1:67
	s_waitcnt lgkmcnt(0)
	v_mul_f64 v[103:104], v[101:102], v[105:106]
	v_fma_f64 v[103:104], v[99:100], v[97:98], -v[103:104]
	v_mul_f64 v[99:100], v[99:100], v[105:106]
	v_add_f64 v[109:110], v[109:110], -v[103:104]
	v_fma_f64 v[99:100], v[101:102], v[97:98], v[99:100]
	v_add_f64 v[111:112], v[111:112], -v[99:100]
	ds_read2_b64 v[99:102], v125 offset0:68 offset1:69
	;; [unrolled: 8-line block ×16, first 2 shown]
	buffer_load_dword v37, off, s[20:23], 0 offset:32 ; 4-byte Folded Reload
	buffer_load_dword v38, off, s[20:23], 0 offset:36 ; 4-byte Folded Reload
	;; [unrolled: 1-line block ×4, first 2 shown]
	s_waitcnt lgkmcnt(0)
	v_mul_f64 v[103:104], v[101:102], v[105:106]
	v_fma_f64 v[103:104], v[99:100], v[97:98], -v[103:104]
	v_mul_f64 v[99:100], v[99:100], v[105:106]
	v_fma_f64 v[99:100], v[101:102], v[97:98], v[99:100]
	s_waitcnt vmcnt(2)
	v_add_f64 v[37:38], v[37:38], -v[103:104]
	s_waitcnt vmcnt(0)
	v_add_f64 v[39:40], v[39:40], -v[99:100]
	buffer_store_dword v37, off, s[20:23], 0 offset:32 ; 4-byte Folded Spill
	s_nop 0
	buffer_store_dword v38, off, s[20:23], 0 offset:36 ; 4-byte Folded Spill
	buffer_store_dword v39, off, s[20:23], 0 offset:40 ; 4-byte Folded Spill
	;; [unrolled: 1-line block ×3, first 2 shown]
	ds_read2_b64 v[99:102], v125 offset0:98 offset1:99
	buffer_load_dword v33, off, s[20:23], 0 offset:16 ; 4-byte Folded Reload
	buffer_load_dword v34, off, s[20:23], 0 offset:20 ; 4-byte Folded Reload
	;; [unrolled: 1-line block ×4, first 2 shown]
	s_waitcnt lgkmcnt(0)
	v_mul_f64 v[103:104], v[101:102], v[105:106]
	v_fma_f64 v[103:104], v[99:100], v[97:98], -v[103:104]
	v_mul_f64 v[99:100], v[99:100], v[105:106]
	v_fma_f64 v[99:100], v[101:102], v[97:98], v[99:100]
	s_waitcnt vmcnt(2)
	v_add_f64 v[33:34], v[33:34], -v[103:104]
	s_waitcnt vmcnt(0)
	v_add_f64 v[35:36], v[35:36], -v[99:100]
	buffer_store_dword v33, off, s[20:23], 0 offset:16 ; 4-byte Folded Spill
	s_nop 0
	buffer_store_dword v34, off, s[20:23], 0 offset:20 ; 4-byte Folded Spill
	buffer_store_dword v35, off, s[20:23], 0 offset:24 ; 4-byte Folded Spill
	;; [unrolled: 1-line block ×3, first 2 shown]
	ds_read2_b64 v[99:102], v125 offset0:100 offset1:101
	s_waitcnt lgkmcnt(0)
	v_mul_f64 v[103:104], v[101:102], v[105:106]
	v_fma_f64 v[103:104], v[99:100], v[97:98], -v[103:104]
	v_mul_f64 v[99:100], v[99:100], v[105:106]
	v_add_f64 v[29:30], v[29:30], -v[103:104]
	v_fma_f64 v[99:100], v[101:102], v[97:98], v[99:100]
	v_add_f64 v[31:32], v[31:32], -v[99:100]
	ds_read2_b64 v[99:102], v125 offset0:102 offset1:103
	s_waitcnt lgkmcnt(0)
	v_mul_f64 v[103:104], v[101:102], v[105:106]
	v_fma_f64 v[103:104], v[99:100], v[97:98], -v[103:104]
	v_mul_f64 v[99:100], v[99:100], v[105:106]
	v_add_f64 v[25:26], v[25:26], -v[103:104]
	v_fma_f64 v[99:100], v[101:102], v[97:98], v[99:100]
	v_add_f64 v[27:28], v[27:28], -v[99:100]
	;; [unrolled: 8-line block ×8, first 2 shown]
	ds_read2_b64 v[99:102], v125 offset0:116 offset1:117
	buffer_load_dword v37, off, s[20:23], 0 ; 4-byte Folded Reload
	buffer_load_dword v38, off, s[20:23], 0 offset:4 ; 4-byte Folded Reload
	buffer_load_dword v39, off, s[20:23], 0 offset:8 ; 4-byte Folded Reload
	;; [unrolled: 1-line block ×3, first 2 shown]
	s_waitcnt lgkmcnt(0)
	v_mul_f64 v[103:104], v[101:102], v[105:106]
	v_fma_f64 v[103:104], v[99:100], v[97:98], -v[103:104]
	v_mul_f64 v[99:100], v[99:100], v[105:106]
	v_fma_f64 v[99:100], v[101:102], v[97:98], v[99:100]
	s_waitcnt vmcnt(2)
	v_add_f64 v[37:38], v[37:38], -v[103:104]
	v_mov_b32_e32 v104, v98
	s_waitcnt vmcnt(0)
	v_add_f64 v[39:40], v[39:40], -v[99:100]
	v_mov_b32_e32 v103, v97
	buffer_store_dword v37, off, s[20:23], 0 ; 4-byte Folded Spill
	s_nop 0
	buffer_store_dword v38, off, s[20:23], 0 offset:4 ; 4-byte Folded Spill
	buffer_store_dword v39, off, s[20:23], 0 offset:8 ; 4-byte Folded Spill
	;; [unrolled: 1-line block ×4, first 2 shown]
	s_nop 0
	buffer_store_dword v104, off, s[20:23], 0 offset:132 ; 4-byte Folded Spill
	buffer_store_dword v105, off, s[20:23], 0 offset:136 ; 4-byte Folded Spill
	buffer_store_dword v106, off, s[20:23], 0 offset:140 ; 4-byte Folded Spill
.LBB117_244:
	s_or_b64 exec, exec, s[2:3]
	v_cmp_eq_u32_e32 vcc, 27, v0
	s_waitcnt vmcnt(0)
	s_barrier
	s_and_saveexec_b64 s[4:5], vcc
	s_cbranch_execz .LBB117_251
; %bb.245:
	buffer_load_dword v37, off, s[20:23], 0 offset:112 ; 4-byte Folded Reload
	buffer_load_dword v38, off, s[20:23], 0 offset:116 ; 4-byte Folded Reload
	;; [unrolled: 1-line block ×4, first 2 shown]
	s_waitcnt vmcnt(0)
	ds_write2_b64 v127, v[37:38], v[39:40] offset1:1
	buffer_load_dword v37, off, s[20:23], 0 offset:96 ; 4-byte Folded Reload
	buffer_load_dword v38, off, s[20:23], 0 offset:100 ; 4-byte Folded Reload
	buffer_load_dword v39, off, s[20:23], 0 offset:104 ; 4-byte Folded Reload
	buffer_load_dword v40, off, s[20:23], 0 offset:108 ; 4-byte Folded Reload
	s_waitcnt vmcnt(0)
	ds_write2_b64 v125, v[37:38], v[39:40] offset0:56 offset1:57
	buffer_load_dword v37, off, s[20:23], 0 offset:80 ; 4-byte Folded Reload
	buffer_load_dword v38, off, s[20:23], 0 offset:84 ; 4-byte Folded Reload
	buffer_load_dword v39, off, s[20:23], 0 offset:88 ; 4-byte Folded Reload
	buffer_load_dword v40, off, s[20:23], 0 offset:92 ; 4-byte Folded Reload
	s_waitcnt vmcnt(0)
	ds_write2_b64 v125, v[37:38], v[39:40] offset0:58 offset1:59
	;; [unrolled: 6-line block ×4, first 2 shown]
	ds_write2_b64 v125, v[93:94], v[95:96] offset0:64 offset1:65
	ds_write2_b64 v125, v[109:110], v[111:112] offset0:66 offset1:67
	ds_write2_b64 v125, v[121:122], v[123:124] offset0:68 offset1:69
	ds_write2_b64 v125, v[113:114], v[115:116] offset0:70 offset1:71
	ds_write2_b64 v125, v[89:90], v[91:92] offset0:72 offset1:73
	ds_write2_b64 v125, v[81:82], v[83:84] offset0:74 offset1:75
	ds_write2_b64 v125, v[77:78], v[79:80] offset0:76 offset1:77
	ds_write2_b64 v125, v[73:74], v[75:76] offset0:78 offset1:79
	ds_write2_b64 v125, v[69:70], v[71:72] offset0:80 offset1:81
	ds_write2_b64 v125, v[65:66], v[67:68] offset0:82 offset1:83
	ds_write2_b64 v125, v[61:62], v[63:64] offset0:84 offset1:85
	ds_write2_b64 v125, v[57:58], v[59:60] offset0:86 offset1:87
	ds_write2_b64 v125, v[53:54], v[55:56] offset0:88 offset1:89
	ds_write2_b64 v125, v[49:50], v[51:52] offset0:90 offset1:91
	ds_write2_b64 v125, v[45:46], v[47:48] offset0:92 offset1:93
	ds_write2_b64 v125, v[41:42], v[43:44] offset0:94 offset1:95
	buffer_load_dword v37, off, s[20:23], 0 offset:32 ; 4-byte Folded Reload
	buffer_load_dword v38, off, s[20:23], 0 offset:36 ; 4-byte Folded Reload
	;; [unrolled: 1-line block ×4, first 2 shown]
	s_waitcnt vmcnt(0)
	ds_write2_b64 v125, v[37:38], v[39:40] offset0:96 offset1:97
	buffer_load_dword v33, off, s[20:23], 0 offset:16 ; 4-byte Folded Reload
	buffer_load_dword v34, off, s[20:23], 0 offset:20 ; 4-byte Folded Reload
	;; [unrolled: 1-line block ×4, first 2 shown]
	s_waitcnt vmcnt(0)
	ds_write2_b64 v125, v[33:34], v[35:36] offset0:98 offset1:99
	ds_write2_b64 v125, v[29:30], v[31:32] offset0:100 offset1:101
	;; [unrolled: 1-line block ×9, first 2 shown]
	buffer_load_dword v37, off, s[20:23], 0 ; 4-byte Folded Reload
	buffer_load_dword v38, off, s[20:23], 0 offset:4 ; 4-byte Folded Reload
	buffer_load_dword v39, off, s[20:23], 0 offset:8 ; 4-byte Folded Reload
	;; [unrolled: 1-line block ×3, first 2 shown]
	s_waitcnt vmcnt(0)
	ds_write2_b64 v125, v[37:38], v[39:40] offset0:116 offset1:117
	ds_read2_b64 v[97:100], v127 offset1:1
	s_waitcnt lgkmcnt(0)
	v_cmp_neq_f64_e32 vcc, 0, v[97:98]
	v_cmp_neq_f64_e64 s[2:3], 0, v[99:100]
	s_or_b64 s[2:3], vcc, s[2:3]
	s_and_b64 exec, exec, s[2:3]
	s_cbranch_execz .LBB117_251
; %bb.246:
	v_cmp_ngt_f64_e64 s[2:3], |v[97:98]|, |v[99:100]|
                                        ; implicit-def: $vgpr101_vgpr102
	s_and_saveexec_b64 s[6:7], s[2:3]
	s_xor_b64 s[2:3], exec, s[6:7]
                                        ; implicit-def: $vgpr103_vgpr104
	s_cbranch_execz .LBB117_248
; %bb.247:
	v_div_scale_f64 v[101:102], s[6:7], v[99:100], v[99:100], v[97:98]
	v_rcp_f64_e32 v[103:104], v[101:102]
	v_fma_f64 v[105:106], -v[101:102], v[103:104], 1.0
	v_fma_f64 v[103:104], v[103:104], v[105:106], v[103:104]
	v_div_scale_f64 v[105:106], vcc, v[97:98], v[99:100], v[97:98]
	v_fma_f64 v[107:108], -v[101:102], v[103:104], 1.0
	v_fma_f64 v[103:104], v[103:104], v[107:108], v[103:104]
	v_mul_f64 v[107:108], v[105:106], v[103:104]
	v_fma_f64 v[101:102], -v[101:102], v[107:108], v[105:106]
	v_div_fmas_f64 v[101:102], v[101:102], v[103:104], v[107:108]
	v_div_fixup_f64 v[101:102], v[101:102], v[99:100], v[97:98]
	v_fma_f64 v[97:98], v[97:98], v[101:102], v[99:100]
	v_div_scale_f64 v[99:100], s[6:7], v[97:98], v[97:98], 1.0
	v_div_scale_f64 v[107:108], vcc, 1.0, v[97:98], 1.0
	v_rcp_f64_e32 v[103:104], v[99:100]
	v_fma_f64 v[105:106], -v[99:100], v[103:104], 1.0
	v_fma_f64 v[103:104], v[103:104], v[105:106], v[103:104]
	v_fma_f64 v[105:106], -v[99:100], v[103:104], 1.0
	v_fma_f64 v[103:104], v[103:104], v[105:106], v[103:104]
	v_mul_f64 v[105:106], v[107:108], v[103:104]
	v_fma_f64 v[99:100], -v[99:100], v[105:106], v[107:108]
	v_div_fmas_f64 v[99:100], v[99:100], v[103:104], v[105:106]
	v_div_fixup_f64 v[103:104], v[99:100], v[97:98], 1.0
                                        ; implicit-def: $vgpr97_vgpr98
	v_mul_f64 v[101:102], v[101:102], v[103:104]
	v_xor_b32_e32 v104, 0x80000000, v104
.LBB117_248:
	s_andn2_saveexec_b64 s[2:3], s[2:3]
	s_cbranch_execz .LBB117_250
; %bb.249:
	v_div_scale_f64 v[101:102], s[6:7], v[97:98], v[97:98], v[99:100]
	v_rcp_f64_e32 v[103:104], v[101:102]
	v_fma_f64 v[105:106], -v[101:102], v[103:104], 1.0
	v_fma_f64 v[103:104], v[103:104], v[105:106], v[103:104]
	v_div_scale_f64 v[105:106], vcc, v[99:100], v[97:98], v[99:100]
	v_fma_f64 v[107:108], -v[101:102], v[103:104], 1.0
	v_fma_f64 v[103:104], v[103:104], v[107:108], v[103:104]
	v_mul_f64 v[107:108], v[105:106], v[103:104]
	v_fma_f64 v[101:102], -v[101:102], v[107:108], v[105:106]
	v_div_fmas_f64 v[101:102], v[101:102], v[103:104], v[107:108]
	v_div_fixup_f64 v[103:104], v[101:102], v[97:98], v[99:100]
	v_fma_f64 v[97:98], v[99:100], v[103:104], v[97:98]
	v_div_scale_f64 v[99:100], s[6:7], v[97:98], v[97:98], 1.0
	v_div_scale_f64 v[107:108], vcc, 1.0, v[97:98], 1.0
	v_rcp_f64_e32 v[101:102], v[99:100]
	v_fma_f64 v[105:106], -v[99:100], v[101:102], 1.0
	v_fma_f64 v[101:102], v[101:102], v[105:106], v[101:102]
	v_fma_f64 v[105:106], -v[99:100], v[101:102], 1.0
	v_fma_f64 v[101:102], v[101:102], v[105:106], v[101:102]
	v_mul_f64 v[105:106], v[107:108], v[101:102]
	v_fma_f64 v[99:100], -v[99:100], v[105:106], v[107:108]
	v_div_fmas_f64 v[99:100], v[99:100], v[101:102], v[105:106]
	v_div_fixup_f64 v[101:102], v[99:100], v[97:98], 1.0
	v_mul_f64 v[103:104], v[103:104], -v[101:102]
.LBB117_250:
	s_or_b64 exec, exec, s[2:3]
	ds_write2_b64 v127, v[101:102], v[103:104] offset1:1
.LBB117_251:
	s_or_b64 exec, exec, s[4:5]
	s_waitcnt lgkmcnt(0)
	s_barrier
	ds_read2_b64 v[37:40], v127 offset1:1
	v_cmp_lt_u32_e32 vcc, 27, v0
	s_waitcnt lgkmcnt(0)
	buffer_store_dword v37, off, s[20:23], 0 offset:1456 ; 4-byte Folded Spill
	s_nop 0
	buffer_store_dword v38, off, s[20:23], 0 offset:1460 ; 4-byte Folded Spill
	buffer_store_dword v39, off, s[20:23], 0 offset:1464 ; 4-byte Folded Spill
	;; [unrolled: 1-line block ×3, first 2 shown]
	s_and_saveexec_b64 s[2:3], vcc
	s_cbranch_execz .LBB117_253
; %bb.252:
	buffer_load_dword v103, off, s[20:23], 0 offset:112 ; 4-byte Folded Reload
	buffer_load_dword v104, off, s[20:23], 0 offset:116 ; 4-byte Folded Reload
	;; [unrolled: 1-line block ×8, first 2 shown]
	s_waitcnt vmcnt(2)
	v_mul_f64 v[99:100], v[37:38], v[105:106]
	s_waitcnt vmcnt(0)
	v_mul_f64 v[97:98], v[39:40], v[105:106]
	v_fma_f64 v[105:106], v[39:40], v[103:104], v[99:100]
	ds_read2_b64 v[99:102], v125 offset0:56 offset1:57
	v_fma_f64 v[97:98], v[37:38], v[103:104], -v[97:98]
	buffer_load_dword v37, off, s[20:23], 0 offset:96 ; 4-byte Folded Reload
	buffer_load_dword v38, off, s[20:23], 0 offset:100 ; 4-byte Folded Reload
	buffer_load_dword v39, off, s[20:23], 0 offset:104 ; 4-byte Folded Reload
	buffer_load_dword v40, off, s[20:23], 0 offset:108 ; 4-byte Folded Reload
	s_waitcnt lgkmcnt(0)
	v_mul_f64 v[103:104], v[101:102], v[105:106]
	v_fma_f64 v[103:104], v[99:100], v[97:98], -v[103:104]
	v_mul_f64 v[99:100], v[99:100], v[105:106]
	v_fma_f64 v[99:100], v[101:102], v[97:98], v[99:100]
	s_waitcnt vmcnt(2)
	v_add_f64 v[37:38], v[37:38], -v[103:104]
	s_waitcnt vmcnt(0)
	v_add_f64 v[39:40], v[39:40], -v[99:100]
	buffer_store_dword v37, off, s[20:23], 0 offset:96 ; 4-byte Folded Spill
	s_nop 0
	buffer_store_dword v38, off, s[20:23], 0 offset:100 ; 4-byte Folded Spill
	buffer_store_dword v39, off, s[20:23], 0 offset:104 ; 4-byte Folded Spill
	buffer_store_dword v40, off, s[20:23], 0 offset:108 ; 4-byte Folded Spill
	ds_read2_b64 v[99:102], v125 offset0:58 offset1:59
	buffer_load_dword v37, off, s[20:23], 0 offset:80 ; 4-byte Folded Reload
	buffer_load_dword v38, off, s[20:23], 0 offset:84 ; 4-byte Folded Reload
	buffer_load_dword v39, off, s[20:23], 0 offset:88 ; 4-byte Folded Reload
	buffer_load_dword v40, off, s[20:23], 0 offset:92 ; 4-byte Folded Reload
	s_waitcnt lgkmcnt(0)
	v_mul_f64 v[103:104], v[101:102], v[105:106]
	v_fma_f64 v[103:104], v[99:100], v[97:98], -v[103:104]
	v_mul_f64 v[99:100], v[99:100], v[105:106]
	v_fma_f64 v[99:100], v[101:102], v[97:98], v[99:100]
	s_waitcnt vmcnt(2)
	v_add_f64 v[37:38], v[37:38], -v[103:104]
	s_waitcnt vmcnt(0)
	v_add_f64 v[39:40], v[39:40], -v[99:100]
	buffer_store_dword v37, off, s[20:23], 0 offset:80 ; 4-byte Folded Spill
	s_nop 0
	buffer_store_dword v38, off, s[20:23], 0 offset:84 ; 4-byte Folded Spill
	buffer_store_dword v39, off, s[20:23], 0 offset:88 ; 4-byte Folded Spill
	buffer_store_dword v40, off, s[20:23], 0 offset:92 ; 4-byte Folded Spill
	ds_read2_b64 v[99:102], v125 offset0:60 offset1:61
	;; [unrolled: 19-line block ×4, first 2 shown]
	s_waitcnt lgkmcnt(0)
	v_mul_f64 v[103:104], v[101:102], v[105:106]
	v_fma_f64 v[103:104], v[99:100], v[97:98], -v[103:104]
	v_mul_f64 v[99:100], v[99:100], v[105:106]
	v_add_f64 v[93:94], v[93:94], -v[103:104]
	v_fma_f64 v[99:100], v[101:102], v[97:98], v[99:100]
	v_add_f64 v[95:96], v[95:96], -v[99:100]
	ds_read2_b64 v[99:102], v125 offset0:66 offset1:67
	s_waitcnt lgkmcnt(0)
	v_mul_f64 v[103:104], v[101:102], v[105:106]
	v_fma_f64 v[103:104], v[99:100], v[97:98], -v[103:104]
	v_mul_f64 v[99:100], v[99:100], v[105:106]
	v_add_f64 v[109:110], v[109:110], -v[103:104]
	v_fma_f64 v[99:100], v[101:102], v[97:98], v[99:100]
	v_add_f64 v[111:112], v[111:112], -v[99:100]
	ds_read2_b64 v[99:102], v125 offset0:68 offset1:69
	;; [unrolled: 8-line block ×16, first 2 shown]
	buffer_load_dword v37, off, s[20:23], 0 offset:32 ; 4-byte Folded Reload
	buffer_load_dword v38, off, s[20:23], 0 offset:36 ; 4-byte Folded Reload
	;; [unrolled: 1-line block ×4, first 2 shown]
	s_waitcnt lgkmcnt(0)
	v_mul_f64 v[103:104], v[101:102], v[105:106]
	v_fma_f64 v[103:104], v[99:100], v[97:98], -v[103:104]
	v_mul_f64 v[99:100], v[99:100], v[105:106]
	v_fma_f64 v[99:100], v[101:102], v[97:98], v[99:100]
	s_waitcnt vmcnt(2)
	v_add_f64 v[37:38], v[37:38], -v[103:104]
	s_waitcnt vmcnt(0)
	v_add_f64 v[39:40], v[39:40], -v[99:100]
	buffer_store_dword v37, off, s[20:23], 0 offset:32 ; 4-byte Folded Spill
	s_nop 0
	buffer_store_dword v38, off, s[20:23], 0 offset:36 ; 4-byte Folded Spill
	buffer_store_dword v39, off, s[20:23], 0 offset:40 ; 4-byte Folded Spill
	;; [unrolled: 1-line block ×3, first 2 shown]
	ds_read2_b64 v[99:102], v125 offset0:98 offset1:99
	buffer_load_dword v33, off, s[20:23], 0 offset:16 ; 4-byte Folded Reload
	buffer_load_dword v34, off, s[20:23], 0 offset:20 ; 4-byte Folded Reload
	;; [unrolled: 1-line block ×4, first 2 shown]
	s_waitcnt lgkmcnt(0)
	v_mul_f64 v[103:104], v[101:102], v[105:106]
	v_fma_f64 v[103:104], v[99:100], v[97:98], -v[103:104]
	v_mul_f64 v[99:100], v[99:100], v[105:106]
	v_fma_f64 v[99:100], v[101:102], v[97:98], v[99:100]
	s_waitcnt vmcnt(2)
	v_add_f64 v[33:34], v[33:34], -v[103:104]
	s_waitcnt vmcnt(0)
	v_add_f64 v[35:36], v[35:36], -v[99:100]
	buffer_store_dword v33, off, s[20:23], 0 offset:16 ; 4-byte Folded Spill
	s_nop 0
	buffer_store_dword v34, off, s[20:23], 0 offset:20 ; 4-byte Folded Spill
	buffer_store_dword v35, off, s[20:23], 0 offset:24 ; 4-byte Folded Spill
	;; [unrolled: 1-line block ×3, first 2 shown]
	ds_read2_b64 v[99:102], v125 offset0:100 offset1:101
	s_waitcnt lgkmcnt(0)
	v_mul_f64 v[103:104], v[101:102], v[105:106]
	v_fma_f64 v[103:104], v[99:100], v[97:98], -v[103:104]
	v_mul_f64 v[99:100], v[99:100], v[105:106]
	v_add_f64 v[29:30], v[29:30], -v[103:104]
	v_fma_f64 v[99:100], v[101:102], v[97:98], v[99:100]
	v_add_f64 v[31:32], v[31:32], -v[99:100]
	ds_read2_b64 v[99:102], v125 offset0:102 offset1:103
	s_waitcnt lgkmcnt(0)
	v_mul_f64 v[103:104], v[101:102], v[105:106]
	v_fma_f64 v[103:104], v[99:100], v[97:98], -v[103:104]
	v_mul_f64 v[99:100], v[99:100], v[105:106]
	v_add_f64 v[25:26], v[25:26], -v[103:104]
	v_fma_f64 v[99:100], v[101:102], v[97:98], v[99:100]
	v_add_f64 v[27:28], v[27:28], -v[99:100]
	;; [unrolled: 8-line block ×8, first 2 shown]
	ds_read2_b64 v[99:102], v125 offset0:116 offset1:117
	buffer_load_dword v37, off, s[20:23], 0 ; 4-byte Folded Reload
	buffer_load_dword v38, off, s[20:23], 0 offset:4 ; 4-byte Folded Reload
	buffer_load_dword v39, off, s[20:23], 0 offset:8 ; 4-byte Folded Reload
	;; [unrolled: 1-line block ×3, first 2 shown]
	s_waitcnt lgkmcnt(0)
	v_mul_f64 v[103:104], v[101:102], v[105:106]
	v_fma_f64 v[103:104], v[99:100], v[97:98], -v[103:104]
	v_mul_f64 v[99:100], v[99:100], v[105:106]
	v_fma_f64 v[99:100], v[101:102], v[97:98], v[99:100]
	s_waitcnt vmcnt(2)
	v_add_f64 v[37:38], v[37:38], -v[103:104]
	v_mov_b32_e32 v104, v98
	s_waitcnt vmcnt(0)
	v_add_f64 v[39:40], v[39:40], -v[99:100]
	v_mov_b32_e32 v103, v97
	buffer_store_dword v37, off, s[20:23], 0 ; 4-byte Folded Spill
	s_nop 0
	buffer_store_dword v38, off, s[20:23], 0 offset:4 ; 4-byte Folded Spill
	buffer_store_dword v39, off, s[20:23], 0 offset:8 ; 4-byte Folded Spill
	buffer_store_dword v40, off, s[20:23], 0 offset:12 ; 4-byte Folded Spill
	buffer_store_dword v103, off, s[20:23], 0 offset:112 ; 4-byte Folded Spill
	s_nop 0
	buffer_store_dword v104, off, s[20:23], 0 offset:116 ; 4-byte Folded Spill
	buffer_store_dword v105, off, s[20:23], 0 offset:120 ; 4-byte Folded Spill
	;; [unrolled: 1-line block ×3, first 2 shown]
.LBB117_253:
	s_or_b64 exec, exec, s[2:3]
	v_cmp_eq_u32_e32 vcc, 28, v0
	s_waitcnt vmcnt(0)
	s_barrier
	s_and_saveexec_b64 s[4:5], vcc
	s_cbranch_execz .LBB117_260
; %bb.254:
	buffer_load_dword v37, off, s[20:23], 0 offset:96 ; 4-byte Folded Reload
	buffer_load_dword v38, off, s[20:23], 0 offset:100 ; 4-byte Folded Reload
	;; [unrolled: 1-line block ×4, first 2 shown]
	s_waitcnt vmcnt(0)
	ds_write2_b64 v127, v[37:38], v[39:40] offset1:1
	buffer_load_dword v37, off, s[20:23], 0 offset:80 ; 4-byte Folded Reload
	buffer_load_dword v38, off, s[20:23], 0 offset:84 ; 4-byte Folded Reload
	buffer_load_dword v39, off, s[20:23], 0 offset:88 ; 4-byte Folded Reload
	buffer_load_dword v40, off, s[20:23], 0 offset:92 ; 4-byte Folded Reload
	s_waitcnt vmcnt(0)
	ds_write2_b64 v125, v[37:38], v[39:40] offset0:58 offset1:59
	buffer_load_dword v37, off, s[20:23], 0 offset:64 ; 4-byte Folded Reload
	buffer_load_dword v38, off, s[20:23], 0 offset:68 ; 4-byte Folded Reload
	buffer_load_dword v39, off, s[20:23], 0 offset:72 ; 4-byte Folded Reload
	buffer_load_dword v40, off, s[20:23], 0 offset:76 ; 4-byte Folded Reload
	s_waitcnt vmcnt(0)
	ds_write2_b64 v125, v[37:38], v[39:40] offset0:60 offset1:61
	;; [unrolled: 6-line block ×3, first 2 shown]
	ds_write2_b64 v125, v[93:94], v[95:96] offset0:64 offset1:65
	ds_write2_b64 v125, v[109:110], v[111:112] offset0:66 offset1:67
	;; [unrolled: 1-line block ×16, first 2 shown]
	buffer_load_dword v37, off, s[20:23], 0 offset:32 ; 4-byte Folded Reload
	buffer_load_dword v38, off, s[20:23], 0 offset:36 ; 4-byte Folded Reload
	buffer_load_dword v39, off, s[20:23], 0 offset:40 ; 4-byte Folded Reload
	buffer_load_dword v40, off, s[20:23], 0 offset:44 ; 4-byte Folded Reload
	s_waitcnt vmcnt(0)
	ds_write2_b64 v125, v[37:38], v[39:40] offset0:96 offset1:97
	buffer_load_dword v33, off, s[20:23], 0 offset:16 ; 4-byte Folded Reload
	buffer_load_dword v34, off, s[20:23], 0 offset:20 ; 4-byte Folded Reload
	;; [unrolled: 1-line block ×4, first 2 shown]
	s_waitcnt vmcnt(0)
	ds_write2_b64 v125, v[33:34], v[35:36] offset0:98 offset1:99
	ds_write2_b64 v125, v[29:30], v[31:32] offset0:100 offset1:101
	;; [unrolled: 1-line block ×9, first 2 shown]
	buffer_load_dword v37, off, s[20:23], 0 ; 4-byte Folded Reload
	buffer_load_dword v38, off, s[20:23], 0 offset:4 ; 4-byte Folded Reload
	buffer_load_dword v39, off, s[20:23], 0 offset:8 ; 4-byte Folded Reload
	;; [unrolled: 1-line block ×3, first 2 shown]
	s_waitcnt vmcnt(0)
	ds_write2_b64 v125, v[37:38], v[39:40] offset0:116 offset1:117
	ds_read2_b64 v[97:100], v127 offset1:1
	s_waitcnt lgkmcnt(0)
	v_cmp_neq_f64_e32 vcc, 0, v[97:98]
	v_cmp_neq_f64_e64 s[2:3], 0, v[99:100]
	s_or_b64 s[2:3], vcc, s[2:3]
	s_and_b64 exec, exec, s[2:3]
	s_cbranch_execz .LBB117_260
; %bb.255:
	v_cmp_ngt_f64_e64 s[2:3], |v[97:98]|, |v[99:100]|
                                        ; implicit-def: $vgpr101_vgpr102
	s_and_saveexec_b64 s[6:7], s[2:3]
	s_xor_b64 s[2:3], exec, s[6:7]
                                        ; implicit-def: $vgpr103_vgpr104
	s_cbranch_execz .LBB117_257
; %bb.256:
	v_div_scale_f64 v[101:102], s[6:7], v[99:100], v[99:100], v[97:98]
	v_rcp_f64_e32 v[103:104], v[101:102]
	v_fma_f64 v[105:106], -v[101:102], v[103:104], 1.0
	v_fma_f64 v[103:104], v[103:104], v[105:106], v[103:104]
	v_div_scale_f64 v[105:106], vcc, v[97:98], v[99:100], v[97:98]
	v_fma_f64 v[107:108], -v[101:102], v[103:104], 1.0
	v_fma_f64 v[103:104], v[103:104], v[107:108], v[103:104]
	v_mul_f64 v[107:108], v[105:106], v[103:104]
	v_fma_f64 v[101:102], -v[101:102], v[107:108], v[105:106]
	v_div_fmas_f64 v[101:102], v[101:102], v[103:104], v[107:108]
	v_div_fixup_f64 v[101:102], v[101:102], v[99:100], v[97:98]
	v_fma_f64 v[97:98], v[97:98], v[101:102], v[99:100]
	v_div_scale_f64 v[99:100], s[6:7], v[97:98], v[97:98], 1.0
	v_div_scale_f64 v[107:108], vcc, 1.0, v[97:98], 1.0
	v_rcp_f64_e32 v[103:104], v[99:100]
	v_fma_f64 v[105:106], -v[99:100], v[103:104], 1.0
	v_fma_f64 v[103:104], v[103:104], v[105:106], v[103:104]
	v_fma_f64 v[105:106], -v[99:100], v[103:104], 1.0
	v_fma_f64 v[103:104], v[103:104], v[105:106], v[103:104]
	v_mul_f64 v[105:106], v[107:108], v[103:104]
	v_fma_f64 v[99:100], -v[99:100], v[105:106], v[107:108]
	v_div_fmas_f64 v[99:100], v[99:100], v[103:104], v[105:106]
	v_div_fixup_f64 v[103:104], v[99:100], v[97:98], 1.0
                                        ; implicit-def: $vgpr97_vgpr98
	v_mul_f64 v[101:102], v[101:102], v[103:104]
	v_xor_b32_e32 v104, 0x80000000, v104
.LBB117_257:
	s_andn2_saveexec_b64 s[2:3], s[2:3]
	s_cbranch_execz .LBB117_259
; %bb.258:
	v_div_scale_f64 v[101:102], s[6:7], v[97:98], v[97:98], v[99:100]
	v_rcp_f64_e32 v[103:104], v[101:102]
	v_fma_f64 v[105:106], -v[101:102], v[103:104], 1.0
	v_fma_f64 v[103:104], v[103:104], v[105:106], v[103:104]
	v_div_scale_f64 v[105:106], vcc, v[99:100], v[97:98], v[99:100]
	v_fma_f64 v[107:108], -v[101:102], v[103:104], 1.0
	v_fma_f64 v[103:104], v[103:104], v[107:108], v[103:104]
	v_mul_f64 v[107:108], v[105:106], v[103:104]
	v_fma_f64 v[101:102], -v[101:102], v[107:108], v[105:106]
	v_div_fmas_f64 v[101:102], v[101:102], v[103:104], v[107:108]
	v_div_fixup_f64 v[103:104], v[101:102], v[97:98], v[99:100]
	v_fma_f64 v[97:98], v[99:100], v[103:104], v[97:98]
	v_div_scale_f64 v[99:100], s[6:7], v[97:98], v[97:98], 1.0
	v_div_scale_f64 v[107:108], vcc, 1.0, v[97:98], 1.0
	v_rcp_f64_e32 v[101:102], v[99:100]
	v_fma_f64 v[105:106], -v[99:100], v[101:102], 1.0
	v_fma_f64 v[101:102], v[101:102], v[105:106], v[101:102]
	v_fma_f64 v[105:106], -v[99:100], v[101:102], 1.0
	v_fma_f64 v[101:102], v[101:102], v[105:106], v[101:102]
	v_mul_f64 v[105:106], v[107:108], v[101:102]
	v_fma_f64 v[99:100], -v[99:100], v[105:106], v[107:108]
	v_div_fmas_f64 v[99:100], v[99:100], v[101:102], v[105:106]
	v_div_fixup_f64 v[101:102], v[99:100], v[97:98], 1.0
	v_mul_f64 v[103:104], v[103:104], -v[101:102]
.LBB117_259:
	s_or_b64 exec, exec, s[2:3]
	ds_write2_b64 v127, v[101:102], v[103:104] offset1:1
.LBB117_260:
	s_or_b64 exec, exec, s[4:5]
	s_waitcnt lgkmcnt(0)
	s_barrier
	ds_read2_b64 v[37:40], v127 offset1:1
	v_cmp_lt_u32_e32 vcc, 28, v0
	s_waitcnt lgkmcnt(0)
	buffer_store_dword v37, off, s[20:23], 0 offset:1472 ; 4-byte Folded Spill
	s_nop 0
	buffer_store_dword v38, off, s[20:23], 0 offset:1476 ; 4-byte Folded Spill
	buffer_store_dword v39, off, s[20:23], 0 offset:1480 ; 4-byte Folded Spill
	;; [unrolled: 1-line block ×3, first 2 shown]
	s_and_saveexec_b64 s[2:3], vcc
	s_cbranch_execz .LBB117_262
; %bb.261:
	buffer_load_dword v103, off, s[20:23], 0 offset:96 ; 4-byte Folded Reload
	buffer_load_dword v104, off, s[20:23], 0 offset:100 ; 4-byte Folded Reload
	;; [unrolled: 1-line block ×8, first 2 shown]
	s_waitcnt vmcnt(2)
	v_mul_f64 v[99:100], v[37:38], v[105:106]
	s_waitcnt vmcnt(0)
	v_mul_f64 v[97:98], v[39:40], v[105:106]
	v_fma_f64 v[105:106], v[39:40], v[103:104], v[99:100]
	ds_read2_b64 v[99:102], v125 offset0:58 offset1:59
	v_fma_f64 v[97:98], v[37:38], v[103:104], -v[97:98]
	buffer_load_dword v37, off, s[20:23], 0 offset:80 ; 4-byte Folded Reload
	buffer_load_dword v38, off, s[20:23], 0 offset:84 ; 4-byte Folded Reload
	buffer_load_dword v39, off, s[20:23], 0 offset:88 ; 4-byte Folded Reload
	buffer_load_dword v40, off, s[20:23], 0 offset:92 ; 4-byte Folded Reload
	s_waitcnt lgkmcnt(0)
	v_mul_f64 v[103:104], v[101:102], v[105:106]
	v_fma_f64 v[103:104], v[99:100], v[97:98], -v[103:104]
	v_mul_f64 v[99:100], v[99:100], v[105:106]
	v_fma_f64 v[99:100], v[101:102], v[97:98], v[99:100]
	s_waitcnt vmcnt(2)
	v_add_f64 v[37:38], v[37:38], -v[103:104]
	s_waitcnt vmcnt(0)
	v_add_f64 v[39:40], v[39:40], -v[99:100]
	buffer_store_dword v37, off, s[20:23], 0 offset:80 ; 4-byte Folded Spill
	s_nop 0
	buffer_store_dword v38, off, s[20:23], 0 offset:84 ; 4-byte Folded Spill
	buffer_store_dword v39, off, s[20:23], 0 offset:88 ; 4-byte Folded Spill
	buffer_store_dword v40, off, s[20:23], 0 offset:92 ; 4-byte Folded Spill
	ds_read2_b64 v[99:102], v125 offset0:60 offset1:61
	buffer_load_dword v37, off, s[20:23], 0 offset:64 ; 4-byte Folded Reload
	buffer_load_dword v38, off, s[20:23], 0 offset:68 ; 4-byte Folded Reload
	buffer_load_dword v39, off, s[20:23], 0 offset:72 ; 4-byte Folded Reload
	buffer_load_dword v40, off, s[20:23], 0 offset:76 ; 4-byte Folded Reload
	s_waitcnt lgkmcnt(0)
	v_mul_f64 v[103:104], v[101:102], v[105:106]
	v_fma_f64 v[103:104], v[99:100], v[97:98], -v[103:104]
	v_mul_f64 v[99:100], v[99:100], v[105:106]
	v_fma_f64 v[99:100], v[101:102], v[97:98], v[99:100]
	s_waitcnt vmcnt(2)
	v_add_f64 v[37:38], v[37:38], -v[103:104]
	s_waitcnt vmcnt(0)
	v_add_f64 v[39:40], v[39:40], -v[99:100]
	buffer_store_dword v37, off, s[20:23], 0 offset:64 ; 4-byte Folded Spill
	s_nop 0
	buffer_store_dword v38, off, s[20:23], 0 offset:68 ; 4-byte Folded Spill
	buffer_store_dword v39, off, s[20:23], 0 offset:72 ; 4-byte Folded Spill
	buffer_store_dword v40, off, s[20:23], 0 offset:76 ; 4-byte Folded Spill
	ds_read2_b64 v[99:102], v125 offset0:62 offset1:63
	;; [unrolled: 19-line block ×3, first 2 shown]
	s_waitcnt lgkmcnt(0)
	v_mul_f64 v[103:104], v[101:102], v[105:106]
	v_fma_f64 v[103:104], v[99:100], v[97:98], -v[103:104]
	v_mul_f64 v[99:100], v[99:100], v[105:106]
	v_add_f64 v[93:94], v[93:94], -v[103:104]
	v_fma_f64 v[99:100], v[101:102], v[97:98], v[99:100]
	v_add_f64 v[95:96], v[95:96], -v[99:100]
	ds_read2_b64 v[99:102], v125 offset0:66 offset1:67
	s_waitcnt lgkmcnt(0)
	v_mul_f64 v[103:104], v[101:102], v[105:106]
	v_fma_f64 v[103:104], v[99:100], v[97:98], -v[103:104]
	v_mul_f64 v[99:100], v[99:100], v[105:106]
	v_add_f64 v[109:110], v[109:110], -v[103:104]
	v_fma_f64 v[99:100], v[101:102], v[97:98], v[99:100]
	v_add_f64 v[111:112], v[111:112], -v[99:100]
	ds_read2_b64 v[99:102], v125 offset0:68 offset1:69
	s_waitcnt lgkmcnt(0)
	v_mul_f64 v[103:104], v[101:102], v[105:106]
	v_fma_f64 v[103:104], v[99:100], v[97:98], -v[103:104]
	v_mul_f64 v[99:100], v[99:100], v[105:106]
	v_add_f64 v[121:122], v[121:122], -v[103:104]
	v_fma_f64 v[99:100], v[101:102], v[97:98], v[99:100]
	v_add_f64 v[123:124], v[123:124], -v[99:100]
	ds_read2_b64 v[99:102], v125 offset0:70 offset1:71
	s_waitcnt lgkmcnt(0)
	v_mul_f64 v[103:104], v[101:102], v[105:106]
	v_fma_f64 v[103:104], v[99:100], v[97:98], -v[103:104]
	v_mul_f64 v[99:100], v[99:100], v[105:106]
	v_add_f64 v[113:114], v[113:114], -v[103:104]
	v_fma_f64 v[99:100], v[101:102], v[97:98], v[99:100]
	v_add_f64 v[115:116], v[115:116], -v[99:100]
	ds_read2_b64 v[99:102], v125 offset0:72 offset1:73
	s_waitcnt lgkmcnt(0)
	v_mul_f64 v[103:104], v[101:102], v[105:106]
	v_fma_f64 v[103:104], v[99:100], v[97:98], -v[103:104]
	v_mul_f64 v[99:100], v[99:100], v[105:106]
	v_add_f64 v[89:90], v[89:90], -v[103:104]
	v_fma_f64 v[99:100], v[101:102], v[97:98], v[99:100]
	v_add_f64 v[91:92], v[91:92], -v[99:100]
	ds_read2_b64 v[99:102], v125 offset0:74 offset1:75
	s_waitcnt lgkmcnt(0)
	v_mul_f64 v[103:104], v[101:102], v[105:106]
	v_fma_f64 v[103:104], v[99:100], v[97:98], -v[103:104]
	v_mul_f64 v[99:100], v[99:100], v[105:106]
	v_add_f64 v[81:82], v[81:82], -v[103:104]
	v_fma_f64 v[99:100], v[101:102], v[97:98], v[99:100]
	v_add_f64 v[83:84], v[83:84], -v[99:100]
	ds_read2_b64 v[99:102], v125 offset0:76 offset1:77
	s_waitcnt lgkmcnt(0)
	v_mul_f64 v[103:104], v[101:102], v[105:106]
	v_fma_f64 v[103:104], v[99:100], v[97:98], -v[103:104]
	v_mul_f64 v[99:100], v[99:100], v[105:106]
	v_add_f64 v[77:78], v[77:78], -v[103:104]
	v_fma_f64 v[99:100], v[101:102], v[97:98], v[99:100]
	v_add_f64 v[79:80], v[79:80], -v[99:100]
	ds_read2_b64 v[99:102], v125 offset0:78 offset1:79
	s_waitcnt lgkmcnt(0)
	v_mul_f64 v[103:104], v[101:102], v[105:106]
	v_fma_f64 v[103:104], v[99:100], v[97:98], -v[103:104]
	v_mul_f64 v[99:100], v[99:100], v[105:106]
	v_add_f64 v[73:74], v[73:74], -v[103:104]
	v_fma_f64 v[99:100], v[101:102], v[97:98], v[99:100]
	v_add_f64 v[75:76], v[75:76], -v[99:100]
	ds_read2_b64 v[99:102], v125 offset0:80 offset1:81
	s_waitcnt lgkmcnt(0)
	v_mul_f64 v[103:104], v[101:102], v[105:106]
	v_fma_f64 v[103:104], v[99:100], v[97:98], -v[103:104]
	v_mul_f64 v[99:100], v[99:100], v[105:106]
	v_add_f64 v[69:70], v[69:70], -v[103:104]
	v_fma_f64 v[99:100], v[101:102], v[97:98], v[99:100]
	v_add_f64 v[71:72], v[71:72], -v[99:100]
	ds_read2_b64 v[99:102], v125 offset0:82 offset1:83
	s_waitcnt lgkmcnt(0)
	v_mul_f64 v[103:104], v[101:102], v[105:106]
	v_fma_f64 v[103:104], v[99:100], v[97:98], -v[103:104]
	v_mul_f64 v[99:100], v[99:100], v[105:106]
	v_add_f64 v[65:66], v[65:66], -v[103:104]
	v_fma_f64 v[99:100], v[101:102], v[97:98], v[99:100]
	v_add_f64 v[67:68], v[67:68], -v[99:100]
	ds_read2_b64 v[99:102], v125 offset0:84 offset1:85
	s_waitcnt lgkmcnt(0)
	v_mul_f64 v[103:104], v[101:102], v[105:106]
	v_fma_f64 v[103:104], v[99:100], v[97:98], -v[103:104]
	v_mul_f64 v[99:100], v[99:100], v[105:106]
	v_add_f64 v[61:62], v[61:62], -v[103:104]
	v_fma_f64 v[99:100], v[101:102], v[97:98], v[99:100]
	v_add_f64 v[63:64], v[63:64], -v[99:100]
	ds_read2_b64 v[99:102], v125 offset0:86 offset1:87
	s_waitcnt lgkmcnt(0)
	v_mul_f64 v[103:104], v[101:102], v[105:106]
	v_fma_f64 v[103:104], v[99:100], v[97:98], -v[103:104]
	v_mul_f64 v[99:100], v[99:100], v[105:106]
	v_add_f64 v[57:58], v[57:58], -v[103:104]
	v_fma_f64 v[99:100], v[101:102], v[97:98], v[99:100]
	v_add_f64 v[59:60], v[59:60], -v[99:100]
	ds_read2_b64 v[99:102], v125 offset0:88 offset1:89
	s_waitcnt lgkmcnt(0)
	v_mul_f64 v[103:104], v[101:102], v[105:106]
	v_fma_f64 v[103:104], v[99:100], v[97:98], -v[103:104]
	v_mul_f64 v[99:100], v[99:100], v[105:106]
	v_add_f64 v[53:54], v[53:54], -v[103:104]
	v_fma_f64 v[99:100], v[101:102], v[97:98], v[99:100]
	v_add_f64 v[55:56], v[55:56], -v[99:100]
	ds_read2_b64 v[99:102], v125 offset0:90 offset1:91
	s_waitcnt lgkmcnt(0)
	v_mul_f64 v[103:104], v[101:102], v[105:106]
	v_fma_f64 v[103:104], v[99:100], v[97:98], -v[103:104]
	v_mul_f64 v[99:100], v[99:100], v[105:106]
	v_add_f64 v[49:50], v[49:50], -v[103:104]
	v_fma_f64 v[99:100], v[101:102], v[97:98], v[99:100]
	v_add_f64 v[51:52], v[51:52], -v[99:100]
	ds_read2_b64 v[99:102], v125 offset0:92 offset1:93
	s_waitcnt lgkmcnt(0)
	v_mul_f64 v[103:104], v[101:102], v[105:106]
	v_fma_f64 v[103:104], v[99:100], v[97:98], -v[103:104]
	v_mul_f64 v[99:100], v[99:100], v[105:106]
	v_add_f64 v[45:46], v[45:46], -v[103:104]
	v_fma_f64 v[99:100], v[101:102], v[97:98], v[99:100]
	v_add_f64 v[47:48], v[47:48], -v[99:100]
	ds_read2_b64 v[99:102], v125 offset0:94 offset1:95
	s_waitcnt lgkmcnt(0)
	v_mul_f64 v[103:104], v[101:102], v[105:106]
	v_fma_f64 v[103:104], v[99:100], v[97:98], -v[103:104]
	v_mul_f64 v[99:100], v[99:100], v[105:106]
	v_add_f64 v[41:42], v[41:42], -v[103:104]
	v_fma_f64 v[99:100], v[101:102], v[97:98], v[99:100]
	v_add_f64 v[43:44], v[43:44], -v[99:100]
	ds_read2_b64 v[99:102], v125 offset0:96 offset1:97
	buffer_load_dword v37, off, s[20:23], 0 offset:32 ; 4-byte Folded Reload
	buffer_load_dword v38, off, s[20:23], 0 offset:36 ; 4-byte Folded Reload
	;; [unrolled: 1-line block ×4, first 2 shown]
	s_waitcnt lgkmcnt(0)
	v_mul_f64 v[103:104], v[101:102], v[105:106]
	v_fma_f64 v[103:104], v[99:100], v[97:98], -v[103:104]
	v_mul_f64 v[99:100], v[99:100], v[105:106]
	v_fma_f64 v[99:100], v[101:102], v[97:98], v[99:100]
	s_waitcnt vmcnt(2)
	v_add_f64 v[37:38], v[37:38], -v[103:104]
	s_waitcnt vmcnt(0)
	v_add_f64 v[39:40], v[39:40], -v[99:100]
	buffer_store_dword v37, off, s[20:23], 0 offset:32 ; 4-byte Folded Spill
	s_nop 0
	buffer_store_dword v38, off, s[20:23], 0 offset:36 ; 4-byte Folded Spill
	buffer_store_dword v39, off, s[20:23], 0 offset:40 ; 4-byte Folded Spill
	;; [unrolled: 1-line block ×3, first 2 shown]
	ds_read2_b64 v[99:102], v125 offset0:98 offset1:99
	buffer_load_dword v33, off, s[20:23], 0 offset:16 ; 4-byte Folded Reload
	buffer_load_dword v34, off, s[20:23], 0 offset:20 ; 4-byte Folded Reload
	;; [unrolled: 1-line block ×4, first 2 shown]
	s_waitcnt lgkmcnt(0)
	v_mul_f64 v[103:104], v[101:102], v[105:106]
	v_fma_f64 v[103:104], v[99:100], v[97:98], -v[103:104]
	v_mul_f64 v[99:100], v[99:100], v[105:106]
	v_fma_f64 v[99:100], v[101:102], v[97:98], v[99:100]
	s_waitcnt vmcnt(2)
	v_add_f64 v[33:34], v[33:34], -v[103:104]
	s_waitcnt vmcnt(0)
	v_add_f64 v[35:36], v[35:36], -v[99:100]
	buffer_store_dword v33, off, s[20:23], 0 offset:16 ; 4-byte Folded Spill
	s_nop 0
	buffer_store_dword v34, off, s[20:23], 0 offset:20 ; 4-byte Folded Spill
	buffer_store_dword v35, off, s[20:23], 0 offset:24 ; 4-byte Folded Spill
	;; [unrolled: 1-line block ×3, first 2 shown]
	ds_read2_b64 v[99:102], v125 offset0:100 offset1:101
	s_waitcnt lgkmcnt(0)
	v_mul_f64 v[103:104], v[101:102], v[105:106]
	v_fma_f64 v[103:104], v[99:100], v[97:98], -v[103:104]
	v_mul_f64 v[99:100], v[99:100], v[105:106]
	v_add_f64 v[29:30], v[29:30], -v[103:104]
	v_fma_f64 v[99:100], v[101:102], v[97:98], v[99:100]
	v_add_f64 v[31:32], v[31:32], -v[99:100]
	ds_read2_b64 v[99:102], v125 offset0:102 offset1:103
	s_waitcnt lgkmcnt(0)
	v_mul_f64 v[103:104], v[101:102], v[105:106]
	v_fma_f64 v[103:104], v[99:100], v[97:98], -v[103:104]
	v_mul_f64 v[99:100], v[99:100], v[105:106]
	v_add_f64 v[25:26], v[25:26], -v[103:104]
	v_fma_f64 v[99:100], v[101:102], v[97:98], v[99:100]
	v_add_f64 v[27:28], v[27:28], -v[99:100]
	;; [unrolled: 8-line block ×8, first 2 shown]
	ds_read2_b64 v[99:102], v125 offset0:116 offset1:117
	buffer_load_dword v37, off, s[20:23], 0 ; 4-byte Folded Reload
	buffer_load_dword v38, off, s[20:23], 0 offset:4 ; 4-byte Folded Reload
	buffer_load_dword v39, off, s[20:23], 0 offset:8 ; 4-byte Folded Reload
	;; [unrolled: 1-line block ×3, first 2 shown]
	s_waitcnt lgkmcnt(0)
	v_mul_f64 v[103:104], v[101:102], v[105:106]
	v_fma_f64 v[103:104], v[99:100], v[97:98], -v[103:104]
	v_mul_f64 v[99:100], v[99:100], v[105:106]
	v_fma_f64 v[99:100], v[101:102], v[97:98], v[99:100]
	s_waitcnt vmcnt(2)
	v_add_f64 v[37:38], v[37:38], -v[103:104]
	v_mov_b32_e32 v104, v98
	s_waitcnt vmcnt(0)
	v_add_f64 v[39:40], v[39:40], -v[99:100]
	v_mov_b32_e32 v103, v97
	buffer_store_dword v37, off, s[20:23], 0 ; 4-byte Folded Spill
	s_nop 0
	buffer_store_dword v38, off, s[20:23], 0 offset:4 ; 4-byte Folded Spill
	buffer_store_dword v39, off, s[20:23], 0 offset:8 ; 4-byte Folded Spill
	;; [unrolled: 1-line block ×4, first 2 shown]
	s_nop 0
	buffer_store_dword v104, off, s[20:23], 0 offset:100 ; 4-byte Folded Spill
	buffer_store_dword v105, off, s[20:23], 0 offset:104 ; 4-byte Folded Spill
	buffer_store_dword v106, off, s[20:23], 0 offset:108 ; 4-byte Folded Spill
.LBB117_262:
	s_or_b64 exec, exec, s[2:3]
	v_cmp_eq_u32_e32 vcc, 29, v0
	s_waitcnt vmcnt(0)
	s_barrier
	s_and_saveexec_b64 s[4:5], vcc
	s_cbranch_execz .LBB117_269
; %bb.263:
	buffer_load_dword v37, off, s[20:23], 0 offset:80 ; 4-byte Folded Reload
	buffer_load_dword v38, off, s[20:23], 0 offset:84 ; 4-byte Folded Reload
	;; [unrolled: 1-line block ×4, first 2 shown]
	s_waitcnt vmcnt(0)
	ds_write2_b64 v127, v[37:38], v[39:40] offset1:1
	buffer_load_dword v37, off, s[20:23], 0 offset:64 ; 4-byte Folded Reload
	buffer_load_dword v38, off, s[20:23], 0 offset:68 ; 4-byte Folded Reload
	;; [unrolled: 1-line block ×4, first 2 shown]
	s_waitcnt vmcnt(0)
	ds_write2_b64 v125, v[37:38], v[39:40] offset0:60 offset1:61
	buffer_load_dword v37, off, s[20:23], 0 offset:48 ; 4-byte Folded Reload
	buffer_load_dword v38, off, s[20:23], 0 offset:52 ; 4-byte Folded Reload
	;; [unrolled: 1-line block ×4, first 2 shown]
	s_waitcnt vmcnt(0)
	ds_write2_b64 v125, v[37:38], v[39:40] offset0:62 offset1:63
	ds_write2_b64 v125, v[93:94], v[95:96] offset0:64 offset1:65
	;; [unrolled: 1-line block ×17, first 2 shown]
	buffer_load_dword v37, off, s[20:23], 0 offset:32 ; 4-byte Folded Reload
	buffer_load_dword v38, off, s[20:23], 0 offset:36 ; 4-byte Folded Reload
	;; [unrolled: 1-line block ×4, first 2 shown]
	s_waitcnt vmcnt(0)
	ds_write2_b64 v125, v[37:38], v[39:40] offset0:96 offset1:97
	buffer_load_dword v33, off, s[20:23], 0 offset:16 ; 4-byte Folded Reload
	buffer_load_dword v34, off, s[20:23], 0 offset:20 ; 4-byte Folded Reload
	;; [unrolled: 1-line block ×4, first 2 shown]
	s_waitcnt vmcnt(0)
	ds_write2_b64 v125, v[33:34], v[35:36] offset0:98 offset1:99
	ds_write2_b64 v125, v[29:30], v[31:32] offset0:100 offset1:101
	;; [unrolled: 1-line block ×9, first 2 shown]
	buffer_load_dword v37, off, s[20:23], 0 ; 4-byte Folded Reload
	buffer_load_dword v38, off, s[20:23], 0 offset:4 ; 4-byte Folded Reload
	buffer_load_dword v39, off, s[20:23], 0 offset:8 ; 4-byte Folded Reload
	;; [unrolled: 1-line block ×3, first 2 shown]
	s_waitcnt vmcnt(0)
	ds_write2_b64 v125, v[37:38], v[39:40] offset0:116 offset1:117
	ds_read2_b64 v[97:100], v127 offset1:1
	s_waitcnt lgkmcnt(0)
	v_cmp_neq_f64_e32 vcc, 0, v[97:98]
	v_cmp_neq_f64_e64 s[2:3], 0, v[99:100]
	s_or_b64 s[2:3], vcc, s[2:3]
	s_and_b64 exec, exec, s[2:3]
	s_cbranch_execz .LBB117_269
; %bb.264:
	v_cmp_ngt_f64_e64 s[2:3], |v[97:98]|, |v[99:100]|
                                        ; implicit-def: $vgpr101_vgpr102
	s_and_saveexec_b64 s[6:7], s[2:3]
	s_xor_b64 s[2:3], exec, s[6:7]
                                        ; implicit-def: $vgpr103_vgpr104
	s_cbranch_execz .LBB117_266
; %bb.265:
	v_div_scale_f64 v[101:102], s[6:7], v[99:100], v[99:100], v[97:98]
	v_rcp_f64_e32 v[103:104], v[101:102]
	v_fma_f64 v[105:106], -v[101:102], v[103:104], 1.0
	v_fma_f64 v[103:104], v[103:104], v[105:106], v[103:104]
	v_div_scale_f64 v[105:106], vcc, v[97:98], v[99:100], v[97:98]
	v_fma_f64 v[107:108], -v[101:102], v[103:104], 1.0
	v_fma_f64 v[103:104], v[103:104], v[107:108], v[103:104]
	v_mul_f64 v[107:108], v[105:106], v[103:104]
	v_fma_f64 v[101:102], -v[101:102], v[107:108], v[105:106]
	v_div_fmas_f64 v[101:102], v[101:102], v[103:104], v[107:108]
	v_div_fixup_f64 v[101:102], v[101:102], v[99:100], v[97:98]
	v_fma_f64 v[97:98], v[97:98], v[101:102], v[99:100]
	v_div_scale_f64 v[99:100], s[6:7], v[97:98], v[97:98], 1.0
	v_div_scale_f64 v[107:108], vcc, 1.0, v[97:98], 1.0
	v_rcp_f64_e32 v[103:104], v[99:100]
	v_fma_f64 v[105:106], -v[99:100], v[103:104], 1.0
	v_fma_f64 v[103:104], v[103:104], v[105:106], v[103:104]
	v_fma_f64 v[105:106], -v[99:100], v[103:104], 1.0
	v_fma_f64 v[103:104], v[103:104], v[105:106], v[103:104]
	v_mul_f64 v[105:106], v[107:108], v[103:104]
	v_fma_f64 v[99:100], -v[99:100], v[105:106], v[107:108]
	v_div_fmas_f64 v[99:100], v[99:100], v[103:104], v[105:106]
	v_div_fixup_f64 v[103:104], v[99:100], v[97:98], 1.0
                                        ; implicit-def: $vgpr97_vgpr98
	v_mul_f64 v[101:102], v[101:102], v[103:104]
	v_xor_b32_e32 v104, 0x80000000, v104
.LBB117_266:
	s_andn2_saveexec_b64 s[2:3], s[2:3]
	s_cbranch_execz .LBB117_268
; %bb.267:
	v_div_scale_f64 v[101:102], s[6:7], v[97:98], v[97:98], v[99:100]
	v_rcp_f64_e32 v[103:104], v[101:102]
	v_fma_f64 v[105:106], -v[101:102], v[103:104], 1.0
	v_fma_f64 v[103:104], v[103:104], v[105:106], v[103:104]
	v_div_scale_f64 v[105:106], vcc, v[99:100], v[97:98], v[99:100]
	v_fma_f64 v[107:108], -v[101:102], v[103:104], 1.0
	v_fma_f64 v[103:104], v[103:104], v[107:108], v[103:104]
	v_mul_f64 v[107:108], v[105:106], v[103:104]
	v_fma_f64 v[101:102], -v[101:102], v[107:108], v[105:106]
	v_div_fmas_f64 v[101:102], v[101:102], v[103:104], v[107:108]
	v_div_fixup_f64 v[103:104], v[101:102], v[97:98], v[99:100]
	v_fma_f64 v[97:98], v[99:100], v[103:104], v[97:98]
	v_div_scale_f64 v[99:100], s[6:7], v[97:98], v[97:98], 1.0
	v_div_scale_f64 v[107:108], vcc, 1.0, v[97:98], 1.0
	v_rcp_f64_e32 v[101:102], v[99:100]
	v_fma_f64 v[105:106], -v[99:100], v[101:102], 1.0
	v_fma_f64 v[101:102], v[101:102], v[105:106], v[101:102]
	v_fma_f64 v[105:106], -v[99:100], v[101:102], 1.0
	v_fma_f64 v[101:102], v[101:102], v[105:106], v[101:102]
	v_mul_f64 v[105:106], v[107:108], v[101:102]
	v_fma_f64 v[99:100], -v[99:100], v[105:106], v[107:108]
	v_div_fmas_f64 v[99:100], v[99:100], v[101:102], v[105:106]
	v_div_fixup_f64 v[101:102], v[99:100], v[97:98], 1.0
	v_mul_f64 v[103:104], v[103:104], -v[101:102]
.LBB117_268:
	s_or_b64 exec, exec, s[2:3]
	ds_write2_b64 v127, v[101:102], v[103:104] offset1:1
.LBB117_269:
	s_or_b64 exec, exec, s[4:5]
	s_waitcnt lgkmcnt(0)
	s_barrier
	ds_read2_b64 v[37:40], v127 offset1:1
	v_cmp_lt_u32_e32 vcc, 29, v0
	s_waitcnt lgkmcnt(0)
	buffer_store_dword v37, off, s[20:23], 0 offset:1488 ; 4-byte Folded Spill
	s_nop 0
	buffer_store_dword v38, off, s[20:23], 0 offset:1492 ; 4-byte Folded Spill
	buffer_store_dword v39, off, s[20:23], 0 offset:1496 ; 4-byte Folded Spill
	;; [unrolled: 1-line block ×3, first 2 shown]
	s_and_saveexec_b64 s[2:3], vcc
	s_cbranch_execz .LBB117_271
; %bb.270:
	buffer_load_dword v103, off, s[20:23], 0 offset:80 ; 4-byte Folded Reload
	buffer_load_dword v104, off, s[20:23], 0 offset:84 ; 4-byte Folded Reload
	;; [unrolled: 1-line block ×8, first 2 shown]
	s_waitcnt vmcnt(2)
	v_mul_f64 v[99:100], v[37:38], v[105:106]
	s_waitcnt vmcnt(0)
	v_mul_f64 v[97:98], v[39:40], v[105:106]
	v_fma_f64 v[105:106], v[39:40], v[103:104], v[99:100]
	ds_read2_b64 v[99:102], v125 offset0:60 offset1:61
	v_fma_f64 v[97:98], v[37:38], v[103:104], -v[97:98]
	buffer_load_dword v37, off, s[20:23], 0 offset:64 ; 4-byte Folded Reload
	buffer_load_dword v38, off, s[20:23], 0 offset:68 ; 4-byte Folded Reload
	buffer_load_dword v39, off, s[20:23], 0 offset:72 ; 4-byte Folded Reload
	buffer_load_dword v40, off, s[20:23], 0 offset:76 ; 4-byte Folded Reload
	s_waitcnt lgkmcnt(0)
	v_mul_f64 v[103:104], v[101:102], v[105:106]
	v_fma_f64 v[103:104], v[99:100], v[97:98], -v[103:104]
	v_mul_f64 v[99:100], v[99:100], v[105:106]
	v_fma_f64 v[99:100], v[101:102], v[97:98], v[99:100]
	s_waitcnt vmcnt(2)
	v_add_f64 v[37:38], v[37:38], -v[103:104]
	s_waitcnt vmcnt(0)
	v_add_f64 v[39:40], v[39:40], -v[99:100]
	buffer_store_dword v37, off, s[20:23], 0 offset:64 ; 4-byte Folded Spill
	s_nop 0
	buffer_store_dword v38, off, s[20:23], 0 offset:68 ; 4-byte Folded Spill
	buffer_store_dword v39, off, s[20:23], 0 offset:72 ; 4-byte Folded Spill
	;; [unrolled: 1-line block ×3, first 2 shown]
	ds_read2_b64 v[99:102], v125 offset0:62 offset1:63
	buffer_load_dword v37, off, s[20:23], 0 offset:48 ; 4-byte Folded Reload
	buffer_load_dword v38, off, s[20:23], 0 offset:52 ; 4-byte Folded Reload
	;; [unrolled: 1-line block ×4, first 2 shown]
	s_waitcnt lgkmcnt(0)
	v_mul_f64 v[103:104], v[101:102], v[105:106]
	v_fma_f64 v[103:104], v[99:100], v[97:98], -v[103:104]
	v_mul_f64 v[99:100], v[99:100], v[105:106]
	v_fma_f64 v[99:100], v[101:102], v[97:98], v[99:100]
	s_waitcnt vmcnt(2)
	v_add_f64 v[37:38], v[37:38], -v[103:104]
	s_waitcnt vmcnt(0)
	v_add_f64 v[39:40], v[39:40], -v[99:100]
	buffer_store_dword v37, off, s[20:23], 0 offset:48 ; 4-byte Folded Spill
	s_nop 0
	buffer_store_dword v38, off, s[20:23], 0 offset:52 ; 4-byte Folded Spill
	buffer_store_dword v39, off, s[20:23], 0 offset:56 ; 4-byte Folded Spill
	;; [unrolled: 1-line block ×3, first 2 shown]
	ds_read2_b64 v[99:102], v125 offset0:64 offset1:65
	s_waitcnt lgkmcnt(0)
	v_mul_f64 v[103:104], v[101:102], v[105:106]
	v_fma_f64 v[103:104], v[99:100], v[97:98], -v[103:104]
	v_mul_f64 v[99:100], v[99:100], v[105:106]
	v_add_f64 v[93:94], v[93:94], -v[103:104]
	v_fma_f64 v[99:100], v[101:102], v[97:98], v[99:100]
	v_add_f64 v[95:96], v[95:96], -v[99:100]
	ds_read2_b64 v[99:102], v125 offset0:66 offset1:67
	s_waitcnt lgkmcnt(0)
	v_mul_f64 v[103:104], v[101:102], v[105:106]
	v_fma_f64 v[103:104], v[99:100], v[97:98], -v[103:104]
	v_mul_f64 v[99:100], v[99:100], v[105:106]
	v_add_f64 v[109:110], v[109:110], -v[103:104]
	v_fma_f64 v[99:100], v[101:102], v[97:98], v[99:100]
	v_add_f64 v[111:112], v[111:112], -v[99:100]
	;; [unrolled: 8-line block ×16, first 2 shown]
	ds_read2_b64 v[99:102], v125 offset0:96 offset1:97
	buffer_load_dword v37, off, s[20:23], 0 offset:32 ; 4-byte Folded Reload
	buffer_load_dword v38, off, s[20:23], 0 offset:36 ; 4-byte Folded Reload
	;; [unrolled: 1-line block ×4, first 2 shown]
	s_waitcnt lgkmcnt(0)
	v_mul_f64 v[103:104], v[101:102], v[105:106]
	v_fma_f64 v[103:104], v[99:100], v[97:98], -v[103:104]
	v_mul_f64 v[99:100], v[99:100], v[105:106]
	v_fma_f64 v[99:100], v[101:102], v[97:98], v[99:100]
	s_waitcnt vmcnt(2)
	v_add_f64 v[37:38], v[37:38], -v[103:104]
	s_waitcnt vmcnt(0)
	v_add_f64 v[39:40], v[39:40], -v[99:100]
	buffer_store_dword v37, off, s[20:23], 0 offset:32 ; 4-byte Folded Spill
	s_nop 0
	buffer_store_dword v38, off, s[20:23], 0 offset:36 ; 4-byte Folded Spill
	buffer_store_dword v39, off, s[20:23], 0 offset:40 ; 4-byte Folded Spill
	;; [unrolled: 1-line block ×3, first 2 shown]
	ds_read2_b64 v[99:102], v125 offset0:98 offset1:99
	buffer_load_dword v33, off, s[20:23], 0 offset:16 ; 4-byte Folded Reload
	buffer_load_dword v34, off, s[20:23], 0 offset:20 ; 4-byte Folded Reload
	;; [unrolled: 1-line block ×4, first 2 shown]
	s_waitcnt lgkmcnt(0)
	v_mul_f64 v[103:104], v[101:102], v[105:106]
	v_fma_f64 v[103:104], v[99:100], v[97:98], -v[103:104]
	v_mul_f64 v[99:100], v[99:100], v[105:106]
	v_fma_f64 v[99:100], v[101:102], v[97:98], v[99:100]
	s_waitcnt vmcnt(2)
	v_add_f64 v[33:34], v[33:34], -v[103:104]
	s_waitcnt vmcnt(0)
	v_add_f64 v[35:36], v[35:36], -v[99:100]
	buffer_store_dword v33, off, s[20:23], 0 offset:16 ; 4-byte Folded Spill
	s_nop 0
	buffer_store_dword v34, off, s[20:23], 0 offset:20 ; 4-byte Folded Spill
	buffer_store_dword v35, off, s[20:23], 0 offset:24 ; 4-byte Folded Spill
	;; [unrolled: 1-line block ×3, first 2 shown]
	ds_read2_b64 v[99:102], v125 offset0:100 offset1:101
	s_waitcnt lgkmcnt(0)
	v_mul_f64 v[103:104], v[101:102], v[105:106]
	v_fma_f64 v[103:104], v[99:100], v[97:98], -v[103:104]
	v_mul_f64 v[99:100], v[99:100], v[105:106]
	v_add_f64 v[29:30], v[29:30], -v[103:104]
	v_fma_f64 v[99:100], v[101:102], v[97:98], v[99:100]
	v_add_f64 v[31:32], v[31:32], -v[99:100]
	ds_read2_b64 v[99:102], v125 offset0:102 offset1:103
	s_waitcnt lgkmcnt(0)
	v_mul_f64 v[103:104], v[101:102], v[105:106]
	v_fma_f64 v[103:104], v[99:100], v[97:98], -v[103:104]
	v_mul_f64 v[99:100], v[99:100], v[105:106]
	v_add_f64 v[25:26], v[25:26], -v[103:104]
	v_fma_f64 v[99:100], v[101:102], v[97:98], v[99:100]
	v_add_f64 v[27:28], v[27:28], -v[99:100]
	;; [unrolled: 8-line block ×8, first 2 shown]
	ds_read2_b64 v[99:102], v125 offset0:116 offset1:117
	buffer_load_dword v37, off, s[20:23], 0 ; 4-byte Folded Reload
	buffer_load_dword v38, off, s[20:23], 0 offset:4 ; 4-byte Folded Reload
	buffer_load_dword v39, off, s[20:23], 0 offset:8 ; 4-byte Folded Reload
	;; [unrolled: 1-line block ×3, first 2 shown]
	s_waitcnt lgkmcnt(0)
	v_mul_f64 v[103:104], v[101:102], v[105:106]
	v_fma_f64 v[103:104], v[99:100], v[97:98], -v[103:104]
	v_mul_f64 v[99:100], v[99:100], v[105:106]
	v_fma_f64 v[99:100], v[101:102], v[97:98], v[99:100]
	s_waitcnt vmcnt(2)
	v_add_f64 v[37:38], v[37:38], -v[103:104]
	v_mov_b32_e32 v104, v98
	s_waitcnt vmcnt(0)
	v_add_f64 v[39:40], v[39:40], -v[99:100]
	v_mov_b32_e32 v103, v97
	buffer_store_dword v37, off, s[20:23], 0 ; 4-byte Folded Spill
	s_nop 0
	buffer_store_dword v38, off, s[20:23], 0 offset:4 ; 4-byte Folded Spill
	buffer_store_dword v39, off, s[20:23], 0 offset:8 ; 4-byte Folded Spill
	;; [unrolled: 1-line block ×4, first 2 shown]
	s_nop 0
	buffer_store_dword v104, off, s[20:23], 0 offset:84 ; 4-byte Folded Spill
	buffer_store_dword v105, off, s[20:23], 0 offset:88 ; 4-byte Folded Spill
	;; [unrolled: 1-line block ×3, first 2 shown]
.LBB117_271:
	s_or_b64 exec, exec, s[2:3]
	v_cmp_eq_u32_e32 vcc, 30, v0
	s_waitcnt vmcnt(0)
	s_barrier
	s_and_saveexec_b64 s[4:5], vcc
	s_cbranch_execz .LBB117_278
; %bb.272:
	buffer_load_dword v37, off, s[20:23], 0 offset:64 ; 4-byte Folded Reload
	buffer_load_dword v38, off, s[20:23], 0 offset:68 ; 4-byte Folded Reload
	;; [unrolled: 1-line block ×4, first 2 shown]
	s_waitcnt vmcnt(0)
	ds_write2_b64 v127, v[37:38], v[39:40] offset1:1
	buffer_load_dword v37, off, s[20:23], 0 offset:48 ; 4-byte Folded Reload
	buffer_load_dword v38, off, s[20:23], 0 offset:52 ; 4-byte Folded Reload
	;; [unrolled: 1-line block ×4, first 2 shown]
	s_waitcnt vmcnt(0)
	ds_write2_b64 v125, v[37:38], v[39:40] offset0:62 offset1:63
	ds_write2_b64 v125, v[93:94], v[95:96] offset0:64 offset1:65
	ds_write2_b64 v125, v[109:110], v[111:112] offset0:66 offset1:67
	ds_write2_b64 v125, v[121:122], v[123:124] offset0:68 offset1:69
	ds_write2_b64 v125, v[113:114], v[115:116] offset0:70 offset1:71
	ds_write2_b64 v125, v[89:90], v[91:92] offset0:72 offset1:73
	ds_write2_b64 v125, v[81:82], v[83:84] offset0:74 offset1:75
	ds_write2_b64 v125, v[77:78], v[79:80] offset0:76 offset1:77
	ds_write2_b64 v125, v[73:74], v[75:76] offset0:78 offset1:79
	ds_write2_b64 v125, v[69:70], v[71:72] offset0:80 offset1:81
	ds_write2_b64 v125, v[65:66], v[67:68] offset0:82 offset1:83
	ds_write2_b64 v125, v[61:62], v[63:64] offset0:84 offset1:85
	ds_write2_b64 v125, v[57:58], v[59:60] offset0:86 offset1:87
	ds_write2_b64 v125, v[53:54], v[55:56] offset0:88 offset1:89
	ds_write2_b64 v125, v[49:50], v[51:52] offset0:90 offset1:91
	ds_write2_b64 v125, v[45:46], v[47:48] offset0:92 offset1:93
	ds_write2_b64 v125, v[41:42], v[43:44] offset0:94 offset1:95
	buffer_load_dword v37, off, s[20:23], 0 offset:32 ; 4-byte Folded Reload
	buffer_load_dword v38, off, s[20:23], 0 offset:36 ; 4-byte Folded Reload
	;; [unrolled: 1-line block ×4, first 2 shown]
	s_waitcnt vmcnt(0)
	ds_write2_b64 v125, v[37:38], v[39:40] offset0:96 offset1:97
	buffer_load_dword v33, off, s[20:23], 0 offset:16 ; 4-byte Folded Reload
	buffer_load_dword v34, off, s[20:23], 0 offset:20 ; 4-byte Folded Reload
	;; [unrolled: 1-line block ×4, first 2 shown]
	s_waitcnt vmcnt(0)
	ds_write2_b64 v125, v[33:34], v[35:36] offset0:98 offset1:99
	ds_write2_b64 v125, v[29:30], v[31:32] offset0:100 offset1:101
	;; [unrolled: 1-line block ×9, first 2 shown]
	buffer_load_dword v37, off, s[20:23], 0 ; 4-byte Folded Reload
	buffer_load_dword v38, off, s[20:23], 0 offset:4 ; 4-byte Folded Reload
	buffer_load_dword v39, off, s[20:23], 0 offset:8 ; 4-byte Folded Reload
	;; [unrolled: 1-line block ×3, first 2 shown]
	s_waitcnt vmcnt(0)
	ds_write2_b64 v125, v[37:38], v[39:40] offset0:116 offset1:117
	ds_read2_b64 v[97:100], v127 offset1:1
	s_waitcnt lgkmcnt(0)
	v_cmp_neq_f64_e32 vcc, 0, v[97:98]
	v_cmp_neq_f64_e64 s[2:3], 0, v[99:100]
	s_or_b64 s[2:3], vcc, s[2:3]
	s_and_b64 exec, exec, s[2:3]
	s_cbranch_execz .LBB117_278
; %bb.273:
	v_cmp_ngt_f64_e64 s[2:3], |v[97:98]|, |v[99:100]|
                                        ; implicit-def: $vgpr101_vgpr102
	s_and_saveexec_b64 s[6:7], s[2:3]
	s_xor_b64 s[2:3], exec, s[6:7]
                                        ; implicit-def: $vgpr103_vgpr104
	s_cbranch_execz .LBB117_275
; %bb.274:
	v_div_scale_f64 v[101:102], s[6:7], v[99:100], v[99:100], v[97:98]
	v_rcp_f64_e32 v[103:104], v[101:102]
	v_fma_f64 v[105:106], -v[101:102], v[103:104], 1.0
	v_fma_f64 v[103:104], v[103:104], v[105:106], v[103:104]
	v_div_scale_f64 v[105:106], vcc, v[97:98], v[99:100], v[97:98]
	v_fma_f64 v[107:108], -v[101:102], v[103:104], 1.0
	v_fma_f64 v[103:104], v[103:104], v[107:108], v[103:104]
	v_mul_f64 v[107:108], v[105:106], v[103:104]
	v_fma_f64 v[101:102], -v[101:102], v[107:108], v[105:106]
	v_div_fmas_f64 v[101:102], v[101:102], v[103:104], v[107:108]
	v_div_fixup_f64 v[101:102], v[101:102], v[99:100], v[97:98]
	v_fma_f64 v[97:98], v[97:98], v[101:102], v[99:100]
	v_div_scale_f64 v[99:100], s[6:7], v[97:98], v[97:98], 1.0
	v_div_scale_f64 v[107:108], vcc, 1.0, v[97:98], 1.0
	v_rcp_f64_e32 v[103:104], v[99:100]
	v_fma_f64 v[105:106], -v[99:100], v[103:104], 1.0
	v_fma_f64 v[103:104], v[103:104], v[105:106], v[103:104]
	v_fma_f64 v[105:106], -v[99:100], v[103:104], 1.0
	v_fma_f64 v[103:104], v[103:104], v[105:106], v[103:104]
	v_mul_f64 v[105:106], v[107:108], v[103:104]
	v_fma_f64 v[99:100], -v[99:100], v[105:106], v[107:108]
	v_div_fmas_f64 v[99:100], v[99:100], v[103:104], v[105:106]
	v_div_fixup_f64 v[103:104], v[99:100], v[97:98], 1.0
                                        ; implicit-def: $vgpr97_vgpr98
	v_mul_f64 v[101:102], v[101:102], v[103:104]
	v_xor_b32_e32 v104, 0x80000000, v104
.LBB117_275:
	s_andn2_saveexec_b64 s[2:3], s[2:3]
	s_cbranch_execz .LBB117_277
; %bb.276:
	v_div_scale_f64 v[101:102], s[6:7], v[97:98], v[97:98], v[99:100]
	v_rcp_f64_e32 v[103:104], v[101:102]
	v_fma_f64 v[105:106], -v[101:102], v[103:104], 1.0
	v_fma_f64 v[103:104], v[103:104], v[105:106], v[103:104]
	v_div_scale_f64 v[105:106], vcc, v[99:100], v[97:98], v[99:100]
	v_fma_f64 v[107:108], -v[101:102], v[103:104], 1.0
	v_fma_f64 v[103:104], v[103:104], v[107:108], v[103:104]
	v_mul_f64 v[107:108], v[105:106], v[103:104]
	v_fma_f64 v[101:102], -v[101:102], v[107:108], v[105:106]
	v_div_fmas_f64 v[101:102], v[101:102], v[103:104], v[107:108]
	v_div_fixup_f64 v[103:104], v[101:102], v[97:98], v[99:100]
	v_fma_f64 v[97:98], v[99:100], v[103:104], v[97:98]
	v_div_scale_f64 v[99:100], s[6:7], v[97:98], v[97:98], 1.0
	v_div_scale_f64 v[107:108], vcc, 1.0, v[97:98], 1.0
	v_rcp_f64_e32 v[101:102], v[99:100]
	v_fma_f64 v[105:106], -v[99:100], v[101:102], 1.0
	v_fma_f64 v[101:102], v[101:102], v[105:106], v[101:102]
	v_fma_f64 v[105:106], -v[99:100], v[101:102], 1.0
	v_fma_f64 v[101:102], v[101:102], v[105:106], v[101:102]
	v_mul_f64 v[105:106], v[107:108], v[101:102]
	v_fma_f64 v[99:100], -v[99:100], v[105:106], v[107:108]
	v_div_fmas_f64 v[99:100], v[99:100], v[101:102], v[105:106]
	v_div_fixup_f64 v[101:102], v[99:100], v[97:98], 1.0
	v_mul_f64 v[103:104], v[103:104], -v[101:102]
.LBB117_277:
	s_or_b64 exec, exec, s[2:3]
	ds_write2_b64 v127, v[101:102], v[103:104] offset1:1
.LBB117_278:
	s_or_b64 exec, exec, s[4:5]
	s_waitcnt lgkmcnt(0)
	s_barrier
	ds_read2_b64 v[37:40], v127 offset1:1
	v_cmp_lt_u32_e32 vcc, 30, v0
	s_waitcnt lgkmcnt(0)
	buffer_store_dword v37, off, s[20:23], 0 offset:1504 ; 4-byte Folded Spill
	s_nop 0
	buffer_store_dword v38, off, s[20:23], 0 offset:1508 ; 4-byte Folded Spill
	buffer_store_dword v39, off, s[20:23], 0 offset:1512 ; 4-byte Folded Spill
	;; [unrolled: 1-line block ×3, first 2 shown]
	s_and_saveexec_b64 s[2:3], vcc
	s_cbranch_execz .LBB117_280
; %bb.279:
	buffer_load_dword v103, off, s[20:23], 0 offset:64 ; 4-byte Folded Reload
	buffer_load_dword v104, off, s[20:23], 0 offset:68 ; 4-byte Folded Reload
	;; [unrolled: 1-line block ×8, first 2 shown]
	s_waitcnt vmcnt(2)
	v_mul_f64 v[99:100], v[37:38], v[105:106]
	s_waitcnt vmcnt(0)
	v_mul_f64 v[97:98], v[39:40], v[105:106]
	v_fma_f64 v[105:106], v[39:40], v[103:104], v[99:100]
	ds_read2_b64 v[99:102], v125 offset0:62 offset1:63
	v_fma_f64 v[97:98], v[37:38], v[103:104], -v[97:98]
	buffer_load_dword v37, off, s[20:23], 0 offset:48 ; 4-byte Folded Reload
	buffer_load_dword v38, off, s[20:23], 0 offset:52 ; 4-byte Folded Reload
	;; [unrolled: 1-line block ×4, first 2 shown]
	s_waitcnt lgkmcnt(0)
	v_mul_f64 v[103:104], v[101:102], v[105:106]
	v_fma_f64 v[103:104], v[99:100], v[97:98], -v[103:104]
	v_mul_f64 v[99:100], v[99:100], v[105:106]
	v_fma_f64 v[99:100], v[101:102], v[97:98], v[99:100]
	s_waitcnt vmcnt(2)
	v_add_f64 v[37:38], v[37:38], -v[103:104]
	s_waitcnt vmcnt(0)
	v_add_f64 v[39:40], v[39:40], -v[99:100]
	buffer_store_dword v37, off, s[20:23], 0 offset:48 ; 4-byte Folded Spill
	s_nop 0
	buffer_store_dword v38, off, s[20:23], 0 offset:52 ; 4-byte Folded Spill
	buffer_store_dword v39, off, s[20:23], 0 offset:56 ; 4-byte Folded Spill
	;; [unrolled: 1-line block ×3, first 2 shown]
	ds_read2_b64 v[99:102], v125 offset0:64 offset1:65
	s_waitcnt lgkmcnt(0)
	v_mul_f64 v[103:104], v[101:102], v[105:106]
	v_fma_f64 v[103:104], v[99:100], v[97:98], -v[103:104]
	v_mul_f64 v[99:100], v[99:100], v[105:106]
	v_add_f64 v[93:94], v[93:94], -v[103:104]
	v_fma_f64 v[99:100], v[101:102], v[97:98], v[99:100]
	v_add_f64 v[95:96], v[95:96], -v[99:100]
	ds_read2_b64 v[99:102], v125 offset0:66 offset1:67
	s_waitcnt lgkmcnt(0)
	v_mul_f64 v[103:104], v[101:102], v[105:106]
	v_fma_f64 v[103:104], v[99:100], v[97:98], -v[103:104]
	v_mul_f64 v[99:100], v[99:100], v[105:106]
	v_add_f64 v[109:110], v[109:110], -v[103:104]
	v_fma_f64 v[99:100], v[101:102], v[97:98], v[99:100]
	v_add_f64 v[111:112], v[111:112], -v[99:100]
	ds_read2_b64 v[99:102], v125 offset0:68 offset1:69
	s_waitcnt lgkmcnt(0)
	v_mul_f64 v[103:104], v[101:102], v[105:106]
	v_fma_f64 v[103:104], v[99:100], v[97:98], -v[103:104]
	v_mul_f64 v[99:100], v[99:100], v[105:106]
	v_add_f64 v[121:122], v[121:122], -v[103:104]
	v_fma_f64 v[99:100], v[101:102], v[97:98], v[99:100]
	v_add_f64 v[123:124], v[123:124], -v[99:100]
	ds_read2_b64 v[99:102], v125 offset0:70 offset1:71
	s_waitcnt lgkmcnt(0)
	v_mul_f64 v[103:104], v[101:102], v[105:106]
	v_fma_f64 v[103:104], v[99:100], v[97:98], -v[103:104]
	v_mul_f64 v[99:100], v[99:100], v[105:106]
	v_add_f64 v[113:114], v[113:114], -v[103:104]
	v_fma_f64 v[99:100], v[101:102], v[97:98], v[99:100]
	v_add_f64 v[115:116], v[115:116], -v[99:100]
	ds_read2_b64 v[99:102], v125 offset0:72 offset1:73
	s_waitcnt lgkmcnt(0)
	v_mul_f64 v[103:104], v[101:102], v[105:106]
	v_fma_f64 v[103:104], v[99:100], v[97:98], -v[103:104]
	v_mul_f64 v[99:100], v[99:100], v[105:106]
	v_add_f64 v[89:90], v[89:90], -v[103:104]
	v_fma_f64 v[99:100], v[101:102], v[97:98], v[99:100]
	v_add_f64 v[91:92], v[91:92], -v[99:100]
	ds_read2_b64 v[99:102], v125 offset0:74 offset1:75
	s_waitcnt lgkmcnt(0)
	v_mul_f64 v[103:104], v[101:102], v[105:106]
	v_fma_f64 v[103:104], v[99:100], v[97:98], -v[103:104]
	v_mul_f64 v[99:100], v[99:100], v[105:106]
	v_add_f64 v[81:82], v[81:82], -v[103:104]
	v_fma_f64 v[99:100], v[101:102], v[97:98], v[99:100]
	v_add_f64 v[83:84], v[83:84], -v[99:100]
	ds_read2_b64 v[99:102], v125 offset0:76 offset1:77
	s_waitcnt lgkmcnt(0)
	v_mul_f64 v[103:104], v[101:102], v[105:106]
	v_fma_f64 v[103:104], v[99:100], v[97:98], -v[103:104]
	v_mul_f64 v[99:100], v[99:100], v[105:106]
	v_add_f64 v[77:78], v[77:78], -v[103:104]
	v_fma_f64 v[99:100], v[101:102], v[97:98], v[99:100]
	v_add_f64 v[79:80], v[79:80], -v[99:100]
	ds_read2_b64 v[99:102], v125 offset0:78 offset1:79
	s_waitcnt lgkmcnt(0)
	v_mul_f64 v[103:104], v[101:102], v[105:106]
	v_fma_f64 v[103:104], v[99:100], v[97:98], -v[103:104]
	v_mul_f64 v[99:100], v[99:100], v[105:106]
	v_add_f64 v[73:74], v[73:74], -v[103:104]
	v_fma_f64 v[99:100], v[101:102], v[97:98], v[99:100]
	v_add_f64 v[75:76], v[75:76], -v[99:100]
	ds_read2_b64 v[99:102], v125 offset0:80 offset1:81
	s_waitcnt lgkmcnt(0)
	v_mul_f64 v[103:104], v[101:102], v[105:106]
	v_fma_f64 v[103:104], v[99:100], v[97:98], -v[103:104]
	v_mul_f64 v[99:100], v[99:100], v[105:106]
	v_add_f64 v[69:70], v[69:70], -v[103:104]
	v_fma_f64 v[99:100], v[101:102], v[97:98], v[99:100]
	v_add_f64 v[71:72], v[71:72], -v[99:100]
	ds_read2_b64 v[99:102], v125 offset0:82 offset1:83
	s_waitcnt lgkmcnt(0)
	v_mul_f64 v[103:104], v[101:102], v[105:106]
	v_fma_f64 v[103:104], v[99:100], v[97:98], -v[103:104]
	v_mul_f64 v[99:100], v[99:100], v[105:106]
	v_add_f64 v[65:66], v[65:66], -v[103:104]
	v_fma_f64 v[99:100], v[101:102], v[97:98], v[99:100]
	v_add_f64 v[67:68], v[67:68], -v[99:100]
	ds_read2_b64 v[99:102], v125 offset0:84 offset1:85
	s_waitcnt lgkmcnt(0)
	v_mul_f64 v[103:104], v[101:102], v[105:106]
	v_fma_f64 v[103:104], v[99:100], v[97:98], -v[103:104]
	v_mul_f64 v[99:100], v[99:100], v[105:106]
	v_add_f64 v[61:62], v[61:62], -v[103:104]
	v_fma_f64 v[99:100], v[101:102], v[97:98], v[99:100]
	v_add_f64 v[63:64], v[63:64], -v[99:100]
	ds_read2_b64 v[99:102], v125 offset0:86 offset1:87
	s_waitcnt lgkmcnt(0)
	v_mul_f64 v[103:104], v[101:102], v[105:106]
	v_fma_f64 v[103:104], v[99:100], v[97:98], -v[103:104]
	v_mul_f64 v[99:100], v[99:100], v[105:106]
	v_add_f64 v[57:58], v[57:58], -v[103:104]
	v_fma_f64 v[99:100], v[101:102], v[97:98], v[99:100]
	v_add_f64 v[59:60], v[59:60], -v[99:100]
	ds_read2_b64 v[99:102], v125 offset0:88 offset1:89
	s_waitcnt lgkmcnt(0)
	v_mul_f64 v[103:104], v[101:102], v[105:106]
	v_fma_f64 v[103:104], v[99:100], v[97:98], -v[103:104]
	v_mul_f64 v[99:100], v[99:100], v[105:106]
	v_add_f64 v[53:54], v[53:54], -v[103:104]
	v_fma_f64 v[99:100], v[101:102], v[97:98], v[99:100]
	v_add_f64 v[55:56], v[55:56], -v[99:100]
	ds_read2_b64 v[99:102], v125 offset0:90 offset1:91
	s_waitcnt lgkmcnt(0)
	v_mul_f64 v[103:104], v[101:102], v[105:106]
	v_fma_f64 v[103:104], v[99:100], v[97:98], -v[103:104]
	v_mul_f64 v[99:100], v[99:100], v[105:106]
	v_add_f64 v[49:50], v[49:50], -v[103:104]
	v_fma_f64 v[99:100], v[101:102], v[97:98], v[99:100]
	v_add_f64 v[51:52], v[51:52], -v[99:100]
	ds_read2_b64 v[99:102], v125 offset0:92 offset1:93
	s_waitcnt lgkmcnt(0)
	v_mul_f64 v[103:104], v[101:102], v[105:106]
	v_fma_f64 v[103:104], v[99:100], v[97:98], -v[103:104]
	v_mul_f64 v[99:100], v[99:100], v[105:106]
	v_add_f64 v[45:46], v[45:46], -v[103:104]
	v_fma_f64 v[99:100], v[101:102], v[97:98], v[99:100]
	v_add_f64 v[47:48], v[47:48], -v[99:100]
	ds_read2_b64 v[99:102], v125 offset0:94 offset1:95
	s_waitcnt lgkmcnt(0)
	v_mul_f64 v[103:104], v[101:102], v[105:106]
	v_fma_f64 v[103:104], v[99:100], v[97:98], -v[103:104]
	v_mul_f64 v[99:100], v[99:100], v[105:106]
	v_add_f64 v[41:42], v[41:42], -v[103:104]
	v_fma_f64 v[99:100], v[101:102], v[97:98], v[99:100]
	v_add_f64 v[43:44], v[43:44], -v[99:100]
	ds_read2_b64 v[99:102], v125 offset0:96 offset1:97
	buffer_load_dword v37, off, s[20:23], 0 offset:32 ; 4-byte Folded Reload
	buffer_load_dword v38, off, s[20:23], 0 offset:36 ; 4-byte Folded Reload
	;; [unrolled: 1-line block ×4, first 2 shown]
	s_waitcnt lgkmcnt(0)
	v_mul_f64 v[103:104], v[101:102], v[105:106]
	v_fma_f64 v[103:104], v[99:100], v[97:98], -v[103:104]
	v_mul_f64 v[99:100], v[99:100], v[105:106]
	v_fma_f64 v[99:100], v[101:102], v[97:98], v[99:100]
	s_waitcnt vmcnt(2)
	v_add_f64 v[37:38], v[37:38], -v[103:104]
	s_waitcnt vmcnt(0)
	v_add_f64 v[39:40], v[39:40], -v[99:100]
	buffer_store_dword v37, off, s[20:23], 0 offset:32 ; 4-byte Folded Spill
	s_nop 0
	buffer_store_dword v38, off, s[20:23], 0 offset:36 ; 4-byte Folded Spill
	buffer_store_dword v39, off, s[20:23], 0 offset:40 ; 4-byte Folded Spill
	;; [unrolled: 1-line block ×3, first 2 shown]
	ds_read2_b64 v[99:102], v125 offset0:98 offset1:99
	buffer_load_dword v33, off, s[20:23], 0 offset:16 ; 4-byte Folded Reload
	buffer_load_dword v34, off, s[20:23], 0 offset:20 ; 4-byte Folded Reload
	;; [unrolled: 1-line block ×4, first 2 shown]
	s_waitcnt lgkmcnt(0)
	v_mul_f64 v[103:104], v[101:102], v[105:106]
	v_fma_f64 v[103:104], v[99:100], v[97:98], -v[103:104]
	v_mul_f64 v[99:100], v[99:100], v[105:106]
	v_fma_f64 v[99:100], v[101:102], v[97:98], v[99:100]
	s_waitcnt vmcnt(2)
	v_add_f64 v[33:34], v[33:34], -v[103:104]
	s_waitcnt vmcnt(0)
	v_add_f64 v[35:36], v[35:36], -v[99:100]
	buffer_store_dword v33, off, s[20:23], 0 offset:16 ; 4-byte Folded Spill
	s_nop 0
	buffer_store_dword v34, off, s[20:23], 0 offset:20 ; 4-byte Folded Spill
	buffer_store_dword v35, off, s[20:23], 0 offset:24 ; 4-byte Folded Spill
	;; [unrolled: 1-line block ×3, first 2 shown]
	ds_read2_b64 v[99:102], v125 offset0:100 offset1:101
	s_waitcnt lgkmcnt(0)
	v_mul_f64 v[103:104], v[101:102], v[105:106]
	v_fma_f64 v[103:104], v[99:100], v[97:98], -v[103:104]
	v_mul_f64 v[99:100], v[99:100], v[105:106]
	v_add_f64 v[29:30], v[29:30], -v[103:104]
	v_fma_f64 v[99:100], v[101:102], v[97:98], v[99:100]
	v_add_f64 v[31:32], v[31:32], -v[99:100]
	ds_read2_b64 v[99:102], v125 offset0:102 offset1:103
	s_waitcnt lgkmcnt(0)
	v_mul_f64 v[103:104], v[101:102], v[105:106]
	v_fma_f64 v[103:104], v[99:100], v[97:98], -v[103:104]
	v_mul_f64 v[99:100], v[99:100], v[105:106]
	v_add_f64 v[25:26], v[25:26], -v[103:104]
	v_fma_f64 v[99:100], v[101:102], v[97:98], v[99:100]
	v_add_f64 v[27:28], v[27:28], -v[99:100]
	ds_read2_b64 v[99:102], v125 offset0:104 offset1:105
	s_waitcnt lgkmcnt(0)
	v_mul_f64 v[103:104], v[101:102], v[105:106]
	v_fma_f64 v[103:104], v[99:100], v[97:98], -v[103:104]
	v_mul_f64 v[99:100], v[99:100], v[105:106]
	v_add_f64 v[21:22], v[21:22], -v[103:104]
	v_fma_f64 v[99:100], v[101:102], v[97:98], v[99:100]
	v_add_f64 v[23:24], v[23:24], -v[99:100]
	ds_read2_b64 v[99:102], v125 offset0:106 offset1:107
	s_waitcnt lgkmcnt(0)
	v_mul_f64 v[103:104], v[101:102], v[105:106]
	v_fma_f64 v[103:104], v[99:100], v[97:98], -v[103:104]
	v_mul_f64 v[99:100], v[99:100], v[105:106]
	v_add_f64 v[17:18], v[17:18], -v[103:104]
	v_fma_f64 v[99:100], v[101:102], v[97:98], v[99:100]
	v_add_f64 v[19:20], v[19:20], -v[99:100]
	ds_read2_b64 v[99:102], v125 offset0:108 offset1:109
	s_waitcnt lgkmcnt(0)
	v_mul_f64 v[103:104], v[101:102], v[105:106]
	v_fma_f64 v[103:104], v[99:100], v[97:98], -v[103:104]
	v_mul_f64 v[99:100], v[99:100], v[105:106]
	v_add_f64 v[13:14], v[13:14], -v[103:104]
	v_fma_f64 v[99:100], v[101:102], v[97:98], v[99:100]
	v_add_f64 v[15:16], v[15:16], -v[99:100]
	ds_read2_b64 v[99:102], v125 offset0:110 offset1:111
	s_waitcnt lgkmcnt(0)
	v_mul_f64 v[103:104], v[101:102], v[105:106]
	v_fma_f64 v[103:104], v[99:100], v[97:98], -v[103:104]
	v_mul_f64 v[99:100], v[99:100], v[105:106]
	v_add_f64 v[9:10], v[9:10], -v[103:104]
	v_fma_f64 v[99:100], v[101:102], v[97:98], v[99:100]
	v_add_f64 v[11:12], v[11:12], -v[99:100]
	ds_read2_b64 v[99:102], v125 offset0:112 offset1:113
	s_waitcnt lgkmcnt(0)
	v_mul_f64 v[103:104], v[101:102], v[105:106]
	v_fma_f64 v[103:104], v[99:100], v[97:98], -v[103:104]
	v_mul_f64 v[99:100], v[99:100], v[105:106]
	v_add_f64 v[5:6], v[5:6], -v[103:104]
	v_fma_f64 v[99:100], v[101:102], v[97:98], v[99:100]
	v_add_f64 v[7:8], v[7:8], -v[99:100]
	ds_read2_b64 v[99:102], v125 offset0:114 offset1:115
	s_waitcnt lgkmcnt(0)
	v_mul_f64 v[103:104], v[101:102], v[105:106]
	v_fma_f64 v[103:104], v[99:100], v[97:98], -v[103:104]
	v_mul_f64 v[99:100], v[99:100], v[105:106]
	v_add_f64 v[1:2], v[1:2], -v[103:104]
	v_fma_f64 v[99:100], v[101:102], v[97:98], v[99:100]
	v_add_f64 v[3:4], v[3:4], -v[99:100]
	ds_read2_b64 v[99:102], v125 offset0:116 offset1:117
	buffer_load_dword v37, off, s[20:23], 0 ; 4-byte Folded Reload
	buffer_load_dword v38, off, s[20:23], 0 offset:4 ; 4-byte Folded Reload
	buffer_load_dword v39, off, s[20:23], 0 offset:8 ; 4-byte Folded Reload
	;; [unrolled: 1-line block ×3, first 2 shown]
	s_waitcnt lgkmcnt(0)
	v_mul_f64 v[103:104], v[101:102], v[105:106]
	v_fma_f64 v[103:104], v[99:100], v[97:98], -v[103:104]
	v_mul_f64 v[99:100], v[99:100], v[105:106]
	v_fma_f64 v[99:100], v[101:102], v[97:98], v[99:100]
	s_waitcnt vmcnt(2)
	v_add_f64 v[37:38], v[37:38], -v[103:104]
	v_mov_b32_e32 v104, v98
	s_waitcnt vmcnt(0)
	v_add_f64 v[39:40], v[39:40], -v[99:100]
	v_mov_b32_e32 v103, v97
	buffer_store_dword v37, off, s[20:23], 0 ; 4-byte Folded Spill
	s_nop 0
	buffer_store_dword v38, off, s[20:23], 0 offset:4 ; 4-byte Folded Spill
	buffer_store_dword v39, off, s[20:23], 0 offset:8 ; 4-byte Folded Spill
	;; [unrolled: 1-line block ×4, first 2 shown]
	s_nop 0
	buffer_store_dword v104, off, s[20:23], 0 offset:68 ; 4-byte Folded Spill
	buffer_store_dword v105, off, s[20:23], 0 offset:72 ; 4-byte Folded Spill
	;; [unrolled: 1-line block ×3, first 2 shown]
.LBB117_280:
	s_or_b64 exec, exec, s[2:3]
	v_cmp_eq_u32_e32 vcc, 31, v0
	s_waitcnt vmcnt(0)
	s_barrier
	s_and_saveexec_b64 s[4:5], vcc
	s_cbranch_execz .LBB117_287
; %bb.281:
	buffer_load_dword v37, off, s[20:23], 0 offset:48 ; 4-byte Folded Reload
	buffer_load_dword v38, off, s[20:23], 0 offset:52 ; 4-byte Folded Reload
	;; [unrolled: 1-line block ×4, first 2 shown]
	s_waitcnt vmcnt(0)
	ds_write2_b64 v127, v[37:38], v[39:40] offset1:1
	ds_write2_b64 v125, v[93:94], v[95:96] offset0:64 offset1:65
	ds_write2_b64 v125, v[109:110], v[111:112] offset0:66 offset1:67
	;; [unrolled: 1-line block ×16, first 2 shown]
	buffer_load_dword v37, off, s[20:23], 0 offset:32 ; 4-byte Folded Reload
	buffer_load_dword v38, off, s[20:23], 0 offset:36 ; 4-byte Folded Reload
	;; [unrolled: 1-line block ×4, first 2 shown]
	s_waitcnt vmcnt(0)
	ds_write2_b64 v125, v[37:38], v[39:40] offset0:96 offset1:97
	buffer_load_dword v33, off, s[20:23], 0 offset:16 ; 4-byte Folded Reload
	buffer_load_dword v34, off, s[20:23], 0 offset:20 ; 4-byte Folded Reload
	;; [unrolled: 1-line block ×4, first 2 shown]
	s_waitcnt vmcnt(0)
	ds_write2_b64 v125, v[33:34], v[35:36] offset0:98 offset1:99
	ds_write2_b64 v125, v[29:30], v[31:32] offset0:100 offset1:101
	;; [unrolled: 1-line block ×9, first 2 shown]
	buffer_load_dword v37, off, s[20:23], 0 ; 4-byte Folded Reload
	buffer_load_dword v38, off, s[20:23], 0 offset:4 ; 4-byte Folded Reload
	buffer_load_dword v39, off, s[20:23], 0 offset:8 ; 4-byte Folded Reload
	;; [unrolled: 1-line block ×3, first 2 shown]
	s_waitcnt vmcnt(0)
	ds_write2_b64 v125, v[37:38], v[39:40] offset0:116 offset1:117
	ds_read2_b64 v[97:100], v127 offset1:1
	s_waitcnt lgkmcnt(0)
	v_cmp_neq_f64_e32 vcc, 0, v[97:98]
	v_cmp_neq_f64_e64 s[2:3], 0, v[99:100]
	s_or_b64 s[2:3], vcc, s[2:3]
	s_and_b64 exec, exec, s[2:3]
	s_cbranch_execz .LBB117_287
; %bb.282:
	v_cmp_ngt_f64_e64 s[2:3], |v[97:98]|, |v[99:100]|
                                        ; implicit-def: $vgpr101_vgpr102
	s_and_saveexec_b64 s[6:7], s[2:3]
	s_xor_b64 s[2:3], exec, s[6:7]
                                        ; implicit-def: $vgpr103_vgpr104
	s_cbranch_execz .LBB117_284
; %bb.283:
	v_div_scale_f64 v[101:102], s[6:7], v[99:100], v[99:100], v[97:98]
	v_rcp_f64_e32 v[103:104], v[101:102]
	v_fma_f64 v[105:106], -v[101:102], v[103:104], 1.0
	v_fma_f64 v[103:104], v[103:104], v[105:106], v[103:104]
	v_div_scale_f64 v[105:106], vcc, v[97:98], v[99:100], v[97:98]
	v_fma_f64 v[107:108], -v[101:102], v[103:104], 1.0
	v_fma_f64 v[103:104], v[103:104], v[107:108], v[103:104]
	v_mul_f64 v[107:108], v[105:106], v[103:104]
	v_fma_f64 v[101:102], -v[101:102], v[107:108], v[105:106]
	v_div_fmas_f64 v[101:102], v[101:102], v[103:104], v[107:108]
	v_div_fixup_f64 v[101:102], v[101:102], v[99:100], v[97:98]
	v_fma_f64 v[97:98], v[97:98], v[101:102], v[99:100]
	v_div_scale_f64 v[99:100], s[6:7], v[97:98], v[97:98], 1.0
	v_div_scale_f64 v[107:108], vcc, 1.0, v[97:98], 1.0
	v_rcp_f64_e32 v[103:104], v[99:100]
	v_fma_f64 v[105:106], -v[99:100], v[103:104], 1.0
	v_fma_f64 v[103:104], v[103:104], v[105:106], v[103:104]
	v_fma_f64 v[105:106], -v[99:100], v[103:104], 1.0
	v_fma_f64 v[103:104], v[103:104], v[105:106], v[103:104]
	v_mul_f64 v[105:106], v[107:108], v[103:104]
	v_fma_f64 v[99:100], -v[99:100], v[105:106], v[107:108]
	v_div_fmas_f64 v[99:100], v[99:100], v[103:104], v[105:106]
	v_div_fixup_f64 v[103:104], v[99:100], v[97:98], 1.0
                                        ; implicit-def: $vgpr97_vgpr98
	v_mul_f64 v[101:102], v[101:102], v[103:104]
	v_xor_b32_e32 v104, 0x80000000, v104
.LBB117_284:
	s_andn2_saveexec_b64 s[2:3], s[2:3]
	s_cbranch_execz .LBB117_286
; %bb.285:
	v_div_scale_f64 v[101:102], s[6:7], v[97:98], v[97:98], v[99:100]
	v_rcp_f64_e32 v[103:104], v[101:102]
	v_fma_f64 v[105:106], -v[101:102], v[103:104], 1.0
	v_fma_f64 v[103:104], v[103:104], v[105:106], v[103:104]
	v_div_scale_f64 v[105:106], vcc, v[99:100], v[97:98], v[99:100]
	v_fma_f64 v[107:108], -v[101:102], v[103:104], 1.0
	v_fma_f64 v[103:104], v[103:104], v[107:108], v[103:104]
	v_mul_f64 v[107:108], v[105:106], v[103:104]
	v_fma_f64 v[101:102], -v[101:102], v[107:108], v[105:106]
	v_div_fmas_f64 v[101:102], v[101:102], v[103:104], v[107:108]
	v_div_fixup_f64 v[103:104], v[101:102], v[97:98], v[99:100]
	v_fma_f64 v[97:98], v[99:100], v[103:104], v[97:98]
	v_div_scale_f64 v[99:100], s[6:7], v[97:98], v[97:98], 1.0
	v_div_scale_f64 v[107:108], vcc, 1.0, v[97:98], 1.0
	v_rcp_f64_e32 v[101:102], v[99:100]
	v_fma_f64 v[105:106], -v[99:100], v[101:102], 1.0
	v_fma_f64 v[101:102], v[101:102], v[105:106], v[101:102]
	v_fma_f64 v[105:106], -v[99:100], v[101:102], 1.0
	v_fma_f64 v[101:102], v[101:102], v[105:106], v[101:102]
	v_mul_f64 v[105:106], v[107:108], v[101:102]
	v_fma_f64 v[99:100], -v[99:100], v[105:106], v[107:108]
	v_div_fmas_f64 v[99:100], v[99:100], v[101:102], v[105:106]
	v_div_fixup_f64 v[101:102], v[99:100], v[97:98], 1.0
	v_mul_f64 v[103:104], v[103:104], -v[101:102]
.LBB117_286:
	s_or_b64 exec, exec, s[2:3]
	ds_write2_b64 v127, v[101:102], v[103:104] offset1:1
.LBB117_287:
	s_or_b64 exec, exec, s[4:5]
	s_waitcnt lgkmcnt(0)
	s_barrier
	ds_read2_b64 v[37:40], v127 offset1:1
	v_cmp_lt_u32_e32 vcc, 31, v0
	s_waitcnt lgkmcnt(0)
	buffer_store_dword v37, off, s[20:23], 0 offset:1520 ; 4-byte Folded Spill
	s_nop 0
	buffer_store_dword v38, off, s[20:23], 0 offset:1524 ; 4-byte Folded Spill
	buffer_store_dword v39, off, s[20:23], 0 offset:1528 ; 4-byte Folded Spill
	;; [unrolled: 1-line block ×3, first 2 shown]
	s_and_saveexec_b64 s[2:3], vcc
	s_cbranch_execz .LBB117_289
; %bb.288:
	buffer_load_dword v103, off, s[20:23], 0 offset:48 ; 4-byte Folded Reload
	buffer_load_dword v104, off, s[20:23], 0 offset:52 ; 4-byte Folded Reload
	;; [unrolled: 1-line block ×8, first 2 shown]
	s_waitcnt vmcnt(2)
	v_mul_f64 v[99:100], v[37:38], v[105:106]
	s_waitcnt vmcnt(0)
	v_mul_f64 v[97:98], v[39:40], v[105:106]
	v_fma_f64 v[105:106], v[39:40], v[103:104], v[99:100]
	ds_read2_b64 v[99:102], v125 offset0:64 offset1:65
	v_fma_f64 v[97:98], v[37:38], v[103:104], -v[97:98]
	s_waitcnt lgkmcnt(0)
	v_mul_f64 v[103:104], v[101:102], v[105:106]
	v_fma_f64 v[103:104], v[99:100], v[97:98], -v[103:104]
	v_mul_f64 v[99:100], v[99:100], v[105:106]
	v_add_f64 v[93:94], v[93:94], -v[103:104]
	v_fma_f64 v[99:100], v[101:102], v[97:98], v[99:100]
	v_add_f64 v[95:96], v[95:96], -v[99:100]
	ds_read2_b64 v[99:102], v125 offset0:66 offset1:67
	s_waitcnt lgkmcnt(0)
	v_mul_f64 v[103:104], v[101:102], v[105:106]
	v_fma_f64 v[103:104], v[99:100], v[97:98], -v[103:104]
	v_mul_f64 v[99:100], v[99:100], v[105:106]
	v_add_f64 v[109:110], v[109:110], -v[103:104]
	v_fma_f64 v[99:100], v[101:102], v[97:98], v[99:100]
	v_add_f64 v[111:112], v[111:112], -v[99:100]
	ds_read2_b64 v[99:102], v125 offset0:68 offset1:69
	;; [unrolled: 8-line block ×16, first 2 shown]
	buffer_load_dword v37, off, s[20:23], 0 offset:32 ; 4-byte Folded Reload
	buffer_load_dword v38, off, s[20:23], 0 offset:36 ; 4-byte Folded Reload
	;; [unrolled: 1-line block ×4, first 2 shown]
	s_waitcnt lgkmcnt(0)
	v_mul_f64 v[103:104], v[101:102], v[105:106]
	v_fma_f64 v[103:104], v[99:100], v[97:98], -v[103:104]
	v_mul_f64 v[99:100], v[99:100], v[105:106]
	v_fma_f64 v[99:100], v[101:102], v[97:98], v[99:100]
	s_waitcnt vmcnt(2)
	v_add_f64 v[37:38], v[37:38], -v[103:104]
	s_waitcnt vmcnt(0)
	v_add_f64 v[39:40], v[39:40], -v[99:100]
	buffer_store_dword v37, off, s[20:23], 0 offset:32 ; 4-byte Folded Spill
	s_nop 0
	buffer_store_dword v38, off, s[20:23], 0 offset:36 ; 4-byte Folded Spill
	buffer_store_dword v39, off, s[20:23], 0 offset:40 ; 4-byte Folded Spill
	;; [unrolled: 1-line block ×3, first 2 shown]
	ds_read2_b64 v[99:102], v125 offset0:98 offset1:99
	buffer_load_dword v33, off, s[20:23], 0 offset:16 ; 4-byte Folded Reload
	buffer_load_dword v34, off, s[20:23], 0 offset:20 ; 4-byte Folded Reload
	;; [unrolled: 1-line block ×4, first 2 shown]
	s_waitcnt lgkmcnt(0)
	v_mul_f64 v[103:104], v[101:102], v[105:106]
	v_fma_f64 v[103:104], v[99:100], v[97:98], -v[103:104]
	v_mul_f64 v[99:100], v[99:100], v[105:106]
	v_fma_f64 v[99:100], v[101:102], v[97:98], v[99:100]
	s_waitcnt vmcnt(2)
	v_add_f64 v[33:34], v[33:34], -v[103:104]
	s_waitcnt vmcnt(0)
	v_add_f64 v[35:36], v[35:36], -v[99:100]
	buffer_store_dword v33, off, s[20:23], 0 offset:16 ; 4-byte Folded Spill
	s_nop 0
	buffer_store_dword v34, off, s[20:23], 0 offset:20 ; 4-byte Folded Spill
	buffer_store_dword v35, off, s[20:23], 0 offset:24 ; 4-byte Folded Spill
	;; [unrolled: 1-line block ×3, first 2 shown]
	ds_read2_b64 v[99:102], v125 offset0:100 offset1:101
	s_waitcnt lgkmcnt(0)
	v_mul_f64 v[103:104], v[101:102], v[105:106]
	v_fma_f64 v[103:104], v[99:100], v[97:98], -v[103:104]
	v_mul_f64 v[99:100], v[99:100], v[105:106]
	v_add_f64 v[29:30], v[29:30], -v[103:104]
	v_fma_f64 v[99:100], v[101:102], v[97:98], v[99:100]
	v_add_f64 v[31:32], v[31:32], -v[99:100]
	ds_read2_b64 v[99:102], v125 offset0:102 offset1:103
	s_waitcnt lgkmcnt(0)
	v_mul_f64 v[103:104], v[101:102], v[105:106]
	v_fma_f64 v[103:104], v[99:100], v[97:98], -v[103:104]
	v_mul_f64 v[99:100], v[99:100], v[105:106]
	v_add_f64 v[25:26], v[25:26], -v[103:104]
	v_fma_f64 v[99:100], v[101:102], v[97:98], v[99:100]
	v_add_f64 v[27:28], v[27:28], -v[99:100]
	;; [unrolled: 8-line block ×8, first 2 shown]
	ds_read2_b64 v[99:102], v125 offset0:116 offset1:117
	buffer_load_dword v37, off, s[20:23], 0 ; 4-byte Folded Reload
	buffer_load_dword v38, off, s[20:23], 0 offset:4 ; 4-byte Folded Reload
	buffer_load_dword v39, off, s[20:23], 0 offset:8 ; 4-byte Folded Reload
	;; [unrolled: 1-line block ×3, first 2 shown]
	s_waitcnt lgkmcnt(0)
	v_mul_f64 v[103:104], v[101:102], v[105:106]
	v_fma_f64 v[103:104], v[99:100], v[97:98], -v[103:104]
	v_mul_f64 v[99:100], v[99:100], v[105:106]
	v_fma_f64 v[99:100], v[101:102], v[97:98], v[99:100]
	s_waitcnt vmcnt(2)
	v_add_f64 v[37:38], v[37:38], -v[103:104]
	v_mov_b32_e32 v104, v98
	s_waitcnt vmcnt(0)
	v_add_f64 v[39:40], v[39:40], -v[99:100]
	v_mov_b32_e32 v103, v97
	buffer_store_dword v37, off, s[20:23], 0 ; 4-byte Folded Spill
	s_nop 0
	buffer_store_dword v38, off, s[20:23], 0 offset:4 ; 4-byte Folded Spill
	buffer_store_dword v39, off, s[20:23], 0 offset:8 ; 4-byte Folded Spill
	;; [unrolled: 1-line block ×4, first 2 shown]
	s_nop 0
	buffer_store_dword v104, off, s[20:23], 0 offset:52 ; 4-byte Folded Spill
	buffer_store_dword v105, off, s[20:23], 0 offset:56 ; 4-byte Folded Spill
	;; [unrolled: 1-line block ×3, first 2 shown]
.LBB117_289:
	s_or_b64 exec, exec, s[2:3]
	v_cmp_eq_u32_e32 vcc, 32, v0
	s_waitcnt vmcnt(0)
	s_barrier
	s_and_saveexec_b64 s[4:5], vcc
	s_cbranch_execz .LBB117_296
; %bb.290:
	ds_write2_b64 v127, v[93:94], v[95:96] offset1:1
	ds_write2_b64 v125, v[109:110], v[111:112] offset0:66 offset1:67
	ds_write2_b64 v125, v[121:122], v[123:124] offset0:68 offset1:69
	;; [unrolled: 1-line block ×15, first 2 shown]
	buffer_load_dword v37, off, s[20:23], 0 offset:32 ; 4-byte Folded Reload
	buffer_load_dword v38, off, s[20:23], 0 offset:36 ; 4-byte Folded Reload
	;; [unrolled: 1-line block ×4, first 2 shown]
	s_waitcnt vmcnt(0)
	ds_write2_b64 v125, v[37:38], v[39:40] offset0:96 offset1:97
	buffer_load_dword v33, off, s[20:23], 0 offset:16 ; 4-byte Folded Reload
	buffer_load_dword v34, off, s[20:23], 0 offset:20 ; 4-byte Folded Reload
	;; [unrolled: 1-line block ×4, first 2 shown]
	s_waitcnt vmcnt(0)
	ds_write2_b64 v125, v[33:34], v[35:36] offset0:98 offset1:99
	ds_write2_b64 v125, v[29:30], v[31:32] offset0:100 offset1:101
	;; [unrolled: 1-line block ×9, first 2 shown]
	buffer_load_dword v37, off, s[20:23], 0 ; 4-byte Folded Reload
	buffer_load_dword v38, off, s[20:23], 0 offset:4 ; 4-byte Folded Reload
	buffer_load_dword v39, off, s[20:23], 0 offset:8 ; 4-byte Folded Reload
	;; [unrolled: 1-line block ×3, first 2 shown]
	s_waitcnt vmcnt(0)
	ds_write2_b64 v125, v[37:38], v[39:40] offset0:116 offset1:117
	ds_read2_b64 v[97:100], v127 offset1:1
	s_waitcnt lgkmcnt(0)
	v_cmp_neq_f64_e32 vcc, 0, v[97:98]
	v_cmp_neq_f64_e64 s[2:3], 0, v[99:100]
	s_or_b64 s[2:3], vcc, s[2:3]
	s_and_b64 exec, exec, s[2:3]
	s_cbranch_execz .LBB117_296
; %bb.291:
	v_cmp_ngt_f64_e64 s[2:3], |v[97:98]|, |v[99:100]|
                                        ; implicit-def: $vgpr101_vgpr102
	s_and_saveexec_b64 s[6:7], s[2:3]
	s_xor_b64 s[2:3], exec, s[6:7]
                                        ; implicit-def: $vgpr103_vgpr104
	s_cbranch_execz .LBB117_293
; %bb.292:
	v_div_scale_f64 v[101:102], s[6:7], v[99:100], v[99:100], v[97:98]
	v_rcp_f64_e32 v[103:104], v[101:102]
	v_fma_f64 v[105:106], -v[101:102], v[103:104], 1.0
	v_fma_f64 v[103:104], v[103:104], v[105:106], v[103:104]
	v_div_scale_f64 v[105:106], vcc, v[97:98], v[99:100], v[97:98]
	v_fma_f64 v[107:108], -v[101:102], v[103:104], 1.0
	v_fma_f64 v[103:104], v[103:104], v[107:108], v[103:104]
	v_mul_f64 v[107:108], v[105:106], v[103:104]
	v_fma_f64 v[101:102], -v[101:102], v[107:108], v[105:106]
	v_div_fmas_f64 v[101:102], v[101:102], v[103:104], v[107:108]
	v_div_fixup_f64 v[101:102], v[101:102], v[99:100], v[97:98]
	v_fma_f64 v[97:98], v[97:98], v[101:102], v[99:100]
	v_div_scale_f64 v[99:100], s[6:7], v[97:98], v[97:98], 1.0
	v_div_scale_f64 v[107:108], vcc, 1.0, v[97:98], 1.0
	v_rcp_f64_e32 v[103:104], v[99:100]
	v_fma_f64 v[105:106], -v[99:100], v[103:104], 1.0
	v_fma_f64 v[103:104], v[103:104], v[105:106], v[103:104]
	v_fma_f64 v[105:106], -v[99:100], v[103:104], 1.0
	v_fma_f64 v[103:104], v[103:104], v[105:106], v[103:104]
	v_mul_f64 v[105:106], v[107:108], v[103:104]
	v_fma_f64 v[99:100], -v[99:100], v[105:106], v[107:108]
	v_div_fmas_f64 v[99:100], v[99:100], v[103:104], v[105:106]
	v_div_fixup_f64 v[103:104], v[99:100], v[97:98], 1.0
                                        ; implicit-def: $vgpr97_vgpr98
	v_mul_f64 v[101:102], v[101:102], v[103:104]
	v_xor_b32_e32 v104, 0x80000000, v104
.LBB117_293:
	s_andn2_saveexec_b64 s[2:3], s[2:3]
	s_cbranch_execz .LBB117_295
; %bb.294:
	v_div_scale_f64 v[101:102], s[6:7], v[97:98], v[97:98], v[99:100]
	v_rcp_f64_e32 v[103:104], v[101:102]
	v_fma_f64 v[105:106], -v[101:102], v[103:104], 1.0
	v_fma_f64 v[103:104], v[103:104], v[105:106], v[103:104]
	v_div_scale_f64 v[105:106], vcc, v[99:100], v[97:98], v[99:100]
	v_fma_f64 v[107:108], -v[101:102], v[103:104], 1.0
	v_fma_f64 v[103:104], v[103:104], v[107:108], v[103:104]
	v_mul_f64 v[107:108], v[105:106], v[103:104]
	v_fma_f64 v[101:102], -v[101:102], v[107:108], v[105:106]
	v_div_fmas_f64 v[101:102], v[101:102], v[103:104], v[107:108]
	v_div_fixup_f64 v[103:104], v[101:102], v[97:98], v[99:100]
	v_fma_f64 v[97:98], v[99:100], v[103:104], v[97:98]
	v_div_scale_f64 v[99:100], s[6:7], v[97:98], v[97:98], 1.0
	v_div_scale_f64 v[107:108], vcc, 1.0, v[97:98], 1.0
	v_rcp_f64_e32 v[101:102], v[99:100]
	v_fma_f64 v[105:106], -v[99:100], v[101:102], 1.0
	v_fma_f64 v[101:102], v[101:102], v[105:106], v[101:102]
	v_fma_f64 v[105:106], -v[99:100], v[101:102], 1.0
	v_fma_f64 v[101:102], v[101:102], v[105:106], v[101:102]
	v_mul_f64 v[105:106], v[107:108], v[101:102]
	v_fma_f64 v[99:100], -v[99:100], v[105:106], v[107:108]
	v_div_fmas_f64 v[99:100], v[99:100], v[101:102], v[105:106]
	v_div_fixup_f64 v[101:102], v[99:100], v[97:98], 1.0
	v_mul_f64 v[103:104], v[103:104], -v[101:102]
.LBB117_295:
	s_or_b64 exec, exec, s[2:3]
	ds_write2_b64 v127, v[101:102], v[103:104] offset1:1
.LBB117_296:
	s_or_b64 exec, exec, s[4:5]
	s_waitcnt lgkmcnt(0)
	s_barrier
	ds_read2_b64 v[37:40], v127 offset1:1
	v_cmp_lt_u32_e32 vcc, 32, v0
	s_waitcnt lgkmcnt(0)
	buffer_store_dword v37, off, s[20:23], 0 offset:1536 ; 4-byte Folded Spill
	s_nop 0
	buffer_store_dword v38, off, s[20:23], 0 offset:1540 ; 4-byte Folded Spill
	buffer_store_dword v39, off, s[20:23], 0 offset:1544 ; 4-byte Folded Spill
	;; [unrolled: 1-line block ×3, first 2 shown]
	s_and_saveexec_b64 s[2:3], vcc
	s_cbranch_execz .LBB117_298
; %bb.297:
	buffer_load_dword v37, off, s[20:23], 0 offset:1536 ; 4-byte Folded Reload
	buffer_load_dword v38, off, s[20:23], 0 offset:1540 ; 4-byte Folded Reload
	;; [unrolled: 1-line block ×4, first 2 shown]
	s_waitcnt vmcnt(2)
	v_mul_f64 v[99:100], v[37:38], v[95:96]
	s_waitcnt vmcnt(0)
	v_mul_f64 v[97:98], v[39:40], v[95:96]
	v_fma_f64 v[95:96], v[39:40], v[93:94], v[99:100]
	ds_read2_b64 v[99:102], v125 offset0:66 offset1:67
	v_fma_f64 v[97:98], v[37:38], v[93:94], -v[97:98]
	s_waitcnt lgkmcnt(0)
	v_mul_f64 v[103:104], v[101:102], v[95:96]
	v_mov_b32_e32 v93, v97
	v_mov_b32_e32 v94, v98
	v_fma_f64 v[103:104], v[99:100], v[97:98], -v[103:104]
	v_mul_f64 v[99:100], v[99:100], v[95:96]
	v_add_f64 v[109:110], v[109:110], -v[103:104]
	v_fma_f64 v[99:100], v[101:102], v[97:98], v[99:100]
	v_add_f64 v[111:112], v[111:112], -v[99:100]
	ds_read2_b64 v[99:102], v125 offset0:68 offset1:69
	s_waitcnt lgkmcnt(0)
	v_mul_f64 v[103:104], v[101:102], v[95:96]
	v_fma_f64 v[103:104], v[99:100], v[97:98], -v[103:104]
	v_mul_f64 v[99:100], v[99:100], v[95:96]
	v_add_f64 v[121:122], v[121:122], -v[103:104]
	v_fma_f64 v[99:100], v[101:102], v[97:98], v[99:100]
	v_add_f64 v[123:124], v[123:124], -v[99:100]
	ds_read2_b64 v[99:102], v125 offset0:70 offset1:71
	s_waitcnt lgkmcnt(0)
	v_mul_f64 v[103:104], v[101:102], v[95:96]
	v_fma_f64 v[103:104], v[99:100], v[97:98], -v[103:104]
	v_mul_f64 v[99:100], v[99:100], v[95:96]
	v_add_f64 v[113:114], v[113:114], -v[103:104]
	v_fma_f64 v[99:100], v[101:102], v[97:98], v[99:100]
	v_add_f64 v[115:116], v[115:116], -v[99:100]
	ds_read2_b64 v[99:102], v125 offset0:72 offset1:73
	s_waitcnt lgkmcnt(0)
	v_mul_f64 v[103:104], v[101:102], v[95:96]
	v_fma_f64 v[103:104], v[99:100], v[97:98], -v[103:104]
	v_mul_f64 v[99:100], v[99:100], v[95:96]
	v_add_f64 v[89:90], v[89:90], -v[103:104]
	v_fma_f64 v[99:100], v[101:102], v[97:98], v[99:100]
	v_add_f64 v[91:92], v[91:92], -v[99:100]
	ds_read2_b64 v[99:102], v125 offset0:74 offset1:75
	s_waitcnt lgkmcnt(0)
	v_mul_f64 v[103:104], v[101:102], v[95:96]
	v_fma_f64 v[103:104], v[99:100], v[97:98], -v[103:104]
	v_mul_f64 v[99:100], v[99:100], v[95:96]
	v_add_f64 v[81:82], v[81:82], -v[103:104]
	v_fma_f64 v[99:100], v[101:102], v[97:98], v[99:100]
	v_add_f64 v[83:84], v[83:84], -v[99:100]
	ds_read2_b64 v[99:102], v125 offset0:76 offset1:77
	s_waitcnt lgkmcnt(0)
	v_mul_f64 v[103:104], v[101:102], v[95:96]
	v_fma_f64 v[103:104], v[99:100], v[97:98], -v[103:104]
	v_mul_f64 v[99:100], v[99:100], v[95:96]
	v_add_f64 v[77:78], v[77:78], -v[103:104]
	v_fma_f64 v[99:100], v[101:102], v[97:98], v[99:100]
	v_add_f64 v[79:80], v[79:80], -v[99:100]
	ds_read2_b64 v[99:102], v125 offset0:78 offset1:79
	s_waitcnt lgkmcnt(0)
	v_mul_f64 v[103:104], v[101:102], v[95:96]
	v_fma_f64 v[103:104], v[99:100], v[97:98], -v[103:104]
	v_mul_f64 v[99:100], v[99:100], v[95:96]
	v_add_f64 v[73:74], v[73:74], -v[103:104]
	v_fma_f64 v[99:100], v[101:102], v[97:98], v[99:100]
	v_add_f64 v[75:76], v[75:76], -v[99:100]
	ds_read2_b64 v[99:102], v125 offset0:80 offset1:81
	s_waitcnt lgkmcnt(0)
	v_mul_f64 v[103:104], v[101:102], v[95:96]
	v_fma_f64 v[103:104], v[99:100], v[97:98], -v[103:104]
	v_mul_f64 v[99:100], v[99:100], v[95:96]
	v_add_f64 v[69:70], v[69:70], -v[103:104]
	v_fma_f64 v[99:100], v[101:102], v[97:98], v[99:100]
	v_add_f64 v[71:72], v[71:72], -v[99:100]
	ds_read2_b64 v[99:102], v125 offset0:82 offset1:83
	s_waitcnt lgkmcnt(0)
	v_mul_f64 v[103:104], v[101:102], v[95:96]
	v_fma_f64 v[103:104], v[99:100], v[97:98], -v[103:104]
	v_mul_f64 v[99:100], v[99:100], v[95:96]
	v_add_f64 v[65:66], v[65:66], -v[103:104]
	v_fma_f64 v[99:100], v[101:102], v[97:98], v[99:100]
	v_add_f64 v[67:68], v[67:68], -v[99:100]
	ds_read2_b64 v[99:102], v125 offset0:84 offset1:85
	s_waitcnt lgkmcnt(0)
	v_mul_f64 v[103:104], v[101:102], v[95:96]
	v_fma_f64 v[103:104], v[99:100], v[97:98], -v[103:104]
	v_mul_f64 v[99:100], v[99:100], v[95:96]
	v_add_f64 v[61:62], v[61:62], -v[103:104]
	v_fma_f64 v[99:100], v[101:102], v[97:98], v[99:100]
	v_add_f64 v[63:64], v[63:64], -v[99:100]
	ds_read2_b64 v[99:102], v125 offset0:86 offset1:87
	s_waitcnt lgkmcnt(0)
	v_mul_f64 v[103:104], v[101:102], v[95:96]
	v_fma_f64 v[103:104], v[99:100], v[97:98], -v[103:104]
	v_mul_f64 v[99:100], v[99:100], v[95:96]
	v_add_f64 v[57:58], v[57:58], -v[103:104]
	v_fma_f64 v[99:100], v[101:102], v[97:98], v[99:100]
	v_add_f64 v[59:60], v[59:60], -v[99:100]
	ds_read2_b64 v[99:102], v125 offset0:88 offset1:89
	s_waitcnt lgkmcnt(0)
	v_mul_f64 v[103:104], v[101:102], v[95:96]
	v_fma_f64 v[103:104], v[99:100], v[97:98], -v[103:104]
	v_mul_f64 v[99:100], v[99:100], v[95:96]
	v_add_f64 v[53:54], v[53:54], -v[103:104]
	v_fma_f64 v[99:100], v[101:102], v[97:98], v[99:100]
	v_add_f64 v[55:56], v[55:56], -v[99:100]
	ds_read2_b64 v[99:102], v125 offset0:90 offset1:91
	s_waitcnt lgkmcnt(0)
	v_mul_f64 v[103:104], v[101:102], v[95:96]
	v_fma_f64 v[103:104], v[99:100], v[97:98], -v[103:104]
	v_mul_f64 v[99:100], v[99:100], v[95:96]
	v_add_f64 v[49:50], v[49:50], -v[103:104]
	v_fma_f64 v[99:100], v[101:102], v[97:98], v[99:100]
	v_add_f64 v[51:52], v[51:52], -v[99:100]
	ds_read2_b64 v[99:102], v125 offset0:92 offset1:93
	s_waitcnt lgkmcnt(0)
	v_mul_f64 v[103:104], v[101:102], v[95:96]
	v_fma_f64 v[103:104], v[99:100], v[97:98], -v[103:104]
	v_mul_f64 v[99:100], v[99:100], v[95:96]
	v_add_f64 v[45:46], v[45:46], -v[103:104]
	v_fma_f64 v[99:100], v[101:102], v[97:98], v[99:100]
	v_add_f64 v[47:48], v[47:48], -v[99:100]
	ds_read2_b64 v[99:102], v125 offset0:94 offset1:95
	s_waitcnt lgkmcnt(0)
	v_mul_f64 v[103:104], v[101:102], v[95:96]
	v_fma_f64 v[103:104], v[99:100], v[97:98], -v[103:104]
	v_mul_f64 v[99:100], v[99:100], v[95:96]
	v_add_f64 v[41:42], v[41:42], -v[103:104]
	v_fma_f64 v[99:100], v[101:102], v[97:98], v[99:100]
	v_add_f64 v[43:44], v[43:44], -v[99:100]
	ds_read2_b64 v[99:102], v125 offset0:96 offset1:97
	buffer_load_dword v37, off, s[20:23], 0 offset:32 ; 4-byte Folded Reload
	buffer_load_dword v38, off, s[20:23], 0 offset:36 ; 4-byte Folded Reload
	;; [unrolled: 1-line block ×4, first 2 shown]
	s_waitcnt lgkmcnt(0)
	v_mul_f64 v[103:104], v[101:102], v[95:96]
	v_fma_f64 v[103:104], v[99:100], v[97:98], -v[103:104]
	v_mul_f64 v[99:100], v[99:100], v[95:96]
	v_fma_f64 v[99:100], v[101:102], v[97:98], v[99:100]
	s_waitcnt vmcnt(2)
	v_add_f64 v[37:38], v[37:38], -v[103:104]
	s_waitcnt vmcnt(0)
	v_add_f64 v[39:40], v[39:40], -v[99:100]
	buffer_store_dword v37, off, s[20:23], 0 offset:32 ; 4-byte Folded Spill
	s_nop 0
	buffer_store_dword v38, off, s[20:23], 0 offset:36 ; 4-byte Folded Spill
	buffer_store_dword v39, off, s[20:23], 0 offset:40 ; 4-byte Folded Spill
	;; [unrolled: 1-line block ×3, first 2 shown]
	ds_read2_b64 v[99:102], v125 offset0:98 offset1:99
	buffer_load_dword v33, off, s[20:23], 0 offset:16 ; 4-byte Folded Reload
	buffer_load_dword v34, off, s[20:23], 0 offset:20 ; 4-byte Folded Reload
	;; [unrolled: 1-line block ×4, first 2 shown]
	s_waitcnt lgkmcnt(0)
	v_mul_f64 v[103:104], v[101:102], v[95:96]
	v_fma_f64 v[103:104], v[99:100], v[97:98], -v[103:104]
	v_mul_f64 v[99:100], v[99:100], v[95:96]
	v_fma_f64 v[99:100], v[101:102], v[97:98], v[99:100]
	s_waitcnt vmcnt(2)
	v_add_f64 v[33:34], v[33:34], -v[103:104]
	s_waitcnt vmcnt(0)
	v_add_f64 v[35:36], v[35:36], -v[99:100]
	buffer_store_dword v33, off, s[20:23], 0 offset:16 ; 4-byte Folded Spill
	s_nop 0
	buffer_store_dword v34, off, s[20:23], 0 offset:20 ; 4-byte Folded Spill
	buffer_store_dword v35, off, s[20:23], 0 offset:24 ; 4-byte Folded Spill
	;; [unrolled: 1-line block ×3, first 2 shown]
	ds_read2_b64 v[99:102], v125 offset0:100 offset1:101
	s_waitcnt lgkmcnt(0)
	v_mul_f64 v[103:104], v[101:102], v[95:96]
	v_fma_f64 v[103:104], v[99:100], v[97:98], -v[103:104]
	v_mul_f64 v[99:100], v[99:100], v[95:96]
	v_add_f64 v[29:30], v[29:30], -v[103:104]
	v_fma_f64 v[99:100], v[101:102], v[97:98], v[99:100]
	v_add_f64 v[31:32], v[31:32], -v[99:100]
	ds_read2_b64 v[99:102], v125 offset0:102 offset1:103
	s_waitcnt lgkmcnt(0)
	v_mul_f64 v[103:104], v[101:102], v[95:96]
	v_fma_f64 v[103:104], v[99:100], v[97:98], -v[103:104]
	v_mul_f64 v[99:100], v[99:100], v[95:96]
	v_add_f64 v[25:26], v[25:26], -v[103:104]
	v_fma_f64 v[99:100], v[101:102], v[97:98], v[99:100]
	v_add_f64 v[27:28], v[27:28], -v[99:100]
	;; [unrolled: 8-line block ×8, first 2 shown]
	ds_read2_b64 v[99:102], v125 offset0:116 offset1:117
	buffer_load_dword v37, off, s[20:23], 0 ; 4-byte Folded Reload
	buffer_load_dword v38, off, s[20:23], 0 offset:4 ; 4-byte Folded Reload
	buffer_load_dword v39, off, s[20:23], 0 offset:8 ; 4-byte Folded Reload
	;; [unrolled: 1-line block ×3, first 2 shown]
	s_waitcnt lgkmcnt(0)
	v_mul_f64 v[103:104], v[101:102], v[95:96]
	v_fma_f64 v[103:104], v[99:100], v[97:98], -v[103:104]
	v_mul_f64 v[99:100], v[99:100], v[95:96]
	v_fma_f64 v[99:100], v[101:102], v[97:98], v[99:100]
	s_waitcnt vmcnt(2)
	v_add_f64 v[37:38], v[37:38], -v[103:104]
	s_waitcnt vmcnt(0)
	v_add_f64 v[39:40], v[39:40], -v[99:100]
	buffer_store_dword v37, off, s[20:23], 0 ; 4-byte Folded Spill
	s_nop 0
	buffer_store_dword v38, off, s[20:23], 0 offset:4 ; 4-byte Folded Spill
	buffer_store_dword v39, off, s[20:23], 0 offset:8 ; 4-byte Folded Spill
	;; [unrolled: 1-line block ×3, first 2 shown]
.LBB117_298:
	s_or_b64 exec, exec, s[2:3]
	v_cmp_eq_u32_e32 vcc, 33, v0
	s_waitcnt vmcnt(0)
	s_barrier
	s_and_saveexec_b64 s[4:5], vcc
	s_cbranch_execz .LBB117_305
; %bb.299:
	ds_write2_b64 v127, v[109:110], v[111:112] offset1:1
	ds_write2_b64 v125, v[121:122], v[123:124] offset0:68 offset1:69
	ds_write2_b64 v125, v[113:114], v[115:116] offset0:70 offset1:71
	;; [unrolled: 1-line block ×14, first 2 shown]
	buffer_load_dword v37, off, s[20:23], 0 offset:32 ; 4-byte Folded Reload
	buffer_load_dword v38, off, s[20:23], 0 offset:36 ; 4-byte Folded Reload
	;; [unrolled: 1-line block ×4, first 2 shown]
	s_waitcnt vmcnt(0)
	ds_write2_b64 v125, v[37:38], v[39:40] offset0:96 offset1:97
	buffer_load_dword v33, off, s[20:23], 0 offset:16 ; 4-byte Folded Reload
	buffer_load_dword v34, off, s[20:23], 0 offset:20 ; 4-byte Folded Reload
	buffer_load_dword v35, off, s[20:23], 0 offset:24 ; 4-byte Folded Reload
	buffer_load_dword v36, off, s[20:23], 0 offset:28 ; 4-byte Folded Reload
	s_waitcnt vmcnt(0)
	ds_write2_b64 v125, v[33:34], v[35:36] offset0:98 offset1:99
	ds_write2_b64 v125, v[29:30], v[31:32] offset0:100 offset1:101
	;; [unrolled: 1-line block ×9, first 2 shown]
	buffer_load_dword v37, off, s[20:23], 0 ; 4-byte Folded Reload
	buffer_load_dword v38, off, s[20:23], 0 offset:4 ; 4-byte Folded Reload
	buffer_load_dword v39, off, s[20:23], 0 offset:8 ; 4-byte Folded Reload
	;; [unrolled: 1-line block ×3, first 2 shown]
	s_waitcnt vmcnt(0)
	ds_write2_b64 v125, v[37:38], v[39:40] offset0:116 offset1:117
	ds_read2_b64 v[97:100], v127 offset1:1
	s_waitcnt lgkmcnt(0)
	v_cmp_neq_f64_e32 vcc, 0, v[97:98]
	v_cmp_neq_f64_e64 s[2:3], 0, v[99:100]
	s_or_b64 s[2:3], vcc, s[2:3]
	s_and_b64 exec, exec, s[2:3]
	s_cbranch_execz .LBB117_305
; %bb.300:
	v_cmp_ngt_f64_e64 s[2:3], |v[97:98]|, |v[99:100]|
                                        ; implicit-def: $vgpr101_vgpr102
	s_and_saveexec_b64 s[6:7], s[2:3]
	s_xor_b64 s[2:3], exec, s[6:7]
                                        ; implicit-def: $vgpr103_vgpr104
	s_cbranch_execz .LBB117_302
; %bb.301:
	v_div_scale_f64 v[101:102], s[6:7], v[99:100], v[99:100], v[97:98]
	v_rcp_f64_e32 v[103:104], v[101:102]
	v_fma_f64 v[105:106], -v[101:102], v[103:104], 1.0
	v_fma_f64 v[103:104], v[103:104], v[105:106], v[103:104]
	v_div_scale_f64 v[105:106], vcc, v[97:98], v[99:100], v[97:98]
	v_fma_f64 v[107:108], -v[101:102], v[103:104], 1.0
	v_fma_f64 v[103:104], v[103:104], v[107:108], v[103:104]
	v_mul_f64 v[107:108], v[105:106], v[103:104]
	v_fma_f64 v[101:102], -v[101:102], v[107:108], v[105:106]
	v_div_fmas_f64 v[101:102], v[101:102], v[103:104], v[107:108]
	v_div_fixup_f64 v[101:102], v[101:102], v[99:100], v[97:98]
	v_fma_f64 v[97:98], v[97:98], v[101:102], v[99:100]
	v_div_scale_f64 v[99:100], s[6:7], v[97:98], v[97:98], 1.0
	v_div_scale_f64 v[107:108], vcc, 1.0, v[97:98], 1.0
	v_rcp_f64_e32 v[103:104], v[99:100]
	v_fma_f64 v[105:106], -v[99:100], v[103:104], 1.0
	v_fma_f64 v[103:104], v[103:104], v[105:106], v[103:104]
	v_fma_f64 v[105:106], -v[99:100], v[103:104], 1.0
	v_fma_f64 v[103:104], v[103:104], v[105:106], v[103:104]
	v_mul_f64 v[105:106], v[107:108], v[103:104]
	v_fma_f64 v[99:100], -v[99:100], v[105:106], v[107:108]
	v_div_fmas_f64 v[99:100], v[99:100], v[103:104], v[105:106]
	v_div_fixup_f64 v[103:104], v[99:100], v[97:98], 1.0
                                        ; implicit-def: $vgpr97_vgpr98
	v_mul_f64 v[101:102], v[101:102], v[103:104]
	v_xor_b32_e32 v104, 0x80000000, v104
.LBB117_302:
	s_andn2_saveexec_b64 s[2:3], s[2:3]
	s_cbranch_execz .LBB117_304
; %bb.303:
	v_div_scale_f64 v[101:102], s[6:7], v[97:98], v[97:98], v[99:100]
	v_rcp_f64_e32 v[103:104], v[101:102]
	v_fma_f64 v[105:106], -v[101:102], v[103:104], 1.0
	v_fma_f64 v[103:104], v[103:104], v[105:106], v[103:104]
	v_div_scale_f64 v[105:106], vcc, v[99:100], v[97:98], v[99:100]
	v_fma_f64 v[107:108], -v[101:102], v[103:104], 1.0
	v_fma_f64 v[103:104], v[103:104], v[107:108], v[103:104]
	v_mul_f64 v[107:108], v[105:106], v[103:104]
	v_fma_f64 v[101:102], -v[101:102], v[107:108], v[105:106]
	v_div_fmas_f64 v[101:102], v[101:102], v[103:104], v[107:108]
	v_div_fixup_f64 v[103:104], v[101:102], v[97:98], v[99:100]
	v_fma_f64 v[97:98], v[99:100], v[103:104], v[97:98]
	v_div_scale_f64 v[99:100], s[6:7], v[97:98], v[97:98], 1.0
	v_div_scale_f64 v[107:108], vcc, 1.0, v[97:98], 1.0
	v_rcp_f64_e32 v[101:102], v[99:100]
	v_fma_f64 v[105:106], -v[99:100], v[101:102], 1.0
	v_fma_f64 v[101:102], v[101:102], v[105:106], v[101:102]
	v_fma_f64 v[105:106], -v[99:100], v[101:102], 1.0
	v_fma_f64 v[101:102], v[101:102], v[105:106], v[101:102]
	v_mul_f64 v[105:106], v[107:108], v[101:102]
	v_fma_f64 v[99:100], -v[99:100], v[105:106], v[107:108]
	v_div_fmas_f64 v[99:100], v[99:100], v[101:102], v[105:106]
	v_div_fixup_f64 v[101:102], v[99:100], v[97:98], 1.0
	v_mul_f64 v[103:104], v[103:104], -v[101:102]
.LBB117_304:
	s_or_b64 exec, exec, s[2:3]
	ds_write2_b64 v127, v[101:102], v[103:104] offset1:1
.LBB117_305:
	s_or_b64 exec, exec, s[4:5]
	s_waitcnt lgkmcnt(0)
	s_barrier
	ds_read2_b64 v[37:40], v127 offset1:1
	v_cmp_lt_u32_e32 vcc, 33, v0
	s_waitcnt lgkmcnt(0)
	buffer_store_dword v37, off, s[20:23], 0 offset:1552 ; 4-byte Folded Spill
	s_nop 0
	buffer_store_dword v38, off, s[20:23], 0 offset:1556 ; 4-byte Folded Spill
	buffer_store_dword v39, off, s[20:23], 0 offset:1560 ; 4-byte Folded Spill
	;; [unrolled: 1-line block ×3, first 2 shown]
	s_and_saveexec_b64 s[2:3], vcc
	s_cbranch_execz .LBB117_307
; %bb.306:
	buffer_load_dword v37, off, s[20:23], 0 offset:1552 ; 4-byte Folded Reload
	buffer_load_dword v38, off, s[20:23], 0 offset:1556 ; 4-byte Folded Reload
	;; [unrolled: 1-line block ×4, first 2 shown]
	s_waitcnt vmcnt(2)
	v_mul_f64 v[99:100], v[37:38], v[111:112]
	s_waitcnt vmcnt(0)
	v_mul_f64 v[97:98], v[39:40], v[111:112]
	v_fma_f64 v[111:112], v[39:40], v[109:110], v[99:100]
	ds_read2_b64 v[99:102], v125 offset0:68 offset1:69
	v_fma_f64 v[97:98], v[37:38], v[109:110], -v[97:98]
	s_waitcnt lgkmcnt(0)
	v_mul_f64 v[103:104], v[101:102], v[111:112]
	v_mov_b32_e32 v110, v98
	v_mov_b32_e32 v109, v97
	v_fma_f64 v[103:104], v[99:100], v[97:98], -v[103:104]
	v_mul_f64 v[99:100], v[99:100], v[111:112]
	v_add_f64 v[121:122], v[121:122], -v[103:104]
	v_fma_f64 v[99:100], v[101:102], v[97:98], v[99:100]
	v_add_f64 v[123:124], v[123:124], -v[99:100]
	ds_read2_b64 v[99:102], v125 offset0:70 offset1:71
	s_waitcnt lgkmcnt(0)
	v_mul_f64 v[103:104], v[101:102], v[111:112]
	v_fma_f64 v[103:104], v[99:100], v[97:98], -v[103:104]
	v_mul_f64 v[99:100], v[99:100], v[111:112]
	v_add_f64 v[113:114], v[113:114], -v[103:104]
	v_fma_f64 v[99:100], v[101:102], v[97:98], v[99:100]
	v_add_f64 v[115:116], v[115:116], -v[99:100]
	ds_read2_b64 v[99:102], v125 offset0:72 offset1:73
	s_waitcnt lgkmcnt(0)
	v_mul_f64 v[103:104], v[101:102], v[111:112]
	;; [unrolled: 8-line block ×13, first 2 shown]
	v_fma_f64 v[103:104], v[99:100], v[97:98], -v[103:104]
	v_mul_f64 v[99:100], v[99:100], v[111:112]
	v_add_f64 v[41:42], v[41:42], -v[103:104]
	v_fma_f64 v[99:100], v[101:102], v[97:98], v[99:100]
	v_add_f64 v[43:44], v[43:44], -v[99:100]
	ds_read2_b64 v[99:102], v125 offset0:96 offset1:97
	buffer_load_dword v37, off, s[20:23], 0 offset:32 ; 4-byte Folded Reload
	buffer_load_dword v38, off, s[20:23], 0 offset:36 ; 4-byte Folded Reload
	;; [unrolled: 1-line block ×4, first 2 shown]
	s_waitcnt lgkmcnt(0)
	v_mul_f64 v[103:104], v[101:102], v[111:112]
	v_fma_f64 v[103:104], v[99:100], v[97:98], -v[103:104]
	v_mul_f64 v[99:100], v[99:100], v[111:112]
	v_fma_f64 v[99:100], v[101:102], v[97:98], v[99:100]
	s_waitcnt vmcnt(2)
	v_add_f64 v[37:38], v[37:38], -v[103:104]
	s_waitcnt vmcnt(0)
	v_add_f64 v[39:40], v[39:40], -v[99:100]
	buffer_store_dword v37, off, s[20:23], 0 offset:32 ; 4-byte Folded Spill
	s_nop 0
	buffer_store_dword v38, off, s[20:23], 0 offset:36 ; 4-byte Folded Spill
	buffer_store_dword v39, off, s[20:23], 0 offset:40 ; 4-byte Folded Spill
	;; [unrolled: 1-line block ×3, first 2 shown]
	ds_read2_b64 v[99:102], v125 offset0:98 offset1:99
	buffer_load_dword v33, off, s[20:23], 0 offset:16 ; 4-byte Folded Reload
	buffer_load_dword v34, off, s[20:23], 0 offset:20 ; 4-byte Folded Reload
	;; [unrolled: 1-line block ×4, first 2 shown]
	s_waitcnt lgkmcnt(0)
	v_mul_f64 v[103:104], v[101:102], v[111:112]
	v_fma_f64 v[103:104], v[99:100], v[97:98], -v[103:104]
	v_mul_f64 v[99:100], v[99:100], v[111:112]
	v_fma_f64 v[99:100], v[101:102], v[97:98], v[99:100]
	s_waitcnt vmcnt(2)
	v_add_f64 v[33:34], v[33:34], -v[103:104]
	s_waitcnt vmcnt(0)
	v_add_f64 v[35:36], v[35:36], -v[99:100]
	buffer_store_dword v33, off, s[20:23], 0 offset:16 ; 4-byte Folded Spill
	s_nop 0
	buffer_store_dword v34, off, s[20:23], 0 offset:20 ; 4-byte Folded Spill
	buffer_store_dword v35, off, s[20:23], 0 offset:24 ; 4-byte Folded Spill
	;; [unrolled: 1-line block ×3, first 2 shown]
	ds_read2_b64 v[99:102], v125 offset0:100 offset1:101
	s_waitcnt lgkmcnt(0)
	v_mul_f64 v[103:104], v[101:102], v[111:112]
	v_fma_f64 v[103:104], v[99:100], v[97:98], -v[103:104]
	v_mul_f64 v[99:100], v[99:100], v[111:112]
	v_add_f64 v[29:30], v[29:30], -v[103:104]
	v_fma_f64 v[99:100], v[101:102], v[97:98], v[99:100]
	v_add_f64 v[31:32], v[31:32], -v[99:100]
	ds_read2_b64 v[99:102], v125 offset0:102 offset1:103
	s_waitcnt lgkmcnt(0)
	v_mul_f64 v[103:104], v[101:102], v[111:112]
	v_fma_f64 v[103:104], v[99:100], v[97:98], -v[103:104]
	v_mul_f64 v[99:100], v[99:100], v[111:112]
	v_add_f64 v[25:26], v[25:26], -v[103:104]
	v_fma_f64 v[99:100], v[101:102], v[97:98], v[99:100]
	v_add_f64 v[27:28], v[27:28], -v[99:100]
	;; [unrolled: 8-line block ×8, first 2 shown]
	ds_read2_b64 v[99:102], v125 offset0:116 offset1:117
	buffer_load_dword v37, off, s[20:23], 0 ; 4-byte Folded Reload
	buffer_load_dword v38, off, s[20:23], 0 offset:4 ; 4-byte Folded Reload
	buffer_load_dword v39, off, s[20:23], 0 offset:8 ; 4-byte Folded Reload
	;; [unrolled: 1-line block ×3, first 2 shown]
	s_waitcnt lgkmcnt(0)
	v_mul_f64 v[103:104], v[101:102], v[111:112]
	v_fma_f64 v[103:104], v[99:100], v[97:98], -v[103:104]
	v_mul_f64 v[99:100], v[99:100], v[111:112]
	v_fma_f64 v[99:100], v[101:102], v[97:98], v[99:100]
	s_waitcnt vmcnt(2)
	v_add_f64 v[37:38], v[37:38], -v[103:104]
	s_waitcnt vmcnt(0)
	v_add_f64 v[39:40], v[39:40], -v[99:100]
	buffer_store_dword v37, off, s[20:23], 0 ; 4-byte Folded Spill
	s_nop 0
	buffer_store_dword v38, off, s[20:23], 0 offset:4 ; 4-byte Folded Spill
	buffer_store_dword v39, off, s[20:23], 0 offset:8 ; 4-byte Folded Spill
	buffer_store_dword v40, off, s[20:23], 0 offset:12 ; 4-byte Folded Spill
.LBB117_307:
	s_or_b64 exec, exec, s[2:3]
	v_cmp_eq_u32_e32 vcc, 34, v0
	s_waitcnt vmcnt(0)
	s_barrier
	s_and_saveexec_b64 s[4:5], vcc
	s_cbranch_execz .LBB117_314
; %bb.308:
	ds_write2_b64 v127, v[121:122], v[123:124] offset1:1
	ds_write2_b64 v125, v[113:114], v[115:116] offset0:70 offset1:71
	ds_write2_b64 v125, v[89:90], v[91:92] offset0:72 offset1:73
	;; [unrolled: 1-line block ×13, first 2 shown]
	buffer_load_dword v37, off, s[20:23], 0 offset:32 ; 4-byte Folded Reload
	buffer_load_dword v38, off, s[20:23], 0 offset:36 ; 4-byte Folded Reload
	;; [unrolled: 1-line block ×4, first 2 shown]
	s_waitcnt vmcnt(0)
	ds_write2_b64 v125, v[37:38], v[39:40] offset0:96 offset1:97
	buffer_load_dword v33, off, s[20:23], 0 offset:16 ; 4-byte Folded Reload
	buffer_load_dword v34, off, s[20:23], 0 offset:20 ; 4-byte Folded Reload
	buffer_load_dword v35, off, s[20:23], 0 offset:24 ; 4-byte Folded Reload
	buffer_load_dword v36, off, s[20:23], 0 offset:28 ; 4-byte Folded Reload
	s_waitcnt vmcnt(0)
	ds_write2_b64 v125, v[33:34], v[35:36] offset0:98 offset1:99
	ds_write2_b64 v125, v[29:30], v[31:32] offset0:100 offset1:101
	;; [unrolled: 1-line block ×9, first 2 shown]
	buffer_load_dword v37, off, s[20:23], 0 ; 4-byte Folded Reload
	buffer_load_dword v38, off, s[20:23], 0 offset:4 ; 4-byte Folded Reload
	buffer_load_dword v39, off, s[20:23], 0 offset:8 ; 4-byte Folded Reload
	;; [unrolled: 1-line block ×3, first 2 shown]
	s_waitcnt vmcnt(0)
	ds_write2_b64 v125, v[37:38], v[39:40] offset0:116 offset1:117
	ds_read2_b64 v[97:100], v127 offset1:1
	s_waitcnt lgkmcnt(0)
	v_cmp_neq_f64_e32 vcc, 0, v[97:98]
	v_cmp_neq_f64_e64 s[2:3], 0, v[99:100]
	s_or_b64 s[2:3], vcc, s[2:3]
	s_and_b64 exec, exec, s[2:3]
	s_cbranch_execz .LBB117_314
; %bb.309:
	v_cmp_ngt_f64_e64 s[2:3], |v[97:98]|, |v[99:100]|
                                        ; implicit-def: $vgpr101_vgpr102
	s_and_saveexec_b64 s[6:7], s[2:3]
	s_xor_b64 s[2:3], exec, s[6:7]
                                        ; implicit-def: $vgpr103_vgpr104
	s_cbranch_execz .LBB117_311
; %bb.310:
	v_div_scale_f64 v[101:102], s[6:7], v[99:100], v[99:100], v[97:98]
	v_rcp_f64_e32 v[103:104], v[101:102]
	v_fma_f64 v[105:106], -v[101:102], v[103:104], 1.0
	v_fma_f64 v[103:104], v[103:104], v[105:106], v[103:104]
	v_div_scale_f64 v[105:106], vcc, v[97:98], v[99:100], v[97:98]
	v_fma_f64 v[107:108], -v[101:102], v[103:104], 1.0
	v_fma_f64 v[103:104], v[103:104], v[107:108], v[103:104]
	v_mul_f64 v[107:108], v[105:106], v[103:104]
	v_fma_f64 v[101:102], -v[101:102], v[107:108], v[105:106]
	v_div_fmas_f64 v[101:102], v[101:102], v[103:104], v[107:108]
	v_div_fixup_f64 v[101:102], v[101:102], v[99:100], v[97:98]
	v_fma_f64 v[97:98], v[97:98], v[101:102], v[99:100]
	v_div_scale_f64 v[99:100], s[6:7], v[97:98], v[97:98], 1.0
	v_div_scale_f64 v[107:108], vcc, 1.0, v[97:98], 1.0
	v_rcp_f64_e32 v[103:104], v[99:100]
	v_fma_f64 v[105:106], -v[99:100], v[103:104], 1.0
	v_fma_f64 v[103:104], v[103:104], v[105:106], v[103:104]
	v_fma_f64 v[105:106], -v[99:100], v[103:104], 1.0
	v_fma_f64 v[103:104], v[103:104], v[105:106], v[103:104]
	v_mul_f64 v[105:106], v[107:108], v[103:104]
	v_fma_f64 v[99:100], -v[99:100], v[105:106], v[107:108]
	v_div_fmas_f64 v[99:100], v[99:100], v[103:104], v[105:106]
	v_div_fixup_f64 v[103:104], v[99:100], v[97:98], 1.0
                                        ; implicit-def: $vgpr97_vgpr98
	v_mul_f64 v[101:102], v[101:102], v[103:104]
	v_xor_b32_e32 v104, 0x80000000, v104
.LBB117_311:
	s_andn2_saveexec_b64 s[2:3], s[2:3]
	s_cbranch_execz .LBB117_313
; %bb.312:
	v_div_scale_f64 v[101:102], s[6:7], v[97:98], v[97:98], v[99:100]
	v_rcp_f64_e32 v[103:104], v[101:102]
	v_fma_f64 v[105:106], -v[101:102], v[103:104], 1.0
	v_fma_f64 v[103:104], v[103:104], v[105:106], v[103:104]
	v_div_scale_f64 v[105:106], vcc, v[99:100], v[97:98], v[99:100]
	v_fma_f64 v[107:108], -v[101:102], v[103:104], 1.0
	v_fma_f64 v[103:104], v[103:104], v[107:108], v[103:104]
	v_mul_f64 v[107:108], v[105:106], v[103:104]
	v_fma_f64 v[101:102], -v[101:102], v[107:108], v[105:106]
	v_div_fmas_f64 v[101:102], v[101:102], v[103:104], v[107:108]
	v_div_fixup_f64 v[103:104], v[101:102], v[97:98], v[99:100]
	v_fma_f64 v[97:98], v[99:100], v[103:104], v[97:98]
	v_div_scale_f64 v[99:100], s[6:7], v[97:98], v[97:98], 1.0
	v_div_scale_f64 v[107:108], vcc, 1.0, v[97:98], 1.0
	v_rcp_f64_e32 v[101:102], v[99:100]
	v_fma_f64 v[105:106], -v[99:100], v[101:102], 1.0
	v_fma_f64 v[101:102], v[101:102], v[105:106], v[101:102]
	v_fma_f64 v[105:106], -v[99:100], v[101:102], 1.0
	v_fma_f64 v[101:102], v[101:102], v[105:106], v[101:102]
	v_mul_f64 v[105:106], v[107:108], v[101:102]
	v_fma_f64 v[99:100], -v[99:100], v[105:106], v[107:108]
	v_div_fmas_f64 v[99:100], v[99:100], v[101:102], v[105:106]
	v_div_fixup_f64 v[101:102], v[99:100], v[97:98], 1.0
	v_mul_f64 v[103:104], v[103:104], -v[101:102]
.LBB117_313:
	s_or_b64 exec, exec, s[2:3]
	ds_write2_b64 v127, v[101:102], v[103:104] offset1:1
.LBB117_314:
	s_or_b64 exec, exec, s[4:5]
	s_waitcnt lgkmcnt(0)
	s_barrier
	ds_read2_b64 v[37:40], v127 offset1:1
	v_cmp_lt_u32_e32 vcc, 34, v0
	s_waitcnt lgkmcnt(0)
	buffer_store_dword v37, off, s[20:23], 0 offset:1568 ; 4-byte Folded Spill
	s_nop 0
	buffer_store_dword v38, off, s[20:23], 0 offset:1572 ; 4-byte Folded Spill
	buffer_store_dword v39, off, s[20:23], 0 offset:1576 ; 4-byte Folded Spill
	;; [unrolled: 1-line block ×3, first 2 shown]
	s_mov_b64 s[2:3], exec
	s_and_b64 s[4:5], s[2:3], vcc
	buffer_store_dword v93, off, s[20:23], 0 offset:992 ; 4-byte Folded Spill
	s_nop 0
	buffer_store_dword v94, off, s[20:23], 0 offset:996 ; 4-byte Folded Spill
	buffer_store_dword v95, off, s[20:23], 0 offset:1000 ; 4-byte Folded Spill
	;; [unrolled: 1-line block ×3, first 2 shown]
	s_mov_b64 exec, s[4:5]
	s_cbranch_execz .LBB117_316
; %bb.315:
	buffer_load_dword v37, off, s[20:23], 0 offset:1568 ; 4-byte Folded Reload
	buffer_load_dword v38, off, s[20:23], 0 offset:1572 ; 4-byte Folded Reload
	;; [unrolled: 1-line block ×4, first 2 shown]
	ds_read2_b64 v[99:102], v125 offset0:70 offset1:71
	s_waitcnt vmcnt(2)
	v_mul_f64 v[95:96], v[37:38], v[123:124]
	s_waitcnt vmcnt(0)
	v_mul_f64 v[97:98], v[39:40], v[123:124]
	v_fma_f64 v[123:124], v[39:40], v[121:122], v[95:96]
	v_fma_f64 v[97:98], v[37:38], v[121:122], -v[97:98]
	s_waitcnt lgkmcnt(0)
	v_mul_f64 v[93:94], v[101:102], v[123:124]
	v_mov_b32_e32 v122, v98
	v_mov_b32_e32 v121, v97
	v_fma_f64 v[93:94], v[99:100], v[97:98], -v[93:94]
	v_mul_f64 v[99:100], v[99:100], v[123:124]
	v_add_f64 v[113:114], v[113:114], -v[93:94]
	v_fma_f64 v[99:100], v[101:102], v[97:98], v[99:100]
	v_add_f64 v[115:116], v[115:116], -v[99:100]
	ds_read2_b64 v[99:102], v125 offset0:72 offset1:73
	s_waitcnt lgkmcnt(0)
	v_mul_f64 v[93:94], v[101:102], v[123:124]
	v_fma_f64 v[93:94], v[99:100], v[97:98], -v[93:94]
	v_mul_f64 v[99:100], v[99:100], v[123:124]
	v_add_f64 v[89:90], v[89:90], -v[93:94]
	v_fma_f64 v[99:100], v[101:102], v[97:98], v[99:100]
	v_add_f64 v[91:92], v[91:92], -v[99:100]
	ds_read2_b64 v[99:102], v125 offset0:74 offset1:75
	s_waitcnt lgkmcnt(0)
	v_mul_f64 v[93:94], v[101:102], v[123:124]
	;; [unrolled: 8-line block ×12, first 2 shown]
	v_fma_f64 v[93:94], v[99:100], v[97:98], -v[93:94]
	v_mul_f64 v[99:100], v[99:100], v[123:124]
	v_add_f64 v[41:42], v[41:42], -v[93:94]
	v_fma_f64 v[99:100], v[101:102], v[97:98], v[99:100]
	v_add_f64 v[43:44], v[43:44], -v[99:100]
	ds_read2_b64 v[99:102], v125 offset0:96 offset1:97
	buffer_load_dword v37, off, s[20:23], 0 offset:32 ; 4-byte Folded Reload
	buffer_load_dword v38, off, s[20:23], 0 offset:36 ; 4-byte Folded Reload
	;; [unrolled: 1-line block ×4, first 2 shown]
	s_waitcnt lgkmcnt(0)
	v_mul_f64 v[93:94], v[101:102], v[123:124]
	v_fma_f64 v[93:94], v[99:100], v[97:98], -v[93:94]
	v_mul_f64 v[99:100], v[99:100], v[123:124]
	v_fma_f64 v[99:100], v[101:102], v[97:98], v[99:100]
	s_waitcnt vmcnt(2)
	v_add_f64 v[37:38], v[37:38], -v[93:94]
	s_waitcnt vmcnt(0)
	v_add_f64 v[39:40], v[39:40], -v[99:100]
	buffer_store_dword v37, off, s[20:23], 0 offset:32 ; 4-byte Folded Spill
	s_nop 0
	buffer_store_dword v38, off, s[20:23], 0 offset:36 ; 4-byte Folded Spill
	buffer_store_dword v39, off, s[20:23], 0 offset:40 ; 4-byte Folded Spill
	;; [unrolled: 1-line block ×3, first 2 shown]
	ds_read2_b64 v[99:102], v125 offset0:98 offset1:99
	buffer_load_dword v33, off, s[20:23], 0 offset:16 ; 4-byte Folded Reload
	buffer_load_dword v34, off, s[20:23], 0 offset:20 ; 4-byte Folded Reload
	;; [unrolled: 1-line block ×4, first 2 shown]
	s_waitcnt lgkmcnt(0)
	v_mul_f64 v[93:94], v[101:102], v[123:124]
	v_fma_f64 v[93:94], v[99:100], v[97:98], -v[93:94]
	v_mul_f64 v[99:100], v[99:100], v[123:124]
	v_fma_f64 v[99:100], v[101:102], v[97:98], v[99:100]
	s_waitcnt vmcnt(2)
	v_add_f64 v[33:34], v[33:34], -v[93:94]
	s_waitcnt vmcnt(0)
	v_add_f64 v[35:36], v[35:36], -v[99:100]
	buffer_store_dword v33, off, s[20:23], 0 offset:16 ; 4-byte Folded Spill
	s_nop 0
	buffer_store_dword v34, off, s[20:23], 0 offset:20 ; 4-byte Folded Spill
	buffer_store_dword v35, off, s[20:23], 0 offset:24 ; 4-byte Folded Spill
	;; [unrolled: 1-line block ×3, first 2 shown]
	ds_read2_b64 v[99:102], v125 offset0:100 offset1:101
	s_waitcnt lgkmcnt(0)
	v_mul_f64 v[93:94], v[101:102], v[123:124]
	v_fma_f64 v[93:94], v[99:100], v[97:98], -v[93:94]
	v_mul_f64 v[99:100], v[99:100], v[123:124]
	v_add_f64 v[29:30], v[29:30], -v[93:94]
	v_fma_f64 v[99:100], v[101:102], v[97:98], v[99:100]
	v_add_f64 v[31:32], v[31:32], -v[99:100]
	ds_read2_b64 v[99:102], v125 offset0:102 offset1:103
	s_waitcnt lgkmcnt(0)
	v_mul_f64 v[93:94], v[101:102], v[123:124]
	v_fma_f64 v[93:94], v[99:100], v[97:98], -v[93:94]
	v_mul_f64 v[99:100], v[99:100], v[123:124]
	v_add_f64 v[25:26], v[25:26], -v[93:94]
	v_fma_f64 v[99:100], v[101:102], v[97:98], v[99:100]
	v_add_f64 v[27:28], v[27:28], -v[99:100]
	;; [unrolled: 8-line block ×8, first 2 shown]
	ds_read2_b64 v[99:102], v125 offset0:116 offset1:117
	buffer_load_dword v37, off, s[20:23], 0 ; 4-byte Folded Reload
	buffer_load_dword v38, off, s[20:23], 0 offset:4 ; 4-byte Folded Reload
	buffer_load_dword v39, off, s[20:23], 0 offset:8 ; 4-byte Folded Reload
	;; [unrolled: 1-line block ×3, first 2 shown]
	s_waitcnt lgkmcnt(0)
	v_mul_f64 v[93:94], v[101:102], v[123:124]
	v_fma_f64 v[93:94], v[99:100], v[97:98], -v[93:94]
	v_mul_f64 v[99:100], v[99:100], v[123:124]
	v_fma_f64 v[99:100], v[101:102], v[97:98], v[99:100]
	s_waitcnt vmcnt(2)
	v_add_f64 v[37:38], v[37:38], -v[93:94]
	s_waitcnt vmcnt(0)
	v_add_f64 v[39:40], v[39:40], -v[99:100]
	buffer_store_dword v37, off, s[20:23], 0 ; 4-byte Folded Spill
	s_nop 0
	buffer_store_dword v38, off, s[20:23], 0 offset:4 ; 4-byte Folded Spill
	buffer_store_dword v39, off, s[20:23], 0 offset:8 ; 4-byte Folded Spill
	;; [unrolled: 1-line block ×3, first 2 shown]
.LBB117_316:
	s_or_b64 exec, exec, s[2:3]
	v_cmp_eq_u32_e32 vcc, 35, v0
	s_waitcnt vmcnt(0)
	s_barrier
	s_and_saveexec_b64 s[4:5], vcc
	s_cbranch_execz .LBB117_323
; %bb.317:
	ds_write2_b64 v127, v[113:114], v[115:116] offset1:1
	ds_write2_b64 v125, v[89:90], v[91:92] offset0:72 offset1:73
	ds_write2_b64 v125, v[81:82], v[83:84] offset0:74 offset1:75
	;; [unrolled: 1-line block ×12, first 2 shown]
	buffer_load_dword v37, off, s[20:23], 0 offset:32 ; 4-byte Folded Reload
	buffer_load_dword v38, off, s[20:23], 0 offset:36 ; 4-byte Folded Reload
	;; [unrolled: 1-line block ×4, first 2 shown]
	s_waitcnt vmcnt(0)
	ds_write2_b64 v125, v[37:38], v[39:40] offset0:96 offset1:97
	buffer_load_dword v33, off, s[20:23], 0 offset:16 ; 4-byte Folded Reload
	buffer_load_dword v34, off, s[20:23], 0 offset:20 ; 4-byte Folded Reload
	;; [unrolled: 1-line block ×4, first 2 shown]
	s_waitcnt vmcnt(0)
	ds_write2_b64 v125, v[33:34], v[35:36] offset0:98 offset1:99
	ds_write2_b64 v125, v[29:30], v[31:32] offset0:100 offset1:101
	;; [unrolled: 1-line block ×9, first 2 shown]
	buffer_load_dword v37, off, s[20:23], 0 ; 4-byte Folded Reload
	buffer_load_dword v38, off, s[20:23], 0 offset:4 ; 4-byte Folded Reload
	buffer_load_dword v39, off, s[20:23], 0 offset:8 ; 4-byte Folded Reload
	;; [unrolled: 1-line block ×3, first 2 shown]
	s_waitcnt vmcnt(0)
	ds_write2_b64 v125, v[37:38], v[39:40] offset0:116 offset1:117
	ds_read2_b64 v[97:100], v127 offset1:1
	s_waitcnt lgkmcnt(0)
	v_cmp_neq_f64_e32 vcc, 0, v[97:98]
	v_cmp_neq_f64_e64 s[2:3], 0, v[99:100]
	s_or_b64 s[2:3], vcc, s[2:3]
	s_and_b64 exec, exec, s[2:3]
	s_cbranch_execz .LBB117_323
; %bb.318:
	v_cmp_ngt_f64_e64 s[2:3], |v[97:98]|, |v[99:100]|
                                        ; implicit-def: $vgpr101_vgpr102
	s_and_saveexec_b64 s[6:7], s[2:3]
	s_xor_b64 s[2:3], exec, s[6:7]
                                        ; implicit-def: $vgpr103_vgpr104
	s_cbranch_execz .LBB117_320
; %bb.319:
	v_div_scale_f64 v[101:102], s[6:7], v[99:100], v[99:100], v[97:98]
	v_rcp_f64_e32 v[103:104], v[101:102]
	v_fma_f64 v[105:106], -v[101:102], v[103:104], 1.0
	v_fma_f64 v[103:104], v[103:104], v[105:106], v[103:104]
	v_div_scale_f64 v[105:106], vcc, v[97:98], v[99:100], v[97:98]
	v_fma_f64 v[107:108], -v[101:102], v[103:104], 1.0
	v_fma_f64 v[103:104], v[103:104], v[107:108], v[103:104]
	v_mul_f64 v[107:108], v[105:106], v[103:104]
	v_fma_f64 v[101:102], -v[101:102], v[107:108], v[105:106]
	v_div_fmas_f64 v[101:102], v[101:102], v[103:104], v[107:108]
	v_div_fixup_f64 v[101:102], v[101:102], v[99:100], v[97:98]
	v_fma_f64 v[97:98], v[97:98], v[101:102], v[99:100]
	v_div_scale_f64 v[99:100], s[6:7], v[97:98], v[97:98], 1.0
	v_div_scale_f64 v[107:108], vcc, 1.0, v[97:98], 1.0
	v_rcp_f64_e32 v[103:104], v[99:100]
	v_fma_f64 v[105:106], -v[99:100], v[103:104], 1.0
	v_fma_f64 v[103:104], v[103:104], v[105:106], v[103:104]
	v_fma_f64 v[105:106], -v[99:100], v[103:104], 1.0
	v_fma_f64 v[103:104], v[103:104], v[105:106], v[103:104]
	v_mul_f64 v[105:106], v[107:108], v[103:104]
	v_fma_f64 v[99:100], -v[99:100], v[105:106], v[107:108]
	v_div_fmas_f64 v[99:100], v[99:100], v[103:104], v[105:106]
	v_div_fixup_f64 v[103:104], v[99:100], v[97:98], 1.0
                                        ; implicit-def: $vgpr97_vgpr98
	v_mul_f64 v[101:102], v[101:102], v[103:104]
	v_xor_b32_e32 v104, 0x80000000, v104
.LBB117_320:
	s_andn2_saveexec_b64 s[2:3], s[2:3]
	s_cbranch_execz .LBB117_322
; %bb.321:
	v_div_scale_f64 v[101:102], s[6:7], v[97:98], v[97:98], v[99:100]
	v_rcp_f64_e32 v[103:104], v[101:102]
	v_fma_f64 v[105:106], -v[101:102], v[103:104], 1.0
	v_fma_f64 v[103:104], v[103:104], v[105:106], v[103:104]
	v_div_scale_f64 v[105:106], vcc, v[99:100], v[97:98], v[99:100]
	v_fma_f64 v[107:108], -v[101:102], v[103:104], 1.0
	v_fma_f64 v[103:104], v[103:104], v[107:108], v[103:104]
	v_mul_f64 v[107:108], v[105:106], v[103:104]
	v_fma_f64 v[101:102], -v[101:102], v[107:108], v[105:106]
	v_div_fmas_f64 v[101:102], v[101:102], v[103:104], v[107:108]
	v_div_fixup_f64 v[103:104], v[101:102], v[97:98], v[99:100]
	v_fma_f64 v[97:98], v[99:100], v[103:104], v[97:98]
	v_div_scale_f64 v[99:100], s[6:7], v[97:98], v[97:98], 1.0
	v_div_scale_f64 v[107:108], vcc, 1.0, v[97:98], 1.0
	v_rcp_f64_e32 v[101:102], v[99:100]
	v_fma_f64 v[105:106], -v[99:100], v[101:102], 1.0
	v_fma_f64 v[101:102], v[101:102], v[105:106], v[101:102]
	v_fma_f64 v[105:106], -v[99:100], v[101:102], 1.0
	v_fma_f64 v[101:102], v[101:102], v[105:106], v[101:102]
	v_mul_f64 v[105:106], v[107:108], v[101:102]
	v_fma_f64 v[99:100], -v[99:100], v[105:106], v[107:108]
	v_div_fmas_f64 v[99:100], v[99:100], v[101:102], v[105:106]
	v_div_fixup_f64 v[101:102], v[99:100], v[97:98], 1.0
	v_mul_f64 v[103:104], v[103:104], -v[101:102]
.LBB117_322:
	s_or_b64 exec, exec, s[2:3]
	ds_write2_b64 v127, v[101:102], v[103:104] offset1:1
.LBB117_323:
	s_or_b64 exec, exec, s[4:5]
	s_waitcnt lgkmcnt(0)
	s_barrier
	ds_read2_b64 v[37:40], v127 offset1:1
	v_cmp_lt_u32_e32 vcc, 35, v0
	s_waitcnt lgkmcnt(0)
	buffer_store_dword v37, off, s[20:23], 0 offset:1584 ; 4-byte Folded Spill
	s_nop 0
	buffer_store_dword v38, off, s[20:23], 0 offset:1588 ; 4-byte Folded Spill
	buffer_store_dword v39, off, s[20:23], 0 offset:1592 ; 4-byte Folded Spill
	;; [unrolled: 1-line block ×3, first 2 shown]
	s_and_saveexec_b64 s[2:3], vcc
	s_cbranch_execz .LBB117_325
; %bb.324:
	buffer_load_dword v37, off, s[20:23], 0 offset:1584 ; 4-byte Folded Reload
	buffer_load_dword v38, off, s[20:23], 0 offset:1588 ; 4-byte Folded Reload
	;; [unrolled: 1-line block ×4, first 2 shown]
	v_mov_b32_e32 v96, v92
	v_mov_b32_e32 v95, v91
	;; [unrolled: 1-line block ×4, first 2 shown]
	ds_read2_b64 v[99:102], v125 offset0:72 offset1:73
	s_waitcnt vmcnt(2)
	v_mul_f64 v[91:92], v[37:38], v[115:116]
	s_waitcnt vmcnt(0)
	v_mul_f64 v[97:98], v[39:40], v[115:116]
	v_fma_f64 v[115:116], v[39:40], v[113:114], v[91:92]
	v_fma_f64 v[97:98], v[37:38], v[113:114], -v[97:98]
	s_waitcnt lgkmcnt(0)
	v_mul_f64 v[89:90], v[101:102], v[115:116]
	v_mov_b32_e32 v114, v98
	v_mov_b32_e32 v113, v97
	v_fma_f64 v[89:90], v[99:100], v[97:98], -v[89:90]
	v_mul_f64 v[99:100], v[99:100], v[115:116]
	v_add_f64 v[93:94], v[93:94], -v[89:90]
	v_fma_f64 v[99:100], v[101:102], v[97:98], v[99:100]
	v_add_f64 v[95:96], v[95:96], -v[99:100]
	ds_read2_b64 v[99:102], v125 offset0:74 offset1:75
	s_waitcnt lgkmcnt(0)
	v_mul_f64 v[89:90], v[101:102], v[115:116]
	v_fma_f64 v[89:90], v[99:100], v[97:98], -v[89:90]
	v_mul_f64 v[99:100], v[99:100], v[115:116]
	v_add_f64 v[81:82], v[81:82], -v[89:90]
	v_fma_f64 v[99:100], v[101:102], v[97:98], v[99:100]
	v_add_f64 v[83:84], v[83:84], -v[99:100]
	ds_read2_b64 v[99:102], v125 offset0:76 offset1:77
	s_waitcnt lgkmcnt(0)
	v_mul_f64 v[89:90], v[101:102], v[115:116]
	;; [unrolled: 8-line block ×11, first 2 shown]
	v_fma_f64 v[89:90], v[99:100], v[97:98], -v[89:90]
	v_mul_f64 v[99:100], v[99:100], v[115:116]
	v_add_f64 v[41:42], v[41:42], -v[89:90]
	v_fma_f64 v[99:100], v[101:102], v[97:98], v[99:100]
	v_add_f64 v[43:44], v[43:44], -v[99:100]
	ds_read2_b64 v[99:102], v125 offset0:96 offset1:97
	buffer_load_dword v37, off, s[20:23], 0 offset:32 ; 4-byte Folded Reload
	buffer_load_dword v38, off, s[20:23], 0 offset:36 ; 4-byte Folded Reload
	;; [unrolled: 1-line block ×4, first 2 shown]
	s_waitcnt lgkmcnt(0)
	v_mul_f64 v[89:90], v[101:102], v[115:116]
	v_fma_f64 v[89:90], v[99:100], v[97:98], -v[89:90]
	v_mul_f64 v[99:100], v[99:100], v[115:116]
	v_fma_f64 v[99:100], v[101:102], v[97:98], v[99:100]
	s_waitcnt vmcnt(2)
	v_add_f64 v[37:38], v[37:38], -v[89:90]
	s_waitcnt vmcnt(0)
	v_add_f64 v[39:40], v[39:40], -v[99:100]
	buffer_store_dword v37, off, s[20:23], 0 offset:32 ; 4-byte Folded Spill
	s_nop 0
	buffer_store_dword v38, off, s[20:23], 0 offset:36 ; 4-byte Folded Spill
	buffer_store_dword v39, off, s[20:23], 0 offset:40 ; 4-byte Folded Spill
	buffer_store_dword v40, off, s[20:23], 0 offset:44 ; 4-byte Folded Spill
	ds_read2_b64 v[99:102], v125 offset0:98 offset1:99
	buffer_load_dword v33, off, s[20:23], 0 offset:16 ; 4-byte Folded Reload
	buffer_load_dword v34, off, s[20:23], 0 offset:20 ; 4-byte Folded Reload
	;; [unrolled: 1-line block ×4, first 2 shown]
	s_waitcnt lgkmcnt(0)
	v_mul_f64 v[89:90], v[101:102], v[115:116]
	v_fma_f64 v[89:90], v[99:100], v[97:98], -v[89:90]
	v_mul_f64 v[99:100], v[99:100], v[115:116]
	v_fma_f64 v[99:100], v[101:102], v[97:98], v[99:100]
	s_waitcnt vmcnt(2)
	v_add_f64 v[33:34], v[33:34], -v[89:90]
	s_waitcnt vmcnt(0)
	v_add_f64 v[35:36], v[35:36], -v[99:100]
	buffer_store_dword v33, off, s[20:23], 0 offset:16 ; 4-byte Folded Spill
	s_nop 0
	buffer_store_dword v34, off, s[20:23], 0 offset:20 ; 4-byte Folded Spill
	buffer_store_dword v35, off, s[20:23], 0 offset:24 ; 4-byte Folded Spill
	;; [unrolled: 1-line block ×3, first 2 shown]
	ds_read2_b64 v[99:102], v125 offset0:100 offset1:101
	s_waitcnt lgkmcnt(0)
	v_mul_f64 v[89:90], v[101:102], v[115:116]
	v_fma_f64 v[89:90], v[99:100], v[97:98], -v[89:90]
	v_mul_f64 v[99:100], v[99:100], v[115:116]
	v_add_f64 v[29:30], v[29:30], -v[89:90]
	v_fma_f64 v[99:100], v[101:102], v[97:98], v[99:100]
	v_add_f64 v[31:32], v[31:32], -v[99:100]
	ds_read2_b64 v[99:102], v125 offset0:102 offset1:103
	s_waitcnt lgkmcnt(0)
	v_mul_f64 v[89:90], v[101:102], v[115:116]
	v_fma_f64 v[89:90], v[99:100], v[97:98], -v[89:90]
	v_mul_f64 v[99:100], v[99:100], v[115:116]
	v_add_f64 v[25:26], v[25:26], -v[89:90]
	v_fma_f64 v[99:100], v[101:102], v[97:98], v[99:100]
	v_add_f64 v[27:28], v[27:28], -v[99:100]
	;; [unrolled: 8-line block ×8, first 2 shown]
	ds_read2_b64 v[99:102], v125 offset0:116 offset1:117
	buffer_load_dword v37, off, s[20:23], 0 ; 4-byte Folded Reload
	buffer_load_dword v38, off, s[20:23], 0 offset:4 ; 4-byte Folded Reload
	buffer_load_dword v39, off, s[20:23], 0 offset:8 ; 4-byte Folded Reload
	;; [unrolled: 1-line block ×3, first 2 shown]
	s_waitcnt lgkmcnt(0)
	v_mul_f64 v[89:90], v[101:102], v[115:116]
	v_fma_f64 v[89:90], v[99:100], v[97:98], -v[89:90]
	v_mul_f64 v[99:100], v[99:100], v[115:116]
	v_fma_f64 v[99:100], v[101:102], v[97:98], v[99:100]
	s_waitcnt vmcnt(2)
	v_add_f64 v[37:38], v[37:38], -v[89:90]
	v_mov_b32_e32 v89, v93
	s_waitcnt vmcnt(0)
	v_add_f64 v[39:40], v[39:40], -v[99:100]
	v_mov_b32_e32 v90, v94
	v_mov_b32_e32 v91, v95
	;; [unrolled: 1-line block ×3, first 2 shown]
	buffer_store_dword v37, off, s[20:23], 0 ; 4-byte Folded Spill
	s_nop 0
	buffer_store_dword v38, off, s[20:23], 0 offset:4 ; 4-byte Folded Spill
	buffer_store_dword v39, off, s[20:23], 0 offset:8 ; 4-byte Folded Spill
	;; [unrolled: 1-line block ×3, first 2 shown]
.LBB117_325:
	s_or_b64 exec, exec, s[2:3]
	v_cmp_eq_u32_e32 vcc, 36, v0
	s_waitcnt vmcnt(0)
	s_barrier
	s_and_saveexec_b64 s[4:5], vcc
	s_cbranch_execz .LBB117_332
; %bb.326:
	ds_write2_b64 v127, v[89:90], v[91:92] offset1:1
	ds_write2_b64 v125, v[81:82], v[83:84] offset0:74 offset1:75
	ds_write2_b64 v125, v[77:78], v[79:80] offset0:76 offset1:77
	;; [unrolled: 1-line block ×11, first 2 shown]
	buffer_load_dword v37, off, s[20:23], 0 offset:32 ; 4-byte Folded Reload
	buffer_load_dword v38, off, s[20:23], 0 offset:36 ; 4-byte Folded Reload
	;; [unrolled: 1-line block ×4, first 2 shown]
	s_waitcnt vmcnt(0)
	ds_write2_b64 v125, v[37:38], v[39:40] offset0:96 offset1:97
	buffer_load_dword v33, off, s[20:23], 0 offset:16 ; 4-byte Folded Reload
	buffer_load_dword v34, off, s[20:23], 0 offset:20 ; 4-byte Folded Reload
	;; [unrolled: 1-line block ×4, first 2 shown]
	s_waitcnt vmcnt(0)
	ds_write2_b64 v125, v[33:34], v[35:36] offset0:98 offset1:99
	ds_write2_b64 v125, v[29:30], v[31:32] offset0:100 offset1:101
	;; [unrolled: 1-line block ×9, first 2 shown]
	buffer_load_dword v37, off, s[20:23], 0 ; 4-byte Folded Reload
	buffer_load_dword v38, off, s[20:23], 0 offset:4 ; 4-byte Folded Reload
	buffer_load_dword v39, off, s[20:23], 0 offset:8 ; 4-byte Folded Reload
	;; [unrolled: 1-line block ×3, first 2 shown]
	s_waitcnt vmcnt(0)
	ds_write2_b64 v125, v[37:38], v[39:40] offset0:116 offset1:117
	ds_read2_b64 v[97:100], v127 offset1:1
	s_waitcnt lgkmcnt(0)
	v_cmp_neq_f64_e32 vcc, 0, v[97:98]
	v_cmp_neq_f64_e64 s[2:3], 0, v[99:100]
	s_or_b64 s[2:3], vcc, s[2:3]
	s_and_b64 exec, exec, s[2:3]
	s_cbranch_execz .LBB117_332
; %bb.327:
	v_cmp_ngt_f64_e64 s[2:3], |v[97:98]|, |v[99:100]|
                                        ; implicit-def: $vgpr101_vgpr102
	s_and_saveexec_b64 s[6:7], s[2:3]
	s_xor_b64 s[2:3], exec, s[6:7]
                                        ; implicit-def: $vgpr103_vgpr104
	s_cbranch_execz .LBB117_329
; %bb.328:
	v_div_scale_f64 v[101:102], s[6:7], v[99:100], v[99:100], v[97:98]
	v_rcp_f64_e32 v[103:104], v[101:102]
	v_fma_f64 v[105:106], -v[101:102], v[103:104], 1.0
	v_fma_f64 v[103:104], v[103:104], v[105:106], v[103:104]
	v_div_scale_f64 v[105:106], vcc, v[97:98], v[99:100], v[97:98]
	v_fma_f64 v[107:108], -v[101:102], v[103:104], 1.0
	v_fma_f64 v[103:104], v[103:104], v[107:108], v[103:104]
	v_mul_f64 v[107:108], v[105:106], v[103:104]
	v_fma_f64 v[101:102], -v[101:102], v[107:108], v[105:106]
	v_div_fmas_f64 v[101:102], v[101:102], v[103:104], v[107:108]
	v_div_fixup_f64 v[101:102], v[101:102], v[99:100], v[97:98]
	v_fma_f64 v[97:98], v[97:98], v[101:102], v[99:100]
	v_div_scale_f64 v[99:100], s[6:7], v[97:98], v[97:98], 1.0
	v_div_scale_f64 v[107:108], vcc, 1.0, v[97:98], 1.0
	v_rcp_f64_e32 v[103:104], v[99:100]
	v_fma_f64 v[105:106], -v[99:100], v[103:104], 1.0
	v_fma_f64 v[103:104], v[103:104], v[105:106], v[103:104]
	v_fma_f64 v[105:106], -v[99:100], v[103:104], 1.0
	v_fma_f64 v[103:104], v[103:104], v[105:106], v[103:104]
	v_mul_f64 v[105:106], v[107:108], v[103:104]
	v_fma_f64 v[99:100], -v[99:100], v[105:106], v[107:108]
	v_div_fmas_f64 v[99:100], v[99:100], v[103:104], v[105:106]
	v_div_fixup_f64 v[103:104], v[99:100], v[97:98], 1.0
                                        ; implicit-def: $vgpr97_vgpr98
	v_mul_f64 v[101:102], v[101:102], v[103:104]
	v_xor_b32_e32 v104, 0x80000000, v104
.LBB117_329:
	s_andn2_saveexec_b64 s[2:3], s[2:3]
	s_cbranch_execz .LBB117_331
; %bb.330:
	v_div_scale_f64 v[101:102], s[6:7], v[97:98], v[97:98], v[99:100]
	v_rcp_f64_e32 v[103:104], v[101:102]
	v_fma_f64 v[105:106], -v[101:102], v[103:104], 1.0
	v_fma_f64 v[103:104], v[103:104], v[105:106], v[103:104]
	v_div_scale_f64 v[105:106], vcc, v[99:100], v[97:98], v[99:100]
	v_fma_f64 v[107:108], -v[101:102], v[103:104], 1.0
	v_fma_f64 v[103:104], v[103:104], v[107:108], v[103:104]
	v_mul_f64 v[107:108], v[105:106], v[103:104]
	v_fma_f64 v[101:102], -v[101:102], v[107:108], v[105:106]
	v_div_fmas_f64 v[101:102], v[101:102], v[103:104], v[107:108]
	v_div_fixup_f64 v[103:104], v[101:102], v[97:98], v[99:100]
	v_fma_f64 v[97:98], v[99:100], v[103:104], v[97:98]
	v_div_scale_f64 v[99:100], s[6:7], v[97:98], v[97:98], 1.0
	v_div_scale_f64 v[107:108], vcc, 1.0, v[97:98], 1.0
	v_rcp_f64_e32 v[101:102], v[99:100]
	v_fma_f64 v[105:106], -v[99:100], v[101:102], 1.0
	v_fma_f64 v[101:102], v[101:102], v[105:106], v[101:102]
	v_fma_f64 v[105:106], -v[99:100], v[101:102], 1.0
	v_fma_f64 v[101:102], v[101:102], v[105:106], v[101:102]
	v_mul_f64 v[105:106], v[107:108], v[101:102]
	v_fma_f64 v[99:100], -v[99:100], v[105:106], v[107:108]
	v_div_fmas_f64 v[99:100], v[99:100], v[101:102], v[105:106]
	v_div_fixup_f64 v[101:102], v[99:100], v[97:98], 1.0
	v_mul_f64 v[103:104], v[103:104], -v[101:102]
.LBB117_331:
	s_or_b64 exec, exec, s[2:3]
	ds_write2_b64 v127, v[101:102], v[103:104] offset1:1
.LBB117_332:
	s_or_b64 exec, exec, s[4:5]
	s_waitcnt lgkmcnt(0)
	s_barrier
	ds_read2_b64 v[37:40], v127 offset1:1
	v_cmp_lt_u32_e32 vcc, 36, v0
	s_waitcnt lgkmcnt(0)
	buffer_store_dword v37, off, s[20:23], 0 offset:1600 ; 4-byte Folded Spill
	s_nop 0
	buffer_store_dword v38, off, s[20:23], 0 offset:1604 ; 4-byte Folded Spill
	buffer_store_dword v39, off, s[20:23], 0 offset:1608 ; 4-byte Folded Spill
	;; [unrolled: 1-line block ×3, first 2 shown]
	s_and_saveexec_b64 s[2:3], vcc
	s_cbranch_execz .LBB117_334
; %bb.333:
	buffer_load_dword v37, off, s[20:23], 0 offset:1600 ; 4-byte Folded Reload
	buffer_load_dword v38, off, s[20:23], 0 offset:1604 ; 4-byte Folded Reload
	;; [unrolled: 1-line block ×4, first 2 shown]
	ds_read2_b64 v[99:102], v125 offset0:74 offset1:75
	v_mov_b32_e32 v94, v86
	v_mov_b32_e32 v93, v85
	s_waitcnt vmcnt(2)
	v_mul_f64 v[87:88], v[37:38], v[91:92]
	s_waitcnt vmcnt(0)
	v_mul_f64 v[97:98], v[39:40], v[91:92]
	v_fma_f64 v[91:92], v[39:40], v[89:90], v[87:88]
	v_fma_f64 v[97:98], v[37:38], v[89:90], -v[97:98]
	s_waitcnt lgkmcnt(0)
	v_mul_f64 v[85:86], v[101:102], v[91:92]
	v_mov_b32_e32 v89, v97
	v_mov_b32_e32 v90, v98
	v_fma_f64 v[85:86], v[99:100], v[97:98], -v[85:86]
	v_mul_f64 v[99:100], v[99:100], v[91:92]
	v_add_f64 v[81:82], v[81:82], -v[85:86]
	v_fma_f64 v[99:100], v[101:102], v[97:98], v[99:100]
	v_add_f64 v[83:84], v[83:84], -v[99:100]
	ds_read2_b64 v[99:102], v125 offset0:76 offset1:77
	s_waitcnt lgkmcnt(0)
	v_mul_f64 v[85:86], v[101:102], v[91:92]
	v_fma_f64 v[85:86], v[99:100], v[97:98], -v[85:86]
	v_mul_f64 v[99:100], v[99:100], v[91:92]
	v_add_f64 v[77:78], v[77:78], -v[85:86]
	v_fma_f64 v[99:100], v[101:102], v[97:98], v[99:100]
	v_add_f64 v[79:80], v[79:80], -v[99:100]
	ds_read2_b64 v[99:102], v125 offset0:78 offset1:79
	s_waitcnt lgkmcnt(0)
	v_mul_f64 v[85:86], v[101:102], v[91:92]
	;; [unrolled: 8-line block ×10, first 2 shown]
	v_fma_f64 v[85:86], v[99:100], v[97:98], -v[85:86]
	v_mul_f64 v[99:100], v[99:100], v[91:92]
	v_add_f64 v[41:42], v[41:42], -v[85:86]
	v_fma_f64 v[99:100], v[101:102], v[97:98], v[99:100]
	v_add_f64 v[43:44], v[43:44], -v[99:100]
	ds_read2_b64 v[99:102], v125 offset0:96 offset1:97
	buffer_load_dword v37, off, s[20:23], 0 offset:32 ; 4-byte Folded Reload
	buffer_load_dword v38, off, s[20:23], 0 offset:36 ; 4-byte Folded Reload
	;; [unrolled: 1-line block ×4, first 2 shown]
	s_waitcnt lgkmcnt(0)
	v_mul_f64 v[85:86], v[101:102], v[91:92]
	v_fma_f64 v[85:86], v[99:100], v[97:98], -v[85:86]
	v_mul_f64 v[99:100], v[99:100], v[91:92]
	v_fma_f64 v[99:100], v[101:102], v[97:98], v[99:100]
	s_waitcnt vmcnt(2)
	v_add_f64 v[37:38], v[37:38], -v[85:86]
	s_waitcnt vmcnt(0)
	v_add_f64 v[39:40], v[39:40], -v[99:100]
	buffer_store_dword v37, off, s[20:23], 0 offset:32 ; 4-byte Folded Spill
	s_nop 0
	buffer_store_dword v38, off, s[20:23], 0 offset:36 ; 4-byte Folded Spill
	buffer_store_dword v39, off, s[20:23], 0 offset:40 ; 4-byte Folded Spill
	;; [unrolled: 1-line block ×3, first 2 shown]
	ds_read2_b64 v[99:102], v125 offset0:98 offset1:99
	buffer_load_dword v33, off, s[20:23], 0 offset:16 ; 4-byte Folded Reload
	buffer_load_dword v34, off, s[20:23], 0 offset:20 ; 4-byte Folded Reload
	;; [unrolled: 1-line block ×4, first 2 shown]
	s_waitcnt lgkmcnt(0)
	v_mul_f64 v[85:86], v[101:102], v[91:92]
	v_fma_f64 v[85:86], v[99:100], v[97:98], -v[85:86]
	v_mul_f64 v[99:100], v[99:100], v[91:92]
	v_fma_f64 v[99:100], v[101:102], v[97:98], v[99:100]
	s_waitcnt vmcnt(2)
	v_add_f64 v[33:34], v[33:34], -v[85:86]
	s_waitcnt vmcnt(0)
	v_add_f64 v[35:36], v[35:36], -v[99:100]
	buffer_store_dword v33, off, s[20:23], 0 offset:16 ; 4-byte Folded Spill
	s_nop 0
	buffer_store_dword v34, off, s[20:23], 0 offset:20 ; 4-byte Folded Spill
	buffer_store_dword v35, off, s[20:23], 0 offset:24 ; 4-byte Folded Spill
	;; [unrolled: 1-line block ×3, first 2 shown]
	ds_read2_b64 v[99:102], v125 offset0:100 offset1:101
	s_waitcnt lgkmcnt(0)
	v_mul_f64 v[85:86], v[101:102], v[91:92]
	v_fma_f64 v[85:86], v[99:100], v[97:98], -v[85:86]
	v_mul_f64 v[99:100], v[99:100], v[91:92]
	v_add_f64 v[29:30], v[29:30], -v[85:86]
	v_fma_f64 v[99:100], v[101:102], v[97:98], v[99:100]
	v_add_f64 v[31:32], v[31:32], -v[99:100]
	ds_read2_b64 v[99:102], v125 offset0:102 offset1:103
	s_waitcnt lgkmcnt(0)
	v_mul_f64 v[85:86], v[101:102], v[91:92]
	v_fma_f64 v[85:86], v[99:100], v[97:98], -v[85:86]
	v_mul_f64 v[99:100], v[99:100], v[91:92]
	v_add_f64 v[25:26], v[25:26], -v[85:86]
	v_fma_f64 v[99:100], v[101:102], v[97:98], v[99:100]
	v_add_f64 v[27:28], v[27:28], -v[99:100]
	;; [unrolled: 8-line block ×8, first 2 shown]
	ds_read2_b64 v[99:102], v125 offset0:116 offset1:117
	buffer_load_dword v37, off, s[20:23], 0 ; 4-byte Folded Reload
	buffer_load_dword v38, off, s[20:23], 0 offset:4 ; 4-byte Folded Reload
	buffer_load_dword v39, off, s[20:23], 0 offset:8 ; 4-byte Folded Reload
	;; [unrolled: 1-line block ×3, first 2 shown]
	s_waitcnt lgkmcnt(0)
	v_mul_f64 v[85:86], v[101:102], v[91:92]
	v_fma_f64 v[85:86], v[99:100], v[97:98], -v[85:86]
	v_mul_f64 v[99:100], v[99:100], v[91:92]
	v_fma_f64 v[99:100], v[101:102], v[97:98], v[99:100]
	s_waitcnt vmcnt(2)
	v_add_f64 v[37:38], v[37:38], -v[85:86]
	v_mov_b32_e32 v85, v93
	s_waitcnt vmcnt(0)
	v_add_f64 v[39:40], v[39:40], -v[99:100]
	v_mov_b32_e32 v86, v94
	buffer_store_dword v37, off, s[20:23], 0 ; 4-byte Folded Spill
	s_nop 0
	buffer_store_dword v38, off, s[20:23], 0 offset:4 ; 4-byte Folded Spill
	buffer_store_dword v39, off, s[20:23], 0 offset:8 ; 4-byte Folded Spill
	;; [unrolled: 1-line block ×3, first 2 shown]
.LBB117_334:
	s_or_b64 exec, exec, s[2:3]
	v_cmp_eq_u32_e32 vcc, 37, v0
	s_waitcnt vmcnt(0)
	s_barrier
	s_and_saveexec_b64 s[4:5], vcc
	s_cbranch_execz .LBB117_341
; %bb.335:
	ds_write2_b64 v127, v[81:82], v[83:84] offset1:1
	ds_write2_b64 v125, v[77:78], v[79:80] offset0:76 offset1:77
	ds_write2_b64 v125, v[73:74], v[75:76] offset0:78 offset1:79
	;; [unrolled: 1-line block ×10, first 2 shown]
	buffer_load_dword v37, off, s[20:23], 0 offset:32 ; 4-byte Folded Reload
	buffer_load_dword v38, off, s[20:23], 0 offset:36 ; 4-byte Folded Reload
	;; [unrolled: 1-line block ×4, first 2 shown]
	s_waitcnt vmcnt(0)
	ds_write2_b64 v125, v[37:38], v[39:40] offset0:96 offset1:97
	buffer_load_dword v33, off, s[20:23], 0 offset:16 ; 4-byte Folded Reload
	buffer_load_dword v34, off, s[20:23], 0 offset:20 ; 4-byte Folded Reload
	;; [unrolled: 1-line block ×4, first 2 shown]
	s_waitcnt vmcnt(0)
	ds_write2_b64 v125, v[33:34], v[35:36] offset0:98 offset1:99
	ds_write2_b64 v125, v[29:30], v[31:32] offset0:100 offset1:101
	;; [unrolled: 1-line block ×9, first 2 shown]
	buffer_load_dword v37, off, s[20:23], 0 ; 4-byte Folded Reload
	buffer_load_dword v38, off, s[20:23], 0 offset:4 ; 4-byte Folded Reload
	buffer_load_dword v39, off, s[20:23], 0 offset:8 ; 4-byte Folded Reload
	;; [unrolled: 1-line block ×3, first 2 shown]
	s_waitcnt vmcnt(0)
	ds_write2_b64 v125, v[37:38], v[39:40] offset0:116 offset1:117
	ds_read2_b64 v[97:100], v127 offset1:1
	s_waitcnt lgkmcnt(0)
	v_cmp_neq_f64_e32 vcc, 0, v[97:98]
	v_cmp_neq_f64_e64 s[2:3], 0, v[99:100]
	s_or_b64 s[2:3], vcc, s[2:3]
	s_and_b64 exec, exec, s[2:3]
	s_cbranch_execz .LBB117_341
; %bb.336:
	v_cmp_ngt_f64_e64 s[2:3], |v[97:98]|, |v[99:100]|
                                        ; implicit-def: $vgpr101_vgpr102
	s_and_saveexec_b64 s[6:7], s[2:3]
	s_xor_b64 s[2:3], exec, s[6:7]
                                        ; implicit-def: $vgpr103_vgpr104
	s_cbranch_execz .LBB117_338
; %bb.337:
	v_div_scale_f64 v[101:102], s[6:7], v[99:100], v[99:100], v[97:98]
	v_rcp_f64_e32 v[103:104], v[101:102]
	v_fma_f64 v[105:106], -v[101:102], v[103:104], 1.0
	v_fma_f64 v[103:104], v[103:104], v[105:106], v[103:104]
	v_div_scale_f64 v[105:106], vcc, v[97:98], v[99:100], v[97:98]
	v_fma_f64 v[107:108], -v[101:102], v[103:104], 1.0
	v_fma_f64 v[103:104], v[103:104], v[107:108], v[103:104]
	v_mul_f64 v[107:108], v[105:106], v[103:104]
	v_fma_f64 v[101:102], -v[101:102], v[107:108], v[105:106]
	v_div_fmas_f64 v[101:102], v[101:102], v[103:104], v[107:108]
	v_div_fixup_f64 v[101:102], v[101:102], v[99:100], v[97:98]
	v_fma_f64 v[97:98], v[97:98], v[101:102], v[99:100]
	v_div_scale_f64 v[99:100], s[6:7], v[97:98], v[97:98], 1.0
	v_div_scale_f64 v[107:108], vcc, 1.0, v[97:98], 1.0
	v_rcp_f64_e32 v[103:104], v[99:100]
	v_fma_f64 v[105:106], -v[99:100], v[103:104], 1.0
	v_fma_f64 v[103:104], v[103:104], v[105:106], v[103:104]
	v_fma_f64 v[105:106], -v[99:100], v[103:104], 1.0
	v_fma_f64 v[103:104], v[103:104], v[105:106], v[103:104]
	v_mul_f64 v[105:106], v[107:108], v[103:104]
	v_fma_f64 v[99:100], -v[99:100], v[105:106], v[107:108]
	v_div_fmas_f64 v[99:100], v[99:100], v[103:104], v[105:106]
	v_div_fixup_f64 v[103:104], v[99:100], v[97:98], 1.0
                                        ; implicit-def: $vgpr97_vgpr98
	v_mul_f64 v[101:102], v[101:102], v[103:104]
	v_xor_b32_e32 v104, 0x80000000, v104
.LBB117_338:
	s_andn2_saveexec_b64 s[2:3], s[2:3]
	s_cbranch_execz .LBB117_340
; %bb.339:
	v_div_scale_f64 v[101:102], s[6:7], v[97:98], v[97:98], v[99:100]
	v_rcp_f64_e32 v[103:104], v[101:102]
	v_fma_f64 v[105:106], -v[101:102], v[103:104], 1.0
	v_fma_f64 v[103:104], v[103:104], v[105:106], v[103:104]
	v_div_scale_f64 v[105:106], vcc, v[99:100], v[97:98], v[99:100]
	v_fma_f64 v[107:108], -v[101:102], v[103:104], 1.0
	v_fma_f64 v[103:104], v[103:104], v[107:108], v[103:104]
	v_mul_f64 v[107:108], v[105:106], v[103:104]
	v_fma_f64 v[101:102], -v[101:102], v[107:108], v[105:106]
	v_div_fmas_f64 v[101:102], v[101:102], v[103:104], v[107:108]
	v_div_fixup_f64 v[103:104], v[101:102], v[97:98], v[99:100]
	v_fma_f64 v[97:98], v[99:100], v[103:104], v[97:98]
	v_div_scale_f64 v[99:100], s[6:7], v[97:98], v[97:98], 1.0
	v_div_scale_f64 v[107:108], vcc, 1.0, v[97:98], 1.0
	v_rcp_f64_e32 v[101:102], v[99:100]
	v_fma_f64 v[105:106], -v[99:100], v[101:102], 1.0
	v_fma_f64 v[101:102], v[101:102], v[105:106], v[101:102]
	v_fma_f64 v[105:106], -v[99:100], v[101:102], 1.0
	v_fma_f64 v[101:102], v[101:102], v[105:106], v[101:102]
	v_mul_f64 v[105:106], v[107:108], v[101:102]
	v_fma_f64 v[99:100], -v[99:100], v[105:106], v[107:108]
	v_div_fmas_f64 v[99:100], v[99:100], v[101:102], v[105:106]
	v_div_fixup_f64 v[101:102], v[99:100], v[97:98], 1.0
	v_mul_f64 v[103:104], v[103:104], -v[101:102]
.LBB117_340:
	s_or_b64 exec, exec, s[2:3]
	ds_write2_b64 v127, v[101:102], v[103:104] offset1:1
.LBB117_341:
	s_or_b64 exec, exec, s[4:5]
	s_waitcnt lgkmcnt(0)
	s_barrier
	ds_read2_b64 v[37:40], v127 offset1:1
	v_cmp_lt_u32_e32 vcc, 37, v0
	s_waitcnt lgkmcnt(0)
	buffer_store_dword v37, off, s[20:23], 0 offset:1616 ; 4-byte Folded Spill
	s_nop 0
	buffer_store_dword v38, off, s[20:23], 0 offset:1620 ; 4-byte Folded Spill
	buffer_store_dword v39, off, s[20:23], 0 offset:1624 ; 4-byte Folded Spill
	buffer_store_dword v40, off, s[20:23], 0 offset:1628 ; 4-byte Folded Spill
	s_and_saveexec_b64 s[2:3], vcc
	s_cbranch_execz .LBB117_343
; %bb.342:
	buffer_load_dword v37, off, s[20:23], 0 offset:1616 ; 4-byte Folded Reload
	buffer_load_dword v38, off, s[20:23], 0 offset:1620 ; 4-byte Folded Reload
	;; [unrolled: 1-line block ×4, first 2 shown]
	ds_read2_b64 v[99:102], v125 offset0:76 offset1:77
	s_waitcnt vmcnt(0)
	v_mul_f64 v[97:98], v[39:40], v[83:84]
	v_mul_f64 v[83:84], v[37:38], v[83:84]
	v_fma_f64 v[97:98], v[37:38], v[81:82], -v[97:98]
	v_fma_f64 v[83:84], v[39:40], v[81:82], v[83:84]
	s_waitcnt lgkmcnt(0)
	v_mul_f64 v[81:82], v[101:102], v[83:84]
	v_fma_f64 v[81:82], v[99:100], v[97:98], -v[81:82]
	v_mul_f64 v[99:100], v[99:100], v[83:84]
	v_add_f64 v[77:78], v[77:78], -v[81:82]
	v_fma_f64 v[99:100], v[101:102], v[97:98], v[99:100]
	v_add_f64 v[79:80], v[79:80], -v[99:100]
	ds_read2_b64 v[99:102], v125 offset0:78 offset1:79
	s_waitcnt lgkmcnt(0)
	v_mul_f64 v[81:82], v[101:102], v[83:84]
	v_fma_f64 v[81:82], v[99:100], v[97:98], -v[81:82]
	v_mul_f64 v[99:100], v[99:100], v[83:84]
	v_add_f64 v[73:74], v[73:74], -v[81:82]
	v_fma_f64 v[99:100], v[101:102], v[97:98], v[99:100]
	v_add_f64 v[75:76], v[75:76], -v[99:100]
	ds_read2_b64 v[99:102], v125 offset0:80 offset1:81
	;; [unrolled: 8-line block ×10, first 2 shown]
	buffer_load_dword v37, off, s[20:23], 0 offset:32 ; 4-byte Folded Reload
	buffer_load_dword v38, off, s[20:23], 0 offset:36 ; 4-byte Folded Reload
	;; [unrolled: 1-line block ×4, first 2 shown]
	s_waitcnt lgkmcnt(0)
	v_mul_f64 v[81:82], v[101:102], v[83:84]
	v_fma_f64 v[81:82], v[99:100], v[97:98], -v[81:82]
	v_mul_f64 v[99:100], v[99:100], v[83:84]
	v_fma_f64 v[99:100], v[101:102], v[97:98], v[99:100]
	s_waitcnt vmcnt(2)
	v_add_f64 v[37:38], v[37:38], -v[81:82]
	s_waitcnt vmcnt(0)
	v_add_f64 v[39:40], v[39:40], -v[99:100]
	buffer_store_dword v37, off, s[20:23], 0 offset:32 ; 4-byte Folded Spill
	s_nop 0
	buffer_store_dword v38, off, s[20:23], 0 offset:36 ; 4-byte Folded Spill
	buffer_store_dword v39, off, s[20:23], 0 offset:40 ; 4-byte Folded Spill
	;; [unrolled: 1-line block ×3, first 2 shown]
	ds_read2_b64 v[99:102], v125 offset0:98 offset1:99
	buffer_load_dword v33, off, s[20:23], 0 offset:16 ; 4-byte Folded Reload
	buffer_load_dword v34, off, s[20:23], 0 offset:20 ; 4-byte Folded Reload
	;; [unrolled: 1-line block ×4, first 2 shown]
	s_waitcnt lgkmcnt(0)
	v_mul_f64 v[81:82], v[101:102], v[83:84]
	v_fma_f64 v[81:82], v[99:100], v[97:98], -v[81:82]
	v_mul_f64 v[99:100], v[99:100], v[83:84]
	v_fma_f64 v[99:100], v[101:102], v[97:98], v[99:100]
	s_waitcnt vmcnt(2)
	v_add_f64 v[33:34], v[33:34], -v[81:82]
	s_waitcnt vmcnt(0)
	v_add_f64 v[35:36], v[35:36], -v[99:100]
	buffer_store_dword v33, off, s[20:23], 0 offset:16 ; 4-byte Folded Spill
	s_nop 0
	buffer_store_dword v34, off, s[20:23], 0 offset:20 ; 4-byte Folded Spill
	buffer_store_dword v35, off, s[20:23], 0 offset:24 ; 4-byte Folded Spill
	;; [unrolled: 1-line block ×3, first 2 shown]
	ds_read2_b64 v[99:102], v125 offset0:100 offset1:101
	s_waitcnt lgkmcnt(0)
	v_mul_f64 v[81:82], v[101:102], v[83:84]
	v_fma_f64 v[81:82], v[99:100], v[97:98], -v[81:82]
	v_mul_f64 v[99:100], v[99:100], v[83:84]
	v_add_f64 v[29:30], v[29:30], -v[81:82]
	v_fma_f64 v[99:100], v[101:102], v[97:98], v[99:100]
	v_add_f64 v[31:32], v[31:32], -v[99:100]
	ds_read2_b64 v[99:102], v125 offset0:102 offset1:103
	s_waitcnt lgkmcnt(0)
	v_mul_f64 v[81:82], v[101:102], v[83:84]
	v_fma_f64 v[81:82], v[99:100], v[97:98], -v[81:82]
	v_mul_f64 v[99:100], v[99:100], v[83:84]
	v_add_f64 v[25:26], v[25:26], -v[81:82]
	v_fma_f64 v[99:100], v[101:102], v[97:98], v[99:100]
	v_add_f64 v[27:28], v[27:28], -v[99:100]
	;; [unrolled: 8-line block ×8, first 2 shown]
	ds_read2_b64 v[99:102], v125 offset0:116 offset1:117
	buffer_load_dword v37, off, s[20:23], 0 ; 4-byte Folded Reload
	buffer_load_dword v38, off, s[20:23], 0 offset:4 ; 4-byte Folded Reload
	buffer_load_dword v39, off, s[20:23], 0 offset:8 ; 4-byte Folded Reload
	;; [unrolled: 1-line block ×3, first 2 shown]
	s_waitcnt lgkmcnt(0)
	v_mul_f64 v[81:82], v[101:102], v[83:84]
	v_fma_f64 v[81:82], v[99:100], v[97:98], -v[81:82]
	v_mul_f64 v[99:100], v[99:100], v[83:84]
	v_fma_f64 v[99:100], v[101:102], v[97:98], v[99:100]
	s_waitcnt vmcnt(2)
	v_add_f64 v[37:38], v[37:38], -v[81:82]
	v_mov_b32_e32 v81, v97
	s_waitcnt vmcnt(0)
	v_add_f64 v[39:40], v[39:40], -v[99:100]
	v_mov_b32_e32 v82, v98
	buffer_store_dword v37, off, s[20:23], 0 ; 4-byte Folded Spill
	s_nop 0
	buffer_store_dword v38, off, s[20:23], 0 offset:4 ; 4-byte Folded Spill
	buffer_store_dword v39, off, s[20:23], 0 offset:8 ; 4-byte Folded Spill
	;; [unrolled: 1-line block ×3, first 2 shown]
.LBB117_343:
	s_or_b64 exec, exec, s[2:3]
	v_cmp_eq_u32_e32 vcc, 38, v0
	s_waitcnt vmcnt(0)
	s_barrier
	s_and_saveexec_b64 s[4:5], vcc
	s_cbranch_execz .LBB117_350
; %bb.344:
	ds_write2_b64 v127, v[77:78], v[79:80] offset1:1
	ds_write2_b64 v125, v[73:74], v[75:76] offset0:78 offset1:79
	ds_write2_b64 v125, v[69:70], v[71:72] offset0:80 offset1:81
	;; [unrolled: 1-line block ×9, first 2 shown]
	buffer_load_dword v37, off, s[20:23], 0 offset:32 ; 4-byte Folded Reload
	buffer_load_dword v38, off, s[20:23], 0 offset:36 ; 4-byte Folded Reload
	;; [unrolled: 1-line block ×4, first 2 shown]
	s_waitcnt vmcnt(0)
	ds_write2_b64 v125, v[37:38], v[39:40] offset0:96 offset1:97
	buffer_load_dword v33, off, s[20:23], 0 offset:16 ; 4-byte Folded Reload
	buffer_load_dword v34, off, s[20:23], 0 offset:20 ; 4-byte Folded Reload
	;; [unrolled: 1-line block ×4, first 2 shown]
	s_waitcnt vmcnt(0)
	ds_write2_b64 v125, v[33:34], v[35:36] offset0:98 offset1:99
	ds_write2_b64 v125, v[29:30], v[31:32] offset0:100 offset1:101
	;; [unrolled: 1-line block ×9, first 2 shown]
	buffer_load_dword v37, off, s[20:23], 0 ; 4-byte Folded Reload
	buffer_load_dword v38, off, s[20:23], 0 offset:4 ; 4-byte Folded Reload
	buffer_load_dword v39, off, s[20:23], 0 offset:8 ; 4-byte Folded Reload
	;; [unrolled: 1-line block ×3, first 2 shown]
	s_waitcnt vmcnt(0)
	ds_write2_b64 v125, v[37:38], v[39:40] offset0:116 offset1:117
	ds_read2_b64 v[97:100], v127 offset1:1
	s_waitcnt lgkmcnt(0)
	v_cmp_neq_f64_e32 vcc, 0, v[97:98]
	v_cmp_neq_f64_e64 s[2:3], 0, v[99:100]
	s_or_b64 s[2:3], vcc, s[2:3]
	s_and_b64 exec, exec, s[2:3]
	s_cbranch_execz .LBB117_350
; %bb.345:
	v_cmp_ngt_f64_e64 s[2:3], |v[97:98]|, |v[99:100]|
                                        ; implicit-def: $vgpr101_vgpr102
	s_and_saveexec_b64 s[6:7], s[2:3]
	s_xor_b64 s[2:3], exec, s[6:7]
                                        ; implicit-def: $vgpr103_vgpr104
	s_cbranch_execz .LBB117_347
; %bb.346:
	v_div_scale_f64 v[101:102], s[6:7], v[99:100], v[99:100], v[97:98]
	v_rcp_f64_e32 v[103:104], v[101:102]
	v_fma_f64 v[105:106], -v[101:102], v[103:104], 1.0
	v_fma_f64 v[103:104], v[103:104], v[105:106], v[103:104]
	v_div_scale_f64 v[105:106], vcc, v[97:98], v[99:100], v[97:98]
	v_fma_f64 v[107:108], -v[101:102], v[103:104], 1.0
	v_fma_f64 v[103:104], v[103:104], v[107:108], v[103:104]
	v_mul_f64 v[107:108], v[105:106], v[103:104]
	v_fma_f64 v[101:102], -v[101:102], v[107:108], v[105:106]
	v_div_fmas_f64 v[101:102], v[101:102], v[103:104], v[107:108]
	v_div_fixup_f64 v[101:102], v[101:102], v[99:100], v[97:98]
	v_fma_f64 v[97:98], v[97:98], v[101:102], v[99:100]
	v_div_scale_f64 v[99:100], s[6:7], v[97:98], v[97:98], 1.0
	v_div_scale_f64 v[107:108], vcc, 1.0, v[97:98], 1.0
	v_rcp_f64_e32 v[103:104], v[99:100]
	v_fma_f64 v[105:106], -v[99:100], v[103:104], 1.0
	v_fma_f64 v[103:104], v[103:104], v[105:106], v[103:104]
	v_fma_f64 v[105:106], -v[99:100], v[103:104], 1.0
	v_fma_f64 v[103:104], v[103:104], v[105:106], v[103:104]
	v_mul_f64 v[105:106], v[107:108], v[103:104]
	v_fma_f64 v[99:100], -v[99:100], v[105:106], v[107:108]
	v_div_fmas_f64 v[99:100], v[99:100], v[103:104], v[105:106]
	v_div_fixup_f64 v[103:104], v[99:100], v[97:98], 1.0
                                        ; implicit-def: $vgpr97_vgpr98
	v_mul_f64 v[101:102], v[101:102], v[103:104]
	v_xor_b32_e32 v104, 0x80000000, v104
.LBB117_347:
	s_andn2_saveexec_b64 s[2:3], s[2:3]
	s_cbranch_execz .LBB117_349
; %bb.348:
	v_div_scale_f64 v[101:102], s[6:7], v[97:98], v[97:98], v[99:100]
	v_rcp_f64_e32 v[103:104], v[101:102]
	v_fma_f64 v[105:106], -v[101:102], v[103:104], 1.0
	v_fma_f64 v[103:104], v[103:104], v[105:106], v[103:104]
	v_div_scale_f64 v[105:106], vcc, v[99:100], v[97:98], v[99:100]
	v_fma_f64 v[107:108], -v[101:102], v[103:104], 1.0
	v_fma_f64 v[103:104], v[103:104], v[107:108], v[103:104]
	v_mul_f64 v[107:108], v[105:106], v[103:104]
	v_fma_f64 v[101:102], -v[101:102], v[107:108], v[105:106]
	v_div_fmas_f64 v[101:102], v[101:102], v[103:104], v[107:108]
	v_div_fixup_f64 v[103:104], v[101:102], v[97:98], v[99:100]
	v_fma_f64 v[97:98], v[99:100], v[103:104], v[97:98]
	v_div_scale_f64 v[99:100], s[6:7], v[97:98], v[97:98], 1.0
	v_div_scale_f64 v[107:108], vcc, 1.0, v[97:98], 1.0
	v_rcp_f64_e32 v[101:102], v[99:100]
	v_fma_f64 v[105:106], -v[99:100], v[101:102], 1.0
	v_fma_f64 v[101:102], v[101:102], v[105:106], v[101:102]
	v_fma_f64 v[105:106], -v[99:100], v[101:102], 1.0
	v_fma_f64 v[101:102], v[101:102], v[105:106], v[101:102]
	v_mul_f64 v[105:106], v[107:108], v[101:102]
	v_fma_f64 v[99:100], -v[99:100], v[105:106], v[107:108]
	v_div_fmas_f64 v[99:100], v[99:100], v[101:102], v[105:106]
	v_div_fixup_f64 v[101:102], v[99:100], v[97:98], 1.0
	v_mul_f64 v[103:104], v[103:104], -v[101:102]
.LBB117_349:
	s_or_b64 exec, exec, s[2:3]
	ds_write2_b64 v127, v[101:102], v[103:104] offset1:1
.LBB117_350:
	s_or_b64 exec, exec, s[4:5]
	s_waitcnt lgkmcnt(0)
	s_barrier
	ds_read2_b64 v[37:40], v127 offset1:1
	v_cmp_lt_u32_e32 vcc, 38, v0
	s_waitcnt lgkmcnt(0)
	buffer_store_dword v37, off, s[20:23], 0 offset:1632 ; 4-byte Folded Spill
	s_nop 0
	buffer_store_dword v38, off, s[20:23], 0 offset:1636 ; 4-byte Folded Spill
	buffer_store_dword v39, off, s[20:23], 0 offset:1640 ; 4-byte Folded Spill
	;; [unrolled: 1-line block ×3, first 2 shown]
	s_and_saveexec_b64 s[2:3], vcc
	s_cbranch_execz .LBB117_352
; %bb.351:
	buffer_load_dword v37, off, s[20:23], 0 offset:1632 ; 4-byte Folded Reload
	buffer_load_dword v38, off, s[20:23], 0 offset:1636 ; 4-byte Folded Reload
	;; [unrolled: 1-line block ×4, first 2 shown]
	ds_read2_b64 v[99:102], v125 offset0:78 offset1:79
	s_waitcnt vmcnt(0)
	v_mul_f64 v[97:98], v[39:40], v[79:80]
	v_mul_f64 v[79:80], v[37:38], v[79:80]
	v_fma_f64 v[97:98], v[37:38], v[77:78], -v[97:98]
	v_fma_f64 v[79:80], v[39:40], v[77:78], v[79:80]
	s_waitcnt lgkmcnt(0)
	v_mul_f64 v[77:78], v[101:102], v[79:80]
	v_fma_f64 v[77:78], v[99:100], v[97:98], -v[77:78]
	v_mul_f64 v[99:100], v[99:100], v[79:80]
	v_add_f64 v[73:74], v[73:74], -v[77:78]
	v_fma_f64 v[99:100], v[101:102], v[97:98], v[99:100]
	v_add_f64 v[75:76], v[75:76], -v[99:100]
	ds_read2_b64 v[99:102], v125 offset0:80 offset1:81
	s_waitcnt lgkmcnt(0)
	v_mul_f64 v[77:78], v[101:102], v[79:80]
	v_fma_f64 v[77:78], v[99:100], v[97:98], -v[77:78]
	v_mul_f64 v[99:100], v[99:100], v[79:80]
	v_add_f64 v[69:70], v[69:70], -v[77:78]
	v_fma_f64 v[99:100], v[101:102], v[97:98], v[99:100]
	v_add_f64 v[71:72], v[71:72], -v[99:100]
	ds_read2_b64 v[99:102], v125 offset0:82 offset1:83
	;; [unrolled: 8-line block ×9, first 2 shown]
	buffer_load_dword v37, off, s[20:23], 0 offset:32 ; 4-byte Folded Reload
	buffer_load_dword v38, off, s[20:23], 0 offset:36 ; 4-byte Folded Reload
	;; [unrolled: 1-line block ×4, first 2 shown]
	s_waitcnt lgkmcnt(0)
	v_mul_f64 v[77:78], v[101:102], v[79:80]
	v_fma_f64 v[77:78], v[99:100], v[97:98], -v[77:78]
	v_mul_f64 v[99:100], v[99:100], v[79:80]
	v_fma_f64 v[99:100], v[101:102], v[97:98], v[99:100]
	s_waitcnt vmcnt(2)
	v_add_f64 v[37:38], v[37:38], -v[77:78]
	s_waitcnt vmcnt(0)
	v_add_f64 v[39:40], v[39:40], -v[99:100]
	buffer_store_dword v37, off, s[20:23], 0 offset:32 ; 4-byte Folded Spill
	s_nop 0
	buffer_store_dword v38, off, s[20:23], 0 offset:36 ; 4-byte Folded Spill
	buffer_store_dword v39, off, s[20:23], 0 offset:40 ; 4-byte Folded Spill
	;; [unrolled: 1-line block ×3, first 2 shown]
	ds_read2_b64 v[99:102], v125 offset0:98 offset1:99
	buffer_load_dword v33, off, s[20:23], 0 offset:16 ; 4-byte Folded Reload
	buffer_load_dword v34, off, s[20:23], 0 offset:20 ; 4-byte Folded Reload
	;; [unrolled: 1-line block ×4, first 2 shown]
	s_waitcnt lgkmcnt(0)
	v_mul_f64 v[77:78], v[101:102], v[79:80]
	v_fma_f64 v[77:78], v[99:100], v[97:98], -v[77:78]
	v_mul_f64 v[99:100], v[99:100], v[79:80]
	v_fma_f64 v[99:100], v[101:102], v[97:98], v[99:100]
	s_waitcnt vmcnt(2)
	v_add_f64 v[33:34], v[33:34], -v[77:78]
	s_waitcnt vmcnt(0)
	v_add_f64 v[35:36], v[35:36], -v[99:100]
	buffer_store_dword v33, off, s[20:23], 0 offset:16 ; 4-byte Folded Spill
	s_nop 0
	buffer_store_dword v34, off, s[20:23], 0 offset:20 ; 4-byte Folded Spill
	buffer_store_dword v35, off, s[20:23], 0 offset:24 ; 4-byte Folded Spill
	;; [unrolled: 1-line block ×3, first 2 shown]
	ds_read2_b64 v[99:102], v125 offset0:100 offset1:101
	s_waitcnt lgkmcnt(0)
	v_mul_f64 v[77:78], v[101:102], v[79:80]
	v_fma_f64 v[77:78], v[99:100], v[97:98], -v[77:78]
	v_mul_f64 v[99:100], v[99:100], v[79:80]
	v_add_f64 v[29:30], v[29:30], -v[77:78]
	v_fma_f64 v[99:100], v[101:102], v[97:98], v[99:100]
	v_add_f64 v[31:32], v[31:32], -v[99:100]
	ds_read2_b64 v[99:102], v125 offset0:102 offset1:103
	s_waitcnt lgkmcnt(0)
	v_mul_f64 v[77:78], v[101:102], v[79:80]
	v_fma_f64 v[77:78], v[99:100], v[97:98], -v[77:78]
	v_mul_f64 v[99:100], v[99:100], v[79:80]
	v_add_f64 v[25:26], v[25:26], -v[77:78]
	v_fma_f64 v[99:100], v[101:102], v[97:98], v[99:100]
	v_add_f64 v[27:28], v[27:28], -v[99:100]
	;; [unrolled: 8-line block ×8, first 2 shown]
	ds_read2_b64 v[99:102], v125 offset0:116 offset1:117
	buffer_load_dword v37, off, s[20:23], 0 ; 4-byte Folded Reload
	buffer_load_dword v38, off, s[20:23], 0 offset:4 ; 4-byte Folded Reload
	buffer_load_dword v39, off, s[20:23], 0 offset:8 ; 4-byte Folded Reload
	;; [unrolled: 1-line block ×3, first 2 shown]
	s_waitcnt lgkmcnt(0)
	v_mul_f64 v[77:78], v[101:102], v[79:80]
	v_fma_f64 v[77:78], v[99:100], v[97:98], -v[77:78]
	v_mul_f64 v[99:100], v[99:100], v[79:80]
	v_fma_f64 v[99:100], v[101:102], v[97:98], v[99:100]
	s_waitcnt vmcnt(2)
	v_add_f64 v[37:38], v[37:38], -v[77:78]
	v_mov_b32_e32 v77, v97
	s_waitcnt vmcnt(0)
	v_add_f64 v[39:40], v[39:40], -v[99:100]
	v_mov_b32_e32 v78, v98
	buffer_store_dword v37, off, s[20:23], 0 ; 4-byte Folded Spill
	s_nop 0
	buffer_store_dword v38, off, s[20:23], 0 offset:4 ; 4-byte Folded Spill
	buffer_store_dword v39, off, s[20:23], 0 offset:8 ; 4-byte Folded Spill
	;; [unrolled: 1-line block ×3, first 2 shown]
.LBB117_352:
	s_or_b64 exec, exec, s[2:3]
	v_cmp_eq_u32_e32 vcc, 39, v0
	s_waitcnt vmcnt(0)
	s_barrier
	s_and_saveexec_b64 s[4:5], vcc
	s_cbranch_execz .LBB117_359
; %bb.353:
	ds_write2_b64 v127, v[73:74], v[75:76] offset1:1
	ds_write2_b64 v125, v[69:70], v[71:72] offset0:80 offset1:81
	ds_write2_b64 v125, v[65:66], v[67:68] offset0:82 offset1:83
	;; [unrolled: 1-line block ×8, first 2 shown]
	buffer_load_dword v37, off, s[20:23], 0 offset:32 ; 4-byte Folded Reload
	buffer_load_dword v38, off, s[20:23], 0 offset:36 ; 4-byte Folded Reload
	;; [unrolled: 1-line block ×4, first 2 shown]
	s_waitcnt vmcnt(0)
	ds_write2_b64 v125, v[37:38], v[39:40] offset0:96 offset1:97
	buffer_load_dword v33, off, s[20:23], 0 offset:16 ; 4-byte Folded Reload
	buffer_load_dword v34, off, s[20:23], 0 offset:20 ; 4-byte Folded Reload
	;; [unrolled: 1-line block ×4, first 2 shown]
	s_waitcnt vmcnt(0)
	ds_write2_b64 v125, v[33:34], v[35:36] offset0:98 offset1:99
	ds_write2_b64 v125, v[29:30], v[31:32] offset0:100 offset1:101
	ds_write2_b64 v125, v[25:26], v[27:28] offset0:102 offset1:103
	ds_write2_b64 v125, v[21:22], v[23:24] offset0:104 offset1:105
	ds_write2_b64 v125, v[17:18], v[19:20] offset0:106 offset1:107
	ds_write2_b64 v125, v[13:14], v[15:16] offset0:108 offset1:109
	ds_write2_b64 v125, v[9:10], v[11:12] offset0:110 offset1:111
	ds_write2_b64 v125, v[5:6], v[7:8] offset0:112 offset1:113
	ds_write2_b64 v125, v[1:2], v[3:4] offset0:114 offset1:115
	buffer_load_dword v37, off, s[20:23], 0 ; 4-byte Folded Reload
	buffer_load_dword v38, off, s[20:23], 0 offset:4 ; 4-byte Folded Reload
	buffer_load_dword v39, off, s[20:23], 0 offset:8 ; 4-byte Folded Reload
	buffer_load_dword v40, off, s[20:23], 0 offset:12 ; 4-byte Folded Reload
	s_waitcnt vmcnt(0)
	ds_write2_b64 v125, v[37:38], v[39:40] offset0:116 offset1:117
	ds_read2_b64 v[97:100], v127 offset1:1
	s_waitcnt lgkmcnt(0)
	v_cmp_neq_f64_e32 vcc, 0, v[97:98]
	v_cmp_neq_f64_e64 s[2:3], 0, v[99:100]
	s_or_b64 s[2:3], vcc, s[2:3]
	s_and_b64 exec, exec, s[2:3]
	s_cbranch_execz .LBB117_359
; %bb.354:
	v_cmp_ngt_f64_e64 s[2:3], |v[97:98]|, |v[99:100]|
                                        ; implicit-def: $vgpr101_vgpr102
	s_and_saveexec_b64 s[6:7], s[2:3]
	s_xor_b64 s[2:3], exec, s[6:7]
                                        ; implicit-def: $vgpr103_vgpr104
	s_cbranch_execz .LBB117_356
; %bb.355:
	v_div_scale_f64 v[101:102], s[6:7], v[99:100], v[99:100], v[97:98]
	v_rcp_f64_e32 v[103:104], v[101:102]
	v_fma_f64 v[105:106], -v[101:102], v[103:104], 1.0
	v_fma_f64 v[103:104], v[103:104], v[105:106], v[103:104]
	v_div_scale_f64 v[105:106], vcc, v[97:98], v[99:100], v[97:98]
	v_fma_f64 v[107:108], -v[101:102], v[103:104], 1.0
	v_fma_f64 v[103:104], v[103:104], v[107:108], v[103:104]
	v_mul_f64 v[107:108], v[105:106], v[103:104]
	v_fma_f64 v[101:102], -v[101:102], v[107:108], v[105:106]
	v_div_fmas_f64 v[101:102], v[101:102], v[103:104], v[107:108]
	v_div_fixup_f64 v[101:102], v[101:102], v[99:100], v[97:98]
	v_fma_f64 v[97:98], v[97:98], v[101:102], v[99:100]
	v_div_scale_f64 v[99:100], s[6:7], v[97:98], v[97:98], 1.0
	v_div_scale_f64 v[107:108], vcc, 1.0, v[97:98], 1.0
	v_rcp_f64_e32 v[103:104], v[99:100]
	v_fma_f64 v[105:106], -v[99:100], v[103:104], 1.0
	v_fma_f64 v[103:104], v[103:104], v[105:106], v[103:104]
	v_fma_f64 v[105:106], -v[99:100], v[103:104], 1.0
	v_fma_f64 v[103:104], v[103:104], v[105:106], v[103:104]
	v_mul_f64 v[105:106], v[107:108], v[103:104]
	v_fma_f64 v[99:100], -v[99:100], v[105:106], v[107:108]
	v_div_fmas_f64 v[99:100], v[99:100], v[103:104], v[105:106]
	v_div_fixup_f64 v[103:104], v[99:100], v[97:98], 1.0
                                        ; implicit-def: $vgpr97_vgpr98
	v_mul_f64 v[101:102], v[101:102], v[103:104]
	v_xor_b32_e32 v104, 0x80000000, v104
.LBB117_356:
	s_andn2_saveexec_b64 s[2:3], s[2:3]
	s_cbranch_execz .LBB117_358
; %bb.357:
	v_div_scale_f64 v[101:102], s[6:7], v[97:98], v[97:98], v[99:100]
	v_rcp_f64_e32 v[103:104], v[101:102]
	v_fma_f64 v[105:106], -v[101:102], v[103:104], 1.0
	v_fma_f64 v[103:104], v[103:104], v[105:106], v[103:104]
	v_div_scale_f64 v[105:106], vcc, v[99:100], v[97:98], v[99:100]
	v_fma_f64 v[107:108], -v[101:102], v[103:104], 1.0
	v_fma_f64 v[103:104], v[103:104], v[107:108], v[103:104]
	v_mul_f64 v[107:108], v[105:106], v[103:104]
	v_fma_f64 v[101:102], -v[101:102], v[107:108], v[105:106]
	v_div_fmas_f64 v[101:102], v[101:102], v[103:104], v[107:108]
	v_div_fixup_f64 v[103:104], v[101:102], v[97:98], v[99:100]
	v_fma_f64 v[97:98], v[99:100], v[103:104], v[97:98]
	v_div_scale_f64 v[99:100], s[6:7], v[97:98], v[97:98], 1.0
	v_div_scale_f64 v[107:108], vcc, 1.0, v[97:98], 1.0
	v_rcp_f64_e32 v[101:102], v[99:100]
	v_fma_f64 v[105:106], -v[99:100], v[101:102], 1.0
	v_fma_f64 v[101:102], v[101:102], v[105:106], v[101:102]
	v_fma_f64 v[105:106], -v[99:100], v[101:102], 1.0
	v_fma_f64 v[101:102], v[101:102], v[105:106], v[101:102]
	v_mul_f64 v[105:106], v[107:108], v[101:102]
	v_fma_f64 v[99:100], -v[99:100], v[105:106], v[107:108]
	v_div_fmas_f64 v[99:100], v[99:100], v[101:102], v[105:106]
	v_div_fixup_f64 v[101:102], v[99:100], v[97:98], 1.0
	v_mul_f64 v[103:104], v[103:104], -v[101:102]
.LBB117_358:
	s_or_b64 exec, exec, s[2:3]
	ds_write2_b64 v127, v[101:102], v[103:104] offset1:1
.LBB117_359:
	s_or_b64 exec, exec, s[4:5]
	s_waitcnt lgkmcnt(0)
	s_barrier
	ds_read2_b64 v[37:40], v127 offset1:1
	v_cmp_lt_u32_e32 vcc, 39, v0
	s_waitcnt lgkmcnt(0)
	buffer_store_dword v37, off, s[20:23], 0 offset:1648 ; 4-byte Folded Spill
	s_nop 0
	buffer_store_dword v38, off, s[20:23], 0 offset:1652 ; 4-byte Folded Spill
	buffer_store_dword v39, off, s[20:23], 0 offset:1656 ; 4-byte Folded Spill
	;; [unrolled: 1-line block ×3, first 2 shown]
	s_and_saveexec_b64 s[2:3], vcc
	s_cbranch_execz .LBB117_361
; %bb.360:
	buffer_load_dword v37, off, s[20:23], 0 offset:1648 ; 4-byte Folded Reload
	buffer_load_dword v38, off, s[20:23], 0 offset:1652 ; 4-byte Folded Reload
	;; [unrolled: 1-line block ×4, first 2 shown]
	ds_read2_b64 v[99:102], v125 offset0:80 offset1:81
	s_waitcnt vmcnt(0)
	v_mul_f64 v[97:98], v[39:40], v[75:76]
	v_mul_f64 v[75:76], v[37:38], v[75:76]
	v_fma_f64 v[97:98], v[37:38], v[73:74], -v[97:98]
	v_fma_f64 v[75:76], v[39:40], v[73:74], v[75:76]
	s_waitcnt lgkmcnt(0)
	v_mul_f64 v[73:74], v[101:102], v[75:76]
	v_fma_f64 v[73:74], v[99:100], v[97:98], -v[73:74]
	v_mul_f64 v[99:100], v[99:100], v[75:76]
	v_add_f64 v[69:70], v[69:70], -v[73:74]
	v_fma_f64 v[99:100], v[101:102], v[97:98], v[99:100]
	v_add_f64 v[71:72], v[71:72], -v[99:100]
	ds_read2_b64 v[99:102], v125 offset0:82 offset1:83
	s_waitcnt lgkmcnt(0)
	v_mul_f64 v[73:74], v[101:102], v[75:76]
	v_fma_f64 v[73:74], v[99:100], v[97:98], -v[73:74]
	v_mul_f64 v[99:100], v[99:100], v[75:76]
	v_add_f64 v[65:66], v[65:66], -v[73:74]
	v_fma_f64 v[99:100], v[101:102], v[97:98], v[99:100]
	v_add_f64 v[67:68], v[67:68], -v[99:100]
	ds_read2_b64 v[99:102], v125 offset0:84 offset1:85
	;; [unrolled: 8-line block ×8, first 2 shown]
	buffer_load_dword v37, off, s[20:23], 0 offset:32 ; 4-byte Folded Reload
	buffer_load_dword v38, off, s[20:23], 0 offset:36 ; 4-byte Folded Reload
	;; [unrolled: 1-line block ×4, first 2 shown]
	s_waitcnt lgkmcnt(0)
	v_mul_f64 v[73:74], v[101:102], v[75:76]
	v_fma_f64 v[73:74], v[99:100], v[97:98], -v[73:74]
	v_mul_f64 v[99:100], v[99:100], v[75:76]
	v_fma_f64 v[99:100], v[101:102], v[97:98], v[99:100]
	s_waitcnt vmcnt(2)
	v_add_f64 v[37:38], v[37:38], -v[73:74]
	s_waitcnt vmcnt(0)
	v_add_f64 v[39:40], v[39:40], -v[99:100]
	buffer_store_dword v37, off, s[20:23], 0 offset:32 ; 4-byte Folded Spill
	s_nop 0
	buffer_store_dword v38, off, s[20:23], 0 offset:36 ; 4-byte Folded Spill
	buffer_store_dword v39, off, s[20:23], 0 offset:40 ; 4-byte Folded Spill
	;; [unrolled: 1-line block ×3, first 2 shown]
	ds_read2_b64 v[99:102], v125 offset0:98 offset1:99
	buffer_load_dword v33, off, s[20:23], 0 offset:16 ; 4-byte Folded Reload
	buffer_load_dword v34, off, s[20:23], 0 offset:20 ; 4-byte Folded Reload
	;; [unrolled: 1-line block ×4, first 2 shown]
	s_waitcnt lgkmcnt(0)
	v_mul_f64 v[73:74], v[101:102], v[75:76]
	v_fma_f64 v[73:74], v[99:100], v[97:98], -v[73:74]
	v_mul_f64 v[99:100], v[99:100], v[75:76]
	v_fma_f64 v[99:100], v[101:102], v[97:98], v[99:100]
	s_waitcnt vmcnt(2)
	v_add_f64 v[33:34], v[33:34], -v[73:74]
	s_waitcnt vmcnt(0)
	v_add_f64 v[35:36], v[35:36], -v[99:100]
	buffer_store_dword v33, off, s[20:23], 0 offset:16 ; 4-byte Folded Spill
	s_nop 0
	buffer_store_dword v34, off, s[20:23], 0 offset:20 ; 4-byte Folded Spill
	buffer_store_dword v35, off, s[20:23], 0 offset:24 ; 4-byte Folded Spill
	;; [unrolled: 1-line block ×3, first 2 shown]
	ds_read2_b64 v[99:102], v125 offset0:100 offset1:101
	s_waitcnt lgkmcnt(0)
	v_mul_f64 v[73:74], v[101:102], v[75:76]
	v_fma_f64 v[73:74], v[99:100], v[97:98], -v[73:74]
	v_mul_f64 v[99:100], v[99:100], v[75:76]
	v_add_f64 v[29:30], v[29:30], -v[73:74]
	v_fma_f64 v[99:100], v[101:102], v[97:98], v[99:100]
	v_add_f64 v[31:32], v[31:32], -v[99:100]
	ds_read2_b64 v[99:102], v125 offset0:102 offset1:103
	s_waitcnt lgkmcnt(0)
	v_mul_f64 v[73:74], v[101:102], v[75:76]
	v_fma_f64 v[73:74], v[99:100], v[97:98], -v[73:74]
	v_mul_f64 v[99:100], v[99:100], v[75:76]
	v_add_f64 v[25:26], v[25:26], -v[73:74]
	v_fma_f64 v[99:100], v[101:102], v[97:98], v[99:100]
	v_add_f64 v[27:28], v[27:28], -v[99:100]
	;; [unrolled: 8-line block ×8, first 2 shown]
	ds_read2_b64 v[99:102], v125 offset0:116 offset1:117
	buffer_load_dword v37, off, s[20:23], 0 ; 4-byte Folded Reload
	buffer_load_dword v38, off, s[20:23], 0 offset:4 ; 4-byte Folded Reload
	buffer_load_dword v39, off, s[20:23], 0 offset:8 ; 4-byte Folded Reload
	buffer_load_dword v40, off, s[20:23], 0 offset:12 ; 4-byte Folded Reload
	s_waitcnt lgkmcnt(0)
	v_mul_f64 v[73:74], v[101:102], v[75:76]
	v_fma_f64 v[73:74], v[99:100], v[97:98], -v[73:74]
	v_mul_f64 v[99:100], v[99:100], v[75:76]
	v_fma_f64 v[99:100], v[101:102], v[97:98], v[99:100]
	s_waitcnt vmcnt(2)
	v_add_f64 v[37:38], v[37:38], -v[73:74]
	v_mov_b32_e32 v73, v97
	s_waitcnt vmcnt(0)
	v_add_f64 v[39:40], v[39:40], -v[99:100]
	v_mov_b32_e32 v74, v98
	buffer_store_dword v37, off, s[20:23], 0 ; 4-byte Folded Spill
	s_nop 0
	buffer_store_dword v38, off, s[20:23], 0 offset:4 ; 4-byte Folded Spill
	buffer_store_dword v39, off, s[20:23], 0 offset:8 ; 4-byte Folded Spill
	;; [unrolled: 1-line block ×3, first 2 shown]
.LBB117_361:
	s_or_b64 exec, exec, s[2:3]
	v_cmp_eq_u32_e32 vcc, 40, v0
	s_waitcnt vmcnt(0)
	s_barrier
	s_and_saveexec_b64 s[4:5], vcc
	s_cbranch_execz .LBB117_368
; %bb.362:
	ds_write2_b64 v127, v[69:70], v[71:72] offset1:1
	ds_write2_b64 v125, v[65:66], v[67:68] offset0:82 offset1:83
	ds_write2_b64 v125, v[61:62], v[63:64] offset0:84 offset1:85
	ds_write2_b64 v125, v[57:58], v[59:60] offset0:86 offset1:87
	ds_write2_b64 v125, v[53:54], v[55:56] offset0:88 offset1:89
	ds_write2_b64 v125, v[49:50], v[51:52] offset0:90 offset1:91
	ds_write2_b64 v125, v[45:46], v[47:48] offset0:92 offset1:93
	ds_write2_b64 v125, v[41:42], v[43:44] offset0:94 offset1:95
	buffer_load_dword v37, off, s[20:23], 0 offset:32 ; 4-byte Folded Reload
	buffer_load_dword v38, off, s[20:23], 0 offset:36 ; 4-byte Folded Reload
	;; [unrolled: 1-line block ×4, first 2 shown]
	s_waitcnt vmcnt(0)
	ds_write2_b64 v125, v[37:38], v[39:40] offset0:96 offset1:97
	buffer_load_dword v33, off, s[20:23], 0 offset:16 ; 4-byte Folded Reload
	buffer_load_dword v34, off, s[20:23], 0 offset:20 ; 4-byte Folded Reload
	;; [unrolled: 1-line block ×4, first 2 shown]
	s_waitcnt vmcnt(0)
	ds_write2_b64 v125, v[33:34], v[35:36] offset0:98 offset1:99
	ds_write2_b64 v125, v[29:30], v[31:32] offset0:100 offset1:101
	;; [unrolled: 1-line block ×9, first 2 shown]
	buffer_load_dword v37, off, s[20:23], 0 ; 4-byte Folded Reload
	buffer_load_dword v38, off, s[20:23], 0 offset:4 ; 4-byte Folded Reload
	buffer_load_dword v39, off, s[20:23], 0 offset:8 ; 4-byte Folded Reload
	buffer_load_dword v40, off, s[20:23], 0 offset:12 ; 4-byte Folded Reload
	s_waitcnt vmcnt(0)
	ds_write2_b64 v125, v[37:38], v[39:40] offset0:116 offset1:117
	ds_read2_b64 v[97:100], v127 offset1:1
	s_waitcnt lgkmcnt(0)
	v_cmp_neq_f64_e32 vcc, 0, v[97:98]
	v_cmp_neq_f64_e64 s[2:3], 0, v[99:100]
	s_or_b64 s[2:3], vcc, s[2:3]
	s_and_b64 exec, exec, s[2:3]
	s_cbranch_execz .LBB117_368
; %bb.363:
	v_cmp_ngt_f64_e64 s[2:3], |v[97:98]|, |v[99:100]|
                                        ; implicit-def: $vgpr101_vgpr102
	s_and_saveexec_b64 s[6:7], s[2:3]
	s_xor_b64 s[2:3], exec, s[6:7]
                                        ; implicit-def: $vgpr103_vgpr104
	s_cbranch_execz .LBB117_365
; %bb.364:
	v_div_scale_f64 v[101:102], s[6:7], v[99:100], v[99:100], v[97:98]
	v_rcp_f64_e32 v[103:104], v[101:102]
	v_fma_f64 v[105:106], -v[101:102], v[103:104], 1.0
	v_fma_f64 v[103:104], v[103:104], v[105:106], v[103:104]
	v_div_scale_f64 v[105:106], vcc, v[97:98], v[99:100], v[97:98]
	v_fma_f64 v[107:108], -v[101:102], v[103:104], 1.0
	v_fma_f64 v[103:104], v[103:104], v[107:108], v[103:104]
	v_mul_f64 v[107:108], v[105:106], v[103:104]
	v_fma_f64 v[101:102], -v[101:102], v[107:108], v[105:106]
	v_div_fmas_f64 v[101:102], v[101:102], v[103:104], v[107:108]
	v_div_fixup_f64 v[101:102], v[101:102], v[99:100], v[97:98]
	v_fma_f64 v[97:98], v[97:98], v[101:102], v[99:100]
	v_div_scale_f64 v[99:100], s[6:7], v[97:98], v[97:98], 1.0
	v_div_scale_f64 v[107:108], vcc, 1.0, v[97:98], 1.0
	v_rcp_f64_e32 v[103:104], v[99:100]
	v_fma_f64 v[105:106], -v[99:100], v[103:104], 1.0
	v_fma_f64 v[103:104], v[103:104], v[105:106], v[103:104]
	v_fma_f64 v[105:106], -v[99:100], v[103:104], 1.0
	v_fma_f64 v[103:104], v[103:104], v[105:106], v[103:104]
	v_mul_f64 v[105:106], v[107:108], v[103:104]
	v_fma_f64 v[99:100], -v[99:100], v[105:106], v[107:108]
	v_div_fmas_f64 v[99:100], v[99:100], v[103:104], v[105:106]
	v_div_fixup_f64 v[103:104], v[99:100], v[97:98], 1.0
                                        ; implicit-def: $vgpr97_vgpr98
	v_mul_f64 v[101:102], v[101:102], v[103:104]
	v_xor_b32_e32 v104, 0x80000000, v104
.LBB117_365:
	s_andn2_saveexec_b64 s[2:3], s[2:3]
	s_cbranch_execz .LBB117_367
; %bb.366:
	v_div_scale_f64 v[101:102], s[6:7], v[97:98], v[97:98], v[99:100]
	v_rcp_f64_e32 v[103:104], v[101:102]
	v_fma_f64 v[105:106], -v[101:102], v[103:104], 1.0
	v_fma_f64 v[103:104], v[103:104], v[105:106], v[103:104]
	v_div_scale_f64 v[105:106], vcc, v[99:100], v[97:98], v[99:100]
	v_fma_f64 v[107:108], -v[101:102], v[103:104], 1.0
	v_fma_f64 v[103:104], v[103:104], v[107:108], v[103:104]
	v_mul_f64 v[107:108], v[105:106], v[103:104]
	v_fma_f64 v[101:102], -v[101:102], v[107:108], v[105:106]
	v_div_fmas_f64 v[101:102], v[101:102], v[103:104], v[107:108]
	v_div_fixup_f64 v[103:104], v[101:102], v[97:98], v[99:100]
	v_fma_f64 v[97:98], v[99:100], v[103:104], v[97:98]
	v_div_scale_f64 v[99:100], s[6:7], v[97:98], v[97:98], 1.0
	v_div_scale_f64 v[107:108], vcc, 1.0, v[97:98], 1.0
	v_rcp_f64_e32 v[101:102], v[99:100]
	v_fma_f64 v[105:106], -v[99:100], v[101:102], 1.0
	v_fma_f64 v[101:102], v[101:102], v[105:106], v[101:102]
	v_fma_f64 v[105:106], -v[99:100], v[101:102], 1.0
	v_fma_f64 v[101:102], v[101:102], v[105:106], v[101:102]
	v_mul_f64 v[105:106], v[107:108], v[101:102]
	v_fma_f64 v[99:100], -v[99:100], v[105:106], v[107:108]
	v_div_fmas_f64 v[99:100], v[99:100], v[101:102], v[105:106]
	v_div_fixup_f64 v[101:102], v[99:100], v[97:98], 1.0
	v_mul_f64 v[103:104], v[103:104], -v[101:102]
.LBB117_367:
	s_or_b64 exec, exec, s[2:3]
	ds_write2_b64 v127, v[101:102], v[103:104] offset1:1
.LBB117_368:
	s_or_b64 exec, exec, s[4:5]
	s_waitcnt lgkmcnt(0)
	s_barrier
	ds_read2_b64 v[37:40], v127 offset1:1
	v_cmp_lt_u32_e32 vcc, 40, v0
	s_waitcnt lgkmcnt(0)
	buffer_store_dword v37, off, s[20:23], 0 offset:1664 ; 4-byte Folded Spill
	s_nop 0
	buffer_store_dword v38, off, s[20:23], 0 offset:1668 ; 4-byte Folded Spill
	buffer_store_dword v39, off, s[20:23], 0 offset:1672 ; 4-byte Folded Spill
	;; [unrolled: 1-line block ×3, first 2 shown]
	s_and_saveexec_b64 s[2:3], vcc
	s_cbranch_execz .LBB117_370
; %bb.369:
	buffer_load_dword v37, off, s[20:23], 0 offset:1664 ; 4-byte Folded Reload
	buffer_load_dword v38, off, s[20:23], 0 offset:1668 ; 4-byte Folded Reload
	;; [unrolled: 1-line block ×4, first 2 shown]
	ds_read2_b64 v[99:102], v125 offset0:82 offset1:83
	s_waitcnt vmcnt(0)
	v_mul_f64 v[97:98], v[39:40], v[71:72]
	v_mul_f64 v[71:72], v[37:38], v[71:72]
	v_fma_f64 v[97:98], v[37:38], v[69:70], -v[97:98]
	v_fma_f64 v[71:72], v[39:40], v[69:70], v[71:72]
	s_waitcnt lgkmcnt(0)
	v_mul_f64 v[69:70], v[101:102], v[71:72]
	v_fma_f64 v[69:70], v[99:100], v[97:98], -v[69:70]
	v_mul_f64 v[99:100], v[99:100], v[71:72]
	v_add_f64 v[65:66], v[65:66], -v[69:70]
	v_fma_f64 v[99:100], v[101:102], v[97:98], v[99:100]
	v_add_f64 v[67:68], v[67:68], -v[99:100]
	ds_read2_b64 v[99:102], v125 offset0:84 offset1:85
	s_waitcnt lgkmcnt(0)
	v_mul_f64 v[69:70], v[101:102], v[71:72]
	v_fma_f64 v[69:70], v[99:100], v[97:98], -v[69:70]
	v_mul_f64 v[99:100], v[99:100], v[71:72]
	v_add_f64 v[61:62], v[61:62], -v[69:70]
	v_fma_f64 v[99:100], v[101:102], v[97:98], v[99:100]
	v_add_f64 v[63:64], v[63:64], -v[99:100]
	ds_read2_b64 v[99:102], v125 offset0:86 offset1:87
	;; [unrolled: 8-line block ×7, first 2 shown]
	buffer_load_dword v37, off, s[20:23], 0 offset:32 ; 4-byte Folded Reload
	buffer_load_dword v38, off, s[20:23], 0 offset:36 ; 4-byte Folded Reload
	;; [unrolled: 1-line block ×4, first 2 shown]
	s_waitcnt lgkmcnt(0)
	v_mul_f64 v[69:70], v[101:102], v[71:72]
	v_fma_f64 v[69:70], v[99:100], v[97:98], -v[69:70]
	v_mul_f64 v[99:100], v[99:100], v[71:72]
	v_fma_f64 v[99:100], v[101:102], v[97:98], v[99:100]
	s_waitcnt vmcnt(2)
	v_add_f64 v[37:38], v[37:38], -v[69:70]
	s_waitcnt vmcnt(0)
	v_add_f64 v[39:40], v[39:40], -v[99:100]
	buffer_store_dword v37, off, s[20:23], 0 offset:32 ; 4-byte Folded Spill
	s_nop 0
	buffer_store_dword v38, off, s[20:23], 0 offset:36 ; 4-byte Folded Spill
	buffer_store_dword v39, off, s[20:23], 0 offset:40 ; 4-byte Folded Spill
	;; [unrolled: 1-line block ×3, first 2 shown]
	ds_read2_b64 v[99:102], v125 offset0:98 offset1:99
	buffer_load_dword v33, off, s[20:23], 0 offset:16 ; 4-byte Folded Reload
	buffer_load_dword v34, off, s[20:23], 0 offset:20 ; 4-byte Folded Reload
	;; [unrolled: 1-line block ×4, first 2 shown]
	s_waitcnt lgkmcnt(0)
	v_mul_f64 v[69:70], v[101:102], v[71:72]
	v_fma_f64 v[69:70], v[99:100], v[97:98], -v[69:70]
	v_mul_f64 v[99:100], v[99:100], v[71:72]
	v_fma_f64 v[99:100], v[101:102], v[97:98], v[99:100]
	s_waitcnt vmcnt(2)
	v_add_f64 v[33:34], v[33:34], -v[69:70]
	s_waitcnt vmcnt(0)
	v_add_f64 v[35:36], v[35:36], -v[99:100]
	buffer_store_dword v33, off, s[20:23], 0 offset:16 ; 4-byte Folded Spill
	s_nop 0
	buffer_store_dword v34, off, s[20:23], 0 offset:20 ; 4-byte Folded Spill
	buffer_store_dword v35, off, s[20:23], 0 offset:24 ; 4-byte Folded Spill
	;; [unrolled: 1-line block ×3, first 2 shown]
	ds_read2_b64 v[99:102], v125 offset0:100 offset1:101
	s_waitcnt lgkmcnt(0)
	v_mul_f64 v[69:70], v[101:102], v[71:72]
	v_fma_f64 v[69:70], v[99:100], v[97:98], -v[69:70]
	v_mul_f64 v[99:100], v[99:100], v[71:72]
	v_add_f64 v[29:30], v[29:30], -v[69:70]
	v_fma_f64 v[99:100], v[101:102], v[97:98], v[99:100]
	v_add_f64 v[31:32], v[31:32], -v[99:100]
	ds_read2_b64 v[99:102], v125 offset0:102 offset1:103
	s_waitcnt lgkmcnt(0)
	v_mul_f64 v[69:70], v[101:102], v[71:72]
	v_fma_f64 v[69:70], v[99:100], v[97:98], -v[69:70]
	v_mul_f64 v[99:100], v[99:100], v[71:72]
	v_add_f64 v[25:26], v[25:26], -v[69:70]
	v_fma_f64 v[99:100], v[101:102], v[97:98], v[99:100]
	v_add_f64 v[27:28], v[27:28], -v[99:100]
	;; [unrolled: 8-line block ×8, first 2 shown]
	ds_read2_b64 v[99:102], v125 offset0:116 offset1:117
	buffer_load_dword v37, off, s[20:23], 0 ; 4-byte Folded Reload
	buffer_load_dword v38, off, s[20:23], 0 offset:4 ; 4-byte Folded Reload
	buffer_load_dword v39, off, s[20:23], 0 offset:8 ; 4-byte Folded Reload
	;; [unrolled: 1-line block ×3, first 2 shown]
	s_waitcnt lgkmcnt(0)
	v_mul_f64 v[69:70], v[101:102], v[71:72]
	v_fma_f64 v[69:70], v[99:100], v[97:98], -v[69:70]
	v_mul_f64 v[99:100], v[99:100], v[71:72]
	v_fma_f64 v[99:100], v[101:102], v[97:98], v[99:100]
	s_waitcnt vmcnt(2)
	v_add_f64 v[37:38], v[37:38], -v[69:70]
	v_mov_b32_e32 v69, v97
	s_waitcnt vmcnt(0)
	v_add_f64 v[39:40], v[39:40], -v[99:100]
	v_mov_b32_e32 v70, v98
	buffer_store_dword v37, off, s[20:23], 0 ; 4-byte Folded Spill
	s_nop 0
	buffer_store_dword v38, off, s[20:23], 0 offset:4 ; 4-byte Folded Spill
	buffer_store_dword v39, off, s[20:23], 0 offset:8 ; 4-byte Folded Spill
	;; [unrolled: 1-line block ×3, first 2 shown]
.LBB117_370:
	s_or_b64 exec, exec, s[2:3]
	v_cmp_eq_u32_e32 vcc, 41, v0
	s_waitcnt vmcnt(0)
	s_barrier
	s_and_saveexec_b64 s[4:5], vcc
	s_cbranch_execz .LBB117_377
; %bb.371:
	ds_write2_b64 v127, v[65:66], v[67:68] offset1:1
	ds_write2_b64 v125, v[61:62], v[63:64] offset0:84 offset1:85
	ds_write2_b64 v125, v[57:58], v[59:60] offset0:86 offset1:87
	;; [unrolled: 1-line block ×6, first 2 shown]
	buffer_load_dword v37, off, s[20:23], 0 offset:32 ; 4-byte Folded Reload
	buffer_load_dword v38, off, s[20:23], 0 offset:36 ; 4-byte Folded Reload
	;; [unrolled: 1-line block ×4, first 2 shown]
	s_waitcnt vmcnt(0)
	ds_write2_b64 v125, v[37:38], v[39:40] offset0:96 offset1:97
	buffer_load_dword v33, off, s[20:23], 0 offset:16 ; 4-byte Folded Reload
	buffer_load_dword v34, off, s[20:23], 0 offset:20 ; 4-byte Folded Reload
	;; [unrolled: 1-line block ×4, first 2 shown]
	s_waitcnt vmcnt(0)
	ds_write2_b64 v125, v[33:34], v[35:36] offset0:98 offset1:99
	ds_write2_b64 v125, v[29:30], v[31:32] offset0:100 offset1:101
	;; [unrolled: 1-line block ×9, first 2 shown]
	buffer_load_dword v37, off, s[20:23], 0 ; 4-byte Folded Reload
	buffer_load_dword v38, off, s[20:23], 0 offset:4 ; 4-byte Folded Reload
	buffer_load_dword v39, off, s[20:23], 0 offset:8 ; 4-byte Folded Reload
	;; [unrolled: 1-line block ×3, first 2 shown]
	s_waitcnt vmcnt(0)
	ds_write2_b64 v125, v[37:38], v[39:40] offset0:116 offset1:117
	ds_read2_b64 v[97:100], v127 offset1:1
	s_waitcnt lgkmcnt(0)
	v_cmp_neq_f64_e32 vcc, 0, v[97:98]
	v_cmp_neq_f64_e64 s[2:3], 0, v[99:100]
	s_or_b64 s[2:3], vcc, s[2:3]
	s_and_b64 exec, exec, s[2:3]
	s_cbranch_execz .LBB117_377
; %bb.372:
	v_cmp_ngt_f64_e64 s[2:3], |v[97:98]|, |v[99:100]|
                                        ; implicit-def: $vgpr101_vgpr102
	s_and_saveexec_b64 s[6:7], s[2:3]
	s_xor_b64 s[2:3], exec, s[6:7]
                                        ; implicit-def: $vgpr103_vgpr104
	s_cbranch_execz .LBB117_374
; %bb.373:
	v_div_scale_f64 v[101:102], s[6:7], v[99:100], v[99:100], v[97:98]
	v_rcp_f64_e32 v[103:104], v[101:102]
	v_fma_f64 v[105:106], -v[101:102], v[103:104], 1.0
	v_fma_f64 v[103:104], v[103:104], v[105:106], v[103:104]
	v_div_scale_f64 v[105:106], vcc, v[97:98], v[99:100], v[97:98]
	v_fma_f64 v[107:108], -v[101:102], v[103:104], 1.0
	v_fma_f64 v[103:104], v[103:104], v[107:108], v[103:104]
	v_mul_f64 v[107:108], v[105:106], v[103:104]
	v_fma_f64 v[101:102], -v[101:102], v[107:108], v[105:106]
	v_div_fmas_f64 v[101:102], v[101:102], v[103:104], v[107:108]
	v_div_fixup_f64 v[101:102], v[101:102], v[99:100], v[97:98]
	v_fma_f64 v[97:98], v[97:98], v[101:102], v[99:100]
	v_div_scale_f64 v[99:100], s[6:7], v[97:98], v[97:98], 1.0
	v_div_scale_f64 v[107:108], vcc, 1.0, v[97:98], 1.0
	v_rcp_f64_e32 v[103:104], v[99:100]
	v_fma_f64 v[105:106], -v[99:100], v[103:104], 1.0
	v_fma_f64 v[103:104], v[103:104], v[105:106], v[103:104]
	v_fma_f64 v[105:106], -v[99:100], v[103:104], 1.0
	v_fma_f64 v[103:104], v[103:104], v[105:106], v[103:104]
	v_mul_f64 v[105:106], v[107:108], v[103:104]
	v_fma_f64 v[99:100], -v[99:100], v[105:106], v[107:108]
	v_div_fmas_f64 v[99:100], v[99:100], v[103:104], v[105:106]
	v_div_fixup_f64 v[103:104], v[99:100], v[97:98], 1.0
                                        ; implicit-def: $vgpr97_vgpr98
	v_mul_f64 v[101:102], v[101:102], v[103:104]
	v_xor_b32_e32 v104, 0x80000000, v104
.LBB117_374:
	s_andn2_saveexec_b64 s[2:3], s[2:3]
	s_cbranch_execz .LBB117_376
; %bb.375:
	v_div_scale_f64 v[101:102], s[6:7], v[97:98], v[97:98], v[99:100]
	v_rcp_f64_e32 v[103:104], v[101:102]
	v_fma_f64 v[105:106], -v[101:102], v[103:104], 1.0
	v_fma_f64 v[103:104], v[103:104], v[105:106], v[103:104]
	v_div_scale_f64 v[105:106], vcc, v[99:100], v[97:98], v[99:100]
	v_fma_f64 v[107:108], -v[101:102], v[103:104], 1.0
	v_fma_f64 v[103:104], v[103:104], v[107:108], v[103:104]
	v_mul_f64 v[107:108], v[105:106], v[103:104]
	v_fma_f64 v[101:102], -v[101:102], v[107:108], v[105:106]
	v_div_fmas_f64 v[101:102], v[101:102], v[103:104], v[107:108]
	v_div_fixup_f64 v[103:104], v[101:102], v[97:98], v[99:100]
	v_fma_f64 v[97:98], v[99:100], v[103:104], v[97:98]
	v_div_scale_f64 v[99:100], s[6:7], v[97:98], v[97:98], 1.0
	v_div_scale_f64 v[107:108], vcc, 1.0, v[97:98], 1.0
	v_rcp_f64_e32 v[101:102], v[99:100]
	v_fma_f64 v[105:106], -v[99:100], v[101:102], 1.0
	v_fma_f64 v[101:102], v[101:102], v[105:106], v[101:102]
	v_fma_f64 v[105:106], -v[99:100], v[101:102], 1.0
	v_fma_f64 v[101:102], v[101:102], v[105:106], v[101:102]
	v_mul_f64 v[105:106], v[107:108], v[101:102]
	v_fma_f64 v[99:100], -v[99:100], v[105:106], v[107:108]
	v_div_fmas_f64 v[99:100], v[99:100], v[101:102], v[105:106]
	v_div_fixup_f64 v[101:102], v[99:100], v[97:98], 1.0
	v_mul_f64 v[103:104], v[103:104], -v[101:102]
.LBB117_376:
	s_or_b64 exec, exec, s[2:3]
	ds_write2_b64 v127, v[101:102], v[103:104] offset1:1
.LBB117_377:
	s_or_b64 exec, exec, s[4:5]
	s_waitcnt lgkmcnt(0)
	s_barrier
	ds_read2_b64 v[37:40], v127 offset1:1
	v_cmp_lt_u32_e32 vcc, 41, v0
	s_waitcnt lgkmcnt(0)
	buffer_store_dword v37, off, s[20:23], 0 offset:1680 ; 4-byte Folded Spill
	s_nop 0
	buffer_store_dword v38, off, s[20:23], 0 offset:1684 ; 4-byte Folded Spill
	buffer_store_dword v39, off, s[20:23], 0 offset:1688 ; 4-byte Folded Spill
	;; [unrolled: 1-line block ×3, first 2 shown]
	s_and_saveexec_b64 s[2:3], vcc
	s_cbranch_execz .LBB117_379
; %bb.378:
	buffer_load_dword v37, off, s[20:23], 0 offset:1680 ; 4-byte Folded Reload
	buffer_load_dword v38, off, s[20:23], 0 offset:1684 ; 4-byte Folded Reload
	;; [unrolled: 1-line block ×4, first 2 shown]
	ds_read2_b64 v[99:102], v125 offset0:84 offset1:85
	s_waitcnt vmcnt(0)
	v_mul_f64 v[97:98], v[39:40], v[67:68]
	v_mul_f64 v[67:68], v[37:38], v[67:68]
	v_fma_f64 v[97:98], v[37:38], v[65:66], -v[97:98]
	v_fma_f64 v[67:68], v[39:40], v[65:66], v[67:68]
	s_waitcnt lgkmcnt(0)
	v_mul_f64 v[65:66], v[101:102], v[67:68]
	v_fma_f64 v[65:66], v[99:100], v[97:98], -v[65:66]
	v_mul_f64 v[99:100], v[99:100], v[67:68]
	v_add_f64 v[61:62], v[61:62], -v[65:66]
	v_fma_f64 v[99:100], v[101:102], v[97:98], v[99:100]
	v_add_f64 v[63:64], v[63:64], -v[99:100]
	ds_read2_b64 v[99:102], v125 offset0:86 offset1:87
	s_waitcnt lgkmcnt(0)
	v_mul_f64 v[65:66], v[101:102], v[67:68]
	v_fma_f64 v[65:66], v[99:100], v[97:98], -v[65:66]
	v_mul_f64 v[99:100], v[99:100], v[67:68]
	v_add_f64 v[57:58], v[57:58], -v[65:66]
	v_fma_f64 v[99:100], v[101:102], v[97:98], v[99:100]
	v_add_f64 v[59:60], v[59:60], -v[99:100]
	ds_read2_b64 v[99:102], v125 offset0:88 offset1:89
	;; [unrolled: 8-line block ×6, first 2 shown]
	buffer_load_dword v37, off, s[20:23], 0 offset:32 ; 4-byte Folded Reload
	buffer_load_dword v38, off, s[20:23], 0 offset:36 ; 4-byte Folded Reload
	;; [unrolled: 1-line block ×4, first 2 shown]
	s_waitcnt lgkmcnt(0)
	v_mul_f64 v[65:66], v[101:102], v[67:68]
	v_fma_f64 v[65:66], v[99:100], v[97:98], -v[65:66]
	v_mul_f64 v[99:100], v[99:100], v[67:68]
	v_fma_f64 v[99:100], v[101:102], v[97:98], v[99:100]
	s_waitcnt vmcnt(2)
	v_add_f64 v[37:38], v[37:38], -v[65:66]
	s_waitcnt vmcnt(0)
	v_add_f64 v[39:40], v[39:40], -v[99:100]
	buffer_store_dword v37, off, s[20:23], 0 offset:32 ; 4-byte Folded Spill
	s_nop 0
	buffer_store_dword v38, off, s[20:23], 0 offset:36 ; 4-byte Folded Spill
	buffer_store_dword v39, off, s[20:23], 0 offset:40 ; 4-byte Folded Spill
	;; [unrolled: 1-line block ×3, first 2 shown]
	ds_read2_b64 v[99:102], v125 offset0:98 offset1:99
	buffer_load_dword v33, off, s[20:23], 0 offset:16 ; 4-byte Folded Reload
	buffer_load_dword v34, off, s[20:23], 0 offset:20 ; 4-byte Folded Reload
	;; [unrolled: 1-line block ×4, first 2 shown]
	s_waitcnt lgkmcnt(0)
	v_mul_f64 v[65:66], v[101:102], v[67:68]
	v_fma_f64 v[65:66], v[99:100], v[97:98], -v[65:66]
	v_mul_f64 v[99:100], v[99:100], v[67:68]
	v_fma_f64 v[99:100], v[101:102], v[97:98], v[99:100]
	s_waitcnt vmcnt(2)
	v_add_f64 v[33:34], v[33:34], -v[65:66]
	s_waitcnt vmcnt(0)
	v_add_f64 v[35:36], v[35:36], -v[99:100]
	buffer_store_dword v33, off, s[20:23], 0 offset:16 ; 4-byte Folded Spill
	s_nop 0
	buffer_store_dword v34, off, s[20:23], 0 offset:20 ; 4-byte Folded Spill
	buffer_store_dword v35, off, s[20:23], 0 offset:24 ; 4-byte Folded Spill
	;; [unrolled: 1-line block ×3, first 2 shown]
	ds_read2_b64 v[99:102], v125 offset0:100 offset1:101
	s_waitcnt lgkmcnt(0)
	v_mul_f64 v[65:66], v[101:102], v[67:68]
	v_fma_f64 v[65:66], v[99:100], v[97:98], -v[65:66]
	v_mul_f64 v[99:100], v[99:100], v[67:68]
	v_add_f64 v[29:30], v[29:30], -v[65:66]
	v_fma_f64 v[99:100], v[101:102], v[97:98], v[99:100]
	v_add_f64 v[31:32], v[31:32], -v[99:100]
	ds_read2_b64 v[99:102], v125 offset0:102 offset1:103
	s_waitcnt lgkmcnt(0)
	v_mul_f64 v[65:66], v[101:102], v[67:68]
	v_fma_f64 v[65:66], v[99:100], v[97:98], -v[65:66]
	v_mul_f64 v[99:100], v[99:100], v[67:68]
	v_add_f64 v[25:26], v[25:26], -v[65:66]
	v_fma_f64 v[99:100], v[101:102], v[97:98], v[99:100]
	v_add_f64 v[27:28], v[27:28], -v[99:100]
	;; [unrolled: 8-line block ×8, first 2 shown]
	ds_read2_b64 v[99:102], v125 offset0:116 offset1:117
	buffer_load_dword v37, off, s[20:23], 0 ; 4-byte Folded Reload
	buffer_load_dword v38, off, s[20:23], 0 offset:4 ; 4-byte Folded Reload
	buffer_load_dword v39, off, s[20:23], 0 offset:8 ; 4-byte Folded Reload
	;; [unrolled: 1-line block ×3, first 2 shown]
	s_waitcnt lgkmcnt(0)
	v_mul_f64 v[65:66], v[101:102], v[67:68]
	v_fma_f64 v[65:66], v[99:100], v[97:98], -v[65:66]
	v_mul_f64 v[99:100], v[99:100], v[67:68]
	v_fma_f64 v[99:100], v[101:102], v[97:98], v[99:100]
	s_waitcnt vmcnt(2)
	v_add_f64 v[37:38], v[37:38], -v[65:66]
	v_mov_b32_e32 v65, v97
	s_waitcnt vmcnt(0)
	v_add_f64 v[39:40], v[39:40], -v[99:100]
	v_mov_b32_e32 v66, v98
	buffer_store_dword v37, off, s[20:23], 0 ; 4-byte Folded Spill
	s_nop 0
	buffer_store_dword v38, off, s[20:23], 0 offset:4 ; 4-byte Folded Spill
	buffer_store_dword v39, off, s[20:23], 0 offset:8 ; 4-byte Folded Spill
	;; [unrolled: 1-line block ×3, first 2 shown]
.LBB117_379:
	s_or_b64 exec, exec, s[2:3]
	v_cmp_eq_u32_e32 vcc, 42, v0
	s_waitcnt vmcnt(0)
	s_barrier
	s_and_saveexec_b64 s[4:5], vcc
	s_cbranch_execz .LBB117_386
; %bb.380:
	ds_write2_b64 v127, v[61:62], v[63:64] offset1:1
	ds_write2_b64 v125, v[57:58], v[59:60] offset0:86 offset1:87
	ds_write2_b64 v125, v[53:54], v[55:56] offset0:88 offset1:89
	;; [unrolled: 1-line block ×5, first 2 shown]
	buffer_load_dword v37, off, s[20:23], 0 offset:32 ; 4-byte Folded Reload
	buffer_load_dword v38, off, s[20:23], 0 offset:36 ; 4-byte Folded Reload
	;; [unrolled: 1-line block ×4, first 2 shown]
	s_waitcnt vmcnt(0)
	ds_write2_b64 v125, v[37:38], v[39:40] offset0:96 offset1:97
	buffer_load_dword v33, off, s[20:23], 0 offset:16 ; 4-byte Folded Reload
	buffer_load_dword v34, off, s[20:23], 0 offset:20 ; 4-byte Folded Reload
	;; [unrolled: 1-line block ×4, first 2 shown]
	s_waitcnt vmcnt(0)
	ds_write2_b64 v125, v[33:34], v[35:36] offset0:98 offset1:99
	ds_write2_b64 v125, v[29:30], v[31:32] offset0:100 offset1:101
	;; [unrolled: 1-line block ×9, first 2 shown]
	buffer_load_dword v37, off, s[20:23], 0 ; 4-byte Folded Reload
	buffer_load_dword v38, off, s[20:23], 0 offset:4 ; 4-byte Folded Reload
	buffer_load_dword v39, off, s[20:23], 0 offset:8 ; 4-byte Folded Reload
	;; [unrolled: 1-line block ×3, first 2 shown]
	s_waitcnt vmcnt(0)
	ds_write2_b64 v125, v[37:38], v[39:40] offset0:116 offset1:117
	ds_read2_b64 v[97:100], v127 offset1:1
	s_waitcnt lgkmcnt(0)
	v_cmp_neq_f64_e32 vcc, 0, v[97:98]
	v_cmp_neq_f64_e64 s[2:3], 0, v[99:100]
	s_or_b64 s[2:3], vcc, s[2:3]
	s_and_b64 exec, exec, s[2:3]
	s_cbranch_execz .LBB117_386
; %bb.381:
	v_cmp_ngt_f64_e64 s[2:3], |v[97:98]|, |v[99:100]|
                                        ; implicit-def: $vgpr101_vgpr102
	s_and_saveexec_b64 s[6:7], s[2:3]
	s_xor_b64 s[2:3], exec, s[6:7]
                                        ; implicit-def: $vgpr103_vgpr104
	s_cbranch_execz .LBB117_383
; %bb.382:
	v_div_scale_f64 v[101:102], s[6:7], v[99:100], v[99:100], v[97:98]
	v_rcp_f64_e32 v[103:104], v[101:102]
	v_fma_f64 v[105:106], -v[101:102], v[103:104], 1.0
	v_fma_f64 v[103:104], v[103:104], v[105:106], v[103:104]
	v_div_scale_f64 v[105:106], vcc, v[97:98], v[99:100], v[97:98]
	v_fma_f64 v[107:108], -v[101:102], v[103:104], 1.0
	v_fma_f64 v[103:104], v[103:104], v[107:108], v[103:104]
	v_mul_f64 v[107:108], v[105:106], v[103:104]
	v_fma_f64 v[101:102], -v[101:102], v[107:108], v[105:106]
	v_div_fmas_f64 v[101:102], v[101:102], v[103:104], v[107:108]
	v_div_fixup_f64 v[101:102], v[101:102], v[99:100], v[97:98]
	v_fma_f64 v[97:98], v[97:98], v[101:102], v[99:100]
	v_div_scale_f64 v[99:100], s[6:7], v[97:98], v[97:98], 1.0
	v_div_scale_f64 v[107:108], vcc, 1.0, v[97:98], 1.0
	v_rcp_f64_e32 v[103:104], v[99:100]
	v_fma_f64 v[105:106], -v[99:100], v[103:104], 1.0
	v_fma_f64 v[103:104], v[103:104], v[105:106], v[103:104]
	v_fma_f64 v[105:106], -v[99:100], v[103:104], 1.0
	v_fma_f64 v[103:104], v[103:104], v[105:106], v[103:104]
	v_mul_f64 v[105:106], v[107:108], v[103:104]
	v_fma_f64 v[99:100], -v[99:100], v[105:106], v[107:108]
	v_div_fmas_f64 v[99:100], v[99:100], v[103:104], v[105:106]
	v_div_fixup_f64 v[103:104], v[99:100], v[97:98], 1.0
                                        ; implicit-def: $vgpr97_vgpr98
	v_mul_f64 v[101:102], v[101:102], v[103:104]
	v_xor_b32_e32 v104, 0x80000000, v104
.LBB117_383:
	s_andn2_saveexec_b64 s[2:3], s[2:3]
	s_cbranch_execz .LBB117_385
; %bb.384:
	v_div_scale_f64 v[101:102], s[6:7], v[97:98], v[97:98], v[99:100]
	v_rcp_f64_e32 v[103:104], v[101:102]
	v_fma_f64 v[105:106], -v[101:102], v[103:104], 1.0
	v_fma_f64 v[103:104], v[103:104], v[105:106], v[103:104]
	v_div_scale_f64 v[105:106], vcc, v[99:100], v[97:98], v[99:100]
	v_fma_f64 v[107:108], -v[101:102], v[103:104], 1.0
	v_fma_f64 v[103:104], v[103:104], v[107:108], v[103:104]
	v_mul_f64 v[107:108], v[105:106], v[103:104]
	v_fma_f64 v[101:102], -v[101:102], v[107:108], v[105:106]
	v_div_fmas_f64 v[101:102], v[101:102], v[103:104], v[107:108]
	v_div_fixup_f64 v[103:104], v[101:102], v[97:98], v[99:100]
	v_fma_f64 v[97:98], v[99:100], v[103:104], v[97:98]
	v_div_scale_f64 v[99:100], s[6:7], v[97:98], v[97:98], 1.0
	v_div_scale_f64 v[107:108], vcc, 1.0, v[97:98], 1.0
	v_rcp_f64_e32 v[101:102], v[99:100]
	v_fma_f64 v[105:106], -v[99:100], v[101:102], 1.0
	v_fma_f64 v[101:102], v[101:102], v[105:106], v[101:102]
	v_fma_f64 v[105:106], -v[99:100], v[101:102], 1.0
	v_fma_f64 v[101:102], v[101:102], v[105:106], v[101:102]
	v_mul_f64 v[105:106], v[107:108], v[101:102]
	v_fma_f64 v[99:100], -v[99:100], v[105:106], v[107:108]
	v_div_fmas_f64 v[99:100], v[99:100], v[101:102], v[105:106]
	v_div_fixup_f64 v[101:102], v[99:100], v[97:98], 1.0
	v_mul_f64 v[103:104], v[103:104], -v[101:102]
.LBB117_385:
	s_or_b64 exec, exec, s[2:3]
	ds_write2_b64 v127, v[101:102], v[103:104] offset1:1
.LBB117_386:
	s_or_b64 exec, exec, s[4:5]
	s_waitcnt lgkmcnt(0)
	s_barrier
	ds_read2_b64 v[37:40], v127 offset1:1
	v_cmp_lt_u32_e32 vcc, 42, v0
	s_waitcnt lgkmcnt(0)
	buffer_store_dword v37, off, s[20:23], 0 offset:1696 ; 4-byte Folded Spill
	s_nop 0
	buffer_store_dword v38, off, s[20:23], 0 offset:1700 ; 4-byte Folded Spill
	buffer_store_dword v39, off, s[20:23], 0 offset:1704 ; 4-byte Folded Spill
	;; [unrolled: 1-line block ×3, first 2 shown]
	s_and_saveexec_b64 s[2:3], vcc
	s_cbranch_execz .LBB117_388
; %bb.387:
	buffer_load_dword v37, off, s[20:23], 0 offset:1696 ; 4-byte Folded Reload
	buffer_load_dword v38, off, s[20:23], 0 offset:1700 ; 4-byte Folded Reload
	;; [unrolled: 1-line block ×4, first 2 shown]
	ds_read2_b64 v[99:102], v125 offset0:86 offset1:87
	s_waitcnt vmcnt(2)
	v_mul_f64 v[97:98], v[37:38], v[63:64]
	s_waitcnt vmcnt(0)
	v_mul_f64 v[63:64], v[39:40], v[63:64]
	v_fma_f64 v[97:98], v[39:40], v[61:62], v[97:98]
	v_fma_f64 v[61:62], v[37:38], v[61:62], -v[63:64]
	s_waitcnt lgkmcnt(0)
	v_mul_f64 v[63:64], v[101:102], v[97:98]
	v_fma_f64 v[63:64], v[99:100], v[61:62], -v[63:64]
	v_mul_f64 v[99:100], v[99:100], v[97:98]
	v_add_f64 v[57:58], v[57:58], -v[63:64]
	v_fma_f64 v[99:100], v[101:102], v[61:62], v[99:100]
	v_add_f64 v[59:60], v[59:60], -v[99:100]
	ds_read2_b64 v[99:102], v125 offset0:88 offset1:89
	s_waitcnt lgkmcnt(0)
	v_mul_f64 v[63:64], v[101:102], v[97:98]
	v_fma_f64 v[63:64], v[99:100], v[61:62], -v[63:64]
	v_mul_f64 v[99:100], v[99:100], v[97:98]
	v_add_f64 v[53:54], v[53:54], -v[63:64]
	v_fma_f64 v[99:100], v[101:102], v[61:62], v[99:100]
	v_add_f64 v[55:56], v[55:56], -v[99:100]
	ds_read2_b64 v[99:102], v125 offset0:90 offset1:91
	;; [unrolled: 8-line block ×5, first 2 shown]
	buffer_load_dword v37, off, s[20:23], 0 offset:32 ; 4-byte Folded Reload
	buffer_load_dword v38, off, s[20:23], 0 offset:36 ; 4-byte Folded Reload
	;; [unrolled: 1-line block ×4, first 2 shown]
	s_waitcnt lgkmcnt(0)
	v_mul_f64 v[63:64], v[101:102], v[97:98]
	v_fma_f64 v[63:64], v[99:100], v[61:62], -v[63:64]
	v_mul_f64 v[99:100], v[99:100], v[97:98]
	v_fma_f64 v[99:100], v[101:102], v[61:62], v[99:100]
	s_waitcnt vmcnt(2)
	v_add_f64 v[37:38], v[37:38], -v[63:64]
	s_waitcnt vmcnt(0)
	v_add_f64 v[39:40], v[39:40], -v[99:100]
	buffer_store_dword v37, off, s[20:23], 0 offset:32 ; 4-byte Folded Spill
	s_nop 0
	buffer_store_dword v38, off, s[20:23], 0 offset:36 ; 4-byte Folded Spill
	buffer_store_dword v39, off, s[20:23], 0 offset:40 ; 4-byte Folded Spill
	;; [unrolled: 1-line block ×3, first 2 shown]
	ds_read2_b64 v[99:102], v125 offset0:98 offset1:99
	buffer_load_dword v33, off, s[20:23], 0 offset:16 ; 4-byte Folded Reload
	buffer_load_dword v34, off, s[20:23], 0 offset:20 ; 4-byte Folded Reload
	;; [unrolled: 1-line block ×4, first 2 shown]
	s_waitcnt lgkmcnt(0)
	v_mul_f64 v[63:64], v[101:102], v[97:98]
	v_fma_f64 v[63:64], v[99:100], v[61:62], -v[63:64]
	v_mul_f64 v[99:100], v[99:100], v[97:98]
	v_fma_f64 v[99:100], v[101:102], v[61:62], v[99:100]
	s_waitcnt vmcnt(2)
	v_add_f64 v[33:34], v[33:34], -v[63:64]
	s_waitcnt vmcnt(0)
	v_add_f64 v[35:36], v[35:36], -v[99:100]
	buffer_store_dword v33, off, s[20:23], 0 offset:16 ; 4-byte Folded Spill
	s_nop 0
	buffer_store_dword v34, off, s[20:23], 0 offset:20 ; 4-byte Folded Spill
	buffer_store_dword v35, off, s[20:23], 0 offset:24 ; 4-byte Folded Spill
	;; [unrolled: 1-line block ×3, first 2 shown]
	ds_read2_b64 v[99:102], v125 offset0:100 offset1:101
	s_waitcnt lgkmcnt(0)
	v_mul_f64 v[63:64], v[101:102], v[97:98]
	v_fma_f64 v[63:64], v[99:100], v[61:62], -v[63:64]
	v_mul_f64 v[99:100], v[99:100], v[97:98]
	v_add_f64 v[29:30], v[29:30], -v[63:64]
	v_fma_f64 v[99:100], v[101:102], v[61:62], v[99:100]
	v_add_f64 v[31:32], v[31:32], -v[99:100]
	ds_read2_b64 v[99:102], v125 offset0:102 offset1:103
	s_waitcnt lgkmcnt(0)
	v_mul_f64 v[63:64], v[101:102], v[97:98]
	v_fma_f64 v[63:64], v[99:100], v[61:62], -v[63:64]
	v_mul_f64 v[99:100], v[99:100], v[97:98]
	v_add_f64 v[25:26], v[25:26], -v[63:64]
	v_fma_f64 v[99:100], v[101:102], v[61:62], v[99:100]
	v_add_f64 v[27:28], v[27:28], -v[99:100]
	;; [unrolled: 8-line block ×8, first 2 shown]
	ds_read2_b64 v[99:102], v125 offset0:116 offset1:117
	buffer_load_dword v37, off, s[20:23], 0 ; 4-byte Folded Reload
	buffer_load_dword v38, off, s[20:23], 0 offset:4 ; 4-byte Folded Reload
	buffer_load_dword v39, off, s[20:23], 0 offset:8 ; 4-byte Folded Reload
	;; [unrolled: 1-line block ×3, first 2 shown]
	s_waitcnt lgkmcnt(0)
	v_mul_f64 v[63:64], v[101:102], v[97:98]
	v_fma_f64 v[63:64], v[99:100], v[61:62], -v[63:64]
	v_mul_f64 v[99:100], v[99:100], v[97:98]
	v_fma_f64 v[99:100], v[101:102], v[61:62], v[99:100]
	s_waitcnt vmcnt(2)
	v_add_f64 v[37:38], v[37:38], -v[63:64]
	v_mov_b32_e32 v63, v97
	s_waitcnt vmcnt(0)
	v_add_f64 v[39:40], v[39:40], -v[99:100]
	v_mov_b32_e32 v64, v98
	buffer_store_dword v37, off, s[20:23], 0 ; 4-byte Folded Spill
	s_nop 0
	buffer_store_dword v38, off, s[20:23], 0 offset:4 ; 4-byte Folded Spill
	buffer_store_dword v39, off, s[20:23], 0 offset:8 ; 4-byte Folded Spill
	;; [unrolled: 1-line block ×3, first 2 shown]
.LBB117_388:
	s_or_b64 exec, exec, s[2:3]
	v_cmp_eq_u32_e32 vcc, 43, v0
	s_waitcnt vmcnt(0)
	s_barrier
	s_and_saveexec_b64 s[4:5], vcc
	s_cbranch_execz .LBB117_395
; %bb.389:
	ds_write2_b64 v127, v[57:58], v[59:60] offset1:1
	ds_write2_b64 v125, v[53:54], v[55:56] offset0:88 offset1:89
	ds_write2_b64 v125, v[49:50], v[51:52] offset0:90 offset1:91
	;; [unrolled: 1-line block ×4, first 2 shown]
	buffer_load_dword v37, off, s[20:23], 0 offset:32 ; 4-byte Folded Reload
	buffer_load_dword v38, off, s[20:23], 0 offset:36 ; 4-byte Folded Reload
	;; [unrolled: 1-line block ×4, first 2 shown]
	s_waitcnt vmcnt(0)
	ds_write2_b64 v125, v[37:38], v[39:40] offset0:96 offset1:97
	buffer_load_dword v33, off, s[20:23], 0 offset:16 ; 4-byte Folded Reload
	buffer_load_dword v34, off, s[20:23], 0 offset:20 ; 4-byte Folded Reload
	;; [unrolled: 1-line block ×4, first 2 shown]
	s_waitcnt vmcnt(0)
	ds_write2_b64 v125, v[33:34], v[35:36] offset0:98 offset1:99
	ds_write2_b64 v125, v[29:30], v[31:32] offset0:100 offset1:101
	;; [unrolled: 1-line block ×9, first 2 shown]
	buffer_load_dword v37, off, s[20:23], 0 ; 4-byte Folded Reload
	buffer_load_dword v38, off, s[20:23], 0 offset:4 ; 4-byte Folded Reload
	buffer_load_dword v39, off, s[20:23], 0 offset:8 ; 4-byte Folded Reload
	buffer_load_dword v40, off, s[20:23], 0 offset:12 ; 4-byte Folded Reload
	s_waitcnt vmcnt(0)
	ds_write2_b64 v125, v[37:38], v[39:40] offset0:116 offset1:117
	ds_read2_b64 v[97:100], v127 offset1:1
	s_waitcnt lgkmcnt(0)
	v_cmp_neq_f64_e32 vcc, 0, v[97:98]
	v_cmp_neq_f64_e64 s[2:3], 0, v[99:100]
	s_or_b64 s[2:3], vcc, s[2:3]
	s_and_b64 exec, exec, s[2:3]
	s_cbranch_execz .LBB117_395
; %bb.390:
	v_cmp_ngt_f64_e64 s[2:3], |v[97:98]|, |v[99:100]|
                                        ; implicit-def: $vgpr101_vgpr102
	s_and_saveexec_b64 s[6:7], s[2:3]
	s_xor_b64 s[2:3], exec, s[6:7]
                                        ; implicit-def: $vgpr103_vgpr104
	s_cbranch_execz .LBB117_392
; %bb.391:
	v_div_scale_f64 v[101:102], s[6:7], v[99:100], v[99:100], v[97:98]
	v_rcp_f64_e32 v[103:104], v[101:102]
	v_fma_f64 v[105:106], -v[101:102], v[103:104], 1.0
	v_fma_f64 v[103:104], v[103:104], v[105:106], v[103:104]
	v_div_scale_f64 v[105:106], vcc, v[97:98], v[99:100], v[97:98]
	v_fma_f64 v[107:108], -v[101:102], v[103:104], 1.0
	v_fma_f64 v[103:104], v[103:104], v[107:108], v[103:104]
	v_mul_f64 v[107:108], v[105:106], v[103:104]
	v_fma_f64 v[101:102], -v[101:102], v[107:108], v[105:106]
	v_div_fmas_f64 v[101:102], v[101:102], v[103:104], v[107:108]
	v_div_fixup_f64 v[101:102], v[101:102], v[99:100], v[97:98]
	v_fma_f64 v[97:98], v[97:98], v[101:102], v[99:100]
	v_div_scale_f64 v[99:100], s[6:7], v[97:98], v[97:98], 1.0
	v_div_scale_f64 v[107:108], vcc, 1.0, v[97:98], 1.0
	v_rcp_f64_e32 v[103:104], v[99:100]
	v_fma_f64 v[105:106], -v[99:100], v[103:104], 1.0
	v_fma_f64 v[103:104], v[103:104], v[105:106], v[103:104]
	v_fma_f64 v[105:106], -v[99:100], v[103:104], 1.0
	v_fma_f64 v[103:104], v[103:104], v[105:106], v[103:104]
	v_mul_f64 v[105:106], v[107:108], v[103:104]
	v_fma_f64 v[99:100], -v[99:100], v[105:106], v[107:108]
	v_div_fmas_f64 v[99:100], v[99:100], v[103:104], v[105:106]
	v_div_fixup_f64 v[103:104], v[99:100], v[97:98], 1.0
                                        ; implicit-def: $vgpr97_vgpr98
	v_mul_f64 v[101:102], v[101:102], v[103:104]
	v_xor_b32_e32 v104, 0x80000000, v104
.LBB117_392:
	s_andn2_saveexec_b64 s[2:3], s[2:3]
	s_cbranch_execz .LBB117_394
; %bb.393:
	v_div_scale_f64 v[101:102], s[6:7], v[97:98], v[97:98], v[99:100]
	v_rcp_f64_e32 v[103:104], v[101:102]
	v_fma_f64 v[105:106], -v[101:102], v[103:104], 1.0
	v_fma_f64 v[103:104], v[103:104], v[105:106], v[103:104]
	v_div_scale_f64 v[105:106], vcc, v[99:100], v[97:98], v[99:100]
	v_fma_f64 v[107:108], -v[101:102], v[103:104], 1.0
	v_fma_f64 v[103:104], v[103:104], v[107:108], v[103:104]
	v_mul_f64 v[107:108], v[105:106], v[103:104]
	v_fma_f64 v[101:102], -v[101:102], v[107:108], v[105:106]
	v_div_fmas_f64 v[101:102], v[101:102], v[103:104], v[107:108]
	v_div_fixup_f64 v[103:104], v[101:102], v[97:98], v[99:100]
	v_fma_f64 v[97:98], v[99:100], v[103:104], v[97:98]
	v_div_scale_f64 v[99:100], s[6:7], v[97:98], v[97:98], 1.0
	v_div_scale_f64 v[107:108], vcc, 1.0, v[97:98], 1.0
	v_rcp_f64_e32 v[101:102], v[99:100]
	v_fma_f64 v[105:106], -v[99:100], v[101:102], 1.0
	v_fma_f64 v[101:102], v[101:102], v[105:106], v[101:102]
	v_fma_f64 v[105:106], -v[99:100], v[101:102], 1.0
	v_fma_f64 v[101:102], v[101:102], v[105:106], v[101:102]
	v_mul_f64 v[105:106], v[107:108], v[101:102]
	v_fma_f64 v[99:100], -v[99:100], v[105:106], v[107:108]
	v_div_fmas_f64 v[99:100], v[99:100], v[101:102], v[105:106]
	v_div_fixup_f64 v[101:102], v[99:100], v[97:98], 1.0
	v_mul_f64 v[103:104], v[103:104], -v[101:102]
.LBB117_394:
	s_or_b64 exec, exec, s[2:3]
	ds_write2_b64 v127, v[101:102], v[103:104] offset1:1
.LBB117_395:
	s_or_b64 exec, exec, s[4:5]
	s_waitcnt lgkmcnt(0)
	s_barrier
	ds_read2_b64 v[37:40], v127 offset1:1
	v_cmp_lt_u32_e32 vcc, 43, v0
	s_waitcnt lgkmcnt(0)
	buffer_store_dword v37, off, s[20:23], 0 offset:1712 ; 4-byte Folded Spill
	s_nop 0
	buffer_store_dword v38, off, s[20:23], 0 offset:1716 ; 4-byte Folded Spill
	buffer_store_dword v39, off, s[20:23], 0 offset:1720 ; 4-byte Folded Spill
	;; [unrolled: 1-line block ×3, first 2 shown]
	s_and_saveexec_b64 s[2:3], vcc
	s_cbranch_execz .LBB117_397
; %bb.396:
	buffer_load_dword v37, off, s[20:23], 0 offset:1712 ; 4-byte Folded Reload
	buffer_load_dword v38, off, s[20:23], 0 offset:1716 ; 4-byte Folded Reload
	;; [unrolled: 1-line block ×4, first 2 shown]
	ds_read2_b64 v[99:102], v125 offset0:88 offset1:89
	s_waitcnt vmcnt(2)
	v_mul_f64 v[97:98], v[37:38], v[59:60]
	s_waitcnt vmcnt(0)
	v_mul_f64 v[59:60], v[39:40], v[59:60]
	v_fma_f64 v[97:98], v[39:40], v[57:58], v[97:98]
	v_fma_f64 v[57:58], v[37:38], v[57:58], -v[59:60]
	s_waitcnt lgkmcnt(0)
	v_mul_f64 v[59:60], v[101:102], v[97:98]
	v_fma_f64 v[59:60], v[99:100], v[57:58], -v[59:60]
	v_mul_f64 v[99:100], v[99:100], v[97:98]
	v_add_f64 v[53:54], v[53:54], -v[59:60]
	v_fma_f64 v[99:100], v[101:102], v[57:58], v[99:100]
	v_add_f64 v[55:56], v[55:56], -v[99:100]
	ds_read2_b64 v[99:102], v125 offset0:90 offset1:91
	s_waitcnt lgkmcnt(0)
	v_mul_f64 v[59:60], v[101:102], v[97:98]
	v_fma_f64 v[59:60], v[99:100], v[57:58], -v[59:60]
	v_mul_f64 v[99:100], v[99:100], v[97:98]
	v_add_f64 v[49:50], v[49:50], -v[59:60]
	v_fma_f64 v[99:100], v[101:102], v[57:58], v[99:100]
	v_add_f64 v[51:52], v[51:52], -v[99:100]
	ds_read2_b64 v[99:102], v125 offset0:92 offset1:93
	;; [unrolled: 8-line block ×4, first 2 shown]
	buffer_load_dword v37, off, s[20:23], 0 offset:32 ; 4-byte Folded Reload
	buffer_load_dword v38, off, s[20:23], 0 offset:36 ; 4-byte Folded Reload
	;; [unrolled: 1-line block ×4, first 2 shown]
	s_waitcnt lgkmcnt(0)
	v_mul_f64 v[59:60], v[101:102], v[97:98]
	v_fma_f64 v[59:60], v[99:100], v[57:58], -v[59:60]
	v_mul_f64 v[99:100], v[99:100], v[97:98]
	v_fma_f64 v[99:100], v[101:102], v[57:58], v[99:100]
	s_waitcnt vmcnt(2)
	v_add_f64 v[37:38], v[37:38], -v[59:60]
	s_waitcnt vmcnt(0)
	v_add_f64 v[39:40], v[39:40], -v[99:100]
	buffer_store_dword v37, off, s[20:23], 0 offset:32 ; 4-byte Folded Spill
	s_nop 0
	buffer_store_dword v38, off, s[20:23], 0 offset:36 ; 4-byte Folded Spill
	buffer_store_dword v39, off, s[20:23], 0 offset:40 ; 4-byte Folded Spill
	;; [unrolled: 1-line block ×3, first 2 shown]
	ds_read2_b64 v[99:102], v125 offset0:98 offset1:99
	buffer_load_dword v33, off, s[20:23], 0 offset:16 ; 4-byte Folded Reload
	buffer_load_dword v34, off, s[20:23], 0 offset:20 ; 4-byte Folded Reload
	;; [unrolled: 1-line block ×4, first 2 shown]
	s_waitcnt lgkmcnt(0)
	v_mul_f64 v[59:60], v[101:102], v[97:98]
	v_fma_f64 v[59:60], v[99:100], v[57:58], -v[59:60]
	v_mul_f64 v[99:100], v[99:100], v[97:98]
	v_fma_f64 v[99:100], v[101:102], v[57:58], v[99:100]
	s_waitcnt vmcnt(2)
	v_add_f64 v[33:34], v[33:34], -v[59:60]
	s_waitcnt vmcnt(0)
	v_add_f64 v[35:36], v[35:36], -v[99:100]
	buffer_store_dword v33, off, s[20:23], 0 offset:16 ; 4-byte Folded Spill
	s_nop 0
	buffer_store_dword v34, off, s[20:23], 0 offset:20 ; 4-byte Folded Spill
	buffer_store_dword v35, off, s[20:23], 0 offset:24 ; 4-byte Folded Spill
	;; [unrolled: 1-line block ×3, first 2 shown]
	ds_read2_b64 v[99:102], v125 offset0:100 offset1:101
	s_waitcnt lgkmcnt(0)
	v_mul_f64 v[59:60], v[101:102], v[97:98]
	v_fma_f64 v[59:60], v[99:100], v[57:58], -v[59:60]
	v_mul_f64 v[99:100], v[99:100], v[97:98]
	v_add_f64 v[29:30], v[29:30], -v[59:60]
	v_fma_f64 v[99:100], v[101:102], v[57:58], v[99:100]
	v_add_f64 v[31:32], v[31:32], -v[99:100]
	ds_read2_b64 v[99:102], v125 offset0:102 offset1:103
	s_waitcnt lgkmcnt(0)
	v_mul_f64 v[59:60], v[101:102], v[97:98]
	v_fma_f64 v[59:60], v[99:100], v[57:58], -v[59:60]
	v_mul_f64 v[99:100], v[99:100], v[97:98]
	v_add_f64 v[25:26], v[25:26], -v[59:60]
	v_fma_f64 v[99:100], v[101:102], v[57:58], v[99:100]
	v_add_f64 v[27:28], v[27:28], -v[99:100]
	;; [unrolled: 8-line block ×8, first 2 shown]
	ds_read2_b64 v[99:102], v125 offset0:116 offset1:117
	buffer_load_dword v37, off, s[20:23], 0 ; 4-byte Folded Reload
	buffer_load_dword v38, off, s[20:23], 0 offset:4 ; 4-byte Folded Reload
	buffer_load_dword v39, off, s[20:23], 0 offset:8 ; 4-byte Folded Reload
	;; [unrolled: 1-line block ×3, first 2 shown]
	s_waitcnt lgkmcnt(0)
	v_mul_f64 v[59:60], v[101:102], v[97:98]
	v_fma_f64 v[59:60], v[99:100], v[57:58], -v[59:60]
	v_mul_f64 v[99:100], v[99:100], v[97:98]
	v_fma_f64 v[99:100], v[101:102], v[57:58], v[99:100]
	s_waitcnt vmcnt(2)
	v_add_f64 v[37:38], v[37:38], -v[59:60]
	v_mov_b32_e32 v59, v97
	s_waitcnt vmcnt(0)
	v_add_f64 v[39:40], v[39:40], -v[99:100]
	v_mov_b32_e32 v60, v98
	buffer_store_dword v37, off, s[20:23], 0 ; 4-byte Folded Spill
	s_nop 0
	buffer_store_dword v38, off, s[20:23], 0 offset:4 ; 4-byte Folded Spill
	buffer_store_dword v39, off, s[20:23], 0 offset:8 ; 4-byte Folded Spill
	;; [unrolled: 1-line block ×3, first 2 shown]
.LBB117_397:
	s_or_b64 exec, exec, s[2:3]
	v_cmp_eq_u32_e32 vcc, 44, v0
	s_waitcnt vmcnt(0)
	s_barrier
	s_and_saveexec_b64 s[4:5], vcc
	s_cbranch_execz .LBB117_404
; %bb.398:
	ds_write2_b64 v127, v[53:54], v[55:56] offset1:1
	ds_write2_b64 v125, v[49:50], v[51:52] offset0:90 offset1:91
	ds_write2_b64 v125, v[45:46], v[47:48] offset0:92 offset1:93
	;; [unrolled: 1-line block ×3, first 2 shown]
	buffer_load_dword v37, off, s[20:23], 0 offset:32 ; 4-byte Folded Reload
	buffer_load_dword v38, off, s[20:23], 0 offset:36 ; 4-byte Folded Reload
	buffer_load_dword v39, off, s[20:23], 0 offset:40 ; 4-byte Folded Reload
	buffer_load_dword v40, off, s[20:23], 0 offset:44 ; 4-byte Folded Reload
	s_waitcnt vmcnt(0)
	ds_write2_b64 v125, v[37:38], v[39:40] offset0:96 offset1:97
	buffer_load_dword v33, off, s[20:23], 0 offset:16 ; 4-byte Folded Reload
	buffer_load_dword v34, off, s[20:23], 0 offset:20 ; 4-byte Folded Reload
	;; [unrolled: 1-line block ×4, first 2 shown]
	s_waitcnt vmcnt(0)
	ds_write2_b64 v125, v[33:34], v[35:36] offset0:98 offset1:99
	ds_write2_b64 v125, v[29:30], v[31:32] offset0:100 offset1:101
	;; [unrolled: 1-line block ×9, first 2 shown]
	buffer_load_dword v37, off, s[20:23], 0 ; 4-byte Folded Reload
	buffer_load_dword v38, off, s[20:23], 0 offset:4 ; 4-byte Folded Reload
	buffer_load_dword v39, off, s[20:23], 0 offset:8 ; 4-byte Folded Reload
	;; [unrolled: 1-line block ×3, first 2 shown]
	s_waitcnt vmcnt(0)
	ds_write2_b64 v125, v[37:38], v[39:40] offset0:116 offset1:117
	ds_read2_b64 v[97:100], v127 offset1:1
	s_waitcnt lgkmcnt(0)
	v_cmp_neq_f64_e32 vcc, 0, v[97:98]
	v_cmp_neq_f64_e64 s[2:3], 0, v[99:100]
	s_or_b64 s[2:3], vcc, s[2:3]
	s_and_b64 exec, exec, s[2:3]
	s_cbranch_execz .LBB117_404
; %bb.399:
	v_cmp_ngt_f64_e64 s[2:3], |v[97:98]|, |v[99:100]|
                                        ; implicit-def: $vgpr101_vgpr102
	s_and_saveexec_b64 s[6:7], s[2:3]
	s_xor_b64 s[2:3], exec, s[6:7]
                                        ; implicit-def: $vgpr103_vgpr104
	s_cbranch_execz .LBB117_401
; %bb.400:
	v_div_scale_f64 v[101:102], s[6:7], v[99:100], v[99:100], v[97:98]
	v_rcp_f64_e32 v[103:104], v[101:102]
	v_fma_f64 v[105:106], -v[101:102], v[103:104], 1.0
	v_fma_f64 v[103:104], v[103:104], v[105:106], v[103:104]
	v_div_scale_f64 v[105:106], vcc, v[97:98], v[99:100], v[97:98]
	v_fma_f64 v[107:108], -v[101:102], v[103:104], 1.0
	v_fma_f64 v[103:104], v[103:104], v[107:108], v[103:104]
	v_mul_f64 v[107:108], v[105:106], v[103:104]
	v_fma_f64 v[101:102], -v[101:102], v[107:108], v[105:106]
	v_div_fmas_f64 v[101:102], v[101:102], v[103:104], v[107:108]
	v_div_fixup_f64 v[101:102], v[101:102], v[99:100], v[97:98]
	v_fma_f64 v[97:98], v[97:98], v[101:102], v[99:100]
	v_div_scale_f64 v[99:100], s[6:7], v[97:98], v[97:98], 1.0
	v_div_scale_f64 v[107:108], vcc, 1.0, v[97:98], 1.0
	v_rcp_f64_e32 v[103:104], v[99:100]
	v_fma_f64 v[105:106], -v[99:100], v[103:104], 1.0
	v_fma_f64 v[103:104], v[103:104], v[105:106], v[103:104]
	v_fma_f64 v[105:106], -v[99:100], v[103:104], 1.0
	v_fma_f64 v[103:104], v[103:104], v[105:106], v[103:104]
	v_mul_f64 v[105:106], v[107:108], v[103:104]
	v_fma_f64 v[99:100], -v[99:100], v[105:106], v[107:108]
	v_div_fmas_f64 v[99:100], v[99:100], v[103:104], v[105:106]
	v_div_fixup_f64 v[103:104], v[99:100], v[97:98], 1.0
                                        ; implicit-def: $vgpr97_vgpr98
	v_mul_f64 v[101:102], v[101:102], v[103:104]
	v_xor_b32_e32 v104, 0x80000000, v104
.LBB117_401:
	s_andn2_saveexec_b64 s[2:3], s[2:3]
	s_cbranch_execz .LBB117_403
; %bb.402:
	v_div_scale_f64 v[101:102], s[6:7], v[97:98], v[97:98], v[99:100]
	v_rcp_f64_e32 v[103:104], v[101:102]
	v_fma_f64 v[105:106], -v[101:102], v[103:104], 1.0
	v_fma_f64 v[103:104], v[103:104], v[105:106], v[103:104]
	v_div_scale_f64 v[105:106], vcc, v[99:100], v[97:98], v[99:100]
	v_fma_f64 v[107:108], -v[101:102], v[103:104], 1.0
	v_fma_f64 v[103:104], v[103:104], v[107:108], v[103:104]
	v_mul_f64 v[107:108], v[105:106], v[103:104]
	v_fma_f64 v[101:102], -v[101:102], v[107:108], v[105:106]
	v_div_fmas_f64 v[101:102], v[101:102], v[103:104], v[107:108]
	v_div_fixup_f64 v[103:104], v[101:102], v[97:98], v[99:100]
	v_fma_f64 v[97:98], v[99:100], v[103:104], v[97:98]
	v_div_scale_f64 v[99:100], s[6:7], v[97:98], v[97:98], 1.0
	v_div_scale_f64 v[107:108], vcc, 1.0, v[97:98], 1.0
	v_rcp_f64_e32 v[101:102], v[99:100]
	v_fma_f64 v[105:106], -v[99:100], v[101:102], 1.0
	v_fma_f64 v[101:102], v[101:102], v[105:106], v[101:102]
	v_fma_f64 v[105:106], -v[99:100], v[101:102], 1.0
	v_fma_f64 v[101:102], v[101:102], v[105:106], v[101:102]
	v_mul_f64 v[105:106], v[107:108], v[101:102]
	v_fma_f64 v[99:100], -v[99:100], v[105:106], v[107:108]
	v_div_fmas_f64 v[99:100], v[99:100], v[101:102], v[105:106]
	v_div_fixup_f64 v[101:102], v[99:100], v[97:98], 1.0
	v_mul_f64 v[103:104], v[103:104], -v[101:102]
.LBB117_403:
	s_or_b64 exec, exec, s[2:3]
	ds_write2_b64 v127, v[101:102], v[103:104] offset1:1
.LBB117_404:
	s_or_b64 exec, exec, s[4:5]
	s_waitcnt lgkmcnt(0)
	s_barrier
	ds_read2_b64 v[37:40], v127 offset1:1
	v_cmp_lt_u32_e32 vcc, 44, v0
	s_waitcnt lgkmcnt(0)
	buffer_store_dword v37, off, s[20:23], 0 offset:1728 ; 4-byte Folded Spill
	s_nop 0
	buffer_store_dword v38, off, s[20:23], 0 offset:1732 ; 4-byte Folded Spill
	buffer_store_dword v39, off, s[20:23], 0 offset:1736 ; 4-byte Folded Spill
	;; [unrolled: 1-line block ×3, first 2 shown]
	s_and_saveexec_b64 s[2:3], vcc
	s_cbranch_execz .LBB117_406
; %bb.405:
	buffer_load_dword v37, off, s[20:23], 0 offset:1728 ; 4-byte Folded Reload
	buffer_load_dword v38, off, s[20:23], 0 offset:1732 ; 4-byte Folded Reload
	;; [unrolled: 1-line block ×4, first 2 shown]
	ds_read2_b64 v[99:102], v125 offset0:90 offset1:91
	s_waitcnt vmcnt(2)
	v_mul_f64 v[97:98], v[37:38], v[55:56]
	s_waitcnt vmcnt(0)
	v_mul_f64 v[55:56], v[39:40], v[55:56]
	v_fma_f64 v[97:98], v[39:40], v[53:54], v[97:98]
	v_fma_f64 v[53:54], v[37:38], v[53:54], -v[55:56]
	s_waitcnt lgkmcnt(0)
	v_mul_f64 v[55:56], v[101:102], v[97:98]
	v_fma_f64 v[55:56], v[99:100], v[53:54], -v[55:56]
	v_mul_f64 v[99:100], v[99:100], v[97:98]
	v_add_f64 v[49:50], v[49:50], -v[55:56]
	v_fma_f64 v[99:100], v[101:102], v[53:54], v[99:100]
	v_add_f64 v[51:52], v[51:52], -v[99:100]
	ds_read2_b64 v[99:102], v125 offset0:92 offset1:93
	s_waitcnt lgkmcnt(0)
	v_mul_f64 v[55:56], v[101:102], v[97:98]
	v_fma_f64 v[55:56], v[99:100], v[53:54], -v[55:56]
	v_mul_f64 v[99:100], v[99:100], v[97:98]
	v_add_f64 v[45:46], v[45:46], -v[55:56]
	v_fma_f64 v[99:100], v[101:102], v[53:54], v[99:100]
	v_add_f64 v[47:48], v[47:48], -v[99:100]
	ds_read2_b64 v[99:102], v125 offset0:94 offset1:95
	s_waitcnt lgkmcnt(0)
	v_mul_f64 v[55:56], v[101:102], v[97:98]
	v_fma_f64 v[55:56], v[99:100], v[53:54], -v[55:56]
	v_mul_f64 v[99:100], v[99:100], v[97:98]
	v_add_f64 v[41:42], v[41:42], -v[55:56]
	v_fma_f64 v[99:100], v[101:102], v[53:54], v[99:100]
	v_add_f64 v[43:44], v[43:44], -v[99:100]
	ds_read2_b64 v[99:102], v125 offset0:96 offset1:97
	buffer_load_dword v37, off, s[20:23], 0 offset:32 ; 4-byte Folded Reload
	buffer_load_dword v38, off, s[20:23], 0 offset:36 ; 4-byte Folded Reload
	;; [unrolled: 1-line block ×4, first 2 shown]
	s_waitcnt lgkmcnt(0)
	v_mul_f64 v[55:56], v[101:102], v[97:98]
	v_fma_f64 v[55:56], v[99:100], v[53:54], -v[55:56]
	v_mul_f64 v[99:100], v[99:100], v[97:98]
	v_fma_f64 v[99:100], v[101:102], v[53:54], v[99:100]
	s_waitcnt vmcnt(2)
	v_add_f64 v[37:38], v[37:38], -v[55:56]
	s_waitcnt vmcnt(0)
	v_add_f64 v[39:40], v[39:40], -v[99:100]
	buffer_store_dword v37, off, s[20:23], 0 offset:32 ; 4-byte Folded Spill
	s_nop 0
	buffer_store_dword v38, off, s[20:23], 0 offset:36 ; 4-byte Folded Spill
	buffer_store_dword v39, off, s[20:23], 0 offset:40 ; 4-byte Folded Spill
	buffer_store_dword v40, off, s[20:23], 0 offset:44 ; 4-byte Folded Spill
	ds_read2_b64 v[99:102], v125 offset0:98 offset1:99
	buffer_load_dword v33, off, s[20:23], 0 offset:16 ; 4-byte Folded Reload
	buffer_load_dword v34, off, s[20:23], 0 offset:20 ; 4-byte Folded Reload
	;; [unrolled: 1-line block ×4, first 2 shown]
	s_waitcnt lgkmcnt(0)
	v_mul_f64 v[55:56], v[101:102], v[97:98]
	v_fma_f64 v[55:56], v[99:100], v[53:54], -v[55:56]
	v_mul_f64 v[99:100], v[99:100], v[97:98]
	v_fma_f64 v[99:100], v[101:102], v[53:54], v[99:100]
	s_waitcnt vmcnt(2)
	v_add_f64 v[33:34], v[33:34], -v[55:56]
	s_waitcnt vmcnt(0)
	v_add_f64 v[35:36], v[35:36], -v[99:100]
	buffer_store_dword v33, off, s[20:23], 0 offset:16 ; 4-byte Folded Spill
	s_nop 0
	buffer_store_dword v34, off, s[20:23], 0 offset:20 ; 4-byte Folded Spill
	buffer_store_dword v35, off, s[20:23], 0 offset:24 ; 4-byte Folded Spill
	;; [unrolled: 1-line block ×3, first 2 shown]
	ds_read2_b64 v[99:102], v125 offset0:100 offset1:101
	s_waitcnt lgkmcnt(0)
	v_mul_f64 v[55:56], v[101:102], v[97:98]
	v_fma_f64 v[55:56], v[99:100], v[53:54], -v[55:56]
	v_mul_f64 v[99:100], v[99:100], v[97:98]
	v_add_f64 v[29:30], v[29:30], -v[55:56]
	v_fma_f64 v[99:100], v[101:102], v[53:54], v[99:100]
	v_add_f64 v[31:32], v[31:32], -v[99:100]
	ds_read2_b64 v[99:102], v125 offset0:102 offset1:103
	s_waitcnt lgkmcnt(0)
	v_mul_f64 v[55:56], v[101:102], v[97:98]
	v_fma_f64 v[55:56], v[99:100], v[53:54], -v[55:56]
	v_mul_f64 v[99:100], v[99:100], v[97:98]
	v_add_f64 v[25:26], v[25:26], -v[55:56]
	v_fma_f64 v[99:100], v[101:102], v[53:54], v[99:100]
	v_add_f64 v[27:28], v[27:28], -v[99:100]
	ds_read2_b64 v[99:102], v125 offset0:104 offset1:105
	s_waitcnt lgkmcnt(0)
	v_mul_f64 v[55:56], v[101:102], v[97:98]
	v_fma_f64 v[55:56], v[99:100], v[53:54], -v[55:56]
	v_mul_f64 v[99:100], v[99:100], v[97:98]
	v_add_f64 v[21:22], v[21:22], -v[55:56]
	v_fma_f64 v[99:100], v[101:102], v[53:54], v[99:100]
	v_add_f64 v[23:24], v[23:24], -v[99:100]
	ds_read2_b64 v[99:102], v125 offset0:106 offset1:107
	s_waitcnt lgkmcnt(0)
	v_mul_f64 v[55:56], v[101:102], v[97:98]
	v_fma_f64 v[55:56], v[99:100], v[53:54], -v[55:56]
	v_mul_f64 v[99:100], v[99:100], v[97:98]
	v_add_f64 v[17:18], v[17:18], -v[55:56]
	v_fma_f64 v[99:100], v[101:102], v[53:54], v[99:100]
	v_add_f64 v[19:20], v[19:20], -v[99:100]
	ds_read2_b64 v[99:102], v125 offset0:108 offset1:109
	s_waitcnt lgkmcnt(0)
	v_mul_f64 v[55:56], v[101:102], v[97:98]
	v_fma_f64 v[55:56], v[99:100], v[53:54], -v[55:56]
	v_mul_f64 v[99:100], v[99:100], v[97:98]
	v_add_f64 v[13:14], v[13:14], -v[55:56]
	v_fma_f64 v[99:100], v[101:102], v[53:54], v[99:100]
	v_add_f64 v[15:16], v[15:16], -v[99:100]
	ds_read2_b64 v[99:102], v125 offset0:110 offset1:111
	s_waitcnt lgkmcnt(0)
	v_mul_f64 v[55:56], v[101:102], v[97:98]
	v_fma_f64 v[55:56], v[99:100], v[53:54], -v[55:56]
	v_mul_f64 v[99:100], v[99:100], v[97:98]
	v_add_f64 v[9:10], v[9:10], -v[55:56]
	v_fma_f64 v[99:100], v[101:102], v[53:54], v[99:100]
	v_add_f64 v[11:12], v[11:12], -v[99:100]
	ds_read2_b64 v[99:102], v125 offset0:112 offset1:113
	s_waitcnt lgkmcnt(0)
	v_mul_f64 v[55:56], v[101:102], v[97:98]
	v_fma_f64 v[55:56], v[99:100], v[53:54], -v[55:56]
	v_mul_f64 v[99:100], v[99:100], v[97:98]
	v_add_f64 v[5:6], v[5:6], -v[55:56]
	v_fma_f64 v[99:100], v[101:102], v[53:54], v[99:100]
	v_add_f64 v[7:8], v[7:8], -v[99:100]
	ds_read2_b64 v[99:102], v125 offset0:114 offset1:115
	s_waitcnt lgkmcnt(0)
	v_mul_f64 v[55:56], v[101:102], v[97:98]
	v_fma_f64 v[55:56], v[99:100], v[53:54], -v[55:56]
	v_mul_f64 v[99:100], v[99:100], v[97:98]
	v_add_f64 v[1:2], v[1:2], -v[55:56]
	v_fma_f64 v[99:100], v[101:102], v[53:54], v[99:100]
	v_add_f64 v[3:4], v[3:4], -v[99:100]
	ds_read2_b64 v[99:102], v125 offset0:116 offset1:117
	buffer_load_dword v37, off, s[20:23], 0 ; 4-byte Folded Reload
	buffer_load_dword v38, off, s[20:23], 0 offset:4 ; 4-byte Folded Reload
	buffer_load_dword v39, off, s[20:23], 0 offset:8 ; 4-byte Folded Reload
	;; [unrolled: 1-line block ×3, first 2 shown]
	s_waitcnt lgkmcnt(0)
	v_mul_f64 v[55:56], v[101:102], v[97:98]
	v_fma_f64 v[55:56], v[99:100], v[53:54], -v[55:56]
	v_mul_f64 v[99:100], v[99:100], v[97:98]
	v_fma_f64 v[99:100], v[101:102], v[53:54], v[99:100]
	s_waitcnt vmcnt(2)
	v_add_f64 v[37:38], v[37:38], -v[55:56]
	v_mov_b32_e32 v55, v97
	s_waitcnt vmcnt(0)
	v_add_f64 v[39:40], v[39:40], -v[99:100]
	v_mov_b32_e32 v56, v98
	buffer_store_dword v37, off, s[20:23], 0 ; 4-byte Folded Spill
	s_nop 0
	buffer_store_dword v38, off, s[20:23], 0 offset:4 ; 4-byte Folded Spill
	buffer_store_dword v39, off, s[20:23], 0 offset:8 ; 4-byte Folded Spill
	;; [unrolled: 1-line block ×3, first 2 shown]
.LBB117_406:
	s_or_b64 exec, exec, s[2:3]
	v_cmp_eq_u32_e32 vcc, 45, v0
	s_waitcnt vmcnt(0)
	s_barrier
	s_and_saveexec_b64 s[4:5], vcc
	s_cbranch_execz .LBB117_413
; %bb.407:
	ds_write2_b64 v127, v[49:50], v[51:52] offset1:1
	ds_write2_b64 v125, v[45:46], v[47:48] offset0:92 offset1:93
	ds_write2_b64 v125, v[41:42], v[43:44] offset0:94 offset1:95
	buffer_load_dword v37, off, s[20:23], 0 offset:32 ; 4-byte Folded Reload
	buffer_load_dword v38, off, s[20:23], 0 offset:36 ; 4-byte Folded Reload
	;; [unrolled: 1-line block ×4, first 2 shown]
	s_waitcnt vmcnt(0)
	ds_write2_b64 v125, v[37:38], v[39:40] offset0:96 offset1:97
	buffer_load_dword v33, off, s[20:23], 0 offset:16 ; 4-byte Folded Reload
	buffer_load_dword v34, off, s[20:23], 0 offset:20 ; 4-byte Folded Reload
	;; [unrolled: 1-line block ×4, first 2 shown]
	s_waitcnt vmcnt(0)
	ds_write2_b64 v125, v[33:34], v[35:36] offset0:98 offset1:99
	ds_write2_b64 v125, v[29:30], v[31:32] offset0:100 offset1:101
	;; [unrolled: 1-line block ×9, first 2 shown]
	buffer_load_dword v37, off, s[20:23], 0 ; 4-byte Folded Reload
	buffer_load_dword v38, off, s[20:23], 0 offset:4 ; 4-byte Folded Reload
	buffer_load_dword v39, off, s[20:23], 0 offset:8 ; 4-byte Folded Reload
	;; [unrolled: 1-line block ×3, first 2 shown]
	s_waitcnt vmcnt(0)
	ds_write2_b64 v125, v[37:38], v[39:40] offset0:116 offset1:117
	ds_read2_b64 v[97:100], v127 offset1:1
	s_waitcnt lgkmcnt(0)
	v_cmp_neq_f64_e32 vcc, 0, v[97:98]
	v_cmp_neq_f64_e64 s[2:3], 0, v[99:100]
	s_or_b64 s[2:3], vcc, s[2:3]
	s_and_b64 exec, exec, s[2:3]
	s_cbranch_execz .LBB117_413
; %bb.408:
	v_cmp_ngt_f64_e64 s[2:3], |v[97:98]|, |v[99:100]|
                                        ; implicit-def: $vgpr101_vgpr102
	s_and_saveexec_b64 s[6:7], s[2:3]
	s_xor_b64 s[2:3], exec, s[6:7]
                                        ; implicit-def: $vgpr103_vgpr104
	s_cbranch_execz .LBB117_410
; %bb.409:
	v_div_scale_f64 v[101:102], s[6:7], v[99:100], v[99:100], v[97:98]
	v_rcp_f64_e32 v[103:104], v[101:102]
	v_fma_f64 v[105:106], -v[101:102], v[103:104], 1.0
	v_fma_f64 v[103:104], v[103:104], v[105:106], v[103:104]
	v_div_scale_f64 v[105:106], vcc, v[97:98], v[99:100], v[97:98]
	v_fma_f64 v[107:108], -v[101:102], v[103:104], 1.0
	v_fma_f64 v[103:104], v[103:104], v[107:108], v[103:104]
	v_mul_f64 v[107:108], v[105:106], v[103:104]
	v_fma_f64 v[101:102], -v[101:102], v[107:108], v[105:106]
	v_div_fmas_f64 v[101:102], v[101:102], v[103:104], v[107:108]
	v_div_fixup_f64 v[101:102], v[101:102], v[99:100], v[97:98]
	v_fma_f64 v[97:98], v[97:98], v[101:102], v[99:100]
	v_div_scale_f64 v[99:100], s[6:7], v[97:98], v[97:98], 1.0
	v_div_scale_f64 v[107:108], vcc, 1.0, v[97:98], 1.0
	v_rcp_f64_e32 v[103:104], v[99:100]
	v_fma_f64 v[105:106], -v[99:100], v[103:104], 1.0
	v_fma_f64 v[103:104], v[103:104], v[105:106], v[103:104]
	v_fma_f64 v[105:106], -v[99:100], v[103:104], 1.0
	v_fma_f64 v[103:104], v[103:104], v[105:106], v[103:104]
	v_mul_f64 v[105:106], v[107:108], v[103:104]
	v_fma_f64 v[99:100], -v[99:100], v[105:106], v[107:108]
	v_div_fmas_f64 v[99:100], v[99:100], v[103:104], v[105:106]
	v_div_fixup_f64 v[103:104], v[99:100], v[97:98], 1.0
                                        ; implicit-def: $vgpr97_vgpr98
	v_mul_f64 v[101:102], v[101:102], v[103:104]
	v_xor_b32_e32 v104, 0x80000000, v104
.LBB117_410:
	s_andn2_saveexec_b64 s[2:3], s[2:3]
	s_cbranch_execz .LBB117_412
; %bb.411:
	v_div_scale_f64 v[101:102], s[6:7], v[97:98], v[97:98], v[99:100]
	v_rcp_f64_e32 v[103:104], v[101:102]
	v_fma_f64 v[105:106], -v[101:102], v[103:104], 1.0
	v_fma_f64 v[103:104], v[103:104], v[105:106], v[103:104]
	v_div_scale_f64 v[105:106], vcc, v[99:100], v[97:98], v[99:100]
	v_fma_f64 v[107:108], -v[101:102], v[103:104], 1.0
	v_fma_f64 v[103:104], v[103:104], v[107:108], v[103:104]
	v_mul_f64 v[107:108], v[105:106], v[103:104]
	v_fma_f64 v[101:102], -v[101:102], v[107:108], v[105:106]
	v_div_fmas_f64 v[101:102], v[101:102], v[103:104], v[107:108]
	v_div_fixup_f64 v[103:104], v[101:102], v[97:98], v[99:100]
	v_fma_f64 v[97:98], v[99:100], v[103:104], v[97:98]
	v_div_scale_f64 v[99:100], s[6:7], v[97:98], v[97:98], 1.0
	v_div_scale_f64 v[107:108], vcc, 1.0, v[97:98], 1.0
	v_rcp_f64_e32 v[101:102], v[99:100]
	v_fma_f64 v[105:106], -v[99:100], v[101:102], 1.0
	v_fma_f64 v[101:102], v[101:102], v[105:106], v[101:102]
	v_fma_f64 v[105:106], -v[99:100], v[101:102], 1.0
	v_fma_f64 v[101:102], v[101:102], v[105:106], v[101:102]
	v_mul_f64 v[105:106], v[107:108], v[101:102]
	v_fma_f64 v[99:100], -v[99:100], v[105:106], v[107:108]
	v_div_fmas_f64 v[99:100], v[99:100], v[101:102], v[105:106]
	v_div_fixup_f64 v[101:102], v[99:100], v[97:98], 1.0
	v_mul_f64 v[103:104], v[103:104], -v[101:102]
.LBB117_412:
	s_or_b64 exec, exec, s[2:3]
	ds_write2_b64 v127, v[101:102], v[103:104] offset1:1
.LBB117_413:
	s_or_b64 exec, exec, s[4:5]
	s_waitcnt lgkmcnt(0)
	s_barrier
	ds_read2_b64 v[37:40], v127 offset1:1
	v_cmp_lt_u32_e32 vcc, 45, v0
	s_waitcnt lgkmcnt(0)
	buffer_store_dword v37, off, s[20:23], 0 offset:1744 ; 4-byte Folded Spill
	s_nop 0
	buffer_store_dword v38, off, s[20:23], 0 offset:1748 ; 4-byte Folded Spill
	buffer_store_dword v39, off, s[20:23], 0 offset:1752 ; 4-byte Folded Spill
	;; [unrolled: 1-line block ×3, first 2 shown]
	s_and_saveexec_b64 s[2:3], vcc
	s_cbranch_execz .LBB117_415
; %bb.414:
	buffer_load_dword v37, off, s[20:23], 0 offset:1744 ; 4-byte Folded Reload
	buffer_load_dword v38, off, s[20:23], 0 offset:1748 ; 4-byte Folded Reload
	buffer_load_dword v39, off, s[20:23], 0 offset:1752 ; 4-byte Folded Reload
	buffer_load_dword v40, off, s[20:23], 0 offset:1756 ; 4-byte Folded Reload
	ds_read2_b64 v[99:102], v125 offset0:92 offset1:93
	s_waitcnt vmcnt(2)
	v_mul_f64 v[97:98], v[37:38], v[51:52]
	s_waitcnt vmcnt(0)
	v_mul_f64 v[51:52], v[39:40], v[51:52]
	v_fma_f64 v[97:98], v[39:40], v[49:50], v[97:98]
	v_fma_f64 v[49:50], v[37:38], v[49:50], -v[51:52]
	s_waitcnt lgkmcnt(0)
	v_mul_f64 v[51:52], v[101:102], v[97:98]
	v_fma_f64 v[51:52], v[99:100], v[49:50], -v[51:52]
	v_mul_f64 v[99:100], v[99:100], v[97:98]
	v_add_f64 v[45:46], v[45:46], -v[51:52]
	v_fma_f64 v[99:100], v[101:102], v[49:50], v[99:100]
	v_add_f64 v[47:48], v[47:48], -v[99:100]
	ds_read2_b64 v[99:102], v125 offset0:94 offset1:95
	s_waitcnt lgkmcnt(0)
	v_mul_f64 v[51:52], v[101:102], v[97:98]
	v_fma_f64 v[51:52], v[99:100], v[49:50], -v[51:52]
	v_mul_f64 v[99:100], v[99:100], v[97:98]
	v_add_f64 v[41:42], v[41:42], -v[51:52]
	v_fma_f64 v[99:100], v[101:102], v[49:50], v[99:100]
	v_add_f64 v[43:44], v[43:44], -v[99:100]
	ds_read2_b64 v[99:102], v125 offset0:96 offset1:97
	buffer_load_dword v37, off, s[20:23], 0 offset:32 ; 4-byte Folded Reload
	buffer_load_dword v38, off, s[20:23], 0 offset:36 ; 4-byte Folded Reload
	buffer_load_dword v39, off, s[20:23], 0 offset:40 ; 4-byte Folded Reload
	buffer_load_dword v40, off, s[20:23], 0 offset:44 ; 4-byte Folded Reload
	s_waitcnt lgkmcnt(0)
	v_mul_f64 v[51:52], v[101:102], v[97:98]
	v_fma_f64 v[51:52], v[99:100], v[49:50], -v[51:52]
	v_mul_f64 v[99:100], v[99:100], v[97:98]
	v_fma_f64 v[99:100], v[101:102], v[49:50], v[99:100]
	s_waitcnt vmcnt(2)
	v_add_f64 v[37:38], v[37:38], -v[51:52]
	s_waitcnt vmcnt(0)
	v_add_f64 v[39:40], v[39:40], -v[99:100]
	buffer_store_dword v37, off, s[20:23], 0 offset:32 ; 4-byte Folded Spill
	s_nop 0
	buffer_store_dword v38, off, s[20:23], 0 offset:36 ; 4-byte Folded Spill
	buffer_store_dword v39, off, s[20:23], 0 offset:40 ; 4-byte Folded Spill
	;; [unrolled: 1-line block ×3, first 2 shown]
	ds_read2_b64 v[99:102], v125 offset0:98 offset1:99
	buffer_load_dword v33, off, s[20:23], 0 offset:16 ; 4-byte Folded Reload
	buffer_load_dword v34, off, s[20:23], 0 offset:20 ; 4-byte Folded Reload
	;; [unrolled: 1-line block ×4, first 2 shown]
	s_waitcnt lgkmcnt(0)
	v_mul_f64 v[51:52], v[101:102], v[97:98]
	v_fma_f64 v[51:52], v[99:100], v[49:50], -v[51:52]
	v_mul_f64 v[99:100], v[99:100], v[97:98]
	v_fma_f64 v[99:100], v[101:102], v[49:50], v[99:100]
	s_waitcnt vmcnt(2)
	v_add_f64 v[33:34], v[33:34], -v[51:52]
	s_waitcnt vmcnt(0)
	v_add_f64 v[35:36], v[35:36], -v[99:100]
	buffer_store_dword v33, off, s[20:23], 0 offset:16 ; 4-byte Folded Spill
	s_nop 0
	buffer_store_dword v34, off, s[20:23], 0 offset:20 ; 4-byte Folded Spill
	buffer_store_dword v35, off, s[20:23], 0 offset:24 ; 4-byte Folded Spill
	;; [unrolled: 1-line block ×3, first 2 shown]
	ds_read2_b64 v[99:102], v125 offset0:100 offset1:101
	s_waitcnt lgkmcnt(0)
	v_mul_f64 v[51:52], v[101:102], v[97:98]
	v_fma_f64 v[51:52], v[99:100], v[49:50], -v[51:52]
	v_mul_f64 v[99:100], v[99:100], v[97:98]
	v_add_f64 v[29:30], v[29:30], -v[51:52]
	v_fma_f64 v[99:100], v[101:102], v[49:50], v[99:100]
	v_add_f64 v[31:32], v[31:32], -v[99:100]
	ds_read2_b64 v[99:102], v125 offset0:102 offset1:103
	s_waitcnt lgkmcnt(0)
	v_mul_f64 v[51:52], v[101:102], v[97:98]
	v_fma_f64 v[51:52], v[99:100], v[49:50], -v[51:52]
	v_mul_f64 v[99:100], v[99:100], v[97:98]
	v_add_f64 v[25:26], v[25:26], -v[51:52]
	v_fma_f64 v[99:100], v[101:102], v[49:50], v[99:100]
	v_add_f64 v[27:28], v[27:28], -v[99:100]
	;; [unrolled: 8-line block ×8, first 2 shown]
	ds_read2_b64 v[99:102], v125 offset0:116 offset1:117
	buffer_load_dword v37, off, s[20:23], 0 ; 4-byte Folded Reload
	buffer_load_dword v38, off, s[20:23], 0 offset:4 ; 4-byte Folded Reload
	buffer_load_dword v39, off, s[20:23], 0 offset:8 ; 4-byte Folded Reload
	;; [unrolled: 1-line block ×3, first 2 shown]
	s_waitcnt lgkmcnt(0)
	v_mul_f64 v[51:52], v[101:102], v[97:98]
	v_fma_f64 v[51:52], v[99:100], v[49:50], -v[51:52]
	v_mul_f64 v[99:100], v[99:100], v[97:98]
	v_fma_f64 v[99:100], v[101:102], v[49:50], v[99:100]
	s_waitcnt vmcnt(2)
	v_add_f64 v[37:38], v[37:38], -v[51:52]
	v_mov_b32_e32 v51, v97
	s_waitcnt vmcnt(0)
	v_add_f64 v[39:40], v[39:40], -v[99:100]
	v_mov_b32_e32 v52, v98
	buffer_store_dword v37, off, s[20:23], 0 ; 4-byte Folded Spill
	s_nop 0
	buffer_store_dword v38, off, s[20:23], 0 offset:4 ; 4-byte Folded Spill
	buffer_store_dword v39, off, s[20:23], 0 offset:8 ; 4-byte Folded Spill
	;; [unrolled: 1-line block ×3, first 2 shown]
.LBB117_415:
	s_or_b64 exec, exec, s[2:3]
	v_cmp_eq_u32_e32 vcc, 46, v0
	s_waitcnt vmcnt(0)
	s_barrier
	s_and_saveexec_b64 s[4:5], vcc
	s_cbranch_execz .LBB117_422
; %bb.416:
	ds_write2_b64 v127, v[45:46], v[47:48] offset1:1
	ds_write2_b64 v125, v[41:42], v[43:44] offset0:94 offset1:95
	buffer_load_dword v37, off, s[20:23], 0 offset:32 ; 4-byte Folded Reload
	buffer_load_dword v38, off, s[20:23], 0 offset:36 ; 4-byte Folded Reload
	;; [unrolled: 1-line block ×4, first 2 shown]
	s_waitcnt vmcnt(0)
	ds_write2_b64 v125, v[37:38], v[39:40] offset0:96 offset1:97
	buffer_load_dword v33, off, s[20:23], 0 offset:16 ; 4-byte Folded Reload
	buffer_load_dword v34, off, s[20:23], 0 offset:20 ; 4-byte Folded Reload
	;; [unrolled: 1-line block ×4, first 2 shown]
	s_waitcnt vmcnt(0)
	ds_write2_b64 v125, v[33:34], v[35:36] offset0:98 offset1:99
	ds_write2_b64 v125, v[29:30], v[31:32] offset0:100 offset1:101
	;; [unrolled: 1-line block ×9, first 2 shown]
	buffer_load_dword v37, off, s[20:23], 0 ; 4-byte Folded Reload
	buffer_load_dword v38, off, s[20:23], 0 offset:4 ; 4-byte Folded Reload
	buffer_load_dword v39, off, s[20:23], 0 offset:8 ; 4-byte Folded Reload
	;; [unrolled: 1-line block ×3, first 2 shown]
	s_waitcnt vmcnt(0)
	ds_write2_b64 v125, v[37:38], v[39:40] offset0:116 offset1:117
	ds_read2_b64 v[97:100], v127 offset1:1
	s_waitcnt lgkmcnt(0)
	v_cmp_neq_f64_e32 vcc, 0, v[97:98]
	v_cmp_neq_f64_e64 s[2:3], 0, v[99:100]
	s_or_b64 s[2:3], vcc, s[2:3]
	s_and_b64 exec, exec, s[2:3]
	s_cbranch_execz .LBB117_422
; %bb.417:
	v_cmp_ngt_f64_e64 s[2:3], |v[97:98]|, |v[99:100]|
                                        ; implicit-def: $vgpr101_vgpr102
	s_and_saveexec_b64 s[6:7], s[2:3]
	s_xor_b64 s[2:3], exec, s[6:7]
                                        ; implicit-def: $vgpr103_vgpr104
	s_cbranch_execz .LBB117_419
; %bb.418:
	v_div_scale_f64 v[101:102], s[6:7], v[99:100], v[99:100], v[97:98]
	v_rcp_f64_e32 v[103:104], v[101:102]
	v_fma_f64 v[105:106], -v[101:102], v[103:104], 1.0
	v_fma_f64 v[103:104], v[103:104], v[105:106], v[103:104]
	v_div_scale_f64 v[105:106], vcc, v[97:98], v[99:100], v[97:98]
	v_fma_f64 v[107:108], -v[101:102], v[103:104], 1.0
	v_fma_f64 v[103:104], v[103:104], v[107:108], v[103:104]
	v_mul_f64 v[107:108], v[105:106], v[103:104]
	v_fma_f64 v[101:102], -v[101:102], v[107:108], v[105:106]
	v_div_fmas_f64 v[101:102], v[101:102], v[103:104], v[107:108]
	v_div_fixup_f64 v[101:102], v[101:102], v[99:100], v[97:98]
	v_fma_f64 v[97:98], v[97:98], v[101:102], v[99:100]
	v_div_scale_f64 v[99:100], s[6:7], v[97:98], v[97:98], 1.0
	v_div_scale_f64 v[107:108], vcc, 1.0, v[97:98], 1.0
	v_rcp_f64_e32 v[103:104], v[99:100]
	v_fma_f64 v[105:106], -v[99:100], v[103:104], 1.0
	v_fma_f64 v[103:104], v[103:104], v[105:106], v[103:104]
	v_fma_f64 v[105:106], -v[99:100], v[103:104], 1.0
	v_fma_f64 v[103:104], v[103:104], v[105:106], v[103:104]
	v_mul_f64 v[105:106], v[107:108], v[103:104]
	v_fma_f64 v[99:100], -v[99:100], v[105:106], v[107:108]
	v_div_fmas_f64 v[99:100], v[99:100], v[103:104], v[105:106]
	v_div_fixup_f64 v[103:104], v[99:100], v[97:98], 1.0
                                        ; implicit-def: $vgpr97_vgpr98
	v_mul_f64 v[101:102], v[101:102], v[103:104]
	v_xor_b32_e32 v104, 0x80000000, v104
.LBB117_419:
	s_andn2_saveexec_b64 s[2:3], s[2:3]
	s_cbranch_execz .LBB117_421
; %bb.420:
	v_div_scale_f64 v[101:102], s[6:7], v[97:98], v[97:98], v[99:100]
	v_rcp_f64_e32 v[103:104], v[101:102]
	v_fma_f64 v[105:106], -v[101:102], v[103:104], 1.0
	v_fma_f64 v[103:104], v[103:104], v[105:106], v[103:104]
	v_div_scale_f64 v[105:106], vcc, v[99:100], v[97:98], v[99:100]
	v_fma_f64 v[107:108], -v[101:102], v[103:104], 1.0
	v_fma_f64 v[103:104], v[103:104], v[107:108], v[103:104]
	v_mul_f64 v[107:108], v[105:106], v[103:104]
	v_fma_f64 v[101:102], -v[101:102], v[107:108], v[105:106]
	v_div_fmas_f64 v[101:102], v[101:102], v[103:104], v[107:108]
	v_div_fixup_f64 v[103:104], v[101:102], v[97:98], v[99:100]
	v_fma_f64 v[97:98], v[99:100], v[103:104], v[97:98]
	v_div_scale_f64 v[99:100], s[6:7], v[97:98], v[97:98], 1.0
	v_div_scale_f64 v[107:108], vcc, 1.0, v[97:98], 1.0
	v_rcp_f64_e32 v[101:102], v[99:100]
	v_fma_f64 v[105:106], -v[99:100], v[101:102], 1.0
	v_fma_f64 v[101:102], v[101:102], v[105:106], v[101:102]
	v_fma_f64 v[105:106], -v[99:100], v[101:102], 1.0
	v_fma_f64 v[101:102], v[101:102], v[105:106], v[101:102]
	v_mul_f64 v[105:106], v[107:108], v[101:102]
	v_fma_f64 v[99:100], -v[99:100], v[105:106], v[107:108]
	v_div_fmas_f64 v[99:100], v[99:100], v[101:102], v[105:106]
	v_div_fixup_f64 v[101:102], v[99:100], v[97:98], 1.0
	v_mul_f64 v[103:104], v[103:104], -v[101:102]
.LBB117_421:
	s_or_b64 exec, exec, s[2:3]
	ds_write2_b64 v127, v[101:102], v[103:104] offset1:1
.LBB117_422:
	s_or_b64 exec, exec, s[4:5]
	s_waitcnt lgkmcnt(0)
	s_barrier
	ds_read2_b64 v[37:40], v127 offset1:1
	v_cmp_lt_u32_e32 vcc, 46, v0
	s_waitcnt lgkmcnt(0)
	buffer_store_dword v37, off, s[20:23], 0 offset:1760 ; 4-byte Folded Spill
	s_nop 0
	buffer_store_dword v38, off, s[20:23], 0 offset:1764 ; 4-byte Folded Spill
	buffer_store_dword v39, off, s[20:23], 0 offset:1768 ; 4-byte Folded Spill
	;; [unrolled: 1-line block ×3, first 2 shown]
	s_and_saveexec_b64 s[2:3], vcc
	s_cbranch_execz .LBB117_424
; %bb.423:
	buffer_load_dword v37, off, s[20:23], 0 offset:1760 ; 4-byte Folded Reload
	buffer_load_dword v38, off, s[20:23], 0 offset:1764 ; 4-byte Folded Reload
	;; [unrolled: 1-line block ×4, first 2 shown]
	ds_read2_b64 v[99:102], v125 offset0:94 offset1:95
	s_waitcnt vmcnt(2)
	v_mul_f64 v[97:98], v[37:38], v[47:48]
	s_waitcnt vmcnt(0)
	v_mul_f64 v[47:48], v[39:40], v[47:48]
	v_fma_f64 v[97:98], v[39:40], v[45:46], v[97:98]
	v_fma_f64 v[45:46], v[37:38], v[45:46], -v[47:48]
	s_waitcnt lgkmcnt(0)
	v_mul_f64 v[47:48], v[101:102], v[97:98]
	v_fma_f64 v[47:48], v[99:100], v[45:46], -v[47:48]
	v_mul_f64 v[99:100], v[99:100], v[97:98]
	v_add_f64 v[41:42], v[41:42], -v[47:48]
	v_fma_f64 v[99:100], v[101:102], v[45:46], v[99:100]
	v_add_f64 v[43:44], v[43:44], -v[99:100]
	ds_read2_b64 v[99:102], v125 offset0:96 offset1:97
	buffer_load_dword v37, off, s[20:23], 0 offset:32 ; 4-byte Folded Reload
	buffer_load_dword v38, off, s[20:23], 0 offset:36 ; 4-byte Folded Reload
	;; [unrolled: 1-line block ×4, first 2 shown]
	s_waitcnt lgkmcnt(0)
	v_mul_f64 v[47:48], v[101:102], v[97:98]
	v_fma_f64 v[47:48], v[99:100], v[45:46], -v[47:48]
	v_mul_f64 v[99:100], v[99:100], v[97:98]
	v_fma_f64 v[99:100], v[101:102], v[45:46], v[99:100]
	s_waitcnt vmcnt(2)
	v_add_f64 v[37:38], v[37:38], -v[47:48]
	s_waitcnt vmcnt(0)
	v_add_f64 v[39:40], v[39:40], -v[99:100]
	buffer_store_dword v37, off, s[20:23], 0 offset:32 ; 4-byte Folded Spill
	s_nop 0
	buffer_store_dword v38, off, s[20:23], 0 offset:36 ; 4-byte Folded Spill
	buffer_store_dword v39, off, s[20:23], 0 offset:40 ; 4-byte Folded Spill
	;; [unrolled: 1-line block ×3, first 2 shown]
	ds_read2_b64 v[99:102], v125 offset0:98 offset1:99
	buffer_load_dword v33, off, s[20:23], 0 offset:16 ; 4-byte Folded Reload
	buffer_load_dword v34, off, s[20:23], 0 offset:20 ; 4-byte Folded Reload
	;; [unrolled: 1-line block ×4, first 2 shown]
	s_waitcnt lgkmcnt(0)
	v_mul_f64 v[47:48], v[101:102], v[97:98]
	v_fma_f64 v[47:48], v[99:100], v[45:46], -v[47:48]
	v_mul_f64 v[99:100], v[99:100], v[97:98]
	v_fma_f64 v[99:100], v[101:102], v[45:46], v[99:100]
	s_waitcnt vmcnt(2)
	v_add_f64 v[33:34], v[33:34], -v[47:48]
	s_waitcnt vmcnt(0)
	v_add_f64 v[35:36], v[35:36], -v[99:100]
	buffer_store_dword v33, off, s[20:23], 0 offset:16 ; 4-byte Folded Spill
	s_nop 0
	buffer_store_dword v34, off, s[20:23], 0 offset:20 ; 4-byte Folded Spill
	buffer_store_dword v35, off, s[20:23], 0 offset:24 ; 4-byte Folded Spill
	;; [unrolled: 1-line block ×3, first 2 shown]
	ds_read2_b64 v[99:102], v125 offset0:100 offset1:101
	s_waitcnt lgkmcnt(0)
	v_mul_f64 v[47:48], v[101:102], v[97:98]
	v_fma_f64 v[47:48], v[99:100], v[45:46], -v[47:48]
	v_mul_f64 v[99:100], v[99:100], v[97:98]
	v_add_f64 v[29:30], v[29:30], -v[47:48]
	v_fma_f64 v[99:100], v[101:102], v[45:46], v[99:100]
	v_add_f64 v[31:32], v[31:32], -v[99:100]
	ds_read2_b64 v[99:102], v125 offset0:102 offset1:103
	s_waitcnt lgkmcnt(0)
	v_mul_f64 v[47:48], v[101:102], v[97:98]
	v_fma_f64 v[47:48], v[99:100], v[45:46], -v[47:48]
	v_mul_f64 v[99:100], v[99:100], v[97:98]
	v_add_f64 v[25:26], v[25:26], -v[47:48]
	v_fma_f64 v[99:100], v[101:102], v[45:46], v[99:100]
	v_add_f64 v[27:28], v[27:28], -v[99:100]
	ds_read2_b64 v[99:102], v125 offset0:104 offset1:105
	s_waitcnt lgkmcnt(0)
	v_mul_f64 v[47:48], v[101:102], v[97:98]
	v_fma_f64 v[47:48], v[99:100], v[45:46], -v[47:48]
	v_mul_f64 v[99:100], v[99:100], v[97:98]
	v_add_f64 v[21:22], v[21:22], -v[47:48]
	v_fma_f64 v[99:100], v[101:102], v[45:46], v[99:100]
	v_add_f64 v[23:24], v[23:24], -v[99:100]
	ds_read2_b64 v[99:102], v125 offset0:106 offset1:107
	s_waitcnt lgkmcnt(0)
	v_mul_f64 v[47:48], v[101:102], v[97:98]
	v_fma_f64 v[47:48], v[99:100], v[45:46], -v[47:48]
	v_mul_f64 v[99:100], v[99:100], v[97:98]
	v_add_f64 v[17:18], v[17:18], -v[47:48]
	v_fma_f64 v[99:100], v[101:102], v[45:46], v[99:100]
	v_add_f64 v[19:20], v[19:20], -v[99:100]
	ds_read2_b64 v[99:102], v125 offset0:108 offset1:109
	s_waitcnt lgkmcnt(0)
	v_mul_f64 v[47:48], v[101:102], v[97:98]
	v_fma_f64 v[47:48], v[99:100], v[45:46], -v[47:48]
	v_mul_f64 v[99:100], v[99:100], v[97:98]
	v_add_f64 v[13:14], v[13:14], -v[47:48]
	v_fma_f64 v[99:100], v[101:102], v[45:46], v[99:100]
	v_add_f64 v[15:16], v[15:16], -v[99:100]
	ds_read2_b64 v[99:102], v125 offset0:110 offset1:111
	s_waitcnt lgkmcnt(0)
	v_mul_f64 v[47:48], v[101:102], v[97:98]
	v_fma_f64 v[47:48], v[99:100], v[45:46], -v[47:48]
	v_mul_f64 v[99:100], v[99:100], v[97:98]
	v_add_f64 v[9:10], v[9:10], -v[47:48]
	v_fma_f64 v[99:100], v[101:102], v[45:46], v[99:100]
	v_add_f64 v[11:12], v[11:12], -v[99:100]
	ds_read2_b64 v[99:102], v125 offset0:112 offset1:113
	s_waitcnt lgkmcnt(0)
	v_mul_f64 v[47:48], v[101:102], v[97:98]
	v_fma_f64 v[47:48], v[99:100], v[45:46], -v[47:48]
	v_mul_f64 v[99:100], v[99:100], v[97:98]
	v_add_f64 v[5:6], v[5:6], -v[47:48]
	v_fma_f64 v[99:100], v[101:102], v[45:46], v[99:100]
	v_add_f64 v[7:8], v[7:8], -v[99:100]
	ds_read2_b64 v[99:102], v125 offset0:114 offset1:115
	s_waitcnt lgkmcnt(0)
	v_mul_f64 v[47:48], v[101:102], v[97:98]
	v_fma_f64 v[47:48], v[99:100], v[45:46], -v[47:48]
	v_mul_f64 v[99:100], v[99:100], v[97:98]
	v_add_f64 v[1:2], v[1:2], -v[47:48]
	v_fma_f64 v[99:100], v[101:102], v[45:46], v[99:100]
	v_add_f64 v[3:4], v[3:4], -v[99:100]
	ds_read2_b64 v[99:102], v125 offset0:116 offset1:117
	buffer_load_dword v37, off, s[20:23], 0 ; 4-byte Folded Reload
	buffer_load_dword v38, off, s[20:23], 0 offset:4 ; 4-byte Folded Reload
	buffer_load_dword v39, off, s[20:23], 0 offset:8 ; 4-byte Folded Reload
	;; [unrolled: 1-line block ×3, first 2 shown]
	s_waitcnt lgkmcnt(0)
	v_mul_f64 v[47:48], v[101:102], v[97:98]
	v_fma_f64 v[47:48], v[99:100], v[45:46], -v[47:48]
	v_mul_f64 v[99:100], v[99:100], v[97:98]
	v_fma_f64 v[99:100], v[101:102], v[45:46], v[99:100]
	s_waitcnt vmcnt(2)
	v_add_f64 v[37:38], v[37:38], -v[47:48]
	v_mov_b32_e32 v47, v97
	s_waitcnt vmcnt(0)
	v_add_f64 v[39:40], v[39:40], -v[99:100]
	v_mov_b32_e32 v48, v98
	buffer_store_dword v37, off, s[20:23], 0 ; 4-byte Folded Spill
	s_nop 0
	buffer_store_dword v38, off, s[20:23], 0 offset:4 ; 4-byte Folded Spill
	buffer_store_dword v39, off, s[20:23], 0 offset:8 ; 4-byte Folded Spill
	;; [unrolled: 1-line block ×3, first 2 shown]
.LBB117_424:
	s_or_b64 exec, exec, s[2:3]
	v_cmp_eq_u32_e32 vcc, 47, v0
	s_waitcnt vmcnt(0)
	s_barrier
	s_and_saveexec_b64 s[4:5], vcc
	s_cbranch_execz .LBB117_431
; %bb.425:
	ds_write2_b64 v127, v[41:42], v[43:44] offset1:1
	buffer_load_dword v37, off, s[20:23], 0 offset:32 ; 4-byte Folded Reload
	buffer_load_dword v38, off, s[20:23], 0 offset:36 ; 4-byte Folded Reload
	;; [unrolled: 1-line block ×4, first 2 shown]
	s_waitcnt vmcnt(0)
	ds_write2_b64 v125, v[37:38], v[39:40] offset0:96 offset1:97
	buffer_load_dword v33, off, s[20:23], 0 offset:16 ; 4-byte Folded Reload
	buffer_load_dword v34, off, s[20:23], 0 offset:20 ; 4-byte Folded Reload
	;; [unrolled: 1-line block ×4, first 2 shown]
	s_waitcnt vmcnt(0)
	ds_write2_b64 v125, v[33:34], v[35:36] offset0:98 offset1:99
	ds_write2_b64 v125, v[29:30], v[31:32] offset0:100 offset1:101
	;; [unrolled: 1-line block ×9, first 2 shown]
	buffer_load_dword v37, off, s[20:23], 0 ; 4-byte Folded Reload
	buffer_load_dword v38, off, s[20:23], 0 offset:4 ; 4-byte Folded Reload
	buffer_load_dword v39, off, s[20:23], 0 offset:8 ; 4-byte Folded Reload
	;; [unrolled: 1-line block ×3, first 2 shown]
	s_waitcnt vmcnt(0)
	ds_write2_b64 v125, v[37:38], v[39:40] offset0:116 offset1:117
	ds_read2_b64 v[97:100], v127 offset1:1
	s_waitcnt lgkmcnt(0)
	v_cmp_neq_f64_e32 vcc, 0, v[97:98]
	v_cmp_neq_f64_e64 s[2:3], 0, v[99:100]
	s_or_b64 s[2:3], vcc, s[2:3]
	s_and_b64 exec, exec, s[2:3]
	s_cbranch_execz .LBB117_431
; %bb.426:
	v_cmp_ngt_f64_e64 s[2:3], |v[97:98]|, |v[99:100]|
                                        ; implicit-def: $vgpr101_vgpr102
	s_and_saveexec_b64 s[6:7], s[2:3]
	s_xor_b64 s[2:3], exec, s[6:7]
                                        ; implicit-def: $vgpr103_vgpr104
	s_cbranch_execz .LBB117_428
; %bb.427:
	v_div_scale_f64 v[101:102], s[6:7], v[99:100], v[99:100], v[97:98]
	v_rcp_f64_e32 v[103:104], v[101:102]
	v_fma_f64 v[105:106], -v[101:102], v[103:104], 1.0
	v_fma_f64 v[103:104], v[103:104], v[105:106], v[103:104]
	v_div_scale_f64 v[105:106], vcc, v[97:98], v[99:100], v[97:98]
	v_fma_f64 v[107:108], -v[101:102], v[103:104], 1.0
	v_fma_f64 v[103:104], v[103:104], v[107:108], v[103:104]
	v_mul_f64 v[107:108], v[105:106], v[103:104]
	v_fma_f64 v[101:102], -v[101:102], v[107:108], v[105:106]
	v_div_fmas_f64 v[101:102], v[101:102], v[103:104], v[107:108]
	v_div_fixup_f64 v[101:102], v[101:102], v[99:100], v[97:98]
	v_fma_f64 v[97:98], v[97:98], v[101:102], v[99:100]
	v_div_scale_f64 v[99:100], s[6:7], v[97:98], v[97:98], 1.0
	v_div_scale_f64 v[107:108], vcc, 1.0, v[97:98], 1.0
	v_rcp_f64_e32 v[103:104], v[99:100]
	v_fma_f64 v[105:106], -v[99:100], v[103:104], 1.0
	v_fma_f64 v[103:104], v[103:104], v[105:106], v[103:104]
	v_fma_f64 v[105:106], -v[99:100], v[103:104], 1.0
	v_fma_f64 v[103:104], v[103:104], v[105:106], v[103:104]
	v_mul_f64 v[105:106], v[107:108], v[103:104]
	v_fma_f64 v[99:100], -v[99:100], v[105:106], v[107:108]
	v_div_fmas_f64 v[99:100], v[99:100], v[103:104], v[105:106]
	v_div_fixup_f64 v[103:104], v[99:100], v[97:98], 1.0
                                        ; implicit-def: $vgpr97_vgpr98
	v_mul_f64 v[101:102], v[101:102], v[103:104]
	v_xor_b32_e32 v104, 0x80000000, v104
.LBB117_428:
	s_andn2_saveexec_b64 s[2:3], s[2:3]
	s_cbranch_execz .LBB117_430
; %bb.429:
	v_div_scale_f64 v[101:102], s[6:7], v[97:98], v[97:98], v[99:100]
	v_rcp_f64_e32 v[103:104], v[101:102]
	v_fma_f64 v[105:106], -v[101:102], v[103:104], 1.0
	v_fma_f64 v[103:104], v[103:104], v[105:106], v[103:104]
	v_div_scale_f64 v[105:106], vcc, v[99:100], v[97:98], v[99:100]
	v_fma_f64 v[107:108], -v[101:102], v[103:104], 1.0
	v_fma_f64 v[103:104], v[103:104], v[107:108], v[103:104]
	v_mul_f64 v[107:108], v[105:106], v[103:104]
	v_fma_f64 v[101:102], -v[101:102], v[107:108], v[105:106]
	v_div_fmas_f64 v[101:102], v[101:102], v[103:104], v[107:108]
	v_div_fixup_f64 v[103:104], v[101:102], v[97:98], v[99:100]
	v_fma_f64 v[97:98], v[99:100], v[103:104], v[97:98]
	v_div_scale_f64 v[99:100], s[6:7], v[97:98], v[97:98], 1.0
	v_div_scale_f64 v[107:108], vcc, 1.0, v[97:98], 1.0
	v_rcp_f64_e32 v[101:102], v[99:100]
	v_fma_f64 v[105:106], -v[99:100], v[101:102], 1.0
	v_fma_f64 v[101:102], v[101:102], v[105:106], v[101:102]
	v_fma_f64 v[105:106], -v[99:100], v[101:102], 1.0
	v_fma_f64 v[101:102], v[101:102], v[105:106], v[101:102]
	v_mul_f64 v[105:106], v[107:108], v[101:102]
	v_fma_f64 v[99:100], -v[99:100], v[105:106], v[107:108]
	v_div_fmas_f64 v[99:100], v[99:100], v[101:102], v[105:106]
	v_div_fixup_f64 v[101:102], v[99:100], v[97:98], 1.0
	v_mul_f64 v[103:104], v[103:104], -v[101:102]
.LBB117_430:
	s_or_b64 exec, exec, s[2:3]
	ds_write2_b64 v127, v[101:102], v[103:104] offset1:1
.LBB117_431:
	s_or_b64 exec, exec, s[4:5]
	s_waitcnt lgkmcnt(0)
	s_barrier
	ds_read2_b64 v[37:40], v127 offset1:1
	v_cmp_lt_u32_e32 vcc, 47, v0
	s_waitcnt lgkmcnt(0)
	buffer_store_dword v37, off, s[20:23], 0 offset:1776 ; 4-byte Folded Spill
	s_nop 0
	buffer_store_dword v38, off, s[20:23], 0 offset:1780 ; 4-byte Folded Spill
	buffer_store_dword v39, off, s[20:23], 0 offset:1784 ; 4-byte Folded Spill
	;; [unrolled: 1-line block ×3, first 2 shown]
	s_and_saveexec_b64 s[2:3], vcc
	s_cbranch_execz .LBB117_433
; %bb.432:
	buffer_load_dword v37, off, s[20:23], 0 offset:1776 ; 4-byte Folded Reload
	buffer_load_dword v38, off, s[20:23], 0 offset:1780 ; 4-byte Folded Reload
	buffer_load_dword v39, off, s[20:23], 0 offset:1784 ; 4-byte Folded Reload
	buffer_load_dword v40, off, s[20:23], 0 offset:1788 ; 4-byte Folded Reload
	ds_read2_b64 v[99:102], v125 offset0:96 offset1:97
	s_waitcnt vmcnt(2)
	v_mul_f64 v[97:98], v[37:38], v[43:44]
	s_waitcnt vmcnt(0)
	v_mul_f64 v[43:44], v[39:40], v[43:44]
	v_fma_f64 v[97:98], v[39:40], v[41:42], v[97:98]
	v_fma_f64 v[41:42], v[37:38], v[41:42], -v[43:44]
	buffer_load_dword v37, off, s[20:23], 0 offset:32 ; 4-byte Folded Reload
	buffer_load_dword v38, off, s[20:23], 0 offset:36 ; 4-byte Folded Reload
	;; [unrolled: 1-line block ×4, first 2 shown]
	s_waitcnt lgkmcnt(0)
	v_mul_f64 v[43:44], v[101:102], v[97:98]
	v_fma_f64 v[43:44], v[99:100], v[41:42], -v[43:44]
	v_mul_f64 v[99:100], v[99:100], v[97:98]
	v_fma_f64 v[99:100], v[101:102], v[41:42], v[99:100]
	s_waitcnt vmcnt(2)
	v_add_f64 v[37:38], v[37:38], -v[43:44]
	s_waitcnt vmcnt(0)
	v_add_f64 v[39:40], v[39:40], -v[99:100]
	buffer_store_dword v37, off, s[20:23], 0 offset:32 ; 4-byte Folded Spill
	s_nop 0
	buffer_store_dword v38, off, s[20:23], 0 offset:36 ; 4-byte Folded Spill
	buffer_store_dword v39, off, s[20:23], 0 offset:40 ; 4-byte Folded Spill
	;; [unrolled: 1-line block ×3, first 2 shown]
	ds_read2_b64 v[99:102], v125 offset0:98 offset1:99
	buffer_load_dword v33, off, s[20:23], 0 offset:16 ; 4-byte Folded Reload
	buffer_load_dword v34, off, s[20:23], 0 offset:20 ; 4-byte Folded Reload
	;; [unrolled: 1-line block ×4, first 2 shown]
	s_waitcnt lgkmcnt(0)
	v_mul_f64 v[43:44], v[101:102], v[97:98]
	v_fma_f64 v[43:44], v[99:100], v[41:42], -v[43:44]
	v_mul_f64 v[99:100], v[99:100], v[97:98]
	v_fma_f64 v[99:100], v[101:102], v[41:42], v[99:100]
	s_waitcnt vmcnt(2)
	v_add_f64 v[33:34], v[33:34], -v[43:44]
	s_waitcnt vmcnt(0)
	v_add_f64 v[35:36], v[35:36], -v[99:100]
	buffer_store_dword v33, off, s[20:23], 0 offset:16 ; 4-byte Folded Spill
	s_nop 0
	buffer_store_dword v34, off, s[20:23], 0 offset:20 ; 4-byte Folded Spill
	buffer_store_dword v35, off, s[20:23], 0 offset:24 ; 4-byte Folded Spill
	;; [unrolled: 1-line block ×3, first 2 shown]
	ds_read2_b64 v[99:102], v125 offset0:100 offset1:101
	s_waitcnt lgkmcnt(0)
	v_mul_f64 v[43:44], v[101:102], v[97:98]
	v_fma_f64 v[43:44], v[99:100], v[41:42], -v[43:44]
	v_mul_f64 v[99:100], v[99:100], v[97:98]
	v_add_f64 v[29:30], v[29:30], -v[43:44]
	v_fma_f64 v[99:100], v[101:102], v[41:42], v[99:100]
	v_add_f64 v[31:32], v[31:32], -v[99:100]
	ds_read2_b64 v[99:102], v125 offset0:102 offset1:103
	s_waitcnt lgkmcnt(0)
	v_mul_f64 v[43:44], v[101:102], v[97:98]
	v_fma_f64 v[43:44], v[99:100], v[41:42], -v[43:44]
	v_mul_f64 v[99:100], v[99:100], v[97:98]
	v_add_f64 v[25:26], v[25:26], -v[43:44]
	v_fma_f64 v[99:100], v[101:102], v[41:42], v[99:100]
	v_add_f64 v[27:28], v[27:28], -v[99:100]
	;; [unrolled: 8-line block ×8, first 2 shown]
	ds_read2_b64 v[99:102], v125 offset0:116 offset1:117
	buffer_load_dword v37, off, s[20:23], 0 ; 4-byte Folded Reload
	buffer_load_dword v38, off, s[20:23], 0 offset:4 ; 4-byte Folded Reload
	buffer_load_dword v39, off, s[20:23], 0 offset:8 ; 4-byte Folded Reload
	;; [unrolled: 1-line block ×3, first 2 shown]
	s_waitcnt lgkmcnt(0)
	v_mul_f64 v[43:44], v[101:102], v[97:98]
	v_fma_f64 v[43:44], v[99:100], v[41:42], -v[43:44]
	v_mul_f64 v[99:100], v[99:100], v[97:98]
	v_fma_f64 v[99:100], v[101:102], v[41:42], v[99:100]
	s_waitcnt vmcnt(2)
	v_add_f64 v[37:38], v[37:38], -v[43:44]
	v_mov_b32_e32 v43, v97
	s_waitcnt vmcnt(0)
	v_add_f64 v[39:40], v[39:40], -v[99:100]
	v_mov_b32_e32 v44, v98
	buffer_store_dword v37, off, s[20:23], 0 ; 4-byte Folded Spill
	s_nop 0
	buffer_store_dword v38, off, s[20:23], 0 offset:4 ; 4-byte Folded Spill
	buffer_store_dword v39, off, s[20:23], 0 offset:8 ; 4-byte Folded Spill
	;; [unrolled: 1-line block ×3, first 2 shown]
.LBB117_433:
	s_or_b64 exec, exec, s[2:3]
	v_cmp_eq_u32_e32 vcc, 48, v0
	s_waitcnt vmcnt(0)
	s_barrier
	s_and_saveexec_b64 s[4:5], vcc
	s_cbranch_execz .LBB117_440
; %bb.434:
	buffer_load_dword v37, off, s[20:23], 0 offset:32 ; 4-byte Folded Reload
	buffer_load_dword v38, off, s[20:23], 0 offset:36 ; 4-byte Folded Reload
	;; [unrolled: 1-line block ×4, first 2 shown]
	s_waitcnt vmcnt(0)
	ds_write2_b64 v127, v[37:38], v[39:40] offset1:1
	buffer_load_dword v33, off, s[20:23], 0 offset:16 ; 4-byte Folded Reload
	buffer_load_dword v34, off, s[20:23], 0 offset:20 ; 4-byte Folded Reload
	;; [unrolled: 1-line block ×4, first 2 shown]
	s_waitcnt vmcnt(0)
	ds_write2_b64 v125, v[33:34], v[35:36] offset0:98 offset1:99
	ds_write2_b64 v125, v[29:30], v[31:32] offset0:100 offset1:101
	;; [unrolled: 1-line block ×9, first 2 shown]
	buffer_load_dword v37, off, s[20:23], 0 ; 4-byte Folded Reload
	buffer_load_dword v38, off, s[20:23], 0 offset:4 ; 4-byte Folded Reload
	buffer_load_dword v39, off, s[20:23], 0 offset:8 ; 4-byte Folded Reload
	;; [unrolled: 1-line block ×3, first 2 shown]
	s_waitcnt vmcnt(0)
	ds_write2_b64 v125, v[37:38], v[39:40] offset0:116 offset1:117
	ds_read2_b64 v[97:100], v127 offset1:1
	s_waitcnt lgkmcnt(0)
	v_cmp_neq_f64_e32 vcc, 0, v[97:98]
	v_cmp_neq_f64_e64 s[2:3], 0, v[99:100]
	s_or_b64 s[2:3], vcc, s[2:3]
	s_and_b64 exec, exec, s[2:3]
	s_cbranch_execz .LBB117_440
; %bb.435:
	v_cmp_ngt_f64_e64 s[2:3], |v[97:98]|, |v[99:100]|
                                        ; implicit-def: $vgpr101_vgpr102
	s_and_saveexec_b64 s[6:7], s[2:3]
	s_xor_b64 s[2:3], exec, s[6:7]
                                        ; implicit-def: $vgpr103_vgpr104
	s_cbranch_execz .LBB117_437
; %bb.436:
	v_div_scale_f64 v[101:102], s[6:7], v[99:100], v[99:100], v[97:98]
	v_rcp_f64_e32 v[103:104], v[101:102]
	v_fma_f64 v[105:106], -v[101:102], v[103:104], 1.0
	v_fma_f64 v[103:104], v[103:104], v[105:106], v[103:104]
	v_div_scale_f64 v[105:106], vcc, v[97:98], v[99:100], v[97:98]
	v_fma_f64 v[107:108], -v[101:102], v[103:104], 1.0
	v_fma_f64 v[103:104], v[103:104], v[107:108], v[103:104]
	v_mul_f64 v[107:108], v[105:106], v[103:104]
	v_fma_f64 v[101:102], -v[101:102], v[107:108], v[105:106]
	v_div_fmas_f64 v[101:102], v[101:102], v[103:104], v[107:108]
	v_div_fixup_f64 v[101:102], v[101:102], v[99:100], v[97:98]
	v_fma_f64 v[97:98], v[97:98], v[101:102], v[99:100]
	v_div_scale_f64 v[99:100], s[6:7], v[97:98], v[97:98], 1.0
	v_div_scale_f64 v[107:108], vcc, 1.0, v[97:98], 1.0
	v_rcp_f64_e32 v[103:104], v[99:100]
	v_fma_f64 v[105:106], -v[99:100], v[103:104], 1.0
	v_fma_f64 v[103:104], v[103:104], v[105:106], v[103:104]
	v_fma_f64 v[105:106], -v[99:100], v[103:104], 1.0
	v_fma_f64 v[103:104], v[103:104], v[105:106], v[103:104]
	v_mul_f64 v[105:106], v[107:108], v[103:104]
	v_fma_f64 v[99:100], -v[99:100], v[105:106], v[107:108]
	v_div_fmas_f64 v[99:100], v[99:100], v[103:104], v[105:106]
	v_div_fixup_f64 v[103:104], v[99:100], v[97:98], 1.0
                                        ; implicit-def: $vgpr97_vgpr98
	v_mul_f64 v[101:102], v[101:102], v[103:104]
	v_xor_b32_e32 v104, 0x80000000, v104
.LBB117_437:
	s_andn2_saveexec_b64 s[2:3], s[2:3]
	s_cbranch_execz .LBB117_439
; %bb.438:
	v_div_scale_f64 v[101:102], s[6:7], v[97:98], v[97:98], v[99:100]
	v_rcp_f64_e32 v[103:104], v[101:102]
	v_fma_f64 v[105:106], -v[101:102], v[103:104], 1.0
	v_fma_f64 v[103:104], v[103:104], v[105:106], v[103:104]
	v_div_scale_f64 v[105:106], vcc, v[99:100], v[97:98], v[99:100]
	v_fma_f64 v[107:108], -v[101:102], v[103:104], 1.0
	v_fma_f64 v[103:104], v[103:104], v[107:108], v[103:104]
	v_mul_f64 v[107:108], v[105:106], v[103:104]
	v_fma_f64 v[101:102], -v[101:102], v[107:108], v[105:106]
	v_div_fmas_f64 v[101:102], v[101:102], v[103:104], v[107:108]
	v_div_fixup_f64 v[103:104], v[101:102], v[97:98], v[99:100]
	v_fma_f64 v[97:98], v[99:100], v[103:104], v[97:98]
	v_div_scale_f64 v[99:100], s[6:7], v[97:98], v[97:98], 1.0
	v_div_scale_f64 v[107:108], vcc, 1.0, v[97:98], 1.0
	v_rcp_f64_e32 v[101:102], v[99:100]
	v_fma_f64 v[105:106], -v[99:100], v[101:102], 1.0
	v_fma_f64 v[101:102], v[101:102], v[105:106], v[101:102]
	v_fma_f64 v[105:106], -v[99:100], v[101:102], 1.0
	v_fma_f64 v[101:102], v[101:102], v[105:106], v[101:102]
	v_mul_f64 v[105:106], v[107:108], v[101:102]
	v_fma_f64 v[99:100], -v[99:100], v[105:106], v[107:108]
	v_div_fmas_f64 v[99:100], v[99:100], v[101:102], v[105:106]
	v_div_fixup_f64 v[101:102], v[99:100], v[97:98], 1.0
	v_mul_f64 v[103:104], v[103:104], -v[101:102]
.LBB117_439:
	s_or_b64 exec, exec, s[2:3]
	ds_write2_b64 v127, v[101:102], v[103:104] offset1:1
.LBB117_440:
	s_or_b64 exec, exec, s[4:5]
	s_waitcnt lgkmcnt(0)
	s_barrier
	ds_read2_b64 v[37:40], v127 offset1:1
	v_cmp_lt_u32_e32 vcc, 48, v0
	s_waitcnt lgkmcnt(0)
	buffer_store_dword v37, off, s[20:23], 0 offset:1792 ; 4-byte Folded Spill
	s_nop 0
	buffer_store_dword v38, off, s[20:23], 0 offset:1796 ; 4-byte Folded Spill
	buffer_store_dword v39, off, s[20:23], 0 offset:1800 ; 4-byte Folded Spill
	buffer_store_dword v40, off, s[20:23], 0 offset:1804 ; 4-byte Folded Spill
	s_and_saveexec_b64 s[2:3], vcc
	s_cbranch_execz .LBB117_442
; %bb.441:
	buffer_load_dword v37, off, s[20:23], 0 offset:32 ; 4-byte Folded Reload
	buffer_load_dword v38, off, s[20:23], 0 offset:36 ; 4-byte Folded Reload
	;; [unrolled: 1-line block ×8, first 2 shown]
	ds_read2_b64 v[99:102], v125 offset0:98 offset1:99
	buffer_load_dword v33, off, s[20:23], 0 offset:16 ; 4-byte Folded Reload
	buffer_load_dword v34, off, s[20:23], 0 offset:20 ; 4-byte Folded Reload
	buffer_load_dword v35, off, s[20:23], 0 offset:24 ; 4-byte Folded Reload
	buffer_load_dword v36, off, s[20:23], 0 offset:28 ; 4-byte Folded Reload
	s_waitcnt vmcnt(6)
	v_mul_f64 v[97:98], v[93:94], v[39:40]
	s_waitcnt vmcnt(4)
	v_mul_f64 v[39:40], v[95:96], v[39:40]
	v_fma_f64 v[97:98], v[95:96], v[37:38], v[97:98]
	v_fma_f64 v[37:38], v[93:94], v[37:38], -v[39:40]
	s_waitcnt lgkmcnt(0)
	v_mul_f64 v[39:40], v[101:102], v[97:98]
	v_fma_f64 v[39:40], v[99:100], v[37:38], -v[39:40]
	v_mul_f64 v[99:100], v[99:100], v[97:98]
	s_waitcnt vmcnt(2)
	v_add_f64 v[33:34], v[33:34], -v[39:40]
	v_fma_f64 v[99:100], v[101:102], v[37:38], v[99:100]
	s_waitcnt vmcnt(0)
	v_add_f64 v[35:36], v[35:36], -v[99:100]
	buffer_store_dword v33, off, s[20:23], 0 offset:16 ; 4-byte Folded Spill
	s_nop 0
	buffer_store_dword v34, off, s[20:23], 0 offset:20 ; 4-byte Folded Spill
	buffer_store_dword v35, off, s[20:23], 0 offset:24 ; 4-byte Folded Spill
	;; [unrolled: 1-line block ×3, first 2 shown]
	ds_read2_b64 v[99:102], v125 offset0:100 offset1:101
	s_waitcnt lgkmcnt(0)
	v_mul_f64 v[39:40], v[101:102], v[97:98]
	v_fma_f64 v[39:40], v[99:100], v[37:38], -v[39:40]
	v_mul_f64 v[99:100], v[99:100], v[97:98]
	v_add_f64 v[29:30], v[29:30], -v[39:40]
	v_fma_f64 v[99:100], v[101:102], v[37:38], v[99:100]
	v_add_f64 v[31:32], v[31:32], -v[99:100]
	ds_read2_b64 v[99:102], v125 offset0:102 offset1:103
	s_waitcnt lgkmcnt(0)
	v_mul_f64 v[39:40], v[101:102], v[97:98]
	v_fma_f64 v[39:40], v[99:100], v[37:38], -v[39:40]
	v_mul_f64 v[99:100], v[99:100], v[97:98]
	v_add_f64 v[25:26], v[25:26], -v[39:40]
	v_fma_f64 v[99:100], v[101:102], v[37:38], v[99:100]
	v_add_f64 v[27:28], v[27:28], -v[99:100]
	;; [unrolled: 8-line block ×8, first 2 shown]
	ds_read2_b64 v[99:102], v125 offset0:116 offset1:117
	buffer_load_dword v93, off, s[20:23], 0 ; 4-byte Folded Reload
	buffer_load_dword v94, off, s[20:23], 0 offset:4 ; 4-byte Folded Reload
	buffer_load_dword v95, off, s[20:23], 0 offset:8 ; 4-byte Folded Reload
	;; [unrolled: 1-line block ×3, first 2 shown]
	s_waitcnt lgkmcnt(0)
	v_mul_f64 v[39:40], v[101:102], v[97:98]
	v_fma_f64 v[39:40], v[99:100], v[37:38], -v[39:40]
	v_mul_f64 v[99:100], v[99:100], v[97:98]
	v_fma_f64 v[99:100], v[101:102], v[37:38], v[99:100]
	s_waitcnt vmcnt(2)
	v_add_f64 v[93:94], v[93:94], -v[39:40]
	v_mov_b32_e32 v39, v97
	s_waitcnt vmcnt(0)
	v_add_f64 v[95:96], v[95:96], -v[99:100]
	v_mov_b32_e32 v40, v98
	buffer_store_dword v93, off, s[20:23], 0 ; 4-byte Folded Spill
	s_nop 0
	buffer_store_dword v94, off, s[20:23], 0 offset:4 ; 4-byte Folded Spill
	buffer_store_dword v95, off, s[20:23], 0 offset:8 ; 4-byte Folded Spill
	;; [unrolled: 1-line block ×4, first 2 shown]
	s_nop 0
	buffer_store_dword v38, off, s[20:23], 0 offset:36 ; 4-byte Folded Spill
	buffer_store_dword v39, off, s[20:23], 0 offset:40 ; 4-byte Folded Spill
	;; [unrolled: 1-line block ×3, first 2 shown]
.LBB117_442:
	s_or_b64 exec, exec, s[2:3]
	v_cmp_eq_u32_e32 vcc, 49, v0
	s_waitcnt vmcnt(0)
	s_barrier
	s_and_saveexec_b64 s[4:5], vcc
	s_cbranch_execz .LBB117_449
; %bb.443:
	buffer_load_dword v33, off, s[20:23], 0 offset:16 ; 4-byte Folded Reload
	buffer_load_dword v34, off, s[20:23], 0 offset:20 ; 4-byte Folded Reload
	;; [unrolled: 1-line block ×4, first 2 shown]
	s_waitcnt vmcnt(0)
	ds_write2_b64 v127, v[33:34], v[35:36] offset1:1
	ds_write2_b64 v125, v[29:30], v[31:32] offset0:100 offset1:101
	ds_write2_b64 v125, v[25:26], v[27:28] offset0:102 offset1:103
	;; [unrolled: 1-line block ×8, first 2 shown]
	buffer_load_dword v37, off, s[20:23], 0 ; 4-byte Folded Reload
	buffer_load_dword v38, off, s[20:23], 0 offset:4 ; 4-byte Folded Reload
	buffer_load_dword v39, off, s[20:23], 0 offset:8 ; 4-byte Folded Reload
	;; [unrolled: 1-line block ×3, first 2 shown]
	s_waitcnt vmcnt(0)
	ds_write2_b64 v125, v[37:38], v[39:40] offset0:116 offset1:117
	ds_read2_b64 v[97:100], v127 offset1:1
	s_waitcnt lgkmcnt(0)
	v_cmp_neq_f64_e32 vcc, 0, v[97:98]
	v_cmp_neq_f64_e64 s[2:3], 0, v[99:100]
	s_or_b64 s[2:3], vcc, s[2:3]
	s_and_b64 exec, exec, s[2:3]
	s_cbranch_execz .LBB117_449
; %bb.444:
	v_cmp_ngt_f64_e64 s[2:3], |v[97:98]|, |v[99:100]|
                                        ; implicit-def: $vgpr101_vgpr102
	s_and_saveexec_b64 s[6:7], s[2:3]
	s_xor_b64 s[2:3], exec, s[6:7]
                                        ; implicit-def: $vgpr103_vgpr104
	s_cbranch_execz .LBB117_446
; %bb.445:
	v_div_scale_f64 v[101:102], s[6:7], v[99:100], v[99:100], v[97:98]
	v_rcp_f64_e32 v[103:104], v[101:102]
	v_fma_f64 v[105:106], -v[101:102], v[103:104], 1.0
	v_fma_f64 v[103:104], v[103:104], v[105:106], v[103:104]
	v_div_scale_f64 v[105:106], vcc, v[97:98], v[99:100], v[97:98]
	v_fma_f64 v[107:108], -v[101:102], v[103:104], 1.0
	v_fma_f64 v[103:104], v[103:104], v[107:108], v[103:104]
	v_mul_f64 v[107:108], v[105:106], v[103:104]
	v_fma_f64 v[101:102], -v[101:102], v[107:108], v[105:106]
	v_div_fmas_f64 v[101:102], v[101:102], v[103:104], v[107:108]
	v_div_fixup_f64 v[101:102], v[101:102], v[99:100], v[97:98]
	v_fma_f64 v[97:98], v[97:98], v[101:102], v[99:100]
	v_div_scale_f64 v[99:100], s[6:7], v[97:98], v[97:98], 1.0
	v_div_scale_f64 v[107:108], vcc, 1.0, v[97:98], 1.0
	v_rcp_f64_e32 v[103:104], v[99:100]
	v_fma_f64 v[105:106], -v[99:100], v[103:104], 1.0
	v_fma_f64 v[103:104], v[103:104], v[105:106], v[103:104]
	v_fma_f64 v[105:106], -v[99:100], v[103:104], 1.0
	v_fma_f64 v[103:104], v[103:104], v[105:106], v[103:104]
	v_mul_f64 v[105:106], v[107:108], v[103:104]
	v_fma_f64 v[99:100], -v[99:100], v[105:106], v[107:108]
	v_div_fmas_f64 v[99:100], v[99:100], v[103:104], v[105:106]
	v_div_fixup_f64 v[103:104], v[99:100], v[97:98], 1.0
                                        ; implicit-def: $vgpr97_vgpr98
	v_mul_f64 v[101:102], v[101:102], v[103:104]
	v_xor_b32_e32 v104, 0x80000000, v104
.LBB117_446:
	s_andn2_saveexec_b64 s[2:3], s[2:3]
	s_cbranch_execz .LBB117_448
; %bb.447:
	v_div_scale_f64 v[101:102], s[6:7], v[97:98], v[97:98], v[99:100]
	v_rcp_f64_e32 v[103:104], v[101:102]
	v_fma_f64 v[105:106], -v[101:102], v[103:104], 1.0
	v_fma_f64 v[103:104], v[103:104], v[105:106], v[103:104]
	v_div_scale_f64 v[105:106], vcc, v[99:100], v[97:98], v[99:100]
	v_fma_f64 v[107:108], -v[101:102], v[103:104], 1.0
	v_fma_f64 v[103:104], v[103:104], v[107:108], v[103:104]
	v_mul_f64 v[107:108], v[105:106], v[103:104]
	v_fma_f64 v[101:102], -v[101:102], v[107:108], v[105:106]
	v_div_fmas_f64 v[101:102], v[101:102], v[103:104], v[107:108]
	v_div_fixup_f64 v[103:104], v[101:102], v[97:98], v[99:100]
	v_fma_f64 v[97:98], v[99:100], v[103:104], v[97:98]
	v_div_scale_f64 v[99:100], s[6:7], v[97:98], v[97:98], 1.0
	v_div_scale_f64 v[107:108], vcc, 1.0, v[97:98], 1.0
	v_rcp_f64_e32 v[101:102], v[99:100]
	v_fma_f64 v[105:106], -v[99:100], v[101:102], 1.0
	v_fma_f64 v[101:102], v[101:102], v[105:106], v[101:102]
	v_fma_f64 v[105:106], -v[99:100], v[101:102], 1.0
	v_fma_f64 v[101:102], v[101:102], v[105:106], v[101:102]
	v_mul_f64 v[105:106], v[107:108], v[101:102]
	v_fma_f64 v[99:100], -v[99:100], v[105:106], v[107:108]
	v_div_fmas_f64 v[99:100], v[99:100], v[101:102], v[105:106]
	v_div_fixup_f64 v[101:102], v[99:100], v[97:98], 1.0
	v_mul_f64 v[103:104], v[103:104], -v[101:102]
.LBB117_448:
	s_or_b64 exec, exec, s[2:3]
	ds_write2_b64 v127, v[101:102], v[103:104] offset1:1
.LBB117_449:
	s_or_b64 exec, exec, s[4:5]
	s_waitcnt lgkmcnt(0)
	s_barrier
	ds_read2_b64 v[37:40], v127 offset1:1
	v_cmp_lt_u32_e32 vcc, 49, v0
	s_waitcnt lgkmcnt(0)
	buffer_store_dword v37, off, s[20:23], 0 offset:1808 ; 4-byte Folded Spill
	s_nop 0
	buffer_store_dword v38, off, s[20:23], 0 offset:1812 ; 4-byte Folded Spill
	buffer_store_dword v39, off, s[20:23], 0 offset:1816 ; 4-byte Folded Spill
	;; [unrolled: 1-line block ×3, first 2 shown]
	s_and_saveexec_b64 s[2:3], vcc
	s_cbranch_execz .LBB117_451
; %bb.450:
	buffer_load_dword v37, off, s[20:23], 0 offset:1808 ; 4-byte Folded Reload
	buffer_load_dword v38, off, s[20:23], 0 offset:1812 ; 4-byte Folded Reload
	;; [unrolled: 1-line block ×8, first 2 shown]
	ds_read2_b64 v[99:102], v125 offset0:100 offset1:101
	s_waitcnt vmcnt(0)
	v_mul_f64 v[97:98], v[37:38], v[35:36]
	v_mul_f64 v[35:36], v[39:40], v[35:36]
	v_fma_f64 v[97:98], v[39:40], v[33:34], v[97:98]
	v_fma_f64 v[33:34], v[37:38], v[33:34], -v[35:36]
	s_waitcnt lgkmcnt(0)
	v_mul_f64 v[35:36], v[101:102], v[97:98]
	v_fma_f64 v[35:36], v[99:100], v[33:34], -v[35:36]
	v_mul_f64 v[99:100], v[99:100], v[97:98]
	v_add_f64 v[29:30], v[29:30], -v[35:36]
	v_fma_f64 v[99:100], v[101:102], v[33:34], v[99:100]
	v_add_f64 v[31:32], v[31:32], -v[99:100]
	ds_read2_b64 v[99:102], v125 offset0:102 offset1:103
	s_waitcnt lgkmcnt(0)
	v_mul_f64 v[35:36], v[101:102], v[97:98]
	v_fma_f64 v[35:36], v[99:100], v[33:34], -v[35:36]
	v_mul_f64 v[99:100], v[99:100], v[97:98]
	v_add_f64 v[25:26], v[25:26], -v[35:36]
	v_fma_f64 v[99:100], v[101:102], v[33:34], v[99:100]
	v_add_f64 v[27:28], v[27:28], -v[99:100]
	ds_read2_b64 v[99:102], v125 offset0:104 offset1:105
	;; [unrolled: 8-line block ×8, first 2 shown]
	buffer_load_dword v37, off, s[20:23], 0 ; 4-byte Folded Reload
	buffer_load_dword v38, off, s[20:23], 0 offset:4 ; 4-byte Folded Reload
	buffer_load_dword v39, off, s[20:23], 0 offset:8 ; 4-byte Folded Reload
	;; [unrolled: 1-line block ×3, first 2 shown]
	s_waitcnt lgkmcnt(0)
	v_mul_f64 v[35:36], v[101:102], v[97:98]
	v_fma_f64 v[35:36], v[99:100], v[33:34], -v[35:36]
	v_mul_f64 v[99:100], v[99:100], v[97:98]
	v_fma_f64 v[99:100], v[101:102], v[33:34], v[99:100]
	s_waitcnt vmcnt(2)
	v_add_f64 v[37:38], v[37:38], -v[35:36]
	v_mov_b32_e32 v35, v97
	s_waitcnt vmcnt(0)
	v_add_f64 v[39:40], v[39:40], -v[99:100]
	v_mov_b32_e32 v36, v98
	buffer_store_dword v37, off, s[20:23], 0 ; 4-byte Folded Spill
	s_nop 0
	buffer_store_dword v38, off, s[20:23], 0 offset:4 ; 4-byte Folded Spill
	buffer_store_dword v39, off, s[20:23], 0 offset:8 ; 4-byte Folded Spill
	;; [unrolled: 1-line block ×4, first 2 shown]
	s_nop 0
	buffer_store_dword v34, off, s[20:23], 0 offset:20 ; 4-byte Folded Spill
	buffer_store_dword v35, off, s[20:23], 0 offset:24 ; 4-byte Folded Spill
	;; [unrolled: 1-line block ×3, first 2 shown]
.LBB117_451:
	s_or_b64 exec, exec, s[2:3]
	v_cmp_eq_u32_e32 vcc, 50, v0
	s_waitcnt vmcnt(0)
	s_barrier
	s_and_saveexec_b64 s[4:5], vcc
	s_cbranch_execz .LBB117_458
; %bb.452:
	ds_write2_b64 v127, v[29:30], v[31:32] offset1:1
	ds_write2_b64 v125, v[25:26], v[27:28] offset0:102 offset1:103
	ds_write2_b64 v125, v[21:22], v[23:24] offset0:104 offset1:105
	;; [unrolled: 1-line block ×7, first 2 shown]
	buffer_load_dword v37, off, s[20:23], 0 ; 4-byte Folded Reload
	buffer_load_dword v38, off, s[20:23], 0 offset:4 ; 4-byte Folded Reload
	buffer_load_dword v39, off, s[20:23], 0 offset:8 ; 4-byte Folded Reload
	;; [unrolled: 1-line block ×3, first 2 shown]
	s_waitcnt vmcnt(0)
	ds_write2_b64 v125, v[37:38], v[39:40] offset0:116 offset1:117
	ds_read2_b64 v[97:100], v127 offset1:1
	s_waitcnt lgkmcnt(0)
	v_cmp_neq_f64_e32 vcc, 0, v[97:98]
	v_cmp_neq_f64_e64 s[2:3], 0, v[99:100]
	s_or_b64 s[2:3], vcc, s[2:3]
	s_and_b64 exec, exec, s[2:3]
	s_cbranch_execz .LBB117_458
; %bb.453:
	v_cmp_ngt_f64_e64 s[2:3], |v[97:98]|, |v[99:100]|
                                        ; implicit-def: $vgpr101_vgpr102
	s_and_saveexec_b64 s[6:7], s[2:3]
	s_xor_b64 s[2:3], exec, s[6:7]
                                        ; implicit-def: $vgpr103_vgpr104
	s_cbranch_execz .LBB117_455
; %bb.454:
	v_div_scale_f64 v[101:102], s[6:7], v[99:100], v[99:100], v[97:98]
	v_rcp_f64_e32 v[103:104], v[101:102]
	v_fma_f64 v[105:106], -v[101:102], v[103:104], 1.0
	v_fma_f64 v[103:104], v[103:104], v[105:106], v[103:104]
	v_div_scale_f64 v[105:106], vcc, v[97:98], v[99:100], v[97:98]
	v_fma_f64 v[107:108], -v[101:102], v[103:104], 1.0
	v_fma_f64 v[103:104], v[103:104], v[107:108], v[103:104]
	v_mul_f64 v[107:108], v[105:106], v[103:104]
	v_fma_f64 v[101:102], -v[101:102], v[107:108], v[105:106]
	v_div_fmas_f64 v[101:102], v[101:102], v[103:104], v[107:108]
	v_div_fixup_f64 v[101:102], v[101:102], v[99:100], v[97:98]
	v_fma_f64 v[97:98], v[97:98], v[101:102], v[99:100]
	v_div_scale_f64 v[99:100], s[6:7], v[97:98], v[97:98], 1.0
	v_div_scale_f64 v[107:108], vcc, 1.0, v[97:98], 1.0
	v_rcp_f64_e32 v[103:104], v[99:100]
	v_fma_f64 v[105:106], -v[99:100], v[103:104], 1.0
	v_fma_f64 v[103:104], v[103:104], v[105:106], v[103:104]
	v_fma_f64 v[105:106], -v[99:100], v[103:104], 1.0
	v_fma_f64 v[103:104], v[103:104], v[105:106], v[103:104]
	v_mul_f64 v[105:106], v[107:108], v[103:104]
	v_fma_f64 v[99:100], -v[99:100], v[105:106], v[107:108]
	v_div_fmas_f64 v[99:100], v[99:100], v[103:104], v[105:106]
	v_div_fixup_f64 v[103:104], v[99:100], v[97:98], 1.0
                                        ; implicit-def: $vgpr97_vgpr98
	v_mul_f64 v[101:102], v[101:102], v[103:104]
	v_xor_b32_e32 v104, 0x80000000, v104
.LBB117_455:
	s_andn2_saveexec_b64 s[2:3], s[2:3]
	s_cbranch_execz .LBB117_457
; %bb.456:
	v_div_scale_f64 v[101:102], s[6:7], v[97:98], v[97:98], v[99:100]
	v_rcp_f64_e32 v[103:104], v[101:102]
	v_fma_f64 v[105:106], -v[101:102], v[103:104], 1.0
	v_fma_f64 v[103:104], v[103:104], v[105:106], v[103:104]
	v_div_scale_f64 v[105:106], vcc, v[99:100], v[97:98], v[99:100]
	v_fma_f64 v[107:108], -v[101:102], v[103:104], 1.0
	v_fma_f64 v[103:104], v[103:104], v[107:108], v[103:104]
	v_mul_f64 v[107:108], v[105:106], v[103:104]
	v_fma_f64 v[101:102], -v[101:102], v[107:108], v[105:106]
	v_div_fmas_f64 v[101:102], v[101:102], v[103:104], v[107:108]
	v_div_fixup_f64 v[103:104], v[101:102], v[97:98], v[99:100]
	v_fma_f64 v[97:98], v[99:100], v[103:104], v[97:98]
	v_div_scale_f64 v[99:100], s[6:7], v[97:98], v[97:98], 1.0
	v_div_scale_f64 v[107:108], vcc, 1.0, v[97:98], 1.0
	v_rcp_f64_e32 v[101:102], v[99:100]
	v_fma_f64 v[105:106], -v[99:100], v[101:102], 1.0
	v_fma_f64 v[101:102], v[101:102], v[105:106], v[101:102]
	v_fma_f64 v[105:106], -v[99:100], v[101:102], 1.0
	v_fma_f64 v[101:102], v[101:102], v[105:106], v[101:102]
	v_mul_f64 v[105:106], v[107:108], v[101:102]
	v_fma_f64 v[99:100], -v[99:100], v[105:106], v[107:108]
	v_div_fmas_f64 v[99:100], v[99:100], v[101:102], v[105:106]
	v_div_fixup_f64 v[101:102], v[99:100], v[97:98], 1.0
	v_mul_f64 v[103:104], v[103:104], -v[101:102]
.LBB117_457:
	s_or_b64 exec, exec, s[2:3]
	ds_write2_b64 v127, v[101:102], v[103:104] offset1:1
.LBB117_458:
	s_or_b64 exec, exec, s[4:5]
	s_waitcnt lgkmcnt(0)
	s_barrier
	ds_read2_b64 v[37:40], v127 offset1:1
	v_cmp_lt_u32_e32 vcc, 50, v0
	s_waitcnt lgkmcnt(0)
	buffer_store_dword v37, off, s[20:23], 0 offset:1824 ; 4-byte Folded Spill
	s_nop 0
	buffer_store_dword v38, off, s[20:23], 0 offset:1828 ; 4-byte Folded Spill
	buffer_store_dword v39, off, s[20:23], 0 offset:1832 ; 4-byte Folded Spill
	;; [unrolled: 1-line block ×3, first 2 shown]
	s_and_saveexec_b64 s[2:3], vcc
	s_cbranch_execz .LBB117_460
; %bb.459:
	buffer_load_dword v37, off, s[20:23], 0 offset:1824 ; 4-byte Folded Reload
	buffer_load_dword v38, off, s[20:23], 0 offset:1828 ; 4-byte Folded Reload
	;; [unrolled: 1-line block ×4, first 2 shown]
	ds_read2_b64 v[99:102], v125 offset0:102 offset1:103
	s_waitcnt vmcnt(2)
	v_mul_f64 v[97:98], v[37:38], v[31:32]
	s_waitcnt vmcnt(0)
	v_mul_f64 v[31:32], v[39:40], v[31:32]
	v_fma_f64 v[97:98], v[39:40], v[29:30], v[97:98]
	v_fma_f64 v[29:30], v[37:38], v[29:30], -v[31:32]
	s_waitcnt lgkmcnt(0)
	v_mul_f64 v[31:32], v[101:102], v[97:98]
	v_fma_f64 v[31:32], v[99:100], v[29:30], -v[31:32]
	v_mul_f64 v[99:100], v[99:100], v[97:98]
	v_add_f64 v[25:26], v[25:26], -v[31:32]
	v_fma_f64 v[99:100], v[101:102], v[29:30], v[99:100]
	v_add_f64 v[27:28], v[27:28], -v[99:100]
	ds_read2_b64 v[99:102], v125 offset0:104 offset1:105
	s_waitcnt lgkmcnt(0)
	v_mul_f64 v[31:32], v[101:102], v[97:98]
	v_fma_f64 v[31:32], v[99:100], v[29:30], -v[31:32]
	v_mul_f64 v[99:100], v[99:100], v[97:98]
	v_add_f64 v[21:22], v[21:22], -v[31:32]
	v_fma_f64 v[99:100], v[101:102], v[29:30], v[99:100]
	v_add_f64 v[23:24], v[23:24], -v[99:100]
	ds_read2_b64 v[99:102], v125 offset0:106 offset1:107
	;; [unrolled: 8-line block ×7, first 2 shown]
	buffer_load_dword v37, off, s[20:23], 0 ; 4-byte Folded Reload
	buffer_load_dword v38, off, s[20:23], 0 offset:4 ; 4-byte Folded Reload
	buffer_load_dword v39, off, s[20:23], 0 offset:8 ; 4-byte Folded Reload
	;; [unrolled: 1-line block ×3, first 2 shown]
	s_waitcnt lgkmcnt(0)
	v_mul_f64 v[31:32], v[101:102], v[97:98]
	v_fma_f64 v[31:32], v[99:100], v[29:30], -v[31:32]
	v_mul_f64 v[99:100], v[99:100], v[97:98]
	v_fma_f64 v[99:100], v[101:102], v[29:30], v[99:100]
	s_waitcnt vmcnt(2)
	v_add_f64 v[37:38], v[37:38], -v[31:32]
	v_mov_b32_e32 v31, v97
	s_waitcnt vmcnt(0)
	v_add_f64 v[39:40], v[39:40], -v[99:100]
	v_mov_b32_e32 v32, v98
	buffer_store_dword v37, off, s[20:23], 0 ; 4-byte Folded Spill
	s_nop 0
	buffer_store_dword v38, off, s[20:23], 0 offset:4 ; 4-byte Folded Spill
	buffer_store_dword v39, off, s[20:23], 0 offset:8 ; 4-byte Folded Spill
	;; [unrolled: 1-line block ×3, first 2 shown]
.LBB117_460:
	s_or_b64 exec, exec, s[2:3]
	v_cmp_eq_u32_e32 vcc, 51, v0
	s_waitcnt vmcnt(0)
	s_barrier
	s_and_saveexec_b64 s[4:5], vcc
	s_cbranch_execz .LBB117_467
; %bb.461:
	ds_write2_b64 v127, v[25:26], v[27:28] offset1:1
	ds_write2_b64 v125, v[21:22], v[23:24] offset0:104 offset1:105
	ds_write2_b64 v125, v[17:18], v[19:20] offset0:106 offset1:107
	;; [unrolled: 1-line block ×6, first 2 shown]
	buffer_load_dword v37, off, s[20:23], 0 ; 4-byte Folded Reload
	buffer_load_dword v38, off, s[20:23], 0 offset:4 ; 4-byte Folded Reload
	buffer_load_dword v39, off, s[20:23], 0 offset:8 ; 4-byte Folded Reload
	;; [unrolled: 1-line block ×3, first 2 shown]
	s_waitcnt vmcnt(0)
	ds_write2_b64 v125, v[37:38], v[39:40] offset0:116 offset1:117
	ds_read2_b64 v[97:100], v127 offset1:1
	s_waitcnt lgkmcnt(0)
	v_cmp_neq_f64_e32 vcc, 0, v[97:98]
	v_cmp_neq_f64_e64 s[2:3], 0, v[99:100]
	s_or_b64 s[2:3], vcc, s[2:3]
	s_and_b64 exec, exec, s[2:3]
	s_cbranch_execz .LBB117_467
; %bb.462:
	v_cmp_ngt_f64_e64 s[2:3], |v[97:98]|, |v[99:100]|
                                        ; implicit-def: $vgpr101_vgpr102
	s_and_saveexec_b64 s[6:7], s[2:3]
	s_xor_b64 s[2:3], exec, s[6:7]
                                        ; implicit-def: $vgpr103_vgpr104
	s_cbranch_execz .LBB117_464
; %bb.463:
	v_div_scale_f64 v[101:102], s[6:7], v[99:100], v[99:100], v[97:98]
	v_rcp_f64_e32 v[103:104], v[101:102]
	v_fma_f64 v[105:106], -v[101:102], v[103:104], 1.0
	v_fma_f64 v[103:104], v[103:104], v[105:106], v[103:104]
	v_div_scale_f64 v[105:106], vcc, v[97:98], v[99:100], v[97:98]
	v_fma_f64 v[107:108], -v[101:102], v[103:104], 1.0
	v_fma_f64 v[103:104], v[103:104], v[107:108], v[103:104]
	v_mul_f64 v[107:108], v[105:106], v[103:104]
	v_fma_f64 v[101:102], -v[101:102], v[107:108], v[105:106]
	v_div_fmas_f64 v[101:102], v[101:102], v[103:104], v[107:108]
	v_div_fixup_f64 v[101:102], v[101:102], v[99:100], v[97:98]
	v_fma_f64 v[97:98], v[97:98], v[101:102], v[99:100]
	v_div_scale_f64 v[99:100], s[6:7], v[97:98], v[97:98], 1.0
	v_div_scale_f64 v[107:108], vcc, 1.0, v[97:98], 1.0
	v_rcp_f64_e32 v[103:104], v[99:100]
	v_fma_f64 v[105:106], -v[99:100], v[103:104], 1.0
	v_fma_f64 v[103:104], v[103:104], v[105:106], v[103:104]
	v_fma_f64 v[105:106], -v[99:100], v[103:104], 1.0
	v_fma_f64 v[103:104], v[103:104], v[105:106], v[103:104]
	v_mul_f64 v[105:106], v[107:108], v[103:104]
	v_fma_f64 v[99:100], -v[99:100], v[105:106], v[107:108]
	v_div_fmas_f64 v[99:100], v[99:100], v[103:104], v[105:106]
	v_div_fixup_f64 v[103:104], v[99:100], v[97:98], 1.0
                                        ; implicit-def: $vgpr97_vgpr98
	v_mul_f64 v[101:102], v[101:102], v[103:104]
	v_xor_b32_e32 v104, 0x80000000, v104
.LBB117_464:
	s_andn2_saveexec_b64 s[2:3], s[2:3]
	s_cbranch_execz .LBB117_466
; %bb.465:
	v_div_scale_f64 v[101:102], s[6:7], v[97:98], v[97:98], v[99:100]
	v_rcp_f64_e32 v[103:104], v[101:102]
	v_fma_f64 v[105:106], -v[101:102], v[103:104], 1.0
	v_fma_f64 v[103:104], v[103:104], v[105:106], v[103:104]
	v_div_scale_f64 v[105:106], vcc, v[99:100], v[97:98], v[99:100]
	v_fma_f64 v[107:108], -v[101:102], v[103:104], 1.0
	v_fma_f64 v[103:104], v[103:104], v[107:108], v[103:104]
	v_mul_f64 v[107:108], v[105:106], v[103:104]
	v_fma_f64 v[101:102], -v[101:102], v[107:108], v[105:106]
	v_div_fmas_f64 v[101:102], v[101:102], v[103:104], v[107:108]
	v_div_fixup_f64 v[103:104], v[101:102], v[97:98], v[99:100]
	v_fma_f64 v[97:98], v[99:100], v[103:104], v[97:98]
	v_div_scale_f64 v[99:100], s[6:7], v[97:98], v[97:98], 1.0
	v_div_scale_f64 v[107:108], vcc, 1.0, v[97:98], 1.0
	v_rcp_f64_e32 v[101:102], v[99:100]
	v_fma_f64 v[105:106], -v[99:100], v[101:102], 1.0
	v_fma_f64 v[101:102], v[101:102], v[105:106], v[101:102]
	v_fma_f64 v[105:106], -v[99:100], v[101:102], 1.0
	v_fma_f64 v[101:102], v[101:102], v[105:106], v[101:102]
	v_mul_f64 v[105:106], v[107:108], v[101:102]
	v_fma_f64 v[99:100], -v[99:100], v[105:106], v[107:108]
	v_div_fmas_f64 v[99:100], v[99:100], v[101:102], v[105:106]
	v_div_fixup_f64 v[101:102], v[99:100], v[97:98], 1.0
	v_mul_f64 v[103:104], v[103:104], -v[101:102]
.LBB117_466:
	s_or_b64 exec, exec, s[2:3]
	ds_write2_b64 v127, v[101:102], v[103:104] offset1:1
.LBB117_467:
	s_or_b64 exec, exec, s[4:5]
	s_waitcnt lgkmcnt(0)
	s_barrier
	ds_read2_b64 v[37:40], v127 offset1:1
	v_cmp_lt_u32_e32 vcc, 51, v0
	s_waitcnt lgkmcnt(0)
	buffer_store_dword v37, off, s[20:23], 0 offset:1840 ; 4-byte Folded Spill
	s_nop 0
	buffer_store_dword v38, off, s[20:23], 0 offset:1844 ; 4-byte Folded Spill
	buffer_store_dword v39, off, s[20:23], 0 offset:1848 ; 4-byte Folded Spill
	;; [unrolled: 1-line block ×3, first 2 shown]
	s_and_saveexec_b64 s[2:3], vcc
	s_cbranch_execz .LBB117_469
; %bb.468:
	buffer_load_dword v37, off, s[20:23], 0 offset:1840 ; 4-byte Folded Reload
	buffer_load_dword v38, off, s[20:23], 0 offset:1844 ; 4-byte Folded Reload
	;; [unrolled: 1-line block ×4, first 2 shown]
	ds_read2_b64 v[99:102], v125 offset0:104 offset1:105
	s_waitcnt vmcnt(2)
	v_mul_f64 v[97:98], v[37:38], v[27:28]
	s_waitcnt vmcnt(0)
	v_mul_f64 v[27:28], v[39:40], v[27:28]
	v_fma_f64 v[97:98], v[39:40], v[25:26], v[97:98]
	v_fma_f64 v[25:26], v[37:38], v[25:26], -v[27:28]
	s_waitcnt lgkmcnt(0)
	v_mul_f64 v[27:28], v[101:102], v[97:98]
	v_fma_f64 v[27:28], v[99:100], v[25:26], -v[27:28]
	v_mul_f64 v[99:100], v[99:100], v[97:98]
	v_add_f64 v[21:22], v[21:22], -v[27:28]
	v_fma_f64 v[99:100], v[101:102], v[25:26], v[99:100]
	v_add_f64 v[23:24], v[23:24], -v[99:100]
	ds_read2_b64 v[99:102], v125 offset0:106 offset1:107
	s_waitcnt lgkmcnt(0)
	v_mul_f64 v[27:28], v[101:102], v[97:98]
	v_fma_f64 v[27:28], v[99:100], v[25:26], -v[27:28]
	v_mul_f64 v[99:100], v[99:100], v[97:98]
	v_add_f64 v[17:18], v[17:18], -v[27:28]
	v_fma_f64 v[99:100], v[101:102], v[25:26], v[99:100]
	v_add_f64 v[19:20], v[19:20], -v[99:100]
	ds_read2_b64 v[99:102], v125 offset0:108 offset1:109
	;; [unrolled: 8-line block ×6, first 2 shown]
	buffer_load_dword v37, off, s[20:23], 0 ; 4-byte Folded Reload
	buffer_load_dword v38, off, s[20:23], 0 offset:4 ; 4-byte Folded Reload
	buffer_load_dword v39, off, s[20:23], 0 offset:8 ; 4-byte Folded Reload
	;; [unrolled: 1-line block ×3, first 2 shown]
	s_waitcnt lgkmcnt(0)
	v_mul_f64 v[27:28], v[101:102], v[97:98]
	v_fma_f64 v[27:28], v[99:100], v[25:26], -v[27:28]
	v_mul_f64 v[99:100], v[99:100], v[97:98]
	v_fma_f64 v[99:100], v[101:102], v[25:26], v[99:100]
	s_waitcnt vmcnt(2)
	v_add_f64 v[37:38], v[37:38], -v[27:28]
	v_mov_b32_e32 v27, v97
	s_waitcnt vmcnt(0)
	v_add_f64 v[39:40], v[39:40], -v[99:100]
	v_mov_b32_e32 v28, v98
	buffer_store_dword v37, off, s[20:23], 0 ; 4-byte Folded Spill
	s_nop 0
	buffer_store_dword v38, off, s[20:23], 0 offset:4 ; 4-byte Folded Spill
	buffer_store_dword v39, off, s[20:23], 0 offset:8 ; 4-byte Folded Spill
	;; [unrolled: 1-line block ×3, first 2 shown]
.LBB117_469:
	s_or_b64 exec, exec, s[2:3]
	v_cmp_eq_u32_e32 vcc, 52, v0
	s_waitcnt vmcnt(0)
	s_barrier
	s_and_saveexec_b64 s[4:5], vcc
	s_cbranch_execz .LBB117_476
; %bb.470:
	ds_write2_b64 v127, v[21:22], v[23:24] offset1:1
	ds_write2_b64 v125, v[17:18], v[19:20] offset0:106 offset1:107
	ds_write2_b64 v125, v[13:14], v[15:16] offset0:108 offset1:109
	ds_write2_b64 v125, v[9:10], v[11:12] offset0:110 offset1:111
	ds_write2_b64 v125, v[5:6], v[7:8] offset0:112 offset1:113
	ds_write2_b64 v125, v[1:2], v[3:4] offset0:114 offset1:115
	buffer_load_dword v37, off, s[20:23], 0 ; 4-byte Folded Reload
	buffer_load_dword v38, off, s[20:23], 0 offset:4 ; 4-byte Folded Reload
	buffer_load_dword v39, off, s[20:23], 0 offset:8 ; 4-byte Folded Reload
	;; [unrolled: 1-line block ×3, first 2 shown]
	s_waitcnt vmcnt(0)
	ds_write2_b64 v125, v[37:38], v[39:40] offset0:116 offset1:117
	ds_read2_b64 v[97:100], v127 offset1:1
	s_waitcnt lgkmcnt(0)
	v_cmp_neq_f64_e32 vcc, 0, v[97:98]
	v_cmp_neq_f64_e64 s[2:3], 0, v[99:100]
	s_or_b64 s[2:3], vcc, s[2:3]
	s_and_b64 exec, exec, s[2:3]
	s_cbranch_execz .LBB117_476
; %bb.471:
	v_cmp_ngt_f64_e64 s[2:3], |v[97:98]|, |v[99:100]|
                                        ; implicit-def: $vgpr101_vgpr102
	s_and_saveexec_b64 s[6:7], s[2:3]
	s_xor_b64 s[2:3], exec, s[6:7]
                                        ; implicit-def: $vgpr103_vgpr104
	s_cbranch_execz .LBB117_473
; %bb.472:
	v_div_scale_f64 v[101:102], s[6:7], v[99:100], v[99:100], v[97:98]
	v_rcp_f64_e32 v[103:104], v[101:102]
	v_fma_f64 v[105:106], -v[101:102], v[103:104], 1.0
	v_fma_f64 v[103:104], v[103:104], v[105:106], v[103:104]
	v_div_scale_f64 v[105:106], vcc, v[97:98], v[99:100], v[97:98]
	v_fma_f64 v[107:108], -v[101:102], v[103:104], 1.0
	v_fma_f64 v[103:104], v[103:104], v[107:108], v[103:104]
	v_mul_f64 v[107:108], v[105:106], v[103:104]
	v_fma_f64 v[101:102], -v[101:102], v[107:108], v[105:106]
	v_div_fmas_f64 v[101:102], v[101:102], v[103:104], v[107:108]
	v_div_fixup_f64 v[101:102], v[101:102], v[99:100], v[97:98]
	v_fma_f64 v[97:98], v[97:98], v[101:102], v[99:100]
	v_div_scale_f64 v[99:100], s[6:7], v[97:98], v[97:98], 1.0
	v_div_scale_f64 v[107:108], vcc, 1.0, v[97:98], 1.0
	v_rcp_f64_e32 v[103:104], v[99:100]
	v_fma_f64 v[105:106], -v[99:100], v[103:104], 1.0
	v_fma_f64 v[103:104], v[103:104], v[105:106], v[103:104]
	v_fma_f64 v[105:106], -v[99:100], v[103:104], 1.0
	v_fma_f64 v[103:104], v[103:104], v[105:106], v[103:104]
	v_mul_f64 v[105:106], v[107:108], v[103:104]
	v_fma_f64 v[99:100], -v[99:100], v[105:106], v[107:108]
	v_div_fmas_f64 v[99:100], v[99:100], v[103:104], v[105:106]
	v_div_fixup_f64 v[103:104], v[99:100], v[97:98], 1.0
                                        ; implicit-def: $vgpr97_vgpr98
	v_mul_f64 v[101:102], v[101:102], v[103:104]
	v_xor_b32_e32 v104, 0x80000000, v104
.LBB117_473:
	s_andn2_saveexec_b64 s[2:3], s[2:3]
	s_cbranch_execz .LBB117_475
; %bb.474:
	v_div_scale_f64 v[101:102], s[6:7], v[97:98], v[97:98], v[99:100]
	v_rcp_f64_e32 v[103:104], v[101:102]
	v_fma_f64 v[105:106], -v[101:102], v[103:104], 1.0
	v_fma_f64 v[103:104], v[103:104], v[105:106], v[103:104]
	v_div_scale_f64 v[105:106], vcc, v[99:100], v[97:98], v[99:100]
	v_fma_f64 v[107:108], -v[101:102], v[103:104], 1.0
	v_fma_f64 v[103:104], v[103:104], v[107:108], v[103:104]
	v_mul_f64 v[107:108], v[105:106], v[103:104]
	v_fma_f64 v[101:102], -v[101:102], v[107:108], v[105:106]
	v_div_fmas_f64 v[101:102], v[101:102], v[103:104], v[107:108]
	v_div_fixup_f64 v[103:104], v[101:102], v[97:98], v[99:100]
	v_fma_f64 v[97:98], v[99:100], v[103:104], v[97:98]
	v_div_scale_f64 v[99:100], s[6:7], v[97:98], v[97:98], 1.0
	v_div_scale_f64 v[107:108], vcc, 1.0, v[97:98], 1.0
	v_rcp_f64_e32 v[101:102], v[99:100]
	v_fma_f64 v[105:106], -v[99:100], v[101:102], 1.0
	v_fma_f64 v[101:102], v[101:102], v[105:106], v[101:102]
	v_fma_f64 v[105:106], -v[99:100], v[101:102], 1.0
	v_fma_f64 v[101:102], v[101:102], v[105:106], v[101:102]
	v_mul_f64 v[105:106], v[107:108], v[101:102]
	v_fma_f64 v[99:100], -v[99:100], v[105:106], v[107:108]
	v_div_fmas_f64 v[99:100], v[99:100], v[101:102], v[105:106]
	v_div_fixup_f64 v[101:102], v[99:100], v[97:98], 1.0
	v_mul_f64 v[103:104], v[103:104], -v[101:102]
.LBB117_475:
	s_or_b64 exec, exec, s[2:3]
	ds_write2_b64 v127, v[101:102], v[103:104] offset1:1
.LBB117_476:
	s_or_b64 exec, exec, s[4:5]
	s_waitcnt lgkmcnt(0)
	s_barrier
	ds_read2_b64 v[37:40], v127 offset1:1
	v_cmp_lt_u32_e32 vcc, 52, v0
	s_waitcnt lgkmcnt(0)
	buffer_store_dword v37, off, s[20:23], 0 offset:1856 ; 4-byte Folded Spill
	s_nop 0
	buffer_store_dword v38, off, s[20:23], 0 offset:1860 ; 4-byte Folded Spill
	buffer_store_dword v39, off, s[20:23], 0 offset:1864 ; 4-byte Folded Spill
	;; [unrolled: 1-line block ×3, first 2 shown]
	s_and_saveexec_b64 s[2:3], vcc
	s_cbranch_execz .LBB117_478
; %bb.477:
	buffer_load_dword v37, off, s[20:23], 0 offset:1856 ; 4-byte Folded Reload
	buffer_load_dword v38, off, s[20:23], 0 offset:1860 ; 4-byte Folded Reload
	;; [unrolled: 1-line block ×4, first 2 shown]
	ds_read2_b64 v[99:102], v125 offset0:106 offset1:107
	s_waitcnt vmcnt(2)
	v_mul_f64 v[97:98], v[37:38], v[23:24]
	s_waitcnt vmcnt(0)
	v_mul_f64 v[23:24], v[39:40], v[23:24]
	v_fma_f64 v[97:98], v[39:40], v[21:22], v[97:98]
	v_fma_f64 v[21:22], v[37:38], v[21:22], -v[23:24]
	s_waitcnt lgkmcnt(0)
	v_mul_f64 v[23:24], v[101:102], v[97:98]
	v_fma_f64 v[23:24], v[99:100], v[21:22], -v[23:24]
	v_mul_f64 v[99:100], v[99:100], v[97:98]
	v_add_f64 v[17:18], v[17:18], -v[23:24]
	v_fma_f64 v[99:100], v[101:102], v[21:22], v[99:100]
	v_add_f64 v[19:20], v[19:20], -v[99:100]
	ds_read2_b64 v[99:102], v125 offset0:108 offset1:109
	s_waitcnt lgkmcnt(0)
	v_mul_f64 v[23:24], v[101:102], v[97:98]
	v_fma_f64 v[23:24], v[99:100], v[21:22], -v[23:24]
	v_mul_f64 v[99:100], v[99:100], v[97:98]
	v_add_f64 v[13:14], v[13:14], -v[23:24]
	v_fma_f64 v[99:100], v[101:102], v[21:22], v[99:100]
	v_add_f64 v[15:16], v[15:16], -v[99:100]
	ds_read2_b64 v[99:102], v125 offset0:110 offset1:111
	;; [unrolled: 8-line block ×5, first 2 shown]
	buffer_load_dword v37, off, s[20:23], 0 ; 4-byte Folded Reload
	buffer_load_dword v38, off, s[20:23], 0 offset:4 ; 4-byte Folded Reload
	buffer_load_dword v39, off, s[20:23], 0 offset:8 ; 4-byte Folded Reload
	;; [unrolled: 1-line block ×3, first 2 shown]
	s_waitcnt lgkmcnt(0)
	v_mul_f64 v[23:24], v[101:102], v[97:98]
	v_fma_f64 v[23:24], v[99:100], v[21:22], -v[23:24]
	v_mul_f64 v[99:100], v[99:100], v[97:98]
	v_fma_f64 v[99:100], v[101:102], v[21:22], v[99:100]
	s_waitcnt vmcnt(2)
	v_add_f64 v[37:38], v[37:38], -v[23:24]
	v_mov_b32_e32 v23, v97
	s_waitcnt vmcnt(0)
	v_add_f64 v[39:40], v[39:40], -v[99:100]
	v_mov_b32_e32 v24, v98
	buffer_store_dword v37, off, s[20:23], 0 ; 4-byte Folded Spill
	s_nop 0
	buffer_store_dword v38, off, s[20:23], 0 offset:4 ; 4-byte Folded Spill
	buffer_store_dword v39, off, s[20:23], 0 offset:8 ; 4-byte Folded Spill
	buffer_store_dword v40, off, s[20:23], 0 offset:12 ; 4-byte Folded Spill
.LBB117_478:
	s_or_b64 exec, exec, s[2:3]
	v_cmp_eq_u32_e32 vcc, 53, v0
	s_waitcnt vmcnt(0)
	s_barrier
	s_and_saveexec_b64 s[4:5], vcc
	s_cbranch_execz .LBB117_485
; %bb.479:
	ds_write2_b64 v127, v[17:18], v[19:20] offset1:1
	ds_write2_b64 v125, v[13:14], v[15:16] offset0:108 offset1:109
	ds_write2_b64 v125, v[9:10], v[11:12] offset0:110 offset1:111
	;; [unrolled: 1-line block ×4, first 2 shown]
	buffer_load_dword v37, off, s[20:23], 0 ; 4-byte Folded Reload
	buffer_load_dword v38, off, s[20:23], 0 offset:4 ; 4-byte Folded Reload
	buffer_load_dword v39, off, s[20:23], 0 offset:8 ; 4-byte Folded Reload
	;; [unrolled: 1-line block ×3, first 2 shown]
	s_waitcnt vmcnt(0)
	ds_write2_b64 v125, v[37:38], v[39:40] offset0:116 offset1:117
	ds_read2_b64 v[97:100], v127 offset1:1
	s_waitcnt lgkmcnt(0)
	v_cmp_neq_f64_e32 vcc, 0, v[97:98]
	v_cmp_neq_f64_e64 s[2:3], 0, v[99:100]
	s_or_b64 s[2:3], vcc, s[2:3]
	s_and_b64 exec, exec, s[2:3]
	s_cbranch_execz .LBB117_485
; %bb.480:
	v_cmp_ngt_f64_e64 s[2:3], |v[97:98]|, |v[99:100]|
                                        ; implicit-def: $vgpr101_vgpr102
	s_and_saveexec_b64 s[6:7], s[2:3]
	s_xor_b64 s[2:3], exec, s[6:7]
                                        ; implicit-def: $vgpr103_vgpr104
	s_cbranch_execz .LBB117_482
; %bb.481:
	v_div_scale_f64 v[101:102], s[6:7], v[99:100], v[99:100], v[97:98]
	v_rcp_f64_e32 v[103:104], v[101:102]
	v_fma_f64 v[105:106], -v[101:102], v[103:104], 1.0
	v_fma_f64 v[103:104], v[103:104], v[105:106], v[103:104]
	v_div_scale_f64 v[105:106], vcc, v[97:98], v[99:100], v[97:98]
	v_fma_f64 v[107:108], -v[101:102], v[103:104], 1.0
	v_fma_f64 v[103:104], v[103:104], v[107:108], v[103:104]
	v_mul_f64 v[107:108], v[105:106], v[103:104]
	v_fma_f64 v[101:102], -v[101:102], v[107:108], v[105:106]
	v_div_fmas_f64 v[101:102], v[101:102], v[103:104], v[107:108]
	v_div_fixup_f64 v[101:102], v[101:102], v[99:100], v[97:98]
	v_fma_f64 v[97:98], v[97:98], v[101:102], v[99:100]
	v_div_scale_f64 v[99:100], s[6:7], v[97:98], v[97:98], 1.0
	v_div_scale_f64 v[107:108], vcc, 1.0, v[97:98], 1.0
	v_rcp_f64_e32 v[103:104], v[99:100]
	v_fma_f64 v[105:106], -v[99:100], v[103:104], 1.0
	v_fma_f64 v[103:104], v[103:104], v[105:106], v[103:104]
	v_fma_f64 v[105:106], -v[99:100], v[103:104], 1.0
	v_fma_f64 v[103:104], v[103:104], v[105:106], v[103:104]
	v_mul_f64 v[105:106], v[107:108], v[103:104]
	v_fma_f64 v[99:100], -v[99:100], v[105:106], v[107:108]
	v_div_fmas_f64 v[99:100], v[99:100], v[103:104], v[105:106]
	v_div_fixup_f64 v[103:104], v[99:100], v[97:98], 1.0
                                        ; implicit-def: $vgpr97_vgpr98
	v_mul_f64 v[101:102], v[101:102], v[103:104]
	v_xor_b32_e32 v104, 0x80000000, v104
.LBB117_482:
	s_andn2_saveexec_b64 s[2:3], s[2:3]
	s_cbranch_execz .LBB117_484
; %bb.483:
	v_div_scale_f64 v[101:102], s[6:7], v[97:98], v[97:98], v[99:100]
	v_rcp_f64_e32 v[103:104], v[101:102]
	v_fma_f64 v[105:106], -v[101:102], v[103:104], 1.0
	v_fma_f64 v[103:104], v[103:104], v[105:106], v[103:104]
	v_div_scale_f64 v[105:106], vcc, v[99:100], v[97:98], v[99:100]
	v_fma_f64 v[107:108], -v[101:102], v[103:104], 1.0
	v_fma_f64 v[103:104], v[103:104], v[107:108], v[103:104]
	v_mul_f64 v[107:108], v[105:106], v[103:104]
	v_fma_f64 v[101:102], -v[101:102], v[107:108], v[105:106]
	v_div_fmas_f64 v[101:102], v[101:102], v[103:104], v[107:108]
	v_div_fixup_f64 v[103:104], v[101:102], v[97:98], v[99:100]
	v_fma_f64 v[97:98], v[99:100], v[103:104], v[97:98]
	v_div_scale_f64 v[99:100], s[6:7], v[97:98], v[97:98], 1.0
	v_div_scale_f64 v[107:108], vcc, 1.0, v[97:98], 1.0
	v_rcp_f64_e32 v[101:102], v[99:100]
	v_fma_f64 v[105:106], -v[99:100], v[101:102], 1.0
	v_fma_f64 v[101:102], v[101:102], v[105:106], v[101:102]
	v_fma_f64 v[105:106], -v[99:100], v[101:102], 1.0
	v_fma_f64 v[101:102], v[101:102], v[105:106], v[101:102]
	v_mul_f64 v[105:106], v[107:108], v[101:102]
	v_fma_f64 v[99:100], -v[99:100], v[105:106], v[107:108]
	v_div_fmas_f64 v[99:100], v[99:100], v[101:102], v[105:106]
	v_div_fixup_f64 v[101:102], v[99:100], v[97:98], 1.0
	v_mul_f64 v[103:104], v[103:104], -v[101:102]
.LBB117_484:
	s_or_b64 exec, exec, s[2:3]
	ds_write2_b64 v127, v[101:102], v[103:104] offset1:1
.LBB117_485:
	s_or_b64 exec, exec, s[4:5]
	s_waitcnt lgkmcnt(0)
	s_barrier
	ds_read2_b64 v[37:40], v127 offset1:1
	v_cmp_lt_u32_e32 vcc, 53, v0
	s_waitcnt lgkmcnt(0)
	buffer_store_dword v37, off, s[20:23], 0 offset:1872 ; 4-byte Folded Spill
	s_nop 0
	buffer_store_dword v38, off, s[20:23], 0 offset:1876 ; 4-byte Folded Spill
	buffer_store_dword v39, off, s[20:23], 0 offset:1880 ; 4-byte Folded Spill
	buffer_store_dword v40, off, s[20:23], 0 offset:1884 ; 4-byte Folded Spill
	s_and_saveexec_b64 s[2:3], vcc
	s_cbranch_execz .LBB117_487
; %bb.486:
	buffer_load_dword v37, off, s[20:23], 0 offset:1872 ; 4-byte Folded Reload
	buffer_load_dword v38, off, s[20:23], 0 offset:1876 ; 4-byte Folded Reload
	;; [unrolled: 1-line block ×4, first 2 shown]
	s_waitcnt vmcnt(2)
	v_mul_f64 v[97:98], v[37:38], v[19:20]
	s_waitcnt vmcnt(0)
	v_mul_f64 v[19:20], v[39:40], v[19:20]
	v_fma_f64 v[101:102], v[39:40], v[17:18], v[97:98]
	ds_read2_b64 v[97:100], v125 offset0:108 offset1:109
	v_fma_f64 v[17:18], v[37:38], v[17:18], -v[19:20]
	s_waitcnt lgkmcnt(0)
	v_mul_f64 v[19:20], v[99:100], v[101:102]
	v_fma_f64 v[19:20], v[97:98], v[17:18], -v[19:20]
	v_mul_f64 v[97:98], v[97:98], v[101:102]
	v_add_f64 v[13:14], v[13:14], -v[19:20]
	v_fma_f64 v[97:98], v[99:100], v[17:18], v[97:98]
	v_add_f64 v[15:16], v[15:16], -v[97:98]
	ds_read2_b64 v[97:100], v125 offset0:110 offset1:111
	s_waitcnt lgkmcnt(0)
	v_mul_f64 v[19:20], v[99:100], v[101:102]
	v_fma_f64 v[19:20], v[97:98], v[17:18], -v[19:20]
	v_mul_f64 v[97:98], v[97:98], v[101:102]
	v_add_f64 v[9:10], v[9:10], -v[19:20]
	v_fma_f64 v[97:98], v[99:100], v[17:18], v[97:98]
	v_add_f64 v[11:12], v[11:12], -v[97:98]
	ds_read2_b64 v[97:100], v125 offset0:112 offset1:113
	;; [unrolled: 8-line block ×4, first 2 shown]
	buffer_load_dword v37, off, s[20:23], 0 ; 4-byte Folded Reload
	buffer_load_dword v38, off, s[20:23], 0 offset:4 ; 4-byte Folded Reload
	buffer_load_dword v39, off, s[20:23], 0 offset:8 ; 4-byte Folded Reload
	;; [unrolled: 1-line block ×3, first 2 shown]
	s_waitcnt lgkmcnt(0)
	v_mul_f64 v[19:20], v[99:100], v[101:102]
	v_fma_f64 v[19:20], v[97:98], v[17:18], -v[19:20]
	v_mul_f64 v[97:98], v[97:98], v[101:102]
	v_fma_f64 v[97:98], v[99:100], v[17:18], v[97:98]
	s_waitcnt vmcnt(2)
	v_add_f64 v[37:38], v[37:38], -v[19:20]
	v_mov_b32_e32 v19, v101
	s_waitcnt vmcnt(0)
	v_add_f64 v[39:40], v[39:40], -v[97:98]
	v_mov_b32_e32 v20, v102
	buffer_store_dword v37, off, s[20:23], 0 ; 4-byte Folded Spill
	s_nop 0
	buffer_store_dword v38, off, s[20:23], 0 offset:4 ; 4-byte Folded Spill
	buffer_store_dword v39, off, s[20:23], 0 offset:8 ; 4-byte Folded Spill
	;; [unrolled: 1-line block ×3, first 2 shown]
.LBB117_487:
	s_or_b64 exec, exec, s[2:3]
	v_cmp_eq_u32_e32 vcc, 54, v0
	s_waitcnt vmcnt(0)
	s_barrier
	s_and_saveexec_b64 s[4:5], vcc
	s_cbranch_execz .LBB117_494
; %bb.488:
	ds_write2_b64 v127, v[13:14], v[15:16] offset1:1
	ds_write2_b64 v125, v[9:10], v[11:12] offset0:110 offset1:111
	ds_write2_b64 v125, v[5:6], v[7:8] offset0:112 offset1:113
	;; [unrolled: 1-line block ×3, first 2 shown]
	buffer_load_dword v37, off, s[20:23], 0 ; 4-byte Folded Reload
	buffer_load_dword v38, off, s[20:23], 0 offset:4 ; 4-byte Folded Reload
	buffer_load_dword v39, off, s[20:23], 0 offset:8 ; 4-byte Folded Reload
	buffer_load_dword v40, off, s[20:23], 0 offset:12 ; 4-byte Folded Reload
	s_waitcnt vmcnt(0)
	ds_write2_b64 v125, v[37:38], v[39:40] offset0:116 offset1:117
	ds_read2_b64 v[97:100], v127 offset1:1
	s_waitcnt lgkmcnt(0)
	v_cmp_neq_f64_e32 vcc, 0, v[97:98]
	v_cmp_neq_f64_e64 s[2:3], 0, v[99:100]
	s_or_b64 s[2:3], vcc, s[2:3]
	s_and_b64 exec, exec, s[2:3]
	s_cbranch_execz .LBB117_494
; %bb.489:
	v_cmp_ngt_f64_e64 s[2:3], |v[97:98]|, |v[99:100]|
                                        ; implicit-def: $vgpr101_vgpr102
	s_and_saveexec_b64 s[6:7], s[2:3]
	s_xor_b64 s[2:3], exec, s[6:7]
                                        ; implicit-def: $vgpr103_vgpr104
	s_cbranch_execz .LBB117_491
; %bb.490:
	v_div_scale_f64 v[101:102], s[6:7], v[99:100], v[99:100], v[97:98]
	v_rcp_f64_e32 v[103:104], v[101:102]
	v_fma_f64 v[105:106], -v[101:102], v[103:104], 1.0
	v_fma_f64 v[103:104], v[103:104], v[105:106], v[103:104]
	v_div_scale_f64 v[105:106], vcc, v[97:98], v[99:100], v[97:98]
	v_fma_f64 v[107:108], -v[101:102], v[103:104], 1.0
	v_fma_f64 v[103:104], v[103:104], v[107:108], v[103:104]
	v_mul_f64 v[107:108], v[105:106], v[103:104]
	v_fma_f64 v[101:102], -v[101:102], v[107:108], v[105:106]
	v_div_fmas_f64 v[101:102], v[101:102], v[103:104], v[107:108]
	v_div_fixup_f64 v[101:102], v[101:102], v[99:100], v[97:98]
	v_fma_f64 v[97:98], v[97:98], v[101:102], v[99:100]
	v_div_scale_f64 v[99:100], s[6:7], v[97:98], v[97:98], 1.0
	v_div_scale_f64 v[107:108], vcc, 1.0, v[97:98], 1.0
	v_rcp_f64_e32 v[103:104], v[99:100]
	v_fma_f64 v[105:106], -v[99:100], v[103:104], 1.0
	v_fma_f64 v[103:104], v[103:104], v[105:106], v[103:104]
	v_fma_f64 v[105:106], -v[99:100], v[103:104], 1.0
	v_fma_f64 v[103:104], v[103:104], v[105:106], v[103:104]
	v_mul_f64 v[105:106], v[107:108], v[103:104]
	v_fma_f64 v[99:100], -v[99:100], v[105:106], v[107:108]
	v_div_fmas_f64 v[99:100], v[99:100], v[103:104], v[105:106]
	v_div_fixup_f64 v[103:104], v[99:100], v[97:98], 1.0
                                        ; implicit-def: $vgpr97_vgpr98
	v_mul_f64 v[101:102], v[101:102], v[103:104]
	v_xor_b32_e32 v104, 0x80000000, v104
.LBB117_491:
	s_andn2_saveexec_b64 s[2:3], s[2:3]
	s_cbranch_execz .LBB117_493
; %bb.492:
	v_div_scale_f64 v[101:102], s[6:7], v[97:98], v[97:98], v[99:100]
	v_rcp_f64_e32 v[103:104], v[101:102]
	v_fma_f64 v[105:106], -v[101:102], v[103:104], 1.0
	v_fma_f64 v[103:104], v[103:104], v[105:106], v[103:104]
	v_div_scale_f64 v[105:106], vcc, v[99:100], v[97:98], v[99:100]
	v_fma_f64 v[107:108], -v[101:102], v[103:104], 1.0
	v_fma_f64 v[103:104], v[103:104], v[107:108], v[103:104]
	v_mul_f64 v[107:108], v[105:106], v[103:104]
	v_fma_f64 v[101:102], -v[101:102], v[107:108], v[105:106]
	v_div_fmas_f64 v[101:102], v[101:102], v[103:104], v[107:108]
	v_div_fixup_f64 v[103:104], v[101:102], v[97:98], v[99:100]
	v_fma_f64 v[97:98], v[99:100], v[103:104], v[97:98]
	v_div_scale_f64 v[99:100], s[6:7], v[97:98], v[97:98], 1.0
	v_div_scale_f64 v[107:108], vcc, 1.0, v[97:98], 1.0
	v_rcp_f64_e32 v[101:102], v[99:100]
	v_fma_f64 v[105:106], -v[99:100], v[101:102], 1.0
	v_fma_f64 v[101:102], v[101:102], v[105:106], v[101:102]
	v_fma_f64 v[105:106], -v[99:100], v[101:102], 1.0
	v_fma_f64 v[101:102], v[101:102], v[105:106], v[101:102]
	v_mul_f64 v[105:106], v[107:108], v[101:102]
	v_fma_f64 v[99:100], -v[99:100], v[105:106], v[107:108]
	v_div_fmas_f64 v[99:100], v[99:100], v[101:102], v[105:106]
	v_div_fixup_f64 v[101:102], v[99:100], v[97:98], 1.0
	v_mul_f64 v[103:104], v[103:104], -v[101:102]
.LBB117_493:
	s_or_b64 exec, exec, s[2:3]
	ds_write2_b64 v127, v[101:102], v[103:104] offset1:1
.LBB117_494:
	s_or_b64 exec, exec, s[4:5]
	s_waitcnt lgkmcnt(0)
	s_barrier
	ds_read2_b64 v[37:40], v127 offset1:1
	v_cmp_lt_u32_e32 vcc, 54, v0
	s_waitcnt lgkmcnt(0)
	buffer_store_dword v37, off, s[20:23], 0 offset:1888 ; 4-byte Folded Spill
	s_nop 0
	buffer_store_dword v38, off, s[20:23], 0 offset:1892 ; 4-byte Folded Spill
	buffer_store_dword v39, off, s[20:23], 0 offset:1896 ; 4-byte Folded Spill
	;; [unrolled: 1-line block ×3, first 2 shown]
	s_and_saveexec_b64 s[2:3], vcc
	s_cbranch_execz .LBB117_496
; %bb.495:
	buffer_load_dword v37, off, s[20:23], 0 offset:1888 ; 4-byte Folded Reload
	buffer_load_dword v38, off, s[20:23], 0 offset:1892 ; 4-byte Folded Reload
	;; [unrolled: 1-line block ×4, first 2 shown]
	s_waitcnt vmcnt(2)
	v_mul_f64 v[97:98], v[37:38], v[15:16]
	s_waitcnt vmcnt(0)
	v_mul_f64 v[15:16], v[39:40], v[15:16]
	v_fma_f64 v[101:102], v[39:40], v[13:14], v[97:98]
	ds_read2_b64 v[97:100], v125 offset0:110 offset1:111
	v_fma_f64 v[13:14], v[37:38], v[13:14], -v[15:16]
	s_waitcnt lgkmcnt(0)
	v_mul_f64 v[15:16], v[99:100], v[101:102]
	v_fma_f64 v[15:16], v[97:98], v[13:14], -v[15:16]
	v_mul_f64 v[97:98], v[97:98], v[101:102]
	v_add_f64 v[9:10], v[9:10], -v[15:16]
	v_fma_f64 v[97:98], v[99:100], v[13:14], v[97:98]
	v_add_f64 v[11:12], v[11:12], -v[97:98]
	ds_read2_b64 v[97:100], v125 offset0:112 offset1:113
	s_waitcnt lgkmcnt(0)
	v_mul_f64 v[15:16], v[99:100], v[101:102]
	v_fma_f64 v[15:16], v[97:98], v[13:14], -v[15:16]
	v_mul_f64 v[97:98], v[97:98], v[101:102]
	v_add_f64 v[5:6], v[5:6], -v[15:16]
	v_fma_f64 v[97:98], v[99:100], v[13:14], v[97:98]
	v_add_f64 v[7:8], v[7:8], -v[97:98]
	ds_read2_b64 v[97:100], v125 offset0:114 offset1:115
	;; [unrolled: 8-line block ×3, first 2 shown]
	buffer_load_dword v37, off, s[20:23], 0 ; 4-byte Folded Reload
	buffer_load_dword v38, off, s[20:23], 0 offset:4 ; 4-byte Folded Reload
	buffer_load_dword v39, off, s[20:23], 0 offset:8 ; 4-byte Folded Reload
	;; [unrolled: 1-line block ×3, first 2 shown]
	s_waitcnt lgkmcnt(0)
	v_mul_f64 v[15:16], v[99:100], v[101:102]
	v_fma_f64 v[15:16], v[97:98], v[13:14], -v[15:16]
	v_mul_f64 v[97:98], v[97:98], v[101:102]
	v_fma_f64 v[97:98], v[99:100], v[13:14], v[97:98]
	s_waitcnt vmcnt(2)
	v_add_f64 v[37:38], v[37:38], -v[15:16]
	v_mov_b32_e32 v15, v101
	s_waitcnt vmcnt(0)
	v_add_f64 v[39:40], v[39:40], -v[97:98]
	v_mov_b32_e32 v16, v102
	buffer_store_dword v37, off, s[20:23], 0 ; 4-byte Folded Spill
	s_nop 0
	buffer_store_dword v38, off, s[20:23], 0 offset:4 ; 4-byte Folded Spill
	buffer_store_dword v39, off, s[20:23], 0 offset:8 ; 4-byte Folded Spill
	;; [unrolled: 1-line block ×3, first 2 shown]
.LBB117_496:
	s_or_b64 exec, exec, s[2:3]
	v_cmp_eq_u32_e32 vcc, 55, v0
	s_waitcnt vmcnt(0)
	s_barrier
	s_and_saveexec_b64 s[4:5], vcc
	s_cbranch_execz .LBB117_503
; %bb.497:
	ds_write2_b64 v127, v[9:10], v[11:12] offset1:1
	ds_write2_b64 v125, v[5:6], v[7:8] offset0:112 offset1:113
	ds_write2_b64 v125, v[1:2], v[3:4] offset0:114 offset1:115
	buffer_load_dword v37, off, s[20:23], 0 ; 4-byte Folded Reload
	buffer_load_dword v38, off, s[20:23], 0 offset:4 ; 4-byte Folded Reload
	buffer_load_dword v39, off, s[20:23], 0 offset:8 ; 4-byte Folded Reload
	;; [unrolled: 1-line block ×3, first 2 shown]
	s_waitcnt vmcnt(0)
	ds_write2_b64 v125, v[37:38], v[39:40] offset0:116 offset1:117
	ds_read2_b64 v[97:100], v127 offset1:1
	s_waitcnt lgkmcnt(0)
	v_cmp_neq_f64_e32 vcc, 0, v[97:98]
	v_cmp_neq_f64_e64 s[2:3], 0, v[99:100]
	s_or_b64 s[2:3], vcc, s[2:3]
	s_and_b64 exec, exec, s[2:3]
	s_cbranch_execz .LBB117_503
; %bb.498:
	v_cmp_ngt_f64_e64 s[2:3], |v[97:98]|, |v[99:100]|
                                        ; implicit-def: $vgpr101_vgpr102
	s_and_saveexec_b64 s[6:7], s[2:3]
	s_xor_b64 s[2:3], exec, s[6:7]
                                        ; implicit-def: $vgpr103_vgpr104
	s_cbranch_execz .LBB117_500
; %bb.499:
	v_div_scale_f64 v[101:102], s[6:7], v[99:100], v[99:100], v[97:98]
	v_rcp_f64_e32 v[103:104], v[101:102]
	v_fma_f64 v[105:106], -v[101:102], v[103:104], 1.0
	v_fma_f64 v[103:104], v[103:104], v[105:106], v[103:104]
	v_div_scale_f64 v[105:106], vcc, v[97:98], v[99:100], v[97:98]
	v_fma_f64 v[107:108], -v[101:102], v[103:104], 1.0
	v_fma_f64 v[103:104], v[103:104], v[107:108], v[103:104]
	v_mul_f64 v[107:108], v[105:106], v[103:104]
	v_fma_f64 v[101:102], -v[101:102], v[107:108], v[105:106]
	v_div_fmas_f64 v[101:102], v[101:102], v[103:104], v[107:108]
	v_div_fixup_f64 v[101:102], v[101:102], v[99:100], v[97:98]
	v_fma_f64 v[97:98], v[97:98], v[101:102], v[99:100]
	v_div_scale_f64 v[99:100], s[6:7], v[97:98], v[97:98], 1.0
	v_div_scale_f64 v[107:108], vcc, 1.0, v[97:98], 1.0
	v_rcp_f64_e32 v[103:104], v[99:100]
	v_fma_f64 v[105:106], -v[99:100], v[103:104], 1.0
	v_fma_f64 v[103:104], v[103:104], v[105:106], v[103:104]
	v_fma_f64 v[105:106], -v[99:100], v[103:104], 1.0
	v_fma_f64 v[103:104], v[103:104], v[105:106], v[103:104]
	v_mul_f64 v[105:106], v[107:108], v[103:104]
	v_fma_f64 v[99:100], -v[99:100], v[105:106], v[107:108]
	v_div_fmas_f64 v[99:100], v[99:100], v[103:104], v[105:106]
	v_div_fixup_f64 v[103:104], v[99:100], v[97:98], 1.0
                                        ; implicit-def: $vgpr97_vgpr98
	v_mul_f64 v[101:102], v[101:102], v[103:104]
	v_xor_b32_e32 v104, 0x80000000, v104
.LBB117_500:
	s_andn2_saveexec_b64 s[2:3], s[2:3]
	s_cbranch_execz .LBB117_502
; %bb.501:
	v_div_scale_f64 v[101:102], s[6:7], v[97:98], v[97:98], v[99:100]
	v_rcp_f64_e32 v[103:104], v[101:102]
	v_fma_f64 v[105:106], -v[101:102], v[103:104], 1.0
	v_fma_f64 v[103:104], v[103:104], v[105:106], v[103:104]
	v_div_scale_f64 v[105:106], vcc, v[99:100], v[97:98], v[99:100]
	v_fma_f64 v[107:108], -v[101:102], v[103:104], 1.0
	v_fma_f64 v[103:104], v[103:104], v[107:108], v[103:104]
	v_mul_f64 v[107:108], v[105:106], v[103:104]
	v_fma_f64 v[101:102], -v[101:102], v[107:108], v[105:106]
	v_div_fmas_f64 v[101:102], v[101:102], v[103:104], v[107:108]
	v_div_fixup_f64 v[103:104], v[101:102], v[97:98], v[99:100]
	v_fma_f64 v[97:98], v[99:100], v[103:104], v[97:98]
	v_div_scale_f64 v[99:100], s[6:7], v[97:98], v[97:98], 1.0
	v_div_scale_f64 v[107:108], vcc, 1.0, v[97:98], 1.0
	v_rcp_f64_e32 v[101:102], v[99:100]
	v_fma_f64 v[105:106], -v[99:100], v[101:102], 1.0
	v_fma_f64 v[101:102], v[101:102], v[105:106], v[101:102]
	v_fma_f64 v[105:106], -v[99:100], v[101:102], 1.0
	v_fma_f64 v[101:102], v[101:102], v[105:106], v[101:102]
	v_mul_f64 v[105:106], v[107:108], v[101:102]
	v_fma_f64 v[99:100], -v[99:100], v[105:106], v[107:108]
	v_div_fmas_f64 v[99:100], v[99:100], v[101:102], v[105:106]
	v_div_fixup_f64 v[101:102], v[99:100], v[97:98], 1.0
	v_mul_f64 v[103:104], v[103:104], -v[101:102]
.LBB117_502:
	s_or_b64 exec, exec, s[2:3]
	ds_write2_b64 v127, v[101:102], v[103:104] offset1:1
.LBB117_503:
	s_or_b64 exec, exec, s[4:5]
	s_waitcnt lgkmcnt(0)
	s_barrier
	ds_read2_b64 v[37:40], v127 offset1:1
	v_cmp_lt_u32_e32 vcc, 55, v0
	s_waitcnt lgkmcnt(0)
	buffer_store_dword v37, off, s[20:23], 0 offset:1904 ; 4-byte Folded Spill
	s_nop 0
	buffer_store_dword v38, off, s[20:23], 0 offset:1908 ; 4-byte Folded Spill
	buffer_store_dword v39, off, s[20:23], 0 offset:1912 ; 4-byte Folded Spill
	;; [unrolled: 1-line block ×3, first 2 shown]
	s_and_saveexec_b64 s[2:3], vcc
	s_cbranch_execz .LBB117_505
; %bb.504:
	buffer_load_dword v37, off, s[20:23], 0 offset:1904 ; 4-byte Folded Reload
	buffer_load_dword v38, off, s[20:23], 0 offset:1908 ; 4-byte Folded Reload
	;; [unrolled: 1-line block ×4, first 2 shown]
	s_waitcnt vmcnt(2)
	v_mul_f64 v[97:98], v[37:38], v[11:12]
	s_waitcnt vmcnt(0)
	v_mul_f64 v[11:12], v[39:40], v[11:12]
	v_fma_f64 v[101:102], v[39:40], v[9:10], v[97:98]
	ds_read2_b64 v[97:100], v125 offset0:112 offset1:113
	v_fma_f64 v[9:10], v[37:38], v[9:10], -v[11:12]
	s_waitcnt lgkmcnt(0)
	v_mul_f64 v[11:12], v[99:100], v[101:102]
	v_fma_f64 v[11:12], v[97:98], v[9:10], -v[11:12]
	v_mul_f64 v[97:98], v[97:98], v[101:102]
	v_add_f64 v[5:6], v[5:6], -v[11:12]
	v_fma_f64 v[97:98], v[99:100], v[9:10], v[97:98]
	v_add_f64 v[7:8], v[7:8], -v[97:98]
	ds_read2_b64 v[97:100], v125 offset0:114 offset1:115
	s_waitcnt lgkmcnt(0)
	v_mul_f64 v[11:12], v[99:100], v[101:102]
	v_fma_f64 v[11:12], v[97:98], v[9:10], -v[11:12]
	v_mul_f64 v[97:98], v[97:98], v[101:102]
	v_add_f64 v[1:2], v[1:2], -v[11:12]
	v_fma_f64 v[97:98], v[99:100], v[9:10], v[97:98]
	v_add_f64 v[3:4], v[3:4], -v[97:98]
	ds_read2_b64 v[97:100], v125 offset0:116 offset1:117
	buffer_load_dword v37, off, s[20:23], 0 ; 4-byte Folded Reload
	buffer_load_dword v38, off, s[20:23], 0 offset:4 ; 4-byte Folded Reload
	buffer_load_dword v39, off, s[20:23], 0 offset:8 ; 4-byte Folded Reload
	;; [unrolled: 1-line block ×3, first 2 shown]
	s_waitcnt lgkmcnt(0)
	v_mul_f64 v[11:12], v[99:100], v[101:102]
	v_fma_f64 v[11:12], v[97:98], v[9:10], -v[11:12]
	v_mul_f64 v[97:98], v[97:98], v[101:102]
	v_fma_f64 v[97:98], v[99:100], v[9:10], v[97:98]
	s_waitcnt vmcnt(2)
	v_add_f64 v[37:38], v[37:38], -v[11:12]
	v_mov_b32_e32 v11, v101
	s_waitcnt vmcnt(0)
	v_add_f64 v[39:40], v[39:40], -v[97:98]
	v_mov_b32_e32 v12, v102
	buffer_store_dword v37, off, s[20:23], 0 ; 4-byte Folded Spill
	s_nop 0
	buffer_store_dword v38, off, s[20:23], 0 offset:4 ; 4-byte Folded Spill
	buffer_store_dword v39, off, s[20:23], 0 offset:8 ; 4-byte Folded Spill
	;; [unrolled: 1-line block ×3, first 2 shown]
.LBB117_505:
	s_or_b64 exec, exec, s[2:3]
	v_cmp_eq_u32_e32 vcc, 56, v0
	s_waitcnt vmcnt(0)
	s_barrier
	s_and_saveexec_b64 s[4:5], vcc
	s_cbranch_execz .LBB117_512
; %bb.506:
	ds_write2_b64 v127, v[5:6], v[7:8] offset1:1
	ds_write2_b64 v125, v[1:2], v[3:4] offset0:114 offset1:115
	buffer_load_dword v37, off, s[20:23], 0 ; 4-byte Folded Reload
	buffer_load_dword v38, off, s[20:23], 0 offset:4 ; 4-byte Folded Reload
	buffer_load_dword v39, off, s[20:23], 0 offset:8 ; 4-byte Folded Reload
	;; [unrolled: 1-line block ×3, first 2 shown]
	s_waitcnt vmcnt(0)
	ds_write2_b64 v125, v[37:38], v[39:40] offset0:116 offset1:117
	ds_read2_b64 v[97:100], v127 offset1:1
	s_waitcnt lgkmcnt(0)
	v_cmp_neq_f64_e32 vcc, 0, v[97:98]
	v_cmp_neq_f64_e64 s[2:3], 0, v[99:100]
	s_or_b64 s[2:3], vcc, s[2:3]
	s_and_b64 exec, exec, s[2:3]
	s_cbranch_execz .LBB117_512
; %bb.507:
	v_cmp_ngt_f64_e64 s[2:3], |v[97:98]|, |v[99:100]|
                                        ; implicit-def: $vgpr101_vgpr102
	s_and_saveexec_b64 s[6:7], s[2:3]
	s_xor_b64 s[2:3], exec, s[6:7]
                                        ; implicit-def: $vgpr103_vgpr104
	s_cbranch_execz .LBB117_509
; %bb.508:
	v_div_scale_f64 v[101:102], s[6:7], v[99:100], v[99:100], v[97:98]
	v_rcp_f64_e32 v[103:104], v[101:102]
	v_fma_f64 v[105:106], -v[101:102], v[103:104], 1.0
	v_fma_f64 v[103:104], v[103:104], v[105:106], v[103:104]
	v_div_scale_f64 v[105:106], vcc, v[97:98], v[99:100], v[97:98]
	v_fma_f64 v[107:108], -v[101:102], v[103:104], 1.0
	v_fma_f64 v[103:104], v[103:104], v[107:108], v[103:104]
	v_mul_f64 v[107:108], v[105:106], v[103:104]
	v_fma_f64 v[101:102], -v[101:102], v[107:108], v[105:106]
	v_div_fmas_f64 v[101:102], v[101:102], v[103:104], v[107:108]
	v_div_fixup_f64 v[101:102], v[101:102], v[99:100], v[97:98]
	v_fma_f64 v[97:98], v[97:98], v[101:102], v[99:100]
	v_div_scale_f64 v[99:100], s[6:7], v[97:98], v[97:98], 1.0
	v_div_scale_f64 v[107:108], vcc, 1.0, v[97:98], 1.0
	v_rcp_f64_e32 v[103:104], v[99:100]
	v_fma_f64 v[105:106], -v[99:100], v[103:104], 1.0
	v_fma_f64 v[103:104], v[103:104], v[105:106], v[103:104]
	v_fma_f64 v[105:106], -v[99:100], v[103:104], 1.0
	v_fma_f64 v[103:104], v[103:104], v[105:106], v[103:104]
	v_mul_f64 v[105:106], v[107:108], v[103:104]
	v_fma_f64 v[99:100], -v[99:100], v[105:106], v[107:108]
	v_div_fmas_f64 v[99:100], v[99:100], v[103:104], v[105:106]
	v_div_fixup_f64 v[103:104], v[99:100], v[97:98], 1.0
                                        ; implicit-def: $vgpr97_vgpr98
	v_mul_f64 v[101:102], v[101:102], v[103:104]
	v_xor_b32_e32 v104, 0x80000000, v104
.LBB117_509:
	s_andn2_saveexec_b64 s[2:3], s[2:3]
	s_cbranch_execz .LBB117_511
; %bb.510:
	v_div_scale_f64 v[101:102], s[6:7], v[97:98], v[97:98], v[99:100]
	v_rcp_f64_e32 v[103:104], v[101:102]
	v_fma_f64 v[105:106], -v[101:102], v[103:104], 1.0
	v_fma_f64 v[103:104], v[103:104], v[105:106], v[103:104]
	v_div_scale_f64 v[105:106], vcc, v[99:100], v[97:98], v[99:100]
	v_fma_f64 v[107:108], -v[101:102], v[103:104], 1.0
	v_fma_f64 v[103:104], v[103:104], v[107:108], v[103:104]
	v_mul_f64 v[107:108], v[105:106], v[103:104]
	v_fma_f64 v[101:102], -v[101:102], v[107:108], v[105:106]
	v_div_fmas_f64 v[101:102], v[101:102], v[103:104], v[107:108]
	v_div_fixup_f64 v[103:104], v[101:102], v[97:98], v[99:100]
	v_fma_f64 v[97:98], v[99:100], v[103:104], v[97:98]
	v_div_scale_f64 v[99:100], s[6:7], v[97:98], v[97:98], 1.0
	v_div_scale_f64 v[107:108], vcc, 1.0, v[97:98], 1.0
	v_rcp_f64_e32 v[101:102], v[99:100]
	v_fma_f64 v[105:106], -v[99:100], v[101:102], 1.0
	v_fma_f64 v[101:102], v[101:102], v[105:106], v[101:102]
	v_fma_f64 v[105:106], -v[99:100], v[101:102], 1.0
	v_fma_f64 v[101:102], v[101:102], v[105:106], v[101:102]
	v_mul_f64 v[105:106], v[107:108], v[101:102]
	v_fma_f64 v[99:100], -v[99:100], v[105:106], v[107:108]
	v_div_fmas_f64 v[99:100], v[99:100], v[101:102], v[105:106]
	v_div_fixup_f64 v[101:102], v[99:100], v[97:98], 1.0
	v_mul_f64 v[103:104], v[103:104], -v[101:102]
.LBB117_511:
	s_or_b64 exec, exec, s[2:3]
	ds_write2_b64 v127, v[101:102], v[103:104] offset1:1
.LBB117_512:
	s_or_b64 exec, exec, s[4:5]
	s_waitcnt lgkmcnt(0)
	s_barrier
	ds_read2_b64 v[101:104], v127 offset1:1
	v_cmp_lt_u32_e32 vcc, 56, v0
	s_and_saveexec_b64 s[2:3], vcc
	s_cbranch_execz .LBB117_514
; %bb.513:
	s_waitcnt lgkmcnt(0)
	v_mul_f64 v[97:98], v[101:102], v[7:8]
	v_mul_f64 v[7:8], v[103:104], v[7:8]
	v_fma_f64 v[105:106], v[103:104], v[5:6], v[97:98]
	ds_read2_b64 v[97:100], v125 offset0:114 offset1:115
	v_fma_f64 v[5:6], v[101:102], v[5:6], -v[7:8]
	s_waitcnt lgkmcnt(0)
	v_mul_f64 v[7:8], v[99:100], v[105:106]
	v_fma_f64 v[7:8], v[97:98], v[5:6], -v[7:8]
	v_mul_f64 v[97:98], v[97:98], v[105:106]
	v_add_f64 v[1:2], v[1:2], -v[7:8]
	v_fma_f64 v[97:98], v[99:100], v[5:6], v[97:98]
	v_add_f64 v[3:4], v[3:4], -v[97:98]
	ds_read2_b64 v[97:100], v125 offset0:116 offset1:117
	buffer_load_dword v37, off, s[20:23], 0 ; 4-byte Folded Reload
	buffer_load_dword v38, off, s[20:23], 0 offset:4 ; 4-byte Folded Reload
	buffer_load_dword v39, off, s[20:23], 0 offset:8 ; 4-byte Folded Reload
	;; [unrolled: 1-line block ×3, first 2 shown]
	s_waitcnt lgkmcnt(0)
	v_mul_f64 v[7:8], v[99:100], v[105:106]
	v_fma_f64 v[7:8], v[97:98], v[5:6], -v[7:8]
	v_mul_f64 v[97:98], v[97:98], v[105:106]
	v_fma_f64 v[97:98], v[99:100], v[5:6], v[97:98]
	s_waitcnt vmcnt(2)
	v_add_f64 v[37:38], v[37:38], -v[7:8]
	v_mov_b32_e32 v7, v105
	s_waitcnt vmcnt(0)
	v_add_f64 v[39:40], v[39:40], -v[97:98]
	v_mov_b32_e32 v8, v106
	buffer_store_dword v37, off, s[20:23], 0 ; 4-byte Folded Spill
	s_nop 0
	buffer_store_dword v38, off, s[20:23], 0 offset:4 ; 4-byte Folded Spill
	buffer_store_dword v39, off, s[20:23], 0 offset:8 ; 4-byte Folded Spill
	;; [unrolled: 1-line block ×3, first 2 shown]
.LBB117_514:
	s_or_b64 exec, exec, s[2:3]
	v_cmp_eq_u32_e32 vcc, 57, v0
	s_waitcnt vmcnt(0) lgkmcnt(0)
	s_barrier
	s_and_saveexec_b64 s[4:5], vcc
	s_cbranch_execz .LBB117_521
; %bb.515:
	ds_write2_b64 v127, v[1:2], v[3:4] offset1:1
	buffer_load_dword v37, off, s[20:23], 0 ; 4-byte Folded Reload
	buffer_load_dword v38, off, s[20:23], 0 offset:4 ; 4-byte Folded Reload
	buffer_load_dword v39, off, s[20:23], 0 offset:8 ; 4-byte Folded Reload
	;; [unrolled: 1-line block ×3, first 2 shown]
	s_waitcnt vmcnt(0)
	ds_write2_b64 v125, v[37:38], v[39:40] offset0:116 offset1:117
	ds_read2_b64 v[97:100], v127 offset1:1
	s_waitcnt lgkmcnt(0)
	v_cmp_neq_f64_e32 vcc, 0, v[97:98]
	v_cmp_neq_f64_e64 s[2:3], 0, v[99:100]
	s_or_b64 s[2:3], vcc, s[2:3]
	s_and_b64 exec, exec, s[2:3]
	s_cbranch_execz .LBB117_521
; %bb.516:
	v_cmp_ngt_f64_e64 s[2:3], |v[97:98]|, |v[99:100]|
                                        ; implicit-def: $vgpr105_vgpr106
	s_and_saveexec_b64 s[6:7], s[2:3]
	s_xor_b64 s[2:3], exec, s[6:7]
                                        ; implicit-def: $vgpr107_vgpr108
	s_cbranch_execz .LBB117_518
; %bb.517:
	v_div_scale_f64 v[105:106], s[6:7], v[99:100], v[99:100], v[97:98]
	v_div_scale_f64 v[95:96], vcc, v[97:98], v[99:100], v[97:98]
	v_rcp_f64_e32 v[107:108], v[105:106]
	v_fma_f64 v[93:94], -v[105:106], v[107:108], 1.0
	v_fma_f64 v[93:94], v[107:108], v[93:94], v[107:108]
	v_fma_f64 v[107:108], -v[105:106], v[93:94], 1.0
	v_fma_f64 v[93:94], v[93:94], v[107:108], v[93:94]
	v_mul_f64 v[107:108], v[95:96], v[93:94]
	v_fma_f64 v[95:96], -v[105:106], v[107:108], v[95:96]
	v_div_fmas_f64 v[93:94], v[95:96], v[93:94], v[107:108]
	v_div_fixup_f64 v[93:94], v[93:94], v[99:100], v[97:98]
	v_fma_f64 v[95:96], v[97:98], v[93:94], v[99:100]
	v_div_scale_f64 v[97:98], s[6:7], v[95:96], v[95:96], 1.0
	v_div_scale_f64 v[107:108], vcc, 1.0, v[95:96], 1.0
	v_rcp_f64_e32 v[99:100], v[97:98]
	v_fma_f64 v[105:106], -v[97:98], v[99:100], 1.0
	v_fma_f64 v[99:100], v[99:100], v[105:106], v[99:100]
	v_fma_f64 v[105:106], -v[97:98], v[99:100], 1.0
	v_fma_f64 v[99:100], v[99:100], v[105:106], v[99:100]
	v_mul_f64 v[105:106], v[107:108], v[99:100]
	v_fma_f64 v[97:98], -v[97:98], v[105:106], v[107:108]
	v_div_fmas_f64 v[97:98], v[97:98], v[99:100], v[105:106]
	v_div_fixup_f64 v[107:108], v[97:98], v[95:96], 1.0
                                        ; implicit-def: $vgpr97_vgpr98
	v_mul_f64 v[105:106], v[93:94], v[107:108]
	v_xor_b32_e32 v108, 0x80000000, v108
.LBB117_518:
	s_andn2_saveexec_b64 s[2:3], s[2:3]
	s_cbranch_execz .LBB117_520
; %bb.519:
	v_div_scale_f64 v[93:94], s[6:7], v[97:98], v[97:98], v[99:100]
	v_rcp_f64_e32 v[95:96], v[93:94]
	v_fma_f64 v[105:106], -v[93:94], v[95:96], 1.0
	v_fma_f64 v[95:96], v[95:96], v[105:106], v[95:96]
	v_div_scale_f64 v[105:106], vcc, v[99:100], v[97:98], v[99:100]
	v_fma_f64 v[107:108], -v[93:94], v[95:96], 1.0
	v_fma_f64 v[95:96], v[95:96], v[107:108], v[95:96]
	v_mul_f64 v[107:108], v[105:106], v[95:96]
	v_fma_f64 v[93:94], -v[93:94], v[107:108], v[105:106]
	v_div_fmas_f64 v[93:94], v[93:94], v[95:96], v[107:108]
	v_div_fixup_f64 v[93:94], v[93:94], v[97:98], v[99:100]
	v_fma_f64 v[95:96], v[99:100], v[93:94], v[97:98]
	v_div_scale_f64 v[97:98], s[6:7], v[95:96], v[95:96], 1.0
	v_div_scale_f64 v[107:108], vcc, 1.0, v[95:96], 1.0
	v_rcp_f64_e32 v[99:100], v[97:98]
	v_fma_f64 v[105:106], -v[97:98], v[99:100], 1.0
	v_fma_f64 v[99:100], v[99:100], v[105:106], v[99:100]
	v_fma_f64 v[105:106], -v[97:98], v[99:100], 1.0
	v_fma_f64 v[99:100], v[99:100], v[105:106], v[99:100]
	v_mul_f64 v[105:106], v[107:108], v[99:100]
	v_fma_f64 v[97:98], -v[97:98], v[105:106], v[107:108]
	v_div_fmas_f64 v[97:98], v[97:98], v[99:100], v[105:106]
	v_div_fixup_f64 v[105:106], v[97:98], v[95:96], 1.0
	v_mul_f64 v[107:108], v[93:94], -v[105:106]
.LBB117_520:
	s_or_b64 exec, exec, s[2:3]
	ds_write2_b64 v127, v[105:106], v[107:108] offset1:1
.LBB117_521:
	s_or_b64 exec, exec, s[4:5]
	s_waitcnt lgkmcnt(0)
	s_barrier
	ds_read2_b64 v[33:36], v127 offset1:1
	v_cmp_lt_u32_e32 vcc, 57, v0
	s_and_saveexec_b64 s[2:3], vcc
	s_cbranch_execz .LBB117_523
; %bb.522:
	ds_read2_b64 v[105:108], v125 offset0:116 offset1:117
	buffer_load_dword v37, off, s[20:23], 0 ; 4-byte Folded Reload
	buffer_load_dword v38, off, s[20:23], 0 offset:4 ; 4-byte Folded Reload
	buffer_load_dword v39, off, s[20:23], 0 offset:8 ; 4-byte Folded Reload
	;; [unrolled: 1-line block ×3, first 2 shown]
	s_waitcnt lgkmcnt(1)
	v_mul_f64 v[93:94], v[33:34], v[3:4]
	v_mul_f64 v[3:4], v[35:36], v[3:4]
	v_fma_f64 v[93:94], v[35:36], v[1:2], v[93:94]
	v_fma_f64 v[1:2], v[33:34], v[1:2], -v[3:4]
	s_waitcnt lgkmcnt(0)
	v_mul_f64 v[3:4], v[107:108], v[93:94]
	v_mul_f64 v[95:96], v[105:106], v[93:94]
	v_fma_f64 v[3:4], v[105:106], v[1:2], -v[3:4]
	v_fma_f64 v[95:96], v[107:108], v[1:2], v[95:96]
	s_waitcnt vmcnt(2)
	v_add_f64 v[37:38], v[37:38], -v[3:4]
	v_mov_b32_e32 v3, v93
	s_waitcnt vmcnt(0)
	v_add_f64 v[39:40], v[39:40], -v[95:96]
	v_mov_b32_e32 v4, v94
	buffer_store_dword v37, off, s[20:23], 0 ; 4-byte Folded Spill
	s_nop 0
	buffer_store_dword v38, off, s[20:23], 0 offset:4 ; 4-byte Folded Spill
	buffer_store_dword v39, off, s[20:23], 0 offset:8 ; 4-byte Folded Spill
	;; [unrolled: 1-line block ×3, first 2 shown]
.LBB117_523:
	s_or_b64 exec, exec, s[2:3]
	v_cmp_eq_u32_e32 vcc, 58, v0
	s_waitcnt vmcnt(0) lgkmcnt(0)
	s_barrier
	s_and_saveexec_b64 s[4:5], vcc
	s_cbranch_execz .LBB117_530
; %bb.524:
	buffer_load_dword v37, off, s[20:23], 0 ; 4-byte Folded Reload
	buffer_load_dword v38, off, s[20:23], 0 offset:4 ; 4-byte Folded Reload
	buffer_load_dword v39, off, s[20:23], 0 offset:8 ; 4-byte Folded Reload
	;; [unrolled: 1-line block ×3, first 2 shown]
	s_waitcnt vmcnt(2)
	v_cmp_neq_f64_e32 vcc, 0, v[37:38]
	s_waitcnt vmcnt(0)
	v_cmp_neq_f64_e64 s[2:3], 0, v[39:40]
	ds_write2_b64 v127, v[37:38], v[39:40] offset1:1
	s_or_b64 s[2:3], vcc, s[2:3]
	s_and_b64 exec, exec, s[2:3]
	s_cbranch_execz .LBB117_530
; %bb.525:
	buffer_load_dword v37, off, s[20:23], 0 ; 4-byte Folded Reload
	buffer_load_dword v38, off, s[20:23], 0 offset:4 ; 4-byte Folded Reload
	buffer_load_dword v39, off, s[20:23], 0 offset:8 ; 4-byte Folded Reload
	;; [unrolled: 1-line block ×3, first 2 shown]
                                        ; implicit-def: $vgpr105_vgpr106
	s_waitcnt vmcnt(0)
	v_cmp_ngt_f64_e64 s[2:3], |v[37:38]|, |v[39:40]|
	s_and_saveexec_b64 s[6:7], s[2:3]
	s_xor_b64 s[2:3], exec, s[6:7]
                                        ; implicit-def: $vgpr107_vgpr108
	s_cbranch_execz .LBB117_527
; %bb.526:
	buffer_load_dword v37, off, s[20:23], 0 ; 4-byte Folded Reload
	buffer_load_dword v38, off, s[20:23], 0 offset:4 ; 4-byte Folded Reload
	buffer_load_dword v39, off, s[20:23], 0 offset:8 ; 4-byte Folded Reload
	;; [unrolled: 1-line block ×3, first 2 shown]
	v_mov_b32_e32 v97, v101
	v_mov_b32_e32 v98, v102
	;; [unrolled: 1-line block ×72, first 2 shown]
	s_waitcnt vmcnt(0)
	v_div_scale_f64 v[93:94], s[6:7], v[39:40], v[39:40], v[37:38]
	v_rcp_f64_e32 v[95:96], v[93:94]
	v_fma_f64 v[105:106], -v[93:94], v[95:96], 1.0
	v_fma_f64 v[95:96], v[95:96], v[105:106], v[95:96]
	v_div_scale_f64 v[105:106], vcc, v[37:38], v[39:40], v[37:38]
	v_fma_f64 v[107:108], -v[93:94], v[95:96], 1.0
	v_fma_f64 v[95:96], v[95:96], v[107:108], v[95:96]
	v_mul_f64 v[107:108], v[105:106], v[95:96]
	v_fma_f64 v[93:94], -v[93:94], v[107:108], v[105:106]
	v_div_fmas_f64 v[93:94], v[93:94], v[95:96], v[107:108]
	v_div_fixup_f64 v[93:94], v[93:94], v[39:40], v[37:38]
	v_fma_f64 v[95:96], v[37:38], v[93:94], v[39:40]
	v_mov_b32_e32 v37, v113
	v_mov_b32_e32 v38, v114
	;; [unrolled: 1-line block ×7, first 2 shown]
	v_div_scale_f64 v[105:106], s[6:7], v[95:96], v[95:96], 1.0
	v_mov_b32_e32 v113, v41
	v_mov_b32_e32 v41, v45
	;; [unrolled: 1-line block ×14, first 2 shown]
	v_rcp_f64_e32 v[107:108], v[105:106]
	v_mov_b32_e32 v54, v58
	v_mov_b32_e32 v55, v59
	;; [unrolled: 1-line block ×15, first 2 shown]
	v_fma_f64 v[125:126], -v[105:106], v[107:108], 1.0
	v_mov_b32_e32 v69, v73
	v_mov_b32_e32 v70, v74
	;; [unrolled: 1-line block ×7, first 2 shown]
	v_fma_f64 v[107:108], v[107:108], v[125:126], v[107:108]
	v_mov_b32_e32 v76, v80
	v_mov_b32_e32 v77, v81
	;; [unrolled: 1-line block ×10, first 2 shown]
	v_fma_f64 v[125:126], -v[105:106], v[107:108], 1.0
	v_mov_b32_e32 v90, v118
	v_div_scale_f64 v[117:118], vcc, 1.0, v[95:96], 1.0
	v_mov_b32_e32 v91, v119
	v_mov_b32_e32 v92, v120
	v_fma_f64 v[107:108], v[107:108], v[125:126], v[107:108]
	v_mul_f64 v[119:120], v[117:118], v[107:108]
	v_fma_f64 v[105:106], -v[105:106], v[119:120], v[117:118]
	v_mov_b32_e32 v118, v90
	v_mov_b32_e32 v117, v89
	v_div_fmas_f64 v[105:106], v[105:106], v[107:108], v[119:120]
	v_mov_b32_e32 v120, v92
	v_mov_b32_e32 v119, v91
	v_mov_b32_e32 v92, v84
	v_mov_b32_e32 v91, v83
	v_mov_b32_e32 v90, v82
	v_mov_b32_e32 v89, v81
	v_mov_b32_e32 v84, v80
	v_mov_b32_e32 v83, v79
	v_mov_b32_e32 v82, v78
	v_mov_b32_e32 v81, v77
	v_mov_b32_e32 v80, v76
	v_mov_b32_e32 v79, v75
	v_mov_b32_e32 v78, v74
	v_mov_b32_e32 v77, v73
	v_mov_b32_e32 v76, v72
	v_div_fixup_f64 v[107:108], v[105:106], v[95:96], 1.0
	v_mov_b32_e32 v75, v71
	v_mov_b32_e32 v74, v70
	;; [unrolled: 1-line block ×12, first 2 shown]
	v_mul_f64 v[105:106], v[93:94], v[107:108]
	v_mov_b32_e32 v63, v59
	v_mov_b32_e32 v62, v58
	;; [unrolled: 1-line block ×27, first 2 shown]
	v_xor_b32_e32 v108, 0x80000000, v108
.LBB117_527:
	s_andn2_saveexec_b64 s[2:3], s[2:3]
	s_cbranch_execz .LBB117_529
; %bb.528:
	buffer_load_dword v37, off, s[20:23], 0 ; 4-byte Folded Reload
	buffer_load_dword v38, off, s[20:23], 0 offset:4 ; 4-byte Folded Reload
	buffer_load_dword v39, off, s[20:23], 0 offset:8 ; 4-byte Folded Reload
	;; [unrolled: 1-line block ×3, first 2 shown]
	v_mov_b32_e32 v126, v118
	v_mov_b32_e32 v125, v117
	;; [unrolled: 1-line block ×74, first 2 shown]
	s_waitcnt vmcnt(0)
	v_div_scale_f64 v[93:94], s[6:7], v[37:38], v[37:38], v[39:40]
	v_rcp_f64_e32 v[95:96], v[93:94]
	v_fma_f64 v[105:106], -v[93:94], v[95:96], 1.0
	v_fma_f64 v[95:96], v[95:96], v[105:106], v[95:96]
	v_div_scale_f64 v[105:106], vcc, v[39:40], v[37:38], v[39:40]
	v_fma_f64 v[107:108], -v[93:94], v[95:96], 1.0
	v_fma_f64 v[95:96], v[95:96], v[107:108], v[95:96]
	v_mul_f64 v[107:108], v[105:106], v[95:96]
	v_fma_f64 v[93:94], -v[93:94], v[107:108], v[105:106]
	v_div_fmas_f64 v[93:94], v[93:94], v[95:96], v[107:108]
	v_div_fixup_f64 v[93:94], v[93:94], v[37:38], v[39:40]
	v_fma_f64 v[95:96], v[39:40], v[93:94], v[37:38]
	v_mov_b32_e32 v37, v113
	v_mov_b32_e32 v38, v114
	;; [unrolled: 1-line block ×7, first 2 shown]
	v_div_scale_f64 v[105:106], s[6:7], v[95:96], v[95:96], 1.0
	v_mov_b32_e32 v113, v41
	v_mov_b32_e32 v41, v45
	;; [unrolled: 1-line block ×14, first 2 shown]
	v_rcp_f64_e32 v[107:108], v[105:106]
	v_mov_b32_e32 v54, v58
	v_mov_b32_e32 v55, v59
	;; [unrolled: 1-line block ×15, first 2 shown]
	v_fma_f64 v[117:118], -v[105:106], v[107:108], 1.0
	v_mov_b32_e32 v69, v73
	v_mov_b32_e32 v70, v74
	;; [unrolled: 1-line block ×7, first 2 shown]
	v_fma_f64 v[107:108], v[107:108], v[117:118], v[107:108]
	v_mov_b32_e32 v76, v80
	v_mov_b32_e32 v77, v81
	;; [unrolled: 1-line block ×10, first 2 shown]
	v_fma_f64 v[117:118], -v[105:106], v[107:108], 1.0
	v_mov_b32_e32 v90, v120
	v_div_scale_f64 v[119:120], vcc, 1.0, v[95:96], 1.0
	v_fma_f64 v[107:108], v[107:108], v[117:118], v[107:108]
	v_mul_f64 v[117:118], v[119:120], v[107:108]
	v_fma_f64 v[105:106], -v[105:106], v[117:118], v[119:120]
	v_mov_b32_e32 v120, v90
	v_mov_b32_e32 v119, v89
	;; [unrolled: 1-line block ×7, first 2 shown]
	v_div_fmas_f64 v[105:106], v[105:106], v[107:108], v[117:118]
	v_mov_b32_e32 v83, v79
	v_mov_b32_e32 v82, v78
	;; [unrolled: 1-line block ×15, first 2 shown]
	v_div_fixup_f64 v[105:106], v[105:106], v[95:96], 1.0
	v_mov_b32_e32 v68, v64
	v_mov_b32_e32 v67, v63
	;; [unrolled: 1-line block ×7, first 2 shown]
	v_mul_f64 v[107:108], v[93:94], -v[105:106]
	v_mov_b32_e32 v61, v57
	v_mov_b32_e32 v60, v56
	v_mov_b32_e32 v59, v55
	v_mov_b32_e32 v58, v54
	v_mov_b32_e32 v57, v53
	v_mov_b32_e32 v56, v52
	v_mov_b32_e32 v55, v51
	v_mov_b32_e32 v54, v50
	v_mov_b32_e32 v53, v49
	v_mov_b32_e32 v52, v48
	v_mov_b32_e32 v51, v47
	v_mov_b32_e32 v50, v46
	v_mov_b32_e32 v49, v45
	v_mov_b32_e32 v48, v44
	v_mov_b32_e32 v47, v43
	v_mov_b32_e32 v46, v42
	v_mov_b32_e32 v45, v41
	v_mov_b32_e32 v41, v113
	v_mov_b32_e32 v42, v114
	v_mov_b32_e32 v43, v115
	v_mov_b32_e32 v44, v116
	v_mov_b32_e32 v116, v40
	v_mov_b32_e32 v117, v125
	v_mov_b32_e32 v115, v39
	v_mov_b32_e32 v114, v38
	v_mov_b32_e32 v113, v37
	v_mov_b32_e32 v118, v126
.LBB117_529:
	s_or_b64 exec, exec, s[2:3]
	ds_write2_b64 v127, v[105:106], v[107:108] offset1:1
.LBB117_530:
	s_or_b64 exec, exec, s[4:5]
	s_waitcnt lgkmcnt(0)
	s_barrier
	ds_read2_b64 v[105:108], v127 offset1:1
	s_waitcnt lgkmcnt(0)
	s_barrier
	s_and_saveexec_b64 s[2:3], s[0:1]
	s_cbranch_execz .LBB117_533
; %bb.531:
	buffer_load_dword v37, off, s[20:23], 0 offset:1024 ; 4-byte Folded Reload
	buffer_load_dword v38, off, s[20:23], 0 offset:1028 ; 4-byte Folded Reload
	;; [unrolled: 1-line block ×4, first 2 shown]
	s_waitcnt vmcnt(2)
	v_cmp_eq_f64_e32 vcc, 0, v[37:38]
	s_waitcnt vmcnt(0)
	v_cmp_eq_f64_e64 s[0:1], 0, v[39:40]
	buffer_load_dword v37, off, s[20:23], 0 offset:1040 ; 4-byte Folded Reload
	buffer_load_dword v38, off, s[20:23], 0 offset:1044 ; 4-byte Folded Reload
	;; [unrolled: 1-line block ×4, first 2 shown]
	s_and_b64 s[4:5], vcc, s[0:1]
	v_cndmask_b32_e64 v93, 0, 1, s[4:5]
	s_waitcnt vmcnt(2)
	v_cmp_neq_f64_e32 vcc, 0, v[37:38]
	s_waitcnt vmcnt(0)
	v_cmp_neq_f64_e64 s[0:1], 0, v[39:40]
	buffer_load_dword v37, off, s[20:23], 0 offset:1056 ; 4-byte Folded Reload
	buffer_load_dword v38, off, s[20:23], 0 offset:1060 ; 4-byte Folded Reload
	;; [unrolled: 1-line block ×4, first 2 shown]
	s_or_b64 s[0:1], vcc, s[0:1]
	s_or_b64 vcc, s[0:1], s[4:5]
	v_cndmask_b32_e32 v93, 2, v93, vcc
	s_waitcnt vmcnt(2)
	v_cmp_eq_f64_e32 vcc, 0, v[37:38]
	s_waitcnt vmcnt(0)
	v_cmp_eq_f64_e64 s[0:1], 0, v[39:40]
	buffer_load_dword v37, off, s[20:23], 0 offset:1072 ; 4-byte Folded Reload
	buffer_load_dword v38, off, s[20:23], 0 offset:1076 ; 4-byte Folded Reload
	buffer_load_dword v39, off, s[20:23], 0 offset:1080 ; 4-byte Folded Reload
	buffer_load_dword v40, off, s[20:23], 0 offset:1084 ; 4-byte Folded Reload
	s_and_b64 s[0:1], vcc, s[0:1]
	v_cmp_eq_u32_e32 vcc, 0, v93
	s_and_b64 s[0:1], s[0:1], vcc
	v_cndmask_b32_e64 v93, v93, 3, s[0:1]
	s_waitcnt vmcnt(2)
	v_cmp_eq_f64_e32 vcc, 0, v[37:38]
	s_waitcnt vmcnt(0)
	v_cmp_eq_f64_e64 s[0:1], 0, v[39:40]
	buffer_load_dword v37, off, s[20:23], 0 offset:1088 ; 4-byte Folded Reload
	buffer_load_dword v38, off, s[20:23], 0 offset:1092 ; 4-byte Folded Reload
	buffer_load_dword v39, off, s[20:23], 0 offset:1096 ; 4-byte Folded Reload
	buffer_load_dword v40, off, s[20:23], 0 offset:1100 ; 4-byte Folded Reload
	s_and_b64 s[0:1], vcc, s[0:1]
	v_cmp_eq_u32_e32 vcc, 0, v93
	s_and_b64 s[0:1], s[0:1], vcc
	v_cndmask_b32_e64 v93, v93, 4, s[0:1]
	s_waitcnt vmcnt(2)
	v_cmp_eq_f64_e32 vcc, 0, v[37:38]
	s_waitcnt vmcnt(0)
	v_cmp_eq_f64_e64 s[0:1], 0, v[39:40]
	buffer_load_dword v37, off, s[20:23], 0 offset:1104 ; 4-byte Folded Reload
	buffer_load_dword v38, off, s[20:23], 0 offset:1108 ; 4-byte Folded Reload
	buffer_load_dword v39, off, s[20:23], 0 offset:1112 ; 4-byte Folded Reload
	buffer_load_dword v40, off, s[20:23], 0 offset:1116 ; 4-byte Folded Reload
	s_and_b64 s[0:1], vcc, s[0:1]
	v_cmp_eq_u32_e32 vcc, 0, v93
	s_and_b64 s[0:1], s[0:1], vcc
	v_cndmask_b32_e64 v93, v93, 5, s[0:1]
	s_waitcnt vmcnt(2)
	v_cmp_eq_f64_e32 vcc, 0, v[37:38]
	s_waitcnt vmcnt(0)
	v_cmp_eq_f64_e64 s[0:1], 0, v[39:40]
	buffer_load_dword v37, off, s[20:23], 0 offset:1120 ; 4-byte Folded Reload
	buffer_load_dword v38, off, s[20:23], 0 offset:1124 ; 4-byte Folded Reload
	buffer_load_dword v39, off, s[20:23], 0 offset:1128 ; 4-byte Folded Reload
	buffer_load_dword v40, off, s[20:23], 0 offset:1132 ; 4-byte Folded Reload
	s_and_b64 s[0:1], vcc, s[0:1]
	v_cmp_eq_u32_e32 vcc, 0, v93
	s_and_b64 s[0:1], s[0:1], vcc
	v_cndmask_b32_e64 v93, v93, 6, s[0:1]
	s_waitcnt vmcnt(2)
	v_cmp_eq_f64_e32 vcc, 0, v[37:38]
	s_waitcnt vmcnt(0)
	v_cmp_eq_f64_e64 s[0:1], 0, v[39:40]
	buffer_load_dword v37, off, s[20:23], 0 offset:1136 ; 4-byte Folded Reload
	buffer_load_dword v38, off, s[20:23], 0 offset:1140 ; 4-byte Folded Reload
	buffer_load_dword v39, off, s[20:23], 0 offset:1144 ; 4-byte Folded Reload
	buffer_load_dword v40, off, s[20:23], 0 offset:1148 ; 4-byte Folded Reload
	s_and_b64 s[0:1], vcc, s[0:1]
	v_cmp_eq_u32_e32 vcc, 0, v93
	s_and_b64 s[0:1], s[0:1], vcc
	v_cndmask_b32_e64 v93, v93, 7, s[0:1]
	s_waitcnt vmcnt(2)
	v_cmp_eq_f64_e32 vcc, 0, v[37:38]
	s_waitcnt vmcnt(0)
	v_cmp_eq_f64_e64 s[0:1], 0, v[39:40]
	buffer_load_dword v37, off, s[20:23], 0 offset:1152 ; 4-byte Folded Reload
	buffer_load_dword v38, off, s[20:23], 0 offset:1156 ; 4-byte Folded Reload
	buffer_load_dword v39, off, s[20:23], 0 offset:1160 ; 4-byte Folded Reload
	buffer_load_dword v40, off, s[20:23], 0 offset:1164 ; 4-byte Folded Reload
	s_and_b64 s[0:1], vcc, s[0:1]
	v_cmp_eq_u32_e32 vcc, 0, v93
	s_and_b64 s[0:1], s[0:1], vcc
	v_cndmask_b32_e64 v93, v93, 8, s[0:1]
	s_waitcnt vmcnt(2)
	v_cmp_eq_f64_e32 vcc, 0, v[37:38]
	s_waitcnt vmcnt(0)
	v_cmp_eq_f64_e64 s[0:1], 0, v[39:40]
	buffer_load_dword v37, off, s[20:23], 0 offset:1168 ; 4-byte Folded Reload
	buffer_load_dword v38, off, s[20:23], 0 offset:1172 ; 4-byte Folded Reload
	buffer_load_dword v39, off, s[20:23], 0 offset:1176 ; 4-byte Folded Reload
	buffer_load_dword v40, off, s[20:23], 0 offset:1180 ; 4-byte Folded Reload
	s_and_b64 s[0:1], vcc, s[0:1]
	v_cmp_eq_u32_e32 vcc, 0, v93
	s_and_b64 s[0:1], s[0:1], vcc
	v_cndmask_b32_e64 v93, v93, 9, s[0:1]
	s_waitcnt vmcnt(2)
	v_cmp_eq_f64_e32 vcc, 0, v[37:38]
	s_waitcnt vmcnt(0)
	v_cmp_eq_f64_e64 s[0:1], 0, v[39:40]
	buffer_load_dword v37, off, s[20:23], 0 offset:1184 ; 4-byte Folded Reload
	buffer_load_dword v38, off, s[20:23], 0 offset:1188 ; 4-byte Folded Reload
	buffer_load_dword v39, off, s[20:23], 0 offset:1192 ; 4-byte Folded Reload
	buffer_load_dword v40, off, s[20:23], 0 offset:1196 ; 4-byte Folded Reload
	s_and_b64 s[0:1], vcc, s[0:1]
	v_cmp_eq_u32_e32 vcc, 0, v93
	s_and_b64 s[0:1], s[0:1], vcc
	v_cndmask_b32_e64 v93, v93, 10, s[0:1]
	s_waitcnt vmcnt(2)
	v_cmp_eq_f64_e32 vcc, 0, v[37:38]
	s_waitcnt vmcnt(0)
	v_cmp_eq_f64_e64 s[0:1], 0, v[39:40]
	buffer_load_dword v37, off, s[20:23], 0 offset:1200 ; 4-byte Folded Reload
	buffer_load_dword v38, off, s[20:23], 0 offset:1204 ; 4-byte Folded Reload
	buffer_load_dword v39, off, s[20:23], 0 offset:1208 ; 4-byte Folded Reload
	buffer_load_dword v40, off, s[20:23], 0 offset:1212 ; 4-byte Folded Reload
	s_and_b64 s[0:1], vcc, s[0:1]
	v_cmp_eq_u32_e32 vcc, 0, v93
	s_and_b64 s[0:1], s[0:1], vcc
	v_cndmask_b32_e64 v93, v93, 11, s[0:1]
	s_waitcnt vmcnt(2)
	v_cmp_eq_f64_e32 vcc, 0, v[37:38]
	s_waitcnt vmcnt(0)
	v_cmp_eq_f64_e64 s[0:1], 0, v[39:40]
	buffer_load_dword v37, off, s[20:23], 0 offset:1216 ; 4-byte Folded Reload
	buffer_load_dword v38, off, s[20:23], 0 offset:1220 ; 4-byte Folded Reload
	buffer_load_dword v39, off, s[20:23], 0 offset:1224 ; 4-byte Folded Reload
	buffer_load_dword v40, off, s[20:23], 0 offset:1228 ; 4-byte Folded Reload
	s_and_b64 s[0:1], vcc, s[0:1]
	v_cmp_eq_u32_e32 vcc, 0, v93
	s_and_b64 s[0:1], s[0:1], vcc
	v_cndmask_b32_e64 v93, v93, 12, s[0:1]
	s_waitcnt vmcnt(2)
	v_cmp_eq_f64_e32 vcc, 0, v[37:38]
	s_waitcnt vmcnt(0)
	v_cmp_eq_f64_e64 s[0:1], 0, v[39:40]
	buffer_load_dword v37, off, s[20:23], 0 offset:1232 ; 4-byte Folded Reload
	buffer_load_dword v38, off, s[20:23], 0 offset:1236 ; 4-byte Folded Reload
	buffer_load_dword v39, off, s[20:23], 0 offset:1240 ; 4-byte Folded Reload
	buffer_load_dword v40, off, s[20:23], 0 offset:1244 ; 4-byte Folded Reload
	s_and_b64 s[0:1], vcc, s[0:1]
	v_cmp_eq_u32_e32 vcc, 0, v93
	s_and_b64 s[0:1], s[0:1], vcc
	v_cndmask_b32_e64 v93, v93, 13, s[0:1]
	s_waitcnt vmcnt(2)
	v_cmp_eq_f64_e32 vcc, 0, v[37:38]
	s_waitcnt vmcnt(0)
	v_cmp_eq_f64_e64 s[0:1], 0, v[39:40]
	buffer_load_dword v37, off, s[20:23], 0 offset:1248 ; 4-byte Folded Reload
	buffer_load_dword v38, off, s[20:23], 0 offset:1252 ; 4-byte Folded Reload
	buffer_load_dword v39, off, s[20:23], 0 offset:1256 ; 4-byte Folded Reload
	buffer_load_dword v40, off, s[20:23], 0 offset:1260 ; 4-byte Folded Reload
	s_and_b64 s[0:1], vcc, s[0:1]
	v_cmp_eq_u32_e32 vcc, 0, v93
	s_and_b64 s[0:1], s[0:1], vcc
	v_cndmask_b32_e64 v93, v93, 14, s[0:1]
	s_waitcnt vmcnt(2)
	v_cmp_eq_f64_e32 vcc, 0, v[37:38]
	s_waitcnt vmcnt(0)
	v_cmp_eq_f64_e64 s[0:1], 0, v[39:40]
	buffer_load_dword v37, off, s[20:23], 0 offset:1264 ; 4-byte Folded Reload
	buffer_load_dword v38, off, s[20:23], 0 offset:1268 ; 4-byte Folded Reload
	buffer_load_dword v39, off, s[20:23], 0 offset:1272 ; 4-byte Folded Reload
	buffer_load_dword v40, off, s[20:23], 0 offset:1276 ; 4-byte Folded Reload
	s_and_b64 s[0:1], vcc, s[0:1]
	v_cmp_eq_u32_e32 vcc, 0, v93
	s_and_b64 s[0:1], s[0:1], vcc
	v_cndmask_b32_e64 v93, v93, 15, s[0:1]
	s_waitcnt vmcnt(2)
	v_cmp_eq_f64_e32 vcc, 0, v[37:38]
	s_waitcnt vmcnt(0)
	v_cmp_eq_f64_e64 s[0:1], 0, v[39:40]
	buffer_load_dword v37, off, s[20:23], 0 offset:1280 ; 4-byte Folded Reload
	buffer_load_dword v38, off, s[20:23], 0 offset:1284 ; 4-byte Folded Reload
	buffer_load_dword v39, off, s[20:23], 0 offset:1288 ; 4-byte Folded Reload
	buffer_load_dword v40, off, s[20:23], 0 offset:1292 ; 4-byte Folded Reload
	s_and_b64 s[0:1], vcc, s[0:1]
	v_cmp_eq_u32_e32 vcc, 0, v93
	s_and_b64 s[0:1], s[0:1], vcc
	v_cndmask_b32_e64 v93, v93, 16, s[0:1]
	s_waitcnt vmcnt(2)
	v_cmp_eq_f64_e32 vcc, 0, v[37:38]
	s_waitcnt vmcnt(0)
	v_cmp_eq_f64_e64 s[0:1], 0, v[39:40]
	buffer_load_dword v37, off, s[20:23], 0 offset:1296 ; 4-byte Folded Reload
	buffer_load_dword v38, off, s[20:23], 0 offset:1300 ; 4-byte Folded Reload
	buffer_load_dword v39, off, s[20:23], 0 offset:1304 ; 4-byte Folded Reload
	buffer_load_dword v40, off, s[20:23], 0 offset:1308 ; 4-byte Folded Reload
	s_and_b64 s[0:1], vcc, s[0:1]
	v_cmp_eq_u32_e32 vcc, 0, v93
	s_and_b64 s[0:1], s[0:1], vcc
	v_cndmask_b32_e64 v93, v93, 17, s[0:1]
	s_waitcnt vmcnt(2)
	v_cmp_eq_f64_e32 vcc, 0, v[37:38]
	s_waitcnt vmcnt(0)
	v_cmp_eq_f64_e64 s[0:1], 0, v[39:40]
	buffer_load_dword v37, off, s[20:23], 0 offset:1312 ; 4-byte Folded Reload
	buffer_load_dword v38, off, s[20:23], 0 offset:1316 ; 4-byte Folded Reload
	buffer_load_dword v39, off, s[20:23], 0 offset:1320 ; 4-byte Folded Reload
	buffer_load_dword v40, off, s[20:23], 0 offset:1324 ; 4-byte Folded Reload
	s_and_b64 s[0:1], vcc, s[0:1]
	v_cmp_eq_u32_e32 vcc, 0, v93
	s_and_b64 s[0:1], s[0:1], vcc
	v_cndmask_b32_e64 v93, v93, 18, s[0:1]
	s_waitcnt vmcnt(2)
	v_cmp_eq_f64_e32 vcc, 0, v[37:38]
	s_waitcnt vmcnt(0)
	v_cmp_eq_f64_e64 s[0:1], 0, v[39:40]
	buffer_load_dword v37, off, s[20:23], 0 offset:1328 ; 4-byte Folded Reload
	buffer_load_dword v38, off, s[20:23], 0 offset:1332 ; 4-byte Folded Reload
	buffer_load_dword v39, off, s[20:23], 0 offset:1336 ; 4-byte Folded Reload
	buffer_load_dword v40, off, s[20:23], 0 offset:1340 ; 4-byte Folded Reload
	s_and_b64 s[0:1], vcc, s[0:1]
	v_cmp_eq_u32_e32 vcc, 0, v93
	s_and_b64 s[0:1], s[0:1], vcc
	v_cndmask_b32_e64 v93, v93, 19, s[0:1]
	s_waitcnt vmcnt(2)
	v_cmp_eq_f64_e32 vcc, 0, v[37:38]
	s_waitcnt vmcnt(0)
	v_cmp_eq_f64_e64 s[0:1], 0, v[39:40]
	buffer_load_dword v37, off, s[20:23], 0 offset:1344 ; 4-byte Folded Reload
	buffer_load_dword v38, off, s[20:23], 0 offset:1348 ; 4-byte Folded Reload
	buffer_load_dword v39, off, s[20:23], 0 offset:1352 ; 4-byte Folded Reload
	buffer_load_dword v40, off, s[20:23], 0 offset:1356 ; 4-byte Folded Reload
	s_and_b64 s[0:1], vcc, s[0:1]
	v_cmp_eq_u32_e32 vcc, 0, v93
	s_and_b64 s[0:1], s[0:1], vcc
	v_cndmask_b32_e64 v93, v93, 20, s[0:1]
	s_waitcnt vmcnt(2)
	v_cmp_eq_f64_e32 vcc, 0, v[37:38]
	s_waitcnt vmcnt(0)
	v_cmp_eq_f64_e64 s[0:1], 0, v[39:40]
	buffer_load_dword v37, off, s[20:23], 0 offset:1360 ; 4-byte Folded Reload
	buffer_load_dword v38, off, s[20:23], 0 offset:1364 ; 4-byte Folded Reload
	buffer_load_dword v39, off, s[20:23], 0 offset:1368 ; 4-byte Folded Reload
	buffer_load_dword v40, off, s[20:23], 0 offset:1372 ; 4-byte Folded Reload
	s_and_b64 s[0:1], vcc, s[0:1]
	v_cmp_eq_u32_e32 vcc, 0, v93
	s_and_b64 s[0:1], s[0:1], vcc
	v_cndmask_b32_e64 v93, v93, 21, s[0:1]
	s_waitcnt vmcnt(2)
	v_cmp_eq_f64_e32 vcc, 0, v[37:38]
	s_waitcnt vmcnt(0)
	v_cmp_eq_f64_e64 s[0:1], 0, v[39:40]
	buffer_load_dword v37, off, s[20:23], 0 offset:1376 ; 4-byte Folded Reload
	buffer_load_dword v38, off, s[20:23], 0 offset:1380 ; 4-byte Folded Reload
	buffer_load_dword v39, off, s[20:23], 0 offset:1384 ; 4-byte Folded Reload
	buffer_load_dword v40, off, s[20:23], 0 offset:1388 ; 4-byte Folded Reload
	s_and_b64 s[0:1], vcc, s[0:1]
	v_cmp_eq_u32_e32 vcc, 0, v93
	s_and_b64 s[0:1], s[0:1], vcc
	v_cndmask_b32_e64 v93, v93, 22, s[0:1]
	s_waitcnt vmcnt(2)
	v_cmp_eq_f64_e32 vcc, 0, v[37:38]
	s_waitcnt vmcnt(0)
	v_cmp_eq_f64_e64 s[0:1], 0, v[39:40]
	buffer_load_dword v37, off, s[20:23], 0 offset:1392 ; 4-byte Folded Reload
	buffer_load_dword v38, off, s[20:23], 0 offset:1396 ; 4-byte Folded Reload
	buffer_load_dword v39, off, s[20:23], 0 offset:1400 ; 4-byte Folded Reload
	buffer_load_dword v40, off, s[20:23], 0 offset:1404 ; 4-byte Folded Reload
	s_and_b64 s[0:1], vcc, s[0:1]
	v_cmp_eq_u32_e32 vcc, 0, v93
	s_and_b64 s[0:1], s[0:1], vcc
	v_cndmask_b32_e64 v93, v93, 23, s[0:1]
	s_waitcnt vmcnt(2)
	v_cmp_eq_f64_e32 vcc, 0, v[37:38]
	s_waitcnt vmcnt(0)
	v_cmp_eq_f64_e64 s[0:1], 0, v[39:40]
	buffer_load_dword v37, off, s[20:23], 0 offset:1408 ; 4-byte Folded Reload
	buffer_load_dword v38, off, s[20:23], 0 offset:1412 ; 4-byte Folded Reload
	buffer_load_dword v39, off, s[20:23], 0 offset:1416 ; 4-byte Folded Reload
	buffer_load_dword v40, off, s[20:23], 0 offset:1420 ; 4-byte Folded Reload
	s_and_b64 s[0:1], vcc, s[0:1]
	v_cmp_eq_u32_e32 vcc, 0, v93
	s_and_b64 s[0:1], s[0:1], vcc
	v_cndmask_b32_e64 v93, v93, 24, s[0:1]
	s_waitcnt vmcnt(2)
	v_cmp_eq_f64_e32 vcc, 0, v[37:38]
	s_waitcnt vmcnt(0)
	v_cmp_eq_f64_e64 s[0:1], 0, v[39:40]
	buffer_load_dword v37, off, s[20:23], 0 offset:1424 ; 4-byte Folded Reload
	buffer_load_dword v38, off, s[20:23], 0 offset:1428 ; 4-byte Folded Reload
	buffer_load_dword v39, off, s[20:23], 0 offset:1432 ; 4-byte Folded Reload
	buffer_load_dword v40, off, s[20:23], 0 offset:1436 ; 4-byte Folded Reload
	s_and_b64 s[0:1], vcc, s[0:1]
	v_cmp_eq_u32_e32 vcc, 0, v93
	s_and_b64 s[0:1], s[0:1], vcc
	v_cndmask_b32_e64 v93, v93, 25, s[0:1]
	s_waitcnt vmcnt(2)
	v_cmp_eq_f64_e32 vcc, 0, v[37:38]
	s_waitcnt vmcnt(0)
	v_cmp_eq_f64_e64 s[0:1], 0, v[39:40]
	buffer_load_dword v37, off, s[20:23], 0 offset:1440 ; 4-byte Folded Reload
	buffer_load_dword v38, off, s[20:23], 0 offset:1444 ; 4-byte Folded Reload
	buffer_load_dword v39, off, s[20:23], 0 offset:1448 ; 4-byte Folded Reload
	buffer_load_dword v40, off, s[20:23], 0 offset:1452 ; 4-byte Folded Reload
	s_and_b64 s[0:1], vcc, s[0:1]
	v_cmp_eq_u32_e32 vcc, 0, v93
	s_and_b64 s[0:1], s[0:1], vcc
	v_cndmask_b32_e64 v93, v93, 26, s[0:1]
	s_waitcnt vmcnt(2)
	v_cmp_eq_f64_e32 vcc, 0, v[37:38]
	s_waitcnt vmcnt(0)
	v_cmp_eq_f64_e64 s[0:1], 0, v[39:40]
	buffer_load_dword v37, off, s[20:23], 0 offset:1456 ; 4-byte Folded Reload
	buffer_load_dword v38, off, s[20:23], 0 offset:1460 ; 4-byte Folded Reload
	buffer_load_dword v39, off, s[20:23], 0 offset:1464 ; 4-byte Folded Reload
	buffer_load_dword v40, off, s[20:23], 0 offset:1468 ; 4-byte Folded Reload
	s_and_b64 s[0:1], vcc, s[0:1]
	v_cmp_eq_u32_e32 vcc, 0, v93
	s_and_b64 s[0:1], s[0:1], vcc
	v_cndmask_b32_e64 v93, v93, 27, s[0:1]
	s_waitcnt vmcnt(2)
	v_cmp_eq_f64_e32 vcc, 0, v[37:38]
	s_waitcnt vmcnt(0)
	v_cmp_eq_f64_e64 s[0:1], 0, v[39:40]
	buffer_load_dword v37, off, s[20:23], 0 offset:1472 ; 4-byte Folded Reload
	buffer_load_dword v38, off, s[20:23], 0 offset:1476 ; 4-byte Folded Reload
	buffer_load_dword v39, off, s[20:23], 0 offset:1480 ; 4-byte Folded Reload
	buffer_load_dword v40, off, s[20:23], 0 offset:1484 ; 4-byte Folded Reload
	s_and_b64 s[0:1], vcc, s[0:1]
	v_cmp_eq_u32_e32 vcc, 0, v93
	s_and_b64 s[0:1], s[0:1], vcc
	v_cndmask_b32_e64 v93, v93, 28, s[0:1]
	s_waitcnt vmcnt(2)
	v_cmp_eq_f64_e32 vcc, 0, v[37:38]
	s_waitcnt vmcnt(0)
	v_cmp_eq_f64_e64 s[0:1], 0, v[39:40]
	buffer_load_dword v37, off, s[20:23], 0 offset:1488 ; 4-byte Folded Reload
	buffer_load_dword v38, off, s[20:23], 0 offset:1492 ; 4-byte Folded Reload
	buffer_load_dword v39, off, s[20:23], 0 offset:1496 ; 4-byte Folded Reload
	buffer_load_dword v40, off, s[20:23], 0 offset:1500 ; 4-byte Folded Reload
	s_and_b64 s[0:1], vcc, s[0:1]
	v_cmp_eq_u32_e32 vcc, 0, v93
	s_and_b64 s[0:1], s[0:1], vcc
	v_cndmask_b32_e64 v93, v93, 29, s[0:1]
	s_waitcnt vmcnt(2)
	v_cmp_eq_f64_e32 vcc, 0, v[37:38]
	s_waitcnt vmcnt(0)
	v_cmp_eq_f64_e64 s[0:1], 0, v[39:40]
	buffer_load_dword v37, off, s[20:23], 0 offset:1504 ; 4-byte Folded Reload
	buffer_load_dword v38, off, s[20:23], 0 offset:1508 ; 4-byte Folded Reload
	buffer_load_dword v39, off, s[20:23], 0 offset:1512 ; 4-byte Folded Reload
	buffer_load_dword v40, off, s[20:23], 0 offset:1516 ; 4-byte Folded Reload
	s_and_b64 s[0:1], vcc, s[0:1]
	v_cmp_eq_u32_e32 vcc, 0, v93
	s_and_b64 s[0:1], s[0:1], vcc
	v_cndmask_b32_e64 v93, v93, 30, s[0:1]
	s_waitcnt vmcnt(2)
	v_cmp_eq_f64_e32 vcc, 0, v[37:38]
	s_waitcnt vmcnt(0)
	v_cmp_eq_f64_e64 s[0:1], 0, v[39:40]
	buffer_load_dword v37, off, s[20:23], 0 offset:1520 ; 4-byte Folded Reload
	buffer_load_dword v38, off, s[20:23], 0 offset:1524 ; 4-byte Folded Reload
	buffer_load_dword v39, off, s[20:23], 0 offset:1528 ; 4-byte Folded Reload
	buffer_load_dword v40, off, s[20:23], 0 offset:1532 ; 4-byte Folded Reload
	s_and_b64 s[0:1], vcc, s[0:1]
	v_cmp_eq_u32_e32 vcc, 0, v93
	s_and_b64 s[0:1], s[0:1], vcc
	v_cndmask_b32_e64 v93, v93, 31, s[0:1]
	s_waitcnt vmcnt(2)
	v_cmp_eq_f64_e32 vcc, 0, v[37:38]
	s_waitcnt vmcnt(0)
	v_cmp_eq_f64_e64 s[0:1], 0, v[39:40]
	buffer_load_dword v37, off, s[20:23], 0 offset:1536 ; 4-byte Folded Reload
	buffer_load_dword v38, off, s[20:23], 0 offset:1540 ; 4-byte Folded Reload
	buffer_load_dword v39, off, s[20:23], 0 offset:1544 ; 4-byte Folded Reload
	buffer_load_dword v40, off, s[20:23], 0 offset:1548 ; 4-byte Folded Reload
	s_and_b64 s[0:1], vcc, s[0:1]
	v_cmp_eq_u32_e32 vcc, 0, v93
	s_and_b64 s[0:1], s[0:1], vcc
	v_cndmask_b32_e64 v93, v93, 32, s[0:1]
	s_waitcnt vmcnt(2)
	v_cmp_eq_f64_e32 vcc, 0, v[37:38]
	s_waitcnt vmcnt(0)
	v_cmp_eq_f64_e64 s[0:1], 0, v[39:40]
	buffer_load_dword v37, off, s[20:23], 0 offset:1552 ; 4-byte Folded Reload
	buffer_load_dword v38, off, s[20:23], 0 offset:1556 ; 4-byte Folded Reload
	buffer_load_dword v39, off, s[20:23], 0 offset:1560 ; 4-byte Folded Reload
	buffer_load_dword v40, off, s[20:23], 0 offset:1564 ; 4-byte Folded Reload
	s_and_b64 s[0:1], vcc, s[0:1]
	v_cmp_eq_u32_e32 vcc, 0, v93
	s_and_b64 s[0:1], s[0:1], vcc
	v_cndmask_b32_e64 v93, v93, 33, s[0:1]
	s_waitcnt vmcnt(2)
	v_cmp_eq_f64_e32 vcc, 0, v[37:38]
	s_waitcnt vmcnt(0)
	v_cmp_eq_f64_e64 s[0:1], 0, v[39:40]
	buffer_load_dword v37, off, s[20:23], 0 offset:1568 ; 4-byte Folded Reload
	buffer_load_dword v38, off, s[20:23], 0 offset:1572 ; 4-byte Folded Reload
	buffer_load_dword v39, off, s[20:23], 0 offset:1576 ; 4-byte Folded Reload
	buffer_load_dword v40, off, s[20:23], 0 offset:1580 ; 4-byte Folded Reload
	s_and_b64 s[0:1], vcc, s[0:1]
	v_cmp_eq_u32_e32 vcc, 0, v93
	s_and_b64 s[0:1], s[0:1], vcc
	v_cndmask_b32_e64 v93, v93, 34, s[0:1]
	s_waitcnt vmcnt(2)
	v_cmp_eq_f64_e32 vcc, 0, v[37:38]
	s_waitcnt vmcnt(0)
	v_cmp_eq_f64_e64 s[0:1], 0, v[39:40]
	buffer_load_dword v37, off, s[20:23], 0 offset:1584 ; 4-byte Folded Reload
	buffer_load_dword v38, off, s[20:23], 0 offset:1588 ; 4-byte Folded Reload
	buffer_load_dword v39, off, s[20:23], 0 offset:1592 ; 4-byte Folded Reload
	buffer_load_dword v40, off, s[20:23], 0 offset:1596 ; 4-byte Folded Reload
	s_and_b64 s[0:1], vcc, s[0:1]
	v_cmp_eq_u32_e32 vcc, 0, v93
	s_and_b64 s[0:1], s[0:1], vcc
	v_cndmask_b32_e64 v93, v93, 35, s[0:1]
	s_waitcnt vmcnt(2)
	v_cmp_eq_f64_e32 vcc, 0, v[37:38]
	s_waitcnt vmcnt(0)
	v_cmp_eq_f64_e64 s[0:1], 0, v[39:40]
	buffer_load_dword v37, off, s[20:23], 0 offset:1600 ; 4-byte Folded Reload
	buffer_load_dword v38, off, s[20:23], 0 offset:1604 ; 4-byte Folded Reload
	buffer_load_dword v39, off, s[20:23], 0 offset:1608 ; 4-byte Folded Reload
	buffer_load_dword v40, off, s[20:23], 0 offset:1612 ; 4-byte Folded Reload
	s_and_b64 s[0:1], vcc, s[0:1]
	v_cmp_eq_u32_e32 vcc, 0, v93
	s_and_b64 s[0:1], s[0:1], vcc
	v_cndmask_b32_e64 v93, v93, 36, s[0:1]
	s_waitcnt vmcnt(2)
	v_cmp_eq_f64_e32 vcc, 0, v[37:38]
	s_waitcnt vmcnt(0)
	v_cmp_eq_f64_e64 s[0:1], 0, v[39:40]
	buffer_load_dword v37, off, s[20:23], 0 offset:1616 ; 4-byte Folded Reload
	buffer_load_dword v38, off, s[20:23], 0 offset:1620 ; 4-byte Folded Reload
	buffer_load_dword v39, off, s[20:23], 0 offset:1624 ; 4-byte Folded Reload
	buffer_load_dword v40, off, s[20:23], 0 offset:1628 ; 4-byte Folded Reload
	s_and_b64 s[0:1], vcc, s[0:1]
	v_cmp_eq_u32_e32 vcc, 0, v93
	s_and_b64 s[0:1], s[0:1], vcc
	v_cndmask_b32_e64 v93, v93, 37, s[0:1]
	s_waitcnt vmcnt(2)
	v_cmp_eq_f64_e32 vcc, 0, v[37:38]
	s_waitcnt vmcnt(0)
	v_cmp_eq_f64_e64 s[0:1], 0, v[39:40]
	buffer_load_dword v37, off, s[20:23], 0 offset:1632 ; 4-byte Folded Reload
	buffer_load_dword v38, off, s[20:23], 0 offset:1636 ; 4-byte Folded Reload
	buffer_load_dword v39, off, s[20:23], 0 offset:1640 ; 4-byte Folded Reload
	buffer_load_dword v40, off, s[20:23], 0 offset:1644 ; 4-byte Folded Reload
	s_and_b64 s[0:1], vcc, s[0:1]
	v_cmp_eq_u32_e32 vcc, 0, v93
	s_and_b64 s[0:1], s[0:1], vcc
	v_cndmask_b32_e64 v93, v93, 38, s[0:1]
	s_waitcnt vmcnt(2)
	v_cmp_eq_f64_e32 vcc, 0, v[37:38]
	s_waitcnt vmcnt(0)
	v_cmp_eq_f64_e64 s[0:1], 0, v[39:40]
	buffer_load_dword v37, off, s[20:23], 0 offset:1648 ; 4-byte Folded Reload
	buffer_load_dword v38, off, s[20:23], 0 offset:1652 ; 4-byte Folded Reload
	buffer_load_dword v39, off, s[20:23], 0 offset:1656 ; 4-byte Folded Reload
	buffer_load_dword v40, off, s[20:23], 0 offset:1660 ; 4-byte Folded Reload
	s_and_b64 s[0:1], vcc, s[0:1]
	v_cmp_eq_u32_e32 vcc, 0, v93
	s_and_b64 s[0:1], s[0:1], vcc
	v_cndmask_b32_e64 v93, v93, 39, s[0:1]
	s_waitcnt vmcnt(2)
	v_cmp_eq_f64_e32 vcc, 0, v[37:38]
	s_waitcnt vmcnt(0)
	v_cmp_eq_f64_e64 s[0:1], 0, v[39:40]
	buffer_load_dword v37, off, s[20:23], 0 offset:1664 ; 4-byte Folded Reload
	buffer_load_dword v38, off, s[20:23], 0 offset:1668 ; 4-byte Folded Reload
	buffer_load_dword v39, off, s[20:23], 0 offset:1672 ; 4-byte Folded Reload
	buffer_load_dword v40, off, s[20:23], 0 offset:1676 ; 4-byte Folded Reload
	s_and_b64 s[0:1], vcc, s[0:1]
	v_cmp_eq_u32_e32 vcc, 0, v93
	s_and_b64 s[0:1], s[0:1], vcc
	v_cndmask_b32_e64 v93, v93, 40, s[0:1]
	s_waitcnt vmcnt(2)
	v_cmp_eq_f64_e32 vcc, 0, v[37:38]
	s_waitcnt vmcnt(0)
	v_cmp_eq_f64_e64 s[0:1], 0, v[39:40]
	buffer_load_dword v37, off, s[20:23], 0 offset:1680 ; 4-byte Folded Reload
	buffer_load_dword v38, off, s[20:23], 0 offset:1684 ; 4-byte Folded Reload
	buffer_load_dword v39, off, s[20:23], 0 offset:1688 ; 4-byte Folded Reload
	buffer_load_dword v40, off, s[20:23], 0 offset:1692 ; 4-byte Folded Reload
	s_and_b64 s[0:1], vcc, s[0:1]
	v_cmp_eq_u32_e32 vcc, 0, v93
	s_and_b64 s[0:1], s[0:1], vcc
	v_cndmask_b32_e64 v93, v93, 41, s[0:1]
	s_waitcnt vmcnt(2)
	v_cmp_eq_f64_e32 vcc, 0, v[37:38]
	s_waitcnt vmcnt(0)
	v_cmp_eq_f64_e64 s[0:1], 0, v[39:40]
	buffer_load_dword v37, off, s[20:23], 0 offset:1696 ; 4-byte Folded Reload
	buffer_load_dword v38, off, s[20:23], 0 offset:1700 ; 4-byte Folded Reload
	buffer_load_dword v39, off, s[20:23], 0 offset:1704 ; 4-byte Folded Reload
	buffer_load_dword v40, off, s[20:23], 0 offset:1708 ; 4-byte Folded Reload
	s_and_b64 s[0:1], vcc, s[0:1]
	v_cmp_eq_u32_e32 vcc, 0, v93
	s_and_b64 s[0:1], s[0:1], vcc
	v_cndmask_b32_e64 v93, v93, 42, s[0:1]
	s_waitcnt vmcnt(2)
	v_cmp_eq_f64_e32 vcc, 0, v[37:38]
	s_waitcnt vmcnt(0)
	v_cmp_eq_f64_e64 s[0:1], 0, v[39:40]
	buffer_load_dword v37, off, s[20:23], 0 offset:1712 ; 4-byte Folded Reload
	buffer_load_dword v38, off, s[20:23], 0 offset:1716 ; 4-byte Folded Reload
	buffer_load_dword v39, off, s[20:23], 0 offset:1720 ; 4-byte Folded Reload
	buffer_load_dword v40, off, s[20:23], 0 offset:1724 ; 4-byte Folded Reload
	s_and_b64 s[0:1], vcc, s[0:1]
	v_cmp_eq_u32_e32 vcc, 0, v93
	s_and_b64 s[0:1], s[0:1], vcc
	v_cndmask_b32_e64 v93, v93, 43, s[0:1]
	s_waitcnt vmcnt(2)
	v_cmp_eq_f64_e32 vcc, 0, v[37:38]
	s_waitcnt vmcnt(0)
	v_cmp_eq_f64_e64 s[0:1], 0, v[39:40]
	buffer_load_dword v37, off, s[20:23], 0 offset:1728 ; 4-byte Folded Reload
	buffer_load_dword v38, off, s[20:23], 0 offset:1732 ; 4-byte Folded Reload
	buffer_load_dword v39, off, s[20:23], 0 offset:1736 ; 4-byte Folded Reload
	buffer_load_dword v40, off, s[20:23], 0 offset:1740 ; 4-byte Folded Reload
	s_and_b64 s[0:1], vcc, s[0:1]
	v_cmp_eq_u32_e32 vcc, 0, v93
	s_and_b64 s[0:1], s[0:1], vcc
	v_cndmask_b32_e64 v93, v93, 44, s[0:1]
	s_waitcnt vmcnt(2)
	v_cmp_eq_f64_e32 vcc, 0, v[37:38]
	s_waitcnt vmcnt(0)
	v_cmp_eq_f64_e64 s[0:1], 0, v[39:40]
	buffer_load_dword v37, off, s[20:23], 0 offset:1744 ; 4-byte Folded Reload
	buffer_load_dword v38, off, s[20:23], 0 offset:1748 ; 4-byte Folded Reload
	buffer_load_dword v39, off, s[20:23], 0 offset:1752 ; 4-byte Folded Reload
	buffer_load_dword v40, off, s[20:23], 0 offset:1756 ; 4-byte Folded Reload
	s_and_b64 s[0:1], vcc, s[0:1]
	v_cmp_eq_u32_e32 vcc, 0, v93
	s_and_b64 s[0:1], s[0:1], vcc
	v_cndmask_b32_e64 v93, v93, 45, s[0:1]
	s_waitcnt vmcnt(2)
	v_cmp_eq_f64_e32 vcc, 0, v[37:38]
	s_waitcnt vmcnt(0)
	v_cmp_eq_f64_e64 s[0:1], 0, v[39:40]
	buffer_load_dword v37, off, s[20:23], 0 offset:1760 ; 4-byte Folded Reload
	buffer_load_dword v38, off, s[20:23], 0 offset:1764 ; 4-byte Folded Reload
	buffer_load_dword v39, off, s[20:23], 0 offset:1768 ; 4-byte Folded Reload
	buffer_load_dword v40, off, s[20:23], 0 offset:1772 ; 4-byte Folded Reload
	s_and_b64 s[0:1], vcc, s[0:1]
	v_cmp_eq_u32_e32 vcc, 0, v93
	s_and_b64 s[0:1], s[0:1], vcc
	v_cndmask_b32_e64 v93, v93, 46, s[0:1]
	s_waitcnt vmcnt(2)
	v_cmp_eq_f64_e32 vcc, 0, v[37:38]
	s_waitcnt vmcnt(0)
	v_cmp_eq_f64_e64 s[0:1], 0, v[39:40]
	buffer_load_dword v37, off, s[20:23], 0 offset:1776 ; 4-byte Folded Reload
	buffer_load_dword v38, off, s[20:23], 0 offset:1780 ; 4-byte Folded Reload
	buffer_load_dword v39, off, s[20:23], 0 offset:1784 ; 4-byte Folded Reload
	buffer_load_dword v40, off, s[20:23], 0 offset:1788 ; 4-byte Folded Reload
	s_and_b64 s[0:1], vcc, s[0:1]
	v_cmp_eq_u32_e32 vcc, 0, v93
	s_and_b64 s[0:1], s[0:1], vcc
	v_cndmask_b32_e64 v93, v93, 47, s[0:1]
	s_waitcnt vmcnt(2)
	v_cmp_eq_f64_e32 vcc, 0, v[37:38]
	s_waitcnt vmcnt(0)
	v_cmp_eq_f64_e64 s[0:1], 0, v[39:40]
	buffer_load_dword v37, off, s[20:23], 0 offset:1792 ; 4-byte Folded Reload
	buffer_load_dword v38, off, s[20:23], 0 offset:1796 ; 4-byte Folded Reload
	buffer_load_dword v39, off, s[20:23], 0 offset:1800 ; 4-byte Folded Reload
	buffer_load_dword v40, off, s[20:23], 0 offset:1804 ; 4-byte Folded Reload
	s_and_b64 s[0:1], vcc, s[0:1]
	v_cmp_eq_u32_e32 vcc, 0, v93
	s_and_b64 s[0:1], s[0:1], vcc
	v_cndmask_b32_e64 v93, v93, 48, s[0:1]
	s_waitcnt vmcnt(2)
	v_cmp_eq_f64_e32 vcc, 0, v[37:38]
	s_waitcnt vmcnt(0)
	v_cmp_eq_f64_e64 s[0:1], 0, v[39:40]
	buffer_load_dword v37, off, s[20:23], 0 offset:1808 ; 4-byte Folded Reload
	buffer_load_dword v38, off, s[20:23], 0 offset:1812 ; 4-byte Folded Reload
	buffer_load_dword v39, off, s[20:23], 0 offset:1816 ; 4-byte Folded Reload
	buffer_load_dword v40, off, s[20:23], 0 offset:1820 ; 4-byte Folded Reload
	s_and_b64 s[0:1], vcc, s[0:1]
	v_cmp_eq_u32_e32 vcc, 0, v93
	s_and_b64 s[0:1], s[0:1], vcc
	v_cndmask_b32_e64 v93, v93, 49, s[0:1]
	s_waitcnt vmcnt(2)
	v_cmp_eq_f64_e32 vcc, 0, v[37:38]
	s_waitcnt vmcnt(0)
	v_cmp_eq_f64_e64 s[0:1], 0, v[39:40]
	buffer_load_dword v37, off, s[20:23], 0 offset:1824 ; 4-byte Folded Reload
	buffer_load_dword v38, off, s[20:23], 0 offset:1828 ; 4-byte Folded Reload
	buffer_load_dword v39, off, s[20:23], 0 offset:1832 ; 4-byte Folded Reload
	buffer_load_dword v40, off, s[20:23], 0 offset:1836 ; 4-byte Folded Reload
	s_and_b64 s[0:1], vcc, s[0:1]
	v_cmp_eq_u32_e32 vcc, 0, v93
	s_and_b64 s[0:1], s[0:1], vcc
	v_cndmask_b32_e64 v93, v93, 50, s[0:1]
	s_waitcnt vmcnt(2)
	v_cmp_eq_f64_e32 vcc, 0, v[37:38]
	s_waitcnt vmcnt(0)
	v_cmp_eq_f64_e64 s[0:1], 0, v[39:40]
	buffer_load_dword v37, off, s[20:23], 0 offset:1840 ; 4-byte Folded Reload
	buffer_load_dword v38, off, s[20:23], 0 offset:1844 ; 4-byte Folded Reload
	buffer_load_dword v39, off, s[20:23], 0 offset:1848 ; 4-byte Folded Reload
	buffer_load_dword v40, off, s[20:23], 0 offset:1852 ; 4-byte Folded Reload
	s_and_b64 s[0:1], vcc, s[0:1]
	v_cmp_eq_u32_e32 vcc, 0, v93
	s_and_b64 s[0:1], s[0:1], vcc
	v_cndmask_b32_e64 v93, v93, 51, s[0:1]
	s_waitcnt vmcnt(2)
	v_cmp_eq_f64_e32 vcc, 0, v[37:38]
	s_waitcnt vmcnt(0)
	v_cmp_eq_f64_e64 s[0:1], 0, v[39:40]
	buffer_load_dword v37, off, s[20:23], 0 offset:1856 ; 4-byte Folded Reload
	buffer_load_dword v38, off, s[20:23], 0 offset:1860 ; 4-byte Folded Reload
	buffer_load_dword v39, off, s[20:23], 0 offset:1864 ; 4-byte Folded Reload
	buffer_load_dword v40, off, s[20:23], 0 offset:1868 ; 4-byte Folded Reload
	s_and_b64 s[0:1], vcc, s[0:1]
	v_cmp_eq_u32_e32 vcc, 0, v93
	s_and_b64 s[0:1], s[0:1], vcc
	v_cndmask_b32_e64 v93, v93, 52, s[0:1]
	s_waitcnt vmcnt(2)
	v_cmp_eq_f64_e32 vcc, 0, v[37:38]
	s_waitcnt vmcnt(0)
	v_cmp_eq_f64_e64 s[0:1], 0, v[39:40]
	buffer_load_dword v37, off, s[20:23], 0 offset:1872 ; 4-byte Folded Reload
	buffer_load_dword v38, off, s[20:23], 0 offset:1876 ; 4-byte Folded Reload
	buffer_load_dword v39, off, s[20:23], 0 offset:1880 ; 4-byte Folded Reload
	buffer_load_dword v40, off, s[20:23], 0 offset:1884 ; 4-byte Folded Reload
	s_and_b64 s[0:1], vcc, s[0:1]
	v_cmp_eq_u32_e32 vcc, 0, v93
	s_and_b64 s[0:1], s[0:1], vcc
	v_cndmask_b32_e64 v93, v93, 53, s[0:1]
	s_waitcnt vmcnt(2)
	v_cmp_eq_f64_e32 vcc, 0, v[37:38]
	s_waitcnt vmcnt(0)
	v_cmp_eq_f64_e64 s[0:1], 0, v[39:40]
	buffer_load_dword v37, off, s[20:23], 0 offset:1888 ; 4-byte Folded Reload
	buffer_load_dword v38, off, s[20:23], 0 offset:1892 ; 4-byte Folded Reload
	buffer_load_dword v39, off, s[20:23], 0 offset:1896 ; 4-byte Folded Reload
	buffer_load_dword v40, off, s[20:23], 0 offset:1900 ; 4-byte Folded Reload
	s_and_b64 s[0:1], vcc, s[0:1]
	v_cmp_eq_u32_e32 vcc, 0, v93
	s_and_b64 s[0:1], s[0:1], vcc
	v_cndmask_b32_e64 v93, v93, 54, s[0:1]
	s_waitcnt vmcnt(2)
	v_cmp_eq_f64_e32 vcc, 0, v[37:38]
	s_waitcnt vmcnt(0)
	v_cmp_eq_f64_e64 s[0:1], 0, v[39:40]
	buffer_load_dword v37, off, s[20:23], 0 offset:1904 ; 4-byte Folded Reload
	buffer_load_dword v38, off, s[20:23], 0 offset:1908 ; 4-byte Folded Reload
	;; [unrolled: 1-line block ×6, first 2 shown]
	s_and_b64 s[0:1], vcc, s[0:1]
	v_cmp_eq_u32_e32 vcc, 0, v93
	s_and_b64 s[0:1], s[0:1], vcc
	v_cndmask_b32_e64 v93, v93, 55, s[0:1]
	s_waitcnt vmcnt(4)
	v_cmp_eq_f64_e32 vcc, 0, v[37:38]
	s_waitcnt vmcnt(2)
	v_cmp_eq_f64_e64 s[0:1], 0, v[39:40]
	s_and_b64 s[0:1], vcc, s[0:1]
	v_cmp_eq_u32_e32 vcc, 0, v93
	s_and_b64 s[0:1], s[0:1], vcc
	v_cndmask_b32_e64 v93, v93, 56, s[0:1]
	v_cmp_eq_f64_e32 vcc, 0, v[101:102]
	v_cmp_eq_f64_e64 s[0:1], 0, v[103:104]
	s_and_b64 s[0:1], vcc, s[0:1]
	v_cmp_eq_u32_e32 vcc, 0, v93
	s_and_b64 s[0:1], s[0:1], vcc
	v_cndmask_b32_e64 v93, v93, 57, s[0:1]
	v_cmp_eq_f64_e32 vcc, 0, v[33:34]
	;; [unrolled: 6-line block ×3, first 2 shown]
	v_cmp_eq_f64_e64 s[0:1], 0, v[107:108]
	s_and_b64 s[0:1], vcc, s[0:1]
	v_cmp_eq_u32_e32 vcc, 0, v93
	s_and_b64 s[0:1], s[0:1], vcc
	v_cndmask_b32_e64 v99, v93, 59, s[0:1]
	s_waitcnt vmcnt(0)
	v_lshlrev_b64 v[93:94], 2, v[87:88]
	v_cmp_ne_u32_e64 s[0:1], 0, v99
	v_add_co_u32_e32 v97, vcc, s10, v93
	v_mov_b32_e32 v93, s11
	v_addc_co_u32_e32 v98, vcc, v93, v94, vcc
	global_load_dword v93, v[97:98], off
	s_waitcnt vmcnt(0)
	v_cmp_eq_u32_e32 vcc, 0, v93
	s_and_b64 s[0:1], vcc, s[0:1]
	s_and_b64 exec, exec, s[0:1]
	s_cbranch_execz .LBB117_533
; %bb.532:
	v_add_u32_e32 v93, s13, v99
	global_store_dword v[97:98], v93, off
.LBB117_533:
	s_or_b64 exec, exec, s[2:3]
	buffer_load_dword v37, off, s[20:23], 0 offset:1008 ; 4-byte Folded Reload
	buffer_load_dword v38, off, s[20:23], 0 offset:1012 ; 4-byte Folded Reload
	;; [unrolled: 1-line block ×6, first 2 shown]
	v_cmp_lt_u32_e32 vcc, 58, v0
	s_waitcnt vmcnt(0)
	global_store_dwordx4 v[37:38], v[93:96], off
	buffer_load_dword v37, off, s[20:23], 0 offset:1016 ; 4-byte Folded Reload
	s_nop 0
	buffer_load_dword v38, off, s[20:23], 0 offset:1020 ; 4-byte Folded Reload
	buffer_load_dword v93, off, s[20:23], 0 offset:528 ; 4-byte Folded Reload
	;; [unrolled: 1-line block ×5, first 2 shown]
	s_waitcnt vmcnt(0)
	global_store_dwordx4 v[37:38], v[93:96], off
	buffer_load_dword v87, off, s[20:23], 0 offset:952 ; 4-byte Folded Reload
	buffer_load_dword v88, off, s[20:23], 0 offset:956 ; 4-byte Folded Reload
	s_nop 0
	buffer_load_dword v37, off, s[20:23], 0 offset:512 ; 4-byte Folded Reload
	buffer_load_dword v38, off, s[20:23], 0 offset:516 ; 4-byte Folded Reload
	buffer_load_dword v39, off, s[20:23], 0 offset:520 ; 4-byte Folded Reload
	buffer_load_dword v40, off, s[20:23], 0 offset:524 ; 4-byte Folded Reload
	s_waitcnt vmcnt(0)
	global_store_dwordx4 v[87:88], v[37:40], off
	buffer_load_dword v87, off, s[20:23], 0 offset:960 ; 4-byte Folded Reload
	s_nop 0
	buffer_load_dword v88, off, s[20:23], 0 offset:964 ; 4-byte Folded Reload
	buffer_load_dword v37, off, s[20:23], 0 offset:496 ; 4-byte Folded Reload
	buffer_load_dword v38, off, s[20:23], 0 offset:500 ; 4-byte Folded Reload
	buffer_load_dword v39, off, s[20:23], 0 offset:504 ; 4-byte Folded Reload
	buffer_load_dword v40, off, s[20:23], 0 offset:508 ; 4-byte Folded Reload
	s_waitcnt vmcnt(0)
	global_store_dwordx4 v[87:88], v[37:40], off
	buffer_load_dword v87, off, s[20:23], 0 offset:968 ; 4-byte Folded Reload
	s_nop 0
	buffer_load_dword v88, off, s[20:23], 0 offset:972 ; 4-byte Folded Reload
	;; [unrolled: 9-line block ×5, first 2 shown]
	buffer_load_dword v39, off, s[20:23], 0 offset:440 ; 4-byte Folded Reload
	buffer_load_dword v40, off, s[20:23], 0 offset:444 ; 4-byte Folded Reload
	s_waitcnt vmcnt(0)
	global_store_dwordx4 v[85:86], v[37:40], off
	buffer_load_dword v37, off, s[20:23], 0 ; 4-byte Folded Reload
	s_nop 0
	buffer_load_dword v38, off, s[20:23], 0 offset:4 ; 4-byte Folded Reload
	buffer_load_dword v39, off, s[20:23], 0 offset:8 ; 4-byte Folded Reload
	;; [unrolled: 1-line block ×3, first 2 shown]
	s_waitcnt vmcnt(0)
	v_mul_f64 v[93:94], v[105:106], v[39:40]
	v_mul_f64 v[95:96], v[107:108], v[39:40]
	v_fma_f64 v[93:94], v[107:108], v[37:38], v[93:94]
	v_fma_f64 v[95:96], v[105:106], v[37:38], -v[95:96]
	v_cndmask_b32_e32 v100, v40, v94, vcc
	v_cndmask_b32_e32 v99, v39, v93, vcc
	;; [unrolled: 1-line block ×4, first 2 shown]
	buffer_load_dword v85, off, s[20:23], 0 offset:568 ; 4-byte Folded Reload
	buffer_load_dword v86, off, s[20:23], 0 offset:572 ; 4-byte Folded Reload
	;; [unrolled: 1-line block ×6, first 2 shown]
	s_waitcnt vmcnt(0)
	global_store_dwordx4 v[85:86], v[37:40], off
	buffer_load_dword v85, off, s[20:23], 0 offset:576 ; 4-byte Folded Reload
	s_nop 0
	buffer_load_dword v86, off, s[20:23], 0 offset:580 ; 4-byte Folded Reload
	buffer_load_dword v37, off, s[20:23], 0 offset:400 ; 4-byte Folded Reload
	buffer_load_dword v38, off, s[20:23], 0 offset:404 ; 4-byte Folded Reload
	buffer_load_dword v39, off, s[20:23], 0 offset:408 ; 4-byte Folded Reload
	buffer_load_dword v40, off, s[20:23], 0 offset:412 ; 4-byte Folded Reload
	s_waitcnt vmcnt(0)
	global_store_dwordx4 v[85:86], v[37:40], off
	buffer_load_dword v85, off, s[20:23], 0 offset:584 ; 4-byte Folded Reload
	s_nop 0
	buffer_load_dword v86, off, s[20:23], 0 offset:588 ; 4-byte Folded Reload
	buffer_load_dword v37, off, s[20:23], 0 offset:384 ; 4-byte Folded Reload
	buffer_load_dword v38, off, s[20:23], 0 offset:388 ; 4-byte Folded Reload
	buffer_load_dword v39, off, s[20:23], 0 offset:392 ; 4-byte Folded Reload
	buffer_load_dword v40, off, s[20:23], 0 offset:396 ; 4-byte Folded Reload
	;; [unrolled: 9-line block ×24, first 2 shown]
	s_waitcnt vmcnt(0)
	global_store_dwordx4 v[85:86], v[93:96], off
	buffer_load_dword v85, off, s[20:23], 0 offset:768 ; 4-byte Folded Reload
	s_nop 0
	buffer_load_dword v86, off, s[20:23], 0 offset:772 ; 4-byte Folded Reload
	s_waitcnt vmcnt(0)
	global_store_dwordx4 v[85:86], v[109:112], off
	buffer_load_dword v85, off, s[20:23], 0 offset:776 ; 4-byte Folded Reload
	s_nop 0
	buffer_load_dword v86, off, s[20:23], 0 offset:780 ; 4-byte Folded Reload
	;; [unrolled: 5-line block ×16, first 2 shown]
	buffer_load_dword v37, off, s[20:23], 0 offset:32 ; 4-byte Folded Reload
	buffer_load_dword v38, off, s[20:23], 0 offset:36 ; 4-byte Folded Reload
	;; [unrolled: 1-line block ×4, first 2 shown]
	s_waitcnt vmcnt(0)
	global_store_dwordx4 v[41:42], v[37:40], off
	buffer_load_dword v37, off, s[20:23], 0 offset:896 ; 4-byte Folded Reload
	s_nop 0
	buffer_load_dword v38, off, s[20:23], 0 offset:900 ; 4-byte Folded Reload
	buffer_load_dword v33, off, s[20:23], 0 offset:16 ; 4-byte Folded Reload
	;; [unrolled: 1-line block ×5, first 2 shown]
	s_waitcnt vmcnt(0)
	global_store_dwordx4 v[37:38], v[33:36], off
	buffer_load_dword v33, off, s[20:23], 0 offset:904 ; 4-byte Folded Reload
	s_nop 0
	buffer_load_dword v34, off, s[20:23], 0 offset:908 ; 4-byte Folded Reload
	s_waitcnt vmcnt(0)
	global_store_dwordx4 v[33:34], v[29:32], off
	buffer_load_dword v29, off, s[20:23], 0 offset:912 ; 4-byte Folded Reload
	s_nop 0
	buffer_load_dword v30, off, s[20:23], 0 offset:916 ; 4-byte Folded Reload
	;; [unrolled: 5-line block ×6, first 2 shown]
	s_waitcnt vmcnt(0)
	global_store_dwordx4 v[13:14], v[9:12], off
	global_store_dwordx4 v[117:118], v[5:8], off
	global_store_dwordx4 v[119:120], v[1:4], off
	buffer_load_dword v0, off, s[20:23], 0 offset:976 ; 4-byte Folded Reload
	s_nop 0
	buffer_load_dword v1, off, s[20:23], 0 offset:980 ; 4-byte Folded Reload
	s_waitcnt vmcnt(0)
	global_store_dwordx4 v[0:1], v[97:100], off
.LBB117_534:
	s_endpgm
	.section	.rodata,"a",@progbits
	.p2align	6, 0x0
	.amdhsa_kernel _ZN9rocsolver6v33100L23getf2_npvt_small_kernelILi59E19rocblas_complex_numIdEiiPS3_EEvT1_T3_lS5_lPT2_S5_S5_
		.amdhsa_group_segment_fixed_size 0
		.amdhsa_private_segment_fixed_size 1932
		.amdhsa_kernarg_size 312
		.amdhsa_user_sgpr_count 6
		.amdhsa_user_sgpr_private_segment_buffer 1
		.amdhsa_user_sgpr_dispatch_ptr 0
		.amdhsa_user_sgpr_queue_ptr 0
		.amdhsa_user_sgpr_kernarg_segment_ptr 1
		.amdhsa_user_sgpr_dispatch_id 0
		.amdhsa_user_sgpr_flat_scratch_init 0
		.amdhsa_user_sgpr_private_segment_size 0
		.amdhsa_uses_dynamic_stack 0
		.amdhsa_system_sgpr_private_segment_wavefront_offset 1
		.amdhsa_system_sgpr_workgroup_id_x 1
		.amdhsa_system_sgpr_workgroup_id_y 1
		.amdhsa_system_sgpr_workgroup_id_z 0
		.amdhsa_system_sgpr_workgroup_info 0
		.amdhsa_system_vgpr_workitem_id 1
		.amdhsa_next_free_vgpr 128
		.amdhsa_next_free_sgpr 24
		.amdhsa_reserve_vcc 1
		.amdhsa_reserve_flat_scratch 0
		.amdhsa_float_round_mode_32 0
		.amdhsa_float_round_mode_16_64 0
		.amdhsa_float_denorm_mode_32 3
		.amdhsa_float_denorm_mode_16_64 3
		.amdhsa_dx10_clamp 1
		.amdhsa_ieee_mode 1
		.amdhsa_fp16_overflow 0
		.amdhsa_exception_fp_ieee_invalid_op 0
		.amdhsa_exception_fp_denorm_src 0
		.amdhsa_exception_fp_ieee_div_zero 0
		.amdhsa_exception_fp_ieee_overflow 0
		.amdhsa_exception_fp_ieee_underflow 0
		.amdhsa_exception_fp_ieee_inexact 0
		.amdhsa_exception_int_div_zero 0
	.end_amdhsa_kernel
	.section	.text._ZN9rocsolver6v33100L23getf2_npvt_small_kernelILi59E19rocblas_complex_numIdEiiPS3_EEvT1_T3_lS5_lPT2_S5_S5_,"axG",@progbits,_ZN9rocsolver6v33100L23getf2_npvt_small_kernelILi59E19rocblas_complex_numIdEiiPS3_EEvT1_T3_lS5_lPT2_S5_S5_,comdat
.Lfunc_end117:
	.size	_ZN9rocsolver6v33100L23getf2_npvt_small_kernelILi59E19rocblas_complex_numIdEiiPS3_EEvT1_T3_lS5_lPT2_S5_S5_, .Lfunc_end117-_ZN9rocsolver6v33100L23getf2_npvt_small_kernelILi59E19rocblas_complex_numIdEiiPS3_EEvT1_T3_lS5_lPT2_S5_S5_
                                        ; -- End function
	.set _ZN9rocsolver6v33100L23getf2_npvt_small_kernelILi59E19rocblas_complex_numIdEiiPS3_EEvT1_T3_lS5_lPT2_S5_S5_.num_vgpr, 128
	.set _ZN9rocsolver6v33100L23getf2_npvt_small_kernelILi59E19rocblas_complex_numIdEiiPS3_EEvT1_T3_lS5_lPT2_S5_S5_.num_agpr, 0
	.set _ZN9rocsolver6v33100L23getf2_npvt_small_kernelILi59E19rocblas_complex_numIdEiiPS3_EEvT1_T3_lS5_lPT2_S5_S5_.numbered_sgpr, 24
	.set _ZN9rocsolver6v33100L23getf2_npvt_small_kernelILi59E19rocblas_complex_numIdEiiPS3_EEvT1_T3_lS5_lPT2_S5_S5_.num_named_barrier, 0
	.set _ZN9rocsolver6v33100L23getf2_npvt_small_kernelILi59E19rocblas_complex_numIdEiiPS3_EEvT1_T3_lS5_lPT2_S5_S5_.private_seg_size, 1932
	.set _ZN9rocsolver6v33100L23getf2_npvt_small_kernelILi59E19rocblas_complex_numIdEiiPS3_EEvT1_T3_lS5_lPT2_S5_S5_.uses_vcc, 1
	.set _ZN9rocsolver6v33100L23getf2_npvt_small_kernelILi59E19rocblas_complex_numIdEiiPS3_EEvT1_T3_lS5_lPT2_S5_S5_.uses_flat_scratch, 0
	.set _ZN9rocsolver6v33100L23getf2_npvt_small_kernelILi59E19rocblas_complex_numIdEiiPS3_EEvT1_T3_lS5_lPT2_S5_S5_.has_dyn_sized_stack, 0
	.set _ZN9rocsolver6v33100L23getf2_npvt_small_kernelILi59E19rocblas_complex_numIdEiiPS3_EEvT1_T3_lS5_lPT2_S5_S5_.has_recursion, 0
	.set _ZN9rocsolver6v33100L23getf2_npvt_small_kernelILi59E19rocblas_complex_numIdEiiPS3_EEvT1_T3_lS5_lPT2_S5_S5_.has_indirect_call, 0
	.section	.AMDGPU.csdata,"",@progbits
; Kernel info:
; codeLenInByte = 243944
; TotalNumSgprs: 28
; NumVgprs: 128
; ScratchSize: 1932
; MemoryBound: 1
; FloatMode: 240
; IeeeMode: 1
; LDSByteSize: 0 bytes/workgroup (compile time only)
; SGPRBlocks: 3
; VGPRBlocks: 31
; NumSGPRsForWavesPerEU: 28
; NumVGPRsForWavesPerEU: 128
; Occupancy: 2
; WaveLimiterHint : 0
; COMPUTE_PGM_RSRC2:SCRATCH_EN: 1
; COMPUTE_PGM_RSRC2:USER_SGPR: 6
; COMPUTE_PGM_RSRC2:TRAP_HANDLER: 0
; COMPUTE_PGM_RSRC2:TGID_X_EN: 1
; COMPUTE_PGM_RSRC2:TGID_Y_EN: 1
; COMPUTE_PGM_RSRC2:TGID_Z_EN: 0
; COMPUTE_PGM_RSRC2:TIDIG_COMP_CNT: 1
	.section	.text._ZN9rocsolver6v33100L18getf2_small_kernelILi60E19rocblas_complex_numIdEiiPS3_EEvT1_T3_lS5_lPS5_llPT2_S5_S5_S7_l,"axG",@progbits,_ZN9rocsolver6v33100L18getf2_small_kernelILi60E19rocblas_complex_numIdEiiPS3_EEvT1_T3_lS5_lPS5_llPT2_S5_S5_S7_l,comdat
	.globl	_ZN9rocsolver6v33100L18getf2_small_kernelILi60E19rocblas_complex_numIdEiiPS3_EEvT1_T3_lS5_lPS5_llPT2_S5_S5_S7_l ; -- Begin function _ZN9rocsolver6v33100L18getf2_small_kernelILi60E19rocblas_complex_numIdEiiPS3_EEvT1_T3_lS5_lPS5_llPT2_S5_S5_S7_l
	.p2align	8
	.type	_ZN9rocsolver6v33100L18getf2_small_kernelILi60E19rocblas_complex_numIdEiiPS3_EEvT1_T3_lS5_lPS5_llPT2_S5_S5_S7_l,@function
_ZN9rocsolver6v33100L18getf2_small_kernelILi60E19rocblas_complex_numIdEiiPS3_EEvT1_T3_lS5_lPS5_llPT2_S5_S5_S7_l: ; @_ZN9rocsolver6v33100L18getf2_small_kernelILi60E19rocblas_complex_numIdEiiPS3_EEvT1_T3_lS5_lPS5_llPT2_S5_S5_S7_l
; %bb.0:
	s_mov_b64 s[26:27], s[2:3]
	s_mov_b64 s[24:25], s[0:1]
	s_load_dword s0, s[4:5], 0x6c
	s_load_dwordx2 s[16:17], s[4:5], 0x48
	s_add_u32 s24, s24, s8
	s_addc_u32 s25, s25, 0
	s_waitcnt lgkmcnt(0)
	s_lshr_b32 s0, s0, 16
	s_mul_i32 s7, s7, s0
	v_add_u32_e32 v5, s7, v1
	v_cmp_gt_i32_e32 vcc, s16, v5
	s_and_saveexec_b64 s[0:1], vcc
	s_cbranch_execnz .LBB118_1
; %bb.1262:
	s_getpc_b64 s[28:29]
.Lpost_getpc32:
	s_add_u32 s28, s28, (.LBB118_1261-.Lpost_getpc32)&4294967295
	s_addc_u32 s29, s29, (.LBB118_1261-.Lpost_getpc32)>>32
	s_setpc_b64 s[28:29]
.LBB118_1:
	s_load_dwordx4 s[0:3], s[4:5], 0x50
	v_mov_b32_e32 v2, 0
	v_ashrrev_i32_e32 v6, 31, v5
	v_mov_b32_e32 v3, 0
	s_waitcnt lgkmcnt(0)
	s_cmp_eq_u64 s[0:1], 0
	s_cselect_b64 s[6:7], -1, 0
	s_and_b64 vcc, exec, s[6:7]
	s_cbranch_vccnz .LBB118_3
; %bb.2:
	v_mul_lo_u32 v7, s3, v5
	v_mul_lo_u32 v4, s2, v6
	v_mad_u64_u32 v[2:3], s[2:3], s2, v5, 0
	v_add3_u32 v3, v3, v4, v7
	v_lshlrev_b64 v[2:3], 2, v[2:3]
	v_mov_b32_e32 v4, s1
	v_add_co_u32_e32 v2, vcc, s0, v2
	v_addc_co_u32_e32 v3, vcc, v4, v3, vcc
.LBB118_3:
	buffer_store_dword v2, off, s[24:27], 0 offset:580 ; 4-byte Folded Spill
	s_nop 0
	buffer_store_dword v3, off, s[24:27], 0 offset:584 ; 4-byte Folded Spill
	s_load_dwordx8 s[8:15], s[4:5], 0x20
	s_load_dwordx4 s[20:23], s[4:5], 0x8
	s_load_dword s2, s[4:5], 0x18
	v_lshlrev_b32_e32 v84, 4, v0
	v_mov_b32_e32 v127, v0
	s_waitcnt lgkmcnt(0)
	v_mul_lo_u32 v7, s9, v5
	v_mul_lo_u32 v4, s8, v6
	buffer_store_dword v5, off, s[24:27], 0 offset:588 ; 4-byte Folded Spill
	s_nop 0
	buffer_store_dword v6, off, s[24:27], 0 offset:592 ; 4-byte Folded Spill
	s_add_i32 s16, s2, s2
	s_ashr_i32 s3, s2, 31
	v_mad_u64_u32 v[2:3], s[0:1], s8, v5, 0
	v_mov_b32_e32 v5, s21
	s_lshl_b64 s[0:1], s[22:23], 4
	v_add3_u32 v3, v3, v4, v7
	v_lshlrev_b64 v[2:3], 4, v[2:3]
	s_lshl_b64 s[8:9], s[2:3], 4
	v_add_co_u32_e32 v4, vcc, s20, v2
	v_addc_co_u32_e32 v2, vcc, v5, v3, vcc
	v_add_co_u32_e32 v87, vcc, s0, v4
	v_add_u32_e32 v4, s16, v0
	v_mov_b32_e32 v3, s1
	v_ashrrev_i32_e32 v5, 31, v4
	v_addc_co_u32_e32 v81, vcc, v2, v3, vcc
	v_lshlrev_b64 v[2:3], 4, v[4:5]
	v_add_u32_e32 v6, s2, v4
	v_ashrrev_i32_e32 v7, 31, v6
	v_add_co_u32_e32 v2, vcc, v87, v2
	v_lshlrev_b64 v[4:5], 4, v[6:7]
	v_add_u32_e32 v8, s2, v6
	v_addc_co_u32_e32 v3, vcc, v81, v3, vcc
	v_ashrrev_i32_e32 v9, 31, v8
	v_add_co_u32_e32 v115, vcc, v87, v4
	v_lshlrev_b64 v[6:7], 4, v[8:9]
	v_add_u32_e32 v10, s2, v8
	v_addc_co_u32_e32 v116, vcc, v81, v5, vcc
	v_ashrrev_i32_e32 v11, 31, v10
	v_add_co_u32_e32 v82, vcc, v87, v6
	v_lshlrev_b64 v[8:9], 4, v[10:11]
	v_add_u32_e32 v12, s2, v10
	v_addc_co_u32_e32 v83, vcc, v81, v7, vcc
	v_ashrrev_i32_e32 v13, 31, v12
	v_add_co_u32_e32 v113, vcc, v87, v8
	v_lshlrev_b64 v[10:11], 4, v[12:13]
	v_add_u32_e32 v14, s2, v12
	v_addc_co_u32_e32 v114, vcc, v81, v9, vcc
	v_ashrrev_i32_e32 v15, 31, v14
	v_add_co_u32_e32 v10, vcc, v87, v10
	v_lshlrev_b64 v[12:13], 4, v[14:15]
	v_add_u32_e32 v16, s2, v14
	v_addc_co_u32_e32 v11, vcc, v81, v11, vcc
	v_ashrrev_i32_e32 v17, 31, v16
	v_add_co_u32_e32 v12, vcc, v87, v12
	v_lshlrev_b64 v[14:15], 4, v[16:17]
	v_add_u32_e32 v18, s2, v16
	v_addc_co_u32_e32 v13, vcc, v81, v13, vcc
	v_ashrrev_i32_e32 v19, 31, v18
	v_add_co_u32_e32 v14, vcc, v87, v14
	v_lshlrev_b64 v[16:17], 4, v[18:19]
	v_add_u32_e32 v20, s2, v18
	v_addc_co_u32_e32 v15, vcc, v81, v15, vcc
	v_ashrrev_i32_e32 v21, 31, v20
	v_add_co_u32_e32 v16, vcc, v87, v16
	v_lshlrev_b64 v[18:19], 4, v[20:21]
	v_add_u32_e32 v22, s2, v20
	v_addc_co_u32_e32 v17, vcc, v81, v17, vcc
	v_ashrrev_i32_e32 v23, 31, v22
	v_add_co_u32_e32 v18, vcc, v87, v18
	v_lshlrev_b64 v[20:21], 4, v[22:23]
	v_add_u32_e32 v24, s2, v22
	v_addc_co_u32_e32 v19, vcc, v81, v19, vcc
	v_ashrrev_i32_e32 v25, 31, v24
	v_add_co_u32_e32 v20, vcc, v87, v20
	v_lshlrev_b64 v[22:23], 4, v[24:25]
	v_add_u32_e32 v26, s2, v24
	v_addc_co_u32_e32 v21, vcc, v81, v21, vcc
	v_ashrrev_i32_e32 v27, 31, v26
	v_add_co_u32_e32 v22, vcc, v87, v22
	v_lshlrev_b64 v[24:25], 4, v[26:27]
	v_add_u32_e32 v28, s2, v26
	v_addc_co_u32_e32 v23, vcc, v81, v23, vcc
	v_ashrrev_i32_e32 v29, 31, v28
	v_add_co_u32_e32 v24, vcc, v87, v24
	v_lshlrev_b64 v[26:27], 4, v[28:29]
	v_add_u32_e32 v30, s2, v28
	v_addc_co_u32_e32 v25, vcc, v81, v25, vcc
	v_ashrrev_i32_e32 v31, 31, v30
	v_add_co_u32_e32 v26, vcc, v87, v26
	v_lshlrev_b64 v[28:29], 4, v[30:31]
	v_add_u32_e32 v32, s2, v30
	v_addc_co_u32_e32 v27, vcc, v81, v27, vcc
	v_ashrrev_i32_e32 v33, 31, v32
	v_add_co_u32_e32 v28, vcc, v87, v28
	v_lshlrev_b64 v[30:31], 4, v[32:33]
	v_add_u32_e32 v34, s2, v32
	v_addc_co_u32_e32 v29, vcc, v81, v29, vcc
	v_ashrrev_i32_e32 v35, 31, v34
	v_add_co_u32_e32 v30, vcc, v87, v30
	v_lshlrev_b64 v[32:33], 4, v[34:35]
	v_add_u32_e32 v36, s2, v34
	v_addc_co_u32_e32 v31, vcc, v81, v31, vcc
	v_ashrrev_i32_e32 v37, 31, v36
	v_add_co_u32_e32 v32, vcc, v87, v32
	v_lshlrev_b64 v[34:35], 4, v[36:37]
	v_add_u32_e32 v38, s2, v36
	v_addc_co_u32_e32 v33, vcc, v81, v33, vcc
	v_ashrrev_i32_e32 v39, 31, v38
	v_add_co_u32_e32 v34, vcc, v87, v34
	v_lshlrev_b64 v[36:37], 4, v[38:39]
	v_add_u32_e32 v40, s2, v38
	v_addc_co_u32_e32 v35, vcc, v81, v35, vcc
	v_ashrrev_i32_e32 v41, 31, v40
	v_add_co_u32_e32 v36, vcc, v87, v36
	v_lshlrev_b64 v[38:39], 4, v[40:41]
	v_add_u32_e32 v42, s2, v40
	v_addc_co_u32_e32 v37, vcc, v81, v37, vcc
	v_ashrrev_i32_e32 v43, 31, v42
	v_add_co_u32_e32 v38, vcc, v87, v38
	v_lshlrev_b64 v[40:41], 4, v[42:43]
	v_add_u32_e32 v44, s2, v42
	v_addc_co_u32_e32 v39, vcc, v81, v39, vcc
	v_ashrrev_i32_e32 v45, 31, v44
	v_add_co_u32_e32 v40, vcc, v87, v40
	v_lshlrev_b64 v[42:43], 4, v[44:45]
	v_add_u32_e32 v46, s2, v44
	v_addc_co_u32_e32 v41, vcc, v81, v41, vcc
	v_ashrrev_i32_e32 v47, 31, v46
	v_add_co_u32_e32 v42, vcc, v87, v42
	v_lshlrev_b64 v[44:45], 4, v[46:47]
	v_add_u32_e32 v48, s2, v46
	v_addc_co_u32_e32 v43, vcc, v81, v43, vcc
	v_ashrrev_i32_e32 v49, 31, v48
	v_add_co_u32_e32 v44, vcc, v87, v44
	v_lshlrev_b64 v[46:47], 4, v[48:49]
	v_add_u32_e32 v50, s2, v48
	v_addc_co_u32_e32 v45, vcc, v81, v45, vcc
	v_ashrrev_i32_e32 v51, 31, v50
	v_add_co_u32_e32 v46, vcc, v87, v46
	v_lshlrev_b64 v[48:49], 4, v[50:51]
	v_add_u32_e32 v52, s2, v50
	v_addc_co_u32_e32 v47, vcc, v81, v47, vcc
	v_ashrrev_i32_e32 v53, 31, v52
	v_add_co_u32_e32 v48, vcc, v87, v48
	v_lshlrev_b64 v[50:51], 4, v[52:53]
	v_add_u32_e32 v54, s2, v52
	v_addc_co_u32_e32 v49, vcc, v81, v49, vcc
	v_ashrrev_i32_e32 v55, 31, v54
	v_add_co_u32_e32 v50, vcc, v87, v50
	v_lshlrev_b64 v[52:53], 4, v[54:55]
	v_add_u32_e32 v56, s2, v54
	v_addc_co_u32_e32 v51, vcc, v81, v51, vcc
	v_ashrrev_i32_e32 v57, 31, v56
	v_add_co_u32_e32 v52, vcc, v87, v52
	v_lshlrev_b64 v[54:55], 4, v[56:57]
	v_add_u32_e32 v58, s2, v56
	v_addc_co_u32_e32 v53, vcc, v81, v53, vcc
	v_ashrrev_i32_e32 v59, 31, v58
	v_add_co_u32_e32 v54, vcc, v87, v54
	v_lshlrev_b64 v[56:57], 4, v[58:59]
	v_add_u32_e32 v60, s2, v58
	v_addc_co_u32_e32 v55, vcc, v81, v55, vcc
	v_ashrrev_i32_e32 v61, 31, v60
	v_add_co_u32_e32 v56, vcc, v87, v56
	v_lshlrev_b64 v[58:59], 4, v[60:61]
	v_add_u32_e32 v62, s2, v60
	v_addc_co_u32_e32 v57, vcc, v81, v57, vcc
	v_ashrrev_i32_e32 v63, 31, v62
	v_add_co_u32_e32 v58, vcc, v87, v58
	v_lshlrev_b64 v[60:61], 4, v[62:63]
	v_add_u32_e32 v64, s2, v62
	v_addc_co_u32_e32 v59, vcc, v81, v59, vcc
	v_ashrrev_i32_e32 v65, 31, v64
	v_add_co_u32_e32 v60, vcc, v87, v60
	v_lshlrev_b64 v[62:63], 4, v[64:65]
	v_add_u32_e32 v66, s2, v64
	v_addc_co_u32_e32 v61, vcc, v81, v61, vcc
	v_ashrrev_i32_e32 v67, 31, v66
	v_add_co_u32_e32 v62, vcc, v87, v62
	v_lshlrev_b64 v[64:65], 4, v[66:67]
	v_add_u32_e32 v68, s2, v66
	v_addc_co_u32_e32 v63, vcc, v81, v63, vcc
	v_ashrrev_i32_e32 v69, 31, v68
	v_add_co_u32_e32 v64, vcc, v87, v64
	v_lshlrev_b64 v[66:67], 4, v[68:69]
	v_add_u32_e32 v70, s2, v68
	v_addc_co_u32_e32 v65, vcc, v81, v65, vcc
	v_ashrrev_i32_e32 v71, 31, v70
	v_add_co_u32_e32 v66, vcc, v87, v66
	v_lshlrev_b64 v[68:69], 4, v[70:71]
	v_add_u32_e32 v72, s2, v70
	v_addc_co_u32_e32 v67, vcc, v81, v67, vcc
	v_ashrrev_i32_e32 v73, 31, v72
	v_add_co_u32_e32 v68, vcc, v87, v68
	v_lshlrev_b64 v[70:71], 4, v[72:73]
	v_add_u32_e32 v74, s2, v72
	v_addc_co_u32_e32 v69, vcc, v81, v69, vcc
	v_ashrrev_i32_e32 v75, 31, v74
	v_add_co_u32_e32 v70, vcc, v87, v70
	v_lshlrev_b64 v[72:73], 4, v[74:75]
	v_add_u32_e32 v76, s2, v74
	v_addc_co_u32_e32 v71, vcc, v81, v71, vcc
	v_ashrrev_i32_e32 v77, 31, v76
	v_add_co_u32_e32 v72, vcc, v87, v72
	v_lshlrev_b64 v[74:75], 4, v[76:77]
	v_add_u32_e32 v78, s2, v76
	v_addc_co_u32_e32 v73, vcc, v81, v73, vcc
	v_ashrrev_i32_e32 v79, 31, v78
	v_add_co_u32_e32 v74, vcc, v87, v74
	v_lshlrev_b64 v[76:77], 4, v[78:79]
	v_add_u32_e32 v78, s2, v78
	v_addc_co_u32_e32 v75, vcc, v81, v75, vcc
	v_ashrrev_i32_e32 v79, 31, v78
	v_add_co_u32_e32 v76, vcc, v87, v76
	v_lshlrev_b64 v[79:80], 4, v[78:79]
	v_addc_co_u32_e32 v77, vcc, v81, v77, vcc
	v_add_u32_e32 v78, s2, v78
	v_add_co_u32_e32 v117, vcc, v87, v79
	v_ashrrev_i32_e32 v79, 31, v78
	v_addc_co_u32_e32 v118, vcc, v81, v80, vcc
	v_lshlrev_b64 v[79:80], 4, v[78:79]
	v_add_u32_e32 v78, s2, v78
	v_add_co_u32_e32 v119, vcc, v87, v79
	v_ashrrev_i32_e32 v79, 31, v78
	v_addc_co_u32_e32 v120, vcc, v81, v80, vcc
	v_lshlrev_b64 v[79:80], 4, v[78:79]
	;; [unrolled: 5-line block ×7, first 2 shown]
	buffer_store_dword v2, off, s[24:27], 0 ; 4-byte Folded Spill
	s_nop 0
	buffer_store_dword v3, off, s[24:27], 0 offset:4 ; 4-byte Folded Spill
	v_add_u32_e32 v78, s2, v78
	v_add_co_u32_e32 v2, vcc, v87, v79
	v_ashrrev_i32_e32 v79, 31, v78
	v_addc_co_u32_e32 v3, vcc, v81, v80, vcc
	v_lshlrev_b64 v[79:80], 4, v[78:79]
	v_add_u32_e32 v78, s2, v78
	v_add_co_u32_e32 v4, vcc, v87, v79
	v_ashrrev_i32_e32 v79, 31, v78
	v_addc_co_u32_e32 v5, vcc, v81, v80, vcc
	v_lshlrev_b64 v[79:80], 4, v[78:79]
	v_add_u32_e32 v78, s2, v78
	v_add_co_u32_e32 v105, vcc, v87, v79
	v_ashrrev_i32_e32 v79, 31, v78
	v_addc_co_u32_e32 v106, vcc, v81, v80, vcc
	v_lshlrev_b64 v[79:80], 4, v[78:79]
	v_add_u32_e32 v78, s2, v78
	v_add_co_u32_e32 v107, vcc, v87, v79
	v_ashrrev_i32_e32 v79, 31, v78
	v_addc_co_u32_e32 v108, vcc, v81, v80, vcc
	v_lshlrev_b64 v[79:80], 4, v[78:79]
	v_add_u32_e32 v78, s2, v78
	v_add_co_u32_e32 v101, vcc, v87, v79
	v_ashrrev_i32_e32 v79, 31, v78
	v_addc_co_u32_e32 v102, vcc, v81, v80, vcc
	v_lshlrev_b64 v[79:80], 4, v[78:79]
	v_add_u32_e32 v78, s2, v78
	v_add_co_u32_e32 v103, vcc, v87, v79
	v_ashrrev_i32_e32 v79, 31, v78
	v_addc_co_u32_e32 v104, vcc, v81, v80, vcc
	v_lshlrev_b64 v[79:80], 4, v[78:79]
	v_add_u32_e32 v78, s2, v78
	v_add_co_u32_e32 v97, vcc, v87, v79
	v_ashrrev_i32_e32 v79, 31, v78
	v_addc_co_u32_e32 v98, vcc, v81, v80, vcc
	v_lshlrev_b64 v[79:80], 4, v[78:79]
	v_add_u32_e32 v78, s2, v78
	v_add_co_u32_e32 v99, vcc, v87, v79
	v_ashrrev_i32_e32 v79, 31, v78
	v_addc_co_u32_e32 v100, vcc, v81, v80, vcc
	v_lshlrev_b64 v[79:80], 4, v[78:79]
	v_add_u32_e32 v78, s2, v78
	v_add_co_u32_e32 v93, vcc, v87, v79
	v_ashrrev_i32_e32 v79, 31, v78
	v_addc_co_u32_e32 v94, vcc, v81, v80, vcc
	v_lshlrev_b64 v[79:80], 4, v[78:79]
	v_add_u32_e32 v78, s2, v78
	v_add_co_u32_e32 v95, vcc, v87, v79
	v_ashrrev_i32_e32 v79, 31, v78
	v_addc_co_u32_e32 v96, vcc, v81, v80, vcc
	v_lshlrev_b64 v[79:80], 4, v[78:79]
	v_add_u32_e32 v78, s2, v78
	v_add_co_u32_e32 v89, vcc, v87, v79
	v_ashrrev_i32_e32 v79, 31, v78
	v_addc_co_u32_e32 v90, vcc, v81, v80, vcc
	v_lshlrev_b64 v[79:80], 4, v[78:79]
	v_add_u32_e32 v78, s2, v78
	v_add_co_u32_e32 v91, vcc, v87, v79
	v_ashrrev_i32_e32 v79, 31, v78
	v_lshlrev_b64 v[78:79], 4, v[78:79]
	v_addc_co_u32_e32 v92, vcc, v81, v80, vcc
	v_add_co_u32_e32 v85, vcc, v87, v78
	v_addc_co_u32_e32 v86, vcc, v81, v79, vcc
	v_add_co_u32_e32 v78, vcc, v87, v84
	v_addc_co_u32_e32 v79, vcc, 0, v81, vcc
	v_mov_b32_e32 v0, s9
	v_add_co_u32_e32 v80, vcc, s8, v78
	buffer_store_dword v87, off, s[24:27], 0 offset:596 ; 4-byte Folded Spill
	buffer_store_dword v81, off, s[24:27], 0 offset:576 ; 4-byte Folded Spill
	v_addc_co_u32_e32 v81, vcc, v79, v0, vcc
	global_load_dwordx4 v[109:112], v[78:79], off
	s_nop 0
	global_load_dwordx4 v[78:81], v[80:81], off
	s_waitcnt vmcnt(0)
	buffer_store_dword v78, off, s[24:27], 0 offset:544 ; 4-byte Folded Spill
	s_nop 0
	buffer_store_dword v79, off, s[24:27], 0 offset:548 ; 4-byte Folded Spill
	buffer_store_dword v80, off, s[24:27], 0 offset:552 ; 4-byte Folded Spill
	;; [unrolled: 1-line block ×4, first 2 shown]
	s_nop 0
	buffer_store_dword v110, off, s[24:27], 0 offset:564 ; 4-byte Folded Spill
	buffer_store_dword v111, off, s[24:27], 0 offset:568 ; 4-byte Folded Spill
	;; [unrolled: 1-line block ×3, first 2 shown]
	s_load_dword s3, s[4:5], 0x0
	s_waitcnt lgkmcnt(0)
	s_max_i32 s0, s3, 60
	v_mul_lo_u32 v87, s0, v1
	s_load_dwordx2 s[4:5], s[4:5], 0x40
	s_cmp_lt_i32 s3, 2
	v_lshl_add_u32 v0, v87, 4, 0
	v_add_u32_e32 v1, v0, v84
	ds_write2_b64 v1, v[109:110], v[111:112] offset1:1
	buffer_load_dword v78, off, s[24:27], 0 ; 4-byte Folded Reload
	buffer_load_dword v79, off, s[24:27], 0 offset:4 ; 4-byte Folded Reload
	s_waitcnt vmcnt(0)
	global_load_dwordx4 v[78:81], v[78:79], off
	s_waitcnt vmcnt(0)
	buffer_store_dword v78, off, s[24:27], 0 offset:528 ; 4-byte Folded Spill
	s_nop 0
	buffer_store_dword v79, off, s[24:27], 0 offset:532 ; 4-byte Folded Spill
	buffer_store_dword v80, off, s[24:27], 0 offset:536 ; 4-byte Folded Spill
	buffer_store_dword v81, off, s[24:27], 0 offset:540 ; 4-byte Folded Spill
	global_load_dwordx4 v[78:81], v[115:116], off
	s_waitcnt vmcnt(0)
	buffer_store_dword v78, off, s[24:27], 0 offset:512 ; 4-byte Folded Spill
	s_nop 0
	buffer_store_dword v79, off, s[24:27], 0 offset:516 ; 4-byte Folded Spill
	buffer_store_dword v80, off, s[24:27], 0 offset:520 ; 4-byte Folded Spill
	buffer_store_dword v81, off, s[24:27], 0 offset:524 ; 4-byte Folded Spill
	;; [unrolled: 7-line block ×33, first 2 shown]
	global_load_dwordx4 v[10:13], v[68:69], off
	s_waitcnt vmcnt(0)
	buffer_store_dword v10, off, s[24:27], 0 ; 4-byte Folded Spill
	s_nop 0
	buffer_store_dword v11, off, s[24:27], 0 offset:4 ; 4-byte Folded Spill
	buffer_store_dword v12, off, s[24:27], 0 offset:8 ; 4-byte Folded Spill
	;; [unrolled: 1-line block ×3, first 2 shown]
	global_load_dwordx4 v[113:116], v[70:71], off
	global_load_dwordx4 v[109:112], v[72:73], off
	;; [unrolled: 1-line block ×3, first 2 shown]
	s_nop 0
	global_load_dwordx4 v[77:80], v[76:77], off
	s_nop 0
	global_load_dwordx4 v[73:76], v[117:118], off
	global_load_dwordx4 v[69:72], v[119:120], off
	global_load_dwordx4 v[65:68], v[121:122], off
	global_load_dwordx4 v[61:64], v[123:124], off
	global_load_dwordx4 v[57:60], v[125:126], off
	global_load_dwordx4 v[53:56], v[6:7], off
	global_load_dwordx4 v[49:52], v[8:9], off
	global_load_dwordx4 v[45:48], v[2:3], off
	global_load_dwordx4 v[41:44], v[4:5], off
	global_load_dwordx4 v[37:40], v[105:106], off
	global_load_dwordx4 v[33:36], v[107:108], off
	global_load_dwordx4 v[29:32], v[101:102], off
	global_load_dwordx4 v[25:28], v[103:104], off
	global_load_dwordx4 v[21:24], v[97:98], off
	global_load_dwordx4 v[17:20], v[99:100], off
	global_load_dwordx4 v[13:16], v[93:94], off
	global_load_dwordx4 v[9:12], v[95:96], off
	global_load_dwordx4 v[5:8], v[89:90], off
	global_load_dwordx4 v[1:4], v[91:92], off
	global_load_dwordx4 v[121:124], v[85:86], off
	s_waitcnt vmcnt(0) lgkmcnt(0)
	s_barrier
	ds_read2_b64 v[117:120], v0 offset1:1
	v_lshlrev_b32_e32 v91, 4, v87
	v_mov_b32_e32 v85, 0
	s_cbranch_scc1 .LBB118_6
; %bb.4:
	v_add3_u32 v86, v91, 0, 16
	s_mov_b32 s0, 1
	v_mov_b32_e32 v85, 0
.LBB118_5:                              ; =>This Inner Loop Header: Depth=1
	s_waitcnt lgkmcnt(0)
	v_cmp_gt_f64_e32 vcc, 0, v[117:118]
	v_xor_b32_e32 v92, 0x80000000, v118
	ds_read2_b64 v[87:90], v86 offset1:1
	v_xor_b32_e32 v94, 0x80000000, v120
	v_add_u32_e32 v86, 16, v86
	s_waitcnt lgkmcnt(0)
	v_xor_b32_e32 v96, 0x80000000, v90
	v_cndmask_b32_e32 v93, v118, v92, vcc
	v_cmp_gt_f64_e32 vcc, 0, v[119:120]
	v_mov_b32_e32 v92, v117
	v_cndmask_b32_e32 v95, v120, v94, vcc
	v_cmp_gt_f64_e32 vcc, 0, v[87:88]
	v_mov_b32_e32 v94, v119
	v_add_f64 v[92:93], v[92:93], v[94:95]
	v_xor_b32_e32 v94, 0x80000000, v88
	v_cndmask_b32_e32 v95, v88, v94, vcc
	v_cmp_gt_f64_e32 vcc, 0, v[89:90]
	v_mov_b32_e32 v94, v87
	v_cndmask_b32_e32 v97, v90, v96, vcc
	v_mov_b32_e32 v96, v89
	v_add_f64 v[94:95], v[94:95], v[96:97]
	v_cmp_lt_f64_e32 vcc, v[92:93], v[94:95]
	v_cndmask_b32_e32 v117, v117, v87, vcc
	v_mov_b32_e32 v87, s0
	s_add_i32 s0, s0, 1
	v_cndmask_b32_e32 v118, v118, v88, vcc
	v_cndmask_b32_e32 v120, v120, v90, vcc
	v_cndmask_b32_e32 v119, v119, v89, vcc
	v_cndmask_b32_e32 v85, v85, v87, vcc
	s_cmp_eq_u32 s3, s0
	s_cbranch_scc0 .LBB118_5
.LBB118_6:
	buffer_load_dword v103, off, s[24:27], 0 offset:588 ; 4-byte Folded Reload
	buffer_load_dword v104, off, s[24:27], 0 offset:592 ; 4-byte Folded Reload
	;; [unrolled: 1-line block ×4, first 2 shown]
	s_waitcnt lgkmcnt(0)
	v_cmp_neq_f64_e32 vcc, 0, v[117:118]
	v_cmp_neq_f64_e64 s[0:1], 0, v[119:120]
	v_mov_b32_e32 v90, 1
	v_mov_b32_e32 v92, 1
	s_or_b64 s[18:19], vcc, s[0:1]
	s_and_saveexec_b64 s[0:1], s[18:19]
	s_cbranch_execz .LBB118_12
; %bb.7:
	v_cmp_ngt_f64_e64 s[18:19], |v[117:118]|, |v[119:120]|
	s_and_saveexec_b64 s[20:21], s[18:19]
	s_xor_b64 s[18:19], exec, s[20:21]
	s_cbranch_execz .LBB118_9
; %bb.8:
	v_div_scale_f64 v[86:87], s[20:21], v[119:120], v[119:120], v[117:118]
	v_rcp_f64_e32 v[88:89], v[86:87]
	v_fma_f64 v[92:93], -v[86:87], v[88:89], 1.0
	v_fma_f64 v[88:89], v[88:89], v[92:93], v[88:89]
	v_div_scale_f64 v[92:93], vcc, v[117:118], v[119:120], v[117:118]
	v_fma_f64 v[94:95], -v[86:87], v[88:89], 1.0
	v_fma_f64 v[88:89], v[88:89], v[94:95], v[88:89]
	v_mul_f64 v[94:95], v[92:93], v[88:89]
	v_fma_f64 v[86:87], -v[86:87], v[94:95], v[92:93]
	v_div_fmas_f64 v[86:87], v[86:87], v[88:89], v[94:95]
	v_div_fixup_f64 v[86:87], v[86:87], v[119:120], v[117:118]
	v_fma_f64 v[88:89], v[117:118], v[86:87], v[119:120]
	v_div_scale_f64 v[92:93], s[20:21], v[88:89], v[88:89], 1.0
	v_div_scale_f64 v[98:99], vcc, 1.0, v[88:89], 1.0
	v_rcp_f64_e32 v[94:95], v[92:93]
	v_fma_f64 v[96:97], -v[92:93], v[94:95], 1.0
	v_fma_f64 v[94:95], v[94:95], v[96:97], v[94:95]
	v_fma_f64 v[96:97], -v[92:93], v[94:95], 1.0
	v_fma_f64 v[94:95], v[94:95], v[96:97], v[94:95]
	v_mul_f64 v[96:97], v[98:99], v[94:95]
	v_fma_f64 v[92:93], -v[92:93], v[96:97], v[98:99]
	v_div_fmas_f64 v[92:93], v[92:93], v[94:95], v[96:97]
	v_div_fixup_f64 v[119:120], v[92:93], v[88:89], 1.0
	v_mul_f64 v[117:118], v[86:87], v[119:120]
	v_xor_b32_e32 v120, 0x80000000, v120
.LBB118_9:
	s_andn2_saveexec_b64 s[18:19], s[18:19]
	s_cbranch_execz .LBB118_11
; %bb.10:
	v_div_scale_f64 v[86:87], s[20:21], v[117:118], v[117:118], v[119:120]
	v_rcp_f64_e32 v[88:89], v[86:87]
	v_fma_f64 v[92:93], -v[86:87], v[88:89], 1.0
	v_fma_f64 v[88:89], v[88:89], v[92:93], v[88:89]
	v_div_scale_f64 v[92:93], vcc, v[119:120], v[117:118], v[119:120]
	v_fma_f64 v[94:95], -v[86:87], v[88:89], 1.0
	v_fma_f64 v[88:89], v[88:89], v[94:95], v[88:89]
	v_mul_f64 v[94:95], v[92:93], v[88:89]
	v_fma_f64 v[86:87], -v[86:87], v[94:95], v[92:93]
	v_div_fmas_f64 v[86:87], v[86:87], v[88:89], v[94:95]
	v_div_fixup_f64 v[86:87], v[86:87], v[117:118], v[119:120]
	v_fma_f64 v[88:89], v[119:120], v[86:87], v[117:118]
	v_div_scale_f64 v[92:93], s[20:21], v[88:89], v[88:89], 1.0
	v_div_scale_f64 v[98:99], vcc, 1.0, v[88:89], 1.0
	v_rcp_f64_e32 v[94:95], v[92:93]
	v_fma_f64 v[96:97], -v[92:93], v[94:95], 1.0
	v_fma_f64 v[94:95], v[94:95], v[96:97], v[94:95]
	v_fma_f64 v[96:97], -v[92:93], v[94:95], 1.0
	v_fma_f64 v[94:95], v[94:95], v[96:97], v[94:95]
	v_mul_f64 v[96:97], v[98:99], v[94:95]
	v_fma_f64 v[92:93], -v[92:93], v[96:97], v[98:99]
	v_div_fmas_f64 v[92:93], v[92:93], v[94:95], v[96:97]
	v_div_fixup_f64 v[117:118], v[92:93], v[88:89], 1.0
	v_mul_f64 v[119:120], v[86:87], -v[117:118]
.LBB118_11:
	s_or_b64 exec, exec, s[18:19]
	v_mov_b32_e32 v92, 0
	v_mov_b32_e32 v90, 2
.LBB118_12:
	s_or_b64 exec, exec, s[0:1]
	v_cmp_ne_u32_e32 vcc, v127, v85
	s_and_saveexec_b64 s[0:1], vcc
	s_xor_b64 s[0:1], exec, s[0:1]
	s_cbranch_execz .LBB118_18
; %bb.13:
	v_cmp_eq_u32_e32 vcc, 0, v127
	s_and_saveexec_b64 s[18:19], vcc
	s_cbranch_execz .LBB118_17
; %bb.14:
	v_cmp_ne_u32_e32 vcc, 0, v85
	s_xor_b64 s[20:21], s[6:7], -1
	s_and_b64 s[22:23], s[20:21], vcc
	s_and_saveexec_b64 s[20:21], s[22:23]
	s_cbranch_execz .LBB118_16
; %bb.15:
	v_ashrrev_i32_e32 v86, 31, v85
	v_lshlrev_b64 v[86:87], 2, v[85:86]
	s_waitcnt vmcnt(1)
	v_add_co_u32_e32 v86, vcc, v107, v86
	s_waitcnt vmcnt(0)
	v_addc_co_u32_e32 v87, vcc, v108, v87, vcc
	global_load_dword v88, v[86:87], off
	global_load_dword v89, v[107:108], off
	s_waitcnt vmcnt(1)
	global_store_dword v[107:108], v88, off
	s_waitcnt vmcnt(1)
	global_store_dword v[86:87], v89, off
.LBB118_16:
	s_or_b64 exec, exec, s[20:21]
	v_mov_b32_e32 v127, v85
.LBB118_17:
	s_or_b64 exec, exec, s[18:19]
.LBB118_18:
	s_or_saveexec_b64 s[0:1], s[0:1]
	v_mov_b32_e32 v89, v127
	s_xor_b64 exec, exec, s[0:1]
	s_cbranch_execz .LBB118_20
; %bb.19:
	buffer_load_dword v85, off, s[24:27], 0 offset:544 ; 4-byte Folded Reload
	buffer_load_dword v86, off, s[24:27], 0 offset:548 ; 4-byte Folded Reload
	;; [unrolled: 1-line block ×4, first 2 shown]
	v_mov_b32_e32 v89, 0
	s_waitcnt vmcnt(0)
	ds_write2_b64 v0, v[85:86], v[87:88] offset0:2 offset1:3
	buffer_load_dword v85, off, s[24:27], 0 offset:528 ; 4-byte Folded Reload
	buffer_load_dword v86, off, s[24:27], 0 offset:532 ; 4-byte Folded Reload
	buffer_load_dword v87, off, s[24:27], 0 offset:536 ; 4-byte Folded Reload
	buffer_load_dword v88, off, s[24:27], 0 offset:540 ; 4-byte Folded Reload
	s_waitcnt vmcnt(0)
	ds_write2_b64 v0, v[85:86], v[87:88] offset0:4 offset1:5
	buffer_load_dword v85, off, s[24:27], 0 offset:512 ; 4-byte Folded Reload
	buffer_load_dword v86, off, s[24:27], 0 offset:516 ; 4-byte Folded Reload
	buffer_load_dword v87, off, s[24:27], 0 offset:520 ; 4-byte Folded Reload
	buffer_load_dword v88, off, s[24:27], 0 offset:524 ; 4-byte Folded Reload
	;; [unrolled: 6-line block ×33, first 2 shown]
	s_waitcnt vmcnt(0)
	ds_write2_b64 v0, v[85:86], v[87:88] offset0:68 offset1:69
	buffer_load_dword v85, off, s[24:27], 0 ; 4-byte Folded Reload
	buffer_load_dword v86, off, s[24:27], 0 offset:4 ; 4-byte Folded Reload
	buffer_load_dword v87, off, s[24:27], 0 offset:8 ; 4-byte Folded Reload
	;; [unrolled: 1-line block ×3, first 2 shown]
	s_waitcnt vmcnt(0)
	ds_write2_b64 v0, v[85:86], v[87:88] offset0:70 offset1:71
	ds_write2_b64 v0, v[113:114], v[115:116] offset0:72 offset1:73
	;; [unrolled: 1-line block ×25, first 2 shown]
.LBB118_20:
	s_or_b64 exec, exec, s[0:1]
	v_cmp_lt_i32_e32 vcc, 0, v89
	s_waitcnt vmcnt(0) lgkmcnt(0)
	s_barrier
	s_and_saveexec_b64 s[0:1], vcc
	s_cbranch_execz .LBB118_22
; %bb.21:
	buffer_load_dword v97, off, s[24:27], 0 offset:560 ; 4-byte Folded Reload
	buffer_load_dword v98, off, s[24:27], 0 offset:564 ; 4-byte Folded Reload
	;; [unrolled: 1-line block ×4, first 2 shown]
	s_waitcnt vmcnt(0)
	v_mul_f64 v[85:86], v[119:120], v[99:100]
	v_fma_f64 v[125:126], v[117:118], v[97:98], -v[85:86]
	v_mul_f64 v[85:86], v[117:118], v[99:100]
	v_fma_f64 v[99:100], v[119:120], v[97:98], v[85:86]
	ds_read2_b64 v[85:88], v0 offset0:2 offset1:3
	buffer_load_dword v95, off, s[24:27], 0 offset:544 ; 4-byte Folded Reload
	buffer_load_dword v96, off, s[24:27], 0 offset:548 ; 4-byte Folded Reload
	buffer_load_dword v97, off, s[24:27], 0 offset:552 ; 4-byte Folded Reload
	buffer_load_dword v98, off, s[24:27], 0 offset:556 ; 4-byte Folded Reload
	s_waitcnt lgkmcnt(0)
	v_mul_f64 v[93:94], v[87:88], v[99:100]
	v_fma_f64 v[93:94], v[85:86], v[125:126], -v[93:94]
	v_mul_f64 v[85:86], v[85:86], v[99:100]
	v_fma_f64 v[85:86], v[87:88], v[125:126], v[85:86]
	s_waitcnt vmcnt(2)
	v_add_f64 v[95:96], v[95:96], -v[93:94]
	s_waitcnt vmcnt(0)
	v_add_f64 v[97:98], v[97:98], -v[85:86]
	buffer_store_dword v95, off, s[24:27], 0 offset:544 ; 4-byte Folded Spill
	s_nop 0
	buffer_store_dword v96, off, s[24:27], 0 offset:548 ; 4-byte Folded Spill
	buffer_store_dword v97, off, s[24:27], 0 offset:552 ; 4-byte Folded Spill
	buffer_store_dword v98, off, s[24:27], 0 offset:556 ; 4-byte Folded Spill
	ds_read2_b64 v[85:88], v0 offset0:4 offset1:5
	buffer_load_dword v95, off, s[24:27], 0 offset:528 ; 4-byte Folded Reload
	buffer_load_dword v96, off, s[24:27], 0 offset:532 ; 4-byte Folded Reload
	buffer_load_dword v97, off, s[24:27], 0 offset:536 ; 4-byte Folded Reload
	buffer_load_dword v98, off, s[24:27], 0 offset:540 ; 4-byte Folded Reload
	s_waitcnt lgkmcnt(0)
	v_mul_f64 v[93:94], v[87:88], v[99:100]
	v_fma_f64 v[93:94], v[85:86], v[125:126], -v[93:94]
	v_mul_f64 v[85:86], v[85:86], v[99:100]
	v_fma_f64 v[85:86], v[87:88], v[125:126], v[85:86]
	s_waitcnt vmcnt(2)
	v_add_f64 v[95:96], v[95:96], -v[93:94]
	s_waitcnt vmcnt(0)
	v_add_f64 v[97:98], v[97:98], -v[85:86]
	buffer_store_dword v95, off, s[24:27], 0 offset:528 ; 4-byte Folded Spill
	s_nop 0
	buffer_store_dword v96, off, s[24:27], 0 offset:532 ; 4-byte Folded Spill
	buffer_store_dword v97, off, s[24:27], 0 offset:536 ; 4-byte Folded Spill
	buffer_store_dword v98, off, s[24:27], 0 offset:540 ; 4-byte Folded Spill
	;; [unrolled: 19-line block ×34, first 2 shown]
	ds_read2_b64 v[85:88], v0 offset0:70 offset1:71
	buffer_load_dword v95, off, s[24:27], 0 ; 4-byte Folded Reload
	buffer_load_dword v96, off, s[24:27], 0 offset:4 ; 4-byte Folded Reload
	buffer_load_dword v97, off, s[24:27], 0 offset:8 ; 4-byte Folded Reload
	;; [unrolled: 1-line block ×3, first 2 shown]
	s_waitcnt lgkmcnt(0)
	v_mul_f64 v[93:94], v[87:88], v[99:100]
	v_fma_f64 v[93:94], v[85:86], v[125:126], -v[93:94]
	v_mul_f64 v[85:86], v[85:86], v[99:100]
	v_fma_f64 v[85:86], v[87:88], v[125:126], v[85:86]
	s_waitcnt vmcnt(2)
	v_add_f64 v[95:96], v[95:96], -v[93:94]
	s_waitcnt vmcnt(0)
	v_add_f64 v[97:98], v[97:98], -v[85:86]
	buffer_store_dword v95, off, s[24:27], 0 ; 4-byte Folded Spill
	s_nop 0
	buffer_store_dword v96, off, s[24:27], 0 offset:4 ; 4-byte Folded Spill
	buffer_store_dword v97, off, s[24:27], 0 offset:8 ; 4-byte Folded Spill
	;; [unrolled: 1-line block ×3, first 2 shown]
	ds_read2_b64 v[85:88], v0 offset0:72 offset1:73
	v_mov_b32_e32 v97, v125
	v_mov_b32_e32 v98, v126
	s_waitcnt lgkmcnt(0)
	v_mul_f64 v[93:94], v[87:88], v[99:100]
	v_fma_f64 v[93:94], v[85:86], v[125:126], -v[93:94]
	v_mul_f64 v[85:86], v[85:86], v[99:100]
	v_add_f64 v[113:114], v[113:114], -v[93:94]
	v_fma_f64 v[85:86], v[87:88], v[125:126], v[85:86]
	v_add_f64 v[115:116], v[115:116], -v[85:86]
	ds_read2_b64 v[85:88], v0 offset0:74 offset1:75
	s_waitcnt lgkmcnt(0)
	v_mul_f64 v[93:94], v[87:88], v[99:100]
	v_fma_f64 v[93:94], v[85:86], v[125:126], -v[93:94]
	v_mul_f64 v[85:86], v[85:86], v[99:100]
	v_add_f64 v[109:110], v[109:110], -v[93:94]
	v_fma_f64 v[85:86], v[87:88], v[125:126], v[85:86]
	v_add_f64 v[111:112], v[111:112], -v[85:86]
	ds_read2_b64 v[85:88], v0 offset0:76 offset1:77
	;; [unrolled: 8-line block ×22, first 2 shown]
	s_waitcnt lgkmcnt(0)
	v_mul_f64 v[93:94], v[87:88], v[99:100]
	v_fma_f64 v[93:94], v[85:86], v[125:126], -v[93:94]
	v_mul_f64 v[85:86], v[85:86], v[99:100]
	v_add_f64 v[1:2], v[1:2], -v[93:94]
	v_fma_f64 v[85:86], v[87:88], v[125:126], v[85:86]
	ds_read2_b64 v[93:96], v0 offset0:118 offset1:119
	s_waitcnt lgkmcnt(0)
	v_mul_f64 v[87:88], v[93:94], v[99:100]
	v_add_f64 v[3:4], v[3:4], -v[85:86]
	v_mul_f64 v[85:86], v[95:96], v[99:100]
	buffer_store_dword v97, off, s[24:27], 0 offset:560 ; 4-byte Folded Spill
	s_nop 0
	buffer_store_dword v98, off, s[24:27], 0 offset:564 ; 4-byte Folded Spill
	buffer_store_dword v99, off, s[24:27], 0 offset:568 ; 4-byte Folded Spill
	;; [unrolled: 1-line block ×3, first 2 shown]
	v_fma_f64 v[87:88], v[95:96], v[125:126], v[87:88]
	v_fma_f64 v[85:86], v[93:94], v[125:126], -v[85:86]
	v_add_f64 v[123:124], v[123:124], -v[87:88]
	v_add_f64 v[121:122], v[121:122], -v[85:86]
.LBB118_22:
	s_or_b64 exec, exec, s[0:1]
	s_waitcnt vmcnt(0)
	s_barrier
	buffer_load_dword v93, off, s[24:27], 0 offset:544 ; 4-byte Folded Reload
	buffer_load_dword v94, off, s[24:27], 0 offset:548 ; 4-byte Folded Reload
	;; [unrolled: 1-line block ×4, first 2 shown]
	v_lshl_add_u32 v85, v89, 4, v0
	s_cmp_lt_i32 s3, 3
	s_waitcnt vmcnt(0)
	ds_write2_b64 v85, v[93:94], v[95:96] offset1:1
	s_waitcnt lgkmcnt(0)
	s_barrier
	ds_read2_b64 v[117:120], v0 offset0:2 offset1:3
	v_mov_b32_e32 v85, 1
	s_cbranch_scc1 .LBB118_25
; %bb.23:
	v_add3_u32 v86, v91, 0, 32
	s_mov_b32 s0, 2
	v_mov_b32_e32 v85, 1
.LBB118_24:                             ; =>This Inner Loop Header: Depth=1
	s_waitcnt lgkmcnt(0)
	v_cmp_gt_f64_e32 vcc, 0, v[117:118]
	v_xor_b32_e32 v87, 0x80000000, v118
	ds_read2_b64 v[93:96], v86 offset1:1
	v_xor_b32_e32 v97, 0x80000000, v120
	v_add_u32_e32 v86, 16, v86
	s_waitcnt lgkmcnt(0)
	v_xor_b32_e32 v99, 0x80000000, v96
	v_cndmask_b32_e32 v88, v118, v87, vcc
	v_cmp_gt_f64_e32 vcc, 0, v[119:120]
	v_mov_b32_e32 v87, v117
	v_cndmask_b32_e32 v98, v120, v97, vcc
	v_cmp_gt_f64_e32 vcc, 0, v[93:94]
	v_mov_b32_e32 v97, v119
	v_add_f64 v[87:88], v[87:88], v[97:98]
	v_xor_b32_e32 v97, 0x80000000, v94
	v_cndmask_b32_e32 v98, v94, v97, vcc
	v_cmp_gt_f64_e32 vcc, 0, v[95:96]
	v_mov_b32_e32 v97, v93
	v_cndmask_b32_e32 v100, v96, v99, vcc
	v_mov_b32_e32 v99, v95
	v_add_f64 v[97:98], v[97:98], v[99:100]
	v_cmp_lt_f64_e32 vcc, v[87:88], v[97:98]
	v_mov_b32_e32 v87, s0
	s_add_i32 s0, s0, 1
	s_cmp_lg_u32 s3, s0
	v_cndmask_b32_e32 v118, v118, v94, vcc
	v_cndmask_b32_e32 v117, v117, v93, vcc
	;; [unrolled: 1-line block ×5, first 2 shown]
	s_cbranch_scc1 .LBB118_24
.LBB118_25:
	s_waitcnt lgkmcnt(0)
	v_cmp_neq_f64_e32 vcc, 0, v[117:118]
	v_cmp_neq_f64_e64 s[0:1], 0, v[119:120]
	s_or_b64 s[18:19], vcc, s[0:1]
	s_and_saveexec_b64 s[0:1], s[18:19]
	s_cbranch_execz .LBB118_31
; %bb.26:
	v_cmp_ngt_f64_e64 s[18:19], |v[117:118]|, |v[119:120]|
	s_and_saveexec_b64 s[20:21], s[18:19]
	s_xor_b64 s[18:19], exec, s[20:21]
	s_cbranch_execz .LBB118_28
; %bb.27:
	v_div_scale_f64 v[86:87], s[20:21], v[119:120], v[119:120], v[117:118]
	v_rcp_f64_e32 v[93:94], v[86:87]
	v_fma_f64 v[95:96], -v[86:87], v[93:94], 1.0
	v_fma_f64 v[93:94], v[93:94], v[95:96], v[93:94]
	v_div_scale_f64 v[95:96], vcc, v[117:118], v[119:120], v[117:118]
	v_fma_f64 v[97:98], -v[86:87], v[93:94], 1.0
	v_fma_f64 v[93:94], v[93:94], v[97:98], v[93:94]
	v_mul_f64 v[97:98], v[95:96], v[93:94]
	v_fma_f64 v[86:87], -v[86:87], v[97:98], v[95:96]
	v_div_fmas_f64 v[86:87], v[86:87], v[93:94], v[97:98]
	v_div_fixup_f64 v[86:87], v[86:87], v[119:120], v[117:118]
	v_fma_f64 v[93:94], v[117:118], v[86:87], v[119:120]
	v_div_scale_f64 v[95:96], s[20:21], v[93:94], v[93:94], 1.0
	v_div_scale_f64 v[101:102], vcc, 1.0, v[93:94], 1.0
	v_rcp_f64_e32 v[97:98], v[95:96]
	v_fma_f64 v[99:100], -v[95:96], v[97:98], 1.0
	v_fma_f64 v[97:98], v[97:98], v[99:100], v[97:98]
	v_fma_f64 v[99:100], -v[95:96], v[97:98], 1.0
	v_fma_f64 v[97:98], v[97:98], v[99:100], v[97:98]
	v_mul_f64 v[99:100], v[101:102], v[97:98]
	v_fma_f64 v[95:96], -v[95:96], v[99:100], v[101:102]
	v_div_fmas_f64 v[95:96], v[95:96], v[97:98], v[99:100]
	v_div_fixup_f64 v[119:120], v[95:96], v[93:94], 1.0
	v_mul_f64 v[117:118], v[86:87], v[119:120]
	v_xor_b32_e32 v120, 0x80000000, v120
.LBB118_28:
	s_andn2_saveexec_b64 s[18:19], s[18:19]
	s_cbranch_execz .LBB118_30
; %bb.29:
	v_div_scale_f64 v[86:87], s[20:21], v[117:118], v[117:118], v[119:120]
	v_rcp_f64_e32 v[93:94], v[86:87]
	v_fma_f64 v[95:96], -v[86:87], v[93:94], 1.0
	v_fma_f64 v[93:94], v[93:94], v[95:96], v[93:94]
	v_div_scale_f64 v[95:96], vcc, v[119:120], v[117:118], v[119:120]
	v_fma_f64 v[97:98], -v[86:87], v[93:94], 1.0
	v_fma_f64 v[93:94], v[93:94], v[97:98], v[93:94]
	v_mul_f64 v[97:98], v[95:96], v[93:94]
	v_fma_f64 v[86:87], -v[86:87], v[97:98], v[95:96]
	v_div_fmas_f64 v[86:87], v[86:87], v[93:94], v[97:98]
	v_div_fixup_f64 v[86:87], v[86:87], v[117:118], v[119:120]
	v_fma_f64 v[93:94], v[119:120], v[86:87], v[117:118]
	v_div_scale_f64 v[95:96], s[20:21], v[93:94], v[93:94], 1.0
	v_div_scale_f64 v[101:102], vcc, 1.0, v[93:94], 1.0
	v_rcp_f64_e32 v[97:98], v[95:96]
	v_fma_f64 v[99:100], -v[95:96], v[97:98], 1.0
	v_fma_f64 v[97:98], v[97:98], v[99:100], v[97:98]
	v_fma_f64 v[99:100], -v[95:96], v[97:98], 1.0
	v_fma_f64 v[97:98], v[97:98], v[99:100], v[97:98]
	v_mul_f64 v[99:100], v[101:102], v[97:98]
	v_fma_f64 v[95:96], -v[95:96], v[99:100], v[101:102]
	v_div_fmas_f64 v[95:96], v[95:96], v[97:98], v[99:100]
	v_div_fixup_f64 v[117:118], v[95:96], v[93:94], 1.0
	v_mul_f64 v[119:120], v[86:87], -v[117:118]
.LBB118_30:
	s_or_b64 exec, exec, s[18:19]
	v_mov_b32_e32 v90, v92
.LBB118_31:
	s_or_b64 exec, exec, s[0:1]
	v_cmp_ne_u32_e32 vcc, v89, v85
	s_and_saveexec_b64 s[0:1], vcc
	s_xor_b64 s[0:1], exec, s[0:1]
	s_cbranch_execz .LBB118_37
; %bb.32:
	v_cmp_eq_u32_e32 vcc, 1, v89
	s_and_saveexec_b64 s[18:19], vcc
	s_cbranch_execz .LBB118_36
; %bb.33:
	v_cmp_ne_u32_e32 vcc, 1, v85
	s_xor_b64 s[20:21], s[6:7], -1
	s_and_b64 s[22:23], s[20:21], vcc
	s_and_saveexec_b64 s[20:21], s[22:23]
	s_cbranch_execz .LBB118_35
; %bb.34:
	v_ashrrev_i32_e32 v86, 31, v85
	v_lshlrev_b64 v[86:87], 2, v[85:86]
	v_add_co_u32_e32 v86, vcc, v107, v86
	v_addc_co_u32_e32 v87, vcc, v108, v87, vcc
	global_load_dword v88, v[86:87], off
	global_load_dword v89, v[107:108], off offset:4
	s_waitcnt vmcnt(1)
	global_store_dword v[107:108], v88, off offset:4
	s_waitcnt vmcnt(1)
	global_store_dword v[86:87], v89, off
.LBB118_35:
	s_or_b64 exec, exec, s[20:21]
	v_mov_b32_e32 v89, v85
	v_mov_b32_e32 v127, v85
.LBB118_36:
	s_or_b64 exec, exec, s[18:19]
.LBB118_37:
	s_andn2_saveexec_b64 s[0:1], s[0:1]
	s_cbranch_execz .LBB118_39
; %bb.38:
	buffer_load_dword v85, off, s[24:27], 0 offset:528 ; 4-byte Folded Reload
	buffer_load_dword v86, off, s[24:27], 0 offset:532 ; 4-byte Folded Reload
	;; [unrolled: 1-line block ×4, first 2 shown]
	v_mov_b32_e32 v89, 1
	s_waitcnt vmcnt(0)
	ds_write2_b64 v0, v[85:86], v[87:88] offset0:4 offset1:5
	buffer_load_dword v85, off, s[24:27], 0 offset:512 ; 4-byte Folded Reload
	buffer_load_dword v86, off, s[24:27], 0 offset:516 ; 4-byte Folded Reload
	buffer_load_dword v87, off, s[24:27], 0 offset:520 ; 4-byte Folded Reload
	buffer_load_dword v88, off, s[24:27], 0 offset:524 ; 4-byte Folded Reload
	s_waitcnt vmcnt(0)
	ds_write2_b64 v0, v[85:86], v[87:88] offset0:6 offset1:7
	buffer_load_dword v85, off, s[24:27], 0 offset:496 ; 4-byte Folded Reload
	buffer_load_dword v86, off, s[24:27], 0 offset:500 ; 4-byte Folded Reload
	buffer_load_dword v87, off, s[24:27], 0 offset:504 ; 4-byte Folded Reload
	buffer_load_dword v88, off, s[24:27], 0 offset:508 ; 4-byte Folded Reload
	;; [unrolled: 6-line block ×32, first 2 shown]
	s_waitcnt vmcnt(0)
	ds_write2_b64 v0, v[85:86], v[87:88] offset0:68 offset1:69
	buffer_load_dword v85, off, s[24:27], 0 ; 4-byte Folded Reload
	buffer_load_dword v86, off, s[24:27], 0 offset:4 ; 4-byte Folded Reload
	buffer_load_dword v87, off, s[24:27], 0 offset:8 ; 4-byte Folded Reload
	;; [unrolled: 1-line block ×3, first 2 shown]
	s_waitcnt vmcnt(0)
	ds_write2_b64 v0, v[85:86], v[87:88] offset0:70 offset1:71
	ds_write2_b64 v0, v[113:114], v[115:116] offset0:72 offset1:73
	;; [unrolled: 1-line block ×25, first 2 shown]
.LBB118_39:
	s_or_b64 exec, exec, s[0:1]
	v_cmp_lt_i32_e32 vcc, 1, v89
	s_waitcnt vmcnt(0) lgkmcnt(0)
	s_barrier
	s_and_saveexec_b64 s[0:1], vcc
	s_cbranch_execz .LBB118_41
; %bb.40:
	buffer_load_dword v96, off, s[24:27], 0 offset:544 ; 4-byte Folded Reload
	buffer_load_dword v97, off, s[24:27], 0 offset:548 ; 4-byte Folded Reload
	;; [unrolled: 1-line block ×4, first 2 shown]
	s_waitcnt vmcnt(0)
	v_mul_f64 v[85:86], v[119:120], v[98:99]
	v_fma_f64 v[125:126], v[117:118], v[96:97], -v[85:86]
	v_mul_f64 v[85:86], v[117:118], v[98:99]
	v_fma_f64 v[98:99], v[119:120], v[96:97], v[85:86]
	ds_read2_b64 v[85:88], v0 offset0:4 offset1:5
	buffer_load_dword v94, off, s[24:27], 0 offset:528 ; 4-byte Folded Reload
	buffer_load_dword v95, off, s[24:27], 0 offset:532 ; 4-byte Folded Reload
	buffer_load_dword v96, off, s[24:27], 0 offset:536 ; 4-byte Folded Reload
	buffer_load_dword v97, off, s[24:27], 0 offset:540 ; 4-byte Folded Reload
	s_waitcnt lgkmcnt(0)
	v_mul_f64 v[92:93], v[87:88], v[98:99]
	v_fma_f64 v[92:93], v[85:86], v[125:126], -v[92:93]
	v_mul_f64 v[85:86], v[85:86], v[98:99]
	v_fma_f64 v[85:86], v[87:88], v[125:126], v[85:86]
	s_waitcnt vmcnt(2)
	v_add_f64 v[94:95], v[94:95], -v[92:93]
	s_waitcnt vmcnt(0)
	v_add_f64 v[96:97], v[96:97], -v[85:86]
	buffer_store_dword v94, off, s[24:27], 0 offset:528 ; 4-byte Folded Spill
	s_nop 0
	buffer_store_dword v95, off, s[24:27], 0 offset:532 ; 4-byte Folded Spill
	buffer_store_dword v96, off, s[24:27], 0 offset:536 ; 4-byte Folded Spill
	buffer_store_dword v97, off, s[24:27], 0 offset:540 ; 4-byte Folded Spill
	ds_read2_b64 v[85:88], v0 offset0:6 offset1:7
	buffer_load_dword v94, off, s[24:27], 0 offset:512 ; 4-byte Folded Reload
	buffer_load_dword v95, off, s[24:27], 0 offset:516 ; 4-byte Folded Reload
	buffer_load_dword v96, off, s[24:27], 0 offset:520 ; 4-byte Folded Reload
	buffer_load_dword v97, off, s[24:27], 0 offset:524 ; 4-byte Folded Reload
	s_waitcnt lgkmcnt(0)
	v_mul_f64 v[92:93], v[87:88], v[98:99]
	v_fma_f64 v[92:93], v[85:86], v[125:126], -v[92:93]
	v_mul_f64 v[85:86], v[85:86], v[98:99]
	v_fma_f64 v[85:86], v[87:88], v[125:126], v[85:86]
	s_waitcnt vmcnt(2)
	v_add_f64 v[94:95], v[94:95], -v[92:93]
	s_waitcnt vmcnt(0)
	v_add_f64 v[96:97], v[96:97], -v[85:86]
	buffer_store_dword v94, off, s[24:27], 0 offset:512 ; 4-byte Folded Spill
	s_nop 0
	buffer_store_dword v95, off, s[24:27], 0 offset:516 ; 4-byte Folded Spill
	buffer_store_dword v96, off, s[24:27], 0 offset:520 ; 4-byte Folded Spill
	buffer_store_dword v97, off, s[24:27], 0 offset:524 ; 4-byte Folded Spill
	;; [unrolled: 19-line block ×33, first 2 shown]
	ds_read2_b64 v[85:88], v0 offset0:70 offset1:71
	buffer_load_dword v94, off, s[24:27], 0 ; 4-byte Folded Reload
	buffer_load_dword v95, off, s[24:27], 0 offset:4 ; 4-byte Folded Reload
	buffer_load_dword v96, off, s[24:27], 0 offset:8 ; 4-byte Folded Reload
	;; [unrolled: 1-line block ×3, first 2 shown]
	s_waitcnt lgkmcnt(0)
	v_mul_f64 v[92:93], v[87:88], v[98:99]
	v_fma_f64 v[92:93], v[85:86], v[125:126], -v[92:93]
	v_mul_f64 v[85:86], v[85:86], v[98:99]
	v_fma_f64 v[85:86], v[87:88], v[125:126], v[85:86]
	s_waitcnt vmcnt(2)
	v_add_f64 v[94:95], v[94:95], -v[92:93]
	s_waitcnt vmcnt(0)
	v_add_f64 v[96:97], v[96:97], -v[85:86]
	buffer_store_dword v94, off, s[24:27], 0 ; 4-byte Folded Spill
	s_nop 0
	buffer_store_dword v95, off, s[24:27], 0 offset:4 ; 4-byte Folded Spill
	buffer_store_dword v96, off, s[24:27], 0 offset:8 ; 4-byte Folded Spill
	buffer_store_dword v97, off, s[24:27], 0 offset:12 ; 4-byte Folded Spill
	ds_read2_b64 v[85:88], v0 offset0:72 offset1:73
	v_mov_b32_e32 v96, v125
	v_mov_b32_e32 v97, v126
	s_waitcnt lgkmcnt(0)
	v_mul_f64 v[92:93], v[87:88], v[98:99]
	v_fma_f64 v[92:93], v[85:86], v[125:126], -v[92:93]
	v_mul_f64 v[85:86], v[85:86], v[98:99]
	v_add_f64 v[113:114], v[113:114], -v[92:93]
	v_fma_f64 v[85:86], v[87:88], v[125:126], v[85:86]
	v_add_f64 v[115:116], v[115:116], -v[85:86]
	ds_read2_b64 v[85:88], v0 offset0:74 offset1:75
	s_waitcnt lgkmcnt(0)
	v_mul_f64 v[92:93], v[87:88], v[98:99]
	v_fma_f64 v[92:93], v[85:86], v[125:126], -v[92:93]
	v_mul_f64 v[85:86], v[85:86], v[98:99]
	v_add_f64 v[109:110], v[109:110], -v[92:93]
	v_fma_f64 v[85:86], v[87:88], v[125:126], v[85:86]
	v_add_f64 v[111:112], v[111:112], -v[85:86]
	ds_read2_b64 v[85:88], v0 offset0:76 offset1:77
	;; [unrolled: 8-line block ×22, first 2 shown]
	s_waitcnt lgkmcnt(0)
	v_mul_f64 v[92:93], v[87:88], v[98:99]
	v_fma_f64 v[92:93], v[85:86], v[125:126], -v[92:93]
	v_mul_f64 v[85:86], v[85:86], v[98:99]
	v_add_f64 v[1:2], v[1:2], -v[92:93]
	v_fma_f64 v[85:86], v[87:88], v[125:126], v[85:86]
	ds_read2_b64 v[92:95], v0 offset0:118 offset1:119
	s_waitcnt lgkmcnt(0)
	v_mul_f64 v[87:88], v[92:93], v[98:99]
	v_add_f64 v[3:4], v[3:4], -v[85:86]
	v_mul_f64 v[85:86], v[94:95], v[98:99]
	buffer_store_dword v96, off, s[24:27], 0 offset:544 ; 4-byte Folded Spill
	s_nop 0
	buffer_store_dword v97, off, s[24:27], 0 offset:548 ; 4-byte Folded Spill
	buffer_store_dword v98, off, s[24:27], 0 offset:552 ; 4-byte Folded Spill
	;; [unrolled: 1-line block ×3, first 2 shown]
	v_fma_f64 v[87:88], v[94:95], v[125:126], v[87:88]
	v_fma_f64 v[85:86], v[92:93], v[125:126], -v[85:86]
	v_add_f64 v[123:124], v[123:124], -v[87:88]
	v_add_f64 v[121:122], v[121:122], -v[85:86]
.LBB118_41:
	s_or_b64 exec, exec, s[0:1]
	s_waitcnt vmcnt(0)
	s_barrier
	buffer_load_dword v92, off, s[24:27], 0 offset:528 ; 4-byte Folded Reload
	buffer_load_dword v93, off, s[24:27], 0 offset:532 ; 4-byte Folded Reload
	;; [unrolled: 1-line block ×4, first 2 shown]
	v_lshl_add_u32 v85, v89, 4, v0
	s_cmp_lt_i32 s3, 4
	s_waitcnt vmcnt(0)
	ds_write2_b64 v85, v[92:93], v[94:95] offset1:1
	s_waitcnt lgkmcnt(0)
	s_barrier
	ds_read2_b64 v[117:120], v0 offset0:4 offset1:5
	v_mov_b32_e32 v85, 2
	s_cbranch_scc1 .LBB118_44
; %bb.42:
	v_add3_u32 v86, v91, 0, 48
	s_mov_b32 s0, 3
	v_mov_b32_e32 v85, 2
.LBB118_43:                             ; =>This Inner Loop Header: Depth=1
	s_waitcnt lgkmcnt(0)
	v_cmp_gt_f64_e32 vcc, 0, v[117:118]
	v_xor_b32_e32 v87, 0x80000000, v118
	ds_read2_b64 v[92:95], v86 offset1:1
	v_xor_b32_e32 v96, 0x80000000, v120
	v_add_u32_e32 v86, 16, v86
	s_waitcnt lgkmcnt(0)
	v_xor_b32_e32 v98, 0x80000000, v95
	v_cndmask_b32_e32 v88, v118, v87, vcc
	v_cmp_gt_f64_e32 vcc, 0, v[119:120]
	v_mov_b32_e32 v87, v117
	v_cndmask_b32_e32 v97, v120, v96, vcc
	v_cmp_gt_f64_e32 vcc, 0, v[92:93]
	v_mov_b32_e32 v96, v119
	v_add_f64 v[87:88], v[87:88], v[96:97]
	v_xor_b32_e32 v96, 0x80000000, v93
	v_cndmask_b32_e32 v97, v93, v96, vcc
	v_cmp_gt_f64_e32 vcc, 0, v[94:95]
	v_mov_b32_e32 v96, v92
	v_cndmask_b32_e32 v99, v95, v98, vcc
	v_mov_b32_e32 v98, v94
	v_add_f64 v[96:97], v[96:97], v[98:99]
	v_cmp_lt_f64_e32 vcc, v[87:88], v[96:97]
	v_mov_b32_e32 v87, s0
	s_add_i32 s0, s0, 1
	s_cmp_lg_u32 s3, s0
	v_cndmask_b32_e32 v118, v118, v93, vcc
	v_cndmask_b32_e32 v117, v117, v92, vcc
	;; [unrolled: 1-line block ×5, first 2 shown]
	s_cbranch_scc1 .LBB118_43
.LBB118_44:
	s_waitcnt lgkmcnt(0)
	v_cmp_eq_f64_e32 vcc, 0, v[117:118]
	v_cmp_eq_f64_e64 s[0:1], 0, v[119:120]
	s_and_b64 s[0:1], vcc, s[0:1]
	s_and_saveexec_b64 s[18:19], s[0:1]
	s_xor_b64 s[0:1], exec, s[18:19]
; %bb.45:
	v_cmp_ne_u32_e32 vcc, 0, v90
	v_cndmask_b32_e32 v90, 3, v90, vcc
; %bb.46:
	s_andn2_saveexec_b64 s[0:1], s[0:1]
	s_cbranch_execz .LBB118_52
; %bb.47:
	v_cmp_ngt_f64_e64 s[18:19], |v[117:118]|, |v[119:120]|
	s_and_saveexec_b64 s[20:21], s[18:19]
	s_xor_b64 s[18:19], exec, s[20:21]
	s_cbranch_execz .LBB118_49
; %bb.48:
	v_div_scale_f64 v[86:87], s[20:21], v[119:120], v[119:120], v[117:118]
	v_rcp_f64_e32 v[92:93], v[86:87]
	v_fma_f64 v[94:95], -v[86:87], v[92:93], 1.0
	v_fma_f64 v[92:93], v[92:93], v[94:95], v[92:93]
	v_div_scale_f64 v[94:95], vcc, v[117:118], v[119:120], v[117:118]
	v_fma_f64 v[96:97], -v[86:87], v[92:93], 1.0
	v_fma_f64 v[92:93], v[92:93], v[96:97], v[92:93]
	v_mul_f64 v[96:97], v[94:95], v[92:93]
	v_fma_f64 v[86:87], -v[86:87], v[96:97], v[94:95]
	v_div_fmas_f64 v[86:87], v[86:87], v[92:93], v[96:97]
	v_div_fixup_f64 v[86:87], v[86:87], v[119:120], v[117:118]
	v_fma_f64 v[92:93], v[117:118], v[86:87], v[119:120]
	v_div_scale_f64 v[94:95], s[20:21], v[92:93], v[92:93], 1.0
	v_div_scale_f64 v[100:101], vcc, 1.0, v[92:93], 1.0
	v_rcp_f64_e32 v[96:97], v[94:95]
	v_fma_f64 v[98:99], -v[94:95], v[96:97], 1.0
	v_fma_f64 v[96:97], v[96:97], v[98:99], v[96:97]
	v_fma_f64 v[98:99], -v[94:95], v[96:97], 1.0
	v_fma_f64 v[96:97], v[96:97], v[98:99], v[96:97]
	v_mul_f64 v[98:99], v[100:101], v[96:97]
	v_fma_f64 v[94:95], -v[94:95], v[98:99], v[100:101]
	v_div_fmas_f64 v[94:95], v[94:95], v[96:97], v[98:99]
	v_div_fixup_f64 v[119:120], v[94:95], v[92:93], 1.0
	v_mul_f64 v[117:118], v[86:87], v[119:120]
	v_xor_b32_e32 v120, 0x80000000, v120
.LBB118_49:
	s_andn2_saveexec_b64 s[18:19], s[18:19]
	s_cbranch_execz .LBB118_51
; %bb.50:
	v_div_scale_f64 v[86:87], s[20:21], v[117:118], v[117:118], v[119:120]
	v_rcp_f64_e32 v[92:93], v[86:87]
	v_fma_f64 v[94:95], -v[86:87], v[92:93], 1.0
	v_fma_f64 v[92:93], v[92:93], v[94:95], v[92:93]
	v_div_scale_f64 v[94:95], vcc, v[119:120], v[117:118], v[119:120]
	v_fma_f64 v[96:97], -v[86:87], v[92:93], 1.0
	v_fma_f64 v[92:93], v[92:93], v[96:97], v[92:93]
	v_mul_f64 v[96:97], v[94:95], v[92:93]
	v_fma_f64 v[86:87], -v[86:87], v[96:97], v[94:95]
	v_div_fmas_f64 v[86:87], v[86:87], v[92:93], v[96:97]
	v_div_fixup_f64 v[86:87], v[86:87], v[117:118], v[119:120]
	v_fma_f64 v[92:93], v[119:120], v[86:87], v[117:118]
	v_div_scale_f64 v[94:95], s[20:21], v[92:93], v[92:93], 1.0
	v_div_scale_f64 v[100:101], vcc, 1.0, v[92:93], 1.0
	v_rcp_f64_e32 v[96:97], v[94:95]
	v_fma_f64 v[98:99], -v[94:95], v[96:97], 1.0
	v_fma_f64 v[96:97], v[96:97], v[98:99], v[96:97]
	v_fma_f64 v[98:99], -v[94:95], v[96:97], 1.0
	v_fma_f64 v[96:97], v[96:97], v[98:99], v[96:97]
	v_mul_f64 v[98:99], v[100:101], v[96:97]
	v_fma_f64 v[94:95], -v[94:95], v[98:99], v[100:101]
	v_div_fmas_f64 v[94:95], v[94:95], v[96:97], v[98:99]
	v_div_fixup_f64 v[117:118], v[94:95], v[92:93], 1.0
	v_mul_f64 v[119:120], v[86:87], -v[117:118]
.LBB118_51:
	s_or_b64 exec, exec, s[18:19]
.LBB118_52:
	s_or_b64 exec, exec, s[0:1]
	v_cmp_ne_u32_e32 vcc, v89, v85
	s_and_saveexec_b64 s[0:1], vcc
	s_xor_b64 s[0:1], exec, s[0:1]
	s_cbranch_execz .LBB118_58
; %bb.53:
	v_cmp_eq_u32_e32 vcc, 2, v89
	s_and_saveexec_b64 s[18:19], vcc
	s_cbranch_execz .LBB118_57
; %bb.54:
	v_cmp_ne_u32_e32 vcc, 2, v85
	s_xor_b64 s[20:21], s[6:7], -1
	s_and_b64 s[22:23], s[20:21], vcc
	s_and_saveexec_b64 s[20:21], s[22:23]
	s_cbranch_execz .LBB118_56
; %bb.55:
	v_ashrrev_i32_e32 v86, 31, v85
	v_lshlrev_b64 v[86:87], 2, v[85:86]
	v_add_co_u32_e32 v86, vcc, v107, v86
	v_addc_co_u32_e32 v87, vcc, v108, v87, vcc
	global_load_dword v88, v[86:87], off
	global_load_dword v89, v[107:108], off offset:8
	s_waitcnt vmcnt(1)
	global_store_dword v[107:108], v88, off offset:8
	s_waitcnt vmcnt(1)
	global_store_dword v[86:87], v89, off
.LBB118_56:
	s_or_b64 exec, exec, s[20:21]
	v_mov_b32_e32 v89, v85
	v_mov_b32_e32 v127, v85
.LBB118_57:
	s_or_b64 exec, exec, s[18:19]
.LBB118_58:
	s_andn2_saveexec_b64 s[0:1], s[0:1]
	s_cbranch_execz .LBB118_60
; %bb.59:
	buffer_load_dword v85, off, s[24:27], 0 offset:512 ; 4-byte Folded Reload
	buffer_load_dword v86, off, s[24:27], 0 offset:516 ; 4-byte Folded Reload
	;; [unrolled: 1-line block ×4, first 2 shown]
	v_mov_b32_e32 v89, 2
	s_waitcnt vmcnt(0)
	ds_write2_b64 v0, v[85:86], v[87:88] offset0:6 offset1:7
	buffer_load_dword v85, off, s[24:27], 0 offset:496 ; 4-byte Folded Reload
	buffer_load_dword v86, off, s[24:27], 0 offset:500 ; 4-byte Folded Reload
	buffer_load_dword v87, off, s[24:27], 0 offset:504 ; 4-byte Folded Reload
	buffer_load_dword v88, off, s[24:27], 0 offset:508 ; 4-byte Folded Reload
	s_waitcnt vmcnt(0)
	ds_write2_b64 v0, v[85:86], v[87:88] offset0:8 offset1:9
	buffer_load_dword v85, off, s[24:27], 0 offset:480 ; 4-byte Folded Reload
	buffer_load_dword v86, off, s[24:27], 0 offset:484 ; 4-byte Folded Reload
	buffer_load_dword v87, off, s[24:27], 0 offset:488 ; 4-byte Folded Reload
	buffer_load_dword v88, off, s[24:27], 0 offset:492 ; 4-byte Folded Reload
	;; [unrolled: 6-line block ×31, first 2 shown]
	s_waitcnt vmcnt(0)
	ds_write2_b64 v0, v[85:86], v[87:88] offset0:68 offset1:69
	buffer_load_dword v85, off, s[24:27], 0 ; 4-byte Folded Reload
	buffer_load_dword v86, off, s[24:27], 0 offset:4 ; 4-byte Folded Reload
	buffer_load_dword v87, off, s[24:27], 0 offset:8 ; 4-byte Folded Reload
	;; [unrolled: 1-line block ×3, first 2 shown]
	s_waitcnt vmcnt(0)
	ds_write2_b64 v0, v[85:86], v[87:88] offset0:70 offset1:71
	ds_write2_b64 v0, v[113:114], v[115:116] offset0:72 offset1:73
	;; [unrolled: 1-line block ×25, first 2 shown]
.LBB118_60:
	s_or_b64 exec, exec, s[0:1]
	v_cmp_lt_i32_e32 vcc, 2, v89
	s_waitcnt vmcnt(0) lgkmcnt(0)
	s_barrier
	s_and_saveexec_b64 s[0:1], vcc
	s_cbranch_execz .LBB118_62
; %bb.61:
	buffer_load_dword v96, off, s[24:27], 0 offset:528 ; 4-byte Folded Reload
	buffer_load_dword v97, off, s[24:27], 0 offset:532 ; 4-byte Folded Reload
	;; [unrolled: 1-line block ×4, first 2 shown]
	s_waitcnt vmcnt(0)
	v_mul_f64 v[85:86], v[119:120], v[98:99]
	v_fma_f64 v[125:126], v[117:118], v[96:97], -v[85:86]
	v_mul_f64 v[85:86], v[117:118], v[98:99]
	v_fma_f64 v[98:99], v[119:120], v[96:97], v[85:86]
	ds_read2_b64 v[85:88], v0 offset0:6 offset1:7
	buffer_load_dword v94, off, s[24:27], 0 offset:512 ; 4-byte Folded Reload
	buffer_load_dword v95, off, s[24:27], 0 offset:516 ; 4-byte Folded Reload
	buffer_load_dword v96, off, s[24:27], 0 offset:520 ; 4-byte Folded Reload
	buffer_load_dword v97, off, s[24:27], 0 offset:524 ; 4-byte Folded Reload
	s_waitcnt lgkmcnt(0)
	v_mul_f64 v[92:93], v[87:88], v[98:99]
	v_fma_f64 v[92:93], v[85:86], v[125:126], -v[92:93]
	v_mul_f64 v[85:86], v[85:86], v[98:99]
	v_fma_f64 v[85:86], v[87:88], v[125:126], v[85:86]
	s_waitcnt vmcnt(2)
	v_add_f64 v[94:95], v[94:95], -v[92:93]
	s_waitcnt vmcnt(0)
	v_add_f64 v[96:97], v[96:97], -v[85:86]
	buffer_store_dword v94, off, s[24:27], 0 offset:512 ; 4-byte Folded Spill
	s_nop 0
	buffer_store_dword v95, off, s[24:27], 0 offset:516 ; 4-byte Folded Spill
	buffer_store_dword v96, off, s[24:27], 0 offset:520 ; 4-byte Folded Spill
	buffer_store_dword v97, off, s[24:27], 0 offset:524 ; 4-byte Folded Spill
	ds_read2_b64 v[85:88], v0 offset0:8 offset1:9
	buffer_load_dword v94, off, s[24:27], 0 offset:496 ; 4-byte Folded Reload
	buffer_load_dword v95, off, s[24:27], 0 offset:500 ; 4-byte Folded Reload
	buffer_load_dword v96, off, s[24:27], 0 offset:504 ; 4-byte Folded Reload
	buffer_load_dword v97, off, s[24:27], 0 offset:508 ; 4-byte Folded Reload
	s_waitcnt lgkmcnt(0)
	v_mul_f64 v[92:93], v[87:88], v[98:99]
	v_fma_f64 v[92:93], v[85:86], v[125:126], -v[92:93]
	v_mul_f64 v[85:86], v[85:86], v[98:99]
	v_fma_f64 v[85:86], v[87:88], v[125:126], v[85:86]
	s_waitcnt vmcnt(2)
	v_add_f64 v[94:95], v[94:95], -v[92:93]
	s_waitcnt vmcnt(0)
	v_add_f64 v[96:97], v[96:97], -v[85:86]
	buffer_store_dword v94, off, s[24:27], 0 offset:496 ; 4-byte Folded Spill
	s_nop 0
	buffer_store_dword v95, off, s[24:27], 0 offset:500 ; 4-byte Folded Spill
	buffer_store_dword v96, off, s[24:27], 0 offset:504 ; 4-byte Folded Spill
	buffer_store_dword v97, off, s[24:27], 0 offset:508 ; 4-byte Folded Spill
	;; [unrolled: 19-line block ×32, first 2 shown]
	ds_read2_b64 v[85:88], v0 offset0:70 offset1:71
	buffer_load_dword v94, off, s[24:27], 0 ; 4-byte Folded Reload
	buffer_load_dword v95, off, s[24:27], 0 offset:4 ; 4-byte Folded Reload
	buffer_load_dword v96, off, s[24:27], 0 offset:8 ; 4-byte Folded Reload
	;; [unrolled: 1-line block ×3, first 2 shown]
	s_waitcnt lgkmcnt(0)
	v_mul_f64 v[92:93], v[87:88], v[98:99]
	v_fma_f64 v[92:93], v[85:86], v[125:126], -v[92:93]
	v_mul_f64 v[85:86], v[85:86], v[98:99]
	v_fma_f64 v[85:86], v[87:88], v[125:126], v[85:86]
	s_waitcnt vmcnt(2)
	v_add_f64 v[94:95], v[94:95], -v[92:93]
	s_waitcnt vmcnt(0)
	v_add_f64 v[96:97], v[96:97], -v[85:86]
	buffer_store_dword v94, off, s[24:27], 0 ; 4-byte Folded Spill
	s_nop 0
	buffer_store_dword v95, off, s[24:27], 0 offset:4 ; 4-byte Folded Spill
	buffer_store_dword v96, off, s[24:27], 0 offset:8 ; 4-byte Folded Spill
	buffer_store_dword v97, off, s[24:27], 0 offset:12 ; 4-byte Folded Spill
	ds_read2_b64 v[85:88], v0 offset0:72 offset1:73
	v_mov_b32_e32 v96, v125
	v_mov_b32_e32 v97, v126
	s_waitcnt lgkmcnt(0)
	v_mul_f64 v[92:93], v[87:88], v[98:99]
	v_fma_f64 v[92:93], v[85:86], v[125:126], -v[92:93]
	v_mul_f64 v[85:86], v[85:86], v[98:99]
	v_add_f64 v[113:114], v[113:114], -v[92:93]
	v_fma_f64 v[85:86], v[87:88], v[125:126], v[85:86]
	v_add_f64 v[115:116], v[115:116], -v[85:86]
	ds_read2_b64 v[85:88], v0 offset0:74 offset1:75
	s_waitcnt lgkmcnt(0)
	v_mul_f64 v[92:93], v[87:88], v[98:99]
	v_fma_f64 v[92:93], v[85:86], v[125:126], -v[92:93]
	v_mul_f64 v[85:86], v[85:86], v[98:99]
	v_add_f64 v[109:110], v[109:110], -v[92:93]
	v_fma_f64 v[85:86], v[87:88], v[125:126], v[85:86]
	v_add_f64 v[111:112], v[111:112], -v[85:86]
	ds_read2_b64 v[85:88], v0 offset0:76 offset1:77
	;; [unrolled: 8-line block ×22, first 2 shown]
	s_waitcnt lgkmcnt(0)
	v_mul_f64 v[92:93], v[87:88], v[98:99]
	v_fma_f64 v[92:93], v[85:86], v[125:126], -v[92:93]
	v_mul_f64 v[85:86], v[85:86], v[98:99]
	v_add_f64 v[1:2], v[1:2], -v[92:93]
	v_fma_f64 v[85:86], v[87:88], v[125:126], v[85:86]
	ds_read2_b64 v[92:95], v0 offset0:118 offset1:119
	s_waitcnt lgkmcnt(0)
	v_mul_f64 v[87:88], v[92:93], v[98:99]
	v_add_f64 v[3:4], v[3:4], -v[85:86]
	v_mul_f64 v[85:86], v[94:95], v[98:99]
	buffer_store_dword v96, off, s[24:27], 0 offset:528 ; 4-byte Folded Spill
	s_nop 0
	buffer_store_dword v97, off, s[24:27], 0 offset:532 ; 4-byte Folded Spill
	buffer_store_dword v98, off, s[24:27], 0 offset:536 ; 4-byte Folded Spill
	;; [unrolled: 1-line block ×3, first 2 shown]
	v_fma_f64 v[87:88], v[94:95], v[125:126], v[87:88]
	v_fma_f64 v[85:86], v[92:93], v[125:126], -v[85:86]
	v_add_f64 v[123:124], v[123:124], -v[87:88]
	v_add_f64 v[121:122], v[121:122], -v[85:86]
.LBB118_62:
	s_or_b64 exec, exec, s[0:1]
	s_waitcnt vmcnt(0)
	s_barrier
	buffer_load_dword v92, off, s[24:27], 0 offset:512 ; 4-byte Folded Reload
	buffer_load_dword v93, off, s[24:27], 0 offset:516 ; 4-byte Folded Reload
	;; [unrolled: 1-line block ×4, first 2 shown]
	v_lshl_add_u32 v85, v89, 4, v0
	s_mov_b32 s0, 4
	s_cmp_lt_i32 s3, 5
	s_waitcnt vmcnt(0)
	ds_write2_b64 v85, v[92:93], v[94:95] offset1:1
	s_waitcnt lgkmcnt(0)
	s_barrier
	ds_read2_b64 v[117:120], v0 offset0:6 offset1:7
	v_mov_b32_e32 v85, 3
	s_cbranch_scc1 .LBB118_65
; %bb.63:
	v_add3_u32 v86, v91, 0, 64
	v_mov_b32_e32 v85, 3
.LBB118_64:                             ; =>This Inner Loop Header: Depth=1
	s_waitcnt lgkmcnt(0)
	v_cmp_gt_f64_e32 vcc, 0, v[117:118]
	v_xor_b32_e32 v87, 0x80000000, v118
	ds_read2_b64 v[91:94], v86 offset1:1
	v_xor_b32_e32 v95, 0x80000000, v120
	v_add_u32_e32 v86, 16, v86
	s_waitcnt lgkmcnt(0)
	v_xor_b32_e32 v97, 0x80000000, v94
	v_cndmask_b32_e32 v88, v118, v87, vcc
	v_cmp_gt_f64_e32 vcc, 0, v[119:120]
	v_mov_b32_e32 v87, v117
	v_cndmask_b32_e32 v96, v120, v95, vcc
	v_cmp_gt_f64_e32 vcc, 0, v[91:92]
	v_mov_b32_e32 v95, v119
	v_add_f64 v[87:88], v[87:88], v[95:96]
	v_xor_b32_e32 v95, 0x80000000, v92
	v_cndmask_b32_e32 v96, v92, v95, vcc
	v_cmp_gt_f64_e32 vcc, 0, v[93:94]
	v_mov_b32_e32 v95, v91
	v_cndmask_b32_e32 v98, v94, v97, vcc
	v_mov_b32_e32 v97, v93
	v_add_f64 v[95:96], v[95:96], v[97:98]
	v_cmp_lt_f64_e32 vcc, v[87:88], v[95:96]
	v_mov_b32_e32 v87, s0
	s_add_i32 s0, s0, 1
	s_cmp_lg_u32 s3, s0
	v_cndmask_b32_e32 v118, v118, v92, vcc
	v_cndmask_b32_e32 v117, v117, v91, vcc
	v_cndmask_b32_e32 v120, v120, v94, vcc
	v_cndmask_b32_e32 v119, v119, v93, vcc
	v_cndmask_b32_e32 v85, v85, v87, vcc
	s_cbranch_scc1 .LBB118_64
.LBB118_65:
	s_waitcnt lgkmcnt(0)
	v_cmp_eq_f64_e32 vcc, 0, v[117:118]
	v_cmp_eq_f64_e64 s[0:1], 0, v[119:120]
	s_and_b64 s[0:1], vcc, s[0:1]
	s_and_saveexec_b64 s[18:19], s[0:1]
	s_xor_b64 s[0:1], exec, s[18:19]
; %bb.66:
	v_cmp_ne_u32_e32 vcc, 0, v90
	v_cndmask_b32_e32 v90, 4, v90, vcc
; %bb.67:
	s_andn2_saveexec_b64 s[0:1], s[0:1]
	s_cbranch_execz .LBB118_73
; %bb.68:
	v_cmp_ngt_f64_e64 s[18:19], |v[117:118]|, |v[119:120]|
	s_and_saveexec_b64 s[20:21], s[18:19]
	s_xor_b64 s[18:19], exec, s[20:21]
	s_cbranch_execz .LBB118_70
; %bb.69:
	v_div_scale_f64 v[86:87], s[20:21], v[119:120], v[119:120], v[117:118]
	v_rcp_f64_e32 v[91:92], v[86:87]
	v_fma_f64 v[93:94], -v[86:87], v[91:92], 1.0
	v_fma_f64 v[91:92], v[91:92], v[93:94], v[91:92]
	v_div_scale_f64 v[93:94], vcc, v[117:118], v[119:120], v[117:118]
	v_fma_f64 v[95:96], -v[86:87], v[91:92], 1.0
	v_fma_f64 v[91:92], v[91:92], v[95:96], v[91:92]
	v_mul_f64 v[95:96], v[93:94], v[91:92]
	v_fma_f64 v[86:87], -v[86:87], v[95:96], v[93:94]
	v_div_fmas_f64 v[86:87], v[86:87], v[91:92], v[95:96]
	v_div_fixup_f64 v[86:87], v[86:87], v[119:120], v[117:118]
	v_fma_f64 v[91:92], v[117:118], v[86:87], v[119:120]
	v_div_scale_f64 v[93:94], s[20:21], v[91:92], v[91:92], 1.0
	v_div_scale_f64 v[99:100], vcc, 1.0, v[91:92], 1.0
	v_rcp_f64_e32 v[95:96], v[93:94]
	v_fma_f64 v[97:98], -v[93:94], v[95:96], 1.0
	v_fma_f64 v[95:96], v[95:96], v[97:98], v[95:96]
	v_fma_f64 v[97:98], -v[93:94], v[95:96], 1.0
	v_fma_f64 v[95:96], v[95:96], v[97:98], v[95:96]
	v_mul_f64 v[97:98], v[99:100], v[95:96]
	v_fma_f64 v[93:94], -v[93:94], v[97:98], v[99:100]
	v_div_fmas_f64 v[93:94], v[93:94], v[95:96], v[97:98]
	v_div_fixup_f64 v[119:120], v[93:94], v[91:92], 1.0
	v_mul_f64 v[117:118], v[86:87], v[119:120]
	v_xor_b32_e32 v120, 0x80000000, v120
.LBB118_70:
	s_andn2_saveexec_b64 s[18:19], s[18:19]
	s_cbranch_execz .LBB118_72
; %bb.71:
	v_div_scale_f64 v[86:87], s[20:21], v[117:118], v[117:118], v[119:120]
	v_rcp_f64_e32 v[91:92], v[86:87]
	v_fma_f64 v[93:94], -v[86:87], v[91:92], 1.0
	v_fma_f64 v[91:92], v[91:92], v[93:94], v[91:92]
	v_div_scale_f64 v[93:94], vcc, v[119:120], v[117:118], v[119:120]
	v_fma_f64 v[95:96], -v[86:87], v[91:92], 1.0
	v_fma_f64 v[91:92], v[91:92], v[95:96], v[91:92]
	v_mul_f64 v[95:96], v[93:94], v[91:92]
	v_fma_f64 v[86:87], -v[86:87], v[95:96], v[93:94]
	v_div_fmas_f64 v[86:87], v[86:87], v[91:92], v[95:96]
	v_div_fixup_f64 v[86:87], v[86:87], v[117:118], v[119:120]
	v_fma_f64 v[91:92], v[119:120], v[86:87], v[117:118]
	v_div_scale_f64 v[93:94], s[20:21], v[91:92], v[91:92], 1.0
	v_div_scale_f64 v[99:100], vcc, 1.0, v[91:92], 1.0
	v_rcp_f64_e32 v[95:96], v[93:94]
	v_fma_f64 v[97:98], -v[93:94], v[95:96], 1.0
	v_fma_f64 v[95:96], v[95:96], v[97:98], v[95:96]
	v_fma_f64 v[97:98], -v[93:94], v[95:96], 1.0
	v_fma_f64 v[95:96], v[95:96], v[97:98], v[95:96]
	v_mul_f64 v[97:98], v[99:100], v[95:96]
	v_fma_f64 v[93:94], -v[93:94], v[97:98], v[99:100]
	v_div_fmas_f64 v[93:94], v[93:94], v[95:96], v[97:98]
	v_div_fixup_f64 v[117:118], v[93:94], v[91:92], 1.0
	v_mul_f64 v[119:120], v[86:87], -v[117:118]
.LBB118_72:
	s_or_b64 exec, exec, s[18:19]
.LBB118_73:
	s_or_b64 exec, exec, s[0:1]
	v_cmp_ne_u32_e32 vcc, v89, v85
	s_and_saveexec_b64 s[0:1], vcc
	s_xor_b64 s[0:1], exec, s[0:1]
	s_cbranch_execz .LBB118_79
; %bb.74:
	v_cmp_eq_u32_e32 vcc, 3, v89
	s_and_saveexec_b64 s[18:19], vcc
	s_cbranch_execz .LBB118_78
; %bb.75:
	v_cmp_ne_u32_e32 vcc, 3, v85
	s_xor_b64 s[20:21], s[6:7], -1
	s_and_b64 s[22:23], s[20:21], vcc
	s_and_saveexec_b64 s[20:21], s[22:23]
	s_cbranch_execz .LBB118_77
; %bb.76:
	v_ashrrev_i32_e32 v86, 31, v85
	v_lshlrev_b64 v[86:87], 2, v[85:86]
	v_add_co_u32_e32 v86, vcc, v107, v86
	v_addc_co_u32_e32 v87, vcc, v108, v87, vcc
	global_load_dword v88, v[86:87], off
	global_load_dword v89, v[107:108], off offset:12
	s_waitcnt vmcnt(1)
	global_store_dword v[107:108], v88, off offset:12
	s_waitcnt vmcnt(1)
	global_store_dword v[86:87], v89, off
.LBB118_77:
	s_or_b64 exec, exec, s[20:21]
	v_mov_b32_e32 v89, v85
	v_mov_b32_e32 v127, v85
.LBB118_78:
	s_or_b64 exec, exec, s[18:19]
.LBB118_79:
	s_andn2_saveexec_b64 s[0:1], s[0:1]
	s_cbranch_execz .LBB118_81
; %bb.80:
	buffer_load_dword v85, off, s[24:27], 0 offset:496 ; 4-byte Folded Reload
	buffer_load_dword v86, off, s[24:27], 0 offset:500 ; 4-byte Folded Reload
	;; [unrolled: 1-line block ×4, first 2 shown]
	v_mov_b32_e32 v89, 3
	s_waitcnt vmcnt(0)
	ds_write2_b64 v0, v[85:86], v[87:88] offset0:8 offset1:9
	buffer_load_dword v85, off, s[24:27], 0 offset:480 ; 4-byte Folded Reload
	buffer_load_dword v86, off, s[24:27], 0 offset:484 ; 4-byte Folded Reload
	buffer_load_dword v87, off, s[24:27], 0 offset:488 ; 4-byte Folded Reload
	buffer_load_dword v88, off, s[24:27], 0 offset:492 ; 4-byte Folded Reload
	s_waitcnt vmcnt(0)
	ds_write2_b64 v0, v[85:86], v[87:88] offset0:10 offset1:11
	buffer_load_dword v85, off, s[24:27], 0 offset:464 ; 4-byte Folded Reload
	buffer_load_dword v86, off, s[24:27], 0 offset:468 ; 4-byte Folded Reload
	buffer_load_dword v87, off, s[24:27], 0 offset:472 ; 4-byte Folded Reload
	buffer_load_dword v88, off, s[24:27], 0 offset:476 ; 4-byte Folded Reload
	;; [unrolled: 6-line block ×30, first 2 shown]
	s_waitcnt vmcnt(0)
	ds_write2_b64 v0, v[85:86], v[87:88] offset0:68 offset1:69
	buffer_load_dword v85, off, s[24:27], 0 ; 4-byte Folded Reload
	buffer_load_dword v86, off, s[24:27], 0 offset:4 ; 4-byte Folded Reload
	buffer_load_dword v87, off, s[24:27], 0 offset:8 ; 4-byte Folded Reload
	;; [unrolled: 1-line block ×3, first 2 shown]
	s_waitcnt vmcnt(0)
	ds_write2_b64 v0, v[85:86], v[87:88] offset0:70 offset1:71
	ds_write2_b64 v0, v[113:114], v[115:116] offset0:72 offset1:73
	;; [unrolled: 1-line block ×25, first 2 shown]
.LBB118_81:
	s_or_b64 exec, exec, s[0:1]
	v_cmp_lt_i32_e32 vcc, 3, v89
	s_waitcnt vmcnt(0) lgkmcnt(0)
	s_barrier
	s_and_saveexec_b64 s[0:1], vcc
	s_cbranch_execz .LBB118_83
; %bb.82:
	buffer_load_dword v95, off, s[24:27], 0 offset:512 ; 4-byte Folded Reload
	buffer_load_dword v96, off, s[24:27], 0 offset:516 ; 4-byte Folded Reload
	;; [unrolled: 1-line block ×4, first 2 shown]
	s_waitcnt vmcnt(0)
	v_mul_f64 v[85:86], v[119:120], v[97:98]
	v_fma_f64 v[125:126], v[117:118], v[95:96], -v[85:86]
	v_mul_f64 v[85:86], v[117:118], v[97:98]
	v_fma_f64 v[97:98], v[119:120], v[95:96], v[85:86]
	ds_read2_b64 v[85:88], v0 offset0:8 offset1:9
	buffer_load_dword v93, off, s[24:27], 0 offset:496 ; 4-byte Folded Reload
	buffer_load_dword v94, off, s[24:27], 0 offset:500 ; 4-byte Folded Reload
	buffer_load_dword v95, off, s[24:27], 0 offset:504 ; 4-byte Folded Reload
	buffer_load_dword v96, off, s[24:27], 0 offset:508 ; 4-byte Folded Reload
	s_waitcnt lgkmcnt(0)
	v_mul_f64 v[91:92], v[87:88], v[97:98]
	v_fma_f64 v[91:92], v[85:86], v[125:126], -v[91:92]
	v_mul_f64 v[85:86], v[85:86], v[97:98]
	v_fma_f64 v[85:86], v[87:88], v[125:126], v[85:86]
	s_waitcnt vmcnt(2)
	v_add_f64 v[93:94], v[93:94], -v[91:92]
	s_waitcnt vmcnt(0)
	v_add_f64 v[95:96], v[95:96], -v[85:86]
	buffer_store_dword v93, off, s[24:27], 0 offset:496 ; 4-byte Folded Spill
	s_nop 0
	buffer_store_dword v94, off, s[24:27], 0 offset:500 ; 4-byte Folded Spill
	buffer_store_dword v95, off, s[24:27], 0 offset:504 ; 4-byte Folded Spill
	buffer_store_dword v96, off, s[24:27], 0 offset:508 ; 4-byte Folded Spill
	ds_read2_b64 v[85:88], v0 offset0:10 offset1:11
	buffer_load_dword v93, off, s[24:27], 0 offset:480 ; 4-byte Folded Reload
	buffer_load_dword v94, off, s[24:27], 0 offset:484 ; 4-byte Folded Reload
	buffer_load_dword v95, off, s[24:27], 0 offset:488 ; 4-byte Folded Reload
	buffer_load_dword v96, off, s[24:27], 0 offset:492 ; 4-byte Folded Reload
	s_waitcnt lgkmcnt(0)
	v_mul_f64 v[91:92], v[87:88], v[97:98]
	v_fma_f64 v[91:92], v[85:86], v[125:126], -v[91:92]
	v_mul_f64 v[85:86], v[85:86], v[97:98]
	v_fma_f64 v[85:86], v[87:88], v[125:126], v[85:86]
	s_waitcnt vmcnt(2)
	v_add_f64 v[93:94], v[93:94], -v[91:92]
	s_waitcnt vmcnt(0)
	v_add_f64 v[95:96], v[95:96], -v[85:86]
	buffer_store_dword v93, off, s[24:27], 0 offset:480 ; 4-byte Folded Spill
	s_nop 0
	buffer_store_dword v94, off, s[24:27], 0 offset:484 ; 4-byte Folded Spill
	buffer_store_dword v95, off, s[24:27], 0 offset:488 ; 4-byte Folded Spill
	buffer_store_dword v96, off, s[24:27], 0 offset:492 ; 4-byte Folded Spill
	;; [unrolled: 19-line block ×31, first 2 shown]
	ds_read2_b64 v[85:88], v0 offset0:70 offset1:71
	buffer_load_dword v93, off, s[24:27], 0 ; 4-byte Folded Reload
	buffer_load_dword v94, off, s[24:27], 0 offset:4 ; 4-byte Folded Reload
	buffer_load_dword v95, off, s[24:27], 0 offset:8 ; 4-byte Folded Reload
	;; [unrolled: 1-line block ×3, first 2 shown]
	s_waitcnt lgkmcnt(0)
	v_mul_f64 v[91:92], v[87:88], v[97:98]
	v_fma_f64 v[91:92], v[85:86], v[125:126], -v[91:92]
	v_mul_f64 v[85:86], v[85:86], v[97:98]
	v_fma_f64 v[85:86], v[87:88], v[125:126], v[85:86]
	s_waitcnt vmcnt(2)
	v_add_f64 v[93:94], v[93:94], -v[91:92]
	s_waitcnt vmcnt(0)
	v_add_f64 v[95:96], v[95:96], -v[85:86]
	buffer_store_dword v93, off, s[24:27], 0 ; 4-byte Folded Spill
	s_nop 0
	buffer_store_dword v94, off, s[24:27], 0 offset:4 ; 4-byte Folded Spill
	buffer_store_dword v95, off, s[24:27], 0 offset:8 ; 4-byte Folded Spill
	;; [unrolled: 1-line block ×3, first 2 shown]
	ds_read2_b64 v[85:88], v0 offset0:72 offset1:73
	v_mov_b32_e32 v95, v125
	v_mov_b32_e32 v96, v126
	s_waitcnt lgkmcnt(0)
	v_mul_f64 v[91:92], v[87:88], v[97:98]
	v_fma_f64 v[91:92], v[85:86], v[125:126], -v[91:92]
	v_mul_f64 v[85:86], v[85:86], v[97:98]
	v_add_f64 v[113:114], v[113:114], -v[91:92]
	v_fma_f64 v[85:86], v[87:88], v[125:126], v[85:86]
	v_add_f64 v[115:116], v[115:116], -v[85:86]
	ds_read2_b64 v[85:88], v0 offset0:74 offset1:75
	s_waitcnt lgkmcnt(0)
	v_mul_f64 v[91:92], v[87:88], v[97:98]
	v_fma_f64 v[91:92], v[85:86], v[125:126], -v[91:92]
	v_mul_f64 v[85:86], v[85:86], v[97:98]
	v_add_f64 v[109:110], v[109:110], -v[91:92]
	v_fma_f64 v[85:86], v[87:88], v[125:126], v[85:86]
	v_add_f64 v[111:112], v[111:112], -v[85:86]
	ds_read2_b64 v[85:88], v0 offset0:76 offset1:77
	;; [unrolled: 8-line block ×22, first 2 shown]
	s_waitcnt lgkmcnt(0)
	v_mul_f64 v[91:92], v[87:88], v[97:98]
	v_fma_f64 v[91:92], v[85:86], v[125:126], -v[91:92]
	v_mul_f64 v[85:86], v[85:86], v[97:98]
	v_add_f64 v[1:2], v[1:2], -v[91:92]
	v_fma_f64 v[85:86], v[87:88], v[125:126], v[85:86]
	ds_read2_b64 v[91:94], v0 offset0:118 offset1:119
	s_waitcnt lgkmcnt(0)
	v_mul_f64 v[87:88], v[91:92], v[97:98]
	v_add_f64 v[3:4], v[3:4], -v[85:86]
	v_mul_f64 v[85:86], v[93:94], v[97:98]
	buffer_store_dword v95, off, s[24:27], 0 offset:512 ; 4-byte Folded Spill
	s_nop 0
	buffer_store_dword v96, off, s[24:27], 0 offset:516 ; 4-byte Folded Spill
	buffer_store_dword v97, off, s[24:27], 0 offset:520 ; 4-byte Folded Spill
	;; [unrolled: 1-line block ×3, first 2 shown]
	v_fma_f64 v[87:88], v[93:94], v[125:126], v[87:88]
	v_fma_f64 v[85:86], v[91:92], v[125:126], -v[85:86]
	v_add_f64 v[123:124], v[123:124], -v[87:88]
	v_add_f64 v[121:122], v[121:122], -v[85:86]
.LBB118_83:
	s_or_b64 exec, exec, s[0:1]
	s_waitcnt vmcnt(0)
	s_barrier
	buffer_load_dword v91, off, s[24:27], 0 offset:496 ; 4-byte Folded Reload
	buffer_load_dword v92, off, s[24:27], 0 offset:500 ; 4-byte Folded Reload
	;; [unrolled: 1-line block ×4, first 2 shown]
	v_lshl_add_u32 v85, v89, 4, v0
	s_cmp_lt_i32 s3, 6
	s_waitcnt vmcnt(0)
	ds_write2_b64 v85, v[91:92], v[93:94] offset1:1
	s_waitcnt lgkmcnt(0)
	s_barrier
	ds_read2_b64 v[117:120], v0 offset0:8 offset1:9
	v_mov_b32_e32 v85, 4
	s_cbranch_scc1 .LBB118_86
; %bb.84:
	v_mov_b32_e32 v85, 4
	v_add_u32_e32 v86, 0x50, v0
	s_mov_b32 s0, 5
.LBB118_85:                             ; =>This Inner Loop Header: Depth=1
	s_waitcnt lgkmcnt(0)
	v_cmp_gt_f64_e32 vcc, 0, v[117:118]
	v_xor_b32_e32 v87, 0x80000000, v118
	ds_read2_b64 v[91:94], v86 offset1:1
	v_xor_b32_e32 v95, 0x80000000, v120
	v_add_u32_e32 v86, 16, v86
	s_waitcnt lgkmcnt(0)
	v_xor_b32_e32 v97, 0x80000000, v94
	v_cndmask_b32_e32 v88, v118, v87, vcc
	v_cmp_gt_f64_e32 vcc, 0, v[119:120]
	v_mov_b32_e32 v87, v117
	v_cndmask_b32_e32 v96, v120, v95, vcc
	v_cmp_gt_f64_e32 vcc, 0, v[91:92]
	v_mov_b32_e32 v95, v119
	v_add_f64 v[87:88], v[87:88], v[95:96]
	v_xor_b32_e32 v95, 0x80000000, v92
	v_cndmask_b32_e32 v96, v92, v95, vcc
	v_cmp_gt_f64_e32 vcc, 0, v[93:94]
	v_mov_b32_e32 v95, v91
	v_cndmask_b32_e32 v98, v94, v97, vcc
	v_mov_b32_e32 v97, v93
	v_add_f64 v[95:96], v[95:96], v[97:98]
	v_cmp_lt_f64_e32 vcc, v[87:88], v[95:96]
	v_mov_b32_e32 v87, s0
	s_add_i32 s0, s0, 1
	s_cmp_lg_u32 s3, s0
	v_cndmask_b32_e32 v118, v118, v92, vcc
	v_cndmask_b32_e32 v117, v117, v91, vcc
	;; [unrolled: 1-line block ×5, first 2 shown]
	s_cbranch_scc1 .LBB118_85
.LBB118_86:
	s_waitcnt lgkmcnt(0)
	v_cmp_eq_f64_e32 vcc, 0, v[117:118]
	v_cmp_eq_f64_e64 s[0:1], 0, v[119:120]
	s_and_b64 s[0:1], vcc, s[0:1]
	s_and_saveexec_b64 s[18:19], s[0:1]
	s_xor_b64 s[0:1], exec, s[18:19]
; %bb.87:
	v_cmp_ne_u32_e32 vcc, 0, v90
	v_cndmask_b32_e32 v90, 5, v90, vcc
; %bb.88:
	s_andn2_saveexec_b64 s[0:1], s[0:1]
	s_cbranch_execz .LBB118_94
; %bb.89:
	v_cmp_ngt_f64_e64 s[18:19], |v[117:118]|, |v[119:120]|
	s_and_saveexec_b64 s[20:21], s[18:19]
	s_xor_b64 s[18:19], exec, s[20:21]
	s_cbranch_execz .LBB118_91
; %bb.90:
	v_div_scale_f64 v[86:87], s[20:21], v[119:120], v[119:120], v[117:118]
	v_rcp_f64_e32 v[91:92], v[86:87]
	v_fma_f64 v[93:94], -v[86:87], v[91:92], 1.0
	v_fma_f64 v[91:92], v[91:92], v[93:94], v[91:92]
	v_div_scale_f64 v[93:94], vcc, v[117:118], v[119:120], v[117:118]
	v_fma_f64 v[95:96], -v[86:87], v[91:92], 1.0
	v_fma_f64 v[91:92], v[91:92], v[95:96], v[91:92]
	v_mul_f64 v[95:96], v[93:94], v[91:92]
	v_fma_f64 v[86:87], -v[86:87], v[95:96], v[93:94]
	v_div_fmas_f64 v[86:87], v[86:87], v[91:92], v[95:96]
	v_div_fixup_f64 v[86:87], v[86:87], v[119:120], v[117:118]
	v_fma_f64 v[91:92], v[117:118], v[86:87], v[119:120]
	v_div_scale_f64 v[93:94], s[20:21], v[91:92], v[91:92], 1.0
	v_div_scale_f64 v[99:100], vcc, 1.0, v[91:92], 1.0
	v_rcp_f64_e32 v[95:96], v[93:94]
	v_fma_f64 v[97:98], -v[93:94], v[95:96], 1.0
	v_fma_f64 v[95:96], v[95:96], v[97:98], v[95:96]
	v_fma_f64 v[97:98], -v[93:94], v[95:96], 1.0
	v_fma_f64 v[95:96], v[95:96], v[97:98], v[95:96]
	v_mul_f64 v[97:98], v[99:100], v[95:96]
	v_fma_f64 v[93:94], -v[93:94], v[97:98], v[99:100]
	v_div_fmas_f64 v[93:94], v[93:94], v[95:96], v[97:98]
	v_div_fixup_f64 v[119:120], v[93:94], v[91:92], 1.0
	v_mul_f64 v[117:118], v[86:87], v[119:120]
	v_xor_b32_e32 v120, 0x80000000, v120
.LBB118_91:
	s_andn2_saveexec_b64 s[18:19], s[18:19]
	s_cbranch_execz .LBB118_93
; %bb.92:
	v_div_scale_f64 v[86:87], s[20:21], v[117:118], v[117:118], v[119:120]
	v_rcp_f64_e32 v[91:92], v[86:87]
	v_fma_f64 v[93:94], -v[86:87], v[91:92], 1.0
	v_fma_f64 v[91:92], v[91:92], v[93:94], v[91:92]
	v_div_scale_f64 v[93:94], vcc, v[119:120], v[117:118], v[119:120]
	v_fma_f64 v[95:96], -v[86:87], v[91:92], 1.0
	v_fma_f64 v[91:92], v[91:92], v[95:96], v[91:92]
	v_mul_f64 v[95:96], v[93:94], v[91:92]
	v_fma_f64 v[86:87], -v[86:87], v[95:96], v[93:94]
	v_div_fmas_f64 v[86:87], v[86:87], v[91:92], v[95:96]
	v_div_fixup_f64 v[86:87], v[86:87], v[117:118], v[119:120]
	v_fma_f64 v[91:92], v[119:120], v[86:87], v[117:118]
	v_div_scale_f64 v[93:94], s[20:21], v[91:92], v[91:92], 1.0
	v_div_scale_f64 v[99:100], vcc, 1.0, v[91:92], 1.0
	v_rcp_f64_e32 v[95:96], v[93:94]
	v_fma_f64 v[97:98], -v[93:94], v[95:96], 1.0
	v_fma_f64 v[95:96], v[95:96], v[97:98], v[95:96]
	v_fma_f64 v[97:98], -v[93:94], v[95:96], 1.0
	v_fma_f64 v[95:96], v[95:96], v[97:98], v[95:96]
	v_mul_f64 v[97:98], v[99:100], v[95:96]
	v_fma_f64 v[93:94], -v[93:94], v[97:98], v[99:100]
	v_div_fmas_f64 v[93:94], v[93:94], v[95:96], v[97:98]
	v_div_fixup_f64 v[117:118], v[93:94], v[91:92], 1.0
	v_mul_f64 v[119:120], v[86:87], -v[117:118]
.LBB118_93:
	s_or_b64 exec, exec, s[18:19]
.LBB118_94:
	s_or_b64 exec, exec, s[0:1]
	v_cmp_ne_u32_e32 vcc, v89, v85
	s_and_saveexec_b64 s[0:1], vcc
	s_xor_b64 s[0:1], exec, s[0:1]
	s_cbranch_execz .LBB118_100
; %bb.95:
	v_cmp_eq_u32_e32 vcc, 4, v89
	s_and_saveexec_b64 s[18:19], vcc
	s_cbranch_execz .LBB118_99
; %bb.96:
	v_cmp_ne_u32_e32 vcc, 4, v85
	s_xor_b64 s[20:21], s[6:7], -1
	s_and_b64 s[22:23], s[20:21], vcc
	s_and_saveexec_b64 s[20:21], s[22:23]
	s_cbranch_execz .LBB118_98
; %bb.97:
	v_ashrrev_i32_e32 v86, 31, v85
	v_lshlrev_b64 v[86:87], 2, v[85:86]
	v_add_co_u32_e32 v86, vcc, v107, v86
	v_addc_co_u32_e32 v87, vcc, v108, v87, vcc
	global_load_dword v88, v[86:87], off
	global_load_dword v89, v[107:108], off offset:16
	s_waitcnt vmcnt(1)
	global_store_dword v[107:108], v88, off offset:16
	s_waitcnt vmcnt(1)
	global_store_dword v[86:87], v89, off
.LBB118_98:
	s_or_b64 exec, exec, s[20:21]
	v_mov_b32_e32 v89, v85
	v_mov_b32_e32 v127, v85
.LBB118_99:
	s_or_b64 exec, exec, s[18:19]
.LBB118_100:
	s_andn2_saveexec_b64 s[0:1], s[0:1]
	s_cbranch_execz .LBB118_102
; %bb.101:
	buffer_load_dword v85, off, s[24:27], 0 offset:480 ; 4-byte Folded Reload
	buffer_load_dword v86, off, s[24:27], 0 offset:484 ; 4-byte Folded Reload
	;; [unrolled: 1-line block ×4, first 2 shown]
	v_mov_b32_e32 v89, 4
	s_waitcnt vmcnt(0)
	ds_write2_b64 v0, v[85:86], v[87:88] offset0:10 offset1:11
	buffer_load_dword v85, off, s[24:27], 0 offset:464 ; 4-byte Folded Reload
	buffer_load_dword v86, off, s[24:27], 0 offset:468 ; 4-byte Folded Reload
	buffer_load_dword v87, off, s[24:27], 0 offset:472 ; 4-byte Folded Reload
	buffer_load_dword v88, off, s[24:27], 0 offset:476 ; 4-byte Folded Reload
	s_waitcnt vmcnt(0)
	ds_write2_b64 v0, v[85:86], v[87:88] offset0:12 offset1:13
	buffer_load_dword v85, off, s[24:27], 0 offset:448 ; 4-byte Folded Reload
	buffer_load_dword v86, off, s[24:27], 0 offset:452 ; 4-byte Folded Reload
	buffer_load_dword v87, off, s[24:27], 0 offset:456 ; 4-byte Folded Reload
	buffer_load_dword v88, off, s[24:27], 0 offset:460 ; 4-byte Folded Reload
	;; [unrolled: 6-line block ×29, first 2 shown]
	s_waitcnt vmcnt(0)
	ds_write2_b64 v0, v[85:86], v[87:88] offset0:68 offset1:69
	buffer_load_dword v85, off, s[24:27], 0 ; 4-byte Folded Reload
	buffer_load_dword v86, off, s[24:27], 0 offset:4 ; 4-byte Folded Reload
	buffer_load_dword v87, off, s[24:27], 0 offset:8 ; 4-byte Folded Reload
	;; [unrolled: 1-line block ×3, first 2 shown]
	s_waitcnt vmcnt(0)
	ds_write2_b64 v0, v[85:86], v[87:88] offset0:70 offset1:71
	ds_write2_b64 v0, v[113:114], v[115:116] offset0:72 offset1:73
	;; [unrolled: 1-line block ×25, first 2 shown]
.LBB118_102:
	s_or_b64 exec, exec, s[0:1]
	v_cmp_lt_i32_e32 vcc, 4, v89
	s_waitcnt vmcnt(0) lgkmcnt(0)
	s_barrier
	s_and_saveexec_b64 s[0:1], vcc
	s_cbranch_execz .LBB118_104
; %bb.103:
	buffer_load_dword v95, off, s[24:27], 0 offset:496 ; 4-byte Folded Reload
	buffer_load_dword v96, off, s[24:27], 0 offset:500 ; 4-byte Folded Reload
	;; [unrolled: 1-line block ×4, first 2 shown]
	s_waitcnt vmcnt(0)
	v_mul_f64 v[85:86], v[119:120], v[97:98]
	v_fma_f64 v[125:126], v[117:118], v[95:96], -v[85:86]
	v_mul_f64 v[85:86], v[117:118], v[97:98]
	v_fma_f64 v[97:98], v[119:120], v[95:96], v[85:86]
	ds_read2_b64 v[85:88], v0 offset0:10 offset1:11
	buffer_load_dword v93, off, s[24:27], 0 offset:480 ; 4-byte Folded Reload
	buffer_load_dword v94, off, s[24:27], 0 offset:484 ; 4-byte Folded Reload
	buffer_load_dword v95, off, s[24:27], 0 offset:488 ; 4-byte Folded Reload
	buffer_load_dword v96, off, s[24:27], 0 offset:492 ; 4-byte Folded Reload
	s_waitcnt lgkmcnt(0)
	v_mul_f64 v[91:92], v[87:88], v[97:98]
	v_fma_f64 v[91:92], v[85:86], v[125:126], -v[91:92]
	v_mul_f64 v[85:86], v[85:86], v[97:98]
	v_fma_f64 v[85:86], v[87:88], v[125:126], v[85:86]
	s_waitcnt vmcnt(2)
	v_add_f64 v[93:94], v[93:94], -v[91:92]
	s_waitcnt vmcnt(0)
	v_add_f64 v[95:96], v[95:96], -v[85:86]
	buffer_store_dword v93, off, s[24:27], 0 offset:480 ; 4-byte Folded Spill
	s_nop 0
	buffer_store_dword v94, off, s[24:27], 0 offset:484 ; 4-byte Folded Spill
	buffer_store_dword v95, off, s[24:27], 0 offset:488 ; 4-byte Folded Spill
	buffer_store_dword v96, off, s[24:27], 0 offset:492 ; 4-byte Folded Spill
	ds_read2_b64 v[85:88], v0 offset0:12 offset1:13
	buffer_load_dword v93, off, s[24:27], 0 offset:464 ; 4-byte Folded Reload
	buffer_load_dword v94, off, s[24:27], 0 offset:468 ; 4-byte Folded Reload
	buffer_load_dword v95, off, s[24:27], 0 offset:472 ; 4-byte Folded Reload
	buffer_load_dword v96, off, s[24:27], 0 offset:476 ; 4-byte Folded Reload
	s_waitcnt lgkmcnt(0)
	v_mul_f64 v[91:92], v[87:88], v[97:98]
	v_fma_f64 v[91:92], v[85:86], v[125:126], -v[91:92]
	v_mul_f64 v[85:86], v[85:86], v[97:98]
	v_fma_f64 v[85:86], v[87:88], v[125:126], v[85:86]
	s_waitcnt vmcnt(2)
	v_add_f64 v[93:94], v[93:94], -v[91:92]
	s_waitcnt vmcnt(0)
	v_add_f64 v[95:96], v[95:96], -v[85:86]
	buffer_store_dword v93, off, s[24:27], 0 offset:464 ; 4-byte Folded Spill
	s_nop 0
	buffer_store_dword v94, off, s[24:27], 0 offset:468 ; 4-byte Folded Spill
	buffer_store_dword v95, off, s[24:27], 0 offset:472 ; 4-byte Folded Spill
	buffer_store_dword v96, off, s[24:27], 0 offset:476 ; 4-byte Folded Spill
	;; [unrolled: 19-line block ×30, first 2 shown]
	ds_read2_b64 v[85:88], v0 offset0:70 offset1:71
	buffer_load_dword v93, off, s[24:27], 0 ; 4-byte Folded Reload
	buffer_load_dword v94, off, s[24:27], 0 offset:4 ; 4-byte Folded Reload
	buffer_load_dword v95, off, s[24:27], 0 offset:8 ; 4-byte Folded Reload
	;; [unrolled: 1-line block ×3, first 2 shown]
	s_waitcnt lgkmcnt(0)
	v_mul_f64 v[91:92], v[87:88], v[97:98]
	v_fma_f64 v[91:92], v[85:86], v[125:126], -v[91:92]
	v_mul_f64 v[85:86], v[85:86], v[97:98]
	v_fma_f64 v[85:86], v[87:88], v[125:126], v[85:86]
	s_waitcnt vmcnt(2)
	v_add_f64 v[93:94], v[93:94], -v[91:92]
	s_waitcnt vmcnt(0)
	v_add_f64 v[95:96], v[95:96], -v[85:86]
	buffer_store_dword v93, off, s[24:27], 0 ; 4-byte Folded Spill
	s_nop 0
	buffer_store_dword v94, off, s[24:27], 0 offset:4 ; 4-byte Folded Spill
	buffer_store_dword v95, off, s[24:27], 0 offset:8 ; 4-byte Folded Spill
	;; [unrolled: 1-line block ×3, first 2 shown]
	ds_read2_b64 v[85:88], v0 offset0:72 offset1:73
	v_mov_b32_e32 v95, v125
	v_mov_b32_e32 v96, v126
	s_waitcnt lgkmcnt(0)
	v_mul_f64 v[91:92], v[87:88], v[97:98]
	v_fma_f64 v[91:92], v[85:86], v[125:126], -v[91:92]
	v_mul_f64 v[85:86], v[85:86], v[97:98]
	v_add_f64 v[113:114], v[113:114], -v[91:92]
	v_fma_f64 v[85:86], v[87:88], v[125:126], v[85:86]
	v_add_f64 v[115:116], v[115:116], -v[85:86]
	ds_read2_b64 v[85:88], v0 offset0:74 offset1:75
	s_waitcnt lgkmcnt(0)
	v_mul_f64 v[91:92], v[87:88], v[97:98]
	v_fma_f64 v[91:92], v[85:86], v[125:126], -v[91:92]
	v_mul_f64 v[85:86], v[85:86], v[97:98]
	v_add_f64 v[109:110], v[109:110], -v[91:92]
	v_fma_f64 v[85:86], v[87:88], v[125:126], v[85:86]
	v_add_f64 v[111:112], v[111:112], -v[85:86]
	ds_read2_b64 v[85:88], v0 offset0:76 offset1:77
	;; [unrolled: 8-line block ×22, first 2 shown]
	s_waitcnt lgkmcnt(0)
	v_mul_f64 v[91:92], v[87:88], v[97:98]
	v_fma_f64 v[91:92], v[85:86], v[125:126], -v[91:92]
	v_mul_f64 v[85:86], v[85:86], v[97:98]
	v_add_f64 v[1:2], v[1:2], -v[91:92]
	v_fma_f64 v[85:86], v[87:88], v[125:126], v[85:86]
	ds_read2_b64 v[91:94], v0 offset0:118 offset1:119
	s_waitcnt lgkmcnt(0)
	v_mul_f64 v[87:88], v[91:92], v[97:98]
	v_add_f64 v[3:4], v[3:4], -v[85:86]
	v_mul_f64 v[85:86], v[93:94], v[97:98]
	buffer_store_dword v95, off, s[24:27], 0 offset:496 ; 4-byte Folded Spill
	s_nop 0
	buffer_store_dword v96, off, s[24:27], 0 offset:500 ; 4-byte Folded Spill
	buffer_store_dword v97, off, s[24:27], 0 offset:504 ; 4-byte Folded Spill
	;; [unrolled: 1-line block ×3, first 2 shown]
	v_fma_f64 v[87:88], v[93:94], v[125:126], v[87:88]
	v_fma_f64 v[85:86], v[91:92], v[125:126], -v[85:86]
	v_add_f64 v[123:124], v[123:124], -v[87:88]
	v_add_f64 v[121:122], v[121:122], -v[85:86]
.LBB118_104:
	s_or_b64 exec, exec, s[0:1]
	s_waitcnt vmcnt(0)
	s_barrier
	buffer_load_dword v91, off, s[24:27], 0 offset:480 ; 4-byte Folded Reload
	buffer_load_dword v92, off, s[24:27], 0 offset:484 ; 4-byte Folded Reload
	;; [unrolled: 1-line block ×4, first 2 shown]
	v_lshl_add_u32 v85, v89, 4, v0
	s_cmp_lt_i32 s3, 7
	s_waitcnt vmcnt(0)
	ds_write2_b64 v85, v[91:92], v[93:94] offset1:1
	s_waitcnt lgkmcnt(0)
	s_barrier
	ds_read2_b64 v[117:120], v0 offset0:10 offset1:11
	v_mov_b32_e32 v85, 5
	s_cbranch_scc1 .LBB118_107
; %bb.105:
	v_add_u32_e32 v86, 0x60, v0
	s_mov_b32 s0, 6
	v_mov_b32_e32 v85, 5
.LBB118_106:                            ; =>This Inner Loop Header: Depth=1
	s_waitcnt lgkmcnt(0)
	v_cmp_gt_f64_e32 vcc, 0, v[117:118]
	v_xor_b32_e32 v87, 0x80000000, v118
	ds_read2_b64 v[91:94], v86 offset1:1
	v_xor_b32_e32 v95, 0x80000000, v120
	v_add_u32_e32 v86, 16, v86
	s_waitcnt lgkmcnt(0)
	v_xor_b32_e32 v97, 0x80000000, v94
	v_cndmask_b32_e32 v88, v118, v87, vcc
	v_cmp_gt_f64_e32 vcc, 0, v[119:120]
	v_mov_b32_e32 v87, v117
	v_cndmask_b32_e32 v96, v120, v95, vcc
	v_cmp_gt_f64_e32 vcc, 0, v[91:92]
	v_mov_b32_e32 v95, v119
	v_add_f64 v[87:88], v[87:88], v[95:96]
	v_xor_b32_e32 v95, 0x80000000, v92
	v_cndmask_b32_e32 v96, v92, v95, vcc
	v_cmp_gt_f64_e32 vcc, 0, v[93:94]
	v_mov_b32_e32 v95, v91
	v_cndmask_b32_e32 v98, v94, v97, vcc
	v_mov_b32_e32 v97, v93
	v_add_f64 v[95:96], v[95:96], v[97:98]
	v_cmp_lt_f64_e32 vcc, v[87:88], v[95:96]
	v_mov_b32_e32 v87, s0
	s_add_i32 s0, s0, 1
	s_cmp_lg_u32 s3, s0
	v_cndmask_b32_e32 v118, v118, v92, vcc
	v_cndmask_b32_e32 v117, v117, v91, vcc
	;; [unrolled: 1-line block ×5, first 2 shown]
	s_cbranch_scc1 .LBB118_106
.LBB118_107:
	s_waitcnt lgkmcnt(0)
	v_cmp_eq_f64_e32 vcc, 0, v[117:118]
	v_cmp_eq_f64_e64 s[0:1], 0, v[119:120]
	s_and_b64 s[0:1], vcc, s[0:1]
	s_and_saveexec_b64 s[18:19], s[0:1]
	s_xor_b64 s[0:1], exec, s[18:19]
; %bb.108:
	v_cmp_ne_u32_e32 vcc, 0, v90
	v_cndmask_b32_e32 v90, 6, v90, vcc
; %bb.109:
	s_andn2_saveexec_b64 s[0:1], s[0:1]
	s_cbranch_execz .LBB118_115
; %bb.110:
	v_cmp_ngt_f64_e64 s[18:19], |v[117:118]|, |v[119:120]|
	s_and_saveexec_b64 s[20:21], s[18:19]
	s_xor_b64 s[18:19], exec, s[20:21]
	s_cbranch_execz .LBB118_112
; %bb.111:
	v_div_scale_f64 v[86:87], s[20:21], v[119:120], v[119:120], v[117:118]
	v_rcp_f64_e32 v[91:92], v[86:87]
	v_fma_f64 v[93:94], -v[86:87], v[91:92], 1.0
	v_fma_f64 v[91:92], v[91:92], v[93:94], v[91:92]
	v_div_scale_f64 v[93:94], vcc, v[117:118], v[119:120], v[117:118]
	v_fma_f64 v[95:96], -v[86:87], v[91:92], 1.0
	v_fma_f64 v[91:92], v[91:92], v[95:96], v[91:92]
	v_mul_f64 v[95:96], v[93:94], v[91:92]
	v_fma_f64 v[86:87], -v[86:87], v[95:96], v[93:94]
	v_div_fmas_f64 v[86:87], v[86:87], v[91:92], v[95:96]
	v_div_fixup_f64 v[86:87], v[86:87], v[119:120], v[117:118]
	v_fma_f64 v[91:92], v[117:118], v[86:87], v[119:120]
	v_div_scale_f64 v[93:94], s[20:21], v[91:92], v[91:92], 1.0
	v_div_scale_f64 v[99:100], vcc, 1.0, v[91:92], 1.0
	v_rcp_f64_e32 v[95:96], v[93:94]
	v_fma_f64 v[97:98], -v[93:94], v[95:96], 1.0
	v_fma_f64 v[95:96], v[95:96], v[97:98], v[95:96]
	v_fma_f64 v[97:98], -v[93:94], v[95:96], 1.0
	v_fma_f64 v[95:96], v[95:96], v[97:98], v[95:96]
	v_mul_f64 v[97:98], v[99:100], v[95:96]
	v_fma_f64 v[93:94], -v[93:94], v[97:98], v[99:100]
	v_div_fmas_f64 v[93:94], v[93:94], v[95:96], v[97:98]
	v_div_fixup_f64 v[119:120], v[93:94], v[91:92], 1.0
	v_mul_f64 v[117:118], v[86:87], v[119:120]
	v_xor_b32_e32 v120, 0x80000000, v120
.LBB118_112:
	s_andn2_saveexec_b64 s[18:19], s[18:19]
	s_cbranch_execz .LBB118_114
; %bb.113:
	v_div_scale_f64 v[86:87], s[20:21], v[117:118], v[117:118], v[119:120]
	v_rcp_f64_e32 v[91:92], v[86:87]
	v_fma_f64 v[93:94], -v[86:87], v[91:92], 1.0
	v_fma_f64 v[91:92], v[91:92], v[93:94], v[91:92]
	v_div_scale_f64 v[93:94], vcc, v[119:120], v[117:118], v[119:120]
	v_fma_f64 v[95:96], -v[86:87], v[91:92], 1.0
	v_fma_f64 v[91:92], v[91:92], v[95:96], v[91:92]
	v_mul_f64 v[95:96], v[93:94], v[91:92]
	v_fma_f64 v[86:87], -v[86:87], v[95:96], v[93:94]
	v_div_fmas_f64 v[86:87], v[86:87], v[91:92], v[95:96]
	v_div_fixup_f64 v[86:87], v[86:87], v[117:118], v[119:120]
	v_fma_f64 v[91:92], v[119:120], v[86:87], v[117:118]
	v_div_scale_f64 v[93:94], s[20:21], v[91:92], v[91:92], 1.0
	v_div_scale_f64 v[99:100], vcc, 1.0, v[91:92], 1.0
	v_rcp_f64_e32 v[95:96], v[93:94]
	v_fma_f64 v[97:98], -v[93:94], v[95:96], 1.0
	v_fma_f64 v[95:96], v[95:96], v[97:98], v[95:96]
	v_fma_f64 v[97:98], -v[93:94], v[95:96], 1.0
	v_fma_f64 v[95:96], v[95:96], v[97:98], v[95:96]
	v_mul_f64 v[97:98], v[99:100], v[95:96]
	v_fma_f64 v[93:94], -v[93:94], v[97:98], v[99:100]
	v_div_fmas_f64 v[93:94], v[93:94], v[95:96], v[97:98]
	v_div_fixup_f64 v[117:118], v[93:94], v[91:92], 1.0
	v_mul_f64 v[119:120], v[86:87], -v[117:118]
.LBB118_114:
	s_or_b64 exec, exec, s[18:19]
.LBB118_115:
	s_or_b64 exec, exec, s[0:1]
	v_cmp_ne_u32_e32 vcc, v89, v85
	s_and_saveexec_b64 s[0:1], vcc
	s_xor_b64 s[0:1], exec, s[0:1]
	s_cbranch_execz .LBB118_121
; %bb.116:
	v_cmp_eq_u32_e32 vcc, 5, v89
	s_and_saveexec_b64 s[18:19], vcc
	s_cbranch_execz .LBB118_120
; %bb.117:
	v_cmp_ne_u32_e32 vcc, 5, v85
	s_xor_b64 s[20:21], s[6:7], -1
	s_and_b64 s[22:23], s[20:21], vcc
	s_and_saveexec_b64 s[20:21], s[22:23]
	s_cbranch_execz .LBB118_119
; %bb.118:
	v_ashrrev_i32_e32 v86, 31, v85
	v_lshlrev_b64 v[86:87], 2, v[85:86]
	v_add_co_u32_e32 v86, vcc, v107, v86
	v_addc_co_u32_e32 v87, vcc, v108, v87, vcc
	global_load_dword v88, v[86:87], off
	global_load_dword v89, v[107:108], off offset:20
	s_waitcnt vmcnt(1)
	global_store_dword v[107:108], v88, off offset:20
	s_waitcnt vmcnt(1)
	global_store_dword v[86:87], v89, off
.LBB118_119:
	s_or_b64 exec, exec, s[20:21]
	v_mov_b32_e32 v89, v85
	v_mov_b32_e32 v127, v85
.LBB118_120:
	s_or_b64 exec, exec, s[18:19]
.LBB118_121:
	s_andn2_saveexec_b64 s[0:1], s[0:1]
	s_cbranch_execz .LBB118_123
; %bb.122:
	buffer_load_dword v85, off, s[24:27], 0 offset:464 ; 4-byte Folded Reload
	buffer_load_dword v86, off, s[24:27], 0 offset:468 ; 4-byte Folded Reload
	;; [unrolled: 1-line block ×4, first 2 shown]
	v_mov_b32_e32 v89, 5
	s_waitcnt vmcnt(0)
	ds_write2_b64 v0, v[85:86], v[87:88] offset0:12 offset1:13
	buffer_load_dword v85, off, s[24:27], 0 offset:448 ; 4-byte Folded Reload
	buffer_load_dword v86, off, s[24:27], 0 offset:452 ; 4-byte Folded Reload
	buffer_load_dword v87, off, s[24:27], 0 offset:456 ; 4-byte Folded Reload
	buffer_load_dword v88, off, s[24:27], 0 offset:460 ; 4-byte Folded Reload
	s_waitcnt vmcnt(0)
	ds_write2_b64 v0, v[85:86], v[87:88] offset0:14 offset1:15
	buffer_load_dword v85, off, s[24:27], 0 offset:432 ; 4-byte Folded Reload
	buffer_load_dword v86, off, s[24:27], 0 offset:436 ; 4-byte Folded Reload
	buffer_load_dword v87, off, s[24:27], 0 offset:440 ; 4-byte Folded Reload
	buffer_load_dword v88, off, s[24:27], 0 offset:444 ; 4-byte Folded Reload
	;; [unrolled: 6-line block ×28, first 2 shown]
	s_waitcnt vmcnt(0)
	ds_write2_b64 v0, v[85:86], v[87:88] offset0:68 offset1:69
	buffer_load_dword v85, off, s[24:27], 0 ; 4-byte Folded Reload
	buffer_load_dword v86, off, s[24:27], 0 offset:4 ; 4-byte Folded Reload
	buffer_load_dword v87, off, s[24:27], 0 offset:8 ; 4-byte Folded Reload
	buffer_load_dword v88, off, s[24:27], 0 offset:12 ; 4-byte Folded Reload
	s_waitcnt vmcnt(0)
	ds_write2_b64 v0, v[85:86], v[87:88] offset0:70 offset1:71
	ds_write2_b64 v0, v[113:114], v[115:116] offset0:72 offset1:73
	;; [unrolled: 1-line block ×25, first 2 shown]
.LBB118_123:
	s_or_b64 exec, exec, s[0:1]
	v_cmp_lt_i32_e32 vcc, 5, v89
	s_waitcnt vmcnt(0) lgkmcnt(0)
	s_barrier
	s_and_saveexec_b64 s[0:1], vcc
	s_cbranch_execz .LBB118_125
; %bb.124:
	buffer_load_dword v95, off, s[24:27], 0 offset:480 ; 4-byte Folded Reload
	buffer_load_dword v96, off, s[24:27], 0 offset:484 ; 4-byte Folded Reload
	;; [unrolled: 1-line block ×4, first 2 shown]
	s_waitcnt vmcnt(0)
	v_mul_f64 v[85:86], v[119:120], v[97:98]
	v_fma_f64 v[125:126], v[117:118], v[95:96], -v[85:86]
	v_mul_f64 v[85:86], v[117:118], v[97:98]
	v_fma_f64 v[97:98], v[119:120], v[95:96], v[85:86]
	ds_read2_b64 v[85:88], v0 offset0:12 offset1:13
	buffer_load_dword v93, off, s[24:27], 0 offset:464 ; 4-byte Folded Reload
	buffer_load_dword v94, off, s[24:27], 0 offset:468 ; 4-byte Folded Reload
	buffer_load_dword v95, off, s[24:27], 0 offset:472 ; 4-byte Folded Reload
	buffer_load_dword v96, off, s[24:27], 0 offset:476 ; 4-byte Folded Reload
	s_waitcnt lgkmcnt(0)
	v_mul_f64 v[91:92], v[87:88], v[97:98]
	v_fma_f64 v[91:92], v[85:86], v[125:126], -v[91:92]
	v_mul_f64 v[85:86], v[85:86], v[97:98]
	v_fma_f64 v[85:86], v[87:88], v[125:126], v[85:86]
	s_waitcnt vmcnt(2)
	v_add_f64 v[93:94], v[93:94], -v[91:92]
	s_waitcnt vmcnt(0)
	v_add_f64 v[95:96], v[95:96], -v[85:86]
	buffer_store_dword v93, off, s[24:27], 0 offset:464 ; 4-byte Folded Spill
	s_nop 0
	buffer_store_dword v94, off, s[24:27], 0 offset:468 ; 4-byte Folded Spill
	buffer_store_dword v95, off, s[24:27], 0 offset:472 ; 4-byte Folded Spill
	buffer_store_dword v96, off, s[24:27], 0 offset:476 ; 4-byte Folded Spill
	ds_read2_b64 v[85:88], v0 offset0:14 offset1:15
	buffer_load_dword v93, off, s[24:27], 0 offset:448 ; 4-byte Folded Reload
	buffer_load_dword v94, off, s[24:27], 0 offset:452 ; 4-byte Folded Reload
	buffer_load_dword v95, off, s[24:27], 0 offset:456 ; 4-byte Folded Reload
	buffer_load_dword v96, off, s[24:27], 0 offset:460 ; 4-byte Folded Reload
	s_waitcnt lgkmcnt(0)
	v_mul_f64 v[91:92], v[87:88], v[97:98]
	v_fma_f64 v[91:92], v[85:86], v[125:126], -v[91:92]
	v_mul_f64 v[85:86], v[85:86], v[97:98]
	v_fma_f64 v[85:86], v[87:88], v[125:126], v[85:86]
	s_waitcnt vmcnt(2)
	v_add_f64 v[93:94], v[93:94], -v[91:92]
	s_waitcnt vmcnt(0)
	v_add_f64 v[95:96], v[95:96], -v[85:86]
	buffer_store_dword v93, off, s[24:27], 0 offset:448 ; 4-byte Folded Spill
	s_nop 0
	buffer_store_dword v94, off, s[24:27], 0 offset:452 ; 4-byte Folded Spill
	buffer_store_dword v95, off, s[24:27], 0 offset:456 ; 4-byte Folded Spill
	buffer_store_dword v96, off, s[24:27], 0 offset:460 ; 4-byte Folded Spill
	;; [unrolled: 19-line block ×29, first 2 shown]
	ds_read2_b64 v[85:88], v0 offset0:70 offset1:71
	buffer_load_dword v93, off, s[24:27], 0 ; 4-byte Folded Reload
	buffer_load_dword v94, off, s[24:27], 0 offset:4 ; 4-byte Folded Reload
	buffer_load_dword v95, off, s[24:27], 0 offset:8 ; 4-byte Folded Reload
	buffer_load_dword v96, off, s[24:27], 0 offset:12 ; 4-byte Folded Reload
	s_waitcnt lgkmcnt(0)
	v_mul_f64 v[91:92], v[87:88], v[97:98]
	v_fma_f64 v[91:92], v[85:86], v[125:126], -v[91:92]
	v_mul_f64 v[85:86], v[85:86], v[97:98]
	v_fma_f64 v[85:86], v[87:88], v[125:126], v[85:86]
	s_waitcnt vmcnt(2)
	v_add_f64 v[93:94], v[93:94], -v[91:92]
	s_waitcnt vmcnt(0)
	v_add_f64 v[95:96], v[95:96], -v[85:86]
	buffer_store_dword v93, off, s[24:27], 0 ; 4-byte Folded Spill
	s_nop 0
	buffer_store_dword v94, off, s[24:27], 0 offset:4 ; 4-byte Folded Spill
	buffer_store_dword v95, off, s[24:27], 0 offset:8 ; 4-byte Folded Spill
	buffer_store_dword v96, off, s[24:27], 0 offset:12 ; 4-byte Folded Spill
	ds_read2_b64 v[85:88], v0 offset0:72 offset1:73
	v_mov_b32_e32 v95, v125
	v_mov_b32_e32 v96, v126
	s_waitcnt lgkmcnt(0)
	v_mul_f64 v[91:92], v[87:88], v[97:98]
	v_fma_f64 v[91:92], v[85:86], v[125:126], -v[91:92]
	v_mul_f64 v[85:86], v[85:86], v[97:98]
	v_add_f64 v[113:114], v[113:114], -v[91:92]
	v_fma_f64 v[85:86], v[87:88], v[125:126], v[85:86]
	v_add_f64 v[115:116], v[115:116], -v[85:86]
	ds_read2_b64 v[85:88], v0 offset0:74 offset1:75
	s_waitcnt lgkmcnt(0)
	v_mul_f64 v[91:92], v[87:88], v[97:98]
	v_fma_f64 v[91:92], v[85:86], v[125:126], -v[91:92]
	v_mul_f64 v[85:86], v[85:86], v[97:98]
	v_add_f64 v[109:110], v[109:110], -v[91:92]
	v_fma_f64 v[85:86], v[87:88], v[125:126], v[85:86]
	v_add_f64 v[111:112], v[111:112], -v[85:86]
	ds_read2_b64 v[85:88], v0 offset0:76 offset1:77
	;; [unrolled: 8-line block ×22, first 2 shown]
	s_waitcnt lgkmcnt(0)
	v_mul_f64 v[91:92], v[87:88], v[97:98]
	v_fma_f64 v[91:92], v[85:86], v[125:126], -v[91:92]
	v_mul_f64 v[85:86], v[85:86], v[97:98]
	v_add_f64 v[1:2], v[1:2], -v[91:92]
	v_fma_f64 v[85:86], v[87:88], v[125:126], v[85:86]
	ds_read2_b64 v[91:94], v0 offset0:118 offset1:119
	s_waitcnt lgkmcnt(0)
	v_mul_f64 v[87:88], v[91:92], v[97:98]
	v_add_f64 v[3:4], v[3:4], -v[85:86]
	v_mul_f64 v[85:86], v[93:94], v[97:98]
	buffer_store_dword v95, off, s[24:27], 0 offset:480 ; 4-byte Folded Spill
	s_nop 0
	buffer_store_dword v96, off, s[24:27], 0 offset:484 ; 4-byte Folded Spill
	buffer_store_dword v97, off, s[24:27], 0 offset:488 ; 4-byte Folded Spill
	;; [unrolled: 1-line block ×3, first 2 shown]
	v_fma_f64 v[87:88], v[93:94], v[125:126], v[87:88]
	v_fma_f64 v[85:86], v[91:92], v[125:126], -v[85:86]
	v_add_f64 v[123:124], v[123:124], -v[87:88]
	v_add_f64 v[121:122], v[121:122], -v[85:86]
.LBB118_125:
	s_or_b64 exec, exec, s[0:1]
	s_waitcnt vmcnt(0)
	s_barrier
	buffer_load_dword v91, off, s[24:27], 0 offset:464 ; 4-byte Folded Reload
	buffer_load_dword v92, off, s[24:27], 0 offset:468 ; 4-byte Folded Reload
	;; [unrolled: 1-line block ×4, first 2 shown]
	v_lshl_add_u32 v85, v89, 4, v0
	s_cmp_lt_i32 s3, 8
	s_waitcnt vmcnt(0)
	ds_write2_b64 v85, v[91:92], v[93:94] offset1:1
	s_waitcnt lgkmcnt(0)
	s_barrier
	ds_read2_b64 v[117:120], v0 offset0:12 offset1:13
	v_mov_b32_e32 v85, 6
	s_cbranch_scc1 .LBB118_128
; %bb.126:
	v_add_u32_e32 v86, 0x70, v0
	s_mov_b32 s0, 7
	v_mov_b32_e32 v85, 6
.LBB118_127:                            ; =>This Inner Loop Header: Depth=1
	s_waitcnt lgkmcnt(0)
	v_cmp_gt_f64_e32 vcc, 0, v[117:118]
	v_xor_b32_e32 v87, 0x80000000, v118
	ds_read2_b64 v[91:94], v86 offset1:1
	v_xor_b32_e32 v95, 0x80000000, v120
	v_add_u32_e32 v86, 16, v86
	s_waitcnt lgkmcnt(0)
	v_xor_b32_e32 v97, 0x80000000, v94
	v_cndmask_b32_e32 v88, v118, v87, vcc
	v_cmp_gt_f64_e32 vcc, 0, v[119:120]
	v_mov_b32_e32 v87, v117
	v_cndmask_b32_e32 v96, v120, v95, vcc
	v_cmp_gt_f64_e32 vcc, 0, v[91:92]
	v_mov_b32_e32 v95, v119
	v_add_f64 v[87:88], v[87:88], v[95:96]
	v_xor_b32_e32 v95, 0x80000000, v92
	v_cndmask_b32_e32 v96, v92, v95, vcc
	v_cmp_gt_f64_e32 vcc, 0, v[93:94]
	v_mov_b32_e32 v95, v91
	v_cndmask_b32_e32 v98, v94, v97, vcc
	v_mov_b32_e32 v97, v93
	v_add_f64 v[95:96], v[95:96], v[97:98]
	v_cmp_lt_f64_e32 vcc, v[87:88], v[95:96]
	v_mov_b32_e32 v87, s0
	s_add_i32 s0, s0, 1
	s_cmp_lg_u32 s3, s0
	v_cndmask_b32_e32 v118, v118, v92, vcc
	v_cndmask_b32_e32 v117, v117, v91, vcc
	;; [unrolled: 1-line block ×5, first 2 shown]
	s_cbranch_scc1 .LBB118_127
.LBB118_128:
	s_waitcnt lgkmcnt(0)
	v_cmp_eq_f64_e32 vcc, 0, v[117:118]
	v_cmp_eq_f64_e64 s[0:1], 0, v[119:120]
	s_and_b64 s[0:1], vcc, s[0:1]
	s_and_saveexec_b64 s[18:19], s[0:1]
	s_xor_b64 s[0:1], exec, s[18:19]
; %bb.129:
	v_cmp_ne_u32_e32 vcc, 0, v90
	v_cndmask_b32_e32 v90, 7, v90, vcc
; %bb.130:
	s_andn2_saveexec_b64 s[0:1], s[0:1]
	s_cbranch_execz .LBB118_136
; %bb.131:
	v_cmp_ngt_f64_e64 s[18:19], |v[117:118]|, |v[119:120]|
	s_and_saveexec_b64 s[20:21], s[18:19]
	s_xor_b64 s[18:19], exec, s[20:21]
	s_cbranch_execz .LBB118_133
; %bb.132:
	v_div_scale_f64 v[86:87], s[20:21], v[119:120], v[119:120], v[117:118]
	v_rcp_f64_e32 v[91:92], v[86:87]
	v_fma_f64 v[93:94], -v[86:87], v[91:92], 1.0
	v_fma_f64 v[91:92], v[91:92], v[93:94], v[91:92]
	v_div_scale_f64 v[93:94], vcc, v[117:118], v[119:120], v[117:118]
	v_fma_f64 v[95:96], -v[86:87], v[91:92], 1.0
	v_fma_f64 v[91:92], v[91:92], v[95:96], v[91:92]
	v_mul_f64 v[95:96], v[93:94], v[91:92]
	v_fma_f64 v[86:87], -v[86:87], v[95:96], v[93:94]
	v_div_fmas_f64 v[86:87], v[86:87], v[91:92], v[95:96]
	v_div_fixup_f64 v[86:87], v[86:87], v[119:120], v[117:118]
	v_fma_f64 v[91:92], v[117:118], v[86:87], v[119:120]
	v_div_scale_f64 v[93:94], s[20:21], v[91:92], v[91:92], 1.0
	v_div_scale_f64 v[99:100], vcc, 1.0, v[91:92], 1.0
	v_rcp_f64_e32 v[95:96], v[93:94]
	v_fma_f64 v[97:98], -v[93:94], v[95:96], 1.0
	v_fma_f64 v[95:96], v[95:96], v[97:98], v[95:96]
	v_fma_f64 v[97:98], -v[93:94], v[95:96], 1.0
	v_fma_f64 v[95:96], v[95:96], v[97:98], v[95:96]
	v_mul_f64 v[97:98], v[99:100], v[95:96]
	v_fma_f64 v[93:94], -v[93:94], v[97:98], v[99:100]
	v_div_fmas_f64 v[93:94], v[93:94], v[95:96], v[97:98]
	v_div_fixup_f64 v[119:120], v[93:94], v[91:92], 1.0
	v_mul_f64 v[117:118], v[86:87], v[119:120]
	v_xor_b32_e32 v120, 0x80000000, v120
.LBB118_133:
	s_andn2_saveexec_b64 s[18:19], s[18:19]
	s_cbranch_execz .LBB118_135
; %bb.134:
	v_div_scale_f64 v[86:87], s[20:21], v[117:118], v[117:118], v[119:120]
	v_rcp_f64_e32 v[91:92], v[86:87]
	v_fma_f64 v[93:94], -v[86:87], v[91:92], 1.0
	v_fma_f64 v[91:92], v[91:92], v[93:94], v[91:92]
	v_div_scale_f64 v[93:94], vcc, v[119:120], v[117:118], v[119:120]
	v_fma_f64 v[95:96], -v[86:87], v[91:92], 1.0
	v_fma_f64 v[91:92], v[91:92], v[95:96], v[91:92]
	v_mul_f64 v[95:96], v[93:94], v[91:92]
	v_fma_f64 v[86:87], -v[86:87], v[95:96], v[93:94]
	v_div_fmas_f64 v[86:87], v[86:87], v[91:92], v[95:96]
	v_div_fixup_f64 v[86:87], v[86:87], v[117:118], v[119:120]
	v_fma_f64 v[91:92], v[119:120], v[86:87], v[117:118]
	v_div_scale_f64 v[93:94], s[20:21], v[91:92], v[91:92], 1.0
	v_div_scale_f64 v[99:100], vcc, 1.0, v[91:92], 1.0
	v_rcp_f64_e32 v[95:96], v[93:94]
	v_fma_f64 v[97:98], -v[93:94], v[95:96], 1.0
	v_fma_f64 v[95:96], v[95:96], v[97:98], v[95:96]
	v_fma_f64 v[97:98], -v[93:94], v[95:96], 1.0
	v_fma_f64 v[95:96], v[95:96], v[97:98], v[95:96]
	v_mul_f64 v[97:98], v[99:100], v[95:96]
	v_fma_f64 v[93:94], -v[93:94], v[97:98], v[99:100]
	v_div_fmas_f64 v[93:94], v[93:94], v[95:96], v[97:98]
	v_div_fixup_f64 v[117:118], v[93:94], v[91:92], 1.0
	v_mul_f64 v[119:120], v[86:87], -v[117:118]
.LBB118_135:
	s_or_b64 exec, exec, s[18:19]
.LBB118_136:
	s_or_b64 exec, exec, s[0:1]
	v_cmp_ne_u32_e32 vcc, v89, v85
	s_and_saveexec_b64 s[0:1], vcc
	s_xor_b64 s[0:1], exec, s[0:1]
	s_cbranch_execz .LBB118_142
; %bb.137:
	v_cmp_eq_u32_e32 vcc, 6, v89
	s_and_saveexec_b64 s[18:19], vcc
	s_cbranch_execz .LBB118_141
; %bb.138:
	v_cmp_ne_u32_e32 vcc, 6, v85
	s_xor_b64 s[20:21], s[6:7], -1
	s_and_b64 s[22:23], s[20:21], vcc
	s_and_saveexec_b64 s[20:21], s[22:23]
	s_cbranch_execz .LBB118_140
; %bb.139:
	v_ashrrev_i32_e32 v86, 31, v85
	v_lshlrev_b64 v[86:87], 2, v[85:86]
	v_add_co_u32_e32 v86, vcc, v107, v86
	v_addc_co_u32_e32 v87, vcc, v108, v87, vcc
	global_load_dword v88, v[86:87], off
	global_load_dword v89, v[107:108], off offset:24
	s_waitcnt vmcnt(1)
	global_store_dword v[107:108], v88, off offset:24
	s_waitcnt vmcnt(1)
	global_store_dword v[86:87], v89, off
.LBB118_140:
	s_or_b64 exec, exec, s[20:21]
	v_mov_b32_e32 v89, v85
	v_mov_b32_e32 v127, v85
.LBB118_141:
	s_or_b64 exec, exec, s[18:19]
.LBB118_142:
	s_andn2_saveexec_b64 s[0:1], s[0:1]
	s_cbranch_execz .LBB118_144
; %bb.143:
	buffer_load_dword v85, off, s[24:27], 0 offset:448 ; 4-byte Folded Reload
	buffer_load_dword v86, off, s[24:27], 0 offset:452 ; 4-byte Folded Reload
	;; [unrolled: 1-line block ×4, first 2 shown]
	v_mov_b32_e32 v89, 6
	s_waitcnt vmcnt(0)
	ds_write2_b64 v0, v[85:86], v[87:88] offset0:14 offset1:15
	buffer_load_dword v85, off, s[24:27], 0 offset:432 ; 4-byte Folded Reload
	buffer_load_dword v86, off, s[24:27], 0 offset:436 ; 4-byte Folded Reload
	buffer_load_dword v87, off, s[24:27], 0 offset:440 ; 4-byte Folded Reload
	buffer_load_dword v88, off, s[24:27], 0 offset:444 ; 4-byte Folded Reload
	s_waitcnt vmcnt(0)
	ds_write2_b64 v0, v[85:86], v[87:88] offset0:16 offset1:17
	buffer_load_dword v85, off, s[24:27], 0 offset:416 ; 4-byte Folded Reload
	buffer_load_dword v86, off, s[24:27], 0 offset:420 ; 4-byte Folded Reload
	buffer_load_dword v87, off, s[24:27], 0 offset:424 ; 4-byte Folded Reload
	buffer_load_dword v88, off, s[24:27], 0 offset:428 ; 4-byte Folded Reload
	;; [unrolled: 6-line block ×27, first 2 shown]
	s_waitcnt vmcnt(0)
	ds_write2_b64 v0, v[85:86], v[87:88] offset0:68 offset1:69
	buffer_load_dword v85, off, s[24:27], 0 ; 4-byte Folded Reload
	buffer_load_dword v86, off, s[24:27], 0 offset:4 ; 4-byte Folded Reload
	buffer_load_dword v87, off, s[24:27], 0 offset:8 ; 4-byte Folded Reload
	;; [unrolled: 1-line block ×3, first 2 shown]
	s_waitcnt vmcnt(0)
	ds_write2_b64 v0, v[85:86], v[87:88] offset0:70 offset1:71
	ds_write2_b64 v0, v[113:114], v[115:116] offset0:72 offset1:73
	;; [unrolled: 1-line block ×25, first 2 shown]
.LBB118_144:
	s_or_b64 exec, exec, s[0:1]
	v_cmp_lt_i32_e32 vcc, 6, v89
	s_waitcnt vmcnt(0) lgkmcnt(0)
	s_barrier
	s_and_saveexec_b64 s[0:1], vcc
	s_cbranch_execz .LBB118_146
; %bb.145:
	buffer_load_dword v95, off, s[24:27], 0 offset:464 ; 4-byte Folded Reload
	buffer_load_dword v96, off, s[24:27], 0 offset:468 ; 4-byte Folded Reload
	;; [unrolled: 1-line block ×4, first 2 shown]
	s_waitcnt vmcnt(0)
	v_mul_f64 v[85:86], v[119:120], v[97:98]
	v_fma_f64 v[125:126], v[117:118], v[95:96], -v[85:86]
	v_mul_f64 v[85:86], v[117:118], v[97:98]
	v_fma_f64 v[97:98], v[119:120], v[95:96], v[85:86]
	ds_read2_b64 v[85:88], v0 offset0:14 offset1:15
	buffer_load_dword v93, off, s[24:27], 0 offset:448 ; 4-byte Folded Reload
	buffer_load_dword v94, off, s[24:27], 0 offset:452 ; 4-byte Folded Reload
	buffer_load_dword v95, off, s[24:27], 0 offset:456 ; 4-byte Folded Reload
	buffer_load_dword v96, off, s[24:27], 0 offset:460 ; 4-byte Folded Reload
	s_waitcnt lgkmcnt(0)
	v_mul_f64 v[91:92], v[87:88], v[97:98]
	v_fma_f64 v[91:92], v[85:86], v[125:126], -v[91:92]
	v_mul_f64 v[85:86], v[85:86], v[97:98]
	v_fma_f64 v[85:86], v[87:88], v[125:126], v[85:86]
	s_waitcnt vmcnt(2)
	v_add_f64 v[93:94], v[93:94], -v[91:92]
	s_waitcnt vmcnt(0)
	v_add_f64 v[95:96], v[95:96], -v[85:86]
	buffer_store_dword v93, off, s[24:27], 0 offset:448 ; 4-byte Folded Spill
	s_nop 0
	buffer_store_dword v94, off, s[24:27], 0 offset:452 ; 4-byte Folded Spill
	buffer_store_dword v95, off, s[24:27], 0 offset:456 ; 4-byte Folded Spill
	buffer_store_dword v96, off, s[24:27], 0 offset:460 ; 4-byte Folded Spill
	ds_read2_b64 v[85:88], v0 offset0:16 offset1:17
	buffer_load_dword v93, off, s[24:27], 0 offset:432 ; 4-byte Folded Reload
	buffer_load_dword v94, off, s[24:27], 0 offset:436 ; 4-byte Folded Reload
	buffer_load_dword v95, off, s[24:27], 0 offset:440 ; 4-byte Folded Reload
	buffer_load_dword v96, off, s[24:27], 0 offset:444 ; 4-byte Folded Reload
	s_waitcnt lgkmcnt(0)
	v_mul_f64 v[91:92], v[87:88], v[97:98]
	v_fma_f64 v[91:92], v[85:86], v[125:126], -v[91:92]
	v_mul_f64 v[85:86], v[85:86], v[97:98]
	v_fma_f64 v[85:86], v[87:88], v[125:126], v[85:86]
	s_waitcnt vmcnt(2)
	v_add_f64 v[93:94], v[93:94], -v[91:92]
	s_waitcnt vmcnt(0)
	v_add_f64 v[95:96], v[95:96], -v[85:86]
	buffer_store_dword v93, off, s[24:27], 0 offset:432 ; 4-byte Folded Spill
	s_nop 0
	buffer_store_dword v94, off, s[24:27], 0 offset:436 ; 4-byte Folded Spill
	buffer_store_dword v95, off, s[24:27], 0 offset:440 ; 4-byte Folded Spill
	buffer_store_dword v96, off, s[24:27], 0 offset:444 ; 4-byte Folded Spill
	;; [unrolled: 19-line block ×28, first 2 shown]
	ds_read2_b64 v[85:88], v0 offset0:70 offset1:71
	buffer_load_dword v93, off, s[24:27], 0 ; 4-byte Folded Reload
	buffer_load_dword v94, off, s[24:27], 0 offset:4 ; 4-byte Folded Reload
	buffer_load_dword v95, off, s[24:27], 0 offset:8 ; 4-byte Folded Reload
	;; [unrolled: 1-line block ×3, first 2 shown]
	s_waitcnt lgkmcnt(0)
	v_mul_f64 v[91:92], v[87:88], v[97:98]
	v_fma_f64 v[91:92], v[85:86], v[125:126], -v[91:92]
	v_mul_f64 v[85:86], v[85:86], v[97:98]
	v_fma_f64 v[85:86], v[87:88], v[125:126], v[85:86]
	s_waitcnt vmcnt(2)
	v_add_f64 v[93:94], v[93:94], -v[91:92]
	s_waitcnt vmcnt(0)
	v_add_f64 v[95:96], v[95:96], -v[85:86]
	buffer_store_dword v93, off, s[24:27], 0 ; 4-byte Folded Spill
	s_nop 0
	buffer_store_dword v94, off, s[24:27], 0 offset:4 ; 4-byte Folded Spill
	buffer_store_dword v95, off, s[24:27], 0 offset:8 ; 4-byte Folded Spill
	buffer_store_dword v96, off, s[24:27], 0 offset:12 ; 4-byte Folded Spill
	ds_read2_b64 v[85:88], v0 offset0:72 offset1:73
	v_mov_b32_e32 v95, v125
	v_mov_b32_e32 v96, v126
	s_waitcnt lgkmcnt(0)
	v_mul_f64 v[91:92], v[87:88], v[97:98]
	v_fma_f64 v[91:92], v[85:86], v[125:126], -v[91:92]
	v_mul_f64 v[85:86], v[85:86], v[97:98]
	v_add_f64 v[113:114], v[113:114], -v[91:92]
	v_fma_f64 v[85:86], v[87:88], v[125:126], v[85:86]
	v_add_f64 v[115:116], v[115:116], -v[85:86]
	ds_read2_b64 v[85:88], v0 offset0:74 offset1:75
	s_waitcnt lgkmcnt(0)
	v_mul_f64 v[91:92], v[87:88], v[97:98]
	v_fma_f64 v[91:92], v[85:86], v[125:126], -v[91:92]
	v_mul_f64 v[85:86], v[85:86], v[97:98]
	v_add_f64 v[109:110], v[109:110], -v[91:92]
	v_fma_f64 v[85:86], v[87:88], v[125:126], v[85:86]
	v_add_f64 v[111:112], v[111:112], -v[85:86]
	ds_read2_b64 v[85:88], v0 offset0:76 offset1:77
	;; [unrolled: 8-line block ×22, first 2 shown]
	s_waitcnt lgkmcnt(0)
	v_mul_f64 v[91:92], v[87:88], v[97:98]
	v_fma_f64 v[91:92], v[85:86], v[125:126], -v[91:92]
	v_mul_f64 v[85:86], v[85:86], v[97:98]
	v_add_f64 v[1:2], v[1:2], -v[91:92]
	v_fma_f64 v[85:86], v[87:88], v[125:126], v[85:86]
	ds_read2_b64 v[91:94], v0 offset0:118 offset1:119
	s_waitcnt lgkmcnt(0)
	v_mul_f64 v[87:88], v[91:92], v[97:98]
	v_add_f64 v[3:4], v[3:4], -v[85:86]
	v_mul_f64 v[85:86], v[93:94], v[97:98]
	buffer_store_dword v95, off, s[24:27], 0 offset:464 ; 4-byte Folded Spill
	s_nop 0
	buffer_store_dword v96, off, s[24:27], 0 offset:468 ; 4-byte Folded Spill
	buffer_store_dword v97, off, s[24:27], 0 offset:472 ; 4-byte Folded Spill
	buffer_store_dword v98, off, s[24:27], 0 offset:476 ; 4-byte Folded Spill
	v_fma_f64 v[87:88], v[93:94], v[125:126], v[87:88]
	v_fma_f64 v[85:86], v[91:92], v[125:126], -v[85:86]
	v_add_f64 v[123:124], v[123:124], -v[87:88]
	v_add_f64 v[121:122], v[121:122], -v[85:86]
.LBB118_146:
	s_or_b64 exec, exec, s[0:1]
	s_waitcnt vmcnt(0)
	s_barrier
	buffer_load_dword v91, off, s[24:27], 0 offset:448 ; 4-byte Folded Reload
	buffer_load_dword v92, off, s[24:27], 0 offset:452 ; 4-byte Folded Reload
	;; [unrolled: 1-line block ×4, first 2 shown]
	v_lshl_add_u32 v85, v89, 4, v0
	s_cmp_lt_i32 s3, 9
	s_waitcnt vmcnt(0)
	ds_write2_b64 v85, v[91:92], v[93:94] offset1:1
	s_waitcnt lgkmcnt(0)
	s_barrier
	ds_read2_b64 v[117:120], v0 offset0:14 offset1:15
	v_mov_b32_e32 v85, 7
	s_cbranch_scc1 .LBB118_149
; %bb.147:
	v_add_u32_e32 v86, 0x80, v0
	s_mov_b32 s0, 8
	v_mov_b32_e32 v85, 7
.LBB118_148:                            ; =>This Inner Loop Header: Depth=1
	s_waitcnt lgkmcnt(0)
	v_cmp_gt_f64_e32 vcc, 0, v[117:118]
	v_xor_b32_e32 v87, 0x80000000, v118
	ds_read2_b64 v[91:94], v86 offset1:1
	v_xor_b32_e32 v95, 0x80000000, v120
	v_add_u32_e32 v86, 16, v86
	s_waitcnt lgkmcnt(0)
	v_xor_b32_e32 v97, 0x80000000, v94
	v_cndmask_b32_e32 v88, v118, v87, vcc
	v_cmp_gt_f64_e32 vcc, 0, v[119:120]
	v_mov_b32_e32 v87, v117
	v_cndmask_b32_e32 v96, v120, v95, vcc
	v_cmp_gt_f64_e32 vcc, 0, v[91:92]
	v_mov_b32_e32 v95, v119
	v_add_f64 v[87:88], v[87:88], v[95:96]
	v_xor_b32_e32 v95, 0x80000000, v92
	v_cndmask_b32_e32 v96, v92, v95, vcc
	v_cmp_gt_f64_e32 vcc, 0, v[93:94]
	v_mov_b32_e32 v95, v91
	v_cndmask_b32_e32 v98, v94, v97, vcc
	v_mov_b32_e32 v97, v93
	v_add_f64 v[95:96], v[95:96], v[97:98]
	v_cmp_lt_f64_e32 vcc, v[87:88], v[95:96]
	v_mov_b32_e32 v87, s0
	s_add_i32 s0, s0, 1
	s_cmp_lg_u32 s3, s0
	v_cndmask_b32_e32 v118, v118, v92, vcc
	v_cndmask_b32_e32 v117, v117, v91, vcc
	;; [unrolled: 1-line block ×5, first 2 shown]
	s_cbranch_scc1 .LBB118_148
.LBB118_149:
	s_waitcnt lgkmcnt(0)
	v_cmp_eq_f64_e32 vcc, 0, v[117:118]
	v_cmp_eq_f64_e64 s[0:1], 0, v[119:120]
	s_and_b64 s[0:1], vcc, s[0:1]
	s_and_saveexec_b64 s[18:19], s[0:1]
	s_xor_b64 s[0:1], exec, s[18:19]
; %bb.150:
	v_cmp_ne_u32_e32 vcc, 0, v90
	v_cndmask_b32_e32 v90, 8, v90, vcc
; %bb.151:
	s_andn2_saveexec_b64 s[0:1], s[0:1]
	s_cbranch_execz .LBB118_157
; %bb.152:
	v_cmp_ngt_f64_e64 s[18:19], |v[117:118]|, |v[119:120]|
	s_and_saveexec_b64 s[20:21], s[18:19]
	s_xor_b64 s[18:19], exec, s[20:21]
	s_cbranch_execz .LBB118_154
; %bb.153:
	v_div_scale_f64 v[86:87], s[20:21], v[119:120], v[119:120], v[117:118]
	v_rcp_f64_e32 v[91:92], v[86:87]
	v_fma_f64 v[93:94], -v[86:87], v[91:92], 1.0
	v_fma_f64 v[91:92], v[91:92], v[93:94], v[91:92]
	v_div_scale_f64 v[93:94], vcc, v[117:118], v[119:120], v[117:118]
	v_fma_f64 v[95:96], -v[86:87], v[91:92], 1.0
	v_fma_f64 v[91:92], v[91:92], v[95:96], v[91:92]
	v_mul_f64 v[95:96], v[93:94], v[91:92]
	v_fma_f64 v[86:87], -v[86:87], v[95:96], v[93:94]
	v_div_fmas_f64 v[86:87], v[86:87], v[91:92], v[95:96]
	v_div_fixup_f64 v[86:87], v[86:87], v[119:120], v[117:118]
	v_fma_f64 v[91:92], v[117:118], v[86:87], v[119:120]
	v_div_scale_f64 v[93:94], s[20:21], v[91:92], v[91:92], 1.0
	v_div_scale_f64 v[99:100], vcc, 1.0, v[91:92], 1.0
	v_rcp_f64_e32 v[95:96], v[93:94]
	v_fma_f64 v[97:98], -v[93:94], v[95:96], 1.0
	v_fma_f64 v[95:96], v[95:96], v[97:98], v[95:96]
	v_fma_f64 v[97:98], -v[93:94], v[95:96], 1.0
	v_fma_f64 v[95:96], v[95:96], v[97:98], v[95:96]
	v_mul_f64 v[97:98], v[99:100], v[95:96]
	v_fma_f64 v[93:94], -v[93:94], v[97:98], v[99:100]
	v_div_fmas_f64 v[93:94], v[93:94], v[95:96], v[97:98]
	v_div_fixup_f64 v[119:120], v[93:94], v[91:92], 1.0
	v_mul_f64 v[117:118], v[86:87], v[119:120]
	v_xor_b32_e32 v120, 0x80000000, v120
.LBB118_154:
	s_andn2_saveexec_b64 s[18:19], s[18:19]
	s_cbranch_execz .LBB118_156
; %bb.155:
	v_div_scale_f64 v[86:87], s[20:21], v[117:118], v[117:118], v[119:120]
	v_rcp_f64_e32 v[91:92], v[86:87]
	v_fma_f64 v[93:94], -v[86:87], v[91:92], 1.0
	v_fma_f64 v[91:92], v[91:92], v[93:94], v[91:92]
	v_div_scale_f64 v[93:94], vcc, v[119:120], v[117:118], v[119:120]
	v_fma_f64 v[95:96], -v[86:87], v[91:92], 1.0
	v_fma_f64 v[91:92], v[91:92], v[95:96], v[91:92]
	v_mul_f64 v[95:96], v[93:94], v[91:92]
	v_fma_f64 v[86:87], -v[86:87], v[95:96], v[93:94]
	v_div_fmas_f64 v[86:87], v[86:87], v[91:92], v[95:96]
	v_div_fixup_f64 v[86:87], v[86:87], v[117:118], v[119:120]
	v_fma_f64 v[91:92], v[119:120], v[86:87], v[117:118]
	v_div_scale_f64 v[93:94], s[20:21], v[91:92], v[91:92], 1.0
	v_div_scale_f64 v[99:100], vcc, 1.0, v[91:92], 1.0
	v_rcp_f64_e32 v[95:96], v[93:94]
	v_fma_f64 v[97:98], -v[93:94], v[95:96], 1.0
	v_fma_f64 v[95:96], v[95:96], v[97:98], v[95:96]
	v_fma_f64 v[97:98], -v[93:94], v[95:96], 1.0
	v_fma_f64 v[95:96], v[95:96], v[97:98], v[95:96]
	v_mul_f64 v[97:98], v[99:100], v[95:96]
	v_fma_f64 v[93:94], -v[93:94], v[97:98], v[99:100]
	v_div_fmas_f64 v[93:94], v[93:94], v[95:96], v[97:98]
	v_div_fixup_f64 v[117:118], v[93:94], v[91:92], 1.0
	v_mul_f64 v[119:120], v[86:87], -v[117:118]
.LBB118_156:
	s_or_b64 exec, exec, s[18:19]
.LBB118_157:
	s_or_b64 exec, exec, s[0:1]
	v_cmp_ne_u32_e32 vcc, v89, v85
	s_and_saveexec_b64 s[0:1], vcc
	s_xor_b64 s[0:1], exec, s[0:1]
	s_cbranch_execz .LBB118_163
; %bb.158:
	v_cmp_eq_u32_e32 vcc, 7, v89
	s_and_saveexec_b64 s[18:19], vcc
	s_cbranch_execz .LBB118_162
; %bb.159:
	v_cmp_ne_u32_e32 vcc, 7, v85
	s_xor_b64 s[20:21], s[6:7], -1
	s_and_b64 s[22:23], s[20:21], vcc
	s_and_saveexec_b64 s[20:21], s[22:23]
	s_cbranch_execz .LBB118_161
; %bb.160:
	v_ashrrev_i32_e32 v86, 31, v85
	v_lshlrev_b64 v[86:87], 2, v[85:86]
	v_add_co_u32_e32 v86, vcc, v107, v86
	v_addc_co_u32_e32 v87, vcc, v108, v87, vcc
	global_load_dword v88, v[86:87], off
	global_load_dword v89, v[107:108], off offset:28
	s_waitcnt vmcnt(1)
	global_store_dword v[107:108], v88, off offset:28
	s_waitcnt vmcnt(1)
	global_store_dword v[86:87], v89, off
.LBB118_161:
	s_or_b64 exec, exec, s[20:21]
	v_mov_b32_e32 v89, v85
	v_mov_b32_e32 v127, v85
.LBB118_162:
	s_or_b64 exec, exec, s[18:19]
.LBB118_163:
	s_andn2_saveexec_b64 s[0:1], s[0:1]
	s_cbranch_execz .LBB118_165
; %bb.164:
	buffer_load_dword v85, off, s[24:27], 0 offset:432 ; 4-byte Folded Reload
	buffer_load_dword v86, off, s[24:27], 0 offset:436 ; 4-byte Folded Reload
	;; [unrolled: 1-line block ×4, first 2 shown]
	v_mov_b32_e32 v89, 7
	s_waitcnt vmcnt(0)
	ds_write2_b64 v0, v[85:86], v[87:88] offset0:16 offset1:17
	buffer_load_dword v85, off, s[24:27], 0 offset:416 ; 4-byte Folded Reload
	buffer_load_dword v86, off, s[24:27], 0 offset:420 ; 4-byte Folded Reload
	buffer_load_dword v87, off, s[24:27], 0 offset:424 ; 4-byte Folded Reload
	buffer_load_dword v88, off, s[24:27], 0 offset:428 ; 4-byte Folded Reload
	s_waitcnt vmcnt(0)
	ds_write2_b64 v0, v[85:86], v[87:88] offset0:18 offset1:19
	buffer_load_dword v85, off, s[24:27], 0 offset:400 ; 4-byte Folded Reload
	buffer_load_dword v86, off, s[24:27], 0 offset:404 ; 4-byte Folded Reload
	buffer_load_dword v87, off, s[24:27], 0 offset:408 ; 4-byte Folded Reload
	buffer_load_dword v88, off, s[24:27], 0 offset:412 ; 4-byte Folded Reload
	;; [unrolled: 6-line block ×26, first 2 shown]
	s_waitcnt vmcnt(0)
	ds_write2_b64 v0, v[85:86], v[87:88] offset0:68 offset1:69
	buffer_load_dword v85, off, s[24:27], 0 ; 4-byte Folded Reload
	buffer_load_dword v86, off, s[24:27], 0 offset:4 ; 4-byte Folded Reload
	buffer_load_dword v87, off, s[24:27], 0 offset:8 ; 4-byte Folded Reload
	;; [unrolled: 1-line block ×3, first 2 shown]
	s_waitcnt vmcnt(0)
	ds_write2_b64 v0, v[85:86], v[87:88] offset0:70 offset1:71
	ds_write2_b64 v0, v[113:114], v[115:116] offset0:72 offset1:73
	;; [unrolled: 1-line block ×25, first 2 shown]
.LBB118_165:
	s_or_b64 exec, exec, s[0:1]
	v_cmp_lt_i32_e32 vcc, 7, v89
	s_waitcnt vmcnt(0) lgkmcnt(0)
	s_barrier
	s_and_saveexec_b64 s[0:1], vcc
	s_cbranch_execz .LBB118_167
; %bb.166:
	buffer_load_dword v95, off, s[24:27], 0 offset:448 ; 4-byte Folded Reload
	buffer_load_dword v96, off, s[24:27], 0 offset:452 ; 4-byte Folded Reload
	;; [unrolled: 1-line block ×4, first 2 shown]
	s_waitcnt vmcnt(0)
	v_mul_f64 v[85:86], v[119:120], v[97:98]
	v_fma_f64 v[125:126], v[117:118], v[95:96], -v[85:86]
	v_mul_f64 v[85:86], v[117:118], v[97:98]
	v_fma_f64 v[97:98], v[119:120], v[95:96], v[85:86]
	ds_read2_b64 v[85:88], v0 offset0:16 offset1:17
	buffer_load_dword v93, off, s[24:27], 0 offset:432 ; 4-byte Folded Reload
	buffer_load_dword v94, off, s[24:27], 0 offset:436 ; 4-byte Folded Reload
	buffer_load_dword v95, off, s[24:27], 0 offset:440 ; 4-byte Folded Reload
	buffer_load_dword v96, off, s[24:27], 0 offset:444 ; 4-byte Folded Reload
	s_waitcnt lgkmcnt(0)
	v_mul_f64 v[91:92], v[87:88], v[97:98]
	v_fma_f64 v[91:92], v[85:86], v[125:126], -v[91:92]
	v_mul_f64 v[85:86], v[85:86], v[97:98]
	v_fma_f64 v[85:86], v[87:88], v[125:126], v[85:86]
	s_waitcnt vmcnt(2)
	v_add_f64 v[93:94], v[93:94], -v[91:92]
	s_waitcnt vmcnt(0)
	v_add_f64 v[95:96], v[95:96], -v[85:86]
	buffer_store_dword v93, off, s[24:27], 0 offset:432 ; 4-byte Folded Spill
	s_nop 0
	buffer_store_dword v94, off, s[24:27], 0 offset:436 ; 4-byte Folded Spill
	buffer_store_dword v95, off, s[24:27], 0 offset:440 ; 4-byte Folded Spill
	buffer_store_dword v96, off, s[24:27], 0 offset:444 ; 4-byte Folded Spill
	ds_read2_b64 v[85:88], v0 offset0:18 offset1:19
	buffer_load_dword v93, off, s[24:27], 0 offset:416 ; 4-byte Folded Reload
	buffer_load_dword v94, off, s[24:27], 0 offset:420 ; 4-byte Folded Reload
	buffer_load_dword v95, off, s[24:27], 0 offset:424 ; 4-byte Folded Reload
	buffer_load_dword v96, off, s[24:27], 0 offset:428 ; 4-byte Folded Reload
	s_waitcnt lgkmcnt(0)
	v_mul_f64 v[91:92], v[87:88], v[97:98]
	v_fma_f64 v[91:92], v[85:86], v[125:126], -v[91:92]
	v_mul_f64 v[85:86], v[85:86], v[97:98]
	v_fma_f64 v[85:86], v[87:88], v[125:126], v[85:86]
	s_waitcnt vmcnt(2)
	v_add_f64 v[93:94], v[93:94], -v[91:92]
	s_waitcnt vmcnt(0)
	v_add_f64 v[95:96], v[95:96], -v[85:86]
	buffer_store_dword v93, off, s[24:27], 0 offset:416 ; 4-byte Folded Spill
	s_nop 0
	buffer_store_dword v94, off, s[24:27], 0 offset:420 ; 4-byte Folded Spill
	buffer_store_dword v95, off, s[24:27], 0 offset:424 ; 4-byte Folded Spill
	buffer_store_dword v96, off, s[24:27], 0 offset:428 ; 4-byte Folded Spill
	;; [unrolled: 19-line block ×27, first 2 shown]
	ds_read2_b64 v[85:88], v0 offset0:70 offset1:71
	buffer_load_dword v93, off, s[24:27], 0 ; 4-byte Folded Reload
	buffer_load_dword v94, off, s[24:27], 0 offset:4 ; 4-byte Folded Reload
	buffer_load_dword v95, off, s[24:27], 0 offset:8 ; 4-byte Folded Reload
	;; [unrolled: 1-line block ×3, first 2 shown]
	s_waitcnt lgkmcnt(0)
	v_mul_f64 v[91:92], v[87:88], v[97:98]
	v_fma_f64 v[91:92], v[85:86], v[125:126], -v[91:92]
	v_mul_f64 v[85:86], v[85:86], v[97:98]
	v_fma_f64 v[85:86], v[87:88], v[125:126], v[85:86]
	s_waitcnt vmcnt(2)
	v_add_f64 v[93:94], v[93:94], -v[91:92]
	s_waitcnt vmcnt(0)
	v_add_f64 v[95:96], v[95:96], -v[85:86]
	buffer_store_dword v93, off, s[24:27], 0 ; 4-byte Folded Spill
	s_nop 0
	buffer_store_dword v94, off, s[24:27], 0 offset:4 ; 4-byte Folded Spill
	buffer_store_dword v95, off, s[24:27], 0 offset:8 ; 4-byte Folded Spill
	;; [unrolled: 1-line block ×3, first 2 shown]
	ds_read2_b64 v[85:88], v0 offset0:72 offset1:73
	v_mov_b32_e32 v95, v125
	v_mov_b32_e32 v96, v126
	s_waitcnt lgkmcnt(0)
	v_mul_f64 v[91:92], v[87:88], v[97:98]
	v_fma_f64 v[91:92], v[85:86], v[125:126], -v[91:92]
	v_mul_f64 v[85:86], v[85:86], v[97:98]
	v_add_f64 v[113:114], v[113:114], -v[91:92]
	v_fma_f64 v[85:86], v[87:88], v[125:126], v[85:86]
	v_add_f64 v[115:116], v[115:116], -v[85:86]
	ds_read2_b64 v[85:88], v0 offset0:74 offset1:75
	s_waitcnt lgkmcnt(0)
	v_mul_f64 v[91:92], v[87:88], v[97:98]
	v_fma_f64 v[91:92], v[85:86], v[125:126], -v[91:92]
	v_mul_f64 v[85:86], v[85:86], v[97:98]
	v_add_f64 v[109:110], v[109:110], -v[91:92]
	v_fma_f64 v[85:86], v[87:88], v[125:126], v[85:86]
	v_add_f64 v[111:112], v[111:112], -v[85:86]
	ds_read2_b64 v[85:88], v0 offset0:76 offset1:77
	;; [unrolled: 8-line block ×22, first 2 shown]
	s_waitcnt lgkmcnt(0)
	v_mul_f64 v[91:92], v[87:88], v[97:98]
	v_fma_f64 v[91:92], v[85:86], v[125:126], -v[91:92]
	v_mul_f64 v[85:86], v[85:86], v[97:98]
	v_add_f64 v[1:2], v[1:2], -v[91:92]
	v_fma_f64 v[85:86], v[87:88], v[125:126], v[85:86]
	ds_read2_b64 v[91:94], v0 offset0:118 offset1:119
	s_waitcnt lgkmcnt(0)
	v_mul_f64 v[87:88], v[91:92], v[97:98]
	v_add_f64 v[3:4], v[3:4], -v[85:86]
	v_mul_f64 v[85:86], v[93:94], v[97:98]
	buffer_store_dword v95, off, s[24:27], 0 offset:448 ; 4-byte Folded Spill
	s_nop 0
	buffer_store_dword v96, off, s[24:27], 0 offset:452 ; 4-byte Folded Spill
	buffer_store_dword v97, off, s[24:27], 0 offset:456 ; 4-byte Folded Spill
	;; [unrolled: 1-line block ×3, first 2 shown]
	v_fma_f64 v[87:88], v[93:94], v[125:126], v[87:88]
	v_fma_f64 v[85:86], v[91:92], v[125:126], -v[85:86]
	v_add_f64 v[123:124], v[123:124], -v[87:88]
	v_add_f64 v[121:122], v[121:122], -v[85:86]
.LBB118_167:
	s_or_b64 exec, exec, s[0:1]
	s_waitcnt vmcnt(0)
	s_barrier
	buffer_load_dword v91, off, s[24:27], 0 offset:432 ; 4-byte Folded Reload
	buffer_load_dword v92, off, s[24:27], 0 offset:436 ; 4-byte Folded Reload
	;; [unrolled: 1-line block ×4, first 2 shown]
	v_lshl_add_u32 v85, v89, 4, v0
	s_cmp_lt_i32 s3, 10
	s_waitcnt vmcnt(0)
	ds_write2_b64 v85, v[91:92], v[93:94] offset1:1
	s_waitcnt lgkmcnt(0)
	s_barrier
	ds_read2_b64 v[117:120], v0 offset0:16 offset1:17
	v_mov_b32_e32 v85, 8
	s_cbranch_scc1 .LBB118_170
; %bb.168:
	v_add_u32_e32 v86, 0x90, v0
	s_mov_b32 s0, 9
	v_mov_b32_e32 v85, 8
.LBB118_169:                            ; =>This Inner Loop Header: Depth=1
	s_waitcnt lgkmcnt(0)
	v_cmp_gt_f64_e32 vcc, 0, v[117:118]
	v_xor_b32_e32 v87, 0x80000000, v118
	ds_read2_b64 v[91:94], v86 offset1:1
	v_xor_b32_e32 v95, 0x80000000, v120
	v_add_u32_e32 v86, 16, v86
	s_waitcnt lgkmcnt(0)
	v_xor_b32_e32 v97, 0x80000000, v94
	v_cndmask_b32_e32 v88, v118, v87, vcc
	v_cmp_gt_f64_e32 vcc, 0, v[119:120]
	v_mov_b32_e32 v87, v117
	v_cndmask_b32_e32 v96, v120, v95, vcc
	v_cmp_gt_f64_e32 vcc, 0, v[91:92]
	v_mov_b32_e32 v95, v119
	v_add_f64 v[87:88], v[87:88], v[95:96]
	v_xor_b32_e32 v95, 0x80000000, v92
	v_cndmask_b32_e32 v96, v92, v95, vcc
	v_cmp_gt_f64_e32 vcc, 0, v[93:94]
	v_mov_b32_e32 v95, v91
	v_cndmask_b32_e32 v98, v94, v97, vcc
	v_mov_b32_e32 v97, v93
	v_add_f64 v[95:96], v[95:96], v[97:98]
	v_cmp_lt_f64_e32 vcc, v[87:88], v[95:96]
	v_mov_b32_e32 v87, s0
	s_add_i32 s0, s0, 1
	s_cmp_lg_u32 s3, s0
	v_cndmask_b32_e32 v118, v118, v92, vcc
	v_cndmask_b32_e32 v117, v117, v91, vcc
	;; [unrolled: 1-line block ×5, first 2 shown]
	s_cbranch_scc1 .LBB118_169
.LBB118_170:
	s_waitcnt lgkmcnt(0)
	v_cmp_eq_f64_e32 vcc, 0, v[117:118]
	v_cmp_eq_f64_e64 s[0:1], 0, v[119:120]
	s_and_b64 s[0:1], vcc, s[0:1]
	s_and_saveexec_b64 s[18:19], s[0:1]
	s_xor_b64 s[0:1], exec, s[18:19]
; %bb.171:
	v_cmp_ne_u32_e32 vcc, 0, v90
	v_cndmask_b32_e32 v90, 9, v90, vcc
; %bb.172:
	s_andn2_saveexec_b64 s[0:1], s[0:1]
	s_cbranch_execz .LBB118_178
; %bb.173:
	v_cmp_ngt_f64_e64 s[18:19], |v[117:118]|, |v[119:120]|
	s_and_saveexec_b64 s[20:21], s[18:19]
	s_xor_b64 s[18:19], exec, s[20:21]
	s_cbranch_execz .LBB118_175
; %bb.174:
	v_div_scale_f64 v[86:87], s[20:21], v[119:120], v[119:120], v[117:118]
	v_rcp_f64_e32 v[91:92], v[86:87]
	v_fma_f64 v[93:94], -v[86:87], v[91:92], 1.0
	v_fma_f64 v[91:92], v[91:92], v[93:94], v[91:92]
	v_div_scale_f64 v[93:94], vcc, v[117:118], v[119:120], v[117:118]
	v_fma_f64 v[95:96], -v[86:87], v[91:92], 1.0
	v_fma_f64 v[91:92], v[91:92], v[95:96], v[91:92]
	v_mul_f64 v[95:96], v[93:94], v[91:92]
	v_fma_f64 v[86:87], -v[86:87], v[95:96], v[93:94]
	v_div_fmas_f64 v[86:87], v[86:87], v[91:92], v[95:96]
	v_div_fixup_f64 v[86:87], v[86:87], v[119:120], v[117:118]
	v_fma_f64 v[91:92], v[117:118], v[86:87], v[119:120]
	v_div_scale_f64 v[93:94], s[20:21], v[91:92], v[91:92], 1.0
	v_div_scale_f64 v[99:100], vcc, 1.0, v[91:92], 1.0
	v_rcp_f64_e32 v[95:96], v[93:94]
	v_fma_f64 v[97:98], -v[93:94], v[95:96], 1.0
	v_fma_f64 v[95:96], v[95:96], v[97:98], v[95:96]
	v_fma_f64 v[97:98], -v[93:94], v[95:96], 1.0
	v_fma_f64 v[95:96], v[95:96], v[97:98], v[95:96]
	v_mul_f64 v[97:98], v[99:100], v[95:96]
	v_fma_f64 v[93:94], -v[93:94], v[97:98], v[99:100]
	v_div_fmas_f64 v[93:94], v[93:94], v[95:96], v[97:98]
	v_div_fixup_f64 v[119:120], v[93:94], v[91:92], 1.0
	v_mul_f64 v[117:118], v[86:87], v[119:120]
	v_xor_b32_e32 v120, 0x80000000, v120
.LBB118_175:
	s_andn2_saveexec_b64 s[18:19], s[18:19]
	s_cbranch_execz .LBB118_177
; %bb.176:
	v_div_scale_f64 v[86:87], s[20:21], v[117:118], v[117:118], v[119:120]
	v_rcp_f64_e32 v[91:92], v[86:87]
	v_fma_f64 v[93:94], -v[86:87], v[91:92], 1.0
	v_fma_f64 v[91:92], v[91:92], v[93:94], v[91:92]
	v_div_scale_f64 v[93:94], vcc, v[119:120], v[117:118], v[119:120]
	v_fma_f64 v[95:96], -v[86:87], v[91:92], 1.0
	v_fma_f64 v[91:92], v[91:92], v[95:96], v[91:92]
	v_mul_f64 v[95:96], v[93:94], v[91:92]
	v_fma_f64 v[86:87], -v[86:87], v[95:96], v[93:94]
	v_div_fmas_f64 v[86:87], v[86:87], v[91:92], v[95:96]
	v_div_fixup_f64 v[86:87], v[86:87], v[117:118], v[119:120]
	v_fma_f64 v[91:92], v[119:120], v[86:87], v[117:118]
	v_div_scale_f64 v[93:94], s[20:21], v[91:92], v[91:92], 1.0
	v_div_scale_f64 v[99:100], vcc, 1.0, v[91:92], 1.0
	v_rcp_f64_e32 v[95:96], v[93:94]
	v_fma_f64 v[97:98], -v[93:94], v[95:96], 1.0
	v_fma_f64 v[95:96], v[95:96], v[97:98], v[95:96]
	v_fma_f64 v[97:98], -v[93:94], v[95:96], 1.0
	v_fma_f64 v[95:96], v[95:96], v[97:98], v[95:96]
	v_mul_f64 v[97:98], v[99:100], v[95:96]
	v_fma_f64 v[93:94], -v[93:94], v[97:98], v[99:100]
	v_div_fmas_f64 v[93:94], v[93:94], v[95:96], v[97:98]
	v_div_fixup_f64 v[117:118], v[93:94], v[91:92], 1.0
	v_mul_f64 v[119:120], v[86:87], -v[117:118]
.LBB118_177:
	s_or_b64 exec, exec, s[18:19]
.LBB118_178:
	s_or_b64 exec, exec, s[0:1]
	v_cmp_ne_u32_e32 vcc, v89, v85
	s_and_saveexec_b64 s[0:1], vcc
	s_xor_b64 s[0:1], exec, s[0:1]
	s_cbranch_execz .LBB118_184
; %bb.179:
	v_cmp_eq_u32_e32 vcc, 8, v89
	s_and_saveexec_b64 s[18:19], vcc
	s_cbranch_execz .LBB118_183
; %bb.180:
	v_cmp_ne_u32_e32 vcc, 8, v85
	s_xor_b64 s[20:21], s[6:7], -1
	s_and_b64 s[22:23], s[20:21], vcc
	s_and_saveexec_b64 s[20:21], s[22:23]
	s_cbranch_execz .LBB118_182
; %bb.181:
	v_ashrrev_i32_e32 v86, 31, v85
	v_lshlrev_b64 v[86:87], 2, v[85:86]
	v_add_co_u32_e32 v86, vcc, v107, v86
	v_addc_co_u32_e32 v87, vcc, v108, v87, vcc
	global_load_dword v88, v[86:87], off
	global_load_dword v89, v[107:108], off offset:32
	s_waitcnt vmcnt(1)
	global_store_dword v[107:108], v88, off offset:32
	s_waitcnt vmcnt(1)
	global_store_dword v[86:87], v89, off
.LBB118_182:
	s_or_b64 exec, exec, s[20:21]
	v_mov_b32_e32 v89, v85
	v_mov_b32_e32 v127, v85
.LBB118_183:
	s_or_b64 exec, exec, s[18:19]
.LBB118_184:
	s_andn2_saveexec_b64 s[0:1], s[0:1]
	s_cbranch_execz .LBB118_186
; %bb.185:
	buffer_load_dword v85, off, s[24:27], 0 offset:416 ; 4-byte Folded Reload
	buffer_load_dword v86, off, s[24:27], 0 offset:420 ; 4-byte Folded Reload
	;; [unrolled: 1-line block ×4, first 2 shown]
	v_mov_b32_e32 v89, 8
	s_waitcnt vmcnt(0)
	ds_write2_b64 v0, v[85:86], v[87:88] offset0:18 offset1:19
	buffer_load_dword v85, off, s[24:27], 0 offset:400 ; 4-byte Folded Reload
	buffer_load_dword v86, off, s[24:27], 0 offset:404 ; 4-byte Folded Reload
	buffer_load_dword v87, off, s[24:27], 0 offset:408 ; 4-byte Folded Reload
	buffer_load_dword v88, off, s[24:27], 0 offset:412 ; 4-byte Folded Reload
	s_waitcnt vmcnt(0)
	ds_write2_b64 v0, v[85:86], v[87:88] offset0:20 offset1:21
	buffer_load_dword v85, off, s[24:27], 0 offset:384 ; 4-byte Folded Reload
	buffer_load_dword v86, off, s[24:27], 0 offset:388 ; 4-byte Folded Reload
	buffer_load_dword v87, off, s[24:27], 0 offset:392 ; 4-byte Folded Reload
	buffer_load_dword v88, off, s[24:27], 0 offset:396 ; 4-byte Folded Reload
	;; [unrolled: 6-line block ×25, first 2 shown]
	s_waitcnt vmcnt(0)
	ds_write2_b64 v0, v[85:86], v[87:88] offset0:68 offset1:69
	buffer_load_dword v85, off, s[24:27], 0 ; 4-byte Folded Reload
	buffer_load_dword v86, off, s[24:27], 0 offset:4 ; 4-byte Folded Reload
	buffer_load_dword v87, off, s[24:27], 0 offset:8 ; 4-byte Folded Reload
	;; [unrolled: 1-line block ×3, first 2 shown]
	s_waitcnt vmcnt(0)
	ds_write2_b64 v0, v[85:86], v[87:88] offset0:70 offset1:71
	ds_write2_b64 v0, v[113:114], v[115:116] offset0:72 offset1:73
	;; [unrolled: 1-line block ×25, first 2 shown]
.LBB118_186:
	s_or_b64 exec, exec, s[0:1]
	v_cmp_lt_i32_e32 vcc, 8, v89
	s_waitcnt vmcnt(0) lgkmcnt(0)
	s_barrier
	s_and_saveexec_b64 s[0:1], vcc
	s_cbranch_execz .LBB118_188
; %bb.187:
	buffer_load_dword v95, off, s[24:27], 0 offset:432 ; 4-byte Folded Reload
	buffer_load_dword v96, off, s[24:27], 0 offset:436 ; 4-byte Folded Reload
	;; [unrolled: 1-line block ×4, first 2 shown]
	s_waitcnt vmcnt(0)
	v_mul_f64 v[85:86], v[119:120], v[97:98]
	v_fma_f64 v[125:126], v[117:118], v[95:96], -v[85:86]
	v_mul_f64 v[85:86], v[117:118], v[97:98]
	v_fma_f64 v[97:98], v[119:120], v[95:96], v[85:86]
	ds_read2_b64 v[85:88], v0 offset0:18 offset1:19
	buffer_load_dword v93, off, s[24:27], 0 offset:416 ; 4-byte Folded Reload
	buffer_load_dword v94, off, s[24:27], 0 offset:420 ; 4-byte Folded Reload
	buffer_load_dword v95, off, s[24:27], 0 offset:424 ; 4-byte Folded Reload
	buffer_load_dword v96, off, s[24:27], 0 offset:428 ; 4-byte Folded Reload
	s_waitcnt lgkmcnt(0)
	v_mul_f64 v[91:92], v[87:88], v[97:98]
	v_fma_f64 v[91:92], v[85:86], v[125:126], -v[91:92]
	v_mul_f64 v[85:86], v[85:86], v[97:98]
	v_fma_f64 v[85:86], v[87:88], v[125:126], v[85:86]
	s_waitcnt vmcnt(2)
	v_add_f64 v[93:94], v[93:94], -v[91:92]
	s_waitcnt vmcnt(0)
	v_add_f64 v[95:96], v[95:96], -v[85:86]
	buffer_store_dword v93, off, s[24:27], 0 offset:416 ; 4-byte Folded Spill
	s_nop 0
	buffer_store_dword v94, off, s[24:27], 0 offset:420 ; 4-byte Folded Spill
	buffer_store_dword v95, off, s[24:27], 0 offset:424 ; 4-byte Folded Spill
	buffer_store_dword v96, off, s[24:27], 0 offset:428 ; 4-byte Folded Spill
	ds_read2_b64 v[85:88], v0 offset0:20 offset1:21
	buffer_load_dword v93, off, s[24:27], 0 offset:400 ; 4-byte Folded Reload
	buffer_load_dword v94, off, s[24:27], 0 offset:404 ; 4-byte Folded Reload
	buffer_load_dword v95, off, s[24:27], 0 offset:408 ; 4-byte Folded Reload
	buffer_load_dword v96, off, s[24:27], 0 offset:412 ; 4-byte Folded Reload
	s_waitcnt lgkmcnt(0)
	v_mul_f64 v[91:92], v[87:88], v[97:98]
	v_fma_f64 v[91:92], v[85:86], v[125:126], -v[91:92]
	v_mul_f64 v[85:86], v[85:86], v[97:98]
	v_fma_f64 v[85:86], v[87:88], v[125:126], v[85:86]
	s_waitcnt vmcnt(2)
	v_add_f64 v[93:94], v[93:94], -v[91:92]
	s_waitcnt vmcnt(0)
	v_add_f64 v[95:96], v[95:96], -v[85:86]
	buffer_store_dword v93, off, s[24:27], 0 offset:400 ; 4-byte Folded Spill
	s_nop 0
	buffer_store_dword v94, off, s[24:27], 0 offset:404 ; 4-byte Folded Spill
	buffer_store_dword v95, off, s[24:27], 0 offset:408 ; 4-byte Folded Spill
	buffer_store_dword v96, off, s[24:27], 0 offset:412 ; 4-byte Folded Spill
	;; [unrolled: 19-line block ×26, first 2 shown]
	ds_read2_b64 v[85:88], v0 offset0:70 offset1:71
	buffer_load_dword v93, off, s[24:27], 0 ; 4-byte Folded Reload
	buffer_load_dword v94, off, s[24:27], 0 offset:4 ; 4-byte Folded Reload
	buffer_load_dword v95, off, s[24:27], 0 offset:8 ; 4-byte Folded Reload
	;; [unrolled: 1-line block ×3, first 2 shown]
	s_waitcnt lgkmcnt(0)
	v_mul_f64 v[91:92], v[87:88], v[97:98]
	v_fma_f64 v[91:92], v[85:86], v[125:126], -v[91:92]
	v_mul_f64 v[85:86], v[85:86], v[97:98]
	v_fma_f64 v[85:86], v[87:88], v[125:126], v[85:86]
	s_waitcnt vmcnt(2)
	v_add_f64 v[93:94], v[93:94], -v[91:92]
	s_waitcnt vmcnt(0)
	v_add_f64 v[95:96], v[95:96], -v[85:86]
	buffer_store_dword v93, off, s[24:27], 0 ; 4-byte Folded Spill
	s_nop 0
	buffer_store_dword v94, off, s[24:27], 0 offset:4 ; 4-byte Folded Spill
	buffer_store_dword v95, off, s[24:27], 0 offset:8 ; 4-byte Folded Spill
	;; [unrolled: 1-line block ×3, first 2 shown]
	ds_read2_b64 v[85:88], v0 offset0:72 offset1:73
	v_mov_b32_e32 v95, v125
	v_mov_b32_e32 v96, v126
	s_waitcnt lgkmcnt(0)
	v_mul_f64 v[91:92], v[87:88], v[97:98]
	v_fma_f64 v[91:92], v[85:86], v[125:126], -v[91:92]
	v_mul_f64 v[85:86], v[85:86], v[97:98]
	v_add_f64 v[113:114], v[113:114], -v[91:92]
	v_fma_f64 v[85:86], v[87:88], v[125:126], v[85:86]
	v_add_f64 v[115:116], v[115:116], -v[85:86]
	ds_read2_b64 v[85:88], v0 offset0:74 offset1:75
	s_waitcnt lgkmcnt(0)
	v_mul_f64 v[91:92], v[87:88], v[97:98]
	v_fma_f64 v[91:92], v[85:86], v[125:126], -v[91:92]
	v_mul_f64 v[85:86], v[85:86], v[97:98]
	v_add_f64 v[109:110], v[109:110], -v[91:92]
	v_fma_f64 v[85:86], v[87:88], v[125:126], v[85:86]
	v_add_f64 v[111:112], v[111:112], -v[85:86]
	ds_read2_b64 v[85:88], v0 offset0:76 offset1:77
	;; [unrolled: 8-line block ×22, first 2 shown]
	s_waitcnt lgkmcnt(0)
	v_mul_f64 v[91:92], v[87:88], v[97:98]
	v_fma_f64 v[91:92], v[85:86], v[125:126], -v[91:92]
	v_mul_f64 v[85:86], v[85:86], v[97:98]
	v_add_f64 v[1:2], v[1:2], -v[91:92]
	v_fma_f64 v[85:86], v[87:88], v[125:126], v[85:86]
	ds_read2_b64 v[91:94], v0 offset0:118 offset1:119
	s_waitcnt lgkmcnt(0)
	v_mul_f64 v[87:88], v[91:92], v[97:98]
	v_add_f64 v[3:4], v[3:4], -v[85:86]
	v_mul_f64 v[85:86], v[93:94], v[97:98]
	buffer_store_dword v95, off, s[24:27], 0 offset:432 ; 4-byte Folded Spill
	s_nop 0
	buffer_store_dword v96, off, s[24:27], 0 offset:436 ; 4-byte Folded Spill
	buffer_store_dword v97, off, s[24:27], 0 offset:440 ; 4-byte Folded Spill
	;; [unrolled: 1-line block ×3, first 2 shown]
	v_fma_f64 v[87:88], v[93:94], v[125:126], v[87:88]
	v_fma_f64 v[85:86], v[91:92], v[125:126], -v[85:86]
	v_add_f64 v[123:124], v[123:124], -v[87:88]
	v_add_f64 v[121:122], v[121:122], -v[85:86]
.LBB118_188:
	s_or_b64 exec, exec, s[0:1]
	s_waitcnt vmcnt(0)
	s_barrier
	buffer_load_dword v91, off, s[24:27], 0 offset:416 ; 4-byte Folded Reload
	buffer_load_dword v92, off, s[24:27], 0 offset:420 ; 4-byte Folded Reload
	;; [unrolled: 1-line block ×4, first 2 shown]
	v_lshl_add_u32 v85, v89, 4, v0
	s_cmp_lt_i32 s3, 11
	s_waitcnt vmcnt(0)
	ds_write2_b64 v85, v[91:92], v[93:94] offset1:1
	s_waitcnt lgkmcnt(0)
	s_barrier
	ds_read2_b64 v[117:120], v0 offset0:18 offset1:19
	v_mov_b32_e32 v85, 9
	s_cbranch_scc1 .LBB118_191
; %bb.189:
	v_add_u32_e32 v86, 0xa0, v0
	s_mov_b32 s0, 10
	v_mov_b32_e32 v85, 9
.LBB118_190:                            ; =>This Inner Loop Header: Depth=1
	s_waitcnt lgkmcnt(0)
	v_cmp_gt_f64_e32 vcc, 0, v[117:118]
	v_xor_b32_e32 v87, 0x80000000, v118
	ds_read2_b64 v[91:94], v86 offset1:1
	v_xor_b32_e32 v95, 0x80000000, v120
	v_add_u32_e32 v86, 16, v86
	s_waitcnt lgkmcnt(0)
	v_xor_b32_e32 v97, 0x80000000, v94
	v_cndmask_b32_e32 v88, v118, v87, vcc
	v_cmp_gt_f64_e32 vcc, 0, v[119:120]
	v_mov_b32_e32 v87, v117
	v_cndmask_b32_e32 v96, v120, v95, vcc
	v_cmp_gt_f64_e32 vcc, 0, v[91:92]
	v_mov_b32_e32 v95, v119
	v_add_f64 v[87:88], v[87:88], v[95:96]
	v_xor_b32_e32 v95, 0x80000000, v92
	v_cndmask_b32_e32 v96, v92, v95, vcc
	v_cmp_gt_f64_e32 vcc, 0, v[93:94]
	v_mov_b32_e32 v95, v91
	v_cndmask_b32_e32 v98, v94, v97, vcc
	v_mov_b32_e32 v97, v93
	v_add_f64 v[95:96], v[95:96], v[97:98]
	v_cmp_lt_f64_e32 vcc, v[87:88], v[95:96]
	v_mov_b32_e32 v87, s0
	s_add_i32 s0, s0, 1
	s_cmp_lg_u32 s3, s0
	v_cndmask_b32_e32 v118, v118, v92, vcc
	v_cndmask_b32_e32 v117, v117, v91, vcc
	;; [unrolled: 1-line block ×5, first 2 shown]
	s_cbranch_scc1 .LBB118_190
.LBB118_191:
	s_waitcnt lgkmcnt(0)
	v_cmp_eq_f64_e32 vcc, 0, v[117:118]
	v_cmp_eq_f64_e64 s[0:1], 0, v[119:120]
	s_and_b64 s[0:1], vcc, s[0:1]
	s_and_saveexec_b64 s[18:19], s[0:1]
	s_xor_b64 s[0:1], exec, s[18:19]
; %bb.192:
	v_cmp_ne_u32_e32 vcc, 0, v90
	v_cndmask_b32_e32 v90, 10, v90, vcc
; %bb.193:
	s_andn2_saveexec_b64 s[0:1], s[0:1]
	s_cbranch_execz .LBB118_199
; %bb.194:
	v_cmp_ngt_f64_e64 s[18:19], |v[117:118]|, |v[119:120]|
	s_and_saveexec_b64 s[20:21], s[18:19]
	s_xor_b64 s[18:19], exec, s[20:21]
	s_cbranch_execz .LBB118_196
; %bb.195:
	v_div_scale_f64 v[86:87], s[20:21], v[119:120], v[119:120], v[117:118]
	v_rcp_f64_e32 v[91:92], v[86:87]
	v_fma_f64 v[93:94], -v[86:87], v[91:92], 1.0
	v_fma_f64 v[91:92], v[91:92], v[93:94], v[91:92]
	v_div_scale_f64 v[93:94], vcc, v[117:118], v[119:120], v[117:118]
	v_fma_f64 v[95:96], -v[86:87], v[91:92], 1.0
	v_fma_f64 v[91:92], v[91:92], v[95:96], v[91:92]
	v_mul_f64 v[95:96], v[93:94], v[91:92]
	v_fma_f64 v[86:87], -v[86:87], v[95:96], v[93:94]
	v_div_fmas_f64 v[86:87], v[86:87], v[91:92], v[95:96]
	v_div_fixup_f64 v[86:87], v[86:87], v[119:120], v[117:118]
	v_fma_f64 v[91:92], v[117:118], v[86:87], v[119:120]
	v_div_scale_f64 v[93:94], s[20:21], v[91:92], v[91:92], 1.0
	v_div_scale_f64 v[99:100], vcc, 1.0, v[91:92], 1.0
	v_rcp_f64_e32 v[95:96], v[93:94]
	v_fma_f64 v[97:98], -v[93:94], v[95:96], 1.0
	v_fma_f64 v[95:96], v[95:96], v[97:98], v[95:96]
	v_fma_f64 v[97:98], -v[93:94], v[95:96], 1.0
	v_fma_f64 v[95:96], v[95:96], v[97:98], v[95:96]
	v_mul_f64 v[97:98], v[99:100], v[95:96]
	v_fma_f64 v[93:94], -v[93:94], v[97:98], v[99:100]
	v_div_fmas_f64 v[93:94], v[93:94], v[95:96], v[97:98]
	v_div_fixup_f64 v[119:120], v[93:94], v[91:92], 1.0
	v_mul_f64 v[117:118], v[86:87], v[119:120]
	v_xor_b32_e32 v120, 0x80000000, v120
.LBB118_196:
	s_andn2_saveexec_b64 s[18:19], s[18:19]
	s_cbranch_execz .LBB118_198
; %bb.197:
	v_div_scale_f64 v[86:87], s[20:21], v[117:118], v[117:118], v[119:120]
	v_rcp_f64_e32 v[91:92], v[86:87]
	v_fma_f64 v[93:94], -v[86:87], v[91:92], 1.0
	v_fma_f64 v[91:92], v[91:92], v[93:94], v[91:92]
	v_div_scale_f64 v[93:94], vcc, v[119:120], v[117:118], v[119:120]
	v_fma_f64 v[95:96], -v[86:87], v[91:92], 1.0
	v_fma_f64 v[91:92], v[91:92], v[95:96], v[91:92]
	v_mul_f64 v[95:96], v[93:94], v[91:92]
	v_fma_f64 v[86:87], -v[86:87], v[95:96], v[93:94]
	v_div_fmas_f64 v[86:87], v[86:87], v[91:92], v[95:96]
	v_div_fixup_f64 v[86:87], v[86:87], v[117:118], v[119:120]
	v_fma_f64 v[91:92], v[119:120], v[86:87], v[117:118]
	v_div_scale_f64 v[93:94], s[20:21], v[91:92], v[91:92], 1.0
	v_div_scale_f64 v[99:100], vcc, 1.0, v[91:92], 1.0
	v_rcp_f64_e32 v[95:96], v[93:94]
	v_fma_f64 v[97:98], -v[93:94], v[95:96], 1.0
	v_fma_f64 v[95:96], v[95:96], v[97:98], v[95:96]
	v_fma_f64 v[97:98], -v[93:94], v[95:96], 1.0
	v_fma_f64 v[95:96], v[95:96], v[97:98], v[95:96]
	v_mul_f64 v[97:98], v[99:100], v[95:96]
	v_fma_f64 v[93:94], -v[93:94], v[97:98], v[99:100]
	v_div_fmas_f64 v[93:94], v[93:94], v[95:96], v[97:98]
	v_div_fixup_f64 v[117:118], v[93:94], v[91:92], 1.0
	v_mul_f64 v[119:120], v[86:87], -v[117:118]
.LBB118_198:
	s_or_b64 exec, exec, s[18:19]
.LBB118_199:
	s_or_b64 exec, exec, s[0:1]
	v_cmp_ne_u32_e32 vcc, v89, v85
	s_and_saveexec_b64 s[0:1], vcc
	s_xor_b64 s[0:1], exec, s[0:1]
	s_cbranch_execz .LBB118_205
; %bb.200:
	v_cmp_eq_u32_e32 vcc, 9, v89
	s_and_saveexec_b64 s[18:19], vcc
	s_cbranch_execz .LBB118_204
; %bb.201:
	v_cmp_ne_u32_e32 vcc, 9, v85
	s_xor_b64 s[20:21], s[6:7], -1
	s_and_b64 s[22:23], s[20:21], vcc
	s_and_saveexec_b64 s[20:21], s[22:23]
	s_cbranch_execz .LBB118_203
; %bb.202:
	v_ashrrev_i32_e32 v86, 31, v85
	v_lshlrev_b64 v[86:87], 2, v[85:86]
	v_add_co_u32_e32 v86, vcc, v107, v86
	v_addc_co_u32_e32 v87, vcc, v108, v87, vcc
	global_load_dword v88, v[86:87], off
	global_load_dword v89, v[107:108], off offset:36
	s_waitcnt vmcnt(1)
	global_store_dword v[107:108], v88, off offset:36
	s_waitcnt vmcnt(1)
	global_store_dword v[86:87], v89, off
.LBB118_203:
	s_or_b64 exec, exec, s[20:21]
	v_mov_b32_e32 v89, v85
	v_mov_b32_e32 v127, v85
.LBB118_204:
	s_or_b64 exec, exec, s[18:19]
.LBB118_205:
	s_andn2_saveexec_b64 s[0:1], s[0:1]
	s_cbranch_execz .LBB118_207
; %bb.206:
	buffer_load_dword v85, off, s[24:27], 0 offset:400 ; 4-byte Folded Reload
	buffer_load_dword v86, off, s[24:27], 0 offset:404 ; 4-byte Folded Reload
	buffer_load_dword v87, off, s[24:27], 0 offset:408 ; 4-byte Folded Reload
	buffer_load_dword v88, off, s[24:27], 0 offset:412 ; 4-byte Folded Reload
	v_mov_b32_e32 v89, 9
	s_waitcnt vmcnt(0)
	ds_write2_b64 v0, v[85:86], v[87:88] offset0:20 offset1:21
	buffer_load_dword v85, off, s[24:27], 0 offset:384 ; 4-byte Folded Reload
	buffer_load_dword v86, off, s[24:27], 0 offset:388 ; 4-byte Folded Reload
	buffer_load_dword v87, off, s[24:27], 0 offset:392 ; 4-byte Folded Reload
	buffer_load_dword v88, off, s[24:27], 0 offset:396 ; 4-byte Folded Reload
	s_waitcnt vmcnt(0)
	ds_write2_b64 v0, v[85:86], v[87:88] offset0:22 offset1:23
	buffer_load_dword v85, off, s[24:27], 0 offset:368 ; 4-byte Folded Reload
	buffer_load_dword v86, off, s[24:27], 0 offset:372 ; 4-byte Folded Reload
	buffer_load_dword v87, off, s[24:27], 0 offset:376 ; 4-byte Folded Reload
	buffer_load_dword v88, off, s[24:27], 0 offset:380 ; 4-byte Folded Reload
	;; [unrolled: 6-line block ×24, first 2 shown]
	s_waitcnt vmcnt(0)
	ds_write2_b64 v0, v[85:86], v[87:88] offset0:68 offset1:69
	buffer_load_dword v85, off, s[24:27], 0 ; 4-byte Folded Reload
	buffer_load_dword v86, off, s[24:27], 0 offset:4 ; 4-byte Folded Reload
	buffer_load_dword v87, off, s[24:27], 0 offset:8 ; 4-byte Folded Reload
	;; [unrolled: 1-line block ×3, first 2 shown]
	s_waitcnt vmcnt(0)
	ds_write2_b64 v0, v[85:86], v[87:88] offset0:70 offset1:71
	ds_write2_b64 v0, v[113:114], v[115:116] offset0:72 offset1:73
	;; [unrolled: 1-line block ×25, first 2 shown]
.LBB118_207:
	s_or_b64 exec, exec, s[0:1]
	v_cmp_lt_i32_e32 vcc, 9, v89
	s_waitcnt vmcnt(0) lgkmcnt(0)
	s_barrier
	s_and_saveexec_b64 s[0:1], vcc
	s_cbranch_execz .LBB118_209
; %bb.208:
	buffer_load_dword v95, off, s[24:27], 0 offset:416 ; 4-byte Folded Reload
	buffer_load_dword v96, off, s[24:27], 0 offset:420 ; 4-byte Folded Reload
	;; [unrolled: 1-line block ×4, first 2 shown]
	s_waitcnt vmcnt(0)
	v_mul_f64 v[85:86], v[119:120], v[97:98]
	v_fma_f64 v[125:126], v[117:118], v[95:96], -v[85:86]
	v_mul_f64 v[85:86], v[117:118], v[97:98]
	v_fma_f64 v[97:98], v[119:120], v[95:96], v[85:86]
	ds_read2_b64 v[85:88], v0 offset0:20 offset1:21
	buffer_load_dword v93, off, s[24:27], 0 offset:400 ; 4-byte Folded Reload
	buffer_load_dword v94, off, s[24:27], 0 offset:404 ; 4-byte Folded Reload
	buffer_load_dword v95, off, s[24:27], 0 offset:408 ; 4-byte Folded Reload
	buffer_load_dword v96, off, s[24:27], 0 offset:412 ; 4-byte Folded Reload
	s_waitcnt lgkmcnt(0)
	v_mul_f64 v[91:92], v[87:88], v[97:98]
	v_fma_f64 v[91:92], v[85:86], v[125:126], -v[91:92]
	v_mul_f64 v[85:86], v[85:86], v[97:98]
	v_fma_f64 v[85:86], v[87:88], v[125:126], v[85:86]
	s_waitcnt vmcnt(2)
	v_add_f64 v[93:94], v[93:94], -v[91:92]
	s_waitcnt vmcnt(0)
	v_add_f64 v[95:96], v[95:96], -v[85:86]
	buffer_store_dword v93, off, s[24:27], 0 offset:400 ; 4-byte Folded Spill
	s_nop 0
	buffer_store_dword v94, off, s[24:27], 0 offset:404 ; 4-byte Folded Spill
	buffer_store_dword v95, off, s[24:27], 0 offset:408 ; 4-byte Folded Spill
	buffer_store_dword v96, off, s[24:27], 0 offset:412 ; 4-byte Folded Spill
	ds_read2_b64 v[85:88], v0 offset0:22 offset1:23
	buffer_load_dword v93, off, s[24:27], 0 offset:384 ; 4-byte Folded Reload
	buffer_load_dword v94, off, s[24:27], 0 offset:388 ; 4-byte Folded Reload
	buffer_load_dword v95, off, s[24:27], 0 offset:392 ; 4-byte Folded Reload
	buffer_load_dword v96, off, s[24:27], 0 offset:396 ; 4-byte Folded Reload
	s_waitcnt lgkmcnt(0)
	v_mul_f64 v[91:92], v[87:88], v[97:98]
	v_fma_f64 v[91:92], v[85:86], v[125:126], -v[91:92]
	v_mul_f64 v[85:86], v[85:86], v[97:98]
	v_fma_f64 v[85:86], v[87:88], v[125:126], v[85:86]
	s_waitcnt vmcnt(2)
	v_add_f64 v[93:94], v[93:94], -v[91:92]
	s_waitcnt vmcnt(0)
	v_add_f64 v[95:96], v[95:96], -v[85:86]
	buffer_store_dword v93, off, s[24:27], 0 offset:384 ; 4-byte Folded Spill
	s_nop 0
	buffer_store_dword v94, off, s[24:27], 0 offset:388 ; 4-byte Folded Spill
	buffer_store_dword v95, off, s[24:27], 0 offset:392 ; 4-byte Folded Spill
	buffer_store_dword v96, off, s[24:27], 0 offset:396 ; 4-byte Folded Spill
	;; [unrolled: 19-line block ×25, first 2 shown]
	ds_read2_b64 v[85:88], v0 offset0:70 offset1:71
	buffer_load_dword v93, off, s[24:27], 0 ; 4-byte Folded Reload
	buffer_load_dword v94, off, s[24:27], 0 offset:4 ; 4-byte Folded Reload
	buffer_load_dword v95, off, s[24:27], 0 offset:8 ; 4-byte Folded Reload
	buffer_load_dword v96, off, s[24:27], 0 offset:12 ; 4-byte Folded Reload
	s_waitcnt lgkmcnt(0)
	v_mul_f64 v[91:92], v[87:88], v[97:98]
	v_fma_f64 v[91:92], v[85:86], v[125:126], -v[91:92]
	v_mul_f64 v[85:86], v[85:86], v[97:98]
	v_fma_f64 v[85:86], v[87:88], v[125:126], v[85:86]
	s_waitcnt vmcnt(2)
	v_add_f64 v[93:94], v[93:94], -v[91:92]
	s_waitcnt vmcnt(0)
	v_add_f64 v[95:96], v[95:96], -v[85:86]
	buffer_store_dword v93, off, s[24:27], 0 ; 4-byte Folded Spill
	s_nop 0
	buffer_store_dword v94, off, s[24:27], 0 offset:4 ; 4-byte Folded Spill
	buffer_store_dword v95, off, s[24:27], 0 offset:8 ; 4-byte Folded Spill
	;; [unrolled: 1-line block ×3, first 2 shown]
	ds_read2_b64 v[85:88], v0 offset0:72 offset1:73
	v_mov_b32_e32 v95, v125
	v_mov_b32_e32 v96, v126
	s_waitcnt lgkmcnt(0)
	v_mul_f64 v[91:92], v[87:88], v[97:98]
	v_fma_f64 v[91:92], v[85:86], v[125:126], -v[91:92]
	v_mul_f64 v[85:86], v[85:86], v[97:98]
	v_add_f64 v[113:114], v[113:114], -v[91:92]
	v_fma_f64 v[85:86], v[87:88], v[125:126], v[85:86]
	v_add_f64 v[115:116], v[115:116], -v[85:86]
	ds_read2_b64 v[85:88], v0 offset0:74 offset1:75
	s_waitcnt lgkmcnt(0)
	v_mul_f64 v[91:92], v[87:88], v[97:98]
	v_fma_f64 v[91:92], v[85:86], v[125:126], -v[91:92]
	v_mul_f64 v[85:86], v[85:86], v[97:98]
	v_add_f64 v[109:110], v[109:110], -v[91:92]
	v_fma_f64 v[85:86], v[87:88], v[125:126], v[85:86]
	v_add_f64 v[111:112], v[111:112], -v[85:86]
	ds_read2_b64 v[85:88], v0 offset0:76 offset1:77
	;; [unrolled: 8-line block ×22, first 2 shown]
	s_waitcnt lgkmcnt(0)
	v_mul_f64 v[91:92], v[87:88], v[97:98]
	v_fma_f64 v[91:92], v[85:86], v[125:126], -v[91:92]
	v_mul_f64 v[85:86], v[85:86], v[97:98]
	v_add_f64 v[1:2], v[1:2], -v[91:92]
	v_fma_f64 v[85:86], v[87:88], v[125:126], v[85:86]
	ds_read2_b64 v[91:94], v0 offset0:118 offset1:119
	s_waitcnt lgkmcnt(0)
	v_mul_f64 v[87:88], v[91:92], v[97:98]
	v_add_f64 v[3:4], v[3:4], -v[85:86]
	v_mul_f64 v[85:86], v[93:94], v[97:98]
	buffer_store_dword v95, off, s[24:27], 0 offset:416 ; 4-byte Folded Spill
	s_nop 0
	buffer_store_dword v96, off, s[24:27], 0 offset:420 ; 4-byte Folded Spill
	buffer_store_dword v97, off, s[24:27], 0 offset:424 ; 4-byte Folded Spill
	;; [unrolled: 1-line block ×3, first 2 shown]
	v_fma_f64 v[87:88], v[93:94], v[125:126], v[87:88]
	v_fma_f64 v[85:86], v[91:92], v[125:126], -v[85:86]
	v_add_f64 v[123:124], v[123:124], -v[87:88]
	v_add_f64 v[121:122], v[121:122], -v[85:86]
.LBB118_209:
	s_or_b64 exec, exec, s[0:1]
	s_waitcnt vmcnt(0)
	s_barrier
	buffer_load_dword v91, off, s[24:27], 0 offset:400 ; 4-byte Folded Reload
	buffer_load_dword v92, off, s[24:27], 0 offset:404 ; 4-byte Folded Reload
	;; [unrolled: 1-line block ×4, first 2 shown]
	v_lshl_add_u32 v85, v89, 4, v0
	s_cmp_lt_i32 s3, 12
	s_waitcnt vmcnt(0)
	ds_write2_b64 v85, v[91:92], v[93:94] offset1:1
	s_waitcnt lgkmcnt(0)
	s_barrier
	ds_read2_b64 v[117:120], v0 offset0:20 offset1:21
	v_mov_b32_e32 v85, 10
	s_cbranch_scc1 .LBB118_212
; %bb.210:
	v_add_u32_e32 v86, 0xb0, v0
	s_mov_b32 s0, 11
	v_mov_b32_e32 v85, 10
.LBB118_211:                            ; =>This Inner Loop Header: Depth=1
	s_waitcnt lgkmcnt(0)
	v_cmp_gt_f64_e32 vcc, 0, v[117:118]
	v_xor_b32_e32 v87, 0x80000000, v118
	ds_read2_b64 v[91:94], v86 offset1:1
	v_xor_b32_e32 v95, 0x80000000, v120
	v_add_u32_e32 v86, 16, v86
	s_waitcnt lgkmcnt(0)
	v_xor_b32_e32 v97, 0x80000000, v94
	v_cndmask_b32_e32 v88, v118, v87, vcc
	v_cmp_gt_f64_e32 vcc, 0, v[119:120]
	v_mov_b32_e32 v87, v117
	v_cndmask_b32_e32 v96, v120, v95, vcc
	v_cmp_gt_f64_e32 vcc, 0, v[91:92]
	v_mov_b32_e32 v95, v119
	v_add_f64 v[87:88], v[87:88], v[95:96]
	v_xor_b32_e32 v95, 0x80000000, v92
	v_cndmask_b32_e32 v96, v92, v95, vcc
	v_cmp_gt_f64_e32 vcc, 0, v[93:94]
	v_mov_b32_e32 v95, v91
	v_cndmask_b32_e32 v98, v94, v97, vcc
	v_mov_b32_e32 v97, v93
	v_add_f64 v[95:96], v[95:96], v[97:98]
	v_cmp_lt_f64_e32 vcc, v[87:88], v[95:96]
	v_mov_b32_e32 v87, s0
	s_add_i32 s0, s0, 1
	s_cmp_lg_u32 s3, s0
	v_cndmask_b32_e32 v118, v118, v92, vcc
	v_cndmask_b32_e32 v117, v117, v91, vcc
	;; [unrolled: 1-line block ×5, first 2 shown]
	s_cbranch_scc1 .LBB118_211
.LBB118_212:
	s_waitcnt lgkmcnt(0)
	v_cmp_eq_f64_e32 vcc, 0, v[117:118]
	v_cmp_eq_f64_e64 s[0:1], 0, v[119:120]
	s_and_b64 s[0:1], vcc, s[0:1]
	s_and_saveexec_b64 s[18:19], s[0:1]
	s_xor_b64 s[0:1], exec, s[18:19]
; %bb.213:
	v_cmp_ne_u32_e32 vcc, 0, v90
	v_cndmask_b32_e32 v90, 11, v90, vcc
; %bb.214:
	s_andn2_saveexec_b64 s[0:1], s[0:1]
	s_cbranch_execz .LBB118_220
; %bb.215:
	v_cmp_ngt_f64_e64 s[18:19], |v[117:118]|, |v[119:120]|
	s_and_saveexec_b64 s[20:21], s[18:19]
	s_xor_b64 s[18:19], exec, s[20:21]
	s_cbranch_execz .LBB118_217
; %bb.216:
	v_div_scale_f64 v[86:87], s[20:21], v[119:120], v[119:120], v[117:118]
	v_rcp_f64_e32 v[91:92], v[86:87]
	v_fma_f64 v[93:94], -v[86:87], v[91:92], 1.0
	v_fma_f64 v[91:92], v[91:92], v[93:94], v[91:92]
	v_div_scale_f64 v[93:94], vcc, v[117:118], v[119:120], v[117:118]
	v_fma_f64 v[95:96], -v[86:87], v[91:92], 1.0
	v_fma_f64 v[91:92], v[91:92], v[95:96], v[91:92]
	v_mul_f64 v[95:96], v[93:94], v[91:92]
	v_fma_f64 v[86:87], -v[86:87], v[95:96], v[93:94]
	v_div_fmas_f64 v[86:87], v[86:87], v[91:92], v[95:96]
	v_div_fixup_f64 v[86:87], v[86:87], v[119:120], v[117:118]
	v_fma_f64 v[91:92], v[117:118], v[86:87], v[119:120]
	v_div_scale_f64 v[93:94], s[20:21], v[91:92], v[91:92], 1.0
	v_div_scale_f64 v[99:100], vcc, 1.0, v[91:92], 1.0
	v_rcp_f64_e32 v[95:96], v[93:94]
	v_fma_f64 v[97:98], -v[93:94], v[95:96], 1.0
	v_fma_f64 v[95:96], v[95:96], v[97:98], v[95:96]
	v_fma_f64 v[97:98], -v[93:94], v[95:96], 1.0
	v_fma_f64 v[95:96], v[95:96], v[97:98], v[95:96]
	v_mul_f64 v[97:98], v[99:100], v[95:96]
	v_fma_f64 v[93:94], -v[93:94], v[97:98], v[99:100]
	v_div_fmas_f64 v[93:94], v[93:94], v[95:96], v[97:98]
	v_div_fixup_f64 v[119:120], v[93:94], v[91:92], 1.0
	v_mul_f64 v[117:118], v[86:87], v[119:120]
	v_xor_b32_e32 v120, 0x80000000, v120
.LBB118_217:
	s_andn2_saveexec_b64 s[18:19], s[18:19]
	s_cbranch_execz .LBB118_219
; %bb.218:
	v_div_scale_f64 v[86:87], s[20:21], v[117:118], v[117:118], v[119:120]
	v_rcp_f64_e32 v[91:92], v[86:87]
	v_fma_f64 v[93:94], -v[86:87], v[91:92], 1.0
	v_fma_f64 v[91:92], v[91:92], v[93:94], v[91:92]
	v_div_scale_f64 v[93:94], vcc, v[119:120], v[117:118], v[119:120]
	v_fma_f64 v[95:96], -v[86:87], v[91:92], 1.0
	v_fma_f64 v[91:92], v[91:92], v[95:96], v[91:92]
	v_mul_f64 v[95:96], v[93:94], v[91:92]
	v_fma_f64 v[86:87], -v[86:87], v[95:96], v[93:94]
	v_div_fmas_f64 v[86:87], v[86:87], v[91:92], v[95:96]
	v_div_fixup_f64 v[86:87], v[86:87], v[117:118], v[119:120]
	v_fma_f64 v[91:92], v[119:120], v[86:87], v[117:118]
	v_div_scale_f64 v[93:94], s[20:21], v[91:92], v[91:92], 1.0
	v_div_scale_f64 v[99:100], vcc, 1.0, v[91:92], 1.0
	v_rcp_f64_e32 v[95:96], v[93:94]
	v_fma_f64 v[97:98], -v[93:94], v[95:96], 1.0
	v_fma_f64 v[95:96], v[95:96], v[97:98], v[95:96]
	v_fma_f64 v[97:98], -v[93:94], v[95:96], 1.0
	v_fma_f64 v[95:96], v[95:96], v[97:98], v[95:96]
	v_mul_f64 v[97:98], v[99:100], v[95:96]
	v_fma_f64 v[93:94], -v[93:94], v[97:98], v[99:100]
	v_div_fmas_f64 v[93:94], v[93:94], v[95:96], v[97:98]
	v_div_fixup_f64 v[117:118], v[93:94], v[91:92], 1.0
	v_mul_f64 v[119:120], v[86:87], -v[117:118]
.LBB118_219:
	s_or_b64 exec, exec, s[18:19]
.LBB118_220:
	s_or_b64 exec, exec, s[0:1]
	v_cmp_ne_u32_e32 vcc, v89, v85
	s_and_saveexec_b64 s[0:1], vcc
	s_xor_b64 s[0:1], exec, s[0:1]
	s_cbranch_execz .LBB118_226
; %bb.221:
	v_cmp_eq_u32_e32 vcc, 10, v89
	s_and_saveexec_b64 s[18:19], vcc
	s_cbranch_execz .LBB118_225
; %bb.222:
	v_cmp_ne_u32_e32 vcc, 10, v85
	s_xor_b64 s[20:21], s[6:7], -1
	s_and_b64 s[22:23], s[20:21], vcc
	s_and_saveexec_b64 s[20:21], s[22:23]
	s_cbranch_execz .LBB118_224
; %bb.223:
	v_ashrrev_i32_e32 v86, 31, v85
	v_lshlrev_b64 v[86:87], 2, v[85:86]
	v_add_co_u32_e32 v86, vcc, v107, v86
	v_addc_co_u32_e32 v87, vcc, v108, v87, vcc
	global_load_dword v88, v[86:87], off
	global_load_dword v89, v[107:108], off offset:40
	s_waitcnt vmcnt(1)
	global_store_dword v[107:108], v88, off offset:40
	s_waitcnt vmcnt(1)
	global_store_dword v[86:87], v89, off
.LBB118_224:
	s_or_b64 exec, exec, s[20:21]
	v_mov_b32_e32 v89, v85
	v_mov_b32_e32 v127, v85
.LBB118_225:
	s_or_b64 exec, exec, s[18:19]
.LBB118_226:
	s_andn2_saveexec_b64 s[0:1], s[0:1]
	s_cbranch_execz .LBB118_228
; %bb.227:
	buffer_load_dword v85, off, s[24:27], 0 offset:384 ; 4-byte Folded Reload
	buffer_load_dword v86, off, s[24:27], 0 offset:388 ; 4-byte Folded Reload
	;; [unrolled: 1-line block ×4, first 2 shown]
	v_mov_b32_e32 v89, 10
	s_waitcnt vmcnt(0)
	ds_write2_b64 v0, v[85:86], v[87:88] offset0:22 offset1:23
	buffer_load_dword v85, off, s[24:27], 0 offset:368 ; 4-byte Folded Reload
	buffer_load_dword v86, off, s[24:27], 0 offset:372 ; 4-byte Folded Reload
	buffer_load_dword v87, off, s[24:27], 0 offset:376 ; 4-byte Folded Reload
	buffer_load_dword v88, off, s[24:27], 0 offset:380 ; 4-byte Folded Reload
	s_waitcnt vmcnt(0)
	ds_write2_b64 v0, v[85:86], v[87:88] offset0:24 offset1:25
	buffer_load_dword v85, off, s[24:27], 0 offset:352 ; 4-byte Folded Reload
	buffer_load_dword v86, off, s[24:27], 0 offset:356 ; 4-byte Folded Reload
	buffer_load_dword v87, off, s[24:27], 0 offset:360 ; 4-byte Folded Reload
	buffer_load_dword v88, off, s[24:27], 0 offset:364 ; 4-byte Folded Reload
	;; [unrolled: 6-line block ×23, first 2 shown]
	s_waitcnt vmcnt(0)
	ds_write2_b64 v0, v[85:86], v[87:88] offset0:68 offset1:69
	buffer_load_dword v85, off, s[24:27], 0 ; 4-byte Folded Reload
	buffer_load_dword v86, off, s[24:27], 0 offset:4 ; 4-byte Folded Reload
	buffer_load_dword v87, off, s[24:27], 0 offset:8 ; 4-byte Folded Reload
	buffer_load_dword v88, off, s[24:27], 0 offset:12 ; 4-byte Folded Reload
	s_waitcnt vmcnt(0)
	ds_write2_b64 v0, v[85:86], v[87:88] offset0:70 offset1:71
	ds_write2_b64 v0, v[113:114], v[115:116] offset0:72 offset1:73
	;; [unrolled: 1-line block ×25, first 2 shown]
.LBB118_228:
	s_or_b64 exec, exec, s[0:1]
	v_cmp_lt_i32_e32 vcc, 10, v89
	s_waitcnt vmcnt(0) lgkmcnt(0)
	s_barrier
	s_and_saveexec_b64 s[0:1], vcc
	s_cbranch_execz .LBB118_230
; %bb.229:
	buffer_load_dword v95, off, s[24:27], 0 offset:400 ; 4-byte Folded Reload
	buffer_load_dword v96, off, s[24:27], 0 offset:404 ; 4-byte Folded Reload
	;; [unrolled: 1-line block ×4, first 2 shown]
	s_waitcnt vmcnt(0)
	v_mul_f64 v[85:86], v[119:120], v[97:98]
	v_fma_f64 v[125:126], v[117:118], v[95:96], -v[85:86]
	v_mul_f64 v[85:86], v[117:118], v[97:98]
	v_fma_f64 v[97:98], v[119:120], v[95:96], v[85:86]
	ds_read2_b64 v[85:88], v0 offset0:22 offset1:23
	buffer_load_dword v93, off, s[24:27], 0 offset:384 ; 4-byte Folded Reload
	buffer_load_dword v94, off, s[24:27], 0 offset:388 ; 4-byte Folded Reload
	buffer_load_dword v95, off, s[24:27], 0 offset:392 ; 4-byte Folded Reload
	buffer_load_dword v96, off, s[24:27], 0 offset:396 ; 4-byte Folded Reload
	s_waitcnt lgkmcnt(0)
	v_mul_f64 v[91:92], v[87:88], v[97:98]
	v_fma_f64 v[91:92], v[85:86], v[125:126], -v[91:92]
	v_mul_f64 v[85:86], v[85:86], v[97:98]
	v_fma_f64 v[85:86], v[87:88], v[125:126], v[85:86]
	s_waitcnt vmcnt(2)
	v_add_f64 v[93:94], v[93:94], -v[91:92]
	s_waitcnt vmcnt(0)
	v_add_f64 v[95:96], v[95:96], -v[85:86]
	buffer_store_dword v93, off, s[24:27], 0 offset:384 ; 4-byte Folded Spill
	s_nop 0
	buffer_store_dword v94, off, s[24:27], 0 offset:388 ; 4-byte Folded Spill
	buffer_store_dword v95, off, s[24:27], 0 offset:392 ; 4-byte Folded Spill
	buffer_store_dword v96, off, s[24:27], 0 offset:396 ; 4-byte Folded Spill
	ds_read2_b64 v[85:88], v0 offset0:24 offset1:25
	buffer_load_dword v93, off, s[24:27], 0 offset:368 ; 4-byte Folded Reload
	buffer_load_dword v94, off, s[24:27], 0 offset:372 ; 4-byte Folded Reload
	buffer_load_dword v95, off, s[24:27], 0 offset:376 ; 4-byte Folded Reload
	buffer_load_dword v96, off, s[24:27], 0 offset:380 ; 4-byte Folded Reload
	s_waitcnt lgkmcnt(0)
	v_mul_f64 v[91:92], v[87:88], v[97:98]
	v_fma_f64 v[91:92], v[85:86], v[125:126], -v[91:92]
	v_mul_f64 v[85:86], v[85:86], v[97:98]
	v_fma_f64 v[85:86], v[87:88], v[125:126], v[85:86]
	s_waitcnt vmcnt(2)
	v_add_f64 v[93:94], v[93:94], -v[91:92]
	s_waitcnt vmcnt(0)
	v_add_f64 v[95:96], v[95:96], -v[85:86]
	buffer_store_dword v93, off, s[24:27], 0 offset:368 ; 4-byte Folded Spill
	s_nop 0
	buffer_store_dword v94, off, s[24:27], 0 offset:372 ; 4-byte Folded Spill
	buffer_store_dword v95, off, s[24:27], 0 offset:376 ; 4-byte Folded Spill
	buffer_store_dword v96, off, s[24:27], 0 offset:380 ; 4-byte Folded Spill
	;; [unrolled: 19-line block ×24, first 2 shown]
	ds_read2_b64 v[85:88], v0 offset0:70 offset1:71
	buffer_load_dword v93, off, s[24:27], 0 ; 4-byte Folded Reload
	buffer_load_dword v94, off, s[24:27], 0 offset:4 ; 4-byte Folded Reload
	buffer_load_dword v95, off, s[24:27], 0 offset:8 ; 4-byte Folded Reload
	buffer_load_dword v96, off, s[24:27], 0 offset:12 ; 4-byte Folded Reload
	s_waitcnt lgkmcnt(0)
	v_mul_f64 v[91:92], v[87:88], v[97:98]
	v_fma_f64 v[91:92], v[85:86], v[125:126], -v[91:92]
	v_mul_f64 v[85:86], v[85:86], v[97:98]
	v_fma_f64 v[85:86], v[87:88], v[125:126], v[85:86]
	s_waitcnt vmcnt(2)
	v_add_f64 v[93:94], v[93:94], -v[91:92]
	s_waitcnt vmcnt(0)
	v_add_f64 v[95:96], v[95:96], -v[85:86]
	buffer_store_dword v93, off, s[24:27], 0 ; 4-byte Folded Spill
	s_nop 0
	buffer_store_dword v94, off, s[24:27], 0 offset:4 ; 4-byte Folded Spill
	buffer_store_dword v95, off, s[24:27], 0 offset:8 ; 4-byte Folded Spill
	;; [unrolled: 1-line block ×3, first 2 shown]
	ds_read2_b64 v[85:88], v0 offset0:72 offset1:73
	v_mov_b32_e32 v95, v125
	v_mov_b32_e32 v96, v126
	s_waitcnt lgkmcnt(0)
	v_mul_f64 v[91:92], v[87:88], v[97:98]
	v_fma_f64 v[91:92], v[85:86], v[125:126], -v[91:92]
	v_mul_f64 v[85:86], v[85:86], v[97:98]
	v_add_f64 v[113:114], v[113:114], -v[91:92]
	v_fma_f64 v[85:86], v[87:88], v[125:126], v[85:86]
	v_add_f64 v[115:116], v[115:116], -v[85:86]
	ds_read2_b64 v[85:88], v0 offset0:74 offset1:75
	s_waitcnt lgkmcnt(0)
	v_mul_f64 v[91:92], v[87:88], v[97:98]
	v_fma_f64 v[91:92], v[85:86], v[125:126], -v[91:92]
	v_mul_f64 v[85:86], v[85:86], v[97:98]
	v_add_f64 v[109:110], v[109:110], -v[91:92]
	v_fma_f64 v[85:86], v[87:88], v[125:126], v[85:86]
	v_add_f64 v[111:112], v[111:112], -v[85:86]
	ds_read2_b64 v[85:88], v0 offset0:76 offset1:77
	;; [unrolled: 8-line block ×22, first 2 shown]
	s_waitcnt lgkmcnt(0)
	v_mul_f64 v[91:92], v[87:88], v[97:98]
	v_fma_f64 v[91:92], v[85:86], v[125:126], -v[91:92]
	v_mul_f64 v[85:86], v[85:86], v[97:98]
	v_add_f64 v[1:2], v[1:2], -v[91:92]
	v_fma_f64 v[85:86], v[87:88], v[125:126], v[85:86]
	ds_read2_b64 v[91:94], v0 offset0:118 offset1:119
	s_waitcnt lgkmcnt(0)
	v_mul_f64 v[87:88], v[91:92], v[97:98]
	v_add_f64 v[3:4], v[3:4], -v[85:86]
	v_mul_f64 v[85:86], v[93:94], v[97:98]
	buffer_store_dword v95, off, s[24:27], 0 offset:400 ; 4-byte Folded Spill
	s_nop 0
	buffer_store_dword v96, off, s[24:27], 0 offset:404 ; 4-byte Folded Spill
	buffer_store_dword v97, off, s[24:27], 0 offset:408 ; 4-byte Folded Spill
	;; [unrolled: 1-line block ×3, first 2 shown]
	v_fma_f64 v[87:88], v[93:94], v[125:126], v[87:88]
	v_fma_f64 v[85:86], v[91:92], v[125:126], -v[85:86]
	v_add_f64 v[123:124], v[123:124], -v[87:88]
	v_add_f64 v[121:122], v[121:122], -v[85:86]
.LBB118_230:
	s_or_b64 exec, exec, s[0:1]
	s_waitcnt vmcnt(0)
	s_barrier
	buffer_load_dword v91, off, s[24:27], 0 offset:384 ; 4-byte Folded Reload
	buffer_load_dword v92, off, s[24:27], 0 offset:388 ; 4-byte Folded Reload
	buffer_load_dword v93, off, s[24:27], 0 offset:392 ; 4-byte Folded Reload
	buffer_load_dword v94, off, s[24:27], 0 offset:396 ; 4-byte Folded Reload
	v_lshl_add_u32 v85, v89, 4, v0
	s_cmp_lt_i32 s3, 13
	s_waitcnt vmcnt(0)
	ds_write2_b64 v85, v[91:92], v[93:94] offset1:1
	s_waitcnt lgkmcnt(0)
	s_barrier
	ds_read2_b64 v[117:120], v0 offset0:22 offset1:23
	v_mov_b32_e32 v85, 11
	s_cbranch_scc1 .LBB118_233
; %bb.231:
	v_add_u32_e32 v86, 0xc0, v0
	s_mov_b32 s0, 12
	v_mov_b32_e32 v85, 11
.LBB118_232:                            ; =>This Inner Loop Header: Depth=1
	s_waitcnt lgkmcnt(0)
	v_cmp_gt_f64_e32 vcc, 0, v[117:118]
	v_xor_b32_e32 v87, 0x80000000, v118
	ds_read2_b64 v[91:94], v86 offset1:1
	v_xor_b32_e32 v95, 0x80000000, v120
	v_add_u32_e32 v86, 16, v86
	s_waitcnt lgkmcnt(0)
	v_xor_b32_e32 v97, 0x80000000, v94
	v_cndmask_b32_e32 v88, v118, v87, vcc
	v_cmp_gt_f64_e32 vcc, 0, v[119:120]
	v_mov_b32_e32 v87, v117
	v_cndmask_b32_e32 v96, v120, v95, vcc
	v_cmp_gt_f64_e32 vcc, 0, v[91:92]
	v_mov_b32_e32 v95, v119
	v_add_f64 v[87:88], v[87:88], v[95:96]
	v_xor_b32_e32 v95, 0x80000000, v92
	v_cndmask_b32_e32 v96, v92, v95, vcc
	v_cmp_gt_f64_e32 vcc, 0, v[93:94]
	v_mov_b32_e32 v95, v91
	v_cndmask_b32_e32 v98, v94, v97, vcc
	v_mov_b32_e32 v97, v93
	v_add_f64 v[95:96], v[95:96], v[97:98]
	v_cmp_lt_f64_e32 vcc, v[87:88], v[95:96]
	v_mov_b32_e32 v87, s0
	s_add_i32 s0, s0, 1
	s_cmp_lg_u32 s3, s0
	v_cndmask_b32_e32 v118, v118, v92, vcc
	v_cndmask_b32_e32 v117, v117, v91, vcc
	;; [unrolled: 1-line block ×5, first 2 shown]
	s_cbranch_scc1 .LBB118_232
.LBB118_233:
	s_waitcnt lgkmcnt(0)
	v_cmp_eq_f64_e32 vcc, 0, v[117:118]
	v_cmp_eq_f64_e64 s[0:1], 0, v[119:120]
	s_and_b64 s[0:1], vcc, s[0:1]
	s_and_saveexec_b64 s[18:19], s[0:1]
	s_xor_b64 s[0:1], exec, s[18:19]
; %bb.234:
	v_cmp_ne_u32_e32 vcc, 0, v90
	v_cndmask_b32_e32 v90, 12, v90, vcc
; %bb.235:
	s_andn2_saveexec_b64 s[0:1], s[0:1]
	s_cbranch_execz .LBB118_241
; %bb.236:
	v_cmp_ngt_f64_e64 s[18:19], |v[117:118]|, |v[119:120]|
	s_and_saveexec_b64 s[20:21], s[18:19]
	s_xor_b64 s[18:19], exec, s[20:21]
	s_cbranch_execz .LBB118_238
; %bb.237:
	v_div_scale_f64 v[86:87], s[20:21], v[119:120], v[119:120], v[117:118]
	v_rcp_f64_e32 v[91:92], v[86:87]
	v_fma_f64 v[93:94], -v[86:87], v[91:92], 1.0
	v_fma_f64 v[91:92], v[91:92], v[93:94], v[91:92]
	v_div_scale_f64 v[93:94], vcc, v[117:118], v[119:120], v[117:118]
	v_fma_f64 v[95:96], -v[86:87], v[91:92], 1.0
	v_fma_f64 v[91:92], v[91:92], v[95:96], v[91:92]
	v_mul_f64 v[95:96], v[93:94], v[91:92]
	v_fma_f64 v[86:87], -v[86:87], v[95:96], v[93:94]
	v_div_fmas_f64 v[86:87], v[86:87], v[91:92], v[95:96]
	v_div_fixup_f64 v[86:87], v[86:87], v[119:120], v[117:118]
	v_fma_f64 v[91:92], v[117:118], v[86:87], v[119:120]
	v_div_scale_f64 v[93:94], s[20:21], v[91:92], v[91:92], 1.0
	v_div_scale_f64 v[99:100], vcc, 1.0, v[91:92], 1.0
	v_rcp_f64_e32 v[95:96], v[93:94]
	v_fma_f64 v[97:98], -v[93:94], v[95:96], 1.0
	v_fma_f64 v[95:96], v[95:96], v[97:98], v[95:96]
	v_fma_f64 v[97:98], -v[93:94], v[95:96], 1.0
	v_fma_f64 v[95:96], v[95:96], v[97:98], v[95:96]
	v_mul_f64 v[97:98], v[99:100], v[95:96]
	v_fma_f64 v[93:94], -v[93:94], v[97:98], v[99:100]
	v_div_fmas_f64 v[93:94], v[93:94], v[95:96], v[97:98]
	v_div_fixup_f64 v[119:120], v[93:94], v[91:92], 1.0
	v_mul_f64 v[117:118], v[86:87], v[119:120]
	v_xor_b32_e32 v120, 0x80000000, v120
.LBB118_238:
	s_andn2_saveexec_b64 s[18:19], s[18:19]
	s_cbranch_execz .LBB118_240
; %bb.239:
	v_div_scale_f64 v[86:87], s[20:21], v[117:118], v[117:118], v[119:120]
	v_rcp_f64_e32 v[91:92], v[86:87]
	v_fma_f64 v[93:94], -v[86:87], v[91:92], 1.0
	v_fma_f64 v[91:92], v[91:92], v[93:94], v[91:92]
	v_div_scale_f64 v[93:94], vcc, v[119:120], v[117:118], v[119:120]
	v_fma_f64 v[95:96], -v[86:87], v[91:92], 1.0
	v_fma_f64 v[91:92], v[91:92], v[95:96], v[91:92]
	v_mul_f64 v[95:96], v[93:94], v[91:92]
	v_fma_f64 v[86:87], -v[86:87], v[95:96], v[93:94]
	v_div_fmas_f64 v[86:87], v[86:87], v[91:92], v[95:96]
	v_div_fixup_f64 v[86:87], v[86:87], v[117:118], v[119:120]
	v_fma_f64 v[91:92], v[119:120], v[86:87], v[117:118]
	v_div_scale_f64 v[93:94], s[20:21], v[91:92], v[91:92], 1.0
	v_div_scale_f64 v[99:100], vcc, 1.0, v[91:92], 1.0
	v_rcp_f64_e32 v[95:96], v[93:94]
	v_fma_f64 v[97:98], -v[93:94], v[95:96], 1.0
	v_fma_f64 v[95:96], v[95:96], v[97:98], v[95:96]
	v_fma_f64 v[97:98], -v[93:94], v[95:96], 1.0
	v_fma_f64 v[95:96], v[95:96], v[97:98], v[95:96]
	v_mul_f64 v[97:98], v[99:100], v[95:96]
	v_fma_f64 v[93:94], -v[93:94], v[97:98], v[99:100]
	v_div_fmas_f64 v[93:94], v[93:94], v[95:96], v[97:98]
	v_div_fixup_f64 v[117:118], v[93:94], v[91:92], 1.0
	v_mul_f64 v[119:120], v[86:87], -v[117:118]
.LBB118_240:
	s_or_b64 exec, exec, s[18:19]
.LBB118_241:
	s_or_b64 exec, exec, s[0:1]
	v_cmp_ne_u32_e32 vcc, v89, v85
	s_and_saveexec_b64 s[0:1], vcc
	s_xor_b64 s[0:1], exec, s[0:1]
	s_cbranch_execz .LBB118_247
; %bb.242:
	v_cmp_eq_u32_e32 vcc, 11, v89
	s_and_saveexec_b64 s[18:19], vcc
	s_cbranch_execz .LBB118_246
; %bb.243:
	v_cmp_ne_u32_e32 vcc, 11, v85
	s_xor_b64 s[20:21], s[6:7], -1
	s_and_b64 s[22:23], s[20:21], vcc
	s_and_saveexec_b64 s[20:21], s[22:23]
	s_cbranch_execz .LBB118_245
; %bb.244:
	v_ashrrev_i32_e32 v86, 31, v85
	v_lshlrev_b64 v[86:87], 2, v[85:86]
	v_add_co_u32_e32 v86, vcc, v107, v86
	v_addc_co_u32_e32 v87, vcc, v108, v87, vcc
	global_load_dword v88, v[86:87], off
	global_load_dword v89, v[107:108], off offset:44
	s_waitcnt vmcnt(1)
	global_store_dword v[107:108], v88, off offset:44
	s_waitcnt vmcnt(1)
	global_store_dword v[86:87], v89, off
.LBB118_245:
	s_or_b64 exec, exec, s[20:21]
	v_mov_b32_e32 v89, v85
	v_mov_b32_e32 v127, v85
.LBB118_246:
	s_or_b64 exec, exec, s[18:19]
.LBB118_247:
	s_andn2_saveexec_b64 s[0:1], s[0:1]
	s_cbranch_execz .LBB118_249
; %bb.248:
	buffer_load_dword v85, off, s[24:27], 0 offset:368 ; 4-byte Folded Reload
	buffer_load_dword v86, off, s[24:27], 0 offset:372 ; 4-byte Folded Reload
	;; [unrolled: 1-line block ×4, first 2 shown]
	v_mov_b32_e32 v89, 11
	s_waitcnt vmcnt(0)
	ds_write2_b64 v0, v[85:86], v[87:88] offset0:24 offset1:25
	buffer_load_dword v85, off, s[24:27], 0 offset:352 ; 4-byte Folded Reload
	buffer_load_dword v86, off, s[24:27], 0 offset:356 ; 4-byte Folded Reload
	buffer_load_dword v87, off, s[24:27], 0 offset:360 ; 4-byte Folded Reload
	buffer_load_dword v88, off, s[24:27], 0 offset:364 ; 4-byte Folded Reload
	s_waitcnt vmcnt(0)
	ds_write2_b64 v0, v[85:86], v[87:88] offset0:26 offset1:27
	buffer_load_dword v85, off, s[24:27], 0 offset:336 ; 4-byte Folded Reload
	buffer_load_dword v86, off, s[24:27], 0 offset:340 ; 4-byte Folded Reload
	buffer_load_dword v87, off, s[24:27], 0 offset:344 ; 4-byte Folded Reload
	buffer_load_dword v88, off, s[24:27], 0 offset:348 ; 4-byte Folded Reload
	;; [unrolled: 6-line block ×22, first 2 shown]
	s_waitcnt vmcnt(0)
	ds_write2_b64 v0, v[85:86], v[87:88] offset0:68 offset1:69
	buffer_load_dword v85, off, s[24:27], 0 ; 4-byte Folded Reload
	buffer_load_dword v86, off, s[24:27], 0 offset:4 ; 4-byte Folded Reload
	buffer_load_dword v87, off, s[24:27], 0 offset:8 ; 4-byte Folded Reload
	;; [unrolled: 1-line block ×3, first 2 shown]
	s_waitcnt vmcnt(0)
	ds_write2_b64 v0, v[85:86], v[87:88] offset0:70 offset1:71
	ds_write2_b64 v0, v[113:114], v[115:116] offset0:72 offset1:73
	ds_write2_b64 v0, v[109:110], v[111:112] offset0:74 offset1:75
	ds_write2_b64 v0, v[81:82], v[83:84] offset0:76 offset1:77
	ds_write2_b64 v0, v[77:78], v[79:80] offset0:78 offset1:79
	ds_write2_b64 v0, v[73:74], v[75:76] offset0:80 offset1:81
	ds_write2_b64 v0, v[69:70], v[71:72] offset0:82 offset1:83
	ds_write2_b64 v0, v[65:66], v[67:68] offset0:84 offset1:85
	ds_write2_b64 v0, v[61:62], v[63:64] offset0:86 offset1:87
	ds_write2_b64 v0, v[57:58], v[59:60] offset0:88 offset1:89
	ds_write2_b64 v0, v[53:54], v[55:56] offset0:90 offset1:91
	ds_write2_b64 v0, v[49:50], v[51:52] offset0:92 offset1:93
	ds_write2_b64 v0, v[45:46], v[47:48] offset0:94 offset1:95
	ds_write2_b64 v0, v[41:42], v[43:44] offset0:96 offset1:97
	ds_write2_b64 v0, v[37:38], v[39:40] offset0:98 offset1:99
	ds_write2_b64 v0, v[33:34], v[35:36] offset0:100 offset1:101
	ds_write2_b64 v0, v[29:30], v[31:32] offset0:102 offset1:103
	ds_write2_b64 v0, v[25:26], v[27:28] offset0:104 offset1:105
	ds_write2_b64 v0, v[21:22], v[23:24] offset0:106 offset1:107
	ds_write2_b64 v0, v[17:18], v[19:20] offset0:108 offset1:109
	ds_write2_b64 v0, v[13:14], v[15:16] offset0:110 offset1:111
	ds_write2_b64 v0, v[9:10], v[11:12] offset0:112 offset1:113
	ds_write2_b64 v0, v[5:6], v[7:8] offset0:114 offset1:115
	ds_write2_b64 v0, v[1:2], v[3:4] offset0:116 offset1:117
	ds_write2_b64 v0, v[121:122], v[123:124] offset0:118 offset1:119
.LBB118_249:
	s_or_b64 exec, exec, s[0:1]
	v_cmp_lt_i32_e32 vcc, 11, v89
	s_waitcnt vmcnt(0) lgkmcnt(0)
	s_barrier
	s_and_saveexec_b64 s[0:1], vcc
	s_cbranch_execz .LBB118_251
; %bb.250:
	buffer_load_dword v95, off, s[24:27], 0 offset:384 ; 4-byte Folded Reload
	buffer_load_dword v96, off, s[24:27], 0 offset:388 ; 4-byte Folded Reload
	;; [unrolled: 1-line block ×4, first 2 shown]
	s_waitcnt vmcnt(0)
	v_mul_f64 v[85:86], v[119:120], v[97:98]
	v_fma_f64 v[125:126], v[117:118], v[95:96], -v[85:86]
	v_mul_f64 v[85:86], v[117:118], v[97:98]
	v_fma_f64 v[97:98], v[119:120], v[95:96], v[85:86]
	ds_read2_b64 v[85:88], v0 offset0:24 offset1:25
	buffer_load_dword v93, off, s[24:27], 0 offset:368 ; 4-byte Folded Reload
	buffer_load_dword v94, off, s[24:27], 0 offset:372 ; 4-byte Folded Reload
	buffer_load_dword v95, off, s[24:27], 0 offset:376 ; 4-byte Folded Reload
	buffer_load_dword v96, off, s[24:27], 0 offset:380 ; 4-byte Folded Reload
	s_waitcnt lgkmcnt(0)
	v_mul_f64 v[91:92], v[87:88], v[97:98]
	v_fma_f64 v[91:92], v[85:86], v[125:126], -v[91:92]
	v_mul_f64 v[85:86], v[85:86], v[97:98]
	v_fma_f64 v[85:86], v[87:88], v[125:126], v[85:86]
	s_waitcnt vmcnt(2)
	v_add_f64 v[93:94], v[93:94], -v[91:92]
	s_waitcnt vmcnt(0)
	v_add_f64 v[95:96], v[95:96], -v[85:86]
	buffer_store_dword v93, off, s[24:27], 0 offset:368 ; 4-byte Folded Spill
	s_nop 0
	buffer_store_dword v94, off, s[24:27], 0 offset:372 ; 4-byte Folded Spill
	buffer_store_dword v95, off, s[24:27], 0 offset:376 ; 4-byte Folded Spill
	buffer_store_dword v96, off, s[24:27], 0 offset:380 ; 4-byte Folded Spill
	ds_read2_b64 v[85:88], v0 offset0:26 offset1:27
	buffer_load_dword v93, off, s[24:27], 0 offset:352 ; 4-byte Folded Reload
	buffer_load_dword v94, off, s[24:27], 0 offset:356 ; 4-byte Folded Reload
	buffer_load_dword v95, off, s[24:27], 0 offset:360 ; 4-byte Folded Reload
	buffer_load_dword v96, off, s[24:27], 0 offset:364 ; 4-byte Folded Reload
	s_waitcnt lgkmcnt(0)
	v_mul_f64 v[91:92], v[87:88], v[97:98]
	v_fma_f64 v[91:92], v[85:86], v[125:126], -v[91:92]
	v_mul_f64 v[85:86], v[85:86], v[97:98]
	v_fma_f64 v[85:86], v[87:88], v[125:126], v[85:86]
	s_waitcnt vmcnt(2)
	v_add_f64 v[93:94], v[93:94], -v[91:92]
	s_waitcnt vmcnt(0)
	v_add_f64 v[95:96], v[95:96], -v[85:86]
	buffer_store_dword v93, off, s[24:27], 0 offset:352 ; 4-byte Folded Spill
	s_nop 0
	buffer_store_dword v94, off, s[24:27], 0 offset:356 ; 4-byte Folded Spill
	buffer_store_dword v95, off, s[24:27], 0 offset:360 ; 4-byte Folded Spill
	buffer_store_dword v96, off, s[24:27], 0 offset:364 ; 4-byte Folded Spill
	;; [unrolled: 19-line block ×23, first 2 shown]
	ds_read2_b64 v[85:88], v0 offset0:70 offset1:71
	buffer_load_dword v93, off, s[24:27], 0 ; 4-byte Folded Reload
	buffer_load_dword v94, off, s[24:27], 0 offset:4 ; 4-byte Folded Reload
	buffer_load_dword v95, off, s[24:27], 0 offset:8 ; 4-byte Folded Reload
	;; [unrolled: 1-line block ×3, first 2 shown]
	s_waitcnt lgkmcnt(0)
	v_mul_f64 v[91:92], v[87:88], v[97:98]
	v_fma_f64 v[91:92], v[85:86], v[125:126], -v[91:92]
	v_mul_f64 v[85:86], v[85:86], v[97:98]
	v_fma_f64 v[85:86], v[87:88], v[125:126], v[85:86]
	s_waitcnt vmcnt(2)
	v_add_f64 v[93:94], v[93:94], -v[91:92]
	s_waitcnt vmcnt(0)
	v_add_f64 v[95:96], v[95:96], -v[85:86]
	buffer_store_dword v93, off, s[24:27], 0 ; 4-byte Folded Spill
	s_nop 0
	buffer_store_dword v94, off, s[24:27], 0 offset:4 ; 4-byte Folded Spill
	buffer_store_dword v95, off, s[24:27], 0 offset:8 ; 4-byte Folded Spill
	;; [unrolled: 1-line block ×3, first 2 shown]
	ds_read2_b64 v[85:88], v0 offset0:72 offset1:73
	v_mov_b32_e32 v95, v125
	v_mov_b32_e32 v96, v126
	s_waitcnt lgkmcnt(0)
	v_mul_f64 v[91:92], v[87:88], v[97:98]
	v_fma_f64 v[91:92], v[85:86], v[125:126], -v[91:92]
	v_mul_f64 v[85:86], v[85:86], v[97:98]
	v_add_f64 v[113:114], v[113:114], -v[91:92]
	v_fma_f64 v[85:86], v[87:88], v[125:126], v[85:86]
	v_add_f64 v[115:116], v[115:116], -v[85:86]
	ds_read2_b64 v[85:88], v0 offset0:74 offset1:75
	s_waitcnt lgkmcnt(0)
	v_mul_f64 v[91:92], v[87:88], v[97:98]
	v_fma_f64 v[91:92], v[85:86], v[125:126], -v[91:92]
	v_mul_f64 v[85:86], v[85:86], v[97:98]
	v_add_f64 v[109:110], v[109:110], -v[91:92]
	v_fma_f64 v[85:86], v[87:88], v[125:126], v[85:86]
	v_add_f64 v[111:112], v[111:112], -v[85:86]
	ds_read2_b64 v[85:88], v0 offset0:76 offset1:77
	;; [unrolled: 8-line block ×22, first 2 shown]
	s_waitcnt lgkmcnt(0)
	v_mul_f64 v[91:92], v[87:88], v[97:98]
	v_fma_f64 v[91:92], v[85:86], v[125:126], -v[91:92]
	v_mul_f64 v[85:86], v[85:86], v[97:98]
	v_add_f64 v[1:2], v[1:2], -v[91:92]
	v_fma_f64 v[85:86], v[87:88], v[125:126], v[85:86]
	ds_read2_b64 v[91:94], v0 offset0:118 offset1:119
	s_waitcnt lgkmcnt(0)
	v_mul_f64 v[87:88], v[91:92], v[97:98]
	v_add_f64 v[3:4], v[3:4], -v[85:86]
	v_mul_f64 v[85:86], v[93:94], v[97:98]
	buffer_store_dword v95, off, s[24:27], 0 offset:384 ; 4-byte Folded Spill
	s_nop 0
	buffer_store_dword v96, off, s[24:27], 0 offset:388 ; 4-byte Folded Spill
	buffer_store_dword v97, off, s[24:27], 0 offset:392 ; 4-byte Folded Spill
	;; [unrolled: 1-line block ×3, first 2 shown]
	v_fma_f64 v[87:88], v[93:94], v[125:126], v[87:88]
	v_fma_f64 v[85:86], v[91:92], v[125:126], -v[85:86]
	v_add_f64 v[123:124], v[123:124], -v[87:88]
	v_add_f64 v[121:122], v[121:122], -v[85:86]
.LBB118_251:
	s_or_b64 exec, exec, s[0:1]
	s_waitcnt vmcnt(0)
	s_barrier
	buffer_load_dword v91, off, s[24:27], 0 offset:368 ; 4-byte Folded Reload
	buffer_load_dword v92, off, s[24:27], 0 offset:372 ; 4-byte Folded Reload
	;; [unrolled: 1-line block ×4, first 2 shown]
	v_lshl_add_u32 v85, v89, 4, v0
	s_cmp_lt_i32 s3, 14
	s_waitcnt vmcnt(0)
	ds_write2_b64 v85, v[91:92], v[93:94] offset1:1
	s_waitcnt lgkmcnt(0)
	s_barrier
	ds_read2_b64 v[117:120], v0 offset0:24 offset1:25
	v_mov_b32_e32 v85, 12
	s_cbranch_scc1 .LBB118_254
; %bb.252:
	v_add_u32_e32 v86, 0xd0, v0
	s_mov_b32 s0, 13
	v_mov_b32_e32 v85, 12
.LBB118_253:                            ; =>This Inner Loop Header: Depth=1
	s_waitcnt lgkmcnt(0)
	v_cmp_gt_f64_e32 vcc, 0, v[117:118]
	v_xor_b32_e32 v87, 0x80000000, v118
	ds_read2_b64 v[91:94], v86 offset1:1
	v_xor_b32_e32 v95, 0x80000000, v120
	v_add_u32_e32 v86, 16, v86
	s_waitcnt lgkmcnt(0)
	v_xor_b32_e32 v97, 0x80000000, v94
	v_cndmask_b32_e32 v88, v118, v87, vcc
	v_cmp_gt_f64_e32 vcc, 0, v[119:120]
	v_mov_b32_e32 v87, v117
	v_cndmask_b32_e32 v96, v120, v95, vcc
	v_cmp_gt_f64_e32 vcc, 0, v[91:92]
	v_mov_b32_e32 v95, v119
	v_add_f64 v[87:88], v[87:88], v[95:96]
	v_xor_b32_e32 v95, 0x80000000, v92
	v_cndmask_b32_e32 v96, v92, v95, vcc
	v_cmp_gt_f64_e32 vcc, 0, v[93:94]
	v_mov_b32_e32 v95, v91
	v_cndmask_b32_e32 v98, v94, v97, vcc
	v_mov_b32_e32 v97, v93
	v_add_f64 v[95:96], v[95:96], v[97:98]
	v_cmp_lt_f64_e32 vcc, v[87:88], v[95:96]
	v_mov_b32_e32 v87, s0
	s_add_i32 s0, s0, 1
	s_cmp_lg_u32 s3, s0
	v_cndmask_b32_e32 v118, v118, v92, vcc
	v_cndmask_b32_e32 v117, v117, v91, vcc
	;; [unrolled: 1-line block ×5, first 2 shown]
	s_cbranch_scc1 .LBB118_253
.LBB118_254:
	s_waitcnt lgkmcnt(0)
	v_cmp_eq_f64_e32 vcc, 0, v[117:118]
	v_cmp_eq_f64_e64 s[0:1], 0, v[119:120]
	s_and_b64 s[0:1], vcc, s[0:1]
	s_and_saveexec_b64 s[18:19], s[0:1]
	s_xor_b64 s[0:1], exec, s[18:19]
; %bb.255:
	v_cmp_ne_u32_e32 vcc, 0, v90
	v_cndmask_b32_e32 v90, 13, v90, vcc
; %bb.256:
	s_andn2_saveexec_b64 s[0:1], s[0:1]
	s_cbranch_execz .LBB118_262
; %bb.257:
	v_cmp_ngt_f64_e64 s[18:19], |v[117:118]|, |v[119:120]|
	s_and_saveexec_b64 s[20:21], s[18:19]
	s_xor_b64 s[18:19], exec, s[20:21]
	s_cbranch_execz .LBB118_259
; %bb.258:
	v_div_scale_f64 v[86:87], s[20:21], v[119:120], v[119:120], v[117:118]
	v_rcp_f64_e32 v[91:92], v[86:87]
	v_fma_f64 v[93:94], -v[86:87], v[91:92], 1.0
	v_fma_f64 v[91:92], v[91:92], v[93:94], v[91:92]
	v_div_scale_f64 v[93:94], vcc, v[117:118], v[119:120], v[117:118]
	v_fma_f64 v[95:96], -v[86:87], v[91:92], 1.0
	v_fma_f64 v[91:92], v[91:92], v[95:96], v[91:92]
	v_mul_f64 v[95:96], v[93:94], v[91:92]
	v_fma_f64 v[86:87], -v[86:87], v[95:96], v[93:94]
	v_div_fmas_f64 v[86:87], v[86:87], v[91:92], v[95:96]
	v_div_fixup_f64 v[86:87], v[86:87], v[119:120], v[117:118]
	v_fma_f64 v[91:92], v[117:118], v[86:87], v[119:120]
	v_div_scale_f64 v[93:94], s[20:21], v[91:92], v[91:92], 1.0
	v_div_scale_f64 v[99:100], vcc, 1.0, v[91:92], 1.0
	v_rcp_f64_e32 v[95:96], v[93:94]
	v_fma_f64 v[97:98], -v[93:94], v[95:96], 1.0
	v_fma_f64 v[95:96], v[95:96], v[97:98], v[95:96]
	v_fma_f64 v[97:98], -v[93:94], v[95:96], 1.0
	v_fma_f64 v[95:96], v[95:96], v[97:98], v[95:96]
	v_mul_f64 v[97:98], v[99:100], v[95:96]
	v_fma_f64 v[93:94], -v[93:94], v[97:98], v[99:100]
	v_div_fmas_f64 v[93:94], v[93:94], v[95:96], v[97:98]
	v_div_fixup_f64 v[119:120], v[93:94], v[91:92], 1.0
	v_mul_f64 v[117:118], v[86:87], v[119:120]
	v_xor_b32_e32 v120, 0x80000000, v120
.LBB118_259:
	s_andn2_saveexec_b64 s[18:19], s[18:19]
	s_cbranch_execz .LBB118_261
; %bb.260:
	v_div_scale_f64 v[86:87], s[20:21], v[117:118], v[117:118], v[119:120]
	v_rcp_f64_e32 v[91:92], v[86:87]
	v_fma_f64 v[93:94], -v[86:87], v[91:92], 1.0
	v_fma_f64 v[91:92], v[91:92], v[93:94], v[91:92]
	v_div_scale_f64 v[93:94], vcc, v[119:120], v[117:118], v[119:120]
	v_fma_f64 v[95:96], -v[86:87], v[91:92], 1.0
	v_fma_f64 v[91:92], v[91:92], v[95:96], v[91:92]
	v_mul_f64 v[95:96], v[93:94], v[91:92]
	v_fma_f64 v[86:87], -v[86:87], v[95:96], v[93:94]
	v_div_fmas_f64 v[86:87], v[86:87], v[91:92], v[95:96]
	v_div_fixup_f64 v[86:87], v[86:87], v[117:118], v[119:120]
	v_fma_f64 v[91:92], v[119:120], v[86:87], v[117:118]
	v_div_scale_f64 v[93:94], s[20:21], v[91:92], v[91:92], 1.0
	v_div_scale_f64 v[99:100], vcc, 1.0, v[91:92], 1.0
	v_rcp_f64_e32 v[95:96], v[93:94]
	v_fma_f64 v[97:98], -v[93:94], v[95:96], 1.0
	v_fma_f64 v[95:96], v[95:96], v[97:98], v[95:96]
	v_fma_f64 v[97:98], -v[93:94], v[95:96], 1.0
	v_fma_f64 v[95:96], v[95:96], v[97:98], v[95:96]
	v_mul_f64 v[97:98], v[99:100], v[95:96]
	v_fma_f64 v[93:94], -v[93:94], v[97:98], v[99:100]
	v_div_fmas_f64 v[93:94], v[93:94], v[95:96], v[97:98]
	v_div_fixup_f64 v[117:118], v[93:94], v[91:92], 1.0
	v_mul_f64 v[119:120], v[86:87], -v[117:118]
.LBB118_261:
	s_or_b64 exec, exec, s[18:19]
.LBB118_262:
	s_or_b64 exec, exec, s[0:1]
	v_cmp_ne_u32_e32 vcc, v89, v85
	s_and_saveexec_b64 s[0:1], vcc
	s_xor_b64 s[0:1], exec, s[0:1]
	s_cbranch_execz .LBB118_268
; %bb.263:
	v_cmp_eq_u32_e32 vcc, 12, v89
	s_and_saveexec_b64 s[18:19], vcc
	s_cbranch_execz .LBB118_267
; %bb.264:
	v_cmp_ne_u32_e32 vcc, 12, v85
	s_xor_b64 s[20:21], s[6:7], -1
	s_and_b64 s[22:23], s[20:21], vcc
	s_and_saveexec_b64 s[20:21], s[22:23]
	s_cbranch_execz .LBB118_266
; %bb.265:
	v_ashrrev_i32_e32 v86, 31, v85
	v_lshlrev_b64 v[86:87], 2, v[85:86]
	v_add_co_u32_e32 v86, vcc, v107, v86
	v_addc_co_u32_e32 v87, vcc, v108, v87, vcc
	global_load_dword v88, v[86:87], off
	global_load_dword v89, v[107:108], off offset:48
	s_waitcnt vmcnt(1)
	global_store_dword v[107:108], v88, off offset:48
	s_waitcnt vmcnt(1)
	global_store_dword v[86:87], v89, off
.LBB118_266:
	s_or_b64 exec, exec, s[20:21]
	v_mov_b32_e32 v89, v85
	v_mov_b32_e32 v127, v85
.LBB118_267:
	s_or_b64 exec, exec, s[18:19]
.LBB118_268:
	s_andn2_saveexec_b64 s[0:1], s[0:1]
	s_cbranch_execz .LBB118_270
; %bb.269:
	buffer_load_dword v85, off, s[24:27], 0 offset:352 ; 4-byte Folded Reload
	buffer_load_dword v86, off, s[24:27], 0 offset:356 ; 4-byte Folded Reload
	;; [unrolled: 1-line block ×4, first 2 shown]
	v_mov_b32_e32 v89, 12
	s_waitcnt vmcnt(0)
	ds_write2_b64 v0, v[85:86], v[87:88] offset0:26 offset1:27
	buffer_load_dword v85, off, s[24:27], 0 offset:336 ; 4-byte Folded Reload
	buffer_load_dword v86, off, s[24:27], 0 offset:340 ; 4-byte Folded Reload
	buffer_load_dword v87, off, s[24:27], 0 offset:344 ; 4-byte Folded Reload
	buffer_load_dword v88, off, s[24:27], 0 offset:348 ; 4-byte Folded Reload
	s_waitcnt vmcnt(0)
	ds_write2_b64 v0, v[85:86], v[87:88] offset0:28 offset1:29
	buffer_load_dword v85, off, s[24:27], 0 offset:320 ; 4-byte Folded Reload
	buffer_load_dword v86, off, s[24:27], 0 offset:324 ; 4-byte Folded Reload
	buffer_load_dword v87, off, s[24:27], 0 offset:328 ; 4-byte Folded Reload
	buffer_load_dword v88, off, s[24:27], 0 offset:332 ; 4-byte Folded Reload
	;; [unrolled: 6-line block ×21, first 2 shown]
	s_waitcnt vmcnt(0)
	ds_write2_b64 v0, v[85:86], v[87:88] offset0:68 offset1:69
	buffer_load_dword v85, off, s[24:27], 0 ; 4-byte Folded Reload
	buffer_load_dword v86, off, s[24:27], 0 offset:4 ; 4-byte Folded Reload
	buffer_load_dword v87, off, s[24:27], 0 offset:8 ; 4-byte Folded Reload
	;; [unrolled: 1-line block ×3, first 2 shown]
	s_waitcnt vmcnt(0)
	ds_write2_b64 v0, v[85:86], v[87:88] offset0:70 offset1:71
	ds_write2_b64 v0, v[113:114], v[115:116] offset0:72 offset1:73
	;; [unrolled: 1-line block ×25, first 2 shown]
.LBB118_270:
	s_or_b64 exec, exec, s[0:1]
	v_cmp_lt_i32_e32 vcc, 12, v89
	s_waitcnt vmcnt(0) lgkmcnt(0)
	s_barrier
	s_and_saveexec_b64 s[0:1], vcc
	s_cbranch_execz .LBB118_272
; %bb.271:
	buffer_load_dword v95, off, s[24:27], 0 offset:368 ; 4-byte Folded Reload
	buffer_load_dword v96, off, s[24:27], 0 offset:372 ; 4-byte Folded Reload
	buffer_load_dword v97, off, s[24:27], 0 offset:376 ; 4-byte Folded Reload
	buffer_load_dword v98, off, s[24:27], 0 offset:380 ; 4-byte Folded Reload
	s_waitcnt vmcnt(0)
	v_mul_f64 v[85:86], v[119:120], v[97:98]
	v_fma_f64 v[125:126], v[117:118], v[95:96], -v[85:86]
	v_mul_f64 v[85:86], v[117:118], v[97:98]
	v_fma_f64 v[97:98], v[119:120], v[95:96], v[85:86]
	ds_read2_b64 v[85:88], v0 offset0:26 offset1:27
	buffer_load_dword v93, off, s[24:27], 0 offset:352 ; 4-byte Folded Reload
	buffer_load_dword v94, off, s[24:27], 0 offset:356 ; 4-byte Folded Reload
	buffer_load_dword v95, off, s[24:27], 0 offset:360 ; 4-byte Folded Reload
	buffer_load_dword v96, off, s[24:27], 0 offset:364 ; 4-byte Folded Reload
	s_waitcnt lgkmcnt(0)
	v_mul_f64 v[91:92], v[87:88], v[97:98]
	v_fma_f64 v[91:92], v[85:86], v[125:126], -v[91:92]
	v_mul_f64 v[85:86], v[85:86], v[97:98]
	v_fma_f64 v[85:86], v[87:88], v[125:126], v[85:86]
	s_waitcnt vmcnt(2)
	v_add_f64 v[93:94], v[93:94], -v[91:92]
	s_waitcnt vmcnt(0)
	v_add_f64 v[95:96], v[95:96], -v[85:86]
	buffer_store_dword v93, off, s[24:27], 0 offset:352 ; 4-byte Folded Spill
	s_nop 0
	buffer_store_dword v94, off, s[24:27], 0 offset:356 ; 4-byte Folded Spill
	buffer_store_dword v95, off, s[24:27], 0 offset:360 ; 4-byte Folded Spill
	buffer_store_dword v96, off, s[24:27], 0 offset:364 ; 4-byte Folded Spill
	ds_read2_b64 v[85:88], v0 offset0:28 offset1:29
	buffer_load_dword v93, off, s[24:27], 0 offset:336 ; 4-byte Folded Reload
	buffer_load_dword v94, off, s[24:27], 0 offset:340 ; 4-byte Folded Reload
	buffer_load_dword v95, off, s[24:27], 0 offset:344 ; 4-byte Folded Reload
	buffer_load_dword v96, off, s[24:27], 0 offset:348 ; 4-byte Folded Reload
	s_waitcnt lgkmcnt(0)
	v_mul_f64 v[91:92], v[87:88], v[97:98]
	v_fma_f64 v[91:92], v[85:86], v[125:126], -v[91:92]
	v_mul_f64 v[85:86], v[85:86], v[97:98]
	v_fma_f64 v[85:86], v[87:88], v[125:126], v[85:86]
	s_waitcnt vmcnt(2)
	v_add_f64 v[93:94], v[93:94], -v[91:92]
	s_waitcnt vmcnt(0)
	v_add_f64 v[95:96], v[95:96], -v[85:86]
	buffer_store_dword v93, off, s[24:27], 0 offset:336 ; 4-byte Folded Spill
	s_nop 0
	buffer_store_dword v94, off, s[24:27], 0 offset:340 ; 4-byte Folded Spill
	buffer_store_dword v95, off, s[24:27], 0 offset:344 ; 4-byte Folded Spill
	buffer_store_dword v96, off, s[24:27], 0 offset:348 ; 4-byte Folded Spill
	;; [unrolled: 19-line block ×22, first 2 shown]
	ds_read2_b64 v[85:88], v0 offset0:70 offset1:71
	buffer_load_dword v93, off, s[24:27], 0 ; 4-byte Folded Reload
	buffer_load_dword v94, off, s[24:27], 0 offset:4 ; 4-byte Folded Reload
	buffer_load_dword v95, off, s[24:27], 0 offset:8 ; 4-byte Folded Reload
	;; [unrolled: 1-line block ×3, first 2 shown]
	s_waitcnt lgkmcnt(0)
	v_mul_f64 v[91:92], v[87:88], v[97:98]
	v_fma_f64 v[91:92], v[85:86], v[125:126], -v[91:92]
	v_mul_f64 v[85:86], v[85:86], v[97:98]
	v_fma_f64 v[85:86], v[87:88], v[125:126], v[85:86]
	s_waitcnt vmcnt(2)
	v_add_f64 v[93:94], v[93:94], -v[91:92]
	s_waitcnt vmcnt(0)
	v_add_f64 v[95:96], v[95:96], -v[85:86]
	buffer_store_dword v93, off, s[24:27], 0 ; 4-byte Folded Spill
	s_nop 0
	buffer_store_dword v94, off, s[24:27], 0 offset:4 ; 4-byte Folded Spill
	buffer_store_dword v95, off, s[24:27], 0 offset:8 ; 4-byte Folded Spill
	;; [unrolled: 1-line block ×3, first 2 shown]
	ds_read2_b64 v[85:88], v0 offset0:72 offset1:73
	v_mov_b32_e32 v95, v125
	v_mov_b32_e32 v96, v126
	s_waitcnt lgkmcnt(0)
	v_mul_f64 v[91:92], v[87:88], v[97:98]
	v_fma_f64 v[91:92], v[85:86], v[125:126], -v[91:92]
	v_mul_f64 v[85:86], v[85:86], v[97:98]
	v_add_f64 v[113:114], v[113:114], -v[91:92]
	v_fma_f64 v[85:86], v[87:88], v[125:126], v[85:86]
	v_add_f64 v[115:116], v[115:116], -v[85:86]
	ds_read2_b64 v[85:88], v0 offset0:74 offset1:75
	s_waitcnt lgkmcnt(0)
	v_mul_f64 v[91:92], v[87:88], v[97:98]
	v_fma_f64 v[91:92], v[85:86], v[125:126], -v[91:92]
	v_mul_f64 v[85:86], v[85:86], v[97:98]
	v_add_f64 v[109:110], v[109:110], -v[91:92]
	v_fma_f64 v[85:86], v[87:88], v[125:126], v[85:86]
	v_add_f64 v[111:112], v[111:112], -v[85:86]
	ds_read2_b64 v[85:88], v0 offset0:76 offset1:77
	s_waitcnt lgkmcnt(0)
	v_mul_f64 v[91:92], v[87:88], v[97:98]
	v_fma_f64 v[91:92], v[85:86], v[125:126], -v[91:92]
	v_mul_f64 v[85:86], v[85:86], v[97:98]
	v_add_f64 v[81:82], v[81:82], -v[91:92]
	v_fma_f64 v[85:86], v[87:88], v[125:126], v[85:86]
	v_add_f64 v[83:84], v[83:84], -v[85:86]
	ds_read2_b64 v[85:88], v0 offset0:78 offset1:79
	s_waitcnt lgkmcnt(0)
	v_mul_f64 v[91:92], v[87:88], v[97:98]
	v_fma_f64 v[91:92], v[85:86], v[125:126], -v[91:92]
	v_mul_f64 v[85:86], v[85:86], v[97:98]
	v_add_f64 v[77:78], v[77:78], -v[91:92]
	v_fma_f64 v[85:86], v[87:88], v[125:126], v[85:86]
	v_add_f64 v[79:80], v[79:80], -v[85:86]
	ds_read2_b64 v[85:88], v0 offset0:80 offset1:81
	s_waitcnt lgkmcnt(0)
	v_mul_f64 v[91:92], v[87:88], v[97:98]
	v_fma_f64 v[91:92], v[85:86], v[125:126], -v[91:92]
	v_mul_f64 v[85:86], v[85:86], v[97:98]
	v_add_f64 v[73:74], v[73:74], -v[91:92]
	v_fma_f64 v[85:86], v[87:88], v[125:126], v[85:86]
	v_add_f64 v[75:76], v[75:76], -v[85:86]
	ds_read2_b64 v[85:88], v0 offset0:82 offset1:83
	s_waitcnt lgkmcnt(0)
	v_mul_f64 v[91:92], v[87:88], v[97:98]
	v_fma_f64 v[91:92], v[85:86], v[125:126], -v[91:92]
	v_mul_f64 v[85:86], v[85:86], v[97:98]
	v_add_f64 v[69:70], v[69:70], -v[91:92]
	v_fma_f64 v[85:86], v[87:88], v[125:126], v[85:86]
	v_add_f64 v[71:72], v[71:72], -v[85:86]
	ds_read2_b64 v[85:88], v0 offset0:84 offset1:85
	s_waitcnt lgkmcnt(0)
	v_mul_f64 v[91:92], v[87:88], v[97:98]
	v_fma_f64 v[91:92], v[85:86], v[125:126], -v[91:92]
	v_mul_f64 v[85:86], v[85:86], v[97:98]
	v_add_f64 v[65:66], v[65:66], -v[91:92]
	v_fma_f64 v[85:86], v[87:88], v[125:126], v[85:86]
	v_add_f64 v[67:68], v[67:68], -v[85:86]
	ds_read2_b64 v[85:88], v0 offset0:86 offset1:87
	s_waitcnt lgkmcnt(0)
	v_mul_f64 v[91:92], v[87:88], v[97:98]
	v_fma_f64 v[91:92], v[85:86], v[125:126], -v[91:92]
	v_mul_f64 v[85:86], v[85:86], v[97:98]
	v_add_f64 v[61:62], v[61:62], -v[91:92]
	v_fma_f64 v[85:86], v[87:88], v[125:126], v[85:86]
	v_add_f64 v[63:64], v[63:64], -v[85:86]
	ds_read2_b64 v[85:88], v0 offset0:88 offset1:89
	s_waitcnt lgkmcnt(0)
	v_mul_f64 v[91:92], v[87:88], v[97:98]
	v_fma_f64 v[91:92], v[85:86], v[125:126], -v[91:92]
	v_mul_f64 v[85:86], v[85:86], v[97:98]
	v_add_f64 v[57:58], v[57:58], -v[91:92]
	v_fma_f64 v[85:86], v[87:88], v[125:126], v[85:86]
	v_add_f64 v[59:60], v[59:60], -v[85:86]
	ds_read2_b64 v[85:88], v0 offset0:90 offset1:91
	s_waitcnt lgkmcnt(0)
	v_mul_f64 v[91:92], v[87:88], v[97:98]
	v_fma_f64 v[91:92], v[85:86], v[125:126], -v[91:92]
	v_mul_f64 v[85:86], v[85:86], v[97:98]
	v_add_f64 v[53:54], v[53:54], -v[91:92]
	v_fma_f64 v[85:86], v[87:88], v[125:126], v[85:86]
	v_add_f64 v[55:56], v[55:56], -v[85:86]
	ds_read2_b64 v[85:88], v0 offset0:92 offset1:93
	s_waitcnt lgkmcnt(0)
	v_mul_f64 v[91:92], v[87:88], v[97:98]
	v_fma_f64 v[91:92], v[85:86], v[125:126], -v[91:92]
	v_mul_f64 v[85:86], v[85:86], v[97:98]
	v_add_f64 v[49:50], v[49:50], -v[91:92]
	v_fma_f64 v[85:86], v[87:88], v[125:126], v[85:86]
	v_add_f64 v[51:52], v[51:52], -v[85:86]
	ds_read2_b64 v[85:88], v0 offset0:94 offset1:95
	s_waitcnt lgkmcnt(0)
	v_mul_f64 v[91:92], v[87:88], v[97:98]
	v_fma_f64 v[91:92], v[85:86], v[125:126], -v[91:92]
	v_mul_f64 v[85:86], v[85:86], v[97:98]
	v_add_f64 v[45:46], v[45:46], -v[91:92]
	v_fma_f64 v[85:86], v[87:88], v[125:126], v[85:86]
	v_add_f64 v[47:48], v[47:48], -v[85:86]
	ds_read2_b64 v[85:88], v0 offset0:96 offset1:97
	s_waitcnt lgkmcnt(0)
	v_mul_f64 v[91:92], v[87:88], v[97:98]
	v_fma_f64 v[91:92], v[85:86], v[125:126], -v[91:92]
	v_mul_f64 v[85:86], v[85:86], v[97:98]
	v_add_f64 v[41:42], v[41:42], -v[91:92]
	v_fma_f64 v[85:86], v[87:88], v[125:126], v[85:86]
	v_add_f64 v[43:44], v[43:44], -v[85:86]
	ds_read2_b64 v[85:88], v0 offset0:98 offset1:99
	s_waitcnt lgkmcnt(0)
	v_mul_f64 v[91:92], v[87:88], v[97:98]
	v_fma_f64 v[91:92], v[85:86], v[125:126], -v[91:92]
	v_mul_f64 v[85:86], v[85:86], v[97:98]
	v_add_f64 v[37:38], v[37:38], -v[91:92]
	v_fma_f64 v[85:86], v[87:88], v[125:126], v[85:86]
	v_add_f64 v[39:40], v[39:40], -v[85:86]
	ds_read2_b64 v[85:88], v0 offset0:100 offset1:101
	s_waitcnt lgkmcnt(0)
	v_mul_f64 v[91:92], v[87:88], v[97:98]
	v_fma_f64 v[91:92], v[85:86], v[125:126], -v[91:92]
	v_mul_f64 v[85:86], v[85:86], v[97:98]
	v_add_f64 v[33:34], v[33:34], -v[91:92]
	v_fma_f64 v[85:86], v[87:88], v[125:126], v[85:86]
	v_add_f64 v[35:36], v[35:36], -v[85:86]
	ds_read2_b64 v[85:88], v0 offset0:102 offset1:103
	s_waitcnt lgkmcnt(0)
	v_mul_f64 v[91:92], v[87:88], v[97:98]
	v_fma_f64 v[91:92], v[85:86], v[125:126], -v[91:92]
	v_mul_f64 v[85:86], v[85:86], v[97:98]
	v_add_f64 v[29:30], v[29:30], -v[91:92]
	v_fma_f64 v[85:86], v[87:88], v[125:126], v[85:86]
	v_add_f64 v[31:32], v[31:32], -v[85:86]
	ds_read2_b64 v[85:88], v0 offset0:104 offset1:105
	s_waitcnt lgkmcnt(0)
	v_mul_f64 v[91:92], v[87:88], v[97:98]
	v_fma_f64 v[91:92], v[85:86], v[125:126], -v[91:92]
	v_mul_f64 v[85:86], v[85:86], v[97:98]
	v_add_f64 v[25:26], v[25:26], -v[91:92]
	v_fma_f64 v[85:86], v[87:88], v[125:126], v[85:86]
	v_add_f64 v[27:28], v[27:28], -v[85:86]
	ds_read2_b64 v[85:88], v0 offset0:106 offset1:107
	s_waitcnt lgkmcnt(0)
	v_mul_f64 v[91:92], v[87:88], v[97:98]
	v_fma_f64 v[91:92], v[85:86], v[125:126], -v[91:92]
	v_mul_f64 v[85:86], v[85:86], v[97:98]
	v_add_f64 v[21:22], v[21:22], -v[91:92]
	v_fma_f64 v[85:86], v[87:88], v[125:126], v[85:86]
	v_add_f64 v[23:24], v[23:24], -v[85:86]
	ds_read2_b64 v[85:88], v0 offset0:108 offset1:109
	s_waitcnt lgkmcnt(0)
	v_mul_f64 v[91:92], v[87:88], v[97:98]
	v_fma_f64 v[91:92], v[85:86], v[125:126], -v[91:92]
	v_mul_f64 v[85:86], v[85:86], v[97:98]
	v_add_f64 v[17:18], v[17:18], -v[91:92]
	v_fma_f64 v[85:86], v[87:88], v[125:126], v[85:86]
	v_add_f64 v[19:20], v[19:20], -v[85:86]
	ds_read2_b64 v[85:88], v0 offset0:110 offset1:111
	s_waitcnt lgkmcnt(0)
	v_mul_f64 v[91:92], v[87:88], v[97:98]
	v_fma_f64 v[91:92], v[85:86], v[125:126], -v[91:92]
	v_mul_f64 v[85:86], v[85:86], v[97:98]
	v_add_f64 v[13:14], v[13:14], -v[91:92]
	v_fma_f64 v[85:86], v[87:88], v[125:126], v[85:86]
	v_add_f64 v[15:16], v[15:16], -v[85:86]
	ds_read2_b64 v[85:88], v0 offset0:112 offset1:113
	s_waitcnt lgkmcnt(0)
	v_mul_f64 v[91:92], v[87:88], v[97:98]
	v_fma_f64 v[91:92], v[85:86], v[125:126], -v[91:92]
	v_mul_f64 v[85:86], v[85:86], v[97:98]
	v_add_f64 v[9:10], v[9:10], -v[91:92]
	v_fma_f64 v[85:86], v[87:88], v[125:126], v[85:86]
	v_add_f64 v[11:12], v[11:12], -v[85:86]
	ds_read2_b64 v[85:88], v0 offset0:114 offset1:115
	s_waitcnt lgkmcnt(0)
	v_mul_f64 v[91:92], v[87:88], v[97:98]
	v_fma_f64 v[91:92], v[85:86], v[125:126], -v[91:92]
	v_mul_f64 v[85:86], v[85:86], v[97:98]
	v_add_f64 v[5:6], v[5:6], -v[91:92]
	v_fma_f64 v[85:86], v[87:88], v[125:126], v[85:86]
	v_add_f64 v[7:8], v[7:8], -v[85:86]
	ds_read2_b64 v[85:88], v0 offset0:116 offset1:117
	s_waitcnt lgkmcnt(0)
	v_mul_f64 v[91:92], v[87:88], v[97:98]
	v_fma_f64 v[91:92], v[85:86], v[125:126], -v[91:92]
	v_mul_f64 v[85:86], v[85:86], v[97:98]
	v_add_f64 v[1:2], v[1:2], -v[91:92]
	v_fma_f64 v[85:86], v[87:88], v[125:126], v[85:86]
	ds_read2_b64 v[91:94], v0 offset0:118 offset1:119
	s_waitcnt lgkmcnt(0)
	v_mul_f64 v[87:88], v[91:92], v[97:98]
	v_add_f64 v[3:4], v[3:4], -v[85:86]
	v_mul_f64 v[85:86], v[93:94], v[97:98]
	buffer_store_dword v95, off, s[24:27], 0 offset:368 ; 4-byte Folded Spill
	s_nop 0
	buffer_store_dword v96, off, s[24:27], 0 offset:372 ; 4-byte Folded Spill
	buffer_store_dword v97, off, s[24:27], 0 offset:376 ; 4-byte Folded Spill
	;; [unrolled: 1-line block ×3, first 2 shown]
	v_fma_f64 v[87:88], v[93:94], v[125:126], v[87:88]
	v_fma_f64 v[85:86], v[91:92], v[125:126], -v[85:86]
	v_add_f64 v[123:124], v[123:124], -v[87:88]
	v_add_f64 v[121:122], v[121:122], -v[85:86]
.LBB118_272:
	s_or_b64 exec, exec, s[0:1]
	s_waitcnt vmcnt(0)
	s_barrier
	buffer_load_dword v91, off, s[24:27], 0 offset:352 ; 4-byte Folded Reload
	buffer_load_dword v92, off, s[24:27], 0 offset:356 ; 4-byte Folded Reload
	;; [unrolled: 1-line block ×4, first 2 shown]
	v_lshl_add_u32 v85, v89, 4, v0
	s_cmp_lt_i32 s3, 15
	s_waitcnt vmcnt(0)
	ds_write2_b64 v85, v[91:92], v[93:94] offset1:1
	s_waitcnt lgkmcnt(0)
	s_barrier
	ds_read2_b64 v[117:120], v0 offset0:26 offset1:27
	v_mov_b32_e32 v85, 13
	s_cbranch_scc1 .LBB118_275
; %bb.273:
	v_add_u32_e32 v86, 0xe0, v0
	s_mov_b32 s0, 14
	v_mov_b32_e32 v85, 13
.LBB118_274:                            ; =>This Inner Loop Header: Depth=1
	s_waitcnt lgkmcnt(0)
	v_cmp_gt_f64_e32 vcc, 0, v[117:118]
	v_xor_b32_e32 v87, 0x80000000, v118
	ds_read2_b64 v[91:94], v86 offset1:1
	v_xor_b32_e32 v95, 0x80000000, v120
	v_add_u32_e32 v86, 16, v86
	s_waitcnt lgkmcnt(0)
	v_xor_b32_e32 v97, 0x80000000, v94
	v_cndmask_b32_e32 v88, v118, v87, vcc
	v_cmp_gt_f64_e32 vcc, 0, v[119:120]
	v_mov_b32_e32 v87, v117
	v_cndmask_b32_e32 v96, v120, v95, vcc
	v_cmp_gt_f64_e32 vcc, 0, v[91:92]
	v_mov_b32_e32 v95, v119
	v_add_f64 v[87:88], v[87:88], v[95:96]
	v_xor_b32_e32 v95, 0x80000000, v92
	v_cndmask_b32_e32 v96, v92, v95, vcc
	v_cmp_gt_f64_e32 vcc, 0, v[93:94]
	v_mov_b32_e32 v95, v91
	v_cndmask_b32_e32 v98, v94, v97, vcc
	v_mov_b32_e32 v97, v93
	v_add_f64 v[95:96], v[95:96], v[97:98]
	v_cmp_lt_f64_e32 vcc, v[87:88], v[95:96]
	v_mov_b32_e32 v87, s0
	s_add_i32 s0, s0, 1
	s_cmp_lg_u32 s3, s0
	v_cndmask_b32_e32 v118, v118, v92, vcc
	v_cndmask_b32_e32 v117, v117, v91, vcc
	;; [unrolled: 1-line block ×5, first 2 shown]
	s_cbranch_scc1 .LBB118_274
.LBB118_275:
	s_waitcnt lgkmcnt(0)
	v_cmp_eq_f64_e32 vcc, 0, v[117:118]
	v_cmp_eq_f64_e64 s[0:1], 0, v[119:120]
	s_and_b64 s[0:1], vcc, s[0:1]
	s_and_saveexec_b64 s[18:19], s[0:1]
	s_xor_b64 s[0:1], exec, s[18:19]
; %bb.276:
	v_cmp_ne_u32_e32 vcc, 0, v90
	v_cndmask_b32_e32 v90, 14, v90, vcc
; %bb.277:
	s_andn2_saveexec_b64 s[0:1], s[0:1]
	s_cbranch_execz .LBB118_283
; %bb.278:
	v_cmp_ngt_f64_e64 s[18:19], |v[117:118]|, |v[119:120]|
	s_and_saveexec_b64 s[20:21], s[18:19]
	s_xor_b64 s[18:19], exec, s[20:21]
	s_cbranch_execz .LBB118_280
; %bb.279:
	v_div_scale_f64 v[86:87], s[20:21], v[119:120], v[119:120], v[117:118]
	v_rcp_f64_e32 v[91:92], v[86:87]
	v_fma_f64 v[93:94], -v[86:87], v[91:92], 1.0
	v_fma_f64 v[91:92], v[91:92], v[93:94], v[91:92]
	v_div_scale_f64 v[93:94], vcc, v[117:118], v[119:120], v[117:118]
	v_fma_f64 v[95:96], -v[86:87], v[91:92], 1.0
	v_fma_f64 v[91:92], v[91:92], v[95:96], v[91:92]
	v_mul_f64 v[95:96], v[93:94], v[91:92]
	v_fma_f64 v[86:87], -v[86:87], v[95:96], v[93:94]
	v_div_fmas_f64 v[86:87], v[86:87], v[91:92], v[95:96]
	v_div_fixup_f64 v[86:87], v[86:87], v[119:120], v[117:118]
	v_fma_f64 v[91:92], v[117:118], v[86:87], v[119:120]
	v_div_scale_f64 v[93:94], s[20:21], v[91:92], v[91:92], 1.0
	v_div_scale_f64 v[99:100], vcc, 1.0, v[91:92], 1.0
	v_rcp_f64_e32 v[95:96], v[93:94]
	v_fma_f64 v[97:98], -v[93:94], v[95:96], 1.0
	v_fma_f64 v[95:96], v[95:96], v[97:98], v[95:96]
	v_fma_f64 v[97:98], -v[93:94], v[95:96], 1.0
	v_fma_f64 v[95:96], v[95:96], v[97:98], v[95:96]
	v_mul_f64 v[97:98], v[99:100], v[95:96]
	v_fma_f64 v[93:94], -v[93:94], v[97:98], v[99:100]
	v_div_fmas_f64 v[93:94], v[93:94], v[95:96], v[97:98]
	v_div_fixup_f64 v[119:120], v[93:94], v[91:92], 1.0
	v_mul_f64 v[117:118], v[86:87], v[119:120]
	v_xor_b32_e32 v120, 0x80000000, v120
.LBB118_280:
	s_andn2_saveexec_b64 s[18:19], s[18:19]
	s_cbranch_execz .LBB118_282
; %bb.281:
	v_div_scale_f64 v[86:87], s[20:21], v[117:118], v[117:118], v[119:120]
	v_rcp_f64_e32 v[91:92], v[86:87]
	v_fma_f64 v[93:94], -v[86:87], v[91:92], 1.0
	v_fma_f64 v[91:92], v[91:92], v[93:94], v[91:92]
	v_div_scale_f64 v[93:94], vcc, v[119:120], v[117:118], v[119:120]
	v_fma_f64 v[95:96], -v[86:87], v[91:92], 1.0
	v_fma_f64 v[91:92], v[91:92], v[95:96], v[91:92]
	v_mul_f64 v[95:96], v[93:94], v[91:92]
	v_fma_f64 v[86:87], -v[86:87], v[95:96], v[93:94]
	v_div_fmas_f64 v[86:87], v[86:87], v[91:92], v[95:96]
	v_div_fixup_f64 v[86:87], v[86:87], v[117:118], v[119:120]
	v_fma_f64 v[91:92], v[119:120], v[86:87], v[117:118]
	v_div_scale_f64 v[93:94], s[20:21], v[91:92], v[91:92], 1.0
	v_div_scale_f64 v[99:100], vcc, 1.0, v[91:92], 1.0
	v_rcp_f64_e32 v[95:96], v[93:94]
	v_fma_f64 v[97:98], -v[93:94], v[95:96], 1.0
	v_fma_f64 v[95:96], v[95:96], v[97:98], v[95:96]
	v_fma_f64 v[97:98], -v[93:94], v[95:96], 1.0
	v_fma_f64 v[95:96], v[95:96], v[97:98], v[95:96]
	v_mul_f64 v[97:98], v[99:100], v[95:96]
	v_fma_f64 v[93:94], -v[93:94], v[97:98], v[99:100]
	v_div_fmas_f64 v[93:94], v[93:94], v[95:96], v[97:98]
	v_div_fixup_f64 v[117:118], v[93:94], v[91:92], 1.0
	v_mul_f64 v[119:120], v[86:87], -v[117:118]
.LBB118_282:
	s_or_b64 exec, exec, s[18:19]
.LBB118_283:
	s_or_b64 exec, exec, s[0:1]
	v_cmp_ne_u32_e32 vcc, v89, v85
	s_and_saveexec_b64 s[0:1], vcc
	s_xor_b64 s[0:1], exec, s[0:1]
	s_cbranch_execz .LBB118_289
; %bb.284:
	v_cmp_eq_u32_e32 vcc, 13, v89
	s_and_saveexec_b64 s[18:19], vcc
	s_cbranch_execz .LBB118_288
; %bb.285:
	v_cmp_ne_u32_e32 vcc, 13, v85
	s_xor_b64 s[20:21], s[6:7], -1
	s_and_b64 s[22:23], s[20:21], vcc
	s_and_saveexec_b64 s[20:21], s[22:23]
	s_cbranch_execz .LBB118_287
; %bb.286:
	v_ashrrev_i32_e32 v86, 31, v85
	v_lshlrev_b64 v[86:87], 2, v[85:86]
	v_add_co_u32_e32 v86, vcc, v107, v86
	v_addc_co_u32_e32 v87, vcc, v108, v87, vcc
	global_load_dword v88, v[86:87], off
	global_load_dword v89, v[107:108], off offset:52
	s_waitcnt vmcnt(1)
	global_store_dword v[107:108], v88, off offset:52
	s_waitcnt vmcnt(1)
	global_store_dword v[86:87], v89, off
.LBB118_287:
	s_or_b64 exec, exec, s[20:21]
	v_mov_b32_e32 v89, v85
	v_mov_b32_e32 v127, v85
.LBB118_288:
	s_or_b64 exec, exec, s[18:19]
.LBB118_289:
	s_andn2_saveexec_b64 s[0:1], s[0:1]
	s_cbranch_execz .LBB118_291
; %bb.290:
	buffer_load_dword v85, off, s[24:27], 0 offset:336 ; 4-byte Folded Reload
	buffer_load_dword v86, off, s[24:27], 0 offset:340 ; 4-byte Folded Reload
	;; [unrolled: 1-line block ×4, first 2 shown]
	v_mov_b32_e32 v89, 13
	s_waitcnt vmcnt(0)
	ds_write2_b64 v0, v[85:86], v[87:88] offset0:28 offset1:29
	buffer_load_dword v85, off, s[24:27], 0 offset:320 ; 4-byte Folded Reload
	buffer_load_dword v86, off, s[24:27], 0 offset:324 ; 4-byte Folded Reload
	buffer_load_dword v87, off, s[24:27], 0 offset:328 ; 4-byte Folded Reload
	buffer_load_dword v88, off, s[24:27], 0 offset:332 ; 4-byte Folded Reload
	s_waitcnt vmcnt(0)
	ds_write2_b64 v0, v[85:86], v[87:88] offset0:30 offset1:31
	buffer_load_dword v85, off, s[24:27], 0 offset:304 ; 4-byte Folded Reload
	buffer_load_dword v86, off, s[24:27], 0 offset:308 ; 4-byte Folded Reload
	buffer_load_dword v87, off, s[24:27], 0 offset:312 ; 4-byte Folded Reload
	buffer_load_dword v88, off, s[24:27], 0 offset:316 ; 4-byte Folded Reload
	;; [unrolled: 6-line block ×20, first 2 shown]
	s_waitcnt vmcnt(0)
	ds_write2_b64 v0, v[85:86], v[87:88] offset0:68 offset1:69
	buffer_load_dword v85, off, s[24:27], 0 ; 4-byte Folded Reload
	buffer_load_dword v86, off, s[24:27], 0 offset:4 ; 4-byte Folded Reload
	buffer_load_dword v87, off, s[24:27], 0 offset:8 ; 4-byte Folded Reload
	;; [unrolled: 1-line block ×3, first 2 shown]
	s_waitcnt vmcnt(0)
	ds_write2_b64 v0, v[85:86], v[87:88] offset0:70 offset1:71
	ds_write2_b64 v0, v[113:114], v[115:116] offset0:72 offset1:73
	;; [unrolled: 1-line block ×25, first 2 shown]
.LBB118_291:
	s_or_b64 exec, exec, s[0:1]
	v_cmp_lt_i32_e32 vcc, 13, v89
	s_waitcnt vmcnt(0) lgkmcnt(0)
	s_barrier
	s_and_saveexec_b64 s[0:1], vcc
	s_cbranch_execz .LBB118_293
; %bb.292:
	buffer_load_dword v95, off, s[24:27], 0 offset:352 ; 4-byte Folded Reload
	buffer_load_dword v96, off, s[24:27], 0 offset:356 ; 4-byte Folded Reload
	;; [unrolled: 1-line block ×4, first 2 shown]
	s_waitcnt vmcnt(0)
	v_mul_f64 v[85:86], v[119:120], v[97:98]
	v_fma_f64 v[125:126], v[117:118], v[95:96], -v[85:86]
	v_mul_f64 v[85:86], v[117:118], v[97:98]
	v_fma_f64 v[97:98], v[119:120], v[95:96], v[85:86]
	ds_read2_b64 v[85:88], v0 offset0:28 offset1:29
	buffer_load_dword v93, off, s[24:27], 0 offset:336 ; 4-byte Folded Reload
	buffer_load_dword v94, off, s[24:27], 0 offset:340 ; 4-byte Folded Reload
	buffer_load_dword v95, off, s[24:27], 0 offset:344 ; 4-byte Folded Reload
	buffer_load_dword v96, off, s[24:27], 0 offset:348 ; 4-byte Folded Reload
	s_waitcnt lgkmcnt(0)
	v_mul_f64 v[91:92], v[87:88], v[97:98]
	v_fma_f64 v[91:92], v[85:86], v[125:126], -v[91:92]
	v_mul_f64 v[85:86], v[85:86], v[97:98]
	v_fma_f64 v[85:86], v[87:88], v[125:126], v[85:86]
	s_waitcnt vmcnt(2)
	v_add_f64 v[93:94], v[93:94], -v[91:92]
	s_waitcnt vmcnt(0)
	v_add_f64 v[95:96], v[95:96], -v[85:86]
	buffer_store_dword v93, off, s[24:27], 0 offset:336 ; 4-byte Folded Spill
	s_nop 0
	buffer_store_dword v94, off, s[24:27], 0 offset:340 ; 4-byte Folded Spill
	buffer_store_dword v95, off, s[24:27], 0 offset:344 ; 4-byte Folded Spill
	buffer_store_dword v96, off, s[24:27], 0 offset:348 ; 4-byte Folded Spill
	ds_read2_b64 v[85:88], v0 offset0:30 offset1:31
	buffer_load_dword v93, off, s[24:27], 0 offset:320 ; 4-byte Folded Reload
	buffer_load_dword v94, off, s[24:27], 0 offset:324 ; 4-byte Folded Reload
	buffer_load_dword v95, off, s[24:27], 0 offset:328 ; 4-byte Folded Reload
	buffer_load_dword v96, off, s[24:27], 0 offset:332 ; 4-byte Folded Reload
	s_waitcnt lgkmcnt(0)
	v_mul_f64 v[91:92], v[87:88], v[97:98]
	v_fma_f64 v[91:92], v[85:86], v[125:126], -v[91:92]
	v_mul_f64 v[85:86], v[85:86], v[97:98]
	v_fma_f64 v[85:86], v[87:88], v[125:126], v[85:86]
	s_waitcnt vmcnt(2)
	v_add_f64 v[93:94], v[93:94], -v[91:92]
	s_waitcnt vmcnt(0)
	v_add_f64 v[95:96], v[95:96], -v[85:86]
	buffer_store_dword v93, off, s[24:27], 0 offset:320 ; 4-byte Folded Spill
	s_nop 0
	buffer_store_dword v94, off, s[24:27], 0 offset:324 ; 4-byte Folded Spill
	buffer_store_dword v95, off, s[24:27], 0 offset:328 ; 4-byte Folded Spill
	buffer_store_dword v96, off, s[24:27], 0 offset:332 ; 4-byte Folded Spill
	;; [unrolled: 19-line block ×21, first 2 shown]
	ds_read2_b64 v[85:88], v0 offset0:70 offset1:71
	buffer_load_dword v93, off, s[24:27], 0 ; 4-byte Folded Reload
	buffer_load_dword v94, off, s[24:27], 0 offset:4 ; 4-byte Folded Reload
	buffer_load_dword v95, off, s[24:27], 0 offset:8 ; 4-byte Folded Reload
	buffer_load_dword v96, off, s[24:27], 0 offset:12 ; 4-byte Folded Reload
	s_waitcnt lgkmcnt(0)
	v_mul_f64 v[91:92], v[87:88], v[97:98]
	v_fma_f64 v[91:92], v[85:86], v[125:126], -v[91:92]
	v_mul_f64 v[85:86], v[85:86], v[97:98]
	v_fma_f64 v[85:86], v[87:88], v[125:126], v[85:86]
	s_waitcnt vmcnt(2)
	v_add_f64 v[93:94], v[93:94], -v[91:92]
	s_waitcnt vmcnt(0)
	v_add_f64 v[95:96], v[95:96], -v[85:86]
	buffer_store_dword v93, off, s[24:27], 0 ; 4-byte Folded Spill
	s_nop 0
	buffer_store_dword v94, off, s[24:27], 0 offset:4 ; 4-byte Folded Spill
	buffer_store_dword v95, off, s[24:27], 0 offset:8 ; 4-byte Folded Spill
	;; [unrolled: 1-line block ×3, first 2 shown]
	ds_read2_b64 v[85:88], v0 offset0:72 offset1:73
	v_mov_b32_e32 v95, v125
	v_mov_b32_e32 v96, v126
	s_waitcnt lgkmcnt(0)
	v_mul_f64 v[91:92], v[87:88], v[97:98]
	v_fma_f64 v[91:92], v[85:86], v[125:126], -v[91:92]
	v_mul_f64 v[85:86], v[85:86], v[97:98]
	v_add_f64 v[113:114], v[113:114], -v[91:92]
	v_fma_f64 v[85:86], v[87:88], v[125:126], v[85:86]
	v_add_f64 v[115:116], v[115:116], -v[85:86]
	ds_read2_b64 v[85:88], v0 offset0:74 offset1:75
	s_waitcnt lgkmcnt(0)
	v_mul_f64 v[91:92], v[87:88], v[97:98]
	v_fma_f64 v[91:92], v[85:86], v[125:126], -v[91:92]
	v_mul_f64 v[85:86], v[85:86], v[97:98]
	v_add_f64 v[109:110], v[109:110], -v[91:92]
	v_fma_f64 v[85:86], v[87:88], v[125:126], v[85:86]
	v_add_f64 v[111:112], v[111:112], -v[85:86]
	ds_read2_b64 v[85:88], v0 offset0:76 offset1:77
	;; [unrolled: 8-line block ×22, first 2 shown]
	s_waitcnt lgkmcnt(0)
	v_mul_f64 v[91:92], v[87:88], v[97:98]
	v_fma_f64 v[91:92], v[85:86], v[125:126], -v[91:92]
	v_mul_f64 v[85:86], v[85:86], v[97:98]
	v_add_f64 v[1:2], v[1:2], -v[91:92]
	v_fma_f64 v[85:86], v[87:88], v[125:126], v[85:86]
	ds_read2_b64 v[91:94], v0 offset0:118 offset1:119
	s_waitcnt lgkmcnt(0)
	v_mul_f64 v[87:88], v[91:92], v[97:98]
	v_add_f64 v[3:4], v[3:4], -v[85:86]
	v_mul_f64 v[85:86], v[93:94], v[97:98]
	buffer_store_dword v95, off, s[24:27], 0 offset:352 ; 4-byte Folded Spill
	s_nop 0
	buffer_store_dword v96, off, s[24:27], 0 offset:356 ; 4-byte Folded Spill
	buffer_store_dword v97, off, s[24:27], 0 offset:360 ; 4-byte Folded Spill
	;; [unrolled: 1-line block ×3, first 2 shown]
	v_fma_f64 v[87:88], v[93:94], v[125:126], v[87:88]
	v_fma_f64 v[85:86], v[91:92], v[125:126], -v[85:86]
	v_add_f64 v[123:124], v[123:124], -v[87:88]
	v_add_f64 v[121:122], v[121:122], -v[85:86]
.LBB118_293:
	s_or_b64 exec, exec, s[0:1]
	s_waitcnt vmcnt(0)
	s_barrier
	buffer_load_dword v91, off, s[24:27], 0 offset:336 ; 4-byte Folded Reload
	buffer_load_dword v92, off, s[24:27], 0 offset:340 ; 4-byte Folded Reload
	;; [unrolled: 1-line block ×4, first 2 shown]
	v_lshl_add_u32 v85, v89, 4, v0
	s_cmp_lt_i32 s3, 16
	s_waitcnt vmcnt(0)
	ds_write2_b64 v85, v[91:92], v[93:94] offset1:1
	s_waitcnt lgkmcnt(0)
	s_barrier
	ds_read2_b64 v[117:120], v0 offset0:28 offset1:29
	v_mov_b32_e32 v85, 14
	s_cbranch_scc1 .LBB118_296
; %bb.294:
	v_add_u32_e32 v86, 0xf0, v0
	s_mov_b32 s0, 15
	v_mov_b32_e32 v85, 14
.LBB118_295:                            ; =>This Inner Loop Header: Depth=1
	s_waitcnt lgkmcnt(0)
	v_cmp_gt_f64_e32 vcc, 0, v[117:118]
	v_xor_b32_e32 v87, 0x80000000, v118
	ds_read2_b64 v[91:94], v86 offset1:1
	v_xor_b32_e32 v95, 0x80000000, v120
	v_add_u32_e32 v86, 16, v86
	s_waitcnt lgkmcnt(0)
	v_xor_b32_e32 v97, 0x80000000, v94
	v_cndmask_b32_e32 v88, v118, v87, vcc
	v_cmp_gt_f64_e32 vcc, 0, v[119:120]
	v_mov_b32_e32 v87, v117
	v_cndmask_b32_e32 v96, v120, v95, vcc
	v_cmp_gt_f64_e32 vcc, 0, v[91:92]
	v_mov_b32_e32 v95, v119
	v_add_f64 v[87:88], v[87:88], v[95:96]
	v_xor_b32_e32 v95, 0x80000000, v92
	v_cndmask_b32_e32 v96, v92, v95, vcc
	v_cmp_gt_f64_e32 vcc, 0, v[93:94]
	v_mov_b32_e32 v95, v91
	v_cndmask_b32_e32 v98, v94, v97, vcc
	v_mov_b32_e32 v97, v93
	v_add_f64 v[95:96], v[95:96], v[97:98]
	v_cmp_lt_f64_e32 vcc, v[87:88], v[95:96]
	v_mov_b32_e32 v87, s0
	s_add_i32 s0, s0, 1
	s_cmp_lg_u32 s3, s0
	v_cndmask_b32_e32 v118, v118, v92, vcc
	v_cndmask_b32_e32 v117, v117, v91, vcc
	;; [unrolled: 1-line block ×5, first 2 shown]
	s_cbranch_scc1 .LBB118_295
.LBB118_296:
	s_waitcnt lgkmcnt(0)
	v_cmp_eq_f64_e32 vcc, 0, v[117:118]
	v_cmp_eq_f64_e64 s[0:1], 0, v[119:120]
	s_and_b64 s[0:1], vcc, s[0:1]
	s_and_saveexec_b64 s[18:19], s[0:1]
	s_xor_b64 s[0:1], exec, s[18:19]
; %bb.297:
	v_cmp_ne_u32_e32 vcc, 0, v90
	v_cndmask_b32_e32 v90, 15, v90, vcc
; %bb.298:
	s_andn2_saveexec_b64 s[0:1], s[0:1]
	s_cbranch_execz .LBB118_304
; %bb.299:
	v_cmp_ngt_f64_e64 s[18:19], |v[117:118]|, |v[119:120]|
	s_and_saveexec_b64 s[20:21], s[18:19]
	s_xor_b64 s[18:19], exec, s[20:21]
	s_cbranch_execz .LBB118_301
; %bb.300:
	v_div_scale_f64 v[86:87], s[20:21], v[119:120], v[119:120], v[117:118]
	v_rcp_f64_e32 v[91:92], v[86:87]
	v_fma_f64 v[93:94], -v[86:87], v[91:92], 1.0
	v_fma_f64 v[91:92], v[91:92], v[93:94], v[91:92]
	v_div_scale_f64 v[93:94], vcc, v[117:118], v[119:120], v[117:118]
	v_fma_f64 v[95:96], -v[86:87], v[91:92], 1.0
	v_fma_f64 v[91:92], v[91:92], v[95:96], v[91:92]
	v_mul_f64 v[95:96], v[93:94], v[91:92]
	v_fma_f64 v[86:87], -v[86:87], v[95:96], v[93:94]
	v_div_fmas_f64 v[86:87], v[86:87], v[91:92], v[95:96]
	v_div_fixup_f64 v[86:87], v[86:87], v[119:120], v[117:118]
	v_fma_f64 v[91:92], v[117:118], v[86:87], v[119:120]
	v_div_scale_f64 v[93:94], s[20:21], v[91:92], v[91:92], 1.0
	v_div_scale_f64 v[99:100], vcc, 1.0, v[91:92], 1.0
	v_rcp_f64_e32 v[95:96], v[93:94]
	v_fma_f64 v[97:98], -v[93:94], v[95:96], 1.0
	v_fma_f64 v[95:96], v[95:96], v[97:98], v[95:96]
	v_fma_f64 v[97:98], -v[93:94], v[95:96], 1.0
	v_fma_f64 v[95:96], v[95:96], v[97:98], v[95:96]
	v_mul_f64 v[97:98], v[99:100], v[95:96]
	v_fma_f64 v[93:94], -v[93:94], v[97:98], v[99:100]
	v_div_fmas_f64 v[93:94], v[93:94], v[95:96], v[97:98]
	v_div_fixup_f64 v[119:120], v[93:94], v[91:92], 1.0
	v_mul_f64 v[117:118], v[86:87], v[119:120]
	v_xor_b32_e32 v120, 0x80000000, v120
.LBB118_301:
	s_andn2_saveexec_b64 s[18:19], s[18:19]
	s_cbranch_execz .LBB118_303
; %bb.302:
	v_div_scale_f64 v[86:87], s[20:21], v[117:118], v[117:118], v[119:120]
	v_rcp_f64_e32 v[91:92], v[86:87]
	v_fma_f64 v[93:94], -v[86:87], v[91:92], 1.0
	v_fma_f64 v[91:92], v[91:92], v[93:94], v[91:92]
	v_div_scale_f64 v[93:94], vcc, v[119:120], v[117:118], v[119:120]
	v_fma_f64 v[95:96], -v[86:87], v[91:92], 1.0
	v_fma_f64 v[91:92], v[91:92], v[95:96], v[91:92]
	v_mul_f64 v[95:96], v[93:94], v[91:92]
	v_fma_f64 v[86:87], -v[86:87], v[95:96], v[93:94]
	v_div_fmas_f64 v[86:87], v[86:87], v[91:92], v[95:96]
	v_div_fixup_f64 v[86:87], v[86:87], v[117:118], v[119:120]
	v_fma_f64 v[91:92], v[119:120], v[86:87], v[117:118]
	v_div_scale_f64 v[93:94], s[20:21], v[91:92], v[91:92], 1.0
	v_div_scale_f64 v[99:100], vcc, 1.0, v[91:92], 1.0
	v_rcp_f64_e32 v[95:96], v[93:94]
	v_fma_f64 v[97:98], -v[93:94], v[95:96], 1.0
	v_fma_f64 v[95:96], v[95:96], v[97:98], v[95:96]
	v_fma_f64 v[97:98], -v[93:94], v[95:96], 1.0
	v_fma_f64 v[95:96], v[95:96], v[97:98], v[95:96]
	v_mul_f64 v[97:98], v[99:100], v[95:96]
	v_fma_f64 v[93:94], -v[93:94], v[97:98], v[99:100]
	v_div_fmas_f64 v[93:94], v[93:94], v[95:96], v[97:98]
	v_div_fixup_f64 v[117:118], v[93:94], v[91:92], 1.0
	v_mul_f64 v[119:120], v[86:87], -v[117:118]
.LBB118_303:
	s_or_b64 exec, exec, s[18:19]
.LBB118_304:
	s_or_b64 exec, exec, s[0:1]
	v_cmp_ne_u32_e32 vcc, v89, v85
	s_and_saveexec_b64 s[0:1], vcc
	s_xor_b64 s[0:1], exec, s[0:1]
	s_cbranch_execz .LBB118_310
; %bb.305:
	v_cmp_eq_u32_e32 vcc, 14, v89
	s_and_saveexec_b64 s[18:19], vcc
	s_cbranch_execz .LBB118_309
; %bb.306:
	v_cmp_ne_u32_e32 vcc, 14, v85
	s_xor_b64 s[20:21], s[6:7], -1
	s_and_b64 s[22:23], s[20:21], vcc
	s_and_saveexec_b64 s[20:21], s[22:23]
	s_cbranch_execz .LBB118_308
; %bb.307:
	v_ashrrev_i32_e32 v86, 31, v85
	v_lshlrev_b64 v[86:87], 2, v[85:86]
	v_add_co_u32_e32 v86, vcc, v107, v86
	v_addc_co_u32_e32 v87, vcc, v108, v87, vcc
	global_load_dword v88, v[86:87], off
	global_load_dword v89, v[107:108], off offset:56
	s_waitcnt vmcnt(1)
	global_store_dword v[107:108], v88, off offset:56
	s_waitcnt vmcnt(1)
	global_store_dword v[86:87], v89, off
.LBB118_308:
	s_or_b64 exec, exec, s[20:21]
	v_mov_b32_e32 v89, v85
	v_mov_b32_e32 v127, v85
.LBB118_309:
	s_or_b64 exec, exec, s[18:19]
.LBB118_310:
	s_andn2_saveexec_b64 s[0:1], s[0:1]
	s_cbranch_execz .LBB118_312
; %bb.311:
	buffer_load_dword v85, off, s[24:27], 0 offset:320 ; 4-byte Folded Reload
	buffer_load_dword v86, off, s[24:27], 0 offset:324 ; 4-byte Folded Reload
	buffer_load_dword v87, off, s[24:27], 0 offset:328 ; 4-byte Folded Reload
	buffer_load_dword v88, off, s[24:27], 0 offset:332 ; 4-byte Folded Reload
	v_mov_b32_e32 v89, 14
	s_waitcnt vmcnt(0)
	ds_write2_b64 v0, v[85:86], v[87:88] offset0:30 offset1:31
	buffer_load_dword v85, off, s[24:27], 0 offset:304 ; 4-byte Folded Reload
	buffer_load_dword v86, off, s[24:27], 0 offset:308 ; 4-byte Folded Reload
	buffer_load_dword v87, off, s[24:27], 0 offset:312 ; 4-byte Folded Reload
	buffer_load_dword v88, off, s[24:27], 0 offset:316 ; 4-byte Folded Reload
	s_waitcnt vmcnt(0)
	ds_write2_b64 v0, v[85:86], v[87:88] offset0:32 offset1:33
	buffer_load_dword v85, off, s[24:27], 0 offset:288 ; 4-byte Folded Reload
	buffer_load_dword v86, off, s[24:27], 0 offset:292 ; 4-byte Folded Reload
	buffer_load_dword v87, off, s[24:27], 0 offset:296 ; 4-byte Folded Reload
	buffer_load_dword v88, off, s[24:27], 0 offset:300 ; 4-byte Folded Reload
	;; [unrolled: 6-line block ×19, first 2 shown]
	s_waitcnt vmcnt(0)
	ds_write2_b64 v0, v[85:86], v[87:88] offset0:68 offset1:69
	buffer_load_dword v85, off, s[24:27], 0 ; 4-byte Folded Reload
	buffer_load_dword v86, off, s[24:27], 0 offset:4 ; 4-byte Folded Reload
	buffer_load_dword v87, off, s[24:27], 0 offset:8 ; 4-byte Folded Reload
	;; [unrolled: 1-line block ×3, first 2 shown]
	s_waitcnt vmcnt(0)
	ds_write2_b64 v0, v[85:86], v[87:88] offset0:70 offset1:71
	ds_write2_b64 v0, v[113:114], v[115:116] offset0:72 offset1:73
	;; [unrolled: 1-line block ×25, first 2 shown]
.LBB118_312:
	s_or_b64 exec, exec, s[0:1]
	v_cmp_lt_i32_e32 vcc, 14, v89
	s_waitcnt vmcnt(0) lgkmcnt(0)
	s_barrier
	s_and_saveexec_b64 s[0:1], vcc
	s_cbranch_execz .LBB118_314
; %bb.313:
	buffer_load_dword v95, off, s[24:27], 0 offset:336 ; 4-byte Folded Reload
	buffer_load_dword v96, off, s[24:27], 0 offset:340 ; 4-byte Folded Reload
	;; [unrolled: 1-line block ×4, first 2 shown]
	s_waitcnt vmcnt(0)
	v_mul_f64 v[85:86], v[119:120], v[97:98]
	v_fma_f64 v[125:126], v[117:118], v[95:96], -v[85:86]
	v_mul_f64 v[85:86], v[117:118], v[97:98]
	v_fma_f64 v[97:98], v[119:120], v[95:96], v[85:86]
	ds_read2_b64 v[85:88], v0 offset0:30 offset1:31
	buffer_load_dword v93, off, s[24:27], 0 offset:320 ; 4-byte Folded Reload
	buffer_load_dword v94, off, s[24:27], 0 offset:324 ; 4-byte Folded Reload
	buffer_load_dword v95, off, s[24:27], 0 offset:328 ; 4-byte Folded Reload
	buffer_load_dword v96, off, s[24:27], 0 offset:332 ; 4-byte Folded Reload
	s_waitcnt lgkmcnt(0)
	v_mul_f64 v[91:92], v[87:88], v[97:98]
	v_fma_f64 v[91:92], v[85:86], v[125:126], -v[91:92]
	v_mul_f64 v[85:86], v[85:86], v[97:98]
	v_fma_f64 v[85:86], v[87:88], v[125:126], v[85:86]
	s_waitcnt vmcnt(2)
	v_add_f64 v[93:94], v[93:94], -v[91:92]
	s_waitcnt vmcnt(0)
	v_add_f64 v[95:96], v[95:96], -v[85:86]
	buffer_store_dword v93, off, s[24:27], 0 offset:320 ; 4-byte Folded Spill
	s_nop 0
	buffer_store_dword v94, off, s[24:27], 0 offset:324 ; 4-byte Folded Spill
	buffer_store_dword v95, off, s[24:27], 0 offset:328 ; 4-byte Folded Spill
	buffer_store_dword v96, off, s[24:27], 0 offset:332 ; 4-byte Folded Spill
	ds_read2_b64 v[85:88], v0 offset0:32 offset1:33
	buffer_load_dword v93, off, s[24:27], 0 offset:304 ; 4-byte Folded Reload
	buffer_load_dword v94, off, s[24:27], 0 offset:308 ; 4-byte Folded Reload
	buffer_load_dword v95, off, s[24:27], 0 offset:312 ; 4-byte Folded Reload
	buffer_load_dword v96, off, s[24:27], 0 offset:316 ; 4-byte Folded Reload
	s_waitcnt lgkmcnt(0)
	v_mul_f64 v[91:92], v[87:88], v[97:98]
	v_fma_f64 v[91:92], v[85:86], v[125:126], -v[91:92]
	v_mul_f64 v[85:86], v[85:86], v[97:98]
	v_fma_f64 v[85:86], v[87:88], v[125:126], v[85:86]
	s_waitcnt vmcnt(2)
	v_add_f64 v[93:94], v[93:94], -v[91:92]
	s_waitcnt vmcnt(0)
	v_add_f64 v[95:96], v[95:96], -v[85:86]
	buffer_store_dword v93, off, s[24:27], 0 offset:304 ; 4-byte Folded Spill
	s_nop 0
	buffer_store_dword v94, off, s[24:27], 0 offset:308 ; 4-byte Folded Spill
	buffer_store_dword v95, off, s[24:27], 0 offset:312 ; 4-byte Folded Spill
	buffer_store_dword v96, off, s[24:27], 0 offset:316 ; 4-byte Folded Spill
	;; [unrolled: 19-line block ×20, first 2 shown]
	ds_read2_b64 v[85:88], v0 offset0:70 offset1:71
	buffer_load_dword v93, off, s[24:27], 0 ; 4-byte Folded Reload
	buffer_load_dword v94, off, s[24:27], 0 offset:4 ; 4-byte Folded Reload
	buffer_load_dword v95, off, s[24:27], 0 offset:8 ; 4-byte Folded Reload
	;; [unrolled: 1-line block ×3, first 2 shown]
	s_waitcnt lgkmcnt(0)
	v_mul_f64 v[91:92], v[87:88], v[97:98]
	v_fma_f64 v[91:92], v[85:86], v[125:126], -v[91:92]
	v_mul_f64 v[85:86], v[85:86], v[97:98]
	v_fma_f64 v[85:86], v[87:88], v[125:126], v[85:86]
	s_waitcnt vmcnt(2)
	v_add_f64 v[93:94], v[93:94], -v[91:92]
	s_waitcnt vmcnt(0)
	v_add_f64 v[95:96], v[95:96], -v[85:86]
	buffer_store_dword v93, off, s[24:27], 0 ; 4-byte Folded Spill
	s_nop 0
	buffer_store_dword v94, off, s[24:27], 0 offset:4 ; 4-byte Folded Spill
	buffer_store_dword v95, off, s[24:27], 0 offset:8 ; 4-byte Folded Spill
	;; [unrolled: 1-line block ×3, first 2 shown]
	ds_read2_b64 v[85:88], v0 offset0:72 offset1:73
	v_mov_b32_e32 v95, v125
	v_mov_b32_e32 v96, v126
	s_waitcnt lgkmcnt(0)
	v_mul_f64 v[91:92], v[87:88], v[97:98]
	v_fma_f64 v[91:92], v[85:86], v[125:126], -v[91:92]
	v_mul_f64 v[85:86], v[85:86], v[97:98]
	v_add_f64 v[113:114], v[113:114], -v[91:92]
	v_fma_f64 v[85:86], v[87:88], v[125:126], v[85:86]
	v_add_f64 v[115:116], v[115:116], -v[85:86]
	ds_read2_b64 v[85:88], v0 offset0:74 offset1:75
	s_waitcnt lgkmcnt(0)
	v_mul_f64 v[91:92], v[87:88], v[97:98]
	v_fma_f64 v[91:92], v[85:86], v[125:126], -v[91:92]
	v_mul_f64 v[85:86], v[85:86], v[97:98]
	v_add_f64 v[109:110], v[109:110], -v[91:92]
	v_fma_f64 v[85:86], v[87:88], v[125:126], v[85:86]
	v_add_f64 v[111:112], v[111:112], -v[85:86]
	ds_read2_b64 v[85:88], v0 offset0:76 offset1:77
	;; [unrolled: 8-line block ×22, first 2 shown]
	s_waitcnt lgkmcnt(0)
	v_mul_f64 v[91:92], v[87:88], v[97:98]
	v_fma_f64 v[91:92], v[85:86], v[125:126], -v[91:92]
	v_mul_f64 v[85:86], v[85:86], v[97:98]
	v_add_f64 v[1:2], v[1:2], -v[91:92]
	v_fma_f64 v[85:86], v[87:88], v[125:126], v[85:86]
	ds_read2_b64 v[91:94], v0 offset0:118 offset1:119
	s_waitcnt lgkmcnt(0)
	v_mul_f64 v[87:88], v[91:92], v[97:98]
	v_add_f64 v[3:4], v[3:4], -v[85:86]
	v_mul_f64 v[85:86], v[93:94], v[97:98]
	buffer_store_dword v95, off, s[24:27], 0 offset:336 ; 4-byte Folded Spill
	s_nop 0
	buffer_store_dword v96, off, s[24:27], 0 offset:340 ; 4-byte Folded Spill
	buffer_store_dword v97, off, s[24:27], 0 offset:344 ; 4-byte Folded Spill
	;; [unrolled: 1-line block ×3, first 2 shown]
	v_fma_f64 v[87:88], v[93:94], v[125:126], v[87:88]
	v_fma_f64 v[85:86], v[91:92], v[125:126], -v[85:86]
	v_add_f64 v[123:124], v[123:124], -v[87:88]
	v_add_f64 v[121:122], v[121:122], -v[85:86]
.LBB118_314:
	s_or_b64 exec, exec, s[0:1]
	s_waitcnt vmcnt(0)
	s_barrier
	buffer_load_dword v91, off, s[24:27], 0 offset:320 ; 4-byte Folded Reload
	buffer_load_dword v92, off, s[24:27], 0 offset:324 ; 4-byte Folded Reload
	;; [unrolled: 1-line block ×4, first 2 shown]
	v_lshl_add_u32 v85, v89, 4, v0
	s_cmp_lt_i32 s3, 17
	s_waitcnt vmcnt(0)
	ds_write2_b64 v85, v[91:92], v[93:94] offset1:1
	s_waitcnt lgkmcnt(0)
	s_barrier
	ds_read2_b64 v[117:120], v0 offset0:30 offset1:31
	v_mov_b32_e32 v85, 15
	s_cbranch_scc1 .LBB118_317
; %bb.315:
	v_add_u32_e32 v86, 0x100, v0
	s_mov_b32 s0, 16
	v_mov_b32_e32 v85, 15
.LBB118_316:                            ; =>This Inner Loop Header: Depth=1
	s_waitcnt lgkmcnt(0)
	v_cmp_gt_f64_e32 vcc, 0, v[117:118]
	v_xor_b32_e32 v87, 0x80000000, v118
	ds_read2_b64 v[91:94], v86 offset1:1
	v_xor_b32_e32 v95, 0x80000000, v120
	v_add_u32_e32 v86, 16, v86
	s_waitcnt lgkmcnt(0)
	v_xor_b32_e32 v97, 0x80000000, v94
	v_cndmask_b32_e32 v88, v118, v87, vcc
	v_cmp_gt_f64_e32 vcc, 0, v[119:120]
	v_mov_b32_e32 v87, v117
	v_cndmask_b32_e32 v96, v120, v95, vcc
	v_cmp_gt_f64_e32 vcc, 0, v[91:92]
	v_mov_b32_e32 v95, v119
	v_add_f64 v[87:88], v[87:88], v[95:96]
	v_xor_b32_e32 v95, 0x80000000, v92
	v_cndmask_b32_e32 v96, v92, v95, vcc
	v_cmp_gt_f64_e32 vcc, 0, v[93:94]
	v_mov_b32_e32 v95, v91
	v_cndmask_b32_e32 v98, v94, v97, vcc
	v_mov_b32_e32 v97, v93
	v_add_f64 v[95:96], v[95:96], v[97:98]
	v_cmp_lt_f64_e32 vcc, v[87:88], v[95:96]
	v_mov_b32_e32 v87, s0
	s_add_i32 s0, s0, 1
	s_cmp_lg_u32 s3, s0
	v_cndmask_b32_e32 v118, v118, v92, vcc
	v_cndmask_b32_e32 v117, v117, v91, vcc
	;; [unrolled: 1-line block ×5, first 2 shown]
	s_cbranch_scc1 .LBB118_316
.LBB118_317:
	s_waitcnt lgkmcnt(0)
	v_cmp_eq_f64_e32 vcc, 0, v[117:118]
	v_cmp_eq_f64_e64 s[0:1], 0, v[119:120]
	s_and_b64 s[0:1], vcc, s[0:1]
	s_and_saveexec_b64 s[18:19], s[0:1]
	s_xor_b64 s[0:1], exec, s[18:19]
; %bb.318:
	v_cmp_ne_u32_e32 vcc, 0, v90
	v_cndmask_b32_e32 v90, 16, v90, vcc
; %bb.319:
	s_andn2_saveexec_b64 s[0:1], s[0:1]
	s_cbranch_execz .LBB118_325
; %bb.320:
	v_cmp_ngt_f64_e64 s[18:19], |v[117:118]|, |v[119:120]|
	s_and_saveexec_b64 s[20:21], s[18:19]
	s_xor_b64 s[18:19], exec, s[20:21]
	s_cbranch_execz .LBB118_322
; %bb.321:
	v_div_scale_f64 v[86:87], s[20:21], v[119:120], v[119:120], v[117:118]
	v_rcp_f64_e32 v[91:92], v[86:87]
	v_fma_f64 v[93:94], -v[86:87], v[91:92], 1.0
	v_fma_f64 v[91:92], v[91:92], v[93:94], v[91:92]
	v_div_scale_f64 v[93:94], vcc, v[117:118], v[119:120], v[117:118]
	v_fma_f64 v[95:96], -v[86:87], v[91:92], 1.0
	v_fma_f64 v[91:92], v[91:92], v[95:96], v[91:92]
	v_mul_f64 v[95:96], v[93:94], v[91:92]
	v_fma_f64 v[86:87], -v[86:87], v[95:96], v[93:94]
	v_div_fmas_f64 v[86:87], v[86:87], v[91:92], v[95:96]
	v_div_fixup_f64 v[86:87], v[86:87], v[119:120], v[117:118]
	v_fma_f64 v[91:92], v[117:118], v[86:87], v[119:120]
	v_div_scale_f64 v[93:94], s[20:21], v[91:92], v[91:92], 1.0
	v_div_scale_f64 v[99:100], vcc, 1.0, v[91:92], 1.0
	v_rcp_f64_e32 v[95:96], v[93:94]
	v_fma_f64 v[97:98], -v[93:94], v[95:96], 1.0
	v_fma_f64 v[95:96], v[95:96], v[97:98], v[95:96]
	v_fma_f64 v[97:98], -v[93:94], v[95:96], 1.0
	v_fma_f64 v[95:96], v[95:96], v[97:98], v[95:96]
	v_mul_f64 v[97:98], v[99:100], v[95:96]
	v_fma_f64 v[93:94], -v[93:94], v[97:98], v[99:100]
	v_div_fmas_f64 v[93:94], v[93:94], v[95:96], v[97:98]
	v_div_fixup_f64 v[119:120], v[93:94], v[91:92], 1.0
	v_mul_f64 v[117:118], v[86:87], v[119:120]
	v_xor_b32_e32 v120, 0x80000000, v120
.LBB118_322:
	s_andn2_saveexec_b64 s[18:19], s[18:19]
	s_cbranch_execz .LBB118_324
; %bb.323:
	v_div_scale_f64 v[86:87], s[20:21], v[117:118], v[117:118], v[119:120]
	v_rcp_f64_e32 v[91:92], v[86:87]
	v_fma_f64 v[93:94], -v[86:87], v[91:92], 1.0
	v_fma_f64 v[91:92], v[91:92], v[93:94], v[91:92]
	v_div_scale_f64 v[93:94], vcc, v[119:120], v[117:118], v[119:120]
	v_fma_f64 v[95:96], -v[86:87], v[91:92], 1.0
	v_fma_f64 v[91:92], v[91:92], v[95:96], v[91:92]
	v_mul_f64 v[95:96], v[93:94], v[91:92]
	v_fma_f64 v[86:87], -v[86:87], v[95:96], v[93:94]
	v_div_fmas_f64 v[86:87], v[86:87], v[91:92], v[95:96]
	v_div_fixup_f64 v[86:87], v[86:87], v[117:118], v[119:120]
	v_fma_f64 v[91:92], v[119:120], v[86:87], v[117:118]
	v_div_scale_f64 v[93:94], s[20:21], v[91:92], v[91:92], 1.0
	v_div_scale_f64 v[99:100], vcc, 1.0, v[91:92], 1.0
	v_rcp_f64_e32 v[95:96], v[93:94]
	v_fma_f64 v[97:98], -v[93:94], v[95:96], 1.0
	v_fma_f64 v[95:96], v[95:96], v[97:98], v[95:96]
	v_fma_f64 v[97:98], -v[93:94], v[95:96], 1.0
	v_fma_f64 v[95:96], v[95:96], v[97:98], v[95:96]
	v_mul_f64 v[97:98], v[99:100], v[95:96]
	v_fma_f64 v[93:94], -v[93:94], v[97:98], v[99:100]
	v_div_fmas_f64 v[93:94], v[93:94], v[95:96], v[97:98]
	v_div_fixup_f64 v[117:118], v[93:94], v[91:92], 1.0
	v_mul_f64 v[119:120], v[86:87], -v[117:118]
.LBB118_324:
	s_or_b64 exec, exec, s[18:19]
.LBB118_325:
	s_or_b64 exec, exec, s[0:1]
	v_cmp_ne_u32_e32 vcc, v89, v85
	s_and_saveexec_b64 s[0:1], vcc
	s_xor_b64 s[0:1], exec, s[0:1]
	s_cbranch_execz .LBB118_331
; %bb.326:
	v_cmp_eq_u32_e32 vcc, 15, v89
	s_and_saveexec_b64 s[18:19], vcc
	s_cbranch_execz .LBB118_330
; %bb.327:
	v_cmp_ne_u32_e32 vcc, 15, v85
	s_xor_b64 s[20:21], s[6:7], -1
	s_and_b64 s[22:23], s[20:21], vcc
	s_and_saveexec_b64 s[20:21], s[22:23]
	s_cbranch_execz .LBB118_329
; %bb.328:
	v_ashrrev_i32_e32 v86, 31, v85
	v_lshlrev_b64 v[86:87], 2, v[85:86]
	v_add_co_u32_e32 v86, vcc, v107, v86
	v_addc_co_u32_e32 v87, vcc, v108, v87, vcc
	global_load_dword v88, v[86:87], off
	global_load_dword v89, v[107:108], off offset:60
	s_waitcnt vmcnt(1)
	global_store_dword v[107:108], v88, off offset:60
	s_waitcnt vmcnt(1)
	global_store_dword v[86:87], v89, off
.LBB118_329:
	s_or_b64 exec, exec, s[20:21]
	v_mov_b32_e32 v89, v85
	v_mov_b32_e32 v127, v85
.LBB118_330:
	s_or_b64 exec, exec, s[18:19]
.LBB118_331:
	s_andn2_saveexec_b64 s[0:1], s[0:1]
	s_cbranch_execz .LBB118_333
; %bb.332:
	buffer_load_dword v85, off, s[24:27], 0 offset:304 ; 4-byte Folded Reload
	buffer_load_dword v86, off, s[24:27], 0 offset:308 ; 4-byte Folded Reload
	;; [unrolled: 1-line block ×4, first 2 shown]
	v_mov_b32_e32 v89, 15
	s_waitcnt vmcnt(0)
	ds_write2_b64 v0, v[85:86], v[87:88] offset0:32 offset1:33
	buffer_load_dword v85, off, s[24:27], 0 offset:288 ; 4-byte Folded Reload
	buffer_load_dword v86, off, s[24:27], 0 offset:292 ; 4-byte Folded Reload
	buffer_load_dword v87, off, s[24:27], 0 offset:296 ; 4-byte Folded Reload
	buffer_load_dword v88, off, s[24:27], 0 offset:300 ; 4-byte Folded Reload
	s_waitcnt vmcnt(0)
	ds_write2_b64 v0, v[85:86], v[87:88] offset0:34 offset1:35
	buffer_load_dword v85, off, s[24:27], 0 offset:272 ; 4-byte Folded Reload
	buffer_load_dword v86, off, s[24:27], 0 offset:276 ; 4-byte Folded Reload
	buffer_load_dword v87, off, s[24:27], 0 offset:280 ; 4-byte Folded Reload
	buffer_load_dword v88, off, s[24:27], 0 offset:284 ; 4-byte Folded Reload
	;; [unrolled: 6-line block ×18, first 2 shown]
	s_waitcnt vmcnt(0)
	ds_write2_b64 v0, v[85:86], v[87:88] offset0:68 offset1:69
	buffer_load_dword v85, off, s[24:27], 0 ; 4-byte Folded Reload
	buffer_load_dword v86, off, s[24:27], 0 offset:4 ; 4-byte Folded Reload
	buffer_load_dword v87, off, s[24:27], 0 offset:8 ; 4-byte Folded Reload
	;; [unrolled: 1-line block ×3, first 2 shown]
	s_waitcnt vmcnt(0)
	ds_write2_b64 v0, v[85:86], v[87:88] offset0:70 offset1:71
	ds_write2_b64 v0, v[113:114], v[115:116] offset0:72 offset1:73
	;; [unrolled: 1-line block ×25, first 2 shown]
.LBB118_333:
	s_or_b64 exec, exec, s[0:1]
	v_cmp_lt_i32_e32 vcc, 15, v89
	s_waitcnt vmcnt(0) lgkmcnt(0)
	s_barrier
	s_and_saveexec_b64 s[0:1], vcc
	s_cbranch_execz .LBB118_335
; %bb.334:
	buffer_load_dword v95, off, s[24:27], 0 offset:320 ; 4-byte Folded Reload
	buffer_load_dword v96, off, s[24:27], 0 offset:324 ; 4-byte Folded Reload
	;; [unrolled: 1-line block ×4, first 2 shown]
	s_waitcnt vmcnt(0)
	v_mul_f64 v[85:86], v[119:120], v[97:98]
	v_fma_f64 v[125:126], v[117:118], v[95:96], -v[85:86]
	v_mul_f64 v[85:86], v[117:118], v[97:98]
	v_fma_f64 v[97:98], v[119:120], v[95:96], v[85:86]
	ds_read2_b64 v[85:88], v0 offset0:32 offset1:33
	buffer_load_dword v93, off, s[24:27], 0 offset:304 ; 4-byte Folded Reload
	buffer_load_dword v94, off, s[24:27], 0 offset:308 ; 4-byte Folded Reload
	buffer_load_dword v95, off, s[24:27], 0 offset:312 ; 4-byte Folded Reload
	buffer_load_dword v96, off, s[24:27], 0 offset:316 ; 4-byte Folded Reload
	s_waitcnt lgkmcnt(0)
	v_mul_f64 v[91:92], v[87:88], v[97:98]
	v_fma_f64 v[91:92], v[85:86], v[125:126], -v[91:92]
	v_mul_f64 v[85:86], v[85:86], v[97:98]
	v_fma_f64 v[85:86], v[87:88], v[125:126], v[85:86]
	s_waitcnt vmcnt(2)
	v_add_f64 v[93:94], v[93:94], -v[91:92]
	s_waitcnt vmcnt(0)
	v_add_f64 v[95:96], v[95:96], -v[85:86]
	buffer_store_dword v93, off, s[24:27], 0 offset:304 ; 4-byte Folded Spill
	s_nop 0
	buffer_store_dword v94, off, s[24:27], 0 offset:308 ; 4-byte Folded Spill
	buffer_store_dword v95, off, s[24:27], 0 offset:312 ; 4-byte Folded Spill
	buffer_store_dword v96, off, s[24:27], 0 offset:316 ; 4-byte Folded Spill
	ds_read2_b64 v[85:88], v0 offset0:34 offset1:35
	buffer_load_dword v93, off, s[24:27], 0 offset:288 ; 4-byte Folded Reload
	buffer_load_dword v94, off, s[24:27], 0 offset:292 ; 4-byte Folded Reload
	buffer_load_dword v95, off, s[24:27], 0 offset:296 ; 4-byte Folded Reload
	buffer_load_dword v96, off, s[24:27], 0 offset:300 ; 4-byte Folded Reload
	s_waitcnt lgkmcnt(0)
	v_mul_f64 v[91:92], v[87:88], v[97:98]
	v_fma_f64 v[91:92], v[85:86], v[125:126], -v[91:92]
	v_mul_f64 v[85:86], v[85:86], v[97:98]
	v_fma_f64 v[85:86], v[87:88], v[125:126], v[85:86]
	s_waitcnt vmcnt(2)
	v_add_f64 v[93:94], v[93:94], -v[91:92]
	s_waitcnt vmcnt(0)
	v_add_f64 v[95:96], v[95:96], -v[85:86]
	buffer_store_dword v93, off, s[24:27], 0 offset:288 ; 4-byte Folded Spill
	s_nop 0
	buffer_store_dword v94, off, s[24:27], 0 offset:292 ; 4-byte Folded Spill
	buffer_store_dword v95, off, s[24:27], 0 offset:296 ; 4-byte Folded Spill
	buffer_store_dword v96, off, s[24:27], 0 offset:300 ; 4-byte Folded Spill
	;; [unrolled: 19-line block ×19, first 2 shown]
	ds_read2_b64 v[85:88], v0 offset0:70 offset1:71
	buffer_load_dword v93, off, s[24:27], 0 ; 4-byte Folded Reload
	buffer_load_dword v94, off, s[24:27], 0 offset:4 ; 4-byte Folded Reload
	buffer_load_dword v95, off, s[24:27], 0 offset:8 ; 4-byte Folded Reload
	;; [unrolled: 1-line block ×3, first 2 shown]
	s_waitcnt lgkmcnt(0)
	v_mul_f64 v[91:92], v[87:88], v[97:98]
	v_fma_f64 v[91:92], v[85:86], v[125:126], -v[91:92]
	v_mul_f64 v[85:86], v[85:86], v[97:98]
	v_fma_f64 v[85:86], v[87:88], v[125:126], v[85:86]
	s_waitcnt vmcnt(2)
	v_add_f64 v[93:94], v[93:94], -v[91:92]
	s_waitcnt vmcnt(0)
	v_add_f64 v[95:96], v[95:96], -v[85:86]
	buffer_store_dword v93, off, s[24:27], 0 ; 4-byte Folded Spill
	s_nop 0
	buffer_store_dword v94, off, s[24:27], 0 offset:4 ; 4-byte Folded Spill
	buffer_store_dword v95, off, s[24:27], 0 offset:8 ; 4-byte Folded Spill
	;; [unrolled: 1-line block ×3, first 2 shown]
	ds_read2_b64 v[85:88], v0 offset0:72 offset1:73
	v_mov_b32_e32 v95, v125
	v_mov_b32_e32 v96, v126
	s_waitcnt lgkmcnt(0)
	v_mul_f64 v[91:92], v[87:88], v[97:98]
	v_fma_f64 v[91:92], v[85:86], v[125:126], -v[91:92]
	v_mul_f64 v[85:86], v[85:86], v[97:98]
	v_add_f64 v[113:114], v[113:114], -v[91:92]
	v_fma_f64 v[85:86], v[87:88], v[125:126], v[85:86]
	v_add_f64 v[115:116], v[115:116], -v[85:86]
	ds_read2_b64 v[85:88], v0 offset0:74 offset1:75
	s_waitcnt lgkmcnt(0)
	v_mul_f64 v[91:92], v[87:88], v[97:98]
	v_fma_f64 v[91:92], v[85:86], v[125:126], -v[91:92]
	v_mul_f64 v[85:86], v[85:86], v[97:98]
	v_add_f64 v[109:110], v[109:110], -v[91:92]
	v_fma_f64 v[85:86], v[87:88], v[125:126], v[85:86]
	v_add_f64 v[111:112], v[111:112], -v[85:86]
	ds_read2_b64 v[85:88], v0 offset0:76 offset1:77
	;; [unrolled: 8-line block ×22, first 2 shown]
	s_waitcnt lgkmcnt(0)
	v_mul_f64 v[91:92], v[87:88], v[97:98]
	v_fma_f64 v[91:92], v[85:86], v[125:126], -v[91:92]
	v_mul_f64 v[85:86], v[85:86], v[97:98]
	v_add_f64 v[1:2], v[1:2], -v[91:92]
	v_fma_f64 v[85:86], v[87:88], v[125:126], v[85:86]
	ds_read2_b64 v[91:94], v0 offset0:118 offset1:119
	s_waitcnt lgkmcnt(0)
	v_mul_f64 v[87:88], v[91:92], v[97:98]
	v_add_f64 v[3:4], v[3:4], -v[85:86]
	v_mul_f64 v[85:86], v[93:94], v[97:98]
	buffer_store_dword v95, off, s[24:27], 0 offset:320 ; 4-byte Folded Spill
	s_nop 0
	buffer_store_dword v96, off, s[24:27], 0 offset:324 ; 4-byte Folded Spill
	buffer_store_dword v97, off, s[24:27], 0 offset:328 ; 4-byte Folded Spill
	;; [unrolled: 1-line block ×3, first 2 shown]
	v_fma_f64 v[87:88], v[93:94], v[125:126], v[87:88]
	v_fma_f64 v[85:86], v[91:92], v[125:126], -v[85:86]
	v_add_f64 v[123:124], v[123:124], -v[87:88]
	v_add_f64 v[121:122], v[121:122], -v[85:86]
.LBB118_335:
	s_or_b64 exec, exec, s[0:1]
	s_waitcnt vmcnt(0)
	s_barrier
	buffer_load_dword v91, off, s[24:27], 0 offset:304 ; 4-byte Folded Reload
	buffer_load_dword v92, off, s[24:27], 0 offset:308 ; 4-byte Folded Reload
	;; [unrolled: 1-line block ×4, first 2 shown]
	v_lshl_add_u32 v85, v89, 4, v0
	s_cmp_lt_i32 s3, 18
	s_waitcnt vmcnt(0)
	ds_write2_b64 v85, v[91:92], v[93:94] offset1:1
	s_waitcnt lgkmcnt(0)
	s_barrier
	ds_read2_b64 v[117:120], v0 offset0:32 offset1:33
	v_mov_b32_e32 v85, 16
	s_cbranch_scc1 .LBB118_338
; %bb.336:
	v_add_u32_e32 v86, 0x110, v0
	s_mov_b32 s0, 17
	v_mov_b32_e32 v85, 16
.LBB118_337:                            ; =>This Inner Loop Header: Depth=1
	s_waitcnt lgkmcnt(0)
	v_cmp_gt_f64_e32 vcc, 0, v[117:118]
	v_xor_b32_e32 v87, 0x80000000, v118
	ds_read2_b64 v[91:94], v86 offset1:1
	v_xor_b32_e32 v95, 0x80000000, v120
	v_add_u32_e32 v86, 16, v86
	s_waitcnt lgkmcnt(0)
	v_xor_b32_e32 v97, 0x80000000, v94
	v_cndmask_b32_e32 v88, v118, v87, vcc
	v_cmp_gt_f64_e32 vcc, 0, v[119:120]
	v_mov_b32_e32 v87, v117
	v_cndmask_b32_e32 v96, v120, v95, vcc
	v_cmp_gt_f64_e32 vcc, 0, v[91:92]
	v_mov_b32_e32 v95, v119
	v_add_f64 v[87:88], v[87:88], v[95:96]
	v_xor_b32_e32 v95, 0x80000000, v92
	v_cndmask_b32_e32 v96, v92, v95, vcc
	v_cmp_gt_f64_e32 vcc, 0, v[93:94]
	v_mov_b32_e32 v95, v91
	v_cndmask_b32_e32 v98, v94, v97, vcc
	v_mov_b32_e32 v97, v93
	v_add_f64 v[95:96], v[95:96], v[97:98]
	v_cmp_lt_f64_e32 vcc, v[87:88], v[95:96]
	v_mov_b32_e32 v87, s0
	s_add_i32 s0, s0, 1
	s_cmp_lg_u32 s3, s0
	v_cndmask_b32_e32 v118, v118, v92, vcc
	v_cndmask_b32_e32 v117, v117, v91, vcc
	;; [unrolled: 1-line block ×5, first 2 shown]
	s_cbranch_scc1 .LBB118_337
.LBB118_338:
	s_waitcnt lgkmcnt(0)
	v_cmp_eq_f64_e32 vcc, 0, v[117:118]
	v_cmp_eq_f64_e64 s[0:1], 0, v[119:120]
	s_and_b64 s[0:1], vcc, s[0:1]
	s_and_saveexec_b64 s[18:19], s[0:1]
	s_xor_b64 s[0:1], exec, s[18:19]
; %bb.339:
	v_cmp_ne_u32_e32 vcc, 0, v90
	v_cndmask_b32_e32 v90, 17, v90, vcc
; %bb.340:
	s_andn2_saveexec_b64 s[0:1], s[0:1]
	s_cbranch_execz .LBB118_346
; %bb.341:
	v_cmp_ngt_f64_e64 s[18:19], |v[117:118]|, |v[119:120]|
	s_and_saveexec_b64 s[20:21], s[18:19]
	s_xor_b64 s[18:19], exec, s[20:21]
	s_cbranch_execz .LBB118_343
; %bb.342:
	v_div_scale_f64 v[86:87], s[20:21], v[119:120], v[119:120], v[117:118]
	v_rcp_f64_e32 v[91:92], v[86:87]
	v_fma_f64 v[93:94], -v[86:87], v[91:92], 1.0
	v_fma_f64 v[91:92], v[91:92], v[93:94], v[91:92]
	v_div_scale_f64 v[93:94], vcc, v[117:118], v[119:120], v[117:118]
	v_fma_f64 v[95:96], -v[86:87], v[91:92], 1.0
	v_fma_f64 v[91:92], v[91:92], v[95:96], v[91:92]
	v_mul_f64 v[95:96], v[93:94], v[91:92]
	v_fma_f64 v[86:87], -v[86:87], v[95:96], v[93:94]
	v_div_fmas_f64 v[86:87], v[86:87], v[91:92], v[95:96]
	v_div_fixup_f64 v[86:87], v[86:87], v[119:120], v[117:118]
	v_fma_f64 v[91:92], v[117:118], v[86:87], v[119:120]
	v_div_scale_f64 v[93:94], s[20:21], v[91:92], v[91:92], 1.0
	v_div_scale_f64 v[99:100], vcc, 1.0, v[91:92], 1.0
	v_rcp_f64_e32 v[95:96], v[93:94]
	v_fma_f64 v[97:98], -v[93:94], v[95:96], 1.0
	v_fma_f64 v[95:96], v[95:96], v[97:98], v[95:96]
	v_fma_f64 v[97:98], -v[93:94], v[95:96], 1.0
	v_fma_f64 v[95:96], v[95:96], v[97:98], v[95:96]
	v_mul_f64 v[97:98], v[99:100], v[95:96]
	v_fma_f64 v[93:94], -v[93:94], v[97:98], v[99:100]
	v_div_fmas_f64 v[93:94], v[93:94], v[95:96], v[97:98]
	v_div_fixup_f64 v[119:120], v[93:94], v[91:92], 1.0
	v_mul_f64 v[117:118], v[86:87], v[119:120]
	v_xor_b32_e32 v120, 0x80000000, v120
.LBB118_343:
	s_andn2_saveexec_b64 s[18:19], s[18:19]
	s_cbranch_execz .LBB118_345
; %bb.344:
	v_div_scale_f64 v[86:87], s[20:21], v[117:118], v[117:118], v[119:120]
	v_rcp_f64_e32 v[91:92], v[86:87]
	v_fma_f64 v[93:94], -v[86:87], v[91:92], 1.0
	v_fma_f64 v[91:92], v[91:92], v[93:94], v[91:92]
	v_div_scale_f64 v[93:94], vcc, v[119:120], v[117:118], v[119:120]
	v_fma_f64 v[95:96], -v[86:87], v[91:92], 1.0
	v_fma_f64 v[91:92], v[91:92], v[95:96], v[91:92]
	v_mul_f64 v[95:96], v[93:94], v[91:92]
	v_fma_f64 v[86:87], -v[86:87], v[95:96], v[93:94]
	v_div_fmas_f64 v[86:87], v[86:87], v[91:92], v[95:96]
	v_div_fixup_f64 v[86:87], v[86:87], v[117:118], v[119:120]
	v_fma_f64 v[91:92], v[119:120], v[86:87], v[117:118]
	v_div_scale_f64 v[93:94], s[20:21], v[91:92], v[91:92], 1.0
	v_div_scale_f64 v[99:100], vcc, 1.0, v[91:92], 1.0
	v_rcp_f64_e32 v[95:96], v[93:94]
	v_fma_f64 v[97:98], -v[93:94], v[95:96], 1.0
	v_fma_f64 v[95:96], v[95:96], v[97:98], v[95:96]
	v_fma_f64 v[97:98], -v[93:94], v[95:96], 1.0
	v_fma_f64 v[95:96], v[95:96], v[97:98], v[95:96]
	v_mul_f64 v[97:98], v[99:100], v[95:96]
	v_fma_f64 v[93:94], -v[93:94], v[97:98], v[99:100]
	v_div_fmas_f64 v[93:94], v[93:94], v[95:96], v[97:98]
	v_div_fixup_f64 v[117:118], v[93:94], v[91:92], 1.0
	v_mul_f64 v[119:120], v[86:87], -v[117:118]
.LBB118_345:
	s_or_b64 exec, exec, s[18:19]
.LBB118_346:
	s_or_b64 exec, exec, s[0:1]
	v_cmp_ne_u32_e32 vcc, v89, v85
	s_and_saveexec_b64 s[0:1], vcc
	s_xor_b64 s[0:1], exec, s[0:1]
	s_cbranch_execz .LBB118_352
; %bb.347:
	v_cmp_eq_u32_e32 vcc, 16, v89
	s_and_saveexec_b64 s[18:19], vcc
	s_cbranch_execz .LBB118_351
; %bb.348:
	v_cmp_ne_u32_e32 vcc, 16, v85
	s_xor_b64 s[20:21], s[6:7], -1
	s_and_b64 s[22:23], s[20:21], vcc
	s_and_saveexec_b64 s[20:21], s[22:23]
	s_cbranch_execz .LBB118_350
; %bb.349:
	v_ashrrev_i32_e32 v86, 31, v85
	v_lshlrev_b64 v[86:87], 2, v[85:86]
	v_add_co_u32_e32 v86, vcc, v107, v86
	v_addc_co_u32_e32 v87, vcc, v108, v87, vcc
	global_load_dword v88, v[86:87], off
	global_load_dword v89, v[107:108], off offset:64
	s_waitcnt vmcnt(1)
	global_store_dword v[107:108], v88, off offset:64
	s_waitcnt vmcnt(1)
	global_store_dword v[86:87], v89, off
.LBB118_350:
	s_or_b64 exec, exec, s[20:21]
	v_mov_b32_e32 v89, v85
	v_mov_b32_e32 v127, v85
.LBB118_351:
	s_or_b64 exec, exec, s[18:19]
.LBB118_352:
	s_andn2_saveexec_b64 s[0:1], s[0:1]
	s_cbranch_execz .LBB118_354
; %bb.353:
	buffer_load_dword v85, off, s[24:27], 0 offset:288 ; 4-byte Folded Reload
	buffer_load_dword v86, off, s[24:27], 0 offset:292 ; 4-byte Folded Reload
	;; [unrolled: 1-line block ×4, first 2 shown]
	v_mov_b32_e32 v89, 16
	s_waitcnt vmcnt(0)
	ds_write2_b64 v0, v[85:86], v[87:88] offset0:34 offset1:35
	buffer_load_dword v85, off, s[24:27], 0 offset:272 ; 4-byte Folded Reload
	buffer_load_dword v86, off, s[24:27], 0 offset:276 ; 4-byte Folded Reload
	buffer_load_dword v87, off, s[24:27], 0 offset:280 ; 4-byte Folded Reload
	buffer_load_dword v88, off, s[24:27], 0 offset:284 ; 4-byte Folded Reload
	s_waitcnt vmcnt(0)
	ds_write2_b64 v0, v[85:86], v[87:88] offset0:36 offset1:37
	buffer_load_dword v85, off, s[24:27], 0 offset:256 ; 4-byte Folded Reload
	buffer_load_dword v86, off, s[24:27], 0 offset:260 ; 4-byte Folded Reload
	buffer_load_dword v87, off, s[24:27], 0 offset:264 ; 4-byte Folded Reload
	buffer_load_dword v88, off, s[24:27], 0 offset:268 ; 4-byte Folded Reload
	;; [unrolled: 6-line block ×17, first 2 shown]
	s_waitcnt vmcnt(0)
	ds_write2_b64 v0, v[85:86], v[87:88] offset0:68 offset1:69
	buffer_load_dword v85, off, s[24:27], 0 ; 4-byte Folded Reload
	buffer_load_dword v86, off, s[24:27], 0 offset:4 ; 4-byte Folded Reload
	buffer_load_dword v87, off, s[24:27], 0 offset:8 ; 4-byte Folded Reload
	;; [unrolled: 1-line block ×3, first 2 shown]
	s_waitcnt vmcnt(0)
	ds_write2_b64 v0, v[85:86], v[87:88] offset0:70 offset1:71
	ds_write2_b64 v0, v[113:114], v[115:116] offset0:72 offset1:73
	;; [unrolled: 1-line block ×25, first 2 shown]
.LBB118_354:
	s_or_b64 exec, exec, s[0:1]
	v_cmp_lt_i32_e32 vcc, 16, v89
	s_waitcnt vmcnt(0) lgkmcnt(0)
	s_barrier
	s_and_saveexec_b64 s[0:1], vcc
	s_cbranch_execz .LBB118_356
; %bb.355:
	buffer_load_dword v95, off, s[24:27], 0 offset:304 ; 4-byte Folded Reload
	buffer_load_dword v96, off, s[24:27], 0 offset:308 ; 4-byte Folded Reload
	;; [unrolled: 1-line block ×4, first 2 shown]
	s_waitcnt vmcnt(0)
	v_mul_f64 v[85:86], v[119:120], v[97:98]
	v_fma_f64 v[125:126], v[117:118], v[95:96], -v[85:86]
	v_mul_f64 v[85:86], v[117:118], v[97:98]
	v_fma_f64 v[97:98], v[119:120], v[95:96], v[85:86]
	ds_read2_b64 v[85:88], v0 offset0:34 offset1:35
	buffer_load_dword v93, off, s[24:27], 0 offset:288 ; 4-byte Folded Reload
	buffer_load_dword v94, off, s[24:27], 0 offset:292 ; 4-byte Folded Reload
	buffer_load_dword v95, off, s[24:27], 0 offset:296 ; 4-byte Folded Reload
	buffer_load_dword v96, off, s[24:27], 0 offset:300 ; 4-byte Folded Reload
	s_waitcnt lgkmcnt(0)
	v_mul_f64 v[91:92], v[87:88], v[97:98]
	v_fma_f64 v[91:92], v[85:86], v[125:126], -v[91:92]
	v_mul_f64 v[85:86], v[85:86], v[97:98]
	v_fma_f64 v[85:86], v[87:88], v[125:126], v[85:86]
	s_waitcnt vmcnt(2)
	v_add_f64 v[93:94], v[93:94], -v[91:92]
	s_waitcnt vmcnt(0)
	v_add_f64 v[95:96], v[95:96], -v[85:86]
	buffer_store_dword v93, off, s[24:27], 0 offset:288 ; 4-byte Folded Spill
	s_nop 0
	buffer_store_dword v94, off, s[24:27], 0 offset:292 ; 4-byte Folded Spill
	buffer_store_dword v95, off, s[24:27], 0 offset:296 ; 4-byte Folded Spill
	buffer_store_dword v96, off, s[24:27], 0 offset:300 ; 4-byte Folded Spill
	ds_read2_b64 v[85:88], v0 offset0:36 offset1:37
	buffer_load_dword v93, off, s[24:27], 0 offset:272 ; 4-byte Folded Reload
	buffer_load_dword v94, off, s[24:27], 0 offset:276 ; 4-byte Folded Reload
	buffer_load_dword v95, off, s[24:27], 0 offset:280 ; 4-byte Folded Reload
	buffer_load_dword v96, off, s[24:27], 0 offset:284 ; 4-byte Folded Reload
	s_waitcnt lgkmcnt(0)
	v_mul_f64 v[91:92], v[87:88], v[97:98]
	v_fma_f64 v[91:92], v[85:86], v[125:126], -v[91:92]
	v_mul_f64 v[85:86], v[85:86], v[97:98]
	v_fma_f64 v[85:86], v[87:88], v[125:126], v[85:86]
	s_waitcnt vmcnt(2)
	v_add_f64 v[93:94], v[93:94], -v[91:92]
	s_waitcnt vmcnt(0)
	v_add_f64 v[95:96], v[95:96], -v[85:86]
	buffer_store_dword v93, off, s[24:27], 0 offset:272 ; 4-byte Folded Spill
	s_nop 0
	buffer_store_dword v94, off, s[24:27], 0 offset:276 ; 4-byte Folded Spill
	buffer_store_dword v95, off, s[24:27], 0 offset:280 ; 4-byte Folded Spill
	buffer_store_dword v96, off, s[24:27], 0 offset:284 ; 4-byte Folded Spill
	;; [unrolled: 19-line block ×18, first 2 shown]
	ds_read2_b64 v[85:88], v0 offset0:70 offset1:71
	buffer_load_dword v93, off, s[24:27], 0 ; 4-byte Folded Reload
	buffer_load_dword v94, off, s[24:27], 0 offset:4 ; 4-byte Folded Reload
	buffer_load_dword v95, off, s[24:27], 0 offset:8 ; 4-byte Folded Reload
	;; [unrolled: 1-line block ×3, first 2 shown]
	s_waitcnt lgkmcnt(0)
	v_mul_f64 v[91:92], v[87:88], v[97:98]
	v_fma_f64 v[91:92], v[85:86], v[125:126], -v[91:92]
	v_mul_f64 v[85:86], v[85:86], v[97:98]
	v_fma_f64 v[85:86], v[87:88], v[125:126], v[85:86]
	s_waitcnt vmcnt(2)
	v_add_f64 v[93:94], v[93:94], -v[91:92]
	s_waitcnt vmcnt(0)
	v_add_f64 v[95:96], v[95:96], -v[85:86]
	buffer_store_dword v93, off, s[24:27], 0 ; 4-byte Folded Spill
	s_nop 0
	buffer_store_dword v94, off, s[24:27], 0 offset:4 ; 4-byte Folded Spill
	buffer_store_dword v95, off, s[24:27], 0 offset:8 ; 4-byte Folded Spill
	;; [unrolled: 1-line block ×3, first 2 shown]
	ds_read2_b64 v[85:88], v0 offset0:72 offset1:73
	v_mov_b32_e32 v95, v125
	v_mov_b32_e32 v96, v126
	s_waitcnt lgkmcnt(0)
	v_mul_f64 v[91:92], v[87:88], v[97:98]
	v_fma_f64 v[91:92], v[85:86], v[125:126], -v[91:92]
	v_mul_f64 v[85:86], v[85:86], v[97:98]
	v_add_f64 v[113:114], v[113:114], -v[91:92]
	v_fma_f64 v[85:86], v[87:88], v[125:126], v[85:86]
	v_add_f64 v[115:116], v[115:116], -v[85:86]
	ds_read2_b64 v[85:88], v0 offset0:74 offset1:75
	s_waitcnt lgkmcnt(0)
	v_mul_f64 v[91:92], v[87:88], v[97:98]
	v_fma_f64 v[91:92], v[85:86], v[125:126], -v[91:92]
	v_mul_f64 v[85:86], v[85:86], v[97:98]
	v_add_f64 v[109:110], v[109:110], -v[91:92]
	v_fma_f64 v[85:86], v[87:88], v[125:126], v[85:86]
	v_add_f64 v[111:112], v[111:112], -v[85:86]
	ds_read2_b64 v[85:88], v0 offset0:76 offset1:77
	;; [unrolled: 8-line block ×22, first 2 shown]
	s_waitcnt lgkmcnt(0)
	v_mul_f64 v[91:92], v[87:88], v[97:98]
	v_fma_f64 v[91:92], v[85:86], v[125:126], -v[91:92]
	v_mul_f64 v[85:86], v[85:86], v[97:98]
	v_add_f64 v[1:2], v[1:2], -v[91:92]
	v_fma_f64 v[85:86], v[87:88], v[125:126], v[85:86]
	ds_read2_b64 v[91:94], v0 offset0:118 offset1:119
	s_waitcnt lgkmcnt(0)
	v_mul_f64 v[87:88], v[91:92], v[97:98]
	v_add_f64 v[3:4], v[3:4], -v[85:86]
	v_mul_f64 v[85:86], v[93:94], v[97:98]
	buffer_store_dword v95, off, s[24:27], 0 offset:304 ; 4-byte Folded Spill
	s_nop 0
	buffer_store_dword v96, off, s[24:27], 0 offset:308 ; 4-byte Folded Spill
	buffer_store_dword v97, off, s[24:27], 0 offset:312 ; 4-byte Folded Spill
	;; [unrolled: 1-line block ×3, first 2 shown]
	v_fma_f64 v[87:88], v[93:94], v[125:126], v[87:88]
	v_fma_f64 v[85:86], v[91:92], v[125:126], -v[85:86]
	v_add_f64 v[123:124], v[123:124], -v[87:88]
	v_add_f64 v[121:122], v[121:122], -v[85:86]
.LBB118_356:
	s_or_b64 exec, exec, s[0:1]
	s_waitcnt vmcnt(0)
	s_barrier
	buffer_load_dword v91, off, s[24:27], 0 offset:288 ; 4-byte Folded Reload
	buffer_load_dword v92, off, s[24:27], 0 offset:292 ; 4-byte Folded Reload
	;; [unrolled: 1-line block ×4, first 2 shown]
	v_lshl_add_u32 v85, v89, 4, v0
	s_cmp_lt_i32 s3, 19
	s_waitcnt vmcnt(0)
	ds_write2_b64 v85, v[91:92], v[93:94] offset1:1
	s_waitcnt lgkmcnt(0)
	s_barrier
	ds_read2_b64 v[117:120], v0 offset0:34 offset1:35
	v_mov_b32_e32 v85, 17
	s_cbranch_scc1 .LBB118_359
; %bb.357:
	v_add_u32_e32 v86, 0x120, v0
	s_mov_b32 s0, 18
	v_mov_b32_e32 v85, 17
.LBB118_358:                            ; =>This Inner Loop Header: Depth=1
	s_waitcnt lgkmcnt(0)
	v_cmp_gt_f64_e32 vcc, 0, v[117:118]
	v_xor_b32_e32 v87, 0x80000000, v118
	ds_read2_b64 v[91:94], v86 offset1:1
	v_xor_b32_e32 v95, 0x80000000, v120
	v_add_u32_e32 v86, 16, v86
	s_waitcnt lgkmcnt(0)
	v_xor_b32_e32 v97, 0x80000000, v94
	v_cndmask_b32_e32 v88, v118, v87, vcc
	v_cmp_gt_f64_e32 vcc, 0, v[119:120]
	v_mov_b32_e32 v87, v117
	v_cndmask_b32_e32 v96, v120, v95, vcc
	v_cmp_gt_f64_e32 vcc, 0, v[91:92]
	v_mov_b32_e32 v95, v119
	v_add_f64 v[87:88], v[87:88], v[95:96]
	v_xor_b32_e32 v95, 0x80000000, v92
	v_cndmask_b32_e32 v96, v92, v95, vcc
	v_cmp_gt_f64_e32 vcc, 0, v[93:94]
	v_mov_b32_e32 v95, v91
	v_cndmask_b32_e32 v98, v94, v97, vcc
	v_mov_b32_e32 v97, v93
	v_add_f64 v[95:96], v[95:96], v[97:98]
	v_cmp_lt_f64_e32 vcc, v[87:88], v[95:96]
	v_mov_b32_e32 v87, s0
	s_add_i32 s0, s0, 1
	s_cmp_lg_u32 s3, s0
	v_cndmask_b32_e32 v118, v118, v92, vcc
	v_cndmask_b32_e32 v117, v117, v91, vcc
	;; [unrolled: 1-line block ×5, first 2 shown]
	s_cbranch_scc1 .LBB118_358
.LBB118_359:
	s_waitcnt lgkmcnt(0)
	v_cmp_eq_f64_e32 vcc, 0, v[117:118]
	v_cmp_eq_f64_e64 s[0:1], 0, v[119:120]
	s_and_b64 s[0:1], vcc, s[0:1]
	s_and_saveexec_b64 s[18:19], s[0:1]
	s_xor_b64 s[0:1], exec, s[18:19]
; %bb.360:
	v_cmp_ne_u32_e32 vcc, 0, v90
	v_cndmask_b32_e32 v90, 18, v90, vcc
; %bb.361:
	s_andn2_saveexec_b64 s[0:1], s[0:1]
	s_cbranch_execz .LBB118_367
; %bb.362:
	v_cmp_ngt_f64_e64 s[18:19], |v[117:118]|, |v[119:120]|
	s_and_saveexec_b64 s[20:21], s[18:19]
	s_xor_b64 s[18:19], exec, s[20:21]
	s_cbranch_execz .LBB118_364
; %bb.363:
	v_div_scale_f64 v[86:87], s[20:21], v[119:120], v[119:120], v[117:118]
	v_rcp_f64_e32 v[91:92], v[86:87]
	v_fma_f64 v[93:94], -v[86:87], v[91:92], 1.0
	v_fma_f64 v[91:92], v[91:92], v[93:94], v[91:92]
	v_div_scale_f64 v[93:94], vcc, v[117:118], v[119:120], v[117:118]
	v_fma_f64 v[95:96], -v[86:87], v[91:92], 1.0
	v_fma_f64 v[91:92], v[91:92], v[95:96], v[91:92]
	v_mul_f64 v[95:96], v[93:94], v[91:92]
	v_fma_f64 v[86:87], -v[86:87], v[95:96], v[93:94]
	v_div_fmas_f64 v[86:87], v[86:87], v[91:92], v[95:96]
	v_div_fixup_f64 v[86:87], v[86:87], v[119:120], v[117:118]
	v_fma_f64 v[91:92], v[117:118], v[86:87], v[119:120]
	v_div_scale_f64 v[93:94], s[20:21], v[91:92], v[91:92], 1.0
	v_div_scale_f64 v[99:100], vcc, 1.0, v[91:92], 1.0
	v_rcp_f64_e32 v[95:96], v[93:94]
	v_fma_f64 v[97:98], -v[93:94], v[95:96], 1.0
	v_fma_f64 v[95:96], v[95:96], v[97:98], v[95:96]
	v_fma_f64 v[97:98], -v[93:94], v[95:96], 1.0
	v_fma_f64 v[95:96], v[95:96], v[97:98], v[95:96]
	v_mul_f64 v[97:98], v[99:100], v[95:96]
	v_fma_f64 v[93:94], -v[93:94], v[97:98], v[99:100]
	v_div_fmas_f64 v[93:94], v[93:94], v[95:96], v[97:98]
	v_div_fixup_f64 v[119:120], v[93:94], v[91:92], 1.0
	v_mul_f64 v[117:118], v[86:87], v[119:120]
	v_xor_b32_e32 v120, 0x80000000, v120
.LBB118_364:
	s_andn2_saveexec_b64 s[18:19], s[18:19]
	s_cbranch_execz .LBB118_366
; %bb.365:
	v_div_scale_f64 v[86:87], s[20:21], v[117:118], v[117:118], v[119:120]
	v_rcp_f64_e32 v[91:92], v[86:87]
	v_fma_f64 v[93:94], -v[86:87], v[91:92], 1.0
	v_fma_f64 v[91:92], v[91:92], v[93:94], v[91:92]
	v_div_scale_f64 v[93:94], vcc, v[119:120], v[117:118], v[119:120]
	v_fma_f64 v[95:96], -v[86:87], v[91:92], 1.0
	v_fma_f64 v[91:92], v[91:92], v[95:96], v[91:92]
	v_mul_f64 v[95:96], v[93:94], v[91:92]
	v_fma_f64 v[86:87], -v[86:87], v[95:96], v[93:94]
	v_div_fmas_f64 v[86:87], v[86:87], v[91:92], v[95:96]
	v_div_fixup_f64 v[86:87], v[86:87], v[117:118], v[119:120]
	v_fma_f64 v[91:92], v[119:120], v[86:87], v[117:118]
	v_div_scale_f64 v[93:94], s[20:21], v[91:92], v[91:92], 1.0
	v_div_scale_f64 v[99:100], vcc, 1.0, v[91:92], 1.0
	v_rcp_f64_e32 v[95:96], v[93:94]
	v_fma_f64 v[97:98], -v[93:94], v[95:96], 1.0
	v_fma_f64 v[95:96], v[95:96], v[97:98], v[95:96]
	v_fma_f64 v[97:98], -v[93:94], v[95:96], 1.0
	v_fma_f64 v[95:96], v[95:96], v[97:98], v[95:96]
	v_mul_f64 v[97:98], v[99:100], v[95:96]
	v_fma_f64 v[93:94], -v[93:94], v[97:98], v[99:100]
	v_div_fmas_f64 v[93:94], v[93:94], v[95:96], v[97:98]
	v_div_fixup_f64 v[117:118], v[93:94], v[91:92], 1.0
	v_mul_f64 v[119:120], v[86:87], -v[117:118]
.LBB118_366:
	s_or_b64 exec, exec, s[18:19]
.LBB118_367:
	s_or_b64 exec, exec, s[0:1]
	v_cmp_ne_u32_e32 vcc, v89, v85
	s_and_saveexec_b64 s[0:1], vcc
	s_xor_b64 s[0:1], exec, s[0:1]
	s_cbranch_execz .LBB118_373
; %bb.368:
	v_cmp_eq_u32_e32 vcc, 17, v89
	s_and_saveexec_b64 s[18:19], vcc
	s_cbranch_execz .LBB118_372
; %bb.369:
	v_cmp_ne_u32_e32 vcc, 17, v85
	s_xor_b64 s[20:21], s[6:7], -1
	s_and_b64 s[22:23], s[20:21], vcc
	s_and_saveexec_b64 s[20:21], s[22:23]
	s_cbranch_execz .LBB118_371
; %bb.370:
	v_ashrrev_i32_e32 v86, 31, v85
	v_lshlrev_b64 v[86:87], 2, v[85:86]
	v_add_co_u32_e32 v86, vcc, v107, v86
	v_addc_co_u32_e32 v87, vcc, v108, v87, vcc
	global_load_dword v88, v[86:87], off
	global_load_dword v89, v[107:108], off offset:68
	s_waitcnt vmcnt(1)
	global_store_dword v[107:108], v88, off offset:68
	s_waitcnt vmcnt(1)
	global_store_dword v[86:87], v89, off
.LBB118_371:
	s_or_b64 exec, exec, s[20:21]
	v_mov_b32_e32 v89, v85
	v_mov_b32_e32 v127, v85
.LBB118_372:
	s_or_b64 exec, exec, s[18:19]
.LBB118_373:
	s_andn2_saveexec_b64 s[0:1], s[0:1]
	s_cbranch_execz .LBB118_375
; %bb.374:
	buffer_load_dword v85, off, s[24:27], 0 offset:272 ; 4-byte Folded Reload
	buffer_load_dword v86, off, s[24:27], 0 offset:276 ; 4-byte Folded Reload
	;; [unrolled: 1-line block ×4, first 2 shown]
	v_mov_b32_e32 v89, 17
	s_waitcnt vmcnt(0)
	ds_write2_b64 v0, v[85:86], v[87:88] offset0:36 offset1:37
	buffer_load_dword v85, off, s[24:27], 0 offset:256 ; 4-byte Folded Reload
	buffer_load_dword v86, off, s[24:27], 0 offset:260 ; 4-byte Folded Reload
	buffer_load_dword v87, off, s[24:27], 0 offset:264 ; 4-byte Folded Reload
	buffer_load_dword v88, off, s[24:27], 0 offset:268 ; 4-byte Folded Reload
	s_waitcnt vmcnt(0)
	ds_write2_b64 v0, v[85:86], v[87:88] offset0:38 offset1:39
	buffer_load_dword v85, off, s[24:27], 0 offset:240 ; 4-byte Folded Reload
	buffer_load_dword v86, off, s[24:27], 0 offset:244 ; 4-byte Folded Reload
	buffer_load_dword v87, off, s[24:27], 0 offset:248 ; 4-byte Folded Reload
	buffer_load_dword v88, off, s[24:27], 0 offset:252 ; 4-byte Folded Reload
	s_waitcnt vmcnt(0)
	ds_write2_b64 v0, v[85:86], v[87:88] offset0:40 offset1:41
	buffer_load_dword v85, off, s[24:27], 0 offset:224 ; 4-byte Folded Reload
	buffer_load_dword v86, off, s[24:27], 0 offset:228 ; 4-byte Folded Reload
	buffer_load_dword v87, off, s[24:27], 0 offset:232 ; 4-byte Folded Reload
	buffer_load_dword v88, off, s[24:27], 0 offset:236 ; 4-byte Folded Reload
	s_waitcnt vmcnt(0)
	ds_write2_b64 v0, v[85:86], v[87:88] offset0:42 offset1:43
	buffer_load_dword v85, off, s[24:27], 0 offset:208 ; 4-byte Folded Reload
	buffer_load_dword v86, off, s[24:27], 0 offset:212 ; 4-byte Folded Reload
	buffer_load_dword v87, off, s[24:27], 0 offset:216 ; 4-byte Folded Reload
	buffer_load_dword v88, off, s[24:27], 0 offset:220 ; 4-byte Folded Reload
	s_waitcnt vmcnt(0)
	ds_write2_b64 v0, v[85:86], v[87:88] offset0:44 offset1:45
	buffer_load_dword v85, off, s[24:27], 0 offset:192 ; 4-byte Folded Reload
	buffer_load_dword v86, off, s[24:27], 0 offset:196 ; 4-byte Folded Reload
	buffer_load_dword v87, off, s[24:27], 0 offset:200 ; 4-byte Folded Reload
	buffer_load_dword v88, off, s[24:27], 0 offset:204 ; 4-byte Folded Reload
	s_waitcnt vmcnt(0)
	ds_write2_b64 v0, v[85:86], v[87:88] offset0:46 offset1:47
	buffer_load_dword v85, off, s[24:27], 0 offset:176 ; 4-byte Folded Reload
	buffer_load_dword v86, off, s[24:27], 0 offset:180 ; 4-byte Folded Reload
	buffer_load_dword v87, off, s[24:27], 0 offset:184 ; 4-byte Folded Reload
	buffer_load_dword v88, off, s[24:27], 0 offset:188 ; 4-byte Folded Reload
	s_waitcnt vmcnt(0)
	ds_write2_b64 v0, v[85:86], v[87:88] offset0:48 offset1:49
	buffer_load_dword v85, off, s[24:27], 0 offset:160 ; 4-byte Folded Reload
	buffer_load_dword v86, off, s[24:27], 0 offset:164 ; 4-byte Folded Reload
	buffer_load_dword v87, off, s[24:27], 0 offset:168 ; 4-byte Folded Reload
	buffer_load_dword v88, off, s[24:27], 0 offset:172 ; 4-byte Folded Reload
	s_waitcnt vmcnt(0)
	ds_write2_b64 v0, v[85:86], v[87:88] offset0:50 offset1:51
	buffer_load_dword v85, off, s[24:27], 0 offset:144 ; 4-byte Folded Reload
	buffer_load_dword v86, off, s[24:27], 0 offset:148 ; 4-byte Folded Reload
	buffer_load_dword v87, off, s[24:27], 0 offset:152 ; 4-byte Folded Reload
	buffer_load_dword v88, off, s[24:27], 0 offset:156 ; 4-byte Folded Reload
	s_waitcnt vmcnt(0)
	ds_write2_b64 v0, v[85:86], v[87:88] offset0:52 offset1:53
	buffer_load_dword v85, off, s[24:27], 0 offset:128 ; 4-byte Folded Reload
	buffer_load_dword v86, off, s[24:27], 0 offset:132 ; 4-byte Folded Reload
	buffer_load_dword v87, off, s[24:27], 0 offset:136 ; 4-byte Folded Reload
	buffer_load_dword v88, off, s[24:27], 0 offset:140 ; 4-byte Folded Reload
	s_waitcnt vmcnt(0)
	ds_write2_b64 v0, v[85:86], v[87:88] offset0:54 offset1:55
	buffer_load_dword v85, off, s[24:27], 0 offset:112 ; 4-byte Folded Reload
	buffer_load_dword v86, off, s[24:27], 0 offset:116 ; 4-byte Folded Reload
	buffer_load_dword v87, off, s[24:27], 0 offset:120 ; 4-byte Folded Reload
	buffer_load_dword v88, off, s[24:27], 0 offset:124 ; 4-byte Folded Reload
	s_waitcnt vmcnt(0)
	ds_write2_b64 v0, v[85:86], v[87:88] offset0:56 offset1:57
	buffer_load_dword v85, off, s[24:27], 0 offset:96 ; 4-byte Folded Reload
	buffer_load_dword v86, off, s[24:27], 0 offset:100 ; 4-byte Folded Reload
	buffer_load_dword v87, off, s[24:27], 0 offset:104 ; 4-byte Folded Reload
	buffer_load_dword v88, off, s[24:27], 0 offset:108 ; 4-byte Folded Reload
	s_waitcnt vmcnt(0)
	ds_write2_b64 v0, v[85:86], v[87:88] offset0:58 offset1:59
	buffer_load_dword v85, off, s[24:27], 0 offset:80 ; 4-byte Folded Reload
	buffer_load_dword v86, off, s[24:27], 0 offset:84 ; 4-byte Folded Reload
	buffer_load_dword v87, off, s[24:27], 0 offset:88 ; 4-byte Folded Reload
	buffer_load_dword v88, off, s[24:27], 0 offset:92 ; 4-byte Folded Reload
	s_waitcnt vmcnt(0)
	ds_write2_b64 v0, v[85:86], v[87:88] offset0:60 offset1:61
	buffer_load_dword v85, off, s[24:27], 0 offset:64 ; 4-byte Folded Reload
	buffer_load_dword v86, off, s[24:27], 0 offset:68 ; 4-byte Folded Reload
	buffer_load_dword v87, off, s[24:27], 0 offset:72 ; 4-byte Folded Reload
	buffer_load_dword v88, off, s[24:27], 0 offset:76 ; 4-byte Folded Reload
	s_waitcnt vmcnt(0)
	ds_write2_b64 v0, v[85:86], v[87:88] offset0:62 offset1:63
	buffer_load_dword v85, off, s[24:27], 0 offset:48 ; 4-byte Folded Reload
	buffer_load_dword v86, off, s[24:27], 0 offset:52 ; 4-byte Folded Reload
	buffer_load_dword v87, off, s[24:27], 0 offset:56 ; 4-byte Folded Reload
	buffer_load_dword v88, off, s[24:27], 0 offset:60 ; 4-byte Folded Reload
	s_waitcnt vmcnt(0)
	ds_write2_b64 v0, v[85:86], v[87:88] offset0:64 offset1:65
	buffer_load_dword v85, off, s[24:27], 0 offset:32 ; 4-byte Folded Reload
	buffer_load_dword v86, off, s[24:27], 0 offset:36 ; 4-byte Folded Reload
	buffer_load_dword v87, off, s[24:27], 0 offset:40 ; 4-byte Folded Reload
	buffer_load_dword v88, off, s[24:27], 0 offset:44 ; 4-byte Folded Reload
	s_waitcnt vmcnt(0)
	ds_write2_b64 v0, v[85:86], v[87:88] offset0:66 offset1:67
	buffer_load_dword v85, off, s[24:27], 0 offset:16 ; 4-byte Folded Reload
	buffer_load_dword v86, off, s[24:27], 0 offset:20 ; 4-byte Folded Reload
	buffer_load_dword v87, off, s[24:27], 0 offset:24 ; 4-byte Folded Reload
	buffer_load_dword v88, off, s[24:27], 0 offset:28 ; 4-byte Folded Reload
	s_waitcnt vmcnt(0)
	ds_write2_b64 v0, v[85:86], v[87:88] offset0:68 offset1:69
	buffer_load_dword v85, off, s[24:27], 0 ; 4-byte Folded Reload
	buffer_load_dword v86, off, s[24:27], 0 offset:4 ; 4-byte Folded Reload
	buffer_load_dword v87, off, s[24:27], 0 offset:8 ; 4-byte Folded Reload
	;; [unrolled: 1-line block ×3, first 2 shown]
	s_waitcnt vmcnt(0)
	ds_write2_b64 v0, v[85:86], v[87:88] offset0:70 offset1:71
	ds_write2_b64 v0, v[113:114], v[115:116] offset0:72 offset1:73
	ds_write2_b64 v0, v[109:110], v[111:112] offset0:74 offset1:75
	ds_write2_b64 v0, v[81:82], v[83:84] offset0:76 offset1:77
	ds_write2_b64 v0, v[77:78], v[79:80] offset0:78 offset1:79
	ds_write2_b64 v0, v[73:74], v[75:76] offset0:80 offset1:81
	ds_write2_b64 v0, v[69:70], v[71:72] offset0:82 offset1:83
	ds_write2_b64 v0, v[65:66], v[67:68] offset0:84 offset1:85
	ds_write2_b64 v0, v[61:62], v[63:64] offset0:86 offset1:87
	ds_write2_b64 v0, v[57:58], v[59:60] offset0:88 offset1:89
	ds_write2_b64 v0, v[53:54], v[55:56] offset0:90 offset1:91
	ds_write2_b64 v0, v[49:50], v[51:52] offset0:92 offset1:93
	ds_write2_b64 v0, v[45:46], v[47:48] offset0:94 offset1:95
	ds_write2_b64 v0, v[41:42], v[43:44] offset0:96 offset1:97
	ds_write2_b64 v0, v[37:38], v[39:40] offset0:98 offset1:99
	ds_write2_b64 v0, v[33:34], v[35:36] offset0:100 offset1:101
	ds_write2_b64 v0, v[29:30], v[31:32] offset0:102 offset1:103
	ds_write2_b64 v0, v[25:26], v[27:28] offset0:104 offset1:105
	ds_write2_b64 v0, v[21:22], v[23:24] offset0:106 offset1:107
	ds_write2_b64 v0, v[17:18], v[19:20] offset0:108 offset1:109
	ds_write2_b64 v0, v[13:14], v[15:16] offset0:110 offset1:111
	ds_write2_b64 v0, v[9:10], v[11:12] offset0:112 offset1:113
	ds_write2_b64 v0, v[5:6], v[7:8] offset0:114 offset1:115
	ds_write2_b64 v0, v[1:2], v[3:4] offset0:116 offset1:117
	ds_write2_b64 v0, v[121:122], v[123:124] offset0:118 offset1:119
.LBB118_375:
	s_or_b64 exec, exec, s[0:1]
	v_cmp_lt_i32_e32 vcc, 17, v89
	s_waitcnt vmcnt(0) lgkmcnt(0)
	s_barrier
	s_and_saveexec_b64 s[0:1], vcc
	s_cbranch_execz .LBB118_377
; %bb.376:
	buffer_load_dword v95, off, s[24:27], 0 offset:288 ; 4-byte Folded Reload
	buffer_load_dword v96, off, s[24:27], 0 offset:292 ; 4-byte Folded Reload
	;; [unrolled: 1-line block ×4, first 2 shown]
	s_waitcnt vmcnt(0)
	v_mul_f64 v[85:86], v[119:120], v[97:98]
	v_fma_f64 v[125:126], v[117:118], v[95:96], -v[85:86]
	v_mul_f64 v[85:86], v[117:118], v[97:98]
	v_fma_f64 v[97:98], v[119:120], v[95:96], v[85:86]
	ds_read2_b64 v[85:88], v0 offset0:36 offset1:37
	buffer_load_dword v93, off, s[24:27], 0 offset:272 ; 4-byte Folded Reload
	buffer_load_dword v94, off, s[24:27], 0 offset:276 ; 4-byte Folded Reload
	buffer_load_dword v95, off, s[24:27], 0 offset:280 ; 4-byte Folded Reload
	buffer_load_dword v96, off, s[24:27], 0 offset:284 ; 4-byte Folded Reload
	s_waitcnt lgkmcnt(0)
	v_mul_f64 v[91:92], v[87:88], v[97:98]
	v_fma_f64 v[91:92], v[85:86], v[125:126], -v[91:92]
	v_mul_f64 v[85:86], v[85:86], v[97:98]
	v_fma_f64 v[85:86], v[87:88], v[125:126], v[85:86]
	s_waitcnt vmcnt(2)
	v_add_f64 v[93:94], v[93:94], -v[91:92]
	s_waitcnt vmcnt(0)
	v_add_f64 v[95:96], v[95:96], -v[85:86]
	buffer_store_dword v93, off, s[24:27], 0 offset:272 ; 4-byte Folded Spill
	s_nop 0
	buffer_store_dword v94, off, s[24:27], 0 offset:276 ; 4-byte Folded Spill
	buffer_store_dword v95, off, s[24:27], 0 offset:280 ; 4-byte Folded Spill
	buffer_store_dword v96, off, s[24:27], 0 offset:284 ; 4-byte Folded Spill
	ds_read2_b64 v[85:88], v0 offset0:38 offset1:39
	buffer_load_dword v93, off, s[24:27], 0 offset:256 ; 4-byte Folded Reload
	buffer_load_dword v94, off, s[24:27], 0 offset:260 ; 4-byte Folded Reload
	buffer_load_dword v95, off, s[24:27], 0 offset:264 ; 4-byte Folded Reload
	buffer_load_dword v96, off, s[24:27], 0 offset:268 ; 4-byte Folded Reload
	s_waitcnt lgkmcnt(0)
	v_mul_f64 v[91:92], v[87:88], v[97:98]
	v_fma_f64 v[91:92], v[85:86], v[125:126], -v[91:92]
	v_mul_f64 v[85:86], v[85:86], v[97:98]
	v_fma_f64 v[85:86], v[87:88], v[125:126], v[85:86]
	s_waitcnt vmcnt(2)
	v_add_f64 v[93:94], v[93:94], -v[91:92]
	s_waitcnt vmcnt(0)
	v_add_f64 v[95:96], v[95:96], -v[85:86]
	buffer_store_dword v93, off, s[24:27], 0 offset:256 ; 4-byte Folded Spill
	s_nop 0
	buffer_store_dword v94, off, s[24:27], 0 offset:260 ; 4-byte Folded Spill
	buffer_store_dword v95, off, s[24:27], 0 offset:264 ; 4-byte Folded Spill
	buffer_store_dword v96, off, s[24:27], 0 offset:268 ; 4-byte Folded Spill
	;; [unrolled: 19-line block ×17, first 2 shown]
	ds_read2_b64 v[85:88], v0 offset0:70 offset1:71
	buffer_load_dword v93, off, s[24:27], 0 ; 4-byte Folded Reload
	buffer_load_dword v94, off, s[24:27], 0 offset:4 ; 4-byte Folded Reload
	buffer_load_dword v95, off, s[24:27], 0 offset:8 ; 4-byte Folded Reload
	buffer_load_dword v96, off, s[24:27], 0 offset:12 ; 4-byte Folded Reload
	s_waitcnt lgkmcnt(0)
	v_mul_f64 v[91:92], v[87:88], v[97:98]
	v_fma_f64 v[91:92], v[85:86], v[125:126], -v[91:92]
	v_mul_f64 v[85:86], v[85:86], v[97:98]
	v_fma_f64 v[85:86], v[87:88], v[125:126], v[85:86]
	s_waitcnt vmcnt(2)
	v_add_f64 v[93:94], v[93:94], -v[91:92]
	s_waitcnt vmcnt(0)
	v_add_f64 v[95:96], v[95:96], -v[85:86]
	buffer_store_dword v93, off, s[24:27], 0 ; 4-byte Folded Spill
	s_nop 0
	buffer_store_dword v94, off, s[24:27], 0 offset:4 ; 4-byte Folded Spill
	buffer_store_dword v95, off, s[24:27], 0 offset:8 ; 4-byte Folded Spill
	buffer_store_dword v96, off, s[24:27], 0 offset:12 ; 4-byte Folded Spill
	ds_read2_b64 v[85:88], v0 offset0:72 offset1:73
	v_mov_b32_e32 v95, v125
	v_mov_b32_e32 v96, v126
	s_waitcnt lgkmcnt(0)
	v_mul_f64 v[91:92], v[87:88], v[97:98]
	v_fma_f64 v[91:92], v[85:86], v[125:126], -v[91:92]
	v_mul_f64 v[85:86], v[85:86], v[97:98]
	v_add_f64 v[113:114], v[113:114], -v[91:92]
	v_fma_f64 v[85:86], v[87:88], v[125:126], v[85:86]
	v_add_f64 v[115:116], v[115:116], -v[85:86]
	ds_read2_b64 v[85:88], v0 offset0:74 offset1:75
	s_waitcnt lgkmcnt(0)
	v_mul_f64 v[91:92], v[87:88], v[97:98]
	v_fma_f64 v[91:92], v[85:86], v[125:126], -v[91:92]
	v_mul_f64 v[85:86], v[85:86], v[97:98]
	v_add_f64 v[109:110], v[109:110], -v[91:92]
	v_fma_f64 v[85:86], v[87:88], v[125:126], v[85:86]
	v_add_f64 v[111:112], v[111:112], -v[85:86]
	ds_read2_b64 v[85:88], v0 offset0:76 offset1:77
	;; [unrolled: 8-line block ×23, first 2 shown]
	s_waitcnt lgkmcnt(0)
	v_mul_f64 v[91:92], v[87:88], v[97:98]
	v_fma_f64 v[91:92], v[85:86], v[125:126], -v[91:92]
	v_mul_f64 v[85:86], v[85:86], v[97:98]
	buffer_store_dword v95, off, s[24:27], 0 offset:288 ; 4-byte Folded Spill
	s_nop 0
	buffer_store_dword v96, off, s[24:27], 0 offset:292 ; 4-byte Folded Spill
	buffer_store_dword v97, off, s[24:27], 0 offset:296 ; 4-byte Folded Spill
	buffer_store_dword v98, off, s[24:27], 0 offset:300 ; 4-byte Folded Spill
	v_add_f64 v[121:122], v[121:122], -v[91:92]
	v_fma_f64 v[85:86], v[87:88], v[125:126], v[85:86]
	v_add_f64 v[123:124], v[123:124], -v[85:86]
.LBB118_377:
	s_or_b64 exec, exec, s[0:1]
	s_waitcnt vmcnt(0)
	s_barrier
	buffer_load_dword v91, off, s[24:27], 0 offset:272 ; 4-byte Folded Reload
	buffer_load_dword v92, off, s[24:27], 0 offset:276 ; 4-byte Folded Reload
	buffer_load_dword v93, off, s[24:27], 0 offset:280 ; 4-byte Folded Reload
	buffer_load_dword v94, off, s[24:27], 0 offset:284 ; 4-byte Folded Reload
	v_lshl_add_u32 v85, v89, 4, v0
	s_cmp_lt_i32 s3, 20
	s_waitcnt vmcnt(0)
	ds_write2_b64 v85, v[91:92], v[93:94] offset1:1
	s_waitcnt lgkmcnt(0)
	s_barrier
	ds_read2_b64 v[117:120], v0 offset0:36 offset1:37
	v_mov_b32_e32 v85, 18
	s_cbranch_scc1 .LBB118_380
; %bb.378:
	v_add_u32_e32 v86, 0x130, v0
	s_mov_b32 s0, 19
	v_mov_b32_e32 v85, 18
.LBB118_379:                            ; =>This Inner Loop Header: Depth=1
	s_waitcnt lgkmcnt(0)
	v_cmp_gt_f64_e32 vcc, 0, v[117:118]
	v_xor_b32_e32 v87, 0x80000000, v118
	ds_read2_b64 v[91:94], v86 offset1:1
	v_xor_b32_e32 v95, 0x80000000, v120
	v_add_u32_e32 v86, 16, v86
	s_waitcnt lgkmcnt(0)
	v_xor_b32_e32 v97, 0x80000000, v94
	v_cndmask_b32_e32 v88, v118, v87, vcc
	v_cmp_gt_f64_e32 vcc, 0, v[119:120]
	v_mov_b32_e32 v87, v117
	v_cndmask_b32_e32 v96, v120, v95, vcc
	v_cmp_gt_f64_e32 vcc, 0, v[91:92]
	v_mov_b32_e32 v95, v119
	v_add_f64 v[87:88], v[87:88], v[95:96]
	v_xor_b32_e32 v95, 0x80000000, v92
	v_cndmask_b32_e32 v96, v92, v95, vcc
	v_cmp_gt_f64_e32 vcc, 0, v[93:94]
	v_mov_b32_e32 v95, v91
	v_cndmask_b32_e32 v98, v94, v97, vcc
	v_mov_b32_e32 v97, v93
	v_add_f64 v[95:96], v[95:96], v[97:98]
	v_cmp_lt_f64_e32 vcc, v[87:88], v[95:96]
	v_mov_b32_e32 v87, s0
	s_add_i32 s0, s0, 1
	s_cmp_lg_u32 s3, s0
	v_cndmask_b32_e32 v118, v118, v92, vcc
	v_cndmask_b32_e32 v117, v117, v91, vcc
	;; [unrolled: 1-line block ×5, first 2 shown]
	s_cbranch_scc1 .LBB118_379
.LBB118_380:
	s_waitcnt lgkmcnt(0)
	v_cmp_eq_f64_e32 vcc, 0, v[117:118]
	v_cmp_eq_f64_e64 s[0:1], 0, v[119:120]
	s_and_b64 s[0:1], vcc, s[0:1]
	s_and_saveexec_b64 s[18:19], s[0:1]
	s_xor_b64 s[0:1], exec, s[18:19]
; %bb.381:
	v_cmp_ne_u32_e32 vcc, 0, v90
	v_cndmask_b32_e32 v90, 19, v90, vcc
; %bb.382:
	s_andn2_saveexec_b64 s[0:1], s[0:1]
	s_cbranch_execz .LBB118_388
; %bb.383:
	v_cmp_ngt_f64_e64 s[18:19], |v[117:118]|, |v[119:120]|
	s_and_saveexec_b64 s[20:21], s[18:19]
	s_xor_b64 s[18:19], exec, s[20:21]
	s_cbranch_execz .LBB118_385
; %bb.384:
	v_div_scale_f64 v[86:87], s[20:21], v[119:120], v[119:120], v[117:118]
	v_rcp_f64_e32 v[91:92], v[86:87]
	v_fma_f64 v[93:94], -v[86:87], v[91:92], 1.0
	v_fma_f64 v[91:92], v[91:92], v[93:94], v[91:92]
	v_div_scale_f64 v[93:94], vcc, v[117:118], v[119:120], v[117:118]
	v_fma_f64 v[95:96], -v[86:87], v[91:92], 1.0
	v_fma_f64 v[91:92], v[91:92], v[95:96], v[91:92]
	v_mul_f64 v[95:96], v[93:94], v[91:92]
	v_fma_f64 v[86:87], -v[86:87], v[95:96], v[93:94]
	v_div_fmas_f64 v[86:87], v[86:87], v[91:92], v[95:96]
	v_div_fixup_f64 v[86:87], v[86:87], v[119:120], v[117:118]
	v_fma_f64 v[91:92], v[117:118], v[86:87], v[119:120]
	v_div_scale_f64 v[93:94], s[20:21], v[91:92], v[91:92], 1.0
	v_div_scale_f64 v[99:100], vcc, 1.0, v[91:92], 1.0
	v_rcp_f64_e32 v[95:96], v[93:94]
	v_fma_f64 v[97:98], -v[93:94], v[95:96], 1.0
	v_fma_f64 v[95:96], v[95:96], v[97:98], v[95:96]
	v_fma_f64 v[97:98], -v[93:94], v[95:96], 1.0
	v_fma_f64 v[95:96], v[95:96], v[97:98], v[95:96]
	v_mul_f64 v[97:98], v[99:100], v[95:96]
	v_fma_f64 v[93:94], -v[93:94], v[97:98], v[99:100]
	v_div_fmas_f64 v[93:94], v[93:94], v[95:96], v[97:98]
	v_div_fixup_f64 v[119:120], v[93:94], v[91:92], 1.0
	v_mul_f64 v[117:118], v[86:87], v[119:120]
	v_xor_b32_e32 v120, 0x80000000, v120
.LBB118_385:
	s_andn2_saveexec_b64 s[18:19], s[18:19]
	s_cbranch_execz .LBB118_387
; %bb.386:
	v_div_scale_f64 v[86:87], s[20:21], v[117:118], v[117:118], v[119:120]
	v_rcp_f64_e32 v[91:92], v[86:87]
	v_fma_f64 v[93:94], -v[86:87], v[91:92], 1.0
	v_fma_f64 v[91:92], v[91:92], v[93:94], v[91:92]
	v_div_scale_f64 v[93:94], vcc, v[119:120], v[117:118], v[119:120]
	v_fma_f64 v[95:96], -v[86:87], v[91:92], 1.0
	v_fma_f64 v[91:92], v[91:92], v[95:96], v[91:92]
	v_mul_f64 v[95:96], v[93:94], v[91:92]
	v_fma_f64 v[86:87], -v[86:87], v[95:96], v[93:94]
	v_div_fmas_f64 v[86:87], v[86:87], v[91:92], v[95:96]
	v_div_fixup_f64 v[86:87], v[86:87], v[117:118], v[119:120]
	v_fma_f64 v[91:92], v[119:120], v[86:87], v[117:118]
	v_div_scale_f64 v[93:94], s[20:21], v[91:92], v[91:92], 1.0
	v_div_scale_f64 v[99:100], vcc, 1.0, v[91:92], 1.0
	v_rcp_f64_e32 v[95:96], v[93:94]
	v_fma_f64 v[97:98], -v[93:94], v[95:96], 1.0
	v_fma_f64 v[95:96], v[95:96], v[97:98], v[95:96]
	v_fma_f64 v[97:98], -v[93:94], v[95:96], 1.0
	v_fma_f64 v[95:96], v[95:96], v[97:98], v[95:96]
	v_mul_f64 v[97:98], v[99:100], v[95:96]
	v_fma_f64 v[93:94], -v[93:94], v[97:98], v[99:100]
	v_div_fmas_f64 v[93:94], v[93:94], v[95:96], v[97:98]
	v_div_fixup_f64 v[117:118], v[93:94], v[91:92], 1.0
	v_mul_f64 v[119:120], v[86:87], -v[117:118]
.LBB118_387:
	s_or_b64 exec, exec, s[18:19]
.LBB118_388:
	s_or_b64 exec, exec, s[0:1]
	v_cmp_ne_u32_e32 vcc, v89, v85
	s_and_saveexec_b64 s[0:1], vcc
	s_xor_b64 s[0:1], exec, s[0:1]
	s_cbranch_execz .LBB118_394
; %bb.389:
	v_cmp_eq_u32_e32 vcc, 18, v89
	s_and_saveexec_b64 s[18:19], vcc
	s_cbranch_execz .LBB118_393
; %bb.390:
	v_cmp_ne_u32_e32 vcc, 18, v85
	s_xor_b64 s[20:21], s[6:7], -1
	s_and_b64 s[22:23], s[20:21], vcc
	s_and_saveexec_b64 s[20:21], s[22:23]
	s_cbranch_execz .LBB118_392
; %bb.391:
	v_ashrrev_i32_e32 v86, 31, v85
	v_lshlrev_b64 v[86:87], 2, v[85:86]
	v_add_co_u32_e32 v86, vcc, v107, v86
	v_addc_co_u32_e32 v87, vcc, v108, v87, vcc
	global_load_dword v88, v[86:87], off
	global_load_dword v89, v[107:108], off offset:72
	s_waitcnt vmcnt(1)
	global_store_dword v[107:108], v88, off offset:72
	s_waitcnt vmcnt(1)
	global_store_dword v[86:87], v89, off
.LBB118_392:
	s_or_b64 exec, exec, s[20:21]
	v_mov_b32_e32 v89, v85
	v_mov_b32_e32 v127, v85
.LBB118_393:
	s_or_b64 exec, exec, s[18:19]
.LBB118_394:
	s_andn2_saveexec_b64 s[0:1], s[0:1]
	s_cbranch_execz .LBB118_396
; %bb.395:
	buffer_load_dword v85, off, s[24:27], 0 offset:256 ; 4-byte Folded Reload
	buffer_load_dword v86, off, s[24:27], 0 offset:260 ; 4-byte Folded Reload
	;; [unrolled: 1-line block ×4, first 2 shown]
	v_mov_b32_e32 v89, 18
	s_waitcnt vmcnt(0)
	ds_write2_b64 v0, v[85:86], v[87:88] offset0:38 offset1:39
	buffer_load_dword v85, off, s[24:27], 0 offset:240 ; 4-byte Folded Reload
	buffer_load_dword v86, off, s[24:27], 0 offset:244 ; 4-byte Folded Reload
	buffer_load_dword v87, off, s[24:27], 0 offset:248 ; 4-byte Folded Reload
	buffer_load_dword v88, off, s[24:27], 0 offset:252 ; 4-byte Folded Reload
	s_waitcnt vmcnt(0)
	ds_write2_b64 v0, v[85:86], v[87:88] offset0:40 offset1:41
	buffer_load_dword v85, off, s[24:27], 0 offset:224 ; 4-byte Folded Reload
	buffer_load_dword v86, off, s[24:27], 0 offset:228 ; 4-byte Folded Reload
	buffer_load_dword v87, off, s[24:27], 0 offset:232 ; 4-byte Folded Reload
	buffer_load_dword v88, off, s[24:27], 0 offset:236 ; 4-byte Folded Reload
	;; [unrolled: 6-line block ×15, first 2 shown]
	s_waitcnt vmcnt(0)
	ds_write2_b64 v0, v[85:86], v[87:88] offset0:68 offset1:69
	buffer_load_dword v85, off, s[24:27], 0 ; 4-byte Folded Reload
	buffer_load_dword v86, off, s[24:27], 0 offset:4 ; 4-byte Folded Reload
	buffer_load_dword v87, off, s[24:27], 0 offset:8 ; 4-byte Folded Reload
	;; [unrolled: 1-line block ×3, first 2 shown]
	s_waitcnt vmcnt(0)
	ds_write2_b64 v0, v[85:86], v[87:88] offset0:70 offset1:71
	ds_write2_b64 v0, v[113:114], v[115:116] offset0:72 offset1:73
	;; [unrolled: 1-line block ×25, first 2 shown]
.LBB118_396:
	s_or_b64 exec, exec, s[0:1]
	v_cmp_lt_i32_e32 vcc, 18, v89
	s_waitcnt vmcnt(0) lgkmcnt(0)
	s_barrier
	s_and_saveexec_b64 s[0:1], vcc
	s_cbranch_execz .LBB118_398
; %bb.397:
	buffer_load_dword v95, off, s[24:27], 0 offset:272 ; 4-byte Folded Reload
	buffer_load_dword v96, off, s[24:27], 0 offset:276 ; 4-byte Folded Reload
	buffer_load_dword v97, off, s[24:27], 0 offset:280 ; 4-byte Folded Reload
	buffer_load_dword v98, off, s[24:27], 0 offset:284 ; 4-byte Folded Reload
	s_waitcnt vmcnt(0)
	v_mul_f64 v[85:86], v[119:120], v[97:98]
	v_fma_f64 v[125:126], v[117:118], v[95:96], -v[85:86]
	v_mul_f64 v[85:86], v[117:118], v[97:98]
	v_fma_f64 v[97:98], v[119:120], v[95:96], v[85:86]
	ds_read2_b64 v[85:88], v0 offset0:38 offset1:39
	buffer_load_dword v93, off, s[24:27], 0 offset:256 ; 4-byte Folded Reload
	buffer_load_dword v94, off, s[24:27], 0 offset:260 ; 4-byte Folded Reload
	buffer_load_dword v95, off, s[24:27], 0 offset:264 ; 4-byte Folded Reload
	buffer_load_dword v96, off, s[24:27], 0 offset:268 ; 4-byte Folded Reload
	s_waitcnt lgkmcnt(0)
	v_mul_f64 v[91:92], v[87:88], v[97:98]
	v_fma_f64 v[91:92], v[85:86], v[125:126], -v[91:92]
	v_mul_f64 v[85:86], v[85:86], v[97:98]
	v_fma_f64 v[85:86], v[87:88], v[125:126], v[85:86]
	s_waitcnt vmcnt(2)
	v_add_f64 v[93:94], v[93:94], -v[91:92]
	s_waitcnt vmcnt(0)
	v_add_f64 v[95:96], v[95:96], -v[85:86]
	buffer_store_dword v93, off, s[24:27], 0 offset:256 ; 4-byte Folded Spill
	s_nop 0
	buffer_store_dword v94, off, s[24:27], 0 offset:260 ; 4-byte Folded Spill
	buffer_store_dword v95, off, s[24:27], 0 offset:264 ; 4-byte Folded Spill
	buffer_store_dword v96, off, s[24:27], 0 offset:268 ; 4-byte Folded Spill
	ds_read2_b64 v[85:88], v0 offset0:40 offset1:41
	buffer_load_dword v93, off, s[24:27], 0 offset:240 ; 4-byte Folded Reload
	buffer_load_dword v94, off, s[24:27], 0 offset:244 ; 4-byte Folded Reload
	buffer_load_dword v95, off, s[24:27], 0 offset:248 ; 4-byte Folded Reload
	buffer_load_dword v96, off, s[24:27], 0 offset:252 ; 4-byte Folded Reload
	s_waitcnt lgkmcnt(0)
	v_mul_f64 v[91:92], v[87:88], v[97:98]
	v_fma_f64 v[91:92], v[85:86], v[125:126], -v[91:92]
	v_mul_f64 v[85:86], v[85:86], v[97:98]
	v_fma_f64 v[85:86], v[87:88], v[125:126], v[85:86]
	s_waitcnt vmcnt(2)
	v_add_f64 v[93:94], v[93:94], -v[91:92]
	s_waitcnt vmcnt(0)
	v_add_f64 v[95:96], v[95:96], -v[85:86]
	buffer_store_dword v93, off, s[24:27], 0 offset:240 ; 4-byte Folded Spill
	s_nop 0
	buffer_store_dword v94, off, s[24:27], 0 offset:244 ; 4-byte Folded Spill
	buffer_store_dword v95, off, s[24:27], 0 offset:248 ; 4-byte Folded Spill
	buffer_store_dword v96, off, s[24:27], 0 offset:252 ; 4-byte Folded Spill
	;; [unrolled: 19-line block ×16, first 2 shown]
	ds_read2_b64 v[85:88], v0 offset0:70 offset1:71
	buffer_load_dword v93, off, s[24:27], 0 ; 4-byte Folded Reload
	buffer_load_dword v94, off, s[24:27], 0 offset:4 ; 4-byte Folded Reload
	buffer_load_dword v95, off, s[24:27], 0 offset:8 ; 4-byte Folded Reload
	;; [unrolled: 1-line block ×3, first 2 shown]
	s_waitcnt lgkmcnt(0)
	v_mul_f64 v[91:92], v[87:88], v[97:98]
	v_fma_f64 v[91:92], v[85:86], v[125:126], -v[91:92]
	v_mul_f64 v[85:86], v[85:86], v[97:98]
	v_fma_f64 v[85:86], v[87:88], v[125:126], v[85:86]
	s_waitcnt vmcnt(2)
	v_add_f64 v[93:94], v[93:94], -v[91:92]
	s_waitcnt vmcnt(0)
	v_add_f64 v[95:96], v[95:96], -v[85:86]
	buffer_store_dword v93, off, s[24:27], 0 ; 4-byte Folded Spill
	s_nop 0
	buffer_store_dword v94, off, s[24:27], 0 offset:4 ; 4-byte Folded Spill
	buffer_store_dword v95, off, s[24:27], 0 offset:8 ; 4-byte Folded Spill
	;; [unrolled: 1-line block ×3, first 2 shown]
	ds_read2_b64 v[85:88], v0 offset0:72 offset1:73
	v_mov_b32_e32 v95, v125
	v_mov_b32_e32 v96, v126
	s_waitcnt lgkmcnt(0)
	v_mul_f64 v[91:92], v[87:88], v[97:98]
	v_fma_f64 v[91:92], v[85:86], v[125:126], -v[91:92]
	v_mul_f64 v[85:86], v[85:86], v[97:98]
	v_add_f64 v[113:114], v[113:114], -v[91:92]
	v_fma_f64 v[85:86], v[87:88], v[125:126], v[85:86]
	v_add_f64 v[115:116], v[115:116], -v[85:86]
	ds_read2_b64 v[85:88], v0 offset0:74 offset1:75
	s_waitcnt lgkmcnt(0)
	v_mul_f64 v[91:92], v[87:88], v[97:98]
	v_fma_f64 v[91:92], v[85:86], v[125:126], -v[91:92]
	v_mul_f64 v[85:86], v[85:86], v[97:98]
	v_add_f64 v[109:110], v[109:110], -v[91:92]
	v_fma_f64 v[85:86], v[87:88], v[125:126], v[85:86]
	v_add_f64 v[111:112], v[111:112], -v[85:86]
	ds_read2_b64 v[85:88], v0 offset0:76 offset1:77
	;; [unrolled: 8-line block ×23, first 2 shown]
	s_waitcnt lgkmcnt(0)
	v_mul_f64 v[91:92], v[87:88], v[97:98]
	v_fma_f64 v[91:92], v[85:86], v[125:126], -v[91:92]
	v_mul_f64 v[85:86], v[85:86], v[97:98]
	buffer_store_dword v95, off, s[24:27], 0 offset:272 ; 4-byte Folded Spill
	s_nop 0
	buffer_store_dword v96, off, s[24:27], 0 offset:276 ; 4-byte Folded Spill
	buffer_store_dword v97, off, s[24:27], 0 offset:280 ; 4-byte Folded Spill
	buffer_store_dword v98, off, s[24:27], 0 offset:284 ; 4-byte Folded Spill
	v_add_f64 v[121:122], v[121:122], -v[91:92]
	v_fma_f64 v[85:86], v[87:88], v[125:126], v[85:86]
	v_add_f64 v[123:124], v[123:124], -v[85:86]
.LBB118_398:
	s_or_b64 exec, exec, s[0:1]
	s_waitcnt vmcnt(0)
	s_barrier
	buffer_load_dword v91, off, s[24:27], 0 offset:256 ; 4-byte Folded Reload
	buffer_load_dword v92, off, s[24:27], 0 offset:260 ; 4-byte Folded Reload
	;; [unrolled: 1-line block ×4, first 2 shown]
	v_lshl_add_u32 v85, v89, 4, v0
	s_cmp_lt_i32 s3, 21
	s_waitcnt vmcnt(0)
	ds_write2_b64 v85, v[91:92], v[93:94] offset1:1
	s_waitcnt lgkmcnt(0)
	s_barrier
	ds_read2_b64 v[117:120], v0 offset0:38 offset1:39
	v_mov_b32_e32 v85, 19
	s_cbranch_scc1 .LBB118_401
; %bb.399:
	v_add_u32_e32 v86, 0x140, v0
	s_mov_b32 s0, 20
	v_mov_b32_e32 v85, 19
.LBB118_400:                            ; =>This Inner Loop Header: Depth=1
	s_waitcnt lgkmcnt(0)
	v_cmp_gt_f64_e32 vcc, 0, v[117:118]
	v_xor_b32_e32 v87, 0x80000000, v118
	ds_read2_b64 v[91:94], v86 offset1:1
	v_xor_b32_e32 v95, 0x80000000, v120
	v_add_u32_e32 v86, 16, v86
	s_waitcnt lgkmcnt(0)
	v_xor_b32_e32 v97, 0x80000000, v94
	v_cndmask_b32_e32 v88, v118, v87, vcc
	v_cmp_gt_f64_e32 vcc, 0, v[119:120]
	v_mov_b32_e32 v87, v117
	v_cndmask_b32_e32 v96, v120, v95, vcc
	v_cmp_gt_f64_e32 vcc, 0, v[91:92]
	v_mov_b32_e32 v95, v119
	v_add_f64 v[87:88], v[87:88], v[95:96]
	v_xor_b32_e32 v95, 0x80000000, v92
	v_cndmask_b32_e32 v96, v92, v95, vcc
	v_cmp_gt_f64_e32 vcc, 0, v[93:94]
	v_mov_b32_e32 v95, v91
	v_cndmask_b32_e32 v98, v94, v97, vcc
	v_mov_b32_e32 v97, v93
	v_add_f64 v[95:96], v[95:96], v[97:98]
	v_cmp_lt_f64_e32 vcc, v[87:88], v[95:96]
	v_mov_b32_e32 v87, s0
	s_add_i32 s0, s0, 1
	s_cmp_lg_u32 s3, s0
	v_cndmask_b32_e32 v118, v118, v92, vcc
	v_cndmask_b32_e32 v117, v117, v91, vcc
	v_cndmask_b32_e32 v120, v120, v94, vcc
	v_cndmask_b32_e32 v119, v119, v93, vcc
	v_cndmask_b32_e32 v85, v85, v87, vcc
	s_cbranch_scc1 .LBB118_400
.LBB118_401:
	s_waitcnt lgkmcnt(0)
	v_cmp_eq_f64_e32 vcc, 0, v[117:118]
	v_cmp_eq_f64_e64 s[0:1], 0, v[119:120]
	s_and_b64 s[0:1], vcc, s[0:1]
	s_and_saveexec_b64 s[18:19], s[0:1]
	s_xor_b64 s[0:1], exec, s[18:19]
; %bb.402:
	v_cmp_ne_u32_e32 vcc, 0, v90
	v_cndmask_b32_e32 v90, 20, v90, vcc
; %bb.403:
	s_andn2_saveexec_b64 s[0:1], s[0:1]
	s_cbranch_execz .LBB118_409
; %bb.404:
	v_cmp_ngt_f64_e64 s[18:19], |v[117:118]|, |v[119:120]|
	s_and_saveexec_b64 s[20:21], s[18:19]
	s_xor_b64 s[18:19], exec, s[20:21]
	s_cbranch_execz .LBB118_406
; %bb.405:
	v_div_scale_f64 v[86:87], s[20:21], v[119:120], v[119:120], v[117:118]
	v_rcp_f64_e32 v[91:92], v[86:87]
	v_fma_f64 v[93:94], -v[86:87], v[91:92], 1.0
	v_fma_f64 v[91:92], v[91:92], v[93:94], v[91:92]
	v_div_scale_f64 v[93:94], vcc, v[117:118], v[119:120], v[117:118]
	v_fma_f64 v[95:96], -v[86:87], v[91:92], 1.0
	v_fma_f64 v[91:92], v[91:92], v[95:96], v[91:92]
	v_mul_f64 v[95:96], v[93:94], v[91:92]
	v_fma_f64 v[86:87], -v[86:87], v[95:96], v[93:94]
	v_div_fmas_f64 v[86:87], v[86:87], v[91:92], v[95:96]
	v_div_fixup_f64 v[86:87], v[86:87], v[119:120], v[117:118]
	v_fma_f64 v[91:92], v[117:118], v[86:87], v[119:120]
	v_div_scale_f64 v[93:94], s[20:21], v[91:92], v[91:92], 1.0
	v_div_scale_f64 v[99:100], vcc, 1.0, v[91:92], 1.0
	v_rcp_f64_e32 v[95:96], v[93:94]
	v_fma_f64 v[97:98], -v[93:94], v[95:96], 1.0
	v_fma_f64 v[95:96], v[95:96], v[97:98], v[95:96]
	v_fma_f64 v[97:98], -v[93:94], v[95:96], 1.0
	v_fma_f64 v[95:96], v[95:96], v[97:98], v[95:96]
	v_mul_f64 v[97:98], v[99:100], v[95:96]
	v_fma_f64 v[93:94], -v[93:94], v[97:98], v[99:100]
	v_div_fmas_f64 v[93:94], v[93:94], v[95:96], v[97:98]
	v_div_fixup_f64 v[119:120], v[93:94], v[91:92], 1.0
	v_mul_f64 v[117:118], v[86:87], v[119:120]
	v_xor_b32_e32 v120, 0x80000000, v120
.LBB118_406:
	s_andn2_saveexec_b64 s[18:19], s[18:19]
	s_cbranch_execz .LBB118_408
; %bb.407:
	v_div_scale_f64 v[86:87], s[20:21], v[117:118], v[117:118], v[119:120]
	v_rcp_f64_e32 v[91:92], v[86:87]
	v_fma_f64 v[93:94], -v[86:87], v[91:92], 1.0
	v_fma_f64 v[91:92], v[91:92], v[93:94], v[91:92]
	v_div_scale_f64 v[93:94], vcc, v[119:120], v[117:118], v[119:120]
	v_fma_f64 v[95:96], -v[86:87], v[91:92], 1.0
	v_fma_f64 v[91:92], v[91:92], v[95:96], v[91:92]
	v_mul_f64 v[95:96], v[93:94], v[91:92]
	v_fma_f64 v[86:87], -v[86:87], v[95:96], v[93:94]
	v_div_fmas_f64 v[86:87], v[86:87], v[91:92], v[95:96]
	v_div_fixup_f64 v[86:87], v[86:87], v[117:118], v[119:120]
	v_fma_f64 v[91:92], v[119:120], v[86:87], v[117:118]
	v_div_scale_f64 v[93:94], s[20:21], v[91:92], v[91:92], 1.0
	v_div_scale_f64 v[99:100], vcc, 1.0, v[91:92], 1.0
	v_rcp_f64_e32 v[95:96], v[93:94]
	v_fma_f64 v[97:98], -v[93:94], v[95:96], 1.0
	v_fma_f64 v[95:96], v[95:96], v[97:98], v[95:96]
	v_fma_f64 v[97:98], -v[93:94], v[95:96], 1.0
	v_fma_f64 v[95:96], v[95:96], v[97:98], v[95:96]
	v_mul_f64 v[97:98], v[99:100], v[95:96]
	v_fma_f64 v[93:94], -v[93:94], v[97:98], v[99:100]
	v_div_fmas_f64 v[93:94], v[93:94], v[95:96], v[97:98]
	v_div_fixup_f64 v[117:118], v[93:94], v[91:92], 1.0
	v_mul_f64 v[119:120], v[86:87], -v[117:118]
.LBB118_408:
	s_or_b64 exec, exec, s[18:19]
.LBB118_409:
	s_or_b64 exec, exec, s[0:1]
	v_cmp_ne_u32_e32 vcc, v89, v85
	s_and_saveexec_b64 s[0:1], vcc
	s_xor_b64 s[0:1], exec, s[0:1]
	s_cbranch_execz .LBB118_415
; %bb.410:
	v_cmp_eq_u32_e32 vcc, 19, v89
	s_and_saveexec_b64 s[18:19], vcc
	s_cbranch_execz .LBB118_414
; %bb.411:
	v_cmp_ne_u32_e32 vcc, 19, v85
	s_xor_b64 s[20:21], s[6:7], -1
	s_and_b64 s[22:23], s[20:21], vcc
	s_and_saveexec_b64 s[20:21], s[22:23]
	s_cbranch_execz .LBB118_413
; %bb.412:
	v_ashrrev_i32_e32 v86, 31, v85
	v_lshlrev_b64 v[86:87], 2, v[85:86]
	v_add_co_u32_e32 v86, vcc, v107, v86
	v_addc_co_u32_e32 v87, vcc, v108, v87, vcc
	global_load_dword v88, v[86:87], off
	global_load_dword v89, v[107:108], off offset:76
	s_waitcnt vmcnt(1)
	global_store_dword v[107:108], v88, off offset:76
	s_waitcnt vmcnt(1)
	global_store_dword v[86:87], v89, off
.LBB118_413:
	s_or_b64 exec, exec, s[20:21]
	v_mov_b32_e32 v89, v85
	v_mov_b32_e32 v127, v85
.LBB118_414:
	s_or_b64 exec, exec, s[18:19]
.LBB118_415:
	s_andn2_saveexec_b64 s[0:1], s[0:1]
	s_cbranch_execz .LBB118_417
; %bb.416:
	buffer_load_dword v85, off, s[24:27], 0 offset:240 ; 4-byte Folded Reload
	buffer_load_dword v86, off, s[24:27], 0 offset:244 ; 4-byte Folded Reload
	buffer_load_dword v87, off, s[24:27], 0 offset:248 ; 4-byte Folded Reload
	buffer_load_dword v88, off, s[24:27], 0 offset:252 ; 4-byte Folded Reload
	v_mov_b32_e32 v89, 19
	s_waitcnt vmcnt(0)
	ds_write2_b64 v0, v[85:86], v[87:88] offset0:40 offset1:41
	buffer_load_dword v85, off, s[24:27], 0 offset:224 ; 4-byte Folded Reload
	buffer_load_dword v86, off, s[24:27], 0 offset:228 ; 4-byte Folded Reload
	buffer_load_dword v87, off, s[24:27], 0 offset:232 ; 4-byte Folded Reload
	buffer_load_dword v88, off, s[24:27], 0 offset:236 ; 4-byte Folded Reload
	s_waitcnt vmcnt(0)
	ds_write2_b64 v0, v[85:86], v[87:88] offset0:42 offset1:43
	buffer_load_dword v85, off, s[24:27], 0 offset:208 ; 4-byte Folded Reload
	buffer_load_dword v86, off, s[24:27], 0 offset:212 ; 4-byte Folded Reload
	buffer_load_dword v87, off, s[24:27], 0 offset:216 ; 4-byte Folded Reload
	buffer_load_dword v88, off, s[24:27], 0 offset:220 ; 4-byte Folded Reload
	;; [unrolled: 6-line block ×14, first 2 shown]
	s_waitcnt vmcnt(0)
	ds_write2_b64 v0, v[85:86], v[87:88] offset0:68 offset1:69
	buffer_load_dword v85, off, s[24:27], 0 ; 4-byte Folded Reload
	buffer_load_dword v86, off, s[24:27], 0 offset:4 ; 4-byte Folded Reload
	buffer_load_dword v87, off, s[24:27], 0 offset:8 ; 4-byte Folded Reload
	;; [unrolled: 1-line block ×3, first 2 shown]
	s_waitcnt vmcnt(0)
	ds_write2_b64 v0, v[85:86], v[87:88] offset0:70 offset1:71
	ds_write2_b64 v0, v[113:114], v[115:116] offset0:72 offset1:73
	;; [unrolled: 1-line block ×25, first 2 shown]
.LBB118_417:
	s_or_b64 exec, exec, s[0:1]
	v_cmp_lt_i32_e32 vcc, 19, v89
	s_waitcnt vmcnt(0) lgkmcnt(0)
	s_barrier
	s_and_saveexec_b64 s[0:1], vcc
	s_cbranch_execz .LBB118_419
; %bb.418:
	buffer_load_dword v95, off, s[24:27], 0 offset:256 ; 4-byte Folded Reload
	buffer_load_dword v96, off, s[24:27], 0 offset:260 ; 4-byte Folded Reload
	buffer_load_dword v97, off, s[24:27], 0 offset:264 ; 4-byte Folded Reload
	buffer_load_dword v98, off, s[24:27], 0 offset:268 ; 4-byte Folded Reload
	s_waitcnt vmcnt(0)
	v_mul_f64 v[85:86], v[119:120], v[97:98]
	v_fma_f64 v[125:126], v[117:118], v[95:96], -v[85:86]
	v_mul_f64 v[85:86], v[117:118], v[97:98]
	v_fma_f64 v[97:98], v[119:120], v[95:96], v[85:86]
	ds_read2_b64 v[85:88], v0 offset0:40 offset1:41
	buffer_load_dword v93, off, s[24:27], 0 offset:240 ; 4-byte Folded Reload
	buffer_load_dword v94, off, s[24:27], 0 offset:244 ; 4-byte Folded Reload
	buffer_load_dword v95, off, s[24:27], 0 offset:248 ; 4-byte Folded Reload
	buffer_load_dword v96, off, s[24:27], 0 offset:252 ; 4-byte Folded Reload
	s_waitcnt lgkmcnt(0)
	v_mul_f64 v[91:92], v[87:88], v[97:98]
	v_fma_f64 v[91:92], v[85:86], v[125:126], -v[91:92]
	v_mul_f64 v[85:86], v[85:86], v[97:98]
	v_fma_f64 v[85:86], v[87:88], v[125:126], v[85:86]
	s_waitcnt vmcnt(2)
	v_add_f64 v[93:94], v[93:94], -v[91:92]
	s_waitcnt vmcnt(0)
	v_add_f64 v[95:96], v[95:96], -v[85:86]
	buffer_store_dword v93, off, s[24:27], 0 offset:240 ; 4-byte Folded Spill
	s_nop 0
	buffer_store_dword v94, off, s[24:27], 0 offset:244 ; 4-byte Folded Spill
	buffer_store_dword v95, off, s[24:27], 0 offset:248 ; 4-byte Folded Spill
	buffer_store_dword v96, off, s[24:27], 0 offset:252 ; 4-byte Folded Spill
	ds_read2_b64 v[85:88], v0 offset0:42 offset1:43
	buffer_load_dword v93, off, s[24:27], 0 offset:224 ; 4-byte Folded Reload
	buffer_load_dword v94, off, s[24:27], 0 offset:228 ; 4-byte Folded Reload
	buffer_load_dword v95, off, s[24:27], 0 offset:232 ; 4-byte Folded Reload
	buffer_load_dword v96, off, s[24:27], 0 offset:236 ; 4-byte Folded Reload
	s_waitcnt lgkmcnt(0)
	v_mul_f64 v[91:92], v[87:88], v[97:98]
	v_fma_f64 v[91:92], v[85:86], v[125:126], -v[91:92]
	v_mul_f64 v[85:86], v[85:86], v[97:98]
	v_fma_f64 v[85:86], v[87:88], v[125:126], v[85:86]
	s_waitcnt vmcnt(2)
	v_add_f64 v[93:94], v[93:94], -v[91:92]
	s_waitcnt vmcnt(0)
	v_add_f64 v[95:96], v[95:96], -v[85:86]
	buffer_store_dword v93, off, s[24:27], 0 offset:224 ; 4-byte Folded Spill
	s_nop 0
	buffer_store_dword v94, off, s[24:27], 0 offset:228 ; 4-byte Folded Spill
	buffer_store_dword v95, off, s[24:27], 0 offset:232 ; 4-byte Folded Spill
	buffer_store_dword v96, off, s[24:27], 0 offset:236 ; 4-byte Folded Spill
	;; [unrolled: 19-line block ×15, first 2 shown]
	ds_read2_b64 v[85:88], v0 offset0:70 offset1:71
	buffer_load_dword v93, off, s[24:27], 0 ; 4-byte Folded Reload
	buffer_load_dword v94, off, s[24:27], 0 offset:4 ; 4-byte Folded Reload
	buffer_load_dword v95, off, s[24:27], 0 offset:8 ; 4-byte Folded Reload
	;; [unrolled: 1-line block ×3, first 2 shown]
	s_waitcnt lgkmcnt(0)
	v_mul_f64 v[91:92], v[87:88], v[97:98]
	v_fma_f64 v[91:92], v[85:86], v[125:126], -v[91:92]
	v_mul_f64 v[85:86], v[85:86], v[97:98]
	v_fma_f64 v[85:86], v[87:88], v[125:126], v[85:86]
	s_waitcnt vmcnt(2)
	v_add_f64 v[93:94], v[93:94], -v[91:92]
	s_waitcnt vmcnt(0)
	v_add_f64 v[95:96], v[95:96], -v[85:86]
	buffer_store_dword v93, off, s[24:27], 0 ; 4-byte Folded Spill
	s_nop 0
	buffer_store_dword v94, off, s[24:27], 0 offset:4 ; 4-byte Folded Spill
	buffer_store_dword v95, off, s[24:27], 0 offset:8 ; 4-byte Folded Spill
	;; [unrolled: 1-line block ×3, first 2 shown]
	ds_read2_b64 v[85:88], v0 offset0:72 offset1:73
	v_mov_b32_e32 v95, v125
	v_mov_b32_e32 v96, v126
	s_waitcnt lgkmcnt(0)
	v_mul_f64 v[91:92], v[87:88], v[97:98]
	v_fma_f64 v[91:92], v[85:86], v[125:126], -v[91:92]
	v_mul_f64 v[85:86], v[85:86], v[97:98]
	v_add_f64 v[113:114], v[113:114], -v[91:92]
	v_fma_f64 v[85:86], v[87:88], v[125:126], v[85:86]
	v_add_f64 v[115:116], v[115:116], -v[85:86]
	ds_read2_b64 v[85:88], v0 offset0:74 offset1:75
	s_waitcnt lgkmcnt(0)
	v_mul_f64 v[91:92], v[87:88], v[97:98]
	v_fma_f64 v[91:92], v[85:86], v[125:126], -v[91:92]
	v_mul_f64 v[85:86], v[85:86], v[97:98]
	v_add_f64 v[109:110], v[109:110], -v[91:92]
	v_fma_f64 v[85:86], v[87:88], v[125:126], v[85:86]
	v_add_f64 v[111:112], v[111:112], -v[85:86]
	ds_read2_b64 v[85:88], v0 offset0:76 offset1:77
	s_waitcnt lgkmcnt(0)
	v_mul_f64 v[91:92], v[87:88], v[97:98]
	v_fma_f64 v[91:92], v[85:86], v[125:126], -v[91:92]
	v_mul_f64 v[85:86], v[85:86], v[97:98]
	v_add_f64 v[81:82], v[81:82], -v[91:92]
	v_fma_f64 v[85:86], v[87:88], v[125:126], v[85:86]
	v_add_f64 v[83:84], v[83:84], -v[85:86]
	ds_read2_b64 v[85:88], v0 offset0:78 offset1:79
	s_waitcnt lgkmcnt(0)
	v_mul_f64 v[91:92], v[87:88], v[97:98]
	v_fma_f64 v[91:92], v[85:86], v[125:126], -v[91:92]
	v_mul_f64 v[85:86], v[85:86], v[97:98]
	v_add_f64 v[77:78], v[77:78], -v[91:92]
	v_fma_f64 v[85:86], v[87:88], v[125:126], v[85:86]
	v_add_f64 v[79:80], v[79:80], -v[85:86]
	ds_read2_b64 v[85:88], v0 offset0:80 offset1:81
	s_waitcnt lgkmcnt(0)
	v_mul_f64 v[91:92], v[87:88], v[97:98]
	v_fma_f64 v[91:92], v[85:86], v[125:126], -v[91:92]
	v_mul_f64 v[85:86], v[85:86], v[97:98]
	v_add_f64 v[73:74], v[73:74], -v[91:92]
	v_fma_f64 v[85:86], v[87:88], v[125:126], v[85:86]
	v_add_f64 v[75:76], v[75:76], -v[85:86]
	ds_read2_b64 v[85:88], v0 offset0:82 offset1:83
	s_waitcnt lgkmcnt(0)
	v_mul_f64 v[91:92], v[87:88], v[97:98]
	v_fma_f64 v[91:92], v[85:86], v[125:126], -v[91:92]
	v_mul_f64 v[85:86], v[85:86], v[97:98]
	v_add_f64 v[69:70], v[69:70], -v[91:92]
	v_fma_f64 v[85:86], v[87:88], v[125:126], v[85:86]
	v_add_f64 v[71:72], v[71:72], -v[85:86]
	ds_read2_b64 v[85:88], v0 offset0:84 offset1:85
	s_waitcnt lgkmcnt(0)
	v_mul_f64 v[91:92], v[87:88], v[97:98]
	v_fma_f64 v[91:92], v[85:86], v[125:126], -v[91:92]
	v_mul_f64 v[85:86], v[85:86], v[97:98]
	v_add_f64 v[65:66], v[65:66], -v[91:92]
	v_fma_f64 v[85:86], v[87:88], v[125:126], v[85:86]
	v_add_f64 v[67:68], v[67:68], -v[85:86]
	ds_read2_b64 v[85:88], v0 offset0:86 offset1:87
	s_waitcnt lgkmcnt(0)
	v_mul_f64 v[91:92], v[87:88], v[97:98]
	v_fma_f64 v[91:92], v[85:86], v[125:126], -v[91:92]
	v_mul_f64 v[85:86], v[85:86], v[97:98]
	v_add_f64 v[61:62], v[61:62], -v[91:92]
	v_fma_f64 v[85:86], v[87:88], v[125:126], v[85:86]
	v_add_f64 v[63:64], v[63:64], -v[85:86]
	ds_read2_b64 v[85:88], v0 offset0:88 offset1:89
	s_waitcnt lgkmcnt(0)
	v_mul_f64 v[91:92], v[87:88], v[97:98]
	v_fma_f64 v[91:92], v[85:86], v[125:126], -v[91:92]
	v_mul_f64 v[85:86], v[85:86], v[97:98]
	v_add_f64 v[57:58], v[57:58], -v[91:92]
	v_fma_f64 v[85:86], v[87:88], v[125:126], v[85:86]
	v_add_f64 v[59:60], v[59:60], -v[85:86]
	ds_read2_b64 v[85:88], v0 offset0:90 offset1:91
	s_waitcnt lgkmcnt(0)
	v_mul_f64 v[91:92], v[87:88], v[97:98]
	v_fma_f64 v[91:92], v[85:86], v[125:126], -v[91:92]
	v_mul_f64 v[85:86], v[85:86], v[97:98]
	v_add_f64 v[53:54], v[53:54], -v[91:92]
	v_fma_f64 v[85:86], v[87:88], v[125:126], v[85:86]
	v_add_f64 v[55:56], v[55:56], -v[85:86]
	ds_read2_b64 v[85:88], v0 offset0:92 offset1:93
	s_waitcnt lgkmcnt(0)
	v_mul_f64 v[91:92], v[87:88], v[97:98]
	v_fma_f64 v[91:92], v[85:86], v[125:126], -v[91:92]
	v_mul_f64 v[85:86], v[85:86], v[97:98]
	v_add_f64 v[49:50], v[49:50], -v[91:92]
	v_fma_f64 v[85:86], v[87:88], v[125:126], v[85:86]
	v_add_f64 v[51:52], v[51:52], -v[85:86]
	ds_read2_b64 v[85:88], v0 offset0:94 offset1:95
	s_waitcnt lgkmcnt(0)
	v_mul_f64 v[91:92], v[87:88], v[97:98]
	v_fma_f64 v[91:92], v[85:86], v[125:126], -v[91:92]
	v_mul_f64 v[85:86], v[85:86], v[97:98]
	v_add_f64 v[45:46], v[45:46], -v[91:92]
	v_fma_f64 v[85:86], v[87:88], v[125:126], v[85:86]
	v_add_f64 v[47:48], v[47:48], -v[85:86]
	ds_read2_b64 v[85:88], v0 offset0:96 offset1:97
	s_waitcnt lgkmcnt(0)
	v_mul_f64 v[91:92], v[87:88], v[97:98]
	v_fma_f64 v[91:92], v[85:86], v[125:126], -v[91:92]
	v_mul_f64 v[85:86], v[85:86], v[97:98]
	v_add_f64 v[41:42], v[41:42], -v[91:92]
	v_fma_f64 v[85:86], v[87:88], v[125:126], v[85:86]
	v_add_f64 v[43:44], v[43:44], -v[85:86]
	ds_read2_b64 v[85:88], v0 offset0:98 offset1:99
	s_waitcnt lgkmcnt(0)
	v_mul_f64 v[91:92], v[87:88], v[97:98]
	v_fma_f64 v[91:92], v[85:86], v[125:126], -v[91:92]
	v_mul_f64 v[85:86], v[85:86], v[97:98]
	v_add_f64 v[37:38], v[37:38], -v[91:92]
	v_fma_f64 v[85:86], v[87:88], v[125:126], v[85:86]
	v_add_f64 v[39:40], v[39:40], -v[85:86]
	ds_read2_b64 v[85:88], v0 offset0:100 offset1:101
	s_waitcnt lgkmcnt(0)
	v_mul_f64 v[91:92], v[87:88], v[97:98]
	v_fma_f64 v[91:92], v[85:86], v[125:126], -v[91:92]
	v_mul_f64 v[85:86], v[85:86], v[97:98]
	v_add_f64 v[33:34], v[33:34], -v[91:92]
	v_fma_f64 v[85:86], v[87:88], v[125:126], v[85:86]
	v_add_f64 v[35:36], v[35:36], -v[85:86]
	ds_read2_b64 v[85:88], v0 offset0:102 offset1:103
	s_waitcnt lgkmcnt(0)
	v_mul_f64 v[91:92], v[87:88], v[97:98]
	v_fma_f64 v[91:92], v[85:86], v[125:126], -v[91:92]
	v_mul_f64 v[85:86], v[85:86], v[97:98]
	v_add_f64 v[29:30], v[29:30], -v[91:92]
	v_fma_f64 v[85:86], v[87:88], v[125:126], v[85:86]
	v_add_f64 v[31:32], v[31:32], -v[85:86]
	ds_read2_b64 v[85:88], v0 offset0:104 offset1:105
	s_waitcnt lgkmcnt(0)
	v_mul_f64 v[91:92], v[87:88], v[97:98]
	v_fma_f64 v[91:92], v[85:86], v[125:126], -v[91:92]
	v_mul_f64 v[85:86], v[85:86], v[97:98]
	v_add_f64 v[25:26], v[25:26], -v[91:92]
	v_fma_f64 v[85:86], v[87:88], v[125:126], v[85:86]
	v_add_f64 v[27:28], v[27:28], -v[85:86]
	ds_read2_b64 v[85:88], v0 offset0:106 offset1:107
	s_waitcnt lgkmcnt(0)
	v_mul_f64 v[91:92], v[87:88], v[97:98]
	v_fma_f64 v[91:92], v[85:86], v[125:126], -v[91:92]
	v_mul_f64 v[85:86], v[85:86], v[97:98]
	v_add_f64 v[21:22], v[21:22], -v[91:92]
	v_fma_f64 v[85:86], v[87:88], v[125:126], v[85:86]
	v_add_f64 v[23:24], v[23:24], -v[85:86]
	ds_read2_b64 v[85:88], v0 offset0:108 offset1:109
	s_waitcnt lgkmcnt(0)
	v_mul_f64 v[91:92], v[87:88], v[97:98]
	v_fma_f64 v[91:92], v[85:86], v[125:126], -v[91:92]
	v_mul_f64 v[85:86], v[85:86], v[97:98]
	v_add_f64 v[17:18], v[17:18], -v[91:92]
	v_fma_f64 v[85:86], v[87:88], v[125:126], v[85:86]
	v_add_f64 v[19:20], v[19:20], -v[85:86]
	ds_read2_b64 v[85:88], v0 offset0:110 offset1:111
	s_waitcnt lgkmcnt(0)
	v_mul_f64 v[91:92], v[87:88], v[97:98]
	v_fma_f64 v[91:92], v[85:86], v[125:126], -v[91:92]
	v_mul_f64 v[85:86], v[85:86], v[97:98]
	v_add_f64 v[13:14], v[13:14], -v[91:92]
	v_fma_f64 v[85:86], v[87:88], v[125:126], v[85:86]
	v_add_f64 v[15:16], v[15:16], -v[85:86]
	ds_read2_b64 v[85:88], v0 offset0:112 offset1:113
	s_waitcnt lgkmcnt(0)
	v_mul_f64 v[91:92], v[87:88], v[97:98]
	v_fma_f64 v[91:92], v[85:86], v[125:126], -v[91:92]
	v_mul_f64 v[85:86], v[85:86], v[97:98]
	v_add_f64 v[9:10], v[9:10], -v[91:92]
	v_fma_f64 v[85:86], v[87:88], v[125:126], v[85:86]
	v_add_f64 v[11:12], v[11:12], -v[85:86]
	ds_read2_b64 v[85:88], v0 offset0:114 offset1:115
	s_waitcnt lgkmcnt(0)
	v_mul_f64 v[91:92], v[87:88], v[97:98]
	v_fma_f64 v[91:92], v[85:86], v[125:126], -v[91:92]
	v_mul_f64 v[85:86], v[85:86], v[97:98]
	v_add_f64 v[5:6], v[5:6], -v[91:92]
	v_fma_f64 v[85:86], v[87:88], v[125:126], v[85:86]
	v_add_f64 v[7:8], v[7:8], -v[85:86]
	ds_read2_b64 v[85:88], v0 offset0:116 offset1:117
	s_waitcnt lgkmcnt(0)
	v_mul_f64 v[91:92], v[87:88], v[97:98]
	v_fma_f64 v[91:92], v[85:86], v[125:126], -v[91:92]
	v_mul_f64 v[85:86], v[85:86], v[97:98]
	v_add_f64 v[1:2], v[1:2], -v[91:92]
	v_fma_f64 v[85:86], v[87:88], v[125:126], v[85:86]
	v_add_f64 v[3:4], v[3:4], -v[85:86]
	ds_read2_b64 v[85:88], v0 offset0:118 offset1:119
	s_waitcnt lgkmcnt(0)
	v_mul_f64 v[91:92], v[87:88], v[97:98]
	v_fma_f64 v[91:92], v[85:86], v[125:126], -v[91:92]
	v_mul_f64 v[85:86], v[85:86], v[97:98]
	buffer_store_dword v95, off, s[24:27], 0 offset:256 ; 4-byte Folded Spill
	s_nop 0
	buffer_store_dword v96, off, s[24:27], 0 offset:260 ; 4-byte Folded Spill
	buffer_store_dword v97, off, s[24:27], 0 offset:264 ; 4-byte Folded Spill
	;; [unrolled: 1-line block ×3, first 2 shown]
	v_add_f64 v[121:122], v[121:122], -v[91:92]
	v_fma_f64 v[85:86], v[87:88], v[125:126], v[85:86]
	v_add_f64 v[123:124], v[123:124], -v[85:86]
.LBB118_419:
	s_or_b64 exec, exec, s[0:1]
	s_waitcnt vmcnt(0)
	s_barrier
	buffer_load_dword v91, off, s[24:27], 0 offset:240 ; 4-byte Folded Reload
	buffer_load_dword v92, off, s[24:27], 0 offset:244 ; 4-byte Folded Reload
	;; [unrolled: 1-line block ×4, first 2 shown]
	v_lshl_add_u32 v85, v89, 4, v0
	s_cmp_lt_i32 s3, 22
	s_waitcnt vmcnt(0)
	ds_write2_b64 v85, v[91:92], v[93:94] offset1:1
	s_waitcnt lgkmcnt(0)
	s_barrier
	ds_read2_b64 v[117:120], v0 offset0:40 offset1:41
	v_mov_b32_e32 v85, 20
	s_cbranch_scc1 .LBB118_422
; %bb.420:
	v_add_u32_e32 v86, 0x150, v0
	s_mov_b32 s0, 21
	v_mov_b32_e32 v85, 20
.LBB118_421:                            ; =>This Inner Loop Header: Depth=1
	s_waitcnt lgkmcnt(0)
	v_cmp_gt_f64_e32 vcc, 0, v[117:118]
	v_xor_b32_e32 v87, 0x80000000, v118
	ds_read2_b64 v[91:94], v86 offset1:1
	v_xor_b32_e32 v95, 0x80000000, v120
	v_add_u32_e32 v86, 16, v86
	s_waitcnt lgkmcnt(0)
	v_xor_b32_e32 v97, 0x80000000, v94
	v_cndmask_b32_e32 v88, v118, v87, vcc
	v_cmp_gt_f64_e32 vcc, 0, v[119:120]
	v_mov_b32_e32 v87, v117
	v_cndmask_b32_e32 v96, v120, v95, vcc
	v_cmp_gt_f64_e32 vcc, 0, v[91:92]
	v_mov_b32_e32 v95, v119
	v_add_f64 v[87:88], v[87:88], v[95:96]
	v_xor_b32_e32 v95, 0x80000000, v92
	v_cndmask_b32_e32 v96, v92, v95, vcc
	v_cmp_gt_f64_e32 vcc, 0, v[93:94]
	v_mov_b32_e32 v95, v91
	v_cndmask_b32_e32 v98, v94, v97, vcc
	v_mov_b32_e32 v97, v93
	v_add_f64 v[95:96], v[95:96], v[97:98]
	v_cmp_lt_f64_e32 vcc, v[87:88], v[95:96]
	v_mov_b32_e32 v87, s0
	s_add_i32 s0, s0, 1
	s_cmp_lg_u32 s3, s0
	v_cndmask_b32_e32 v118, v118, v92, vcc
	v_cndmask_b32_e32 v117, v117, v91, vcc
	;; [unrolled: 1-line block ×5, first 2 shown]
	s_cbranch_scc1 .LBB118_421
.LBB118_422:
	s_waitcnt lgkmcnt(0)
	v_cmp_eq_f64_e32 vcc, 0, v[117:118]
	v_cmp_eq_f64_e64 s[0:1], 0, v[119:120]
	s_and_b64 s[0:1], vcc, s[0:1]
	s_and_saveexec_b64 s[18:19], s[0:1]
	s_xor_b64 s[0:1], exec, s[18:19]
; %bb.423:
	v_cmp_ne_u32_e32 vcc, 0, v90
	v_cndmask_b32_e32 v90, 21, v90, vcc
; %bb.424:
	s_andn2_saveexec_b64 s[0:1], s[0:1]
	s_cbranch_execz .LBB118_430
; %bb.425:
	v_cmp_ngt_f64_e64 s[18:19], |v[117:118]|, |v[119:120]|
	s_and_saveexec_b64 s[20:21], s[18:19]
	s_xor_b64 s[18:19], exec, s[20:21]
	s_cbranch_execz .LBB118_427
; %bb.426:
	v_div_scale_f64 v[86:87], s[20:21], v[119:120], v[119:120], v[117:118]
	v_rcp_f64_e32 v[91:92], v[86:87]
	v_fma_f64 v[93:94], -v[86:87], v[91:92], 1.0
	v_fma_f64 v[91:92], v[91:92], v[93:94], v[91:92]
	v_div_scale_f64 v[93:94], vcc, v[117:118], v[119:120], v[117:118]
	v_fma_f64 v[95:96], -v[86:87], v[91:92], 1.0
	v_fma_f64 v[91:92], v[91:92], v[95:96], v[91:92]
	v_mul_f64 v[95:96], v[93:94], v[91:92]
	v_fma_f64 v[86:87], -v[86:87], v[95:96], v[93:94]
	v_div_fmas_f64 v[86:87], v[86:87], v[91:92], v[95:96]
	v_div_fixup_f64 v[86:87], v[86:87], v[119:120], v[117:118]
	v_fma_f64 v[91:92], v[117:118], v[86:87], v[119:120]
	v_div_scale_f64 v[93:94], s[20:21], v[91:92], v[91:92], 1.0
	v_div_scale_f64 v[99:100], vcc, 1.0, v[91:92], 1.0
	v_rcp_f64_e32 v[95:96], v[93:94]
	v_fma_f64 v[97:98], -v[93:94], v[95:96], 1.0
	v_fma_f64 v[95:96], v[95:96], v[97:98], v[95:96]
	v_fma_f64 v[97:98], -v[93:94], v[95:96], 1.0
	v_fma_f64 v[95:96], v[95:96], v[97:98], v[95:96]
	v_mul_f64 v[97:98], v[99:100], v[95:96]
	v_fma_f64 v[93:94], -v[93:94], v[97:98], v[99:100]
	v_div_fmas_f64 v[93:94], v[93:94], v[95:96], v[97:98]
	v_div_fixup_f64 v[119:120], v[93:94], v[91:92], 1.0
	v_mul_f64 v[117:118], v[86:87], v[119:120]
	v_xor_b32_e32 v120, 0x80000000, v120
.LBB118_427:
	s_andn2_saveexec_b64 s[18:19], s[18:19]
	s_cbranch_execz .LBB118_429
; %bb.428:
	v_div_scale_f64 v[86:87], s[20:21], v[117:118], v[117:118], v[119:120]
	v_rcp_f64_e32 v[91:92], v[86:87]
	v_fma_f64 v[93:94], -v[86:87], v[91:92], 1.0
	v_fma_f64 v[91:92], v[91:92], v[93:94], v[91:92]
	v_div_scale_f64 v[93:94], vcc, v[119:120], v[117:118], v[119:120]
	v_fma_f64 v[95:96], -v[86:87], v[91:92], 1.0
	v_fma_f64 v[91:92], v[91:92], v[95:96], v[91:92]
	v_mul_f64 v[95:96], v[93:94], v[91:92]
	v_fma_f64 v[86:87], -v[86:87], v[95:96], v[93:94]
	v_div_fmas_f64 v[86:87], v[86:87], v[91:92], v[95:96]
	v_div_fixup_f64 v[86:87], v[86:87], v[117:118], v[119:120]
	v_fma_f64 v[91:92], v[119:120], v[86:87], v[117:118]
	v_div_scale_f64 v[93:94], s[20:21], v[91:92], v[91:92], 1.0
	v_div_scale_f64 v[99:100], vcc, 1.0, v[91:92], 1.0
	v_rcp_f64_e32 v[95:96], v[93:94]
	v_fma_f64 v[97:98], -v[93:94], v[95:96], 1.0
	v_fma_f64 v[95:96], v[95:96], v[97:98], v[95:96]
	v_fma_f64 v[97:98], -v[93:94], v[95:96], 1.0
	v_fma_f64 v[95:96], v[95:96], v[97:98], v[95:96]
	v_mul_f64 v[97:98], v[99:100], v[95:96]
	v_fma_f64 v[93:94], -v[93:94], v[97:98], v[99:100]
	v_div_fmas_f64 v[93:94], v[93:94], v[95:96], v[97:98]
	v_div_fixup_f64 v[117:118], v[93:94], v[91:92], 1.0
	v_mul_f64 v[119:120], v[86:87], -v[117:118]
.LBB118_429:
	s_or_b64 exec, exec, s[18:19]
.LBB118_430:
	s_or_b64 exec, exec, s[0:1]
	v_cmp_ne_u32_e32 vcc, v89, v85
	s_and_saveexec_b64 s[0:1], vcc
	s_xor_b64 s[0:1], exec, s[0:1]
	s_cbranch_execz .LBB118_436
; %bb.431:
	v_cmp_eq_u32_e32 vcc, 20, v89
	s_and_saveexec_b64 s[18:19], vcc
	s_cbranch_execz .LBB118_435
; %bb.432:
	v_cmp_ne_u32_e32 vcc, 20, v85
	s_xor_b64 s[20:21], s[6:7], -1
	s_and_b64 s[22:23], s[20:21], vcc
	s_and_saveexec_b64 s[20:21], s[22:23]
	s_cbranch_execz .LBB118_434
; %bb.433:
	v_ashrrev_i32_e32 v86, 31, v85
	v_lshlrev_b64 v[86:87], 2, v[85:86]
	v_add_co_u32_e32 v86, vcc, v107, v86
	v_addc_co_u32_e32 v87, vcc, v108, v87, vcc
	global_load_dword v88, v[86:87], off
	global_load_dword v89, v[107:108], off offset:80
	s_waitcnt vmcnt(1)
	global_store_dword v[107:108], v88, off offset:80
	s_waitcnt vmcnt(1)
	global_store_dword v[86:87], v89, off
.LBB118_434:
	s_or_b64 exec, exec, s[20:21]
	v_mov_b32_e32 v89, v85
	v_mov_b32_e32 v127, v85
.LBB118_435:
	s_or_b64 exec, exec, s[18:19]
.LBB118_436:
	s_andn2_saveexec_b64 s[0:1], s[0:1]
	s_cbranch_execz .LBB118_438
; %bb.437:
	buffer_load_dword v85, off, s[24:27], 0 offset:224 ; 4-byte Folded Reload
	buffer_load_dword v86, off, s[24:27], 0 offset:228 ; 4-byte Folded Reload
	;; [unrolled: 1-line block ×4, first 2 shown]
	v_mov_b32_e32 v89, 20
	s_waitcnt vmcnt(0)
	ds_write2_b64 v0, v[85:86], v[87:88] offset0:42 offset1:43
	buffer_load_dword v85, off, s[24:27], 0 offset:208 ; 4-byte Folded Reload
	buffer_load_dword v86, off, s[24:27], 0 offset:212 ; 4-byte Folded Reload
	buffer_load_dword v87, off, s[24:27], 0 offset:216 ; 4-byte Folded Reload
	buffer_load_dword v88, off, s[24:27], 0 offset:220 ; 4-byte Folded Reload
	s_waitcnt vmcnt(0)
	ds_write2_b64 v0, v[85:86], v[87:88] offset0:44 offset1:45
	buffer_load_dword v85, off, s[24:27], 0 offset:192 ; 4-byte Folded Reload
	buffer_load_dword v86, off, s[24:27], 0 offset:196 ; 4-byte Folded Reload
	buffer_load_dword v87, off, s[24:27], 0 offset:200 ; 4-byte Folded Reload
	buffer_load_dword v88, off, s[24:27], 0 offset:204 ; 4-byte Folded Reload
	;; [unrolled: 6-line block ×13, first 2 shown]
	s_waitcnt vmcnt(0)
	ds_write2_b64 v0, v[85:86], v[87:88] offset0:68 offset1:69
	buffer_load_dword v85, off, s[24:27], 0 ; 4-byte Folded Reload
	buffer_load_dword v86, off, s[24:27], 0 offset:4 ; 4-byte Folded Reload
	buffer_load_dword v87, off, s[24:27], 0 offset:8 ; 4-byte Folded Reload
	;; [unrolled: 1-line block ×3, first 2 shown]
	s_waitcnt vmcnt(0)
	ds_write2_b64 v0, v[85:86], v[87:88] offset0:70 offset1:71
	ds_write2_b64 v0, v[113:114], v[115:116] offset0:72 offset1:73
	;; [unrolled: 1-line block ×25, first 2 shown]
.LBB118_438:
	s_or_b64 exec, exec, s[0:1]
	v_cmp_lt_i32_e32 vcc, 20, v89
	s_waitcnt vmcnt(0) lgkmcnt(0)
	s_barrier
	s_and_saveexec_b64 s[0:1], vcc
	s_cbranch_execz .LBB118_440
; %bb.439:
	buffer_load_dword v95, off, s[24:27], 0 offset:240 ; 4-byte Folded Reload
	buffer_load_dword v96, off, s[24:27], 0 offset:244 ; 4-byte Folded Reload
	;; [unrolled: 1-line block ×4, first 2 shown]
	s_waitcnt vmcnt(0)
	v_mul_f64 v[85:86], v[119:120], v[97:98]
	v_fma_f64 v[125:126], v[117:118], v[95:96], -v[85:86]
	v_mul_f64 v[85:86], v[117:118], v[97:98]
	v_fma_f64 v[97:98], v[119:120], v[95:96], v[85:86]
	ds_read2_b64 v[85:88], v0 offset0:42 offset1:43
	buffer_load_dword v93, off, s[24:27], 0 offset:224 ; 4-byte Folded Reload
	buffer_load_dword v94, off, s[24:27], 0 offset:228 ; 4-byte Folded Reload
	buffer_load_dword v95, off, s[24:27], 0 offset:232 ; 4-byte Folded Reload
	buffer_load_dword v96, off, s[24:27], 0 offset:236 ; 4-byte Folded Reload
	s_waitcnt lgkmcnt(0)
	v_mul_f64 v[91:92], v[87:88], v[97:98]
	v_fma_f64 v[91:92], v[85:86], v[125:126], -v[91:92]
	v_mul_f64 v[85:86], v[85:86], v[97:98]
	v_fma_f64 v[85:86], v[87:88], v[125:126], v[85:86]
	s_waitcnt vmcnt(2)
	v_add_f64 v[93:94], v[93:94], -v[91:92]
	s_waitcnt vmcnt(0)
	v_add_f64 v[95:96], v[95:96], -v[85:86]
	buffer_store_dword v93, off, s[24:27], 0 offset:224 ; 4-byte Folded Spill
	s_nop 0
	buffer_store_dword v94, off, s[24:27], 0 offset:228 ; 4-byte Folded Spill
	buffer_store_dword v95, off, s[24:27], 0 offset:232 ; 4-byte Folded Spill
	buffer_store_dword v96, off, s[24:27], 0 offset:236 ; 4-byte Folded Spill
	ds_read2_b64 v[85:88], v0 offset0:44 offset1:45
	buffer_load_dword v93, off, s[24:27], 0 offset:208 ; 4-byte Folded Reload
	buffer_load_dword v94, off, s[24:27], 0 offset:212 ; 4-byte Folded Reload
	buffer_load_dword v95, off, s[24:27], 0 offset:216 ; 4-byte Folded Reload
	buffer_load_dword v96, off, s[24:27], 0 offset:220 ; 4-byte Folded Reload
	s_waitcnt lgkmcnt(0)
	v_mul_f64 v[91:92], v[87:88], v[97:98]
	v_fma_f64 v[91:92], v[85:86], v[125:126], -v[91:92]
	v_mul_f64 v[85:86], v[85:86], v[97:98]
	v_fma_f64 v[85:86], v[87:88], v[125:126], v[85:86]
	s_waitcnt vmcnt(2)
	v_add_f64 v[93:94], v[93:94], -v[91:92]
	s_waitcnt vmcnt(0)
	v_add_f64 v[95:96], v[95:96], -v[85:86]
	buffer_store_dword v93, off, s[24:27], 0 offset:208 ; 4-byte Folded Spill
	s_nop 0
	buffer_store_dword v94, off, s[24:27], 0 offset:212 ; 4-byte Folded Spill
	buffer_store_dword v95, off, s[24:27], 0 offset:216 ; 4-byte Folded Spill
	buffer_store_dword v96, off, s[24:27], 0 offset:220 ; 4-byte Folded Spill
	;; [unrolled: 19-line block ×14, first 2 shown]
	ds_read2_b64 v[85:88], v0 offset0:70 offset1:71
	buffer_load_dword v93, off, s[24:27], 0 ; 4-byte Folded Reload
	buffer_load_dword v94, off, s[24:27], 0 offset:4 ; 4-byte Folded Reload
	buffer_load_dword v95, off, s[24:27], 0 offset:8 ; 4-byte Folded Reload
	;; [unrolled: 1-line block ×3, first 2 shown]
	s_waitcnt lgkmcnt(0)
	v_mul_f64 v[91:92], v[87:88], v[97:98]
	v_fma_f64 v[91:92], v[85:86], v[125:126], -v[91:92]
	v_mul_f64 v[85:86], v[85:86], v[97:98]
	v_fma_f64 v[85:86], v[87:88], v[125:126], v[85:86]
	s_waitcnt vmcnt(2)
	v_add_f64 v[93:94], v[93:94], -v[91:92]
	s_waitcnt vmcnt(0)
	v_add_f64 v[95:96], v[95:96], -v[85:86]
	buffer_store_dword v93, off, s[24:27], 0 ; 4-byte Folded Spill
	s_nop 0
	buffer_store_dword v94, off, s[24:27], 0 offset:4 ; 4-byte Folded Spill
	buffer_store_dword v95, off, s[24:27], 0 offset:8 ; 4-byte Folded Spill
	;; [unrolled: 1-line block ×3, first 2 shown]
	ds_read2_b64 v[85:88], v0 offset0:72 offset1:73
	v_mov_b32_e32 v95, v125
	v_mov_b32_e32 v96, v126
	s_waitcnt lgkmcnt(0)
	v_mul_f64 v[91:92], v[87:88], v[97:98]
	v_fma_f64 v[91:92], v[85:86], v[125:126], -v[91:92]
	v_mul_f64 v[85:86], v[85:86], v[97:98]
	v_add_f64 v[113:114], v[113:114], -v[91:92]
	v_fma_f64 v[85:86], v[87:88], v[125:126], v[85:86]
	v_add_f64 v[115:116], v[115:116], -v[85:86]
	ds_read2_b64 v[85:88], v0 offset0:74 offset1:75
	s_waitcnt lgkmcnt(0)
	v_mul_f64 v[91:92], v[87:88], v[97:98]
	v_fma_f64 v[91:92], v[85:86], v[125:126], -v[91:92]
	v_mul_f64 v[85:86], v[85:86], v[97:98]
	v_add_f64 v[109:110], v[109:110], -v[91:92]
	v_fma_f64 v[85:86], v[87:88], v[125:126], v[85:86]
	v_add_f64 v[111:112], v[111:112], -v[85:86]
	ds_read2_b64 v[85:88], v0 offset0:76 offset1:77
	;; [unrolled: 8-line block ×23, first 2 shown]
	s_waitcnt lgkmcnt(0)
	v_mul_f64 v[91:92], v[87:88], v[97:98]
	v_fma_f64 v[91:92], v[85:86], v[125:126], -v[91:92]
	v_mul_f64 v[85:86], v[85:86], v[97:98]
	buffer_store_dword v95, off, s[24:27], 0 offset:240 ; 4-byte Folded Spill
	s_nop 0
	buffer_store_dword v96, off, s[24:27], 0 offset:244 ; 4-byte Folded Spill
	buffer_store_dword v97, off, s[24:27], 0 offset:248 ; 4-byte Folded Spill
	;; [unrolled: 1-line block ×3, first 2 shown]
	v_add_f64 v[121:122], v[121:122], -v[91:92]
	v_fma_f64 v[85:86], v[87:88], v[125:126], v[85:86]
	v_add_f64 v[123:124], v[123:124], -v[85:86]
.LBB118_440:
	s_or_b64 exec, exec, s[0:1]
	s_waitcnt vmcnt(0)
	s_barrier
	buffer_load_dword v91, off, s[24:27], 0 offset:224 ; 4-byte Folded Reload
	buffer_load_dword v92, off, s[24:27], 0 offset:228 ; 4-byte Folded Reload
	;; [unrolled: 1-line block ×4, first 2 shown]
	v_lshl_add_u32 v85, v89, 4, v0
	s_cmp_lt_i32 s3, 23
	s_waitcnt vmcnt(0)
	ds_write2_b64 v85, v[91:92], v[93:94] offset1:1
	s_waitcnt lgkmcnt(0)
	s_barrier
	ds_read2_b64 v[117:120], v0 offset0:42 offset1:43
	v_mov_b32_e32 v85, 21
	s_cbranch_scc1 .LBB118_443
; %bb.441:
	v_add_u32_e32 v86, 0x160, v0
	s_mov_b32 s0, 22
	v_mov_b32_e32 v85, 21
.LBB118_442:                            ; =>This Inner Loop Header: Depth=1
	s_waitcnt lgkmcnt(0)
	v_cmp_gt_f64_e32 vcc, 0, v[117:118]
	v_xor_b32_e32 v87, 0x80000000, v118
	ds_read2_b64 v[91:94], v86 offset1:1
	v_xor_b32_e32 v95, 0x80000000, v120
	v_add_u32_e32 v86, 16, v86
	s_waitcnt lgkmcnt(0)
	v_xor_b32_e32 v97, 0x80000000, v94
	v_cndmask_b32_e32 v88, v118, v87, vcc
	v_cmp_gt_f64_e32 vcc, 0, v[119:120]
	v_mov_b32_e32 v87, v117
	v_cndmask_b32_e32 v96, v120, v95, vcc
	v_cmp_gt_f64_e32 vcc, 0, v[91:92]
	v_mov_b32_e32 v95, v119
	v_add_f64 v[87:88], v[87:88], v[95:96]
	v_xor_b32_e32 v95, 0x80000000, v92
	v_cndmask_b32_e32 v96, v92, v95, vcc
	v_cmp_gt_f64_e32 vcc, 0, v[93:94]
	v_mov_b32_e32 v95, v91
	v_cndmask_b32_e32 v98, v94, v97, vcc
	v_mov_b32_e32 v97, v93
	v_add_f64 v[95:96], v[95:96], v[97:98]
	v_cmp_lt_f64_e32 vcc, v[87:88], v[95:96]
	v_mov_b32_e32 v87, s0
	s_add_i32 s0, s0, 1
	s_cmp_lg_u32 s3, s0
	v_cndmask_b32_e32 v118, v118, v92, vcc
	v_cndmask_b32_e32 v117, v117, v91, vcc
	v_cndmask_b32_e32 v120, v120, v94, vcc
	v_cndmask_b32_e32 v119, v119, v93, vcc
	v_cndmask_b32_e32 v85, v85, v87, vcc
	s_cbranch_scc1 .LBB118_442
.LBB118_443:
	s_waitcnt lgkmcnt(0)
	v_cmp_eq_f64_e32 vcc, 0, v[117:118]
	v_cmp_eq_f64_e64 s[0:1], 0, v[119:120]
	s_and_b64 s[0:1], vcc, s[0:1]
	s_and_saveexec_b64 s[18:19], s[0:1]
	s_xor_b64 s[0:1], exec, s[18:19]
; %bb.444:
	v_cmp_ne_u32_e32 vcc, 0, v90
	v_cndmask_b32_e32 v90, 22, v90, vcc
; %bb.445:
	s_andn2_saveexec_b64 s[0:1], s[0:1]
	s_cbranch_execz .LBB118_451
; %bb.446:
	v_cmp_ngt_f64_e64 s[18:19], |v[117:118]|, |v[119:120]|
	s_and_saveexec_b64 s[20:21], s[18:19]
	s_xor_b64 s[18:19], exec, s[20:21]
	s_cbranch_execz .LBB118_448
; %bb.447:
	v_div_scale_f64 v[86:87], s[20:21], v[119:120], v[119:120], v[117:118]
	v_rcp_f64_e32 v[91:92], v[86:87]
	v_fma_f64 v[93:94], -v[86:87], v[91:92], 1.0
	v_fma_f64 v[91:92], v[91:92], v[93:94], v[91:92]
	v_div_scale_f64 v[93:94], vcc, v[117:118], v[119:120], v[117:118]
	v_fma_f64 v[95:96], -v[86:87], v[91:92], 1.0
	v_fma_f64 v[91:92], v[91:92], v[95:96], v[91:92]
	v_mul_f64 v[95:96], v[93:94], v[91:92]
	v_fma_f64 v[86:87], -v[86:87], v[95:96], v[93:94]
	v_div_fmas_f64 v[86:87], v[86:87], v[91:92], v[95:96]
	v_div_fixup_f64 v[86:87], v[86:87], v[119:120], v[117:118]
	v_fma_f64 v[91:92], v[117:118], v[86:87], v[119:120]
	v_div_scale_f64 v[93:94], s[20:21], v[91:92], v[91:92], 1.0
	v_div_scale_f64 v[99:100], vcc, 1.0, v[91:92], 1.0
	v_rcp_f64_e32 v[95:96], v[93:94]
	v_fma_f64 v[97:98], -v[93:94], v[95:96], 1.0
	v_fma_f64 v[95:96], v[95:96], v[97:98], v[95:96]
	v_fma_f64 v[97:98], -v[93:94], v[95:96], 1.0
	v_fma_f64 v[95:96], v[95:96], v[97:98], v[95:96]
	v_mul_f64 v[97:98], v[99:100], v[95:96]
	v_fma_f64 v[93:94], -v[93:94], v[97:98], v[99:100]
	v_div_fmas_f64 v[93:94], v[93:94], v[95:96], v[97:98]
	v_div_fixup_f64 v[119:120], v[93:94], v[91:92], 1.0
	v_mul_f64 v[117:118], v[86:87], v[119:120]
	v_xor_b32_e32 v120, 0x80000000, v120
.LBB118_448:
	s_andn2_saveexec_b64 s[18:19], s[18:19]
	s_cbranch_execz .LBB118_450
; %bb.449:
	v_div_scale_f64 v[86:87], s[20:21], v[117:118], v[117:118], v[119:120]
	v_rcp_f64_e32 v[91:92], v[86:87]
	v_fma_f64 v[93:94], -v[86:87], v[91:92], 1.0
	v_fma_f64 v[91:92], v[91:92], v[93:94], v[91:92]
	v_div_scale_f64 v[93:94], vcc, v[119:120], v[117:118], v[119:120]
	v_fma_f64 v[95:96], -v[86:87], v[91:92], 1.0
	v_fma_f64 v[91:92], v[91:92], v[95:96], v[91:92]
	v_mul_f64 v[95:96], v[93:94], v[91:92]
	v_fma_f64 v[86:87], -v[86:87], v[95:96], v[93:94]
	v_div_fmas_f64 v[86:87], v[86:87], v[91:92], v[95:96]
	v_div_fixup_f64 v[86:87], v[86:87], v[117:118], v[119:120]
	v_fma_f64 v[91:92], v[119:120], v[86:87], v[117:118]
	v_div_scale_f64 v[93:94], s[20:21], v[91:92], v[91:92], 1.0
	v_div_scale_f64 v[99:100], vcc, 1.0, v[91:92], 1.0
	v_rcp_f64_e32 v[95:96], v[93:94]
	v_fma_f64 v[97:98], -v[93:94], v[95:96], 1.0
	v_fma_f64 v[95:96], v[95:96], v[97:98], v[95:96]
	v_fma_f64 v[97:98], -v[93:94], v[95:96], 1.0
	v_fma_f64 v[95:96], v[95:96], v[97:98], v[95:96]
	v_mul_f64 v[97:98], v[99:100], v[95:96]
	v_fma_f64 v[93:94], -v[93:94], v[97:98], v[99:100]
	v_div_fmas_f64 v[93:94], v[93:94], v[95:96], v[97:98]
	v_div_fixup_f64 v[117:118], v[93:94], v[91:92], 1.0
	v_mul_f64 v[119:120], v[86:87], -v[117:118]
.LBB118_450:
	s_or_b64 exec, exec, s[18:19]
.LBB118_451:
	s_or_b64 exec, exec, s[0:1]
	v_cmp_ne_u32_e32 vcc, v89, v85
	s_and_saveexec_b64 s[0:1], vcc
	s_xor_b64 s[0:1], exec, s[0:1]
	s_cbranch_execz .LBB118_457
; %bb.452:
	v_cmp_eq_u32_e32 vcc, 21, v89
	s_and_saveexec_b64 s[18:19], vcc
	s_cbranch_execz .LBB118_456
; %bb.453:
	v_cmp_ne_u32_e32 vcc, 21, v85
	s_xor_b64 s[20:21], s[6:7], -1
	s_and_b64 s[22:23], s[20:21], vcc
	s_and_saveexec_b64 s[20:21], s[22:23]
	s_cbranch_execz .LBB118_455
; %bb.454:
	v_ashrrev_i32_e32 v86, 31, v85
	v_lshlrev_b64 v[86:87], 2, v[85:86]
	v_add_co_u32_e32 v86, vcc, v107, v86
	v_addc_co_u32_e32 v87, vcc, v108, v87, vcc
	global_load_dword v88, v[86:87], off
	global_load_dword v89, v[107:108], off offset:84
	s_waitcnt vmcnt(1)
	global_store_dword v[107:108], v88, off offset:84
	s_waitcnt vmcnt(1)
	global_store_dword v[86:87], v89, off
.LBB118_455:
	s_or_b64 exec, exec, s[20:21]
	v_mov_b32_e32 v89, v85
	v_mov_b32_e32 v127, v85
.LBB118_456:
	s_or_b64 exec, exec, s[18:19]
.LBB118_457:
	s_andn2_saveexec_b64 s[0:1], s[0:1]
	s_cbranch_execz .LBB118_459
; %bb.458:
	buffer_load_dword v85, off, s[24:27], 0 offset:208 ; 4-byte Folded Reload
	buffer_load_dword v86, off, s[24:27], 0 offset:212 ; 4-byte Folded Reload
	;; [unrolled: 1-line block ×4, first 2 shown]
	v_mov_b32_e32 v89, 21
	s_waitcnt vmcnt(0)
	ds_write2_b64 v0, v[85:86], v[87:88] offset0:44 offset1:45
	buffer_load_dword v85, off, s[24:27], 0 offset:192 ; 4-byte Folded Reload
	buffer_load_dword v86, off, s[24:27], 0 offset:196 ; 4-byte Folded Reload
	buffer_load_dword v87, off, s[24:27], 0 offset:200 ; 4-byte Folded Reload
	buffer_load_dword v88, off, s[24:27], 0 offset:204 ; 4-byte Folded Reload
	s_waitcnt vmcnt(0)
	ds_write2_b64 v0, v[85:86], v[87:88] offset0:46 offset1:47
	buffer_load_dword v85, off, s[24:27], 0 offset:176 ; 4-byte Folded Reload
	buffer_load_dword v86, off, s[24:27], 0 offset:180 ; 4-byte Folded Reload
	buffer_load_dword v87, off, s[24:27], 0 offset:184 ; 4-byte Folded Reload
	buffer_load_dword v88, off, s[24:27], 0 offset:188 ; 4-byte Folded Reload
	;; [unrolled: 6-line block ×12, first 2 shown]
	s_waitcnt vmcnt(0)
	ds_write2_b64 v0, v[85:86], v[87:88] offset0:68 offset1:69
	buffer_load_dword v85, off, s[24:27], 0 ; 4-byte Folded Reload
	buffer_load_dword v86, off, s[24:27], 0 offset:4 ; 4-byte Folded Reload
	buffer_load_dword v87, off, s[24:27], 0 offset:8 ; 4-byte Folded Reload
	;; [unrolled: 1-line block ×3, first 2 shown]
	s_waitcnt vmcnt(0)
	ds_write2_b64 v0, v[85:86], v[87:88] offset0:70 offset1:71
	ds_write2_b64 v0, v[113:114], v[115:116] offset0:72 offset1:73
	;; [unrolled: 1-line block ×25, first 2 shown]
.LBB118_459:
	s_or_b64 exec, exec, s[0:1]
	v_cmp_lt_i32_e32 vcc, 21, v89
	s_waitcnt vmcnt(0) lgkmcnt(0)
	s_barrier
	s_and_saveexec_b64 s[0:1], vcc
	s_cbranch_execz .LBB118_461
; %bb.460:
	buffer_load_dword v95, off, s[24:27], 0 offset:224 ; 4-byte Folded Reload
	buffer_load_dword v96, off, s[24:27], 0 offset:228 ; 4-byte Folded Reload
	;; [unrolled: 1-line block ×4, first 2 shown]
	s_waitcnt vmcnt(0)
	v_mul_f64 v[85:86], v[119:120], v[97:98]
	v_fma_f64 v[125:126], v[117:118], v[95:96], -v[85:86]
	v_mul_f64 v[85:86], v[117:118], v[97:98]
	v_fma_f64 v[97:98], v[119:120], v[95:96], v[85:86]
	ds_read2_b64 v[85:88], v0 offset0:44 offset1:45
	buffer_load_dword v93, off, s[24:27], 0 offset:208 ; 4-byte Folded Reload
	buffer_load_dword v94, off, s[24:27], 0 offset:212 ; 4-byte Folded Reload
	buffer_load_dword v95, off, s[24:27], 0 offset:216 ; 4-byte Folded Reload
	buffer_load_dword v96, off, s[24:27], 0 offset:220 ; 4-byte Folded Reload
	s_waitcnt lgkmcnt(0)
	v_mul_f64 v[91:92], v[87:88], v[97:98]
	v_fma_f64 v[91:92], v[85:86], v[125:126], -v[91:92]
	v_mul_f64 v[85:86], v[85:86], v[97:98]
	v_fma_f64 v[85:86], v[87:88], v[125:126], v[85:86]
	s_waitcnt vmcnt(2)
	v_add_f64 v[93:94], v[93:94], -v[91:92]
	s_waitcnt vmcnt(0)
	v_add_f64 v[95:96], v[95:96], -v[85:86]
	buffer_store_dword v93, off, s[24:27], 0 offset:208 ; 4-byte Folded Spill
	s_nop 0
	buffer_store_dword v94, off, s[24:27], 0 offset:212 ; 4-byte Folded Spill
	buffer_store_dword v95, off, s[24:27], 0 offset:216 ; 4-byte Folded Spill
	buffer_store_dword v96, off, s[24:27], 0 offset:220 ; 4-byte Folded Spill
	ds_read2_b64 v[85:88], v0 offset0:46 offset1:47
	buffer_load_dword v93, off, s[24:27], 0 offset:192 ; 4-byte Folded Reload
	buffer_load_dword v94, off, s[24:27], 0 offset:196 ; 4-byte Folded Reload
	buffer_load_dword v95, off, s[24:27], 0 offset:200 ; 4-byte Folded Reload
	buffer_load_dword v96, off, s[24:27], 0 offset:204 ; 4-byte Folded Reload
	s_waitcnt lgkmcnt(0)
	v_mul_f64 v[91:92], v[87:88], v[97:98]
	v_fma_f64 v[91:92], v[85:86], v[125:126], -v[91:92]
	v_mul_f64 v[85:86], v[85:86], v[97:98]
	v_fma_f64 v[85:86], v[87:88], v[125:126], v[85:86]
	s_waitcnt vmcnt(2)
	v_add_f64 v[93:94], v[93:94], -v[91:92]
	s_waitcnt vmcnt(0)
	v_add_f64 v[95:96], v[95:96], -v[85:86]
	buffer_store_dword v93, off, s[24:27], 0 offset:192 ; 4-byte Folded Spill
	s_nop 0
	buffer_store_dword v94, off, s[24:27], 0 offset:196 ; 4-byte Folded Spill
	buffer_store_dword v95, off, s[24:27], 0 offset:200 ; 4-byte Folded Spill
	buffer_store_dword v96, off, s[24:27], 0 offset:204 ; 4-byte Folded Spill
	;; [unrolled: 19-line block ×13, first 2 shown]
	ds_read2_b64 v[85:88], v0 offset0:70 offset1:71
	buffer_load_dword v93, off, s[24:27], 0 ; 4-byte Folded Reload
	buffer_load_dword v94, off, s[24:27], 0 offset:4 ; 4-byte Folded Reload
	buffer_load_dword v95, off, s[24:27], 0 offset:8 ; 4-byte Folded Reload
	;; [unrolled: 1-line block ×3, first 2 shown]
	s_waitcnt lgkmcnt(0)
	v_mul_f64 v[91:92], v[87:88], v[97:98]
	v_fma_f64 v[91:92], v[85:86], v[125:126], -v[91:92]
	v_mul_f64 v[85:86], v[85:86], v[97:98]
	v_fma_f64 v[85:86], v[87:88], v[125:126], v[85:86]
	s_waitcnt vmcnt(2)
	v_add_f64 v[93:94], v[93:94], -v[91:92]
	s_waitcnt vmcnt(0)
	v_add_f64 v[95:96], v[95:96], -v[85:86]
	buffer_store_dword v93, off, s[24:27], 0 ; 4-byte Folded Spill
	s_nop 0
	buffer_store_dword v94, off, s[24:27], 0 offset:4 ; 4-byte Folded Spill
	buffer_store_dword v95, off, s[24:27], 0 offset:8 ; 4-byte Folded Spill
	;; [unrolled: 1-line block ×3, first 2 shown]
	ds_read2_b64 v[85:88], v0 offset0:72 offset1:73
	v_mov_b32_e32 v95, v125
	v_mov_b32_e32 v96, v126
	s_waitcnt lgkmcnt(0)
	v_mul_f64 v[91:92], v[87:88], v[97:98]
	v_fma_f64 v[91:92], v[85:86], v[125:126], -v[91:92]
	v_mul_f64 v[85:86], v[85:86], v[97:98]
	v_add_f64 v[113:114], v[113:114], -v[91:92]
	v_fma_f64 v[85:86], v[87:88], v[125:126], v[85:86]
	v_add_f64 v[115:116], v[115:116], -v[85:86]
	ds_read2_b64 v[85:88], v0 offset0:74 offset1:75
	s_waitcnt lgkmcnt(0)
	v_mul_f64 v[91:92], v[87:88], v[97:98]
	v_fma_f64 v[91:92], v[85:86], v[125:126], -v[91:92]
	v_mul_f64 v[85:86], v[85:86], v[97:98]
	v_add_f64 v[109:110], v[109:110], -v[91:92]
	v_fma_f64 v[85:86], v[87:88], v[125:126], v[85:86]
	v_add_f64 v[111:112], v[111:112], -v[85:86]
	ds_read2_b64 v[85:88], v0 offset0:76 offset1:77
	;; [unrolled: 8-line block ×23, first 2 shown]
	s_waitcnt lgkmcnt(0)
	v_mul_f64 v[91:92], v[87:88], v[97:98]
	v_fma_f64 v[91:92], v[85:86], v[125:126], -v[91:92]
	v_mul_f64 v[85:86], v[85:86], v[97:98]
	buffer_store_dword v95, off, s[24:27], 0 offset:224 ; 4-byte Folded Spill
	s_nop 0
	buffer_store_dword v96, off, s[24:27], 0 offset:228 ; 4-byte Folded Spill
	buffer_store_dword v97, off, s[24:27], 0 offset:232 ; 4-byte Folded Spill
	;; [unrolled: 1-line block ×3, first 2 shown]
	v_add_f64 v[121:122], v[121:122], -v[91:92]
	v_fma_f64 v[85:86], v[87:88], v[125:126], v[85:86]
	v_add_f64 v[123:124], v[123:124], -v[85:86]
.LBB118_461:
	s_or_b64 exec, exec, s[0:1]
	s_waitcnt vmcnt(0)
	s_barrier
	buffer_load_dword v91, off, s[24:27], 0 offset:208 ; 4-byte Folded Reload
	buffer_load_dword v92, off, s[24:27], 0 offset:212 ; 4-byte Folded Reload
	;; [unrolled: 1-line block ×4, first 2 shown]
	v_lshl_add_u32 v85, v89, 4, v0
	s_cmp_lt_i32 s3, 24
	s_waitcnt vmcnt(0)
	ds_write2_b64 v85, v[91:92], v[93:94] offset1:1
	s_waitcnt lgkmcnt(0)
	s_barrier
	ds_read2_b64 v[117:120], v0 offset0:44 offset1:45
	v_mov_b32_e32 v85, 22
	s_cbranch_scc1 .LBB118_464
; %bb.462:
	v_add_u32_e32 v86, 0x170, v0
	s_mov_b32 s0, 23
	v_mov_b32_e32 v85, 22
.LBB118_463:                            ; =>This Inner Loop Header: Depth=1
	s_waitcnt lgkmcnt(0)
	v_cmp_gt_f64_e32 vcc, 0, v[117:118]
	v_xor_b32_e32 v87, 0x80000000, v118
	ds_read2_b64 v[91:94], v86 offset1:1
	v_xor_b32_e32 v95, 0x80000000, v120
	v_add_u32_e32 v86, 16, v86
	s_waitcnt lgkmcnt(0)
	v_xor_b32_e32 v97, 0x80000000, v94
	v_cndmask_b32_e32 v88, v118, v87, vcc
	v_cmp_gt_f64_e32 vcc, 0, v[119:120]
	v_mov_b32_e32 v87, v117
	v_cndmask_b32_e32 v96, v120, v95, vcc
	v_cmp_gt_f64_e32 vcc, 0, v[91:92]
	v_mov_b32_e32 v95, v119
	v_add_f64 v[87:88], v[87:88], v[95:96]
	v_xor_b32_e32 v95, 0x80000000, v92
	v_cndmask_b32_e32 v96, v92, v95, vcc
	v_cmp_gt_f64_e32 vcc, 0, v[93:94]
	v_mov_b32_e32 v95, v91
	v_cndmask_b32_e32 v98, v94, v97, vcc
	v_mov_b32_e32 v97, v93
	v_add_f64 v[95:96], v[95:96], v[97:98]
	v_cmp_lt_f64_e32 vcc, v[87:88], v[95:96]
	v_mov_b32_e32 v87, s0
	s_add_i32 s0, s0, 1
	s_cmp_lg_u32 s3, s0
	v_cndmask_b32_e32 v118, v118, v92, vcc
	v_cndmask_b32_e32 v117, v117, v91, vcc
	;; [unrolled: 1-line block ×5, first 2 shown]
	s_cbranch_scc1 .LBB118_463
.LBB118_464:
	s_waitcnt lgkmcnt(0)
	v_cmp_eq_f64_e32 vcc, 0, v[117:118]
	v_cmp_eq_f64_e64 s[0:1], 0, v[119:120]
	s_and_b64 s[0:1], vcc, s[0:1]
	s_and_saveexec_b64 s[18:19], s[0:1]
	s_xor_b64 s[0:1], exec, s[18:19]
; %bb.465:
	v_cmp_ne_u32_e32 vcc, 0, v90
	v_cndmask_b32_e32 v90, 23, v90, vcc
; %bb.466:
	s_andn2_saveexec_b64 s[0:1], s[0:1]
	s_cbranch_execz .LBB118_472
; %bb.467:
	v_cmp_ngt_f64_e64 s[18:19], |v[117:118]|, |v[119:120]|
	s_and_saveexec_b64 s[20:21], s[18:19]
	s_xor_b64 s[18:19], exec, s[20:21]
	s_cbranch_execz .LBB118_469
; %bb.468:
	v_div_scale_f64 v[86:87], s[20:21], v[119:120], v[119:120], v[117:118]
	v_rcp_f64_e32 v[91:92], v[86:87]
	v_fma_f64 v[93:94], -v[86:87], v[91:92], 1.0
	v_fma_f64 v[91:92], v[91:92], v[93:94], v[91:92]
	v_div_scale_f64 v[93:94], vcc, v[117:118], v[119:120], v[117:118]
	v_fma_f64 v[95:96], -v[86:87], v[91:92], 1.0
	v_fma_f64 v[91:92], v[91:92], v[95:96], v[91:92]
	v_mul_f64 v[95:96], v[93:94], v[91:92]
	v_fma_f64 v[86:87], -v[86:87], v[95:96], v[93:94]
	v_div_fmas_f64 v[86:87], v[86:87], v[91:92], v[95:96]
	v_div_fixup_f64 v[86:87], v[86:87], v[119:120], v[117:118]
	v_fma_f64 v[91:92], v[117:118], v[86:87], v[119:120]
	v_div_scale_f64 v[93:94], s[20:21], v[91:92], v[91:92], 1.0
	v_div_scale_f64 v[99:100], vcc, 1.0, v[91:92], 1.0
	v_rcp_f64_e32 v[95:96], v[93:94]
	v_fma_f64 v[97:98], -v[93:94], v[95:96], 1.0
	v_fma_f64 v[95:96], v[95:96], v[97:98], v[95:96]
	v_fma_f64 v[97:98], -v[93:94], v[95:96], 1.0
	v_fma_f64 v[95:96], v[95:96], v[97:98], v[95:96]
	v_mul_f64 v[97:98], v[99:100], v[95:96]
	v_fma_f64 v[93:94], -v[93:94], v[97:98], v[99:100]
	v_div_fmas_f64 v[93:94], v[93:94], v[95:96], v[97:98]
	v_div_fixup_f64 v[119:120], v[93:94], v[91:92], 1.0
	v_mul_f64 v[117:118], v[86:87], v[119:120]
	v_xor_b32_e32 v120, 0x80000000, v120
.LBB118_469:
	s_andn2_saveexec_b64 s[18:19], s[18:19]
	s_cbranch_execz .LBB118_471
; %bb.470:
	v_div_scale_f64 v[86:87], s[20:21], v[117:118], v[117:118], v[119:120]
	v_rcp_f64_e32 v[91:92], v[86:87]
	v_fma_f64 v[93:94], -v[86:87], v[91:92], 1.0
	v_fma_f64 v[91:92], v[91:92], v[93:94], v[91:92]
	v_div_scale_f64 v[93:94], vcc, v[119:120], v[117:118], v[119:120]
	v_fma_f64 v[95:96], -v[86:87], v[91:92], 1.0
	v_fma_f64 v[91:92], v[91:92], v[95:96], v[91:92]
	v_mul_f64 v[95:96], v[93:94], v[91:92]
	v_fma_f64 v[86:87], -v[86:87], v[95:96], v[93:94]
	v_div_fmas_f64 v[86:87], v[86:87], v[91:92], v[95:96]
	v_div_fixup_f64 v[86:87], v[86:87], v[117:118], v[119:120]
	v_fma_f64 v[91:92], v[119:120], v[86:87], v[117:118]
	v_div_scale_f64 v[93:94], s[20:21], v[91:92], v[91:92], 1.0
	v_div_scale_f64 v[99:100], vcc, 1.0, v[91:92], 1.0
	v_rcp_f64_e32 v[95:96], v[93:94]
	v_fma_f64 v[97:98], -v[93:94], v[95:96], 1.0
	v_fma_f64 v[95:96], v[95:96], v[97:98], v[95:96]
	v_fma_f64 v[97:98], -v[93:94], v[95:96], 1.0
	v_fma_f64 v[95:96], v[95:96], v[97:98], v[95:96]
	v_mul_f64 v[97:98], v[99:100], v[95:96]
	v_fma_f64 v[93:94], -v[93:94], v[97:98], v[99:100]
	v_div_fmas_f64 v[93:94], v[93:94], v[95:96], v[97:98]
	v_div_fixup_f64 v[117:118], v[93:94], v[91:92], 1.0
	v_mul_f64 v[119:120], v[86:87], -v[117:118]
.LBB118_471:
	s_or_b64 exec, exec, s[18:19]
.LBB118_472:
	s_or_b64 exec, exec, s[0:1]
	v_cmp_ne_u32_e32 vcc, v89, v85
	s_and_saveexec_b64 s[0:1], vcc
	s_xor_b64 s[0:1], exec, s[0:1]
	s_cbranch_execz .LBB118_478
; %bb.473:
	v_cmp_eq_u32_e32 vcc, 22, v89
	s_and_saveexec_b64 s[18:19], vcc
	s_cbranch_execz .LBB118_477
; %bb.474:
	v_cmp_ne_u32_e32 vcc, 22, v85
	s_xor_b64 s[20:21], s[6:7], -1
	s_and_b64 s[22:23], s[20:21], vcc
	s_and_saveexec_b64 s[20:21], s[22:23]
	s_cbranch_execz .LBB118_476
; %bb.475:
	v_ashrrev_i32_e32 v86, 31, v85
	v_lshlrev_b64 v[86:87], 2, v[85:86]
	v_add_co_u32_e32 v86, vcc, v107, v86
	v_addc_co_u32_e32 v87, vcc, v108, v87, vcc
	global_load_dword v88, v[86:87], off
	global_load_dword v89, v[107:108], off offset:88
	s_waitcnt vmcnt(1)
	global_store_dword v[107:108], v88, off offset:88
	s_waitcnt vmcnt(1)
	global_store_dword v[86:87], v89, off
.LBB118_476:
	s_or_b64 exec, exec, s[20:21]
	v_mov_b32_e32 v89, v85
	v_mov_b32_e32 v127, v85
.LBB118_477:
	s_or_b64 exec, exec, s[18:19]
.LBB118_478:
	s_andn2_saveexec_b64 s[0:1], s[0:1]
	s_cbranch_execz .LBB118_480
; %bb.479:
	buffer_load_dword v85, off, s[24:27], 0 offset:192 ; 4-byte Folded Reload
	buffer_load_dword v86, off, s[24:27], 0 offset:196 ; 4-byte Folded Reload
	;; [unrolled: 1-line block ×4, first 2 shown]
	v_mov_b32_e32 v89, 22
	s_waitcnt vmcnt(0)
	ds_write2_b64 v0, v[85:86], v[87:88] offset0:46 offset1:47
	buffer_load_dword v85, off, s[24:27], 0 offset:176 ; 4-byte Folded Reload
	buffer_load_dword v86, off, s[24:27], 0 offset:180 ; 4-byte Folded Reload
	buffer_load_dword v87, off, s[24:27], 0 offset:184 ; 4-byte Folded Reload
	buffer_load_dword v88, off, s[24:27], 0 offset:188 ; 4-byte Folded Reload
	s_waitcnt vmcnt(0)
	ds_write2_b64 v0, v[85:86], v[87:88] offset0:48 offset1:49
	buffer_load_dword v85, off, s[24:27], 0 offset:160 ; 4-byte Folded Reload
	buffer_load_dword v86, off, s[24:27], 0 offset:164 ; 4-byte Folded Reload
	buffer_load_dword v87, off, s[24:27], 0 offset:168 ; 4-byte Folded Reload
	buffer_load_dword v88, off, s[24:27], 0 offset:172 ; 4-byte Folded Reload
	;; [unrolled: 6-line block ×11, first 2 shown]
	s_waitcnt vmcnt(0)
	ds_write2_b64 v0, v[85:86], v[87:88] offset0:68 offset1:69
	buffer_load_dword v85, off, s[24:27], 0 ; 4-byte Folded Reload
	buffer_load_dword v86, off, s[24:27], 0 offset:4 ; 4-byte Folded Reload
	buffer_load_dword v87, off, s[24:27], 0 offset:8 ; 4-byte Folded Reload
	;; [unrolled: 1-line block ×3, first 2 shown]
	s_waitcnt vmcnt(0)
	ds_write2_b64 v0, v[85:86], v[87:88] offset0:70 offset1:71
	ds_write2_b64 v0, v[113:114], v[115:116] offset0:72 offset1:73
	;; [unrolled: 1-line block ×25, first 2 shown]
.LBB118_480:
	s_or_b64 exec, exec, s[0:1]
	v_cmp_lt_i32_e32 vcc, 22, v89
	s_waitcnt vmcnt(0) lgkmcnt(0)
	s_barrier
	s_and_saveexec_b64 s[0:1], vcc
	s_cbranch_execz .LBB118_482
; %bb.481:
	buffer_load_dword v95, off, s[24:27], 0 offset:208 ; 4-byte Folded Reload
	buffer_load_dword v96, off, s[24:27], 0 offset:212 ; 4-byte Folded Reload
	;; [unrolled: 1-line block ×4, first 2 shown]
	s_waitcnt vmcnt(0)
	v_mul_f64 v[85:86], v[119:120], v[97:98]
	v_fma_f64 v[125:126], v[117:118], v[95:96], -v[85:86]
	v_mul_f64 v[85:86], v[117:118], v[97:98]
	v_fma_f64 v[97:98], v[119:120], v[95:96], v[85:86]
	ds_read2_b64 v[85:88], v0 offset0:46 offset1:47
	buffer_load_dword v93, off, s[24:27], 0 offset:192 ; 4-byte Folded Reload
	buffer_load_dword v94, off, s[24:27], 0 offset:196 ; 4-byte Folded Reload
	buffer_load_dword v95, off, s[24:27], 0 offset:200 ; 4-byte Folded Reload
	buffer_load_dword v96, off, s[24:27], 0 offset:204 ; 4-byte Folded Reload
	s_waitcnt lgkmcnt(0)
	v_mul_f64 v[91:92], v[87:88], v[97:98]
	v_fma_f64 v[91:92], v[85:86], v[125:126], -v[91:92]
	v_mul_f64 v[85:86], v[85:86], v[97:98]
	v_fma_f64 v[85:86], v[87:88], v[125:126], v[85:86]
	s_waitcnt vmcnt(2)
	v_add_f64 v[93:94], v[93:94], -v[91:92]
	s_waitcnt vmcnt(0)
	v_add_f64 v[95:96], v[95:96], -v[85:86]
	buffer_store_dword v93, off, s[24:27], 0 offset:192 ; 4-byte Folded Spill
	s_nop 0
	buffer_store_dword v94, off, s[24:27], 0 offset:196 ; 4-byte Folded Spill
	buffer_store_dword v95, off, s[24:27], 0 offset:200 ; 4-byte Folded Spill
	buffer_store_dword v96, off, s[24:27], 0 offset:204 ; 4-byte Folded Spill
	ds_read2_b64 v[85:88], v0 offset0:48 offset1:49
	buffer_load_dword v93, off, s[24:27], 0 offset:176 ; 4-byte Folded Reload
	buffer_load_dword v94, off, s[24:27], 0 offset:180 ; 4-byte Folded Reload
	buffer_load_dword v95, off, s[24:27], 0 offset:184 ; 4-byte Folded Reload
	buffer_load_dword v96, off, s[24:27], 0 offset:188 ; 4-byte Folded Reload
	s_waitcnt lgkmcnt(0)
	v_mul_f64 v[91:92], v[87:88], v[97:98]
	v_fma_f64 v[91:92], v[85:86], v[125:126], -v[91:92]
	v_mul_f64 v[85:86], v[85:86], v[97:98]
	v_fma_f64 v[85:86], v[87:88], v[125:126], v[85:86]
	s_waitcnt vmcnt(2)
	v_add_f64 v[93:94], v[93:94], -v[91:92]
	s_waitcnt vmcnt(0)
	v_add_f64 v[95:96], v[95:96], -v[85:86]
	buffer_store_dword v93, off, s[24:27], 0 offset:176 ; 4-byte Folded Spill
	s_nop 0
	buffer_store_dword v94, off, s[24:27], 0 offset:180 ; 4-byte Folded Spill
	buffer_store_dword v95, off, s[24:27], 0 offset:184 ; 4-byte Folded Spill
	buffer_store_dword v96, off, s[24:27], 0 offset:188 ; 4-byte Folded Spill
	;; [unrolled: 19-line block ×12, first 2 shown]
	ds_read2_b64 v[85:88], v0 offset0:70 offset1:71
	buffer_load_dword v93, off, s[24:27], 0 ; 4-byte Folded Reload
	buffer_load_dword v94, off, s[24:27], 0 offset:4 ; 4-byte Folded Reload
	buffer_load_dword v95, off, s[24:27], 0 offset:8 ; 4-byte Folded Reload
	;; [unrolled: 1-line block ×3, first 2 shown]
	s_waitcnt lgkmcnt(0)
	v_mul_f64 v[91:92], v[87:88], v[97:98]
	v_fma_f64 v[91:92], v[85:86], v[125:126], -v[91:92]
	v_mul_f64 v[85:86], v[85:86], v[97:98]
	v_fma_f64 v[85:86], v[87:88], v[125:126], v[85:86]
	s_waitcnt vmcnt(2)
	v_add_f64 v[93:94], v[93:94], -v[91:92]
	s_waitcnt vmcnt(0)
	v_add_f64 v[95:96], v[95:96], -v[85:86]
	buffer_store_dword v93, off, s[24:27], 0 ; 4-byte Folded Spill
	s_nop 0
	buffer_store_dword v94, off, s[24:27], 0 offset:4 ; 4-byte Folded Spill
	buffer_store_dword v95, off, s[24:27], 0 offset:8 ; 4-byte Folded Spill
	;; [unrolled: 1-line block ×3, first 2 shown]
	ds_read2_b64 v[85:88], v0 offset0:72 offset1:73
	v_mov_b32_e32 v95, v125
	v_mov_b32_e32 v96, v126
	s_waitcnt lgkmcnt(0)
	v_mul_f64 v[91:92], v[87:88], v[97:98]
	v_fma_f64 v[91:92], v[85:86], v[125:126], -v[91:92]
	v_mul_f64 v[85:86], v[85:86], v[97:98]
	v_add_f64 v[113:114], v[113:114], -v[91:92]
	v_fma_f64 v[85:86], v[87:88], v[125:126], v[85:86]
	v_add_f64 v[115:116], v[115:116], -v[85:86]
	ds_read2_b64 v[85:88], v0 offset0:74 offset1:75
	s_waitcnt lgkmcnt(0)
	v_mul_f64 v[91:92], v[87:88], v[97:98]
	v_fma_f64 v[91:92], v[85:86], v[125:126], -v[91:92]
	v_mul_f64 v[85:86], v[85:86], v[97:98]
	v_add_f64 v[109:110], v[109:110], -v[91:92]
	v_fma_f64 v[85:86], v[87:88], v[125:126], v[85:86]
	v_add_f64 v[111:112], v[111:112], -v[85:86]
	ds_read2_b64 v[85:88], v0 offset0:76 offset1:77
	;; [unrolled: 8-line block ×23, first 2 shown]
	s_waitcnt lgkmcnt(0)
	v_mul_f64 v[91:92], v[87:88], v[97:98]
	v_fma_f64 v[91:92], v[85:86], v[125:126], -v[91:92]
	v_mul_f64 v[85:86], v[85:86], v[97:98]
	buffer_store_dword v95, off, s[24:27], 0 offset:208 ; 4-byte Folded Spill
	s_nop 0
	buffer_store_dword v96, off, s[24:27], 0 offset:212 ; 4-byte Folded Spill
	buffer_store_dword v97, off, s[24:27], 0 offset:216 ; 4-byte Folded Spill
	;; [unrolled: 1-line block ×3, first 2 shown]
	v_add_f64 v[121:122], v[121:122], -v[91:92]
	v_fma_f64 v[85:86], v[87:88], v[125:126], v[85:86]
	v_add_f64 v[123:124], v[123:124], -v[85:86]
.LBB118_482:
	s_or_b64 exec, exec, s[0:1]
	s_waitcnt vmcnt(0)
	s_barrier
	buffer_load_dword v91, off, s[24:27], 0 offset:192 ; 4-byte Folded Reload
	buffer_load_dword v92, off, s[24:27], 0 offset:196 ; 4-byte Folded Reload
	;; [unrolled: 1-line block ×4, first 2 shown]
	v_lshl_add_u32 v85, v89, 4, v0
	s_cmp_lt_i32 s3, 25
	s_waitcnt vmcnt(0)
	ds_write2_b64 v85, v[91:92], v[93:94] offset1:1
	s_waitcnt lgkmcnt(0)
	s_barrier
	ds_read2_b64 v[117:120], v0 offset0:46 offset1:47
	v_mov_b32_e32 v85, 23
	s_cbranch_scc1 .LBB118_485
; %bb.483:
	v_add_u32_e32 v86, 0x180, v0
	s_mov_b32 s0, 24
	v_mov_b32_e32 v85, 23
.LBB118_484:                            ; =>This Inner Loop Header: Depth=1
	s_waitcnt lgkmcnt(0)
	v_cmp_gt_f64_e32 vcc, 0, v[117:118]
	v_xor_b32_e32 v87, 0x80000000, v118
	ds_read2_b64 v[91:94], v86 offset1:1
	v_xor_b32_e32 v95, 0x80000000, v120
	v_add_u32_e32 v86, 16, v86
	s_waitcnt lgkmcnt(0)
	v_xor_b32_e32 v97, 0x80000000, v94
	v_cndmask_b32_e32 v88, v118, v87, vcc
	v_cmp_gt_f64_e32 vcc, 0, v[119:120]
	v_mov_b32_e32 v87, v117
	v_cndmask_b32_e32 v96, v120, v95, vcc
	v_cmp_gt_f64_e32 vcc, 0, v[91:92]
	v_mov_b32_e32 v95, v119
	v_add_f64 v[87:88], v[87:88], v[95:96]
	v_xor_b32_e32 v95, 0x80000000, v92
	v_cndmask_b32_e32 v96, v92, v95, vcc
	v_cmp_gt_f64_e32 vcc, 0, v[93:94]
	v_mov_b32_e32 v95, v91
	v_cndmask_b32_e32 v98, v94, v97, vcc
	v_mov_b32_e32 v97, v93
	v_add_f64 v[95:96], v[95:96], v[97:98]
	v_cmp_lt_f64_e32 vcc, v[87:88], v[95:96]
	v_mov_b32_e32 v87, s0
	s_add_i32 s0, s0, 1
	s_cmp_lg_u32 s3, s0
	v_cndmask_b32_e32 v118, v118, v92, vcc
	v_cndmask_b32_e32 v117, v117, v91, vcc
	;; [unrolled: 1-line block ×5, first 2 shown]
	s_cbranch_scc1 .LBB118_484
.LBB118_485:
	s_waitcnt lgkmcnt(0)
	v_cmp_eq_f64_e32 vcc, 0, v[117:118]
	v_cmp_eq_f64_e64 s[0:1], 0, v[119:120]
	s_and_b64 s[0:1], vcc, s[0:1]
	s_and_saveexec_b64 s[18:19], s[0:1]
	s_xor_b64 s[0:1], exec, s[18:19]
; %bb.486:
	v_cmp_ne_u32_e32 vcc, 0, v90
	v_cndmask_b32_e32 v90, 24, v90, vcc
; %bb.487:
	s_andn2_saveexec_b64 s[0:1], s[0:1]
	s_cbranch_execz .LBB118_493
; %bb.488:
	v_cmp_ngt_f64_e64 s[18:19], |v[117:118]|, |v[119:120]|
	s_and_saveexec_b64 s[20:21], s[18:19]
	s_xor_b64 s[18:19], exec, s[20:21]
	s_cbranch_execz .LBB118_490
; %bb.489:
	v_div_scale_f64 v[86:87], s[20:21], v[119:120], v[119:120], v[117:118]
	v_rcp_f64_e32 v[91:92], v[86:87]
	v_fma_f64 v[93:94], -v[86:87], v[91:92], 1.0
	v_fma_f64 v[91:92], v[91:92], v[93:94], v[91:92]
	v_div_scale_f64 v[93:94], vcc, v[117:118], v[119:120], v[117:118]
	v_fma_f64 v[95:96], -v[86:87], v[91:92], 1.0
	v_fma_f64 v[91:92], v[91:92], v[95:96], v[91:92]
	v_mul_f64 v[95:96], v[93:94], v[91:92]
	v_fma_f64 v[86:87], -v[86:87], v[95:96], v[93:94]
	v_div_fmas_f64 v[86:87], v[86:87], v[91:92], v[95:96]
	v_div_fixup_f64 v[86:87], v[86:87], v[119:120], v[117:118]
	v_fma_f64 v[91:92], v[117:118], v[86:87], v[119:120]
	v_div_scale_f64 v[93:94], s[20:21], v[91:92], v[91:92], 1.0
	v_div_scale_f64 v[99:100], vcc, 1.0, v[91:92], 1.0
	v_rcp_f64_e32 v[95:96], v[93:94]
	v_fma_f64 v[97:98], -v[93:94], v[95:96], 1.0
	v_fma_f64 v[95:96], v[95:96], v[97:98], v[95:96]
	v_fma_f64 v[97:98], -v[93:94], v[95:96], 1.0
	v_fma_f64 v[95:96], v[95:96], v[97:98], v[95:96]
	v_mul_f64 v[97:98], v[99:100], v[95:96]
	v_fma_f64 v[93:94], -v[93:94], v[97:98], v[99:100]
	v_div_fmas_f64 v[93:94], v[93:94], v[95:96], v[97:98]
	v_div_fixup_f64 v[119:120], v[93:94], v[91:92], 1.0
	v_mul_f64 v[117:118], v[86:87], v[119:120]
	v_xor_b32_e32 v120, 0x80000000, v120
.LBB118_490:
	s_andn2_saveexec_b64 s[18:19], s[18:19]
	s_cbranch_execz .LBB118_492
; %bb.491:
	v_div_scale_f64 v[86:87], s[20:21], v[117:118], v[117:118], v[119:120]
	v_rcp_f64_e32 v[91:92], v[86:87]
	v_fma_f64 v[93:94], -v[86:87], v[91:92], 1.0
	v_fma_f64 v[91:92], v[91:92], v[93:94], v[91:92]
	v_div_scale_f64 v[93:94], vcc, v[119:120], v[117:118], v[119:120]
	v_fma_f64 v[95:96], -v[86:87], v[91:92], 1.0
	v_fma_f64 v[91:92], v[91:92], v[95:96], v[91:92]
	v_mul_f64 v[95:96], v[93:94], v[91:92]
	v_fma_f64 v[86:87], -v[86:87], v[95:96], v[93:94]
	v_div_fmas_f64 v[86:87], v[86:87], v[91:92], v[95:96]
	v_div_fixup_f64 v[86:87], v[86:87], v[117:118], v[119:120]
	v_fma_f64 v[91:92], v[119:120], v[86:87], v[117:118]
	v_div_scale_f64 v[93:94], s[20:21], v[91:92], v[91:92], 1.0
	v_div_scale_f64 v[99:100], vcc, 1.0, v[91:92], 1.0
	v_rcp_f64_e32 v[95:96], v[93:94]
	v_fma_f64 v[97:98], -v[93:94], v[95:96], 1.0
	v_fma_f64 v[95:96], v[95:96], v[97:98], v[95:96]
	v_fma_f64 v[97:98], -v[93:94], v[95:96], 1.0
	v_fma_f64 v[95:96], v[95:96], v[97:98], v[95:96]
	v_mul_f64 v[97:98], v[99:100], v[95:96]
	v_fma_f64 v[93:94], -v[93:94], v[97:98], v[99:100]
	v_div_fmas_f64 v[93:94], v[93:94], v[95:96], v[97:98]
	v_div_fixup_f64 v[117:118], v[93:94], v[91:92], 1.0
	v_mul_f64 v[119:120], v[86:87], -v[117:118]
.LBB118_492:
	s_or_b64 exec, exec, s[18:19]
.LBB118_493:
	s_or_b64 exec, exec, s[0:1]
	v_cmp_ne_u32_e32 vcc, v89, v85
	s_and_saveexec_b64 s[0:1], vcc
	s_xor_b64 s[0:1], exec, s[0:1]
	s_cbranch_execz .LBB118_499
; %bb.494:
	v_cmp_eq_u32_e32 vcc, 23, v89
	s_and_saveexec_b64 s[18:19], vcc
	s_cbranch_execz .LBB118_498
; %bb.495:
	v_cmp_ne_u32_e32 vcc, 23, v85
	s_xor_b64 s[20:21], s[6:7], -1
	s_and_b64 s[22:23], s[20:21], vcc
	s_and_saveexec_b64 s[20:21], s[22:23]
	s_cbranch_execz .LBB118_497
; %bb.496:
	v_ashrrev_i32_e32 v86, 31, v85
	v_lshlrev_b64 v[86:87], 2, v[85:86]
	v_add_co_u32_e32 v86, vcc, v107, v86
	v_addc_co_u32_e32 v87, vcc, v108, v87, vcc
	global_load_dword v88, v[86:87], off
	global_load_dword v89, v[107:108], off offset:92
	s_waitcnt vmcnt(1)
	global_store_dword v[107:108], v88, off offset:92
	s_waitcnt vmcnt(1)
	global_store_dword v[86:87], v89, off
.LBB118_497:
	s_or_b64 exec, exec, s[20:21]
	v_mov_b32_e32 v89, v85
	v_mov_b32_e32 v127, v85
.LBB118_498:
	s_or_b64 exec, exec, s[18:19]
.LBB118_499:
	s_andn2_saveexec_b64 s[0:1], s[0:1]
	s_cbranch_execz .LBB118_501
; %bb.500:
	buffer_load_dword v85, off, s[24:27], 0 offset:176 ; 4-byte Folded Reload
	buffer_load_dword v86, off, s[24:27], 0 offset:180 ; 4-byte Folded Reload
	;; [unrolled: 1-line block ×4, first 2 shown]
	v_mov_b32_e32 v89, 23
	s_waitcnt vmcnt(0)
	ds_write2_b64 v0, v[85:86], v[87:88] offset0:48 offset1:49
	buffer_load_dword v85, off, s[24:27], 0 offset:160 ; 4-byte Folded Reload
	buffer_load_dword v86, off, s[24:27], 0 offset:164 ; 4-byte Folded Reload
	buffer_load_dword v87, off, s[24:27], 0 offset:168 ; 4-byte Folded Reload
	buffer_load_dword v88, off, s[24:27], 0 offset:172 ; 4-byte Folded Reload
	s_waitcnt vmcnt(0)
	ds_write2_b64 v0, v[85:86], v[87:88] offset0:50 offset1:51
	buffer_load_dword v85, off, s[24:27], 0 offset:144 ; 4-byte Folded Reload
	buffer_load_dword v86, off, s[24:27], 0 offset:148 ; 4-byte Folded Reload
	buffer_load_dword v87, off, s[24:27], 0 offset:152 ; 4-byte Folded Reload
	buffer_load_dword v88, off, s[24:27], 0 offset:156 ; 4-byte Folded Reload
	s_waitcnt vmcnt(0)
	ds_write2_b64 v0, v[85:86], v[87:88] offset0:52 offset1:53
	buffer_load_dword v85, off, s[24:27], 0 offset:128 ; 4-byte Folded Reload
	buffer_load_dword v86, off, s[24:27], 0 offset:132 ; 4-byte Folded Reload
	buffer_load_dword v87, off, s[24:27], 0 offset:136 ; 4-byte Folded Reload
	buffer_load_dword v88, off, s[24:27], 0 offset:140 ; 4-byte Folded Reload
	s_waitcnt vmcnt(0)
	ds_write2_b64 v0, v[85:86], v[87:88] offset0:54 offset1:55
	buffer_load_dword v85, off, s[24:27], 0 offset:112 ; 4-byte Folded Reload
	buffer_load_dword v86, off, s[24:27], 0 offset:116 ; 4-byte Folded Reload
	buffer_load_dword v87, off, s[24:27], 0 offset:120 ; 4-byte Folded Reload
	buffer_load_dword v88, off, s[24:27], 0 offset:124 ; 4-byte Folded Reload
	s_waitcnt vmcnt(0)
	ds_write2_b64 v0, v[85:86], v[87:88] offset0:56 offset1:57
	buffer_load_dword v85, off, s[24:27], 0 offset:96 ; 4-byte Folded Reload
	buffer_load_dword v86, off, s[24:27], 0 offset:100 ; 4-byte Folded Reload
	buffer_load_dword v87, off, s[24:27], 0 offset:104 ; 4-byte Folded Reload
	buffer_load_dword v88, off, s[24:27], 0 offset:108 ; 4-byte Folded Reload
	s_waitcnt vmcnt(0)
	ds_write2_b64 v0, v[85:86], v[87:88] offset0:58 offset1:59
	buffer_load_dword v85, off, s[24:27], 0 offset:80 ; 4-byte Folded Reload
	buffer_load_dword v86, off, s[24:27], 0 offset:84 ; 4-byte Folded Reload
	buffer_load_dword v87, off, s[24:27], 0 offset:88 ; 4-byte Folded Reload
	buffer_load_dword v88, off, s[24:27], 0 offset:92 ; 4-byte Folded Reload
	s_waitcnt vmcnt(0)
	ds_write2_b64 v0, v[85:86], v[87:88] offset0:60 offset1:61
	buffer_load_dword v85, off, s[24:27], 0 offset:64 ; 4-byte Folded Reload
	buffer_load_dword v86, off, s[24:27], 0 offset:68 ; 4-byte Folded Reload
	buffer_load_dword v87, off, s[24:27], 0 offset:72 ; 4-byte Folded Reload
	buffer_load_dword v88, off, s[24:27], 0 offset:76 ; 4-byte Folded Reload
	s_waitcnt vmcnt(0)
	ds_write2_b64 v0, v[85:86], v[87:88] offset0:62 offset1:63
	buffer_load_dword v85, off, s[24:27], 0 offset:48 ; 4-byte Folded Reload
	buffer_load_dword v86, off, s[24:27], 0 offset:52 ; 4-byte Folded Reload
	buffer_load_dword v87, off, s[24:27], 0 offset:56 ; 4-byte Folded Reload
	buffer_load_dword v88, off, s[24:27], 0 offset:60 ; 4-byte Folded Reload
	s_waitcnt vmcnt(0)
	ds_write2_b64 v0, v[85:86], v[87:88] offset0:64 offset1:65
	buffer_load_dword v85, off, s[24:27], 0 offset:32 ; 4-byte Folded Reload
	buffer_load_dword v86, off, s[24:27], 0 offset:36 ; 4-byte Folded Reload
	buffer_load_dword v87, off, s[24:27], 0 offset:40 ; 4-byte Folded Reload
	buffer_load_dword v88, off, s[24:27], 0 offset:44 ; 4-byte Folded Reload
	s_waitcnt vmcnt(0)
	ds_write2_b64 v0, v[85:86], v[87:88] offset0:66 offset1:67
	buffer_load_dword v85, off, s[24:27], 0 offset:16 ; 4-byte Folded Reload
	buffer_load_dword v86, off, s[24:27], 0 offset:20 ; 4-byte Folded Reload
	buffer_load_dword v87, off, s[24:27], 0 offset:24 ; 4-byte Folded Reload
	buffer_load_dword v88, off, s[24:27], 0 offset:28 ; 4-byte Folded Reload
	s_waitcnt vmcnt(0)
	ds_write2_b64 v0, v[85:86], v[87:88] offset0:68 offset1:69
	buffer_load_dword v85, off, s[24:27], 0 ; 4-byte Folded Reload
	buffer_load_dword v86, off, s[24:27], 0 offset:4 ; 4-byte Folded Reload
	buffer_load_dword v87, off, s[24:27], 0 offset:8 ; 4-byte Folded Reload
	;; [unrolled: 1-line block ×3, first 2 shown]
	s_waitcnt vmcnt(0)
	ds_write2_b64 v0, v[85:86], v[87:88] offset0:70 offset1:71
	ds_write2_b64 v0, v[113:114], v[115:116] offset0:72 offset1:73
	;; [unrolled: 1-line block ×25, first 2 shown]
.LBB118_501:
	s_or_b64 exec, exec, s[0:1]
	v_cmp_lt_i32_e32 vcc, 23, v89
	s_waitcnt vmcnt(0) lgkmcnt(0)
	s_barrier
	s_and_saveexec_b64 s[0:1], vcc
	s_cbranch_execz .LBB118_503
; %bb.502:
	buffer_load_dword v95, off, s[24:27], 0 offset:192 ; 4-byte Folded Reload
	buffer_load_dword v96, off, s[24:27], 0 offset:196 ; 4-byte Folded Reload
	;; [unrolled: 1-line block ×4, first 2 shown]
	s_waitcnt vmcnt(0)
	v_mul_f64 v[85:86], v[119:120], v[97:98]
	v_fma_f64 v[125:126], v[117:118], v[95:96], -v[85:86]
	v_mul_f64 v[85:86], v[117:118], v[97:98]
	v_fma_f64 v[97:98], v[119:120], v[95:96], v[85:86]
	ds_read2_b64 v[85:88], v0 offset0:48 offset1:49
	buffer_load_dword v93, off, s[24:27], 0 offset:176 ; 4-byte Folded Reload
	buffer_load_dword v94, off, s[24:27], 0 offset:180 ; 4-byte Folded Reload
	buffer_load_dword v95, off, s[24:27], 0 offset:184 ; 4-byte Folded Reload
	buffer_load_dword v96, off, s[24:27], 0 offset:188 ; 4-byte Folded Reload
	s_waitcnt lgkmcnt(0)
	v_mul_f64 v[91:92], v[87:88], v[97:98]
	v_fma_f64 v[91:92], v[85:86], v[125:126], -v[91:92]
	v_mul_f64 v[85:86], v[85:86], v[97:98]
	v_fma_f64 v[85:86], v[87:88], v[125:126], v[85:86]
	s_waitcnt vmcnt(2)
	v_add_f64 v[93:94], v[93:94], -v[91:92]
	s_waitcnt vmcnt(0)
	v_add_f64 v[95:96], v[95:96], -v[85:86]
	buffer_store_dword v93, off, s[24:27], 0 offset:176 ; 4-byte Folded Spill
	s_nop 0
	buffer_store_dword v94, off, s[24:27], 0 offset:180 ; 4-byte Folded Spill
	buffer_store_dword v95, off, s[24:27], 0 offset:184 ; 4-byte Folded Spill
	buffer_store_dword v96, off, s[24:27], 0 offset:188 ; 4-byte Folded Spill
	ds_read2_b64 v[85:88], v0 offset0:50 offset1:51
	buffer_load_dword v93, off, s[24:27], 0 offset:160 ; 4-byte Folded Reload
	buffer_load_dword v94, off, s[24:27], 0 offset:164 ; 4-byte Folded Reload
	buffer_load_dword v95, off, s[24:27], 0 offset:168 ; 4-byte Folded Reload
	buffer_load_dword v96, off, s[24:27], 0 offset:172 ; 4-byte Folded Reload
	s_waitcnt lgkmcnt(0)
	v_mul_f64 v[91:92], v[87:88], v[97:98]
	v_fma_f64 v[91:92], v[85:86], v[125:126], -v[91:92]
	v_mul_f64 v[85:86], v[85:86], v[97:98]
	v_fma_f64 v[85:86], v[87:88], v[125:126], v[85:86]
	s_waitcnt vmcnt(2)
	v_add_f64 v[93:94], v[93:94], -v[91:92]
	s_waitcnt vmcnt(0)
	v_add_f64 v[95:96], v[95:96], -v[85:86]
	buffer_store_dword v93, off, s[24:27], 0 offset:160 ; 4-byte Folded Spill
	s_nop 0
	buffer_store_dword v94, off, s[24:27], 0 offset:164 ; 4-byte Folded Spill
	buffer_store_dword v95, off, s[24:27], 0 offset:168 ; 4-byte Folded Spill
	buffer_store_dword v96, off, s[24:27], 0 offset:172 ; 4-byte Folded Spill
	;; [unrolled: 19-line block ×11, first 2 shown]
	ds_read2_b64 v[85:88], v0 offset0:70 offset1:71
	buffer_load_dword v93, off, s[24:27], 0 ; 4-byte Folded Reload
	buffer_load_dword v94, off, s[24:27], 0 offset:4 ; 4-byte Folded Reload
	buffer_load_dword v95, off, s[24:27], 0 offset:8 ; 4-byte Folded Reload
	;; [unrolled: 1-line block ×3, first 2 shown]
	s_waitcnt lgkmcnt(0)
	v_mul_f64 v[91:92], v[87:88], v[97:98]
	v_fma_f64 v[91:92], v[85:86], v[125:126], -v[91:92]
	v_mul_f64 v[85:86], v[85:86], v[97:98]
	v_fma_f64 v[85:86], v[87:88], v[125:126], v[85:86]
	s_waitcnt vmcnt(2)
	v_add_f64 v[93:94], v[93:94], -v[91:92]
	s_waitcnt vmcnt(0)
	v_add_f64 v[95:96], v[95:96], -v[85:86]
	buffer_store_dword v93, off, s[24:27], 0 ; 4-byte Folded Spill
	s_nop 0
	buffer_store_dword v94, off, s[24:27], 0 offset:4 ; 4-byte Folded Spill
	buffer_store_dword v95, off, s[24:27], 0 offset:8 ; 4-byte Folded Spill
	;; [unrolled: 1-line block ×3, first 2 shown]
	ds_read2_b64 v[85:88], v0 offset0:72 offset1:73
	v_mov_b32_e32 v95, v125
	v_mov_b32_e32 v96, v126
	s_waitcnt lgkmcnt(0)
	v_mul_f64 v[91:92], v[87:88], v[97:98]
	v_fma_f64 v[91:92], v[85:86], v[125:126], -v[91:92]
	v_mul_f64 v[85:86], v[85:86], v[97:98]
	v_add_f64 v[113:114], v[113:114], -v[91:92]
	v_fma_f64 v[85:86], v[87:88], v[125:126], v[85:86]
	v_add_f64 v[115:116], v[115:116], -v[85:86]
	ds_read2_b64 v[85:88], v0 offset0:74 offset1:75
	s_waitcnt lgkmcnt(0)
	v_mul_f64 v[91:92], v[87:88], v[97:98]
	v_fma_f64 v[91:92], v[85:86], v[125:126], -v[91:92]
	v_mul_f64 v[85:86], v[85:86], v[97:98]
	v_add_f64 v[109:110], v[109:110], -v[91:92]
	v_fma_f64 v[85:86], v[87:88], v[125:126], v[85:86]
	v_add_f64 v[111:112], v[111:112], -v[85:86]
	ds_read2_b64 v[85:88], v0 offset0:76 offset1:77
	;; [unrolled: 8-line block ×23, first 2 shown]
	s_waitcnt lgkmcnt(0)
	v_mul_f64 v[91:92], v[87:88], v[97:98]
	v_fma_f64 v[91:92], v[85:86], v[125:126], -v[91:92]
	v_mul_f64 v[85:86], v[85:86], v[97:98]
	buffer_store_dword v95, off, s[24:27], 0 offset:192 ; 4-byte Folded Spill
	s_nop 0
	buffer_store_dword v96, off, s[24:27], 0 offset:196 ; 4-byte Folded Spill
	buffer_store_dword v97, off, s[24:27], 0 offset:200 ; 4-byte Folded Spill
	;; [unrolled: 1-line block ×3, first 2 shown]
	v_add_f64 v[121:122], v[121:122], -v[91:92]
	v_fma_f64 v[85:86], v[87:88], v[125:126], v[85:86]
	v_add_f64 v[123:124], v[123:124], -v[85:86]
.LBB118_503:
	s_or_b64 exec, exec, s[0:1]
	s_waitcnt vmcnt(0)
	s_barrier
	buffer_load_dword v91, off, s[24:27], 0 offset:176 ; 4-byte Folded Reload
	buffer_load_dword v92, off, s[24:27], 0 offset:180 ; 4-byte Folded Reload
	;; [unrolled: 1-line block ×4, first 2 shown]
	v_lshl_add_u32 v85, v89, 4, v0
	s_cmp_lt_i32 s3, 26
	s_waitcnt vmcnt(0)
	ds_write2_b64 v85, v[91:92], v[93:94] offset1:1
	s_waitcnt lgkmcnt(0)
	s_barrier
	ds_read2_b64 v[117:120], v0 offset0:48 offset1:49
	v_mov_b32_e32 v85, 24
	s_cbranch_scc1 .LBB118_506
; %bb.504:
	v_add_u32_e32 v86, 0x190, v0
	s_mov_b32 s0, 25
	v_mov_b32_e32 v85, 24
.LBB118_505:                            ; =>This Inner Loop Header: Depth=1
	s_waitcnt lgkmcnt(0)
	v_cmp_gt_f64_e32 vcc, 0, v[117:118]
	v_xor_b32_e32 v87, 0x80000000, v118
	ds_read2_b64 v[91:94], v86 offset1:1
	v_xor_b32_e32 v95, 0x80000000, v120
	v_add_u32_e32 v86, 16, v86
	s_waitcnt lgkmcnt(0)
	v_xor_b32_e32 v97, 0x80000000, v94
	v_cndmask_b32_e32 v88, v118, v87, vcc
	v_cmp_gt_f64_e32 vcc, 0, v[119:120]
	v_mov_b32_e32 v87, v117
	v_cndmask_b32_e32 v96, v120, v95, vcc
	v_cmp_gt_f64_e32 vcc, 0, v[91:92]
	v_mov_b32_e32 v95, v119
	v_add_f64 v[87:88], v[87:88], v[95:96]
	v_xor_b32_e32 v95, 0x80000000, v92
	v_cndmask_b32_e32 v96, v92, v95, vcc
	v_cmp_gt_f64_e32 vcc, 0, v[93:94]
	v_mov_b32_e32 v95, v91
	v_cndmask_b32_e32 v98, v94, v97, vcc
	v_mov_b32_e32 v97, v93
	v_add_f64 v[95:96], v[95:96], v[97:98]
	v_cmp_lt_f64_e32 vcc, v[87:88], v[95:96]
	v_mov_b32_e32 v87, s0
	s_add_i32 s0, s0, 1
	s_cmp_lg_u32 s3, s0
	v_cndmask_b32_e32 v118, v118, v92, vcc
	v_cndmask_b32_e32 v117, v117, v91, vcc
	;; [unrolled: 1-line block ×5, first 2 shown]
	s_cbranch_scc1 .LBB118_505
.LBB118_506:
	s_waitcnt lgkmcnt(0)
	v_cmp_eq_f64_e32 vcc, 0, v[117:118]
	v_cmp_eq_f64_e64 s[0:1], 0, v[119:120]
	s_and_b64 s[0:1], vcc, s[0:1]
	s_and_saveexec_b64 s[18:19], s[0:1]
	s_xor_b64 s[0:1], exec, s[18:19]
; %bb.507:
	v_cmp_ne_u32_e32 vcc, 0, v90
	v_cndmask_b32_e32 v90, 25, v90, vcc
; %bb.508:
	s_andn2_saveexec_b64 s[0:1], s[0:1]
	s_cbranch_execz .LBB118_514
; %bb.509:
	v_cmp_ngt_f64_e64 s[18:19], |v[117:118]|, |v[119:120]|
	s_and_saveexec_b64 s[20:21], s[18:19]
	s_xor_b64 s[18:19], exec, s[20:21]
	s_cbranch_execz .LBB118_511
; %bb.510:
	v_div_scale_f64 v[86:87], s[20:21], v[119:120], v[119:120], v[117:118]
	v_rcp_f64_e32 v[91:92], v[86:87]
	v_fma_f64 v[93:94], -v[86:87], v[91:92], 1.0
	v_fma_f64 v[91:92], v[91:92], v[93:94], v[91:92]
	v_div_scale_f64 v[93:94], vcc, v[117:118], v[119:120], v[117:118]
	v_fma_f64 v[95:96], -v[86:87], v[91:92], 1.0
	v_fma_f64 v[91:92], v[91:92], v[95:96], v[91:92]
	v_mul_f64 v[95:96], v[93:94], v[91:92]
	v_fma_f64 v[86:87], -v[86:87], v[95:96], v[93:94]
	v_div_fmas_f64 v[86:87], v[86:87], v[91:92], v[95:96]
	v_div_fixup_f64 v[86:87], v[86:87], v[119:120], v[117:118]
	v_fma_f64 v[91:92], v[117:118], v[86:87], v[119:120]
	v_div_scale_f64 v[93:94], s[20:21], v[91:92], v[91:92], 1.0
	v_div_scale_f64 v[99:100], vcc, 1.0, v[91:92], 1.0
	v_rcp_f64_e32 v[95:96], v[93:94]
	v_fma_f64 v[97:98], -v[93:94], v[95:96], 1.0
	v_fma_f64 v[95:96], v[95:96], v[97:98], v[95:96]
	v_fma_f64 v[97:98], -v[93:94], v[95:96], 1.0
	v_fma_f64 v[95:96], v[95:96], v[97:98], v[95:96]
	v_mul_f64 v[97:98], v[99:100], v[95:96]
	v_fma_f64 v[93:94], -v[93:94], v[97:98], v[99:100]
	v_div_fmas_f64 v[93:94], v[93:94], v[95:96], v[97:98]
	v_div_fixup_f64 v[119:120], v[93:94], v[91:92], 1.0
	v_mul_f64 v[117:118], v[86:87], v[119:120]
	v_xor_b32_e32 v120, 0x80000000, v120
.LBB118_511:
	s_andn2_saveexec_b64 s[18:19], s[18:19]
	s_cbranch_execz .LBB118_513
; %bb.512:
	v_div_scale_f64 v[86:87], s[20:21], v[117:118], v[117:118], v[119:120]
	v_rcp_f64_e32 v[91:92], v[86:87]
	v_fma_f64 v[93:94], -v[86:87], v[91:92], 1.0
	v_fma_f64 v[91:92], v[91:92], v[93:94], v[91:92]
	v_div_scale_f64 v[93:94], vcc, v[119:120], v[117:118], v[119:120]
	v_fma_f64 v[95:96], -v[86:87], v[91:92], 1.0
	v_fma_f64 v[91:92], v[91:92], v[95:96], v[91:92]
	v_mul_f64 v[95:96], v[93:94], v[91:92]
	v_fma_f64 v[86:87], -v[86:87], v[95:96], v[93:94]
	v_div_fmas_f64 v[86:87], v[86:87], v[91:92], v[95:96]
	v_div_fixup_f64 v[86:87], v[86:87], v[117:118], v[119:120]
	v_fma_f64 v[91:92], v[119:120], v[86:87], v[117:118]
	v_div_scale_f64 v[93:94], s[20:21], v[91:92], v[91:92], 1.0
	v_div_scale_f64 v[99:100], vcc, 1.0, v[91:92], 1.0
	v_rcp_f64_e32 v[95:96], v[93:94]
	v_fma_f64 v[97:98], -v[93:94], v[95:96], 1.0
	v_fma_f64 v[95:96], v[95:96], v[97:98], v[95:96]
	v_fma_f64 v[97:98], -v[93:94], v[95:96], 1.0
	v_fma_f64 v[95:96], v[95:96], v[97:98], v[95:96]
	v_mul_f64 v[97:98], v[99:100], v[95:96]
	v_fma_f64 v[93:94], -v[93:94], v[97:98], v[99:100]
	v_div_fmas_f64 v[93:94], v[93:94], v[95:96], v[97:98]
	v_div_fixup_f64 v[117:118], v[93:94], v[91:92], 1.0
	v_mul_f64 v[119:120], v[86:87], -v[117:118]
.LBB118_513:
	s_or_b64 exec, exec, s[18:19]
.LBB118_514:
	s_or_b64 exec, exec, s[0:1]
	v_cmp_ne_u32_e32 vcc, v89, v85
	s_and_saveexec_b64 s[0:1], vcc
	s_xor_b64 s[0:1], exec, s[0:1]
	s_cbranch_execz .LBB118_520
; %bb.515:
	v_cmp_eq_u32_e32 vcc, 24, v89
	s_and_saveexec_b64 s[18:19], vcc
	s_cbranch_execz .LBB118_519
; %bb.516:
	v_cmp_ne_u32_e32 vcc, 24, v85
	s_xor_b64 s[20:21], s[6:7], -1
	s_and_b64 s[22:23], s[20:21], vcc
	s_and_saveexec_b64 s[20:21], s[22:23]
	s_cbranch_execz .LBB118_518
; %bb.517:
	v_ashrrev_i32_e32 v86, 31, v85
	v_lshlrev_b64 v[86:87], 2, v[85:86]
	v_add_co_u32_e32 v86, vcc, v107, v86
	v_addc_co_u32_e32 v87, vcc, v108, v87, vcc
	global_load_dword v88, v[86:87], off
	global_load_dword v89, v[107:108], off offset:96
	s_waitcnt vmcnt(1)
	global_store_dword v[107:108], v88, off offset:96
	s_waitcnt vmcnt(1)
	global_store_dword v[86:87], v89, off
.LBB118_518:
	s_or_b64 exec, exec, s[20:21]
	v_mov_b32_e32 v89, v85
	v_mov_b32_e32 v127, v85
.LBB118_519:
	s_or_b64 exec, exec, s[18:19]
.LBB118_520:
	s_andn2_saveexec_b64 s[0:1], s[0:1]
	s_cbranch_execz .LBB118_522
; %bb.521:
	buffer_load_dword v85, off, s[24:27], 0 offset:160 ; 4-byte Folded Reload
	buffer_load_dword v86, off, s[24:27], 0 offset:164 ; 4-byte Folded Reload
	;; [unrolled: 1-line block ×4, first 2 shown]
	v_mov_b32_e32 v89, 24
	s_waitcnt vmcnt(0)
	ds_write2_b64 v0, v[85:86], v[87:88] offset0:50 offset1:51
	buffer_load_dword v85, off, s[24:27], 0 offset:144 ; 4-byte Folded Reload
	buffer_load_dword v86, off, s[24:27], 0 offset:148 ; 4-byte Folded Reload
	buffer_load_dword v87, off, s[24:27], 0 offset:152 ; 4-byte Folded Reload
	buffer_load_dword v88, off, s[24:27], 0 offset:156 ; 4-byte Folded Reload
	s_waitcnt vmcnt(0)
	ds_write2_b64 v0, v[85:86], v[87:88] offset0:52 offset1:53
	buffer_load_dword v85, off, s[24:27], 0 offset:128 ; 4-byte Folded Reload
	buffer_load_dword v86, off, s[24:27], 0 offset:132 ; 4-byte Folded Reload
	buffer_load_dword v87, off, s[24:27], 0 offset:136 ; 4-byte Folded Reload
	buffer_load_dword v88, off, s[24:27], 0 offset:140 ; 4-byte Folded Reload
	s_waitcnt vmcnt(0)
	ds_write2_b64 v0, v[85:86], v[87:88] offset0:54 offset1:55
	buffer_load_dword v85, off, s[24:27], 0 offset:112 ; 4-byte Folded Reload
	buffer_load_dword v86, off, s[24:27], 0 offset:116 ; 4-byte Folded Reload
	buffer_load_dword v87, off, s[24:27], 0 offset:120 ; 4-byte Folded Reload
	buffer_load_dword v88, off, s[24:27], 0 offset:124 ; 4-byte Folded Reload
	s_waitcnt vmcnt(0)
	ds_write2_b64 v0, v[85:86], v[87:88] offset0:56 offset1:57
	buffer_load_dword v85, off, s[24:27], 0 offset:96 ; 4-byte Folded Reload
	buffer_load_dword v86, off, s[24:27], 0 offset:100 ; 4-byte Folded Reload
	buffer_load_dword v87, off, s[24:27], 0 offset:104 ; 4-byte Folded Reload
	buffer_load_dword v88, off, s[24:27], 0 offset:108 ; 4-byte Folded Reload
	s_waitcnt vmcnt(0)
	ds_write2_b64 v0, v[85:86], v[87:88] offset0:58 offset1:59
	buffer_load_dword v85, off, s[24:27], 0 offset:80 ; 4-byte Folded Reload
	buffer_load_dword v86, off, s[24:27], 0 offset:84 ; 4-byte Folded Reload
	buffer_load_dword v87, off, s[24:27], 0 offset:88 ; 4-byte Folded Reload
	buffer_load_dword v88, off, s[24:27], 0 offset:92 ; 4-byte Folded Reload
	s_waitcnt vmcnt(0)
	ds_write2_b64 v0, v[85:86], v[87:88] offset0:60 offset1:61
	buffer_load_dword v85, off, s[24:27], 0 offset:64 ; 4-byte Folded Reload
	buffer_load_dword v86, off, s[24:27], 0 offset:68 ; 4-byte Folded Reload
	buffer_load_dword v87, off, s[24:27], 0 offset:72 ; 4-byte Folded Reload
	buffer_load_dword v88, off, s[24:27], 0 offset:76 ; 4-byte Folded Reload
	s_waitcnt vmcnt(0)
	ds_write2_b64 v0, v[85:86], v[87:88] offset0:62 offset1:63
	buffer_load_dword v85, off, s[24:27], 0 offset:48 ; 4-byte Folded Reload
	buffer_load_dword v86, off, s[24:27], 0 offset:52 ; 4-byte Folded Reload
	buffer_load_dword v87, off, s[24:27], 0 offset:56 ; 4-byte Folded Reload
	buffer_load_dword v88, off, s[24:27], 0 offset:60 ; 4-byte Folded Reload
	s_waitcnt vmcnt(0)
	ds_write2_b64 v0, v[85:86], v[87:88] offset0:64 offset1:65
	buffer_load_dword v85, off, s[24:27], 0 offset:32 ; 4-byte Folded Reload
	buffer_load_dword v86, off, s[24:27], 0 offset:36 ; 4-byte Folded Reload
	buffer_load_dword v87, off, s[24:27], 0 offset:40 ; 4-byte Folded Reload
	buffer_load_dword v88, off, s[24:27], 0 offset:44 ; 4-byte Folded Reload
	s_waitcnt vmcnt(0)
	ds_write2_b64 v0, v[85:86], v[87:88] offset0:66 offset1:67
	buffer_load_dword v85, off, s[24:27], 0 offset:16 ; 4-byte Folded Reload
	buffer_load_dword v86, off, s[24:27], 0 offset:20 ; 4-byte Folded Reload
	buffer_load_dword v87, off, s[24:27], 0 offset:24 ; 4-byte Folded Reload
	buffer_load_dword v88, off, s[24:27], 0 offset:28 ; 4-byte Folded Reload
	s_waitcnt vmcnt(0)
	ds_write2_b64 v0, v[85:86], v[87:88] offset0:68 offset1:69
	buffer_load_dword v85, off, s[24:27], 0 ; 4-byte Folded Reload
	buffer_load_dword v86, off, s[24:27], 0 offset:4 ; 4-byte Folded Reload
	buffer_load_dword v87, off, s[24:27], 0 offset:8 ; 4-byte Folded Reload
	;; [unrolled: 1-line block ×3, first 2 shown]
	s_waitcnt vmcnt(0)
	ds_write2_b64 v0, v[85:86], v[87:88] offset0:70 offset1:71
	ds_write2_b64 v0, v[113:114], v[115:116] offset0:72 offset1:73
	;; [unrolled: 1-line block ×25, first 2 shown]
.LBB118_522:
	s_or_b64 exec, exec, s[0:1]
	v_cmp_lt_i32_e32 vcc, 24, v89
	s_waitcnt vmcnt(0) lgkmcnt(0)
	s_barrier
	s_and_saveexec_b64 s[0:1], vcc
	s_cbranch_execz .LBB118_524
; %bb.523:
	buffer_load_dword v95, off, s[24:27], 0 offset:176 ; 4-byte Folded Reload
	buffer_load_dword v96, off, s[24:27], 0 offset:180 ; 4-byte Folded Reload
	;; [unrolled: 1-line block ×4, first 2 shown]
	s_waitcnt vmcnt(0)
	v_mul_f64 v[85:86], v[119:120], v[97:98]
	v_fma_f64 v[125:126], v[117:118], v[95:96], -v[85:86]
	v_mul_f64 v[85:86], v[117:118], v[97:98]
	v_fma_f64 v[97:98], v[119:120], v[95:96], v[85:86]
	ds_read2_b64 v[85:88], v0 offset0:50 offset1:51
	buffer_load_dword v93, off, s[24:27], 0 offset:160 ; 4-byte Folded Reload
	buffer_load_dword v94, off, s[24:27], 0 offset:164 ; 4-byte Folded Reload
	buffer_load_dword v95, off, s[24:27], 0 offset:168 ; 4-byte Folded Reload
	buffer_load_dword v96, off, s[24:27], 0 offset:172 ; 4-byte Folded Reload
	s_waitcnt lgkmcnt(0)
	v_mul_f64 v[91:92], v[87:88], v[97:98]
	v_fma_f64 v[91:92], v[85:86], v[125:126], -v[91:92]
	v_mul_f64 v[85:86], v[85:86], v[97:98]
	v_fma_f64 v[85:86], v[87:88], v[125:126], v[85:86]
	s_waitcnt vmcnt(2)
	v_add_f64 v[93:94], v[93:94], -v[91:92]
	s_waitcnt vmcnt(0)
	v_add_f64 v[95:96], v[95:96], -v[85:86]
	buffer_store_dword v93, off, s[24:27], 0 offset:160 ; 4-byte Folded Spill
	s_nop 0
	buffer_store_dword v94, off, s[24:27], 0 offset:164 ; 4-byte Folded Spill
	buffer_store_dword v95, off, s[24:27], 0 offset:168 ; 4-byte Folded Spill
	buffer_store_dword v96, off, s[24:27], 0 offset:172 ; 4-byte Folded Spill
	ds_read2_b64 v[85:88], v0 offset0:52 offset1:53
	buffer_load_dword v93, off, s[24:27], 0 offset:144 ; 4-byte Folded Reload
	buffer_load_dword v94, off, s[24:27], 0 offset:148 ; 4-byte Folded Reload
	buffer_load_dword v95, off, s[24:27], 0 offset:152 ; 4-byte Folded Reload
	buffer_load_dword v96, off, s[24:27], 0 offset:156 ; 4-byte Folded Reload
	s_waitcnt lgkmcnt(0)
	v_mul_f64 v[91:92], v[87:88], v[97:98]
	v_fma_f64 v[91:92], v[85:86], v[125:126], -v[91:92]
	v_mul_f64 v[85:86], v[85:86], v[97:98]
	v_fma_f64 v[85:86], v[87:88], v[125:126], v[85:86]
	s_waitcnt vmcnt(2)
	v_add_f64 v[93:94], v[93:94], -v[91:92]
	s_waitcnt vmcnt(0)
	v_add_f64 v[95:96], v[95:96], -v[85:86]
	buffer_store_dword v93, off, s[24:27], 0 offset:144 ; 4-byte Folded Spill
	s_nop 0
	buffer_store_dword v94, off, s[24:27], 0 offset:148 ; 4-byte Folded Spill
	buffer_store_dword v95, off, s[24:27], 0 offset:152 ; 4-byte Folded Spill
	buffer_store_dword v96, off, s[24:27], 0 offset:156 ; 4-byte Folded Spill
	;; [unrolled: 19-line block ×10, first 2 shown]
	ds_read2_b64 v[85:88], v0 offset0:70 offset1:71
	buffer_load_dword v93, off, s[24:27], 0 ; 4-byte Folded Reload
	buffer_load_dword v94, off, s[24:27], 0 offset:4 ; 4-byte Folded Reload
	buffer_load_dword v95, off, s[24:27], 0 offset:8 ; 4-byte Folded Reload
	;; [unrolled: 1-line block ×3, first 2 shown]
	s_waitcnt lgkmcnt(0)
	v_mul_f64 v[91:92], v[87:88], v[97:98]
	v_fma_f64 v[91:92], v[85:86], v[125:126], -v[91:92]
	v_mul_f64 v[85:86], v[85:86], v[97:98]
	v_fma_f64 v[85:86], v[87:88], v[125:126], v[85:86]
	s_waitcnt vmcnt(2)
	v_add_f64 v[93:94], v[93:94], -v[91:92]
	s_waitcnt vmcnt(0)
	v_add_f64 v[95:96], v[95:96], -v[85:86]
	buffer_store_dword v93, off, s[24:27], 0 ; 4-byte Folded Spill
	s_nop 0
	buffer_store_dword v94, off, s[24:27], 0 offset:4 ; 4-byte Folded Spill
	buffer_store_dword v95, off, s[24:27], 0 offset:8 ; 4-byte Folded Spill
	;; [unrolled: 1-line block ×3, first 2 shown]
	ds_read2_b64 v[85:88], v0 offset0:72 offset1:73
	v_mov_b32_e32 v95, v125
	v_mov_b32_e32 v96, v126
	s_waitcnt lgkmcnt(0)
	v_mul_f64 v[91:92], v[87:88], v[97:98]
	v_fma_f64 v[91:92], v[85:86], v[125:126], -v[91:92]
	v_mul_f64 v[85:86], v[85:86], v[97:98]
	v_add_f64 v[113:114], v[113:114], -v[91:92]
	v_fma_f64 v[85:86], v[87:88], v[125:126], v[85:86]
	v_add_f64 v[115:116], v[115:116], -v[85:86]
	ds_read2_b64 v[85:88], v0 offset0:74 offset1:75
	s_waitcnt lgkmcnt(0)
	v_mul_f64 v[91:92], v[87:88], v[97:98]
	v_fma_f64 v[91:92], v[85:86], v[125:126], -v[91:92]
	v_mul_f64 v[85:86], v[85:86], v[97:98]
	v_add_f64 v[109:110], v[109:110], -v[91:92]
	v_fma_f64 v[85:86], v[87:88], v[125:126], v[85:86]
	v_add_f64 v[111:112], v[111:112], -v[85:86]
	ds_read2_b64 v[85:88], v0 offset0:76 offset1:77
	s_waitcnt lgkmcnt(0)
	v_mul_f64 v[91:92], v[87:88], v[97:98]
	v_fma_f64 v[91:92], v[85:86], v[125:126], -v[91:92]
	v_mul_f64 v[85:86], v[85:86], v[97:98]
	v_add_f64 v[81:82], v[81:82], -v[91:92]
	v_fma_f64 v[85:86], v[87:88], v[125:126], v[85:86]
	v_add_f64 v[83:84], v[83:84], -v[85:86]
	ds_read2_b64 v[85:88], v0 offset0:78 offset1:79
	s_waitcnt lgkmcnt(0)
	v_mul_f64 v[91:92], v[87:88], v[97:98]
	v_fma_f64 v[91:92], v[85:86], v[125:126], -v[91:92]
	v_mul_f64 v[85:86], v[85:86], v[97:98]
	v_add_f64 v[77:78], v[77:78], -v[91:92]
	v_fma_f64 v[85:86], v[87:88], v[125:126], v[85:86]
	v_add_f64 v[79:80], v[79:80], -v[85:86]
	ds_read2_b64 v[85:88], v0 offset0:80 offset1:81
	s_waitcnt lgkmcnt(0)
	v_mul_f64 v[91:92], v[87:88], v[97:98]
	v_fma_f64 v[91:92], v[85:86], v[125:126], -v[91:92]
	v_mul_f64 v[85:86], v[85:86], v[97:98]
	v_add_f64 v[73:74], v[73:74], -v[91:92]
	v_fma_f64 v[85:86], v[87:88], v[125:126], v[85:86]
	v_add_f64 v[75:76], v[75:76], -v[85:86]
	ds_read2_b64 v[85:88], v0 offset0:82 offset1:83
	s_waitcnt lgkmcnt(0)
	v_mul_f64 v[91:92], v[87:88], v[97:98]
	v_fma_f64 v[91:92], v[85:86], v[125:126], -v[91:92]
	v_mul_f64 v[85:86], v[85:86], v[97:98]
	v_add_f64 v[69:70], v[69:70], -v[91:92]
	v_fma_f64 v[85:86], v[87:88], v[125:126], v[85:86]
	v_add_f64 v[71:72], v[71:72], -v[85:86]
	ds_read2_b64 v[85:88], v0 offset0:84 offset1:85
	s_waitcnt lgkmcnt(0)
	v_mul_f64 v[91:92], v[87:88], v[97:98]
	v_fma_f64 v[91:92], v[85:86], v[125:126], -v[91:92]
	v_mul_f64 v[85:86], v[85:86], v[97:98]
	v_add_f64 v[65:66], v[65:66], -v[91:92]
	v_fma_f64 v[85:86], v[87:88], v[125:126], v[85:86]
	v_add_f64 v[67:68], v[67:68], -v[85:86]
	ds_read2_b64 v[85:88], v0 offset0:86 offset1:87
	s_waitcnt lgkmcnt(0)
	v_mul_f64 v[91:92], v[87:88], v[97:98]
	v_fma_f64 v[91:92], v[85:86], v[125:126], -v[91:92]
	v_mul_f64 v[85:86], v[85:86], v[97:98]
	v_add_f64 v[61:62], v[61:62], -v[91:92]
	v_fma_f64 v[85:86], v[87:88], v[125:126], v[85:86]
	v_add_f64 v[63:64], v[63:64], -v[85:86]
	ds_read2_b64 v[85:88], v0 offset0:88 offset1:89
	s_waitcnt lgkmcnt(0)
	v_mul_f64 v[91:92], v[87:88], v[97:98]
	v_fma_f64 v[91:92], v[85:86], v[125:126], -v[91:92]
	v_mul_f64 v[85:86], v[85:86], v[97:98]
	v_add_f64 v[57:58], v[57:58], -v[91:92]
	v_fma_f64 v[85:86], v[87:88], v[125:126], v[85:86]
	v_add_f64 v[59:60], v[59:60], -v[85:86]
	ds_read2_b64 v[85:88], v0 offset0:90 offset1:91
	s_waitcnt lgkmcnt(0)
	v_mul_f64 v[91:92], v[87:88], v[97:98]
	v_fma_f64 v[91:92], v[85:86], v[125:126], -v[91:92]
	v_mul_f64 v[85:86], v[85:86], v[97:98]
	v_add_f64 v[53:54], v[53:54], -v[91:92]
	v_fma_f64 v[85:86], v[87:88], v[125:126], v[85:86]
	v_add_f64 v[55:56], v[55:56], -v[85:86]
	ds_read2_b64 v[85:88], v0 offset0:92 offset1:93
	s_waitcnt lgkmcnt(0)
	v_mul_f64 v[91:92], v[87:88], v[97:98]
	v_fma_f64 v[91:92], v[85:86], v[125:126], -v[91:92]
	v_mul_f64 v[85:86], v[85:86], v[97:98]
	v_add_f64 v[49:50], v[49:50], -v[91:92]
	v_fma_f64 v[85:86], v[87:88], v[125:126], v[85:86]
	v_add_f64 v[51:52], v[51:52], -v[85:86]
	ds_read2_b64 v[85:88], v0 offset0:94 offset1:95
	s_waitcnt lgkmcnt(0)
	v_mul_f64 v[91:92], v[87:88], v[97:98]
	v_fma_f64 v[91:92], v[85:86], v[125:126], -v[91:92]
	v_mul_f64 v[85:86], v[85:86], v[97:98]
	v_add_f64 v[45:46], v[45:46], -v[91:92]
	v_fma_f64 v[85:86], v[87:88], v[125:126], v[85:86]
	v_add_f64 v[47:48], v[47:48], -v[85:86]
	ds_read2_b64 v[85:88], v0 offset0:96 offset1:97
	s_waitcnt lgkmcnt(0)
	v_mul_f64 v[91:92], v[87:88], v[97:98]
	v_fma_f64 v[91:92], v[85:86], v[125:126], -v[91:92]
	v_mul_f64 v[85:86], v[85:86], v[97:98]
	v_add_f64 v[41:42], v[41:42], -v[91:92]
	v_fma_f64 v[85:86], v[87:88], v[125:126], v[85:86]
	v_add_f64 v[43:44], v[43:44], -v[85:86]
	ds_read2_b64 v[85:88], v0 offset0:98 offset1:99
	s_waitcnt lgkmcnt(0)
	v_mul_f64 v[91:92], v[87:88], v[97:98]
	v_fma_f64 v[91:92], v[85:86], v[125:126], -v[91:92]
	v_mul_f64 v[85:86], v[85:86], v[97:98]
	v_add_f64 v[37:38], v[37:38], -v[91:92]
	v_fma_f64 v[85:86], v[87:88], v[125:126], v[85:86]
	v_add_f64 v[39:40], v[39:40], -v[85:86]
	ds_read2_b64 v[85:88], v0 offset0:100 offset1:101
	s_waitcnt lgkmcnt(0)
	v_mul_f64 v[91:92], v[87:88], v[97:98]
	v_fma_f64 v[91:92], v[85:86], v[125:126], -v[91:92]
	v_mul_f64 v[85:86], v[85:86], v[97:98]
	v_add_f64 v[33:34], v[33:34], -v[91:92]
	v_fma_f64 v[85:86], v[87:88], v[125:126], v[85:86]
	v_add_f64 v[35:36], v[35:36], -v[85:86]
	ds_read2_b64 v[85:88], v0 offset0:102 offset1:103
	s_waitcnt lgkmcnt(0)
	v_mul_f64 v[91:92], v[87:88], v[97:98]
	v_fma_f64 v[91:92], v[85:86], v[125:126], -v[91:92]
	v_mul_f64 v[85:86], v[85:86], v[97:98]
	v_add_f64 v[29:30], v[29:30], -v[91:92]
	v_fma_f64 v[85:86], v[87:88], v[125:126], v[85:86]
	v_add_f64 v[31:32], v[31:32], -v[85:86]
	ds_read2_b64 v[85:88], v0 offset0:104 offset1:105
	s_waitcnt lgkmcnt(0)
	v_mul_f64 v[91:92], v[87:88], v[97:98]
	v_fma_f64 v[91:92], v[85:86], v[125:126], -v[91:92]
	v_mul_f64 v[85:86], v[85:86], v[97:98]
	v_add_f64 v[25:26], v[25:26], -v[91:92]
	v_fma_f64 v[85:86], v[87:88], v[125:126], v[85:86]
	v_add_f64 v[27:28], v[27:28], -v[85:86]
	ds_read2_b64 v[85:88], v0 offset0:106 offset1:107
	s_waitcnt lgkmcnt(0)
	v_mul_f64 v[91:92], v[87:88], v[97:98]
	v_fma_f64 v[91:92], v[85:86], v[125:126], -v[91:92]
	v_mul_f64 v[85:86], v[85:86], v[97:98]
	v_add_f64 v[21:22], v[21:22], -v[91:92]
	v_fma_f64 v[85:86], v[87:88], v[125:126], v[85:86]
	v_add_f64 v[23:24], v[23:24], -v[85:86]
	ds_read2_b64 v[85:88], v0 offset0:108 offset1:109
	s_waitcnt lgkmcnt(0)
	v_mul_f64 v[91:92], v[87:88], v[97:98]
	v_fma_f64 v[91:92], v[85:86], v[125:126], -v[91:92]
	v_mul_f64 v[85:86], v[85:86], v[97:98]
	v_add_f64 v[17:18], v[17:18], -v[91:92]
	v_fma_f64 v[85:86], v[87:88], v[125:126], v[85:86]
	v_add_f64 v[19:20], v[19:20], -v[85:86]
	ds_read2_b64 v[85:88], v0 offset0:110 offset1:111
	s_waitcnt lgkmcnt(0)
	v_mul_f64 v[91:92], v[87:88], v[97:98]
	v_fma_f64 v[91:92], v[85:86], v[125:126], -v[91:92]
	v_mul_f64 v[85:86], v[85:86], v[97:98]
	v_add_f64 v[13:14], v[13:14], -v[91:92]
	v_fma_f64 v[85:86], v[87:88], v[125:126], v[85:86]
	v_add_f64 v[15:16], v[15:16], -v[85:86]
	ds_read2_b64 v[85:88], v0 offset0:112 offset1:113
	s_waitcnt lgkmcnt(0)
	v_mul_f64 v[91:92], v[87:88], v[97:98]
	v_fma_f64 v[91:92], v[85:86], v[125:126], -v[91:92]
	v_mul_f64 v[85:86], v[85:86], v[97:98]
	v_add_f64 v[9:10], v[9:10], -v[91:92]
	v_fma_f64 v[85:86], v[87:88], v[125:126], v[85:86]
	v_add_f64 v[11:12], v[11:12], -v[85:86]
	ds_read2_b64 v[85:88], v0 offset0:114 offset1:115
	s_waitcnt lgkmcnt(0)
	v_mul_f64 v[91:92], v[87:88], v[97:98]
	v_fma_f64 v[91:92], v[85:86], v[125:126], -v[91:92]
	v_mul_f64 v[85:86], v[85:86], v[97:98]
	v_add_f64 v[5:6], v[5:6], -v[91:92]
	v_fma_f64 v[85:86], v[87:88], v[125:126], v[85:86]
	v_add_f64 v[7:8], v[7:8], -v[85:86]
	ds_read2_b64 v[85:88], v0 offset0:116 offset1:117
	s_waitcnt lgkmcnt(0)
	v_mul_f64 v[91:92], v[87:88], v[97:98]
	v_fma_f64 v[91:92], v[85:86], v[125:126], -v[91:92]
	v_mul_f64 v[85:86], v[85:86], v[97:98]
	v_add_f64 v[1:2], v[1:2], -v[91:92]
	v_fma_f64 v[85:86], v[87:88], v[125:126], v[85:86]
	v_add_f64 v[3:4], v[3:4], -v[85:86]
	ds_read2_b64 v[85:88], v0 offset0:118 offset1:119
	s_waitcnt lgkmcnt(0)
	v_mul_f64 v[91:92], v[87:88], v[97:98]
	v_fma_f64 v[91:92], v[85:86], v[125:126], -v[91:92]
	v_mul_f64 v[85:86], v[85:86], v[97:98]
	buffer_store_dword v95, off, s[24:27], 0 offset:176 ; 4-byte Folded Spill
	s_nop 0
	buffer_store_dword v96, off, s[24:27], 0 offset:180 ; 4-byte Folded Spill
	buffer_store_dword v97, off, s[24:27], 0 offset:184 ; 4-byte Folded Spill
	;; [unrolled: 1-line block ×3, first 2 shown]
	v_add_f64 v[121:122], v[121:122], -v[91:92]
	v_fma_f64 v[85:86], v[87:88], v[125:126], v[85:86]
	v_add_f64 v[123:124], v[123:124], -v[85:86]
.LBB118_524:
	s_or_b64 exec, exec, s[0:1]
	s_waitcnt vmcnt(0)
	s_barrier
	buffer_load_dword v91, off, s[24:27], 0 offset:160 ; 4-byte Folded Reload
	buffer_load_dword v92, off, s[24:27], 0 offset:164 ; 4-byte Folded Reload
	;; [unrolled: 1-line block ×4, first 2 shown]
	v_lshl_add_u32 v85, v89, 4, v0
	s_cmp_lt_i32 s3, 27
	s_waitcnt vmcnt(0)
	ds_write2_b64 v85, v[91:92], v[93:94] offset1:1
	s_waitcnt lgkmcnt(0)
	s_barrier
	ds_read2_b64 v[117:120], v0 offset0:50 offset1:51
	v_mov_b32_e32 v85, 25
	s_cbranch_scc1 .LBB118_527
; %bb.525:
	v_add_u32_e32 v86, 0x1a0, v0
	s_mov_b32 s0, 26
	v_mov_b32_e32 v85, 25
.LBB118_526:                            ; =>This Inner Loop Header: Depth=1
	s_waitcnt lgkmcnt(0)
	v_cmp_gt_f64_e32 vcc, 0, v[117:118]
	v_xor_b32_e32 v87, 0x80000000, v118
	ds_read2_b64 v[91:94], v86 offset1:1
	v_xor_b32_e32 v95, 0x80000000, v120
	v_add_u32_e32 v86, 16, v86
	s_waitcnt lgkmcnt(0)
	v_xor_b32_e32 v97, 0x80000000, v94
	v_cndmask_b32_e32 v88, v118, v87, vcc
	v_cmp_gt_f64_e32 vcc, 0, v[119:120]
	v_mov_b32_e32 v87, v117
	v_cndmask_b32_e32 v96, v120, v95, vcc
	v_cmp_gt_f64_e32 vcc, 0, v[91:92]
	v_mov_b32_e32 v95, v119
	v_add_f64 v[87:88], v[87:88], v[95:96]
	v_xor_b32_e32 v95, 0x80000000, v92
	v_cndmask_b32_e32 v96, v92, v95, vcc
	v_cmp_gt_f64_e32 vcc, 0, v[93:94]
	v_mov_b32_e32 v95, v91
	v_cndmask_b32_e32 v98, v94, v97, vcc
	v_mov_b32_e32 v97, v93
	v_add_f64 v[95:96], v[95:96], v[97:98]
	v_cmp_lt_f64_e32 vcc, v[87:88], v[95:96]
	v_mov_b32_e32 v87, s0
	s_add_i32 s0, s0, 1
	s_cmp_lg_u32 s3, s0
	v_cndmask_b32_e32 v118, v118, v92, vcc
	v_cndmask_b32_e32 v117, v117, v91, vcc
	;; [unrolled: 1-line block ×5, first 2 shown]
	s_cbranch_scc1 .LBB118_526
.LBB118_527:
	s_waitcnt lgkmcnt(0)
	v_cmp_eq_f64_e32 vcc, 0, v[117:118]
	v_cmp_eq_f64_e64 s[0:1], 0, v[119:120]
	s_and_b64 s[0:1], vcc, s[0:1]
	s_and_saveexec_b64 s[18:19], s[0:1]
	s_xor_b64 s[0:1], exec, s[18:19]
; %bb.528:
	v_cmp_ne_u32_e32 vcc, 0, v90
	v_cndmask_b32_e32 v90, 26, v90, vcc
; %bb.529:
	s_andn2_saveexec_b64 s[0:1], s[0:1]
	s_cbranch_execz .LBB118_535
; %bb.530:
	v_cmp_ngt_f64_e64 s[18:19], |v[117:118]|, |v[119:120]|
	s_and_saveexec_b64 s[20:21], s[18:19]
	s_xor_b64 s[18:19], exec, s[20:21]
	s_cbranch_execz .LBB118_532
; %bb.531:
	v_div_scale_f64 v[86:87], s[20:21], v[119:120], v[119:120], v[117:118]
	v_rcp_f64_e32 v[91:92], v[86:87]
	v_fma_f64 v[93:94], -v[86:87], v[91:92], 1.0
	v_fma_f64 v[91:92], v[91:92], v[93:94], v[91:92]
	v_div_scale_f64 v[93:94], vcc, v[117:118], v[119:120], v[117:118]
	v_fma_f64 v[95:96], -v[86:87], v[91:92], 1.0
	v_fma_f64 v[91:92], v[91:92], v[95:96], v[91:92]
	v_mul_f64 v[95:96], v[93:94], v[91:92]
	v_fma_f64 v[86:87], -v[86:87], v[95:96], v[93:94]
	v_div_fmas_f64 v[86:87], v[86:87], v[91:92], v[95:96]
	v_div_fixup_f64 v[86:87], v[86:87], v[119:120], v[117:118]
	v_fma_f64 v[91:92], v[117:118], v[86:87], v[119:120]
	v_div_scale_f64 v[93:94], s[20:21], v[91:92], v[91:92], 1.0
	v_div_scale_f64 v[99:100], vcc, 1.0, v[91:92], 1.0
	v_rcp_f64_e32 v[95:96], v[93:94]
	v_fma_f64 v[97:98], -v[93:94], v[95:96], 1.0
	v_fma_f64 v[95:96], v[95:96], v[97:98], v[95:96]
	v_fma_f64 v[97:98], -v[93:94], v[95:96], 1.0
	v_fma_f64 v[95:96], v[95:96], v[97:98], v[95:96]
	v_mul_f64 v[97:98], v[99:100], v[95:96]
	v_fma_f64 v[93:94], -v[93:94], v[97:98], v[99:100]
	v_div_fmas_f64 v[93:94], v[93:94], v[95:96], v[97:98]
	v_div_fixup_f64 v[119:120], v[93:94], v[91:92], 1.0
	v_mul_f64 v[117:118], v[86:87], v[119:120]
	v_xor_b32_e32 v120, 0x80000000, v120
.LBB118_532:
	s_andn2_saveexec_b64 s[18:19], s[18:19]
	s_cbranch_execz .LBB118_534
; %bb.533:
	v_div_scale_f64 v[86:87], s[20:21], v[117:118], v[117:118], v[119:120]
	v_rcp_f64_e32 v[91:92], v[86:87]
	v_fma_f64 v[93:94], -v[86:87], v[91:92], 1.0
	v_fma_f64 v[91:92], v[91:92], v[93:94], v[91:92]
	v_div_scale_f64 v[93:94], vcc, v[119:120], v[117:118], v[119:120]
	v_fma_f64 v[95:96], -v[86:87], v[91:92], 1.0
	v_fma_f64 v[91:92], v[91:92], v[95:96], v[91:92]
	v_mul_f64 v[95:96], v[93:94], v[91:92]
	v_fma_f64 v[86:87], -v[86:87], v[95:96], v[93:94]
	v_div_fmas_f64 v[86:87], v[86:87], v[91:92], v[95:96]
	v_div_fixup_f64 v[86:87], v[86:87], v[117:118], v[119:120]
	v_fma_f64 v[91:92], v[119:120], v[86:87], v[117:118]
	v_div_scale_f64 v[93:94], s[20:21], v[91:92], v[91:92], 1.0
	v_div_scale_f64 v[99:100], vcc, 1.0, v[91:92], 1.0
	v_rcp_f64_e32 v[95:96], v[93:94]
	v_fma_f64 v[97:98], -v[93:94], v[95:96], 1.0
	v_fma_f64 v[95:96], v[95:96], v[97:98], v[95:96]
	v_fma_f64 v[97:98], -v[93:94], v[95:96], 1.0
	v_fma_f64 v[95:96], v[95:96], v[97:98], v[95:96]
	v_mul_f64 v[97:98], v[99:100], v[95:96]
	v_fma_f64 v[93:94], -v[93:94], v[97:98], v[99:100]
	v_div_fmas_f64 v[93:94], v[93:94], v[95:96], v[97:98]
	v_div_fixup_f64 v[117:118], v[93:94], v[91:92], 1.0
	v_mul_f64 v[119:120], v[86:87], -v[117:118]
.LBB118_534:
	s_or_b64 exec, exec, s[18:19]
.LBB118_535:
	s_or_b64 exec, exec, s[0:1]
	v_cmp_ne_u32_e32 vcc, v89, v85
	s_and_saveexec_b64 s[0:1], vcc
	s_xor_b64 s[0:1], exec, s[0:1]
	s_cbranch_execz .LBB118_541
; %bb.536:
	v_cmp_eq_u32_e32 vcc, 25, v89
	s_and_saveexec_b64 s[18:19], vcc
	s_cbranch_execz .LBB118_540
; %bb.537:
	v_cmp_ne_u32_e32 vcc, 25, v85
	s_xor_b64 s[20:21], s[6:7], -1
	s_and_b64 s[22:23], s[20:21], vcc
	s_and_saveexec_b64 s[20:21], s[22:23]
	s_cbranch_execz .LBB118_539
; %bb.538:
	v_ashrrev_i32_e32 v86, 31, v85
	v_lshlrev_b64 v[86:87], 2, v[85:86]
	v_add_co_u32_e32 v86, vcc, v107, v86
	v_addc_co_u32_e32 v87, vcc, v108, v87, vcc
	global_load_dword v88, v[86:87], off
	global_load_dword v89, v[107:108], off offset:100
	s_waitcnt vmcnt(1)
	global_store_dword v[107:108], v88, off offset:100
	s_waitcnt vmcnt(1)
	global_store_dword v[86:87], v89, off
.LBB118_539:
	s_or_b64 exec, exec, s[20:21]
	v_mov_b32_e32 v89, v85
	v_mov_b32_e32 v127, v85
.LBB118_540:
	s_or_b64 exec, exec, s[18:19]
.LBB118_541:
	s_andn2_saveexec_b64 s[0:1], s[0:1]
	s_cbranch_execz .LBB118_543
; %bb.542:
	buffer_load_dword v85, off, s[24:27], 0 offset:144 ; 4-byte Folded Reload
	buffer_load_dword v86, off, s[24:27], 0 offset:148 ; 4-byte Folded Reload
	;; [unrolled: 1-line block ×4, first 2 shown]
	v_mov_b32_e32 v89, 25
	s_waitcnt vmcnt(0)
	ds_write2_b64 v0, v[85:86], v[87:88] offset0:52 offset1:53
	buffer_load_dword v85, off, s[24:27], 0 offset:128 ; 4-byte Folded Reload
	buffer_load_dword v86, off, s[24:27], 0 offset:132 ; 4-byte Folded Reload
	buffer_load_dword v87, off, s[24:27], 0 offset:136 ; 4-byte Folded Reload
	buffer_load_dword v88, off, s[24:27], 0 offset:140 ; 4-byte Folded Reload
	s_waitcnt vmcnt(0)
	ds_write2_b64 v0, v[85:86], v[87:88] offset0:54 offset1:55
	buffer_load_dword v85, off, s[24:27], 0 offset:112 ; 4-byte Folded Reload
	buffer_load_dword v86, off, s[24:27], 0 offset:116 ; 4-byte Folded Reload
	buffer_load_dword v87, off, s[24:27], 0 offset:120 ; 4-byte Folded Reload
	buffer_load_dword v88, off, s[24:27], 0 offset:124 ; 4-byte Folded Reload
	;; [unrolled: 6-line block ×8, first 2 shown]
	s_waitcnt vmcnt(0)
	ds_write2_b64 v0, v[85:86], v[87:88] offset0:68 offset1:69
	buffer_load_dword v85, off, s[24:27], 0 ; 4-byte Folded Reload
	buffer_load_dword v86, off, s[24:27], 0 offset:4 ; 4-byte Folded Reload
	buffer_load_dword v87, off, s[24:27], 0 offset:8 ; 4-byte Folded Reload
	buffer_load_dword v88, off, s[24:27], 0 offset:12 ; 4-byte Folded Reload
	s_waitcnt vmcnt(0)
	ds_write2_b64 v0, v[85:86], v[87:88] offset0:70 offset1:71
	ds_write2_b64 v0, v[113:114], v[115:116] offset0:72 offset1:73
	;; [unrolled: 1-line block ×25, first 2 shown]
.LBB118_543:
	s_or_b64 exec, exec, s[0:1]
	v_cmp_lt_i32_e32 vcc, 25, v89
	s_waitcnt vmcnt(0) lgkmcnt(0)
	s_barrier
	s_and_saveexec_b64 s[0:1], vcc
	s_cbranch_execz .LBB118_545
; %bb.544:
	buffer_load_dword v95, off, s[24:27], 0 offset:160 ; 4-byte Folded Reload
	buffer_load_dword v96, off, s[24:27], 0 offset:164 ; 4-byte Folded Reload
	;; [unrolled: 1-line block ×4, first 2 shown]
	s_waitcnt vmcnt(0)
	v_mul_f64 v[85:86], v[119:120], v[97:98]
	v_fma_f64 v[125:126], v[117:118], v[95:96], -v[85:86]
	v_mul_f64 v[85:86], v[117:118], v[97:98]
	v_fma_f64 v[97:98], v[119:120], v[95:96], v[85:86]
	ds_read2_b64 v[85:88], v0 offset0:52 offset1:53
	buffer_load_dword v93, off, s[24:27], 0 offset:144 ; 4-byte Folded Reload
	buffer_load_dword v94, off, s[24:27], 0 offset:148 ; 4-byte Folded Reload
	buffer_load_dword v95, off, s[24:27], 0 offset:152 ; 4-byte Folded Reload
	buffer_load_dword v96, off, s[24:27], 0 offset:156 ; 4-byte Folded Reload
	s_waitcnt lgkmcnt(0)
	v_mul_f64 v[91:92], v[87:88], v[97:98]
	v_fma_f64 v[91:92], v[85:86], v[125:126], -v[91:92]
	v_mul_f64 v[85:86], v[85:86], v[97:98]
	v_fma_f64 v[85:86], v[87:88], v[125:126], v[85:86]
	s_waitcnt vmcnt(2)
	v_add_f64 v[93:94], v[93:94], -v[91:92]
	s_waitcnt vmcnt(0)
	v_add_f64 v[95:96], v[95:96], -v[85:86]
	buffer_store_dword v93, off, s[24:27], 0 offset:144 ; 4-byte Folded Spill
	s_nop 0
	buffer_store_dword v94, off, s[24:27], 0 offset:148 ; 4-byte Folded Spill
	buffer_store_dword v95, off, s[24:27], 0 offset:152 ; 4-byte Folded Spill
	buffer_store_dword v96, off, s[24:27], 0 offset:156 ; 4-byte Folded Spill
	ds_read2_b64 v[85:88], v0 offset0:54 offset1:55
	buffer_load_dword v93, off, s[24:27], 0 offset:128 ; 4-byte Folded Reload
	buffer_load_dword v94, off, s[24:27], 0 offset:132 ; 4-byte Folded Reload
	buffer_load_dword v95, off, s[24:27], 0 offset:136 ; 4-byte Folded Reload
	buffer_load_dword v96, off, s[24:27], 0 offset:140 ; 4-byte Folded Reload
	s_waitcnt lgkmcnt(0)
	v_mul_f64 v[91:92], v[87:88], v[97:98]
	v_fma_f64 v[91:92], v[85:86], v[125:126], -v[91:92]
	v_mul_f64 v[85:86], v[85:86], v[97:98]
	v_fma_f64 v[85:86], v[87:88], v[125:126], v[85:86]
	s_waitcnt vmcnt(2)
	v_add_f64 v[93:94], v[93:94], -v[91:92]
	s_waitcnt vmcnt(0)
	v_add_f64 v[95:96], v[95:96], -v[85:86]
	buffer_store_dword v93, off, s[24:27], 0 offset:128 ; 4-byte Folded Spill
	s_nop 0
	buffer_store_dword v94, off, s[24:27], 0 offset:132 ; 4-byte Folded Spill
	buffer_store_dword v95, off, s[24:27], 0 offset:136 ; 4-byte Folded Spill
	buffer_store_dword v96, off, s[24:27], 0 offset:140 ; 4-byte Folded Spill
	;; [unrolled: 19-line block ×9, first 2 shown]
	ds_read2_b64 v[85:88], v0 offset0:70 offset1:71
	buffer_load_dword v93, off, s[24:27], 0 ; 4-byte Folded Reload
	buffer_load_dword v94, off, s[24:27], 0 offset:4 ; 4-byte Folded Reload
	buffer_load_dword v95, off, s[24:27], 0 offset:8 ; 4-byte Folded Reload
	;; [unrolled: 1-line block ×3, first 2 shown]
	s_waitcnt lgkmcnt(0)
	v_mul_f64 v[91:92], v[87:88], v[97:98]
	v_fma_f64 v[91:92], v[85:86], v[125:126], -v[91:92]
	v_mul_f64 v[85:86], v[85:86], v[97:98]
	v_fma_f64 v[85:86], v[87:88], v[125:126], v[85:86]
	s_waitcnt vmcnt(2)
	v_add_f64 v[93:94], v[93:94], -v[91:92]
	s_waitcnt vmcnt(0)
	v_add_f64 v[95:96], v[95:96], -v[85:86]
	buffer_store_dword v93, off, s[24:27], 0 ; 4-byte Folded Spill
	s_nop 0
	buffer_store_dword v94, off, s[24:27], 0 offset:4 ; 4-byte Folded Spill
	buffer_store_dword v95, off, s[24:27], 0 offset:8 ; 4-byte Folded Spill
	;; [unrolled: 1-line block ×3, first 2 shown]
	ds_read2_b64 v[85:88], v0 offset0:72 offset1:73
	v_mov_b32_e32 v95, v125
	v_mov_b32_e32 v96, v126
	s_waitcnt lgkmcnt(0)
	v_mul_f64 v[91:92], v[87:88], v[97:98]
	v_fma_f64 v[91:92], v[85:86], v[125:126], -v[91:92]
	v_mul_f64 v[85:86], v[85:86], v[97:98]
	v_add_f64 v[113:114], v[113:114], -v[91:92]
	v_fma_f64 v[85:86], v[87:88], v[125:126], v[85:86]
	v_add_f64 v[115:116], v[115:116], -v[85:86]
	ds_read2_b64 v[85:88], v0 offset0:74 offset1:75
	s_waitcnt lgkmcnt(0)
	v_mul_f64 v[91:92], v[87:88], v[97:98]
	v_fma_f64 v[91:92], v[85:86], v[125:126], -v[91:92]
	v_mul_f64 v[85:86], v[85:86], v[97:98]
	v_add_f64 v[109:110], v[109:110], -v[91:92]
	v_fma_f64 v[85:86], v[87:88], v[125:126], v[85:86]
	v_add_f64 v[111:112], v[111:112], -v[85:86]
	ds_read2_b64 v[85:88], v0 offset0:76 offset1:77
	;; [unrolled: 8-line block ×23, first 2 shown]
	s_waitcnt lgkmcnt(0)
	v_mul_f64 v[91:92], v[87:88], v[97:98]
	v_fma_f64 v[91:92], v[85:86], v[125:126], -v[91:92]
	v_mul_f64 v[85:86], v[85:86], v[97:98]
	buffer_store_dword v95, off, s[24:27], 0 offset:160 ; 4-byte Folded Spill
	s_nop 0
	buffer_store_dword v96, off, s[24:27], 0 offset:164 ; 4-byte Folded Spill
	buffer_store_dword v97, off, s[24:27], 0 offset:168 ; 4-byte Folded Spill
	;; [unrolled: 1-line block ×3, first 2 shown]
	v_add_f64 v[121:122], v[121:122], -v[91:92]
	v_fma_f64 v[85:86], v[87:88], v[125:126], v[85:86]
	v_add_f64 v[123:124], v[123:124], -v[85:86]
.LBB118_545:
	s_or_b64 exec, exec, s[0:1]
	s_waitcnt vmcnt(0)
	s_barrier
	buffer_load_dword v91, off, s[24:27], 0 offset:144 ; 4-byte Folded Reload
	buffer_load_dword v92, off, s[24:27], 0 offset:148 ; 4-byte Folded Reload
	;; [unrolled: 1-line block ×4, first 2 shown]
	v_lshl_add_u32 v85, v89, 4, v0
	s_cmp_lt_i32 s3, 28
	s_waitcnt vmcnt(0)
	ds_write2_b64 v85, v[91:92], v[93:94] offset1:1
	s_waitcnt lgkmcnt(0)
	s_barrier
	ds_read2_b64 v[117:120], v0 offset0:52 offset1:53
	v_mov_b32_e32 v85, 26
	s_cbranch_scc1 .LBB118_548
; %bb.546:
	v_add_u32_e32 v86, 0x1b0, v0
	s_mov_b32 s0, 27
	v_mov_b32_e32 v85, 26
.LBB118_547:                            ; =>This Inner Loop Header: Depth=1
	s_waitcnt lgkmcnt(0)
	v_cmp_gt_f64_e32 vcc, 0, v[117:118]
	v_xor_b32_e32 v87, 0x80000000, v118
	ds_read2_b64 v[91:94], v86 offset1:1
	v_xor_b32_e32 v95, 0x80000000, v120
	v_add_u32_e32 v86, 16, v86
	s_waitcnt lgkmcnt(0)
	v_xor_b32_e32 v97, 0x80000000, v94
	v_cndmask_b32_e32 v88, v118, v87, vcc
	v_cmp_gt_f64_e32 vcc, 0, v[119:120]
	v_mov_b32_e32 v87, v117
	v_cndmask_b32_e32 v96, v120, v95, vcc
	v_cmp_gt_f64_e32 vcc, 0, v[91:92]
	v_mov_b32_e32 v95, v119
	v_add_f64 v[87:88], v[87:88], v[95:96]
	v_xor_b32_e32 v95, 0x80000000, v92
	v_cndmask_b32_e32 v96, v92, v95, vcc
	v_cmp_gt_f64_e32 vcc, 0, v[93:94]
	v_mov_b32_e32 v95, v91
	v_cndmask_b32_e32 v98, v94, v97, vcc
	v_mov_b32_e32 v97, v93
	v_add_f64 v[95:96], v[95:96], v[97:98]
	v_cmp_lt_f64_e32 vcc, v[87:88], v[95:96]
	v_mov_b32_e32 v87, s0
	s_add_i32 s0, s0, 1
	s_cmp_lg_u32 s3, s0
	v_cndmask_b32_e32 v118, v118, v92, vcc
	v_cndmask_b32_e32 v117, v117, v91, vcc
	;; [unrolled: 1-line block ×5, first 2 shown]
	s_cbranch_scc1 .LBB118_547
.LBB118_548:
	s_waitcnt lgkmcnt(0)
	v_cmp_eq_f64_e32 vcc, 0, v[117:118]
	v_cmp_eq_f64_e64 s[0:1], 0, v[119:120]
	s_and_b64 s[0:1], vcc, s[0:1]
	s_and_saveexec_b64 s[18:19], s[0:1]
	s_xor_b64 s[0:1], exec, s[18:19]
; %bb.549:
	v_cmp_ne_u32_e32 vcc, 0, v90
	v_cndmask_b32_e32 v90, 27, v90, vcc
; %bb.550:
	s_andn2_saveexec_b64 s[0:1], s[0:1]
	s_cbranch_execz .LBB118_556
; %bb.551:
	v_cmp_ngt_f64_e64 s[18:19], |v[117:118]|, |v[119:120]|
	s_and_saveexec_b64 s[20:21], s[18:19]
	s_xor_b64 s[18:19], exec, s[20:21]
	s_cbranch_execz .LBB118_553
; %bb.552:
	v_div_scale_f64 v[86:87], s[20:21], v[119:120], v[119:120], v[117:118]
	v_rcp_f64_e32 v[91:92], v[86:87]
	v_fma_f64 v[93:94], -v[86:87], v[91:92], 1.0
	v_fma_f64 v[91:92], v[91:92], v[93:94], v[91:92]
	v_div_scale_f64 v[93:94], vcc, v[117:118], v[119:120], v[117:118]
	v_fma_f64 v[95:96], -v[86:87], v[91:92], 1.0
	v_fma_f64 v[91:92], v[91:92], v[95:96], v[91:92]
	v_mul_f64 v[95:96], v[93:94], v[91:92]
	v_fma_f64 v[86:87], -v[86:87], v[95:96], v[93:94]
	v_div_fmas_f64 v[86:87], v[86:87], v[91:92], v[95:96]
	v_div_fixup_f64 v[86:87], v[86:87], v[119:120], v[117:118]
	v_fma_f64 v[91:92], v[117:118], v[86:87], v[119:120]
	v_div_scale_f64 v[93:94], s[20:21], v[91:92], v[91:92], 1.0
	v_div_scale_f64 v[99:100], vcc, 1.0, v[91:92], 1.0
	v_rcp_f64_e32 v[95:96], v[93:94]
	v_fma_f64 v[97:98], -v[93:94], v[95:96], 1.0
	v_fma_f64 v[95:96], v[95:96], v[97:98], v[95:96]
	v_fma_f64 v[97:98], -v[93:94], v[95:96], 1.0
	v_fma_f64 v[95:96], v[95:96], v[97:98], v[95:96]
	v_mul_f64 v[97:98], v[99:100], v[95:96]
	v_fma_f64 v[93:94], -v[93:94], v[97:98], v[99:100]
	v_div_fmas_f64 v[93:94], v[93:94], v[95:96], v[97:98]
	v_div_fixup_f64 v[119:120], v[93:94], v[91:92], 1.0
	v_mul_f64 v[117:118], v[86:87], v[119:120]
	v_xor_b32_e32 v120, 0x80000000, v120
.LBB118_553:
	s_andn2_saveexec_b64 s[18:19], s[18:19]
	s_cbranch_execz .LBB118_555
; %bb.554:
	v_div_scale_f64 v[86:87], s[20:21], v[117:118], v[117:118], v[119:120]
	v_rcp_f64_e32 v[91:92], v[86:87]
	v_fma_f64 v[93:94], -v[86:87], v[91:92], 1.0
	v_fma_f64 v[91:92], v[91:92], v[93:94], v[91:92]
	v_div_scale_f64 v[93:94], vcc, v[119:120], v[117:118], v[119:120]
	v_fma_f64 v[95:96], -v[86:87], v[91:92], 1.0
	v_fma_f64 v[91:92], v[91:92], v[95:96], v[91:92]
	v_mul_f64 v[95:96], v[93:94], v[91:92]
	v_fma_f64 v[86:87], -v[86:87], v[95:96], v[93:94]
	v_div_fmas_f64 v[86:87], v[86:87], v[91:92], v[95:96]
	v_div_fixup_f64 v[86:87], v[86:87], v[117:118], v[119:120]
	v_fma_f64 v[91:92], v[119:120], v[86:87], v[117:118]
	v_div_scale_f64 v[93:94], s[20:21], v[91:92], v[91:92], 1.0
	v_div_scale_f64 v[99:100], vcc, 1.0, v[91:92], 1.0
	v_rcp_f64_e32 v[95:96], v[93:94]
	v_fma_f64 v[97:98], -v[93:94], v[95:96], 1.0
	v_fma_f64 v[95:96], v[95:96], v[97:98], v[95:96]
	v_fma_f64 v[97:98], -v[93:94], v[95:96], 1.0
	v_fma_f64 v[95:96], v[95:96], v[97:98], v[95:96]
	v_mul_f64 v[97:98], v[99:100], v[95:96]
	v_fma_f64 v[93:94], -v[93:94], v[97:98], v[99:100]
	v_div_fmas_f64 v[93:94], v[93:94], v[95:96], v[97:98]
	v_div_fixup_f64 v[117:118], v[93:94], v[91:92], 1.0
	v_mul_f64 v[119:120], v[86:87], -v[117:118]
.LBB118_555:
	s_or_b64 exec, exec, s[18:19]
.LBB118_556:
	s_or_b64 exec, exec, s[0:1]
	v_cmp_ne_u32_e32 vcc, v89, v85
	s_and_saveexec_b64 s[0:1], vcc
	s_xor_b64 s[0:1], exec, s[0:1]
	s_cbranch_execz .LBB118_562
; %bb.557:
	v_cmp_eq_u32_e32 vcc, 26, v89
	s_and_saveexec_b64 s[18:19], vcc
	s_cbranch_execz .LBB118_561
; %bb.558:
	v_cmp_ne_u32_e32 vcc, 26, v85
	s_xor_b64 s[20:21], s[6:7], -1
	s_and_b64 s[22:23], s[20:21], vcc
	s_and_saveexec_b64 s[20:21], s[22:23]
	s_cbranch_execz .LBB118_560
; %bb.559:
	v_ashrrev_i32_e32 v86, 31, v85
	v_lshlrev_b64 v[86:87], 2, v[85:86]
	v_add_co_u32_e32 v86, vcc, v107, v86
	v_addc_co_u32_e32 v87, vcc, v108, v87, vcc
	global_load_dword v88, v[86:87], off
	global_load_dword v89, v[107:108], off offset:104
	s_waitcnt vmcnt(1)
	global_store_dword v[107:108], v88, off offset:104
	s_waitcnt vmcnt(1)
	global_store_dword v[86:87], v89, off
.LBB118_560:
	s_or_b64 exec, exec, s[20:21]
	v_mov_b32_e32 v89, v85
	v_mov_b32_e32 v127, v85
.LBB118_561:
	s_or_b64 exec, exec, s[18:19]
.LBB118_562:
	s_andn2_saveexec_b64 s[0:1], s[0:1]
	s_cbranch_execz .LBB118_564
; %bb.563:
	buffer_load_dword v85, off, s[24:27], 0 offset:128 ; 4-byte Folded Reload
	buffer_load_dword v86, off, s[24:27], 0 offset:132 ; 4-byte Folded Reload
	;; [unrolled: 1-line block ×4, first 2 shown]
	v_mov_b32_e32 v89, 26
	s_waitcnt vmcnt(0)
	ds_write2_b64 v0, v[85:86], v[87:88] offset0:54 offset1:55
	buffer_load_dword v85, off, s[24:27], 0 offset:112 ; 4-byte Folded Reload
	buffer_load_dword v86, off, s[24:27], 0 offset:116 ; 4-byte Folded Reload
	buffer_load_dword v87, off, s[24:27], 0 offset:120 ; 4-byte Folded Reload
	buffer_load_dword v88, off, s[24:27], 0 offset:124 ; 4-byte Folded Reload
	s_waitcnt vmcnt(0)
	ds_write2_b64 v0, v[85:86], v[87:88] offset0:56 offset1:57
	buffer_load_dword v85, off, s[24:27], 0 offset:96 ; 4-byte Folded Reload
	buffer_load_dword v86, off, s[24:27], 0 offset:100 ; 4-byte Folded Reload
	buffer_load_dword v87, off, s[24:27], 0 offset:104 ; 4-byte Folded Reload
	buffer_load_dword v88, off, s[24:27], 0 offset:108 ; 4-byte Folded Reload
	;; [unrolled: 6-line block ×7, first 2 shown]
	s_waitcnt vmcnt(0)
	ds_write2_b64 v0, v[85:86], v[87:88] offset0:68 offset1:69
	buffer_load_dword v85, off, s[24:27], 0 ; 4-byte Folded Reload
	buffer_load_dword v86, off, s[24:27], 0 offset:4 ; 4-byte Folded Reload
	buffer_load_dword v87, off, s[24:27], 0 offset:8 ; 4-byte Folded Reload
	;; [unrolled: 1-line block ×3, first 2 shown]
	s_waitcnt vmcnt(0)
	ds_write2_b64 v0, v[85:86], v[87:88] offset0:70 offset1:71
	ds_write2_b64 v0, v[113:114], v[115:116] offset0:72 offset1:73
	;; [unrolled: 1-line block ×25, first 2 shown]
.LBB118_564:
	s_or_b64 exec, exec, s[0:1]
	v_cmp_lt_i32_e32 vcc, 26, v89
	s_waitcnt vmcnt(0) lgkmcnt(0)
	s_barrier
	s_and_saveexec_b64 s[0:1], vcc
	s_cbranch_execz .LBB118_566
; %bb.565:
	buffer_load_dword v95, off, s[24:27], 0 offset:144 ; 4-byte Folded Reload
	buffer_load_dword v96, off, s[24:27], 0 offset:148 ; 4-byte Folded Reload
	;; [unrolled: 1-line block ×4, first 2 shown]
	s_waitcnt vmcnt(0)
	v_mul_f64 v[85:86], v[119:120], v[97:98]
	v_fma_f64 v[125:126], v[117:118], v[95:96], -v[85:86]
	v_mul_f64 v[85:86], v[117:118], v[97:98]
	v_fma_f64 v[97:98], v[119:120], v[95:96], v[85:86]
	ds_read2_b64 v[85:88], v0 offset0:54 offset1:55
	buffer_load_dword v93, off, s[24:27], 0 offset:128 ; 4-byte Folded Reload
	buffer_load_dword v94, off, s[24:27], 0 offset:132 ; 4-byte Folded Reload
	buffer_load_dword v95, off, s[24:27], 0 offset:136 ; 4-byte Folded Reload
	buffer_load_dword v96, off, s[24:27], 0 offset:140 ; 4-byte Folded Reload
	s_waitcnt lgkmcnt(0)
	v_mul_f64 v[91:92], v[87:88], v[97:98]
	v_fma_f64 v[91:92], v[85:86], v[125:126], -v[91:92]
	v_mul_f64 v[85:86], v[85:86], v[97:98]
	v_fma_f64 v[85:86], v[87:88], v[125:126], v[85:86]
	s_waitcnt vmcnt(2)
	v_add_f64 v[93:94], v[93:94], -v[91:92]
	s_waitcnt vmcnt(0)
	v_add_f64 v[95:96], v[95:96], -v[85:86]
	buffer_store_dword v93, off, s[24:27], 0 offset:128 ; 4-byte Folded Spill
	s_nop 0
	buffer_store_dword v94, off, s[24:27], 0 offset:132 ; 4-byte Folded Spill
	buffer_store_dword v95, off, s[24:27], 0 offset:136 ; 4-byte Folded Spill
	buffer_store_dword v96, off, s[24:27], 0 offset:140 ; 4-byte Folded Spill
	ds_read2_b64 v[85:88], v0 offset0:56 offset1:57
	buffer_load_dword v93, off, s[24:27], 0 offset:112 ; 4-byte Folded Reload
	buffer_load_dword v94, off, s[24:27], 0 offset:116 ; 4-byte Folded Reload
	buffer_load_dword v95, off, s[24:27], 0 offset:120 ; 4-byte Folded Reload
	buffer_load_dword v96, off, s[24:27], 0 offset:124 ; 4-byte Folded Reload
	s_waitcnt lgkmcnt(0)
	v_mul_f64 v[91:92], v[87:88], v[97:98]
	v_fma_f64 v[91:92], v[85:86], v[125:126], -v[91:92]
	v_mul_f64 v[85:86], v[85:86], v[97:98]
	v_fma_f64 v[85:86], v[87:88], v[125:126], v[85:86]
	s_waitcnt vmcnt(2)
	v_add_f64 v[93:94], v[93:94], -v[91:92]
	s_waitcnt vmcnt(0)
	v_add_f64 v[95:96], v[95:96], -v[85:86]
	buffer_store_dword v93, off, s[24:27], 0 offset:112 ; 4-byte Folded Spill
	s_nop 0
	buffer_store_dword v94, off, s[24:27], 0 offset:116 ; 4-byte Folded Spill
	buffer_store_dword v95, off, s[24:27], 0 offset:120 ; 4-byte Folded Spill
	buffer_store_dword v96, off, s[24:27], 0 offset:124 ; 4-byte Folded Spill
	;; [unrolled: 19-line block ×8, first 2 shown]
	ds_read2_b64 v[85:88], v0 offset0:70 offset1:71
	buffer_load_dword v93, off, s[24:27], 0 ; 4-byte Folded Reload
	buffer_load_dword v94, off, s[24:27], 0 offset:4 ; 4-byte Folded Reload
	buffer_load_dword v95, off, s[24:27], 0 offset:8 ; 4-byte Folded Reload
	buffer_load_dword v96, off, s[24:27], 0 offset:12 ; 4-byte Folded Reload
	s_waitcnt lgkmcnt(0)
	v_mul_f64 v[91:92], v[87:88], v[97:98]
	v_fma_f64 v[91:92], v[85:86], v[125:126], -v[91:92]
	v_mul_f64 v[85:86], v[85:86], v[97:98]
	v_fma_f64 v[85:86], v[87:88], v[125:126], v[85:86]
	s_waitcnt vmcnt(2)
	v_add_f64 v[93:94], v[93:94], -v[91:92]
	s_waitcnt vmcnt(0)
	v_add_f64 v[95:96], v[95:96], -v[85:86]
	buffer_store_dword v93, off, s[24:27], 0 ; 4-byte Folded Spill
	s_nop 0
	buffer_store_dword v94, off, s[24:27], 0 offset:4 ; 4-byte Folded Spill
	buffer_store_dword v95, off, s[24:27], 0 offset:8 ; 4-byte Folded Spill
	;; [unrolled: 1-line block ×3, first 2 shown]
	ds_read2_b64 v[85:88], v0 offset0:72 offset1:73
	v_mov_b32_e32 v95, v125
	v_mov_b32_e32 v96, v126
	s_waitcnt lgkmcnt(0)
	v_mul_f64 v[91:92], v[87:88], v[97:98]
	v_fma_f64 v[91:92], v[85:86], v[125:126], -v[91:92]
	v_mul_f64 v[85:86], v[85:86], v[97:98]
	v_add_f64 v[113:114], v[113:114], -v[91:92]
	v_fma_f64 v[85:86], v[87:88], v[125:126], v[85:86]
	v_add_f64 v[115:116], v[115:116], -v[85:86]
	ds_read2_b64 v[85:88], v0 offset0:74 offset1:75
	s_waitcnt lgkmcnt(0)
	v_mul_f64 v[91:92], v[87:88], v[97:98]
	v_fma_f64 v[91:92], v[85:86], v[125:126], -v[91:92]
	v_mul_f64 v[85:86], v[85:86], v[97:98]
	v_add_f64 v[109:110], v[109:110], -v[91:92]
	v_fma_f64 v[85:86], v[87:88], v[125:126], v[85:86]
	v_add_f64 v[111:112], v[111:112], -v[85:86]
	ds_read2_b64 v[85:88], v0 offset0:76 offset1:77
	;; [unrolled: 8-line block ×23, first 2 shown]
	s_waitcnt lgkmcnt(0)
	v_mul_f64 v[91:92], v[87:88], v[97:98]
	v_fma_f64 v[91:92], v[85:86], v[125:126], -v[91:92]
	v_mul_f64 v[85:86], v[85:86], v[97:98]
	buffer_store_dword v95, off, s[24:27], 0 offset:144 ; 4-byte Folded Spill
	s_nop 0
	buffer_store_dword v96, off, s[24:27], 0 offset:148 ; 4-byte Folded Spill
	buffer_store_dword v97, off, s[24:27], 0 offset:152 ; 4-byte Folded Spill
	;; [unrolled: 1-line block ×3, first 2 shown]
	v_add_f64 v[121:122], v[121:122], -v[91:92]
	v_fma_f64 v[85:86], v[87:88], v[125:126], v[85:86]
	v_add_f64 v[123:124], v[123:124], -v[85:86]
.LBB118_566:
	s_or_b64 exec, exec, s[0:1]
	s_waitcnt vmcnt(0)
	s_barrier
	buffer_load_dword v91, off, s[24:27], 0 offset:128 ; 4-byte Folded Reload
	buffer_load_dword v92, off, s[24:27], 0 offset:132 ; 4-byte Folded Reload
	buffer_load_dword v93, off, s[24:27], 0 offset:136 ; 4-byte Folded Reload
	buffer_load_dword v94, off, s[24:27], 0 offset:140 ; 4-byte Folded Reload
	v_lshl_add_u32 v85, v89, 4, v0
	s_cmp_lt_i32 s3, 29
	s_waitcnt vmcnt(0)
	ds_write2_b64 v85, v[91:92], v[93:94] offset1:1
	s_waitcnt lgkmcnt(0)
	s_barrier
	ds_read2_b64 v[117:120], v0 offset0:54 offset1:55
	v_mov_b32_e32 v85, 27
	s_cbranch_scc1 .LBB118_569
; %bb.567:
	v_add_u32_e32 v86, 0x1c0, v0
	s_mov_b32 s0, 28
	v_mov_b32_e32 v85, 27
.LBB118_568:                            ; =>This Inner Loop Header: Depth=1
	s_waitcnt lgkmcnt(0)
	v_cmp_gt_f64_e32 vcc, 0, v[117:118]
	v_xor_b32_e32 v87, 0x80000000, v118
	ds_read2_b64 v[91:94], v86 offset1:1
	v_xor_b32_e32 v95, 0x80000000, v120
	v_add_u32_e32 v86, 16, v86
	s_waitcnt lgkmcnt(0)
	v_xor_b32_e32 v97, 0x80000000, v94
	v_cndmask_b32_e32 v88, v118, v87, vcc
	v_cmp_gt_f64_e32 vcc, 0, v[119:120]
	v_mov_b32_e32 v87, v117
	v_cndmask_b32_e32 v96, v120, v95, vcc
	v_cmp_gt_f64_e32 vcc, 0, v[91:92]
	v_mov_b32_e32 v95, v119
	v_add_f64 v[87:88], v[87:88], v[95:96]
	v_xor_b32_e32 v95, 0x80000000, v92
	v_cndmask_b32_e32 v96, v92, v95, vcc
	v_cmp_gt_f64_e32 vcc, 0, v[93:94]
	v_mov_b32_e32 v95, v91
	v_cndmask_b32_e32 v98, v94, v97, vcc
	v_mov_b32_e32 v97, v93
	v_add_f64 v[95:96], v[95:96], v[97:98]
	v_cmp_lt_f64_e32 vcc, v[87:88], v[95:96]
	v_mov_b32_e32 v87, s0
	s_add_i32 s0, s0, 1
	s_cmp_lg_u32 s3, s0
	v_cndmask_b32_e32 v118, v118, v92, vcc
	v_cndmask_b32_e32 v117, v117, v91, vcc
	;; [unrolled: 1-line block ×5, first 2 shown]
	s_cbranch_scc1 .LBB118_568
.LBB118_569:
	s_waitcnt lgkmcnt(0)
	v_cmp_eq_f64_e32 vcc, 0, v[117:118]
	v_cmp_eq_f64_e64 s[0:1], 0, v[119:120]
	s_and_b64 s[0:1], vcc, s[0:1]
	s_and_saveexec_b64 s[18:19], s[0:1]
	s_xor_b64 s[0:1], exec, s[18:19]
; %bb.570:
	v_cmp_ne_u32_e32 vcc, 0, v90
	v_cndmask_b32_e32 v90, 28, v90, vcc
; %bb.571:
	s_andn2_saveexec_b64 s[0:1], s[0:1]
	s_cbranch_execz .LBB118_577
; %bb.572:
	v_cmp_ngt_f64_e64 s[18:19], |v[117:118]|, |v[119:120]|
	s_and_saveexec_b64 s[20:21], s[18:19]
	s_xor_b64 s[18:19], exec, s[20:21]
	s_cbranch_execz .LBB118_574
; %bb.573:
	v_div_scale_f64 v[86:87], s[20:21], v[119:120], v[119:120], v[117:118]
	v_rcp_f64_e32 v[91:92], v[86:87]
	v_fma_f64 v[93:94], -v[86:87], v[91:92], 1.0
	v_fma_f64 v[91:92], v[91:92], v[93:94], v[91:92]
	v_div_scale_f64 v[93:94], vcc, v[117:118], v[119:120], v[117:118]
	v_fma_f64 v[95:96], -v[86:87], v[91:92], 1.0
	v_fma_f64 v[91:92], v[91:92], v[95:96], v[91:92]
	v_mul_f64 v[95:96], v[93:94], v[91:92]
	v_fma_f64 v[86:87], -v[86:87], v[95:96], v[93:94]
	v_div_fmas_f64 v[86:87], v[86:87], v[91:92], v[95:96]
	v_div_fixup_f64 v[86:87], v[86:87], v[119:120], v[117:118]
	v_fma_f64 v[91:92], v[117:118], v[86:87], v[119:120]
	v_div_scale_f64 v[93:94], s[20:21], v[91:92], v[91:92], 1.0
	v_div_scale_f64 v[99:100], vcc, 1.0, v[91:92], 1.0
	v_rcp_f64_e32 v[95:96], v[93:94]
	v_fma_f64 v[97:98], -v[93:94], v[95:96], 1.0
	v_fma_f64 v[95:96], v[95:96], v[97:98], v[95:96]
	v_fma_f64 v[97:98], -v[93:94], v[95:96], 1.0
	v_fma_f64 v[95:96], v[95:96], v[97:98], v[95:96]
	v_mul_f64 v[97:98], v[99:100], v[95:96]
	v_fma_f64 v[93:94], -v[93:94], v[97:98], v[99:100]
	v_div_fmas_f64 v[93:94], v[93:94], v[95:96], v[97:98]
	v_div_fixup_f64 v[119:120], v[93:94], v[91:92], 1.0
	v_mul_f64 v[117:118], v[86:87], v[119:120]
	v_xor_b32_e32 v120, 0x80000000, v120
.LBB118_574:
	s_andn2_saveexec_b64 s[18:19], s[18:19]
	s_cbranch_execz .LBB118_576
; %bb.575:
	v_div_scale_f64 v[86:87], s[20:21], v[117:118], v[117:118], v[119:120]
	v_rcp_f64_e32 v[91:92], v[86:87]
	v_fma_f64 v[93:94], -v[86:87], v[91:92], 1.0
	v_fma_f64 v[91:92], v[91:92], v[93:94], v[91:92]
	v_div_scale_f64 v[93:94], vcc, v[119:120], v[117:118], v[119:120]
	v_fma_f64 v[95:96], -v[86:87], v[91:92], 1.0
	v_fma_f64 v[91:92], v[91:92], v[95:96], v[91:92]
	v_mul_f64 v[95:96], v[93:94], v[91:92]
	v_fma_f64 v[86:87], -v[86:87], v[95:96], v[93:94]
	v_div_fmas_f64 v[86:87], v[86:87], v[91:92], v[95:96]
	v_div_fixup_f64 v[86:87], v[86:87], v[117:118], v[119:120]
	v_fma_f64 v[91:92], v[119:120], v[86:87], v[117:118]
	v_div_scale_f64 v[93:94], s[20:21], v[91:92], v[91:92], 1.0
	v_div_scale_f64 v[99:100], vcc, 1.0, v[91:92], 1.0
	v_rcp_f64_e32 v[95:96], v[93:94]
	v_fma_f64 v[97:98], -v[93:94], v[95:96], 1.0
	v_fma_f64 v[95:96], v[95:96], v[97:98], v[95:96]
	v_fma_f64 v[97:98], -v[93:94], v[95:96], 1.0
	v_fma_f64 v[95:96], v[95:96], v[97:98], v[95:96]
	v_mul_f64 v[97:98], v[99:100], v[95:96]
	v_fma_f64 v[93:94], -v[93:94], v[97:98], v[99:100]
	v_div_fmas_f64 v[93:94], v[93:94], v[95:96], v[97:98]
	v_div_fixup_f64 v[117:118], v[93:94], v[91:92], 1.0
	v_mul_f64 v[119:120], v[86:87], -v[117:118]
.LBB118_576:
	s_or_b64 exec, exec, s[18:19]
.LBB118_577:
	s_or_b64 exec, exec, s[0:1]
	v_cmp_ne_u32_e32 vcc, v89, v85
	s_and_saveexec_b64 s[0:1], vcc
	s_xor_b64 s[0:1], exec, s[0:1]
	s_cbranch_execz .LBB118_583
; %bb.578:
	v_cmp_eq_u32_e32 vcc, 27, v89
	s_and_saveexec_b64 s[18:19], vcc
	s_cbranch_execz .LBB118_582
; %bb.579:
	v_cmp_ne_u32_e32 vcc, 27, v85
	s_xor_b64 s[20:21], s[6:7], -1
	s_and_b64 s[22:23], s[20:21], vcc
	s_and_saveexec_b64 s[20:21], s[22:23]
	s_cbranch_execz .LBB118_581
; %bb.580:
	v_ashrrev_i32_e32 v86, 31, v85
	v_lshlrev_b64 v[86:87], 2, v[85:86]
	v_add_co_u32_e32 v86, vcc, v107, v86
	v_addc_co_u32_e32 v87, vcc, v108, v87, vcc
	global_load_dword v88, v[86:87], off
	global_load_dword v89, v[107:108], off offset:108
	s_waitcnt vmcnt(1)
	global_store_dword v[107:108], v88, off offset:108
	s_waitcnt vmcnt(1)
	global_store_dword v[86:87], v89, off
.LBB118_581:
	s_or_b64 exec, exec, s[20:21]
	v_mov_b32_e32 v89, v85
	v_mov_b32_e32 v127, v85
.LBB118_582:
	s_or_b64 exec, exec, s[18:19]
.LBB118_583:
	s_andn2_saveexec_b64 s[0:1], s[0:1]
	s_cbranch_execz .LBB118_585
; %bb.584:
	buffer_load_dword v85, off, s[24:27], 0 offset:112 ; 4-byte Folded Reload
	buffer_load_dword v86, off, s[24:27], 0 offset:116 ; 4-byte Folded Reload
	buffer_load_dword v87, off, s[24:27], 0 offset:120 ; 4-byte Folded Reload
	buffer_load_dword v88, off, s[24:27], 0 offset:124 ; 4-byte Folded Reload
	v_mov_b32_e32 v89, 27
	s_waitcnt vmcnt(0)
	ds_write2_b64 v0, v[85:86], v[87:88] offset0:56 offset1:57
	buffer_load_dword v85, off, s[24:27], 0 offset:96 ; 4-byte Folded Reload
	buffer_load_dword v86, off, s[24:27], 0 offset:100 ; 4-byte Folded Reload
	buffer_load_dword v87, off, s[24:27], 0 offset:104 ; 4-byte Folded Reload
	buffer_load_dword v88, off, s[24:27], 0 offset:108 ; 4-byte Folded Reload
	s_waitcnt vmcnt(0)
	ds_write2_b64 v0, v[85:86], v[87:88] offset0:58 offset1:59
	buffer_load_dword v85, off, s[24:27], 0 offset:80 ; 4-byte Folded Reload
	buffer_load_dword v86, off, s[24:27], 0 offset:84 ; 4-byte Folded Reload
	buffer_load_dword v87, off, s[24:27], 0 offset:88 ; 4-byte Folded Reload
	buffer_load_dword v88, off, s[24:27], 0 offset:92 ; 4-byte Folded Reload
	;; [unrolled: 6-line block ×6, first 2 shown]
	s_waitcnt vmcnt(0)
	ds_write2_b64 v0, v[85:86], v[87:88] offset0:68 offset1:69
	buffer_load_dword v85, off, s[24:27], 0 ; 4-byte Folded Reload
	buffer_load_dword v86, off, s[24:27], 0 offset:4 ; 4-byte Folded Reload
	buffer_load_dword v87, off, s[24:27], 0 offset:8 ; 4-byte Folded Reload
	;; [unrolled: 1-line block ×3, first 2 shown]
	s_waitcnt vmcnt(0)
	ds_write2_b64 v0, v[85:86], v[87:88] offset0:70 offset1:71
	ds_write2_b64 v0, v[113:114], v[115:116] offset0:72 offset1:73
	;; [unrolled: 1-line block ×25, first 2 shown]
.LBB118_585:
	s_or_b64 exec, exec, s[0:1]
	v_cmp_lt_i32_e32 vcc, 27, v89
	s_waitcnt vmcnt(0) lgkmcnt(0)
	s_barrier
	s_and_saveexec_b64 s[0:1], vcc
	s_cbranch_execz .LBB118_587
; %bb.586:
	buffer_load_dword v95, off, s[24:27], 0 offset:128 ; 4-byte Folded Reload
	buffer_load_dword v96, off, s[24:27], 0 offset:132 ; 4-byte Folded Reload
	;; [unrolled: 1-line block ×4, first 2 shown]
	s_waitcnt vmcnt(0)
	v_mul_f64 v[85:86], v[119:120], v[97:98]
	v_fma_f64 v[105:106], v[117:118], v[95:96], -v[85:86]
	v_mul_f64 v[85:86], v[117:118], v[97:98]
	v_fma_f64 v[97:98], v[119:120], v[95:96], v[85:86]
	ds_read2_b64 v[85:88], v0 offset0:56 offset1:57
	buffer_load_dword v93, off, s[24:27], 0 offset:112 ; 4-byte Folded Reload
	buffer_load_dword v94, off, s[24:27], 0 offset:116 ; 4-byte Folded Reload
	buffer_load_dword v95, off, s[24:27], 0 offset:120 ; 4-byte Folded Reload
	buffer_load_dword v96, off, s[24:27], 0 offset:124 ; 4-byte Folded Reload
	s_waitcnt lgkmcnt(0)
	v_mul_f64 v[91:92], v[87:88], v[97:98]
	v_fma_f64 v[91:92], v[85:86], v[105:106], -v[91:92]
	v_mul_f64 v[85:86], v[85:86], v[97:98]
	v_fma_f64 v[85:86], v[87:88], v[105:106], v[85:86]
	s_waitcnt vmcnt(2)
	v_add_f64 v[93:94], v[93:94], -v[91:92]
	s_waitcnt vmcnt(0)
	v_add_f64 v[95:96], v[95:96], -v[85:86]
	buffer_store_dword v93, off, s[24:27], 0 offset:112 ; 4-byte Folded Spill
	s_nop 0
	buffer_store_dword v94, off, s[24:27], 0 offset:116 ; 4-byte Folded Spill
	buffer_store_dword v95, off, s[24:27], 0 offset:120 ; 4-byte Folded Spill
	buffer_store_dword v96, off, s[24:27], 0 offset:124 ; 4-byte Folded Spill
	ds_read2_b64 v[85:88], v0 offset0:58 offset1:59
	buffer_load_dword v93, off, s[24:27], 0 offset:96 ; 4-byte Folded Reload
	buffer_load_dword v94, off, s[24:27], 0 offset:100 ; 4-byte Folded Reload
	buffer_load_dword v95, off, s[24:27], 0 offset:104 ; 4-byte Folded Reload
	buffer_load_dword v96, off, s[24:27], 0 offset:108 ; 4-byte Folded Reload
	s_waitcnt lgkmcnt(0)
	v_mul_f64 v[91:92], v[87:88], v[97:98]
	v_fma_f64 v[91:92], v[85:86], v[105:106], -v[91:92]
	v_mul_f64 v[85:86], v[85:86], v[97:98]
	v_fma_f64 v[85:86], v[87:88], v[105:106], v[85:86]
	s_waitcnt vmcnt(2)
	v_add_f64 v[93:94], v[93:94], -v[91:92]
	s_waitcnt vmcnt(0)
	v_add_f64 v[95:96], v[95:96], -v[85:86]
	buffer_store_dword v93, off, s[24:27], 0 offset:96 ; 4-byte Folded Spill
	s_nop 0
	buffer_store_dword v94, off, s[24:27], 0 offset:100 ; 4-byte Folded Spill
	buffer_store_dword v95, off, s[24:27], 0 offset:104 ; 4-byte Folded Spill
	buffer_store_dword v96, off, s[24:27], 0 offset:108 ; 4-byte Folded Spill
	;; [unrolled: 19-line block ×7, first 2 shown]
	ds_read2_b64 v[85:88], v0 offset0:70 offset1:71
	buffer_load_dword v93, off, s[24:27], 0 ; 4-byte Folded Reload
	buffer_load_dword v94, off, s[24:27], 0 offset:4 ; 4-byte Folded Reload
	buffer_load_dword v95, off, s[24:27], 0 offset:8 ; 4-byte Folded Reload
	;; [unrolled: 1-line block ×3, first 2 shown]
	s_waitcnt lgkmcnt(0)
	v_mul_f64 v[91:92], v[87:88], v[97:98]
	v_fma_f64 v[91:92], v[85:86], v[105:106], -v[91:92]
	v_mul_f64 v[85:86], v[85:86], v[97:98]
	v_fma_f64 v[85:86], v[87:88], v[105:106], v[85:86]
	s_waitcnt vmcnt(2)
	v_add_f64 v[93:94], v[93:94], -v[91:92]
	s_waitcnt vmcnt(0)
	v_add_f64 v[95:96], v[95:96], -v[85:86]
	buffer_store_dword v93, off, s[24:27], 0 ; 4-byte Folded Spill
	s_nop 0
	buffer_store_dword v94, off, s[24:27], 0 offset:4 ; 4-byte Folded Spill
	buffer_store_dword v95, off, s[24:27], 0 offset:8 ; 4-byte Folded Spill
	;; [unrolled: 1-line block ×3, first 2 shown]
	ds_read2_b64 v[85:88], v0 offset0:72 offset1:73
	v_mov_b32_e32 v95, v105
	v_mov_b32_e32 v96, v106
	s_waitcnt lgkmcnt(0)
	v_mul_f64 v[91:92], v[87:88], v[97:98]
	v_fma_f64 v[91:92], v[85:86], v[105:106], -v[91:92]
	v_mul_f64 v[85:86], v[85:86], v[97:98]
	v_add_f64 v[113:114], v[113:114], -v[91:92]
	v_fma_f64 v[85:86], v[87:88], v[105:106], v[85:86]
	v_add_f64 v[115:116], v[115:116], -v[85:86]
	ds_read2_b64 v[85:88], v0 offset0:74 offset1:75
	s_waitcnt lgkmcnt(0)
	v_mul_f64 v[91:92], v[87:88], v[97:98]
	v_fma_f64 v[91:92], v[85:86], v[105:106], -v[91:92]
	v_mul_f64 v[85:86], v[85:86], v[97:98]
	v_add_f64 v[109:110], v[109:110], -v[91:92]
	v_fma_f64 v[85:86], v[87:88], v[105:106], v[85:86]
	v_add_f64 v[111:112], v[111:112], -v[85:86]
	ds_read2_b64 v[85:88], v0 offset0:76 offset1:77
	;; [unrolled: 8-line block ×23, first 2 shown]
	s_waitcnt lgkmcnt(0)
	v_mul_f64 v[91:92], v[87:88], v[97:98]
	v_fma_f64 v[91:92], v[85:86], v[105:106], -v[91:92]
	v_mul_f64 v[85:86], v[85:86], v[97:98]
	buffer_store_dword v95, off, s[24:27], 0 offset:128 ; 4-byte Folded Spill
	s_nop 0
	buffer_store_dword v96, off, s[24:27], 0 offset:132 ; 4-byte Folded Spill
	buffer_store_dword v97, off, s[24:27], 0 offset:136 ; 4-byte Folded Spill
	;; [unrolled: 1-line block ×3, first 2 shown]
	v_add_f64 v[121:122], v[121:122], -v[91:92]
	v_fma_f64 v[85:86], v[87:88], v[105:106], v[85:86]
	v_add_f64 v[123:124], v[123:124], -v[85:86]
.LBB118_587:
	s_or_b64 exec, exec, s[0:1]
	s_waitcnt vmcnt(0)
	s_barrier
	buffer_load_dword v91, off, s[24:27], 0 offset:112 ; 4-byte Folded Reload
	buffer_load_dword v92, off, s[24:27], 0 offset:116 ; 4-byte Folded Reload
	;; [unrolled: 1-line block ×4, first 2 shown]
	v_lshl_add_u32 v85, v89, 4, v0
	s_cmp_lt_i32 s3, 30
	s_waitcnt vmcnt(0)
	ds_write2_b64 v85, v[91:92], v[93:94] offset1:1
	s_waitcnt lgkmcnt(0)
	s_barrier
	ds_read2_b64 v[117:120], v0 offset0:56 offset1:57
	v_mov_b32_e32 v85, 28
	s_cbranch_scc1 .LBB118_590
; %bb.588:
	v_add_u32_e32 v86, 0x1d0, v0
	s_mov_b32 s0, 29
	v_mov_b32_e32 v85, 28
.LBB118_589:                            ; =>This Inner Loop Header: Depth=1
	s_waitcnt lgkmcnt(0)
	v_cmp_gt_f64_e32 vcc, 0, v[117:118]
	v_xor_b32_e32 v87, 0x80000000, v118
	ds_read2_b64 v[91:94], v86 offset1:1
	v_xor_b32_e32 v95, 0x80000000, v120
	v_add_u32_e32 v86, 16, v86
	s_waitcnt lgkmcnt(0)
	v_xor_b32_e32 v97, 0x80000000, v94
	v_cndmask_b32_e32 v88, v118, v87, vcc
	v_cmp_gt_f64_e32 vcc, 0, v[119:120]
	v_mov_b32_e32 v87, v117
	v_cndmask_b32_e32 v96, v120, v95, vcc
	v_cmp_gt_f64_e32 vcc, 0, v[91:92]
	v_mov_b32_e32 v95, v119
	v_add_f64 v[87:88], v[87:88], v[95:96]
	v_xor_b32_e32 v95, 0x80000000, v92
	v_cndmask_b32_e32 v96, v92, v95, vcc
	v_cmp_gt_f64_e32 vcc, 0, v[93:94]
	v_mov_b32_e32 v95, v91
	v_cndmask_b32_e32 v98, v94, v97, vcc
	v_mov_b32_e32 v97, v93
	v_add_f64 v[95:96], v[95:96], v[97:98]
	v_cmp_lt_f64_e32 vcc, v[87:88], v[95:96]
	v_mov_b32_e32 v87, s0
	s_add_i32 s0, s0, 1
	s_cmp_lg_u32 s3, s0
	v_cndmask_b32_e32 v118, v118, v92, vcc
	v_cndmask_b32_e32 v117, v117, v91, vcc
	;; [unrolled: 1-line block ×5, first 2 shown]
	s_cbranch_scc1 .LBB118_589
.LBB118_590:
	s_waitcnt lgkmcnt(0)
	v_cmp_eq_f64_e32 vcc, 0, v[117:118]
	v_cmp_eq_f64_e64 s[0:1], 0, v[119:120]
	s_and_b64 s[0:1], vcc, s[0:1]
	s_and_saveexec_b64 s[18:19], s[0:1]
	s_xor_b64 s[0:1], exec, s[18:19]
; %bb.591:
	v_cmp_ne_u32_e32 vcc, 0, v90
	v_cndmask_b32_e32 v90, 29, v90, vcc
; %bb.592:
	s_andn2_saveexec_b64 s[0:1], s[0:1]
	s_cbranch_execz .LBB118_598
; %bb.593:
	v_cmp_ngt_f64_e64 s[18:19], |v[117:118]|, |v[119:120]|
	s_and_saveexec_b64 s[20:21], s[18:19]
	s_xor_b64 s[18:19], exec, s[20:21]
	s_cbranch_execz .LBB118_595
; %bb.594:
	v_div_scale_f64 v[86:87], s[20:21], v[119:120], v[119:120], v[117:118]
	v_rcp_f64_e32 v[91:92], v[86:87]
	v_fma_f64 v[93:94], -v[86:87], v[91:92], 1.0
	v_fma_f64 v[91:92], v[91:92], v[93:94], v[91:92]
	v_div_scale_f64 v[93:94], vcc, v[117:118], v[119:120], v[117:118]
	v_fma_f64 v[95:96], -v[86:87], v[91:92], 1.0
	v_fma_f64 v[91:92], v[91:92], v[95:96], v[91:92]
	v_mul_f64 v[95:96], v[93:94], v[91:92]
	v_fma_f64 v[86:87], -v[86:87], v[95:96], v[93:94]
	v_div_fmas_f64 v[86:87], v[86:87], v[91:92], v[95:96]
	v_div_fixup_f64 v[86:87], v[86:87], v[119:120], v[117:118]
	v_fma_f64 v[91:92], v[117:118], v[86:87], v[119:120]
	v_div_scale_f64 v[93:94], s[20:21], v[91:92], v[91:92], 1.0
	v_div_scale_f64 v[99:100], vcc, 1.0, v[91:92], 1.0
	v_rcp_f64_e32 v[95:96], v[93:94]
	v_fma_f64 v[97:98], -v[93:94], v[95:96], 1.0
	v_fma_f64 v[95:96], v[95:96], v[97:98], v[95:96]
	v_fma_f64 v[97:98], -v[93:94], v[95:96], 1.0
	v_fma_f64 v[95:96], v[95:96], v[97:98], v[95:96]
	v_mul_f64 v[97:98], v[99:100], v[95:96]
	v_fma_f64 v[93:94], -v[93:94], v[97:98], v[99:100]
	v_div_fmas_f64 v[93:94], v[93:94], v[95:96], v[97:98]
	v_div_fixup_f64 v[119:120], v[93:94], v[91:92], 1.0
	v_mul_f64 v[117:118], v[86:87], v[119:120]
	v_xor_b32_e32 v120, 0x80000000, v120
.LBB118_595:
	s_andn2_saveexec_b64 s[18:19], s[18:19]
	s_cbranch_execz .LBB118_597
; %bb.596:
	v_div_scale_f64 v[86:87], s[20:21], v[117:118], v[117:118], v[119:120]
	v_rcp_f64_e32 v[91:92], v[86:87]
	v_fma_f64 v[93:94], -v[86:87], v[91:92], 1.0
	v_fma_f64 v[91:92], v[91:92], v[93:94], v[91:92]
	v_div_scale_f64 v[93:94], vcc, v[119:120], v[117:118], v[119:120]
	v_fma_f64 v[95:96], -v[86:87], v[91:92], 1.0
	v_fma_f64 v[91:92], v[91:92], v[95:96], v[91:92]
	v_mul_f64 v[95:96], v[93:94], v[91:92]
	v_fma_f64 v[86:87], -v[86:87], v[95:96], v[93:94]
	v_div_fmas_f64 v[86:87], v[86:87], v[91:92], v[95:96]
	v_div_fixup_f64 v[86:87], v[86:87], v[117:118], v[119:120]
	v_fma_f64 v[91:92], v[119:120], v[86:87], v[117:118]
	v_div_scale_f64 v[93:94], s[20:21], v[91:92], v[91:92], 1.0
	v_div_scale_f64 v[99:100], vcc, 1.0, v[91:92], 1.0
	v_rcp_f64_e32 v[95:96], v[93:94]
	v_fma_f64 v[97:98], -v[93:94], v[95:96], 1.0
	v_fma_f64 v[95:96], v[95:96], v[97:98], v[95:96]
	v_fma_f64 v[97:98], -v[93:94], v[95:96], 1.0
	v_fma_f64 v[95:96], v[95:96], v[97:98], v[95:96]
	v_mul_f64 v[97:98], v[99:100], v[95:96]
	v_fma_f64 v[93:94], -v[93:94], v[97:98], v[99:100]
	v_div_fmas_f64 v[93:94], v[93:94], v[95:96], v[97:98]
	v_div_fixup_f64 v[117:118], v[93:94], v[91:92], 1.0
	v_mul_f64 v[119:120], v[86:87], -v[117:118]
.LBB118_597:
	s_or_b64 exec, exec, s[18:19]
.LBB118_598:
	s_or_b64 exec, exec, s[0:1]
	v_cmp_ne_u32_e32 vcc, v89, v85
	s_and_saveexec_b64 s[0:1], vcc
	s_xor_b64 s[0:1], exec, s[0:1]
	s_cbranch_execz .LBB118_604
; %bb.599:
	v_cmp_eq_u32_e32 vcc, 28, v89
	s_and_saveexec_b64 s[18:19], vcc
	s_cbranch_execz .LBB118_603
; %bb.600:
	v_cmp_ne_u32_e32 vcc, 28, v85
	s_xor_b64 s[20:21], s[6:7], -1
	s_and_b64 s[22:23], s[20:21], vcc
	s_and_saveexec_b64 s[20:21], s[22:23]
	s_cbranch_execz .LBB118_602
; %bb.601:
	v_ashrrev_i32_e32 v86, 31, v85
	v_lshlrev_b64 v[86:87], 2, v[85:86]
	v_add_co_u32_e32 v86, vcc, v107, v86
	v_addc_co_u32_e32 v87, vcc, v108, v87, vcc
	global_load_dword v88, v[86:87], off
	global_load_dword v89, v[107:108], off offset:112
	s_waitcnt vmcnt(1)
	global_store_dword v[107:108], v88, off offset:112
	s_waitcnt vmcnt(1)
	global_store_dword v[86:87], v89, off
.LBB118_602:
	s_or_b64 exec, exec, s[20:21]
	v_mov_b32_e32 v89, v85
	v_mov_b32_e32 v127, v85
.LBB118_603:
	s_or_b64 exec, exec, s[18:19]
.LBB118_604:
	s_andn2_saveexec_b64 s[0:1], s[0:1]
	s_cbranch_execz .LBB118_606
; %bb.605:
	buffer_load_dword v85, off, s[24:27], 0 offset:96 ; 4-byte Folded Reload
	buffer_load_dword v86, off, s[24:27], 0 offset:100 ; 4-byte Folded Reload
	;; [unrolled: 1-line block ×4, first 2 shown]
	v_mov_b32_e32 v89, 28
	s_waitcnt vmcnt(0)
	ds_write2_b64 v0, v[85:86], v[87:88] offset0:58 offset1:59
	buffer_load_dword v85, off, s[24:27], 0 offset:80 ; 4-byte Folded Reload
	buffer_load_dword v86, off, s[24:27], 0 offset:84 ; 4-byte Folded Reload
	buffer_load_dword v87, off, s[24:27], 0 offset:88 ; 4-byte Folded Reload
	buffer_load_dword v88, off, s[24:27], 0 offset:92 ; 4-byte Folded Reload
	s_waitcnt vmcnt(0)
	ds_write2_b64 v0, v[85:86], v[87:88] offset0:60 offset1:61
	buffer_load_dword v85, off, s[24:27], 0 offset:64 ; 4-byte Folded Reload
	buffer_load_dword v86, off, s[24:27], 0 offset:68 ; 4-byte Folded Reload
	buffer_load_dword v87, off, s[24:27], 0 offset:72 ; 4-byte Folded Reload
	buffer_load_dword v88, off, s[24:27], 0 offset:76 ; 4-byte Folded Reload
	s_waitcnt vmcnt(0)
	ds_write2_b64 v0, v[85:86], v[87:88] offset0:62 offset1:63
	buffer_load_dword v85, off, s[24:27], 0 offset:48 ; 4-byte Folded Reload
	buffer_load_dword v86, off, s[24:27], 0 offset:52 ; 4-byte Folded Reload
	buffer_load_dword v87, off, s[24:27], 0 offset:56 ; 4-byte Folded Reload
	buffer_load_dword v88, off, s[24:27], 0 offset:60 ; 4-byte Folded Reload
	s_waitcnt vmcnt(0)
	ds_write2_b64 v0, v[85:86], v[87:88] offset0:64 offset1:65
	buffer_load_dword v85, off, s[24:27], 0 offset:32 ; 4-byte Folded Reload
	buffer_load_dword v86, off, s[24:27], 0 offset:36 ; 4-byte Folded Reload
	buffer_load_dword v87, off, s[24:27], 0 offset:40 ; 4-byte Folded Reload
	buffer_load_dword v88, off, s[24:27], 0 offset:44 ; 4-byte Folded Reload
	s_waitcnt vmcnt(0)
	ds_write2_b64 v0, v[85:86], v[87:88] offset0:66 offset1:67
	buffer_load_dword v85, off, s[24:27], 0 offset:16 ; 4-byte Folded Reload
	buffer_load_dword v86, off, s[24:27], 0 offset:20 ; 4-byte Folded Reload
	buffer_load_dword v87, off, s[24:27], 0 offset:24 ; 4-byte Folded Reload
	buffer_load_dword v88, off, s[24:27], 0 offset:28 ; 4-byte Folded Reload
	s_waitcnt vmcnt(0)
	ds_write2_b64 v0, v[85:86], v[87:88] offset0:68 offset1:69
	buffer_load_dword v85, off, s[24:27], 0 ; 4-byte Folded Reload
	buffer_load_dword v86, off, s[24:27], 0 offset:4 ; 4-byte Folded Reload
	buffer_load_dword v87, off, s[24:27], 0 offset:8 ; 4-byte Folded Reload
	;; [unrolled: 1-line block ×3, first 2 shown]
	s_waitcnt vmcnt(0)
	ds_write2_b64 v0, v[85:86], v[87:88] offset0:70 offset1:71
	ds_write2_b64 v0, v[113:114], v[115:116] offset0:72 offset1:73
	;; [unrolled: 1-line block ×25, first 2 shown]
.LBB118_606:
	s_or_b64 exec, exec, s[0:1]
	v_cmp_lt_i32_e32 vcc, 28, v89
	s_waitcnt vmcnt(0) lgkmcnt(0)
	s_barrier
	s_and_saveexec_b64 s[0:1], vcc
	s_cbranch_execz .LBB118_608
; %bb.607:
	buffer_load_dword v95, off, s[24:27], 0 offset:112 ; 4-byte Folded Reload
	buffer_load_dword v96, off, s[24:27], 0 offset:116 ; 4-byte Folded Reload
	;; [unrolled: 1-line block ×4, first 2 shown]
	ds_read2_b64 v[91:94], v0 offset0:58 offset1:59
	s_waitcnt vmcnt(0)
	v_mul_f64 v[87:88], v[117:118], v[97:98]
	v_mul_f64 v[85:86], v[119:120], v[97:98]
	v_fma_f64 v[97:98], v[119:120], v[95:96], v[87:88]
	v_fma_f64 v[85:86], v[117:118], v[95:96], -v[85:86]
	s_waitcnt lgkmcnt(0)
	v_mul_f64 v[87:88], v[93:94], v[97:98]
	v_fma_f64 v[87:88], v[91:92], v[85:86], -v[87:88]
	v_mul_f64 v[91:92], v[91:92], v[97:98]
	v_fma_f64 v[91:92], v[93:94], v[85:86], v[91:92]
	buffer_load_dword v93, off, s[24:27], 0 offset:96 ; 4-byte Folded Reload
	buffer_load_dword v94, off, s[24:27], 0 offset:100 ; 4-byte Folded Reload
	buffer_load_dword v95, off, s[24:27], 0 offset:104 ; 4-byte Folded Reload
	buffer_load_dword v96, off, s[24:27], 0 offset:108 ; 4-byte Folded Reload
	s_waitcnt vmcnt(2)
	v_add_f64 v[93:94], v[93:94], -v[87:88]
	s_waitcnt vmcnt(0)
	v_add_f64 v[95:96], v[95:96], -v[91:92]
	buffer_store_dword v93, off, s[24:27], 0 offset:96 ; 4-byte Folded Spill
	s_nop 0
	buffer_store_dword v94, off, s[24:27], 0 offset:100 ; 4-byte Folded Spill
	buffer_store_dword v95, off, s[24:27], 0 offset:104 ; 4-byte Folded Spill
	buffer_store_dword v96, off, s[24:27], 0 offset:108 ; 4-byte Folded Spill
	ds_read2_b64 v[91:94], v0 offset0:60 offset1:61
	s_waitcnt lgkmcnt(0)
	v_mul_f64 v[87:88], v[93:94], v[97:98]
	v_fma_f64 v[87:88], v[91:92], v[85:86], -v[87:88]
	v_mul_f64 v[91:92], v[91:92], v[97:98]
	v_fma_f64 v[91:92], v[93:94], v[85:86], v[91:92]
	buffer_load_dword v93, off, s[24:27], 0 offset:80 ; 4-byte Folded Reload
	buffer_load_dword v94, off, s[24:27], 0 offset:84 ; 4-byte Folded Reload
	buffer_load_dword v95, off, s[24:27], 0 offset:88 ; 4-byte Folded Reload
	buffer_load_dword v96, off, s[24:27], 0 offset:92 ; 4-byte Folded Reload
	s_waitcnt vmcnt(2)
	v_add_f64 v[93:94], v[93:94], -v[87:88]
	s_waitcnt vmcnt(0)
	v_add_f64 v[95:96], v[95:96], -v[91:92]
	buffer_store_dword v93, off, s[24:27], 0 offset:80 ; 4-byte Folded Spill
	s_nop 0
	buffer_store_dword v94, off, s[24:27], 0 offset:84 ; 4-byte Folded Spill
	buffer_store_dword v95, off, s[24:27], 0 offset:88 ; 4-byte Folded Spill
	buffer_store_dword v96, off, s[24:27], 0 offset:92 ; 4-byte Folded Spill
	ds_read2_b64 v[91:94], v0 offset0:62 offset1:63
	;; [unrolled: 19-line block ×6, first 2 shown]
	s_waitcnt lgkmcnt(0)
	v_mul_f64 v[87:88], v[93:94], v[97:98]
	v_fma_f64 v[87:88], v[91:92], v[85:86], -v[87:88]
	v_mul_f64 v[91:92], v[91:92], v[97:98]
	v_fma_f64 v[91:92], v[93:94], v[85:86], v[91:92]
	buffer_load_dword v93, off, s[24:27], 0 ; 4-byte Folded Reload
	buffer_load_dword v94, off, s[24:27], 0 offset:4 ; 4-byte Folded Reload
	buffer_load_dword v95, off, s[24:27], 0 offset:8 ; 4-byte Folded Reload
	;; [unrolled: 1-line block ×3, first 2 shown]
	s_waitcnt vmcnt(2)
	v_add_f64 v[93:94], v[93:94], -v[87:88]
	s_waitcnt vmcnt(0)
	v_add_f64 v[95:96], v[95:96], -v[91:92]
	buffer_store_dword v93, off, s[24:27], 0 ; 4-byte Folded Spill
	s_nop 0
	buffer_store_dword v94, off, s[24:27], 0 offset:4 ; 4-byte Folded Spill
	buffer_store_dword v95, off, s[24:27], 0 offset:8 ; 4-byte Folded Spill
	;; [unrolled: 1-line block ×3, first 2 shown]
	ds_read2_b64 v[91:94], v0 offset0:72 offset1:73
	v_mov_b32_e32 v96, v86
	v_mov_b32_e32 v95, v85
	s_waitcnt lgkmcnt(0)
	v_mul_f64 v[87:88], v[93:94], v[97:98]
	v_fma_f64 v[87:88], v[91:92], v[85:86], -v[87:88]
	v_mul_f64 v[91:92], v[91:92], v[97:98]
	v_add_f64 v[113:114], v[113:114], -v[87:88]
	v_fma_f64 v[91:92], v[93:94], v[85:86], v[91:92]
	v_add_f64 v[115:116], v[115:116], -v[91:92]
	ds_read2_b64 v[91:94], v0 offset0:74 offset1:75
	s_waitcnt lgkmcnt(0)
	v_mul_f64 v[87:88], v[93:94], v[97:98]
	v_fma_f64 v[87:88], v[91:92], v[85:86], -v[87:88]
	v_mul_f64 v[91:92], v[91:92], v[97:98]
	v_add_f64 v[109:110], v[109:110], -v[87:88]
	v_fma_f64 v[91:92], v[93:94], v[85:86], v[91:92]
	v_add_f64 v[111:112], v[111:112], -v[91:92]
	ds_read2_b64 v[91:94], v0 offset0:76 offset1:77
	;; [unrolled: 8-line block ×23, first 2 shown]
	s_waitcnt lgkmcnt(0)
	v_mul_f64 v[87:88], v[93:94], v[97:98]
	v_fma_f64 v[87:88], v[91:92], v[85:86], -v[87:88]
	v_mul_f64 v[91:92], v[91:92], v[97:98]
	buffer_store_dword v95, off, s[24:27], 0 offset:112 ; 4-byte Folded Spill
	s_nop 0
	buffer_store_dword v96, off, s[24:27], 0 offset:116 ; 4-byte Folded Spill
	buffer_store_dword v97, off, s[24:27], 0 offset:120 ; 4-byte Folded Spill
	;; [unrolled: 1-line block ×3, first 2 shown]
	v_add_f64 v[121:122], v[121:122], -v[87:88]
	v_fma_f64 v[91:92], v[93:94], v[85:86], v[91:92]
	v_add_f64 v[123:124], v[123:124], -v[91:92]
.LBB118_608:
	s_or_b64 exec, exec, s[0:1]
	s_waitcnt vmcnt(0)
	s_barrier
	buffer_load_dword v91, off, s[24:27], 0 offset:96 ; 4-byte Folded Reload
	buffer_load_dword v92, off, s[24:27], 0 offset:100 ; 4-byte Folded Reload
	buffer_load_dword v93, off, s[24:27], 0 offset:104 ; 4-byte Folded Reload
	buffer_load_dword v94, off, s[24:27], 0 offset:108 ; 4-byte Folded Reload
	v_lshl_add_u32 v85, v89, 4, v0
	s_cmp_lt_i32 s3, 31
	s_waitcnt vmcnt(0)
	ds_write2_b64 v85, v[91:92], v[93:94] offset1:1
	s_waitcnt lgkmcnt(0)
	s_barrier
	ds_read2_b64 v[117:120], v0 offset0:58 offset1:59
	v_mov_b32_e32 v85, 29
	s_cbranch_scc1 .LBB118_611
; %bb.609:
	v_add_u32_e32 v86, 0x1e0, v0
	s_mov_b32 s0, 30
	v_mov_b32_e32 v85, 29
.LBB118_610:                            ; =>This Inner Loop Header: Depth=1
	s_waitcnt lgkmcnt(0)
	v_cmp_gt_f64_e32 vcc, 0, v[117:118]
	v_xor_b32_e32 v87, 0x80000000, v118
	ds_read2_b64 v[91:94], v86 offset1:1
	v_xor_b32_e32 v95, 0x80000000, v120
	v_add_u32_e32 v86, 16, v86
	s_waitcnt lgkmcnt(0)
	v_xor_b32_e32 v97, 0x80000000, v94
	v_cndmask_b32_e32 v88, v118, v87, vcc
	v_cmp_gt_f64_e32 vcc, 0, v[119:120]
	v_mov_b32_e32 v87, v117
	v_cndmask_b32_e32 v96, v120, v95, vcc
	v_cmp_gt_f64_e32 vcc, 0, v[91:92]
	v_mov_b32_e32 v95, v119
	v_add_f64 v[87:88], v[87:88], v[95:96]
	v_xor_b32_e32 v95, 0x80000000, v92
	v_cndmask_b32_e32 v96, v92, v95, vcc
	v_cmp_gt_f64_e32 vcc, 0, v[93:94]
	v_mov_b32_e32 v95, v91
	v_cndmask_b32_e32 v98, v94, v97, vcc
	v_mov_b32_e32 v97, v93
	v_add_f64 v[95:96], v[95:96], v[97:98]
	v_cmp_lt_f64_e32 vcc, v[87:88], v[95:96]
	v_mov_b32_e32 v87, s0
	s_add_i32 s0, s0, 1
	s_cmp_lg_u32 s3, s0
	v_cndmask_b32_e32 v118, v118, v92, vcc
	v_cndmask_b32_e32 v117, v117, v91, vcc
	;; [unrolled: 1-line block ×5, first 2 shown]
	s_cbranch_scc1 .LBB118_610
.LBB118_611:
	s_waitcnt lgkmcnt(0)
	v_cmp_eq_f64_e32 vcc, 0, v[117:118]
	v_cmp_eq_f64_e64 s[0:1], 0, v[119:120]
	s_and_b64 s[0:1], vcc, s[0:1]
	s_and_saveexec_b64 s[18:19], s[0:1]
	s_xor_b64 s[0:1], exec, s[18:19]
; %bb.612:
	v_cmp_ne_u32_e32 vcc, 0, v90
	v_cndmask_b32_e32 v90, 30, v90, vcc
; %bb.613:
	s_andn2_saveexec_b64 s[0:1], s[0:1]
	s_cbranch_execz .LBB118_619
; %bb.614:
	v_cmp_ngt_f64_e64 s[18:19], |v[117:118]|, |v[119:120]|
	s_and_saveexec_b64 s[20:21], s[18:19]
	s_xor_b64 s[18:19], exec, s[20:21]
	s_cbranch_execz .LBB118_616
; %bb.615:
	v_div_scale_f64 v[86:87], s[20:21], v[119:120], v[119:120], v[117:118]
	v_rcp_f64_e32 v[91:92], v[86:87]
	v_fma_f64 v[93:94], -v[86:87], v[91:92], 1.0
	v_fma_f64 v[91:92], v[91:92], v[93:94], v[91:92]
	v_div_scale_f64 v[93:94], vcc, v[117:118], v[119:120], v[117:118]
	v_fma_f64 v[95:96], -v[86:87], v[91:92], 1.0
	v_fma_f64 v[91:92], v[91:92], v[95:96], v[91:92]
	v_mul_f64 v[95:96], v[93:94], v[91:92]
	v_fma_f64 v[86:87], -v[86:87], v[95:96], v[93:94]
	v_div_fmas_f64 v[86:87], v[86:87], v[91:92], v[95:96]
	v_div_fixup_f64 v[86:87], v[86:87], v[119:120], v[117:118]
	v_fma_f64 v[91:92], v[117:118], v[86:87], v[119:120]
	v_div_scale_f64 v[93:94], s[20:21], v[91:92], v[91:92], 1.0
	v_div_scale_f64 v[99:100], vcc, 1.0, v[91:92], 1.0
	v_rcp_f64_e32 v[95:96], v[93:94]
	v_fma_f64 v[97:98], -v[93:94], v[95:96], 1.0
	v_fma_f64 v[95:96], v[95:96], v[97:98], v[95:96]
	v_fma_f64 v[97:98], -v[93:94], v[95:96], 1.0
	v_fma_f64 v[95:96], v[95:96], v[97:98], v[95:96]
	v_mul_f64 v[97:98], v[99:100], v[95:96]
	v_fma_f64 v[93:94], -v[93:94], v[97:98], v[99:100]
	v_div_fmas_f64 v[93:94], v[93:94], v[95:96], v[97:98]
	v_div_fixup_f64 v[119:120], v[93:94], v[91:92], 1.0
	v_mul_f64 v[117:118], v[86:87], v[119:120]
	v_xor_b32_e32 v120, 0x80000000, v120
.LBB118_616:
	s_andn2_saveexec_b64 s[18:19], s[18:19]
	s_cbranch_execz .LBB118_618
; %bb.617:
	v_div_scale_f64 v[86:87], s[20:21], v[117:118], v[117:118], v[119:120]
	v_rcp_f64_e32 v[91:92], v[86:87]
	v_fma_f64 v[93:94], -v[86:87], v[91:92], 1.0
	v_fma_f64 v[91:92], v[91:92], v[93:94], v[91:92]
	v_div_scale_f64 v[93:94], vcc, v[119:120], v[117:118], v[119:120]
	v_fma_f64 v[95:96], -v[86:87], v[91:92], 1.0
	v_fma_f64 v[91:92], v[91:92], v[95:96], v[91:92]
	v_mul_f64 v[95:96], v[93:94], v[91:92]
	v_fma_f64 v[86:87], -v[86:87], v[95:96], v[93:94]
	v_div_fmas_f64 v[86:87], v[86:87], v[91:92], v[95:96]
	v_div_fixup_f64 v[86:87], v[86:87], v[117:118], v[119:120]
	v_fma_f64 v[91:92], v[119:120], v[86:87], v[117:118]
	v_div_scale_f64 v[93:94], s[20:21], v[91:92], v[91:92], 1.0
	v_div_scale_f64 v[99:100], vcc, 1.0, v[91:92], 1.0
	v_rcp_f64_e32 v[95:96], v[93:94]
	v_fma_f64 v[97:98], -v[93:94], v[95:96], 1.0
	v_fma_f64 v[95:96], v[95:96], v[97:98], v[95:96]
	v_fma_f64 v[97:98], -v[93:94], v[95:96], 1.0
	v_fma_f64 v[95:96], v[95:96], v[97:98], v[95:96]
	v_mul_f64 v[97:98], v[99:100], v[95:96]
	v_fma_f64 v[93:94], -v[93:94], v[97:98], v[99:100]
	v_div_fmas_f64 v[93:94], v[93:94], v[95:96], v[97:98]
	v_div_fixup_f64 v[117:118], v[93:94], v[91:92], 1.0
	v_mul_f64 v[119:120], v[86:87], -v[117:118]
.LBB118_618:
	s_or_b64 exec, exec, s[18:19]
.LBB118_619:
	s_or_b64 exec, exec, s[0:1]
	v_cmp_ne_u32_e32 vcc, v89, v85
	s_and_saveexec_b64 s[0:1], vcc
	s_xor_b64 s[0:1], exec, s[0:1]
	s_cbranch_execz .LBB118_625
; %bb.620:
	v_cmp_eq_u32_e32 vcc, 29, v89
	s_and_saveexec_b64 s[18:19], vcc
	s_cbranch_execz .LBB118_624
; %bb.621:
	v_cmp_ne_u32_e32 vcc, 29, v85
	s_xor_b64 s[20:21], s[6:7], -1
	s_and_b64 s[22:23], s[20:21], vcc
	s_and_saveexec_b64 s[20:21], s[22:23]
	s_cbranch_execz .LBB118_623
; %bb.622:
	v_ashrrev_i32_e32 v86, 31, v85
	v_lshlrev_b64 v[86:87], 2, v[85:86]
	v_add_co_u32_e32 v86, vcc, v107, v86
	v_addc_co_u32_e32 v87, vcc, v108, v87, vcc
	global_load_dword v88, v[86:87], off
	global_load_dword v89, v[107:108], off offset:116
	s_waitcnt vmcnt(1)
	global_store_dword v[107:108], v88, off offset:116
	s_waitcnt vmcnt(1)
	global_store_dword v[86:87], v89, off
.LBB118_623:
	s_or_b64 exec, exec, s[20:21]
	v_mov_b32_e32 v89, v85
	v_mov_b32_e32 v127, v85
.LBB118_624:
	s_or_b64 exec, exec, s[18:19]
.LBB118_625:
	s_andn2_saveexec_b64 s[0:1], s[0:1]
	s_cbranch_execz .LBB118_627
; %bb.626:
	buffer_load_dword v85, off, s[24:27], 0 offset:80 ; 4-byte Folded Reload
	buffer_load_dword v86, off, s[24:27], 0 offset:84 ; 4-byte Folded Reload
	;; [unrolled: 1-line block ×4, first 2 shown]
	v_mov_b32_e32 v89, 29
	s_waitcnt vmcnt(0)
	ds_write2_b64 v0, v[85:86], v[87:88] offset0:60 offset1:61
	buffer_load_dword v85, off, s[24:27], 0 offset:64 ; 4-byte Folded Reload
	buffer_load_dword v86, off, s[24:27], 0 offset:68 ; 4-byte Folded Reload
	buffer_load_dword v87, off, s[24:27], 0 offset:72 ; 4-byte Folded Reload
	buffer_load_dword v88, off, s[24:27], 0 offset:76 ; 4-byte Folded Reload
	s_waitcnt vmcnt(0)
	ds_write2_b64 v0, v[85:86], v[87:88] offset0:62 offset1:63
	buffer_load_dword v85, off, s[24:27], 0 offset:48 ; 4-byte Folded Reload
	buffer_load_dword v86, off, s[24:27], 0 offset:52 ; 4-byte Folded Reload
	buffer_load_dword v87, off, s[24:27], 0 offset:56 ; 4-byte Folded Reload
	buffer_load_dword v88, off, s[24:27], 0 offset:60 ; 4-byte Folded Reload
	;; [unrolled: 6-line block ×4, first 2 shown]
	s_waitcnt vmcnt(0)
	ds_write2_b64 v0, v[85:86], v[87:88] offset0:68 offset1:69
	buffer_load_dword v85, off, s[24:27], 0 ; 4-byte Folded Reload
	buffer_load_dword v86, off, s[24:27], 0 offset:4 ; 4-byte Folded Reload
	buffer_load_dword v87, off, s[24:27], 0 offset:8 ; 4-byte Folded Reload
	;; [unrolled: 1-line block ×3, first 2 shown]
	s_waitcnt vmcnt(0)
	ds_write2_b64 v0, v[85:86], v[87:88] offset0:70 offset1:71
	ds_write2_b64 v0, v[113:114], v[115:116] offset0:72 offset1:73
	;; [unrolled: 1-line block ×25, first 2 shown]
.LBB118_627:
	s_or_b64 exec, exec, s[0:1]
	v_cmp_lt_i32_e32 vcc, 29, v89
	s_waitcnt vmcnt(0) lgkmcnt(0)
	s_barrier
	s_and_saveexec_b64 s[0:1], vcc
	s_cbranch_execz .LBB118_629
; %bb.628:
	buffer_load_dword v95, off, s[24:27], 0 offset:96 ; 4-byte Folded Reload
	buffer_load_dword v96, off, s[24:27], 0 offset:100 ; 4-byte Folded Reload
	;; [unrolled: 1-line block ×4, first 2 shown]
	ds_read2_b64 v[91:94], v0 offset0:60 offset1:61
	s_waitcnt vmcnt(0)
	v_mul_f64 v[87:88], v[117:118], v[97:98]
	v_mul_f64 v[85:86], v[119:120], v[97:98]
	v_fma_f64 v[97:98], v[119:120], v[95:96], v[87:88]
	v_fma_f64 v[85:86], v[117:118], v[95:96], -v[85:86]
	s_waitcnt lgkmcnt(0)
	v_mul_f64 v[87:88], v[93:94], v[97:98]
	v_fma_f64 v[87:88], v[91:92], v[85:86], -v[87:88]
	v_mul_f64 v[91:92], v[91:92], v[97:98]
	v_fma_f64 v[91:92], v[93:94], v[85:86], v[91:92]
	buffer_load_dword v93, off, s[24:27], 0 offset:80 ; 4-byte Folded Reload
	buffer_load_dword v94, off, s[24:27], 0 offset:84 ; 4-byte Folded Reload
	buffer_load_dword v95, off, s[24:27], 0 offset:88 ; 4-byte Folded Reload
	buffer_load_dword v96, off, s[24:27], 0 offset:92 ; 4-byte Folded Reload
	s_waitcnt vmcnt(2)
	v_add_f64 v[93:94], v[93:94], -v[87:88]
	s_waitcnt vmcnt(0)
	v_add_f64 v[95:96], v[95:96], -v[91:92]
	buffer_store_dword v93, off, s[24:27], 0 offset:80 ; 4-byte Folded Spill
	s_nop 0
	buffer_store_dword v94, off, s[24:27], 0 offset:84 ; 4-byte Folded Spill
	buffer_store_dword v95, off, s[24:27], 0 offset:88 ; 4-byte Folded Spill
	buffer_store_dword v96, off, s[24:27], 0 offset:92 ; 4-byte Folded Spill
	ds_read2_b64 v[91:94], v0 offset0:62 offset1:63
	s_waitcnt lgkmcnt(0)
	v_mul_f64 v[87:88], v[93:94], v[97:98]
	v_fma_f64 v[87:88], v[91:92], v[85:86], -v[87:88]
	v_mul_f64 v[91:92], v[91:92], v[97:98]
	v_fma_f64 v[91:92], v[93:94], v[85:86], v[91:92]
	buffer_load_dword v93, off, s[24:27], 0 offset:64 ; 4-byte Folded Reload
	buffer_load_dword v94, off, s[24:27], 0 offset:68 ; 4-byte Folded Reload
	buffer_load_dword v95, off, s[24:27], 0 offset:72 ; 4-byte Folded Reload
	buffer_load_dword v96, off, s[24:27], 0 offset:76 ; 4-byte Folded Reload
	s_waitcnt vmcnt(2)
	v_add_f64 v[93:94], v[93:94], -v[87:88]
	s_waitcnt vmcnt(0)
	v_add_f64 v[95:96], v[95:96], -v[91:92]
	buffer_store_dword v93, off, s[24:27], 0 offset:64 ; 4-byte Folded Spill
	s_nop 0
	buffer_store_dword v94, off, s[24:27], 0 offset:68 ; 4-byte Folded Spill
	buffer_store_dword v95, off, s[24:27], 0 offset:72 ; 4-byte Folded Spill
	buffer_store_dword v96, off, s[24:27], 0 offset:76 ; 4-byte Folded Spill
	ds_read2_b64 v[91:94], v0 offset0:64 offset1:65
	;; [unrolled: 19-line block ×5, first 2 shown]
	s_waitcnt lgkmcnt(0)
	v_mul_f64 v[87:88], v[93:94], v[97:98]
	v_fma_f64 v[87:88], v[91:92], v[85:86], -v[87:88]
	v_mul_f64 v[91:92], v[91:92], v[97:98]
	v_fma_f64 v[91:92], v[93:94], v[85:86], v[91:92]
	buffer_load_dword v93, off, s[24:27], 0 ; 4-byte Folded Reload
	buffer_load_dword v94, off, s[24:27], 0 offset:4 ; 4-byte Folded Reload
	buffer_load_dword v95, off, s[24:27], 0 offset:8 ; 4-byte Folded Reload
	buffer_load_dword v96, off, s[24:27], 0 offset:12 ; 4-byte Folded Reload
	s_waitcnt vmcnt(2)
	v_add_f64 v[93:94], v[93:94], -v[87:88]
	s_waitcnt vmcnt(0)
	v_add_f64 v[95:96], v[95:96], -v[91:92]
	buffer_store_dword v93, off, s[24:27], 0 ; 4-byte Folded Spill
	s_nop 0
	buffer_store_dword v94, off, s[24:27], 0 offset:4 ; 4-byte Folded Spill
	buffer_store_dword v95, off, s[24:27], 0 offset:8 ; 4-byte Folded Spill
	;; [unrolled: 1-line block ×3, first 2 shown]
	ds_read2_b64 v[91:94], v0 offset0:72 offset1:73
	v_mov_b32_e32 v96, v86
	v_mov_b32_e32 v95, v85
	s_waitcnt lgkmcnt(0)
	v_mul_f64 v[87:88], v[93:94], v[97:98]
	v_fma_f64 v[87:88], v[91:92], v[85:86], -v[87:88]
	v_mul_f64 v[91:92], v[91:92], v[97:98]
	v_add_f64 v[113:114], v[113:114], -v[87:88]
	v_fma_f64 v[91:92], v[93:94], v[85:86], v[91:92]
	v_add_f64 v[115:116], v[115:116], -v[91:92]
	ds_read2_b64 v[91:94], v0 offset0:74 offset1:75
	s_waitcnt lgkmcnt(0)
	v_mul_f64 v[87:88], v[93:94], v[97:98]
	v_fma_f64 v[87:88], v[91:92], v[85:86], -v[87:88]
	v_mul_f64 v[91:92], v[91:92], v[97:98]
	v_add_f64 v[109:110], v[109:110], -v[87:88]
	v_fma_f64 v[91:92], v[93:94], v[85:86], v[91:92]
	v_add_f64 v[111:112], v[111:112], -v[91:92]
	ds_read2_b64 v[91:94], v0 offset0:76 offset1:77
	;; [unrolled: 8-line block ×23, first 2 shown]
	s_waitcnt lgkmcnt(0)
	v_mul_f64 v[87:88], v[93:94], v[97:98]
	v_fma_f64 v[87:88], v[91:92], v[85:86], -v[87:88]
	v_mul_f64 v[91:92], v[91:92], v[97:98]
	buffer_store_dword v95, off, s[24:27], 0 offset:96 ; 4-byte Folded Spill
	s_nop 0
	buffer_store_dword v96, off, s[24:27], 0 offset:100 ; 4-byte Folded Spill
	buffer_store_dword v97, off, s[24:27], 0 offset:104 ; 4-byte Folded Spill
	;; [unrolled: 1-line block ×3, first 2 shown]
	v_add_f64 v[121:122], v[121:122], -v[87:88]
	v_fma_f64 v[91:92], v[93:94], v[85:86], v[91:92]
	v_add_f64 v[123:124], v[123:124], -v[91:92]
.LBB118_629:
	s_or_b64 exec, exec, s[0:1]
	s_waitcnt vmcnt(0)
	s_barrier
	buffer_load_dword v91, off, s[24:27], 0 offset:80 ; 4-byte Folded Reload
	buffer_load_dword v92, off, s[24:27], 0 offset:84 ; 4-byte Folded Reload
	;; [unrolled: 1-line block ×4, first 2 shown]
	v_lshl_add_u32 v85, v89, 4, v0
	s_cmp_lt_i32 s3, 32
	s_waitcnt vmcnt(0)
	ds_write2_b64 v85, v[91:92], v[93:94] offset1:1
	s_waitcnt lgkmcnt(0)
	s_barrier
	ds_read2_b64 v[117:120], v0 offset0:60 offset1:61
	v_mov_b32_e32 v85, 30
	s_cbranch_scc1 .LBB118_632
; %bb.630:
	v_add_u32_e32 v86, 0x1f0, v0
	s_mov_b32 s0, 31
	v_mov_b32_e32 v85, 30
.LBB118_631:                            ; =>This Inner Loop Header: Depth=1
	s_waitcnt lgkmcnt(0)
	v_cmp_gt_f64_e32 vcc, 0, v[117:118]
	v_xor_b32_e32 v87, 0x80000000, v118
	ds_read2_b64 v[91:94], v86 offset1:1
	v_xor_b32_e32 v95, 0x80000000, v120
	v_add_u32_e32 v86, 16, v86
	s_waitcnt lgkmcnt(0)
	v_xor_b32_e32 v97, 0x80000000, v94
	v_cndmask_b32_e32 v88, v118, v87, vcc
	v_cmp_gt_f64_e32 vcc, 0, v[119:120]
	v_mov_b32_e32 v87, v117
	v_cndmask_b32_e32 v96, v120, v95, vcc
	v_cmp_gt_f64_e32 vcc, 0, v[91:92]
	v_mov_b32_e32 v95, v119
	v_add_f64 v[87:88], v[87:88], v[95:96]
	v_xor_b32_e32 v95, 0x80000000, v92
	v_cndmask_b32_e32 v96, v92, v95, vcc
	v_cmp_gt_f64_e32 vcc, 0, v[93:94]
	v_mov_b32_e32 v95, v91
	v_cndmask_b32_e32 v98, v94, v97, vcc
	v_mov_b32_e32 v97, v93
	v_add_f64 v[95:96], v[95:96], v[97:98]
	v_cmp_lt_f64_e32 vcc, v[87:88], v[95:96]
	v_mov_b32_e32 v87, s0
	s_add_i32 s0, s0, 1
	s_cmp_lg_u32 s3, s0
	v_cndmask_b32_e32 v118, v118, v92, vcc
	v_cndmask_b32_e32 v117, v117, v91, vcc
	;; [unrolled: 1-line block ×5, first 2 shown]
	s_cbranch_scc1 .LBB118_631
.LBB118_632:
	s_waitcnt lgkmcnt(0)
	v_cmp_eq_f64_e32 vcc, 0, v[117:118]
	v_cmp_eq_f64_e64 s[0:1], 0, v[119:120]
	s_and_b64 s[0:1], vcc, s[0:1]
	s_and_saveexec_b64 s[18:19], s[0:1]
	s_xor_b64 s[0:1], exec, s[18:19]
; %bb.633:
	v_cmp_ne_u32_e32 vcc, 0, v90
	v_cndmask_b32_e32 v90, 31, v90, vcc
; %bb.634:
	s_andn2_saveexec_b64 s[0:1], s[0:1]
	s_cbranch_execz .LBB118_640
; %bb.635:
	v_cmp_ngt_f64_e64 s[18:19], |v[117:118]|, |v[119:120]|
	s_and_saveexec_b64 s[20:21], s[18:19]
	s_xor_b64 s[18:19], exec, s[20:21]
	s_cbranch_execz .LBB118_637
; %bb.636:
	v_div_scale_f64 v[86:87], s[20:21], v[119:120], v[119:120], v[117:118]
	v_rcp_f64_e32 v[91:92], v[86:87]
	v_fma_f64 v[93:94], -v[86:87], v[91:92], 1.0
	v_fma_f64 v[91:92], v[91:92], v[93:94], v[91:92]
	v_div_scale_f64 v[93:94], vcc, v[117:118], v[119:120], v[117:118]
	v_fma_f64 v[95:96], -v[86:87], v[91:92], 1.0
	v_fma_f64 v[91:92], v[91:92], v[95:96], v[91:92]
	v_mul_f64 v[95:96], v[93:94], v[91:92]
	v_fma_f64 v[86:87], -v[86:87], v[95:96], v[93:94]
	v_div_fmas_f64 v[86:87], v[86:87], v[91:92], v[95:96]
	v_div_fixup_f64 v[86:87], v[86:87], v[119:120], v[117:118]
	v_fma_f64 v[91:92], v[117:118], v[86:87], v[119:120]
	v_div_scale_f64 v[93:94], s[20:21], v[91:92], v[91:92], 1.0
	v_div_scale_f64 v[99:100], vcc, 1.0, v[91:92], 1.0
	v_rcp_f64_e32 v[95:96], v[93:94]
	v_fma_f64 v[97:98], -v[93:94], v[95:96], 1.0
	v_fma_f64 v[95:96], v[95:96], v[97:98], v[95:96]
	v_fma_f64 v[97:98], -v[93:94], v[95:96], 1.0
	v_fma_f64 v[95:96], v[95:96], v[97:98], v[95:96]
	v_mul_f64 v[97:98], v[99:100], v[95:96]
	v_fma_f64 v[93:94], -v[93:94], v[97:98], v[99:100]
	v_div_fmas_f64 v[93:94], v[93:94], v[95:96], v[97:98]
	v_div_fixup_f64 v[119:120], v[93:94], v[91:92], 1.0
	v_mul_f64 v[117:118], v[86:87], v[119:120]
	v_xor_b32_e32 v120, 0x80000000, v120
.LBB118_637:
	s_andn2_saveexec_b64 s[18:19], s[18:19]
	s_cbranch_execz .LBB118_639
; %bb.638:
	v_div_scale_f64 v[86:87], s[20:21], v[117:118], v[117:118], v[119:120]
	v_rcp_f64_e32 v[91:92], v[86:87]
	v_fma_f64 v[93:94], -v[86:87], v[91:92], 1.0
	v_fma_f64 v[91:92], v[91:92], v[93:94], v[91:92]
	v_div_scale_f64 v[93:94], vcc, v[119:120], v[117:118], v[119:120]
	v_fma_f64 v[95:96], -v[86:87], v[91:92], 1.0
	v_fma_f64 v[91:92], v[91:92], v[95:96], v[91:92]
	v_mul_f64 v[95:96], v[93:94], v[91:92]
	v_fma_f64 v[86:87], -v[86:87], v[95:96], v[93:94]
	v_div_fmas_f64 v[86:87], v[86:87], v[91:92], v[95:96]
	v_div_fixup_f64 v[86:87], v[86:87], v[117:118], v[119:120]
	v_fma_f64 v[91:92], v[119:120], v[86:87], v[117:118]
	v_div_scale_f64 v[93:94], s[20:21], v[91:92], v[91:92], 1.0
	v_div_scale_f64 v[99:100], vcc, 1.0, v[91:92], 1.0
	v_rcp_f64_e32 v[95:96], v[93:94]
	v_fma_f64 v[97:98], -v[93:94], v[95:96], 1.0
	v_fma_f64 v[95:96], v[95:96], v[97:98], v[95:96]
	v_fma_f64 v[97:98], -v[93:94], v[95:96], 1.0
	v_fma_f64 v[95:96], v[95:96], v[97:98], v[95:96]
	v_mul_f64 v[97:98], v[99:100], v[95:96]
	v_fma_f64 v[93:94], -v[93:94], v[97:98], v[99:100]
	v_div_fmas_f64 v[93:94], v[93:94], v[95:96], v[97:98]
	v_div_fixup_f64 v[117:118], v[93:94], v[91:92], 1.0
	v_mul_f64 v[119:120], v[86:87], -v[117:118]
.LBB118_639:
	s_or_b64 exec, exec, s[18:19]
.LBB118_640:
	s_or_b64 exec, exec, s[0:1]
	v_cmp_ne_u32_e32 vcc, v89, v85
	s_and_saveexec_b64 s[0:1], vcc
	s_xor_b64 s[0:1], exec, s[0:1]
	s_cbranch_execz .LBB118_646
; %bb.641:
	v_cmp_eq_u32_e32 vcc, 30, v89
	s_and_saveexec_b64 s[18:19], vcc
	s_cbranch_execz .LBB118_645
; %bb.642:
	v_cmp_ne_u32_e32 vcc, 30, v85
	s_xor_b64 s[20:21], s[6:7], -1
	s_and_b64 s[22:23], s[20:21], vcc
	s_and_saveexec_b64 s[20:21], s[22:23]
	s_cbranch_execz .LBB118_644
; %bb.643:
	v_ashrrev_i32_e32 v86, 31, v85
	v_lshlrev_b64 v[86:87], 2, v[85:86]
	v_add_co_u32_e32 v86, vcc, v107, v86
	v_addc_co_u32_e32 v87, vcc, v108, v87, vcc
	global_load_dword v88, v[86:87], off
	global_load_dword v89, v[107:108], off offset:120
	s_waitcnt vmcnt(1)
	global_store_dword v[107:108], v88, off offset:120
	s_waitcnt vmcnt(1)
	global_store_dword v[86:87], v89, off
.LBB118_644:
	s_or_b64 exec, exec, s[20:21]
	v_mov_b32_e32 v89, v85
	v_mov_b32_e32 v127, v85
.LBB118_645:
	s_or_b64 exec, exec, s[18:19]
.LBB118_646:
	s_andn2_saveexec_b64 s[0:1], s[0:1]
	s_cbranch_execz .LBB118_648
; %bb.647:
	buffer_load_dword v85, off, s[24:27], 0 offset:64 ; 4-byte Folded Reload
	buffer_load_dword v86, off, s[24:27], 0 offset:68 ; 4-byte Folded Reload
	;; [unrolled: 1-line block ×4, first 2 shown]
	v_mov_b32_e32 v89, 30
	s_waitcnt vmcnt(0)
	ds_write2_b64 v0, v[85:86], v[87:88] offset0:62 offset1:63
	buffer_load_dword v85, off, s[24:27], 0 offset:48 ; 4-byte Folded Reload
	buffer_load_dword v86, off, s[24:27], 0 offset:52 ; 4-byte Folded Reload
	buffer_load_dword v87, off, s[24:27], 0 offset:56 ; 4-byte Folded Reload
	buffer_load_dword v88, off, s[24:27], 0 offset:60 ; 4-byte Folded Reload
	s_waitcnt vmcnt(0)
	ds_write2_b64 v0, v[85:86], v[87:88] offset0:64 offset1:65
	buffer_load_dword v85, off, s[24:27], 0 offset:32 ; 4-byte Folded Reload
	buffer_load_dword v86, off, s[24:27], 0 offset:36 ; 4-byte Folded Reload
	buffer_load_dword v87, off, s[24:27], 0 offset:40 ; 4-byte Folded Reload
	buffer_load_dword v88, off, s[24:27], 0 offset:44 ; 4-byte Folded Reload
	;; [unrolled: 6-line block ×3, first 2 shown]
	s_waitcnt vmcnt(0)
	ds_write2_b64 v0, v[85:86], v[87:88] offset0:68 offset1:69
	buffer_load_dword v85, off, s[24:27], 0 ; 4-byte Folded Reload
	buffer_load_dword v86, off, s[24:27], 0 offset:4 ; 4-byte Folded Reload
	buffer_load_dword v87, off, s[24:27], 0 offset:8 ; 4-byte Folded Reload
	;; [unrolled: 1-line block ×3, first 2 shown]
	s_waitcnt vmcnt(0)
	ds_write2_b64 v0, v[85:86], v[87:88] offset0:70 offset1:71
	ds_write2_b64 v0, v[113:114], v[115:116] offset0:72 offset1:73
	;; [unrolled: 1-line block ×25, first 2 shown]
.LBB118_648:
	s_or_b64 exec, exec, s[0:1]
	v_cmp_lt_i32_e32 vcc, 30, v89
	s_waitcnt vmcnt(0) lgkmcnt(0)
	s_barrier
	s_and_saveexec_b64 s[0:1], vcc
	s_cbranch_execz .LBB118_650
; %bb.649:
	buffer_load_dword v95, off, s[24:27], 0 offset:80 ; 4-byte Folded Reload
	buffer_load_dword v96, off, s[24:27], 0 offset:84 ; 4-byte Folded Reload
	buffer_load_dword v97, off, s[24:27], 0 offset:88 ; 4-byte Folded Reload
	buffer_load_dword v98, off, s[24:27], 0 offset:92 ; 4-byte Folded Reload
	ds_read2_b64 v[91:94], v0 offset0:62 offset1:63
	s_waitcnt vmcnt(0)
	v_mul_f64 v[87:88], v[117:118], v[97:98]
	v_mul_f64 v[85:86], v[119:120], v[97:98]
	v_fma_f64 v[97:98], v[119:120], v[95:96], v[87:88]
	v_fma_f64 v[85:86], v[117:118], v[95:96], -v[85:86]
	s_waitcnt lgkmcnt(0)
	v_mul_f64 v[87:88], v[93:94], v[97:98]
	v_fma_f64 v[87:88], v[91:92], v[85:86], -v[87:88]
	v_mul_f64 v[91:92], v[91:92], v[97:98]
	v_fma_f64 v[91:92], v[93:94], v[85:86], v[91:92]
	buffer_load_dword v93, off, s[24:27], 0 offset:64 ; 4-byte Folded Reload
	buffer_load_dword v94, off, s[24:27], 0 offset:68 ; 4-byte Folded Reload
	buffer_load_dword v95, off, s[24:27], 0 offset:72 ; 4-byte Folded Reload
	buffer_load_dword v96, off, s[24:27], 0 offset:76 ; 4-byte Folded Reload
	s_waitcnt vmcnt(2)
	v_add_f64 v[93:94], v[93:94], -v[87:88]
	s_waitcnt vmcnt(0)
	v_add_f64 v[95:96], v[95:96], -v[91:92]
	buffer_store_dword v93, off, s[24:27], 0 offset:64 ; 4-byte Folded Spill
	s_nop 0
	buffer_store_dword v94, off, s[24:27], 0 offset:68 ; 4-byte Folded Spill
	buffer_store_dword v95, off, s[24:27], 0 offset:72 ; 4-byte Folded Spill
	buffer_store_dword v96, off, s[24:27], 0 offset:76 ; 4-byte Folded Spill
	ds_read2_b64 v[91:94], v0 offset0:64 offset1:65
	s_waitcnt lgkmcnt(0)
	v_mul_f64 v[87:88], v[93:94], v[97:98]
	v_fma_f64 v[87:88], v[91:92], v[85:86], -v[87:88]
	v_mul_f64 v[91:92], v[91:92], v[97:98]
	v_fma_f64 v[91:92], v[93:94], v[85:86], v[91:92]
	buffer_load_dword v93, off, s[24:27], 0 offset:48 ; 4-byte Folded Reload
	buffer_load_dword v94, off, s[24:27], 0 offset:52 ; 4-byte Folded Reload
	buffer_load_dword v95, off, s[24:27], 0 offset:56 ; 4-byte Folded Reload
	buffer_load_dword v96, off, s[24:27], 0 offset:60 ; 4-byte Folded Reload
	s_waitcnt vmcnt(2)
	v_add_f64 v[93:94], v[93:94], -v[87:88]
	s_waitcnt vmcnt(0)
	v_add_f64 v[95:96], v[95:96], -v[91:92]
	buffer_store_dword v93, off, s[24:27], 0 offset:48 ; 4-byte Folded Spill
	s_nop 0
	buffer_store_dword v94, off, s[24:27], 0 offset:52 ; 4-byte Folded Spill
	buffer_store_dword v95, off, s[24:27], 0 offset:56 ; 4-byte Folded Spill
	buffer_store_dword v96, off, s[24:27], 0 offset:60 ; 4-byte Folded Spill
	ds_read2_b64 v[91:94], v0 offset0:66 offset1:67
	;; [unrolled: 19-line block ×4, first 2 shown]
	s_waitcnt lgkmcnt(0)
	v_mul_f64 v[87:88], v[93:94], v[97:98]
	v_fma_f64 v[87:88], v[91:92], v[85:86], -v[87:88]
	v_mul_f64 v[91:92], v[91:92], v[97:98]
	v_fma_f64 v[91:92], v[93:94], v[85:86], v[91:92]
	buffer_load_dword v93, off, s[24:27], 0 ; 4-byte Folded Reload
	buffer_load_dword v94, off, s[24:27], 0 offset:4 ; 4-byte Folded Reload
	buffer_load_dword v95, off, s[24:27], 0 offset:8 ; 4-byte Folded Reload
	;; [unrolled: 1-line block ×3, first 2 shown]
	s_waitcnt vmcnt(2)
	v_add_f64 v[93:94], v[93:94], -v[87:88]
	s_waitcnt vmcnt(0)
	v_add_f64 v[95:96], v[95:96], -v[91:92]
	buffer_store_dword v93, off, s[24:27], 0 ; 4-byte Folded Spill
	s_nop 0
	buffer_store_dword v94, off, s[24:27], 0 offset:4 ; 4-byte Folded Spill
	buffer_store_dword v95, off, s[24:27], 0 offset:8 ; 4-byte Folded Spill
	;; [unrolled: 1-line block ×3, first 2 shown]
	ds_read2_b64 v[91:94], v0 offset0:72 offset1:73
	v_mov_b32_e32 v96, v86
	v_mov_b32_e32 v95, v85
	s_waitcnt lgkmcnt(0)
	v_mul_f64 v[87:88], v[93:94], v[97:98]
	v_fma_f64 v[87:88], v[91:92], v[85:86], -v[87:88]
	v_mul_f64 v[91:92], v[91:92], v[97:98]
	v_add_f64 v[113:114], v[113:114], -v[87:88]
	v_fma_f64 v[91:92], v[93:94], v[85:86], v[91:92]
	v_add_f64 v[115:116], v[115:116], -v[91:92]
	ds_read2_b64 v[91:94], v0 offset0:74 offset1:75
	s_waitcnt lgkmcnt(0)
	v_mul_f64 v[87:88], v[93:94], v[97:98]
	v_fma_f64 v[87:88], v[91:92], v[85:86], -v[87:88]
	v_mul_f64 v[91:92], v[91:92], v[97:98]
	v_add_f64 v[109:110], v[109:110], -v[87:88]
	v_fma_f64 v[91:92], v[93:94], v[85:86], v[91:92]
	v_add_f64 v[111:112], v[111:112], -v[91:92]
	ds_read2_b64 v[91:94], v0 offset0:76 offset1:77
	;; [unrolled: 8-line block ×23, first 2 shown]
	s_waitcnt lgkmcnt(0)
	v_mul_f64 v[87:88], v[93:94], v[97:98]
	v_fma_f64 v[87:88], v[91:92], v[85:86], -v[87:88]
	v_mul_f64 v[91:92], v[91:92], v[97:98]
	buffer_store_dword v95, off, s[24:27], 0 offset:80 ; 4-byte Folded Spill
	s_nop 0
	buffer_store_dword v96, off, s[24:27], 0 offset:84 ; 4-byte Folded Spill
	buffer_store_dword v97, off, s[24:27], 0 offset:88 ; 4-byte Folded Spill
	;; [unrolled: 1-line block ×3, first 2 shown]
	v_add_f64 v[121:122], v[121:122], -v[87:88]
	v_fma_f64 v[91:92], v[93:94], v[85:86], v[91:92]
	v_add_f64 v[123:124], v[123:124], -v[91:92]
.LBB118_650:
	s_or_b64 exec, exec, s[0:1]
	s_waitcnt vmcnt(0)
	s_barrier
	buffer_load_dword v91, off, s[24:27], 0 offset:64 ; 4-byte Folded Reload
	buffer_load_dword v92, off, s[24:27], 0 offset:68 ; 4-byte Folded Reload
	;; [unrolled: 1-line block ×4, first 2 shown]
	v_lshl_add_u32 v85, v89, 4, v0
	s_cmp_lt_i32 s3, 33
	s_waitcnt vmcnt(0)
	ds_write2_b64 v85, v[91:92], v[93:94] offset1:1
	s_waitcnt lgkmcnt(0)
	s_barrier
	ds_read2_b64 v[117:120], v0 offset0:62 offset1:63
	v_mov_b32_e32 v85, 31
	s_cbranch_scc1 .LBB118_653
; %bb.651:
	v_add_u32_e32 v86, 0x200, v0
	s_mov_b32 s0, 32
	v_mov_b32_e32 v85, 31
.LBB118_652:                            ; =>This Inner Loop Header: Depth=1
	s_waitcnt lgkmcnt(0)
	v_cmp_gt_f64_e32 vcc, 0, v[117:118]
	v_xor_b32_e32 v87, 0x80000000, v118
	ds_read2_b64 v[91:94], v86 offset1:1
	v_xor_b32_e32 v95, 0x80000000, v120
	v_add_u32_e32 v86, 16, v86
	s_waitcnt lgkmcnt(0)
	v_xor_b32_e32 v97, 0x80000000, v94
	v_cndmask_b32_e32 v88, v118, v87, vcc
	v_cmp_gt_f64_e32 vcc, 0, v[119:120]
	v_mov_b32_e32 v87, v117
	v_cndmask_b32_e32 v96, v120, v95, vcc
	v_cmp_gt_f64_e32 vcc, 0, v[91:92]
	v_mov_b32_e32 v95, v119
	v_add_f64 v[87:88], v[87:88], v[95:96]
	v_xor_b32_e32 v95, 0x80000000, v92
	v_cndmask_b32_e32 v96, v92, v95, vcc
	v_cmp_gt_f64_e32 vcc, 0, v[93:94]
	v_mov_b32_e32 v95, v91
	v_cndmask_b32_e32 v98, v94, v97, vcc
	v_mov_b32_e32 v97, v93
	v_add_f64 v[95:96], v[95:96], v[97:98]
	v_cmp_lt_f64_e32 vcc, v[87:88], v[95:96]
	v_mov_b32_e32 v87, s0
	s_add_i32 s0, s0, 1
	s_cmp_lg_u32 s3, s0
	v_cndmask_b32_e32 v118, v118, v92, vcc
	v_cndmask_b32_e32 v117, v117, v91, vcc
	;; [unrolled: 1-line block ×5, first 2 shown]
	s_cbranch_scc1 .LBB118_652
.LBB118_653:
	s_waitcnt lgkmcnt(0)
	v_cmp_eq_f64_e32 vcc, 0, v[117:118]
	v_cmp_eq_f64_e64 s[0:1], 0, v[119:120]
	s_and_b64 s[0:1], vcc, s[0:1]
	s_and_saveexec_b64 s[18:19], s[0:1]
	s_xor_b64 s[0:1], exec, s[18:19]
; %bb.654:
	v_cmp_ne_u32_e32 vcc, 0, v90
	v_cndmask_b32_e32 v90, 32, v90, vcc
; %bb.655:
	s_andn2_saveexec_b64 s[0:1], s[0:1]
	s_cbranch_execz .LBB118_661
; %bb.656:
	v_cmp_ngt_f64_e64 s[18:19], |v[117:118]|, |v[119:120]|
	s_and_saveexec_b64 s[20:21], s[18:19]
	s_xor_b64 s[18:19], exec, s[20:21]
	s_cbranch_execz .LBB118_658
; %bb.657:
	v_div_scale_f64 v[86:87], s[20:21], v[119:120], v[119:120], v[117:118]
	v_rcp_f64_e32 v[91:92], v[86:87]
	v_fma_f64 v[93:94], -v[86:87], v[91:92], 1.0
	v_fma_f64 v[91:92], v[91:92], v[93:94], v[91:92]
	v_div_scale_f64 v[93:94], vcc, v[117:118], v[119:120], v[117:118]
	v_fma_f64 v[95:96], -v[86:87], v[91:92], 1.0
	v_fma_f64 v[91:92], v[91:92], v[95:96], v[91:92]
	v_mul_f64 v[95:96], v[93:94], v[91:92]
	v_fma_f64 v[86:87], -v[86:87], v[95:96], v[93:94]
	v_div_fmas_f64 v[86:87], v[86:87], v[91:92], v[95:96]
	v_div_fixup_f64 v[86:87], v[86:87], v[119:120], v[117:118]
	v_fma_f64 v[91:92], v[117:118], v[86:87], v[119:120]
	v_div_scale_f64 v[93:94], s[20:21], v[91:92], v[91:92], 1.0
	v_div_scale_f64 v[99:100], vcc, 1.0, v[91:92], 1.0
	v_rcp_f64_e32 v[95:96], v[93:94]
	v_fma_f64 v[97:98], -v[93:94], v[95:96], 1.0
	v_fma_f64 v[95:96], v[95:96], v[97:98], v[95:96]
	v_fma_f64 v[97:98], -v[93:94], v[95:96], 1.0
	v_fma_f64 v[95:96], v[95:96], v[97:98], v[95:96]
	v_mul_f64 v[97:98], v[99:100], v[95:96]
	v_fma_f64 v[93:94], -v[93:94], v[97:98], v[99:100]
	v_div_fmas_f64 v[93:94], v[93:94], v[95:96], v[97:98]
	v_div_fixup_f64 v[119:120], v[93:94], v[91:92], 1.0
	v_mul_f64 v[117:118], v[86:87], v[119:120]
	v_xor_b32_e32 v120, 0x80000000, v120
.LBB118_658:
	s_andn2_saveexec_b64 s[18:19], s[18:19]
	s_cbranch_execz .LBB118_660
; %bb.659:
	v_div_scale_f64 v[86:87], s[20:21], v[117:118], v[117:118], v[119:120]
	v_rcp_f64_e32 v[91:92], v[86:87]
	v_fma_f64 v[93:94], -v[86:87], v[91:92], 1.0
	v_fma_f64 v[91:92], v[91:92], v[93:94], v[91:92]
	v_div_scale_f64 v[93:94], vcc, v[119:120], v[117:118], v[119:120]
	v_fma_f64 v[95:96], -v[86:87], v[91:92], 1.0
	v_fma_f64 v[91:92], v[91:92], v[95:96], v[91:92]
	v_mul_f64 v[95:96], v[93:94], v[91:92]
	v_fma_f64 v[86:87], -v[86:87], v[95:96], v[93:94]
	v_div_fmas_f64 v[86:87], v[86:87], v[91:92], v[95:96]
	v_div_fixup_f64 v[86:87], v[86:87], v[117:118], v[119:120]
	v_fma_f64 v[91:92], v[119:120], v[86:87], v[117:118]
	v_div_scale_f64 v[93:94], s[20:21], v[91:92], v[91:92], 1.0
	v_div_scale_f64 v[99:100], vcc, 1.0, v[91:92], 1.0
	v_rcp_f64_e32 v[95:96], v[93:94]
	v_fma_f64 v[97:98], -v[93:94], v[95:96], 1.0
	v_fma_f64 v[95:96], v[95:96], v[97:98], v[95:96]
	v_fma_f64 v[97:98], -v[93:94], v[95:96], 1.0
	v_fma_f64 v[95:96], v[95:96], v[97:98], v[95:96]
	v_mul_f64 v[97:98], v[99:100], v[95:96]
	v_fma_f64 v[93:94], -v[93:94], v[97:98], v[99:100]
	v_div_fmas_f64 v[93:94], v[93:94], v[95:96], v[97:98]
	v_div_fixup_f64 v[117:118], v[93:94], v[91:92], 1.0
	v_mul_f64 v[119:120], v[86:87], -v[117:118]
.LBB118_660:
	s_or_b64 exec, exec, s[18:19]
.LBB118_661:
	s_or_b64 exec, exec, s[0:1]
	v_cmp_ne_u32_e32 vcc, v89, v85
	s_and_saveexec_b64 s[0:1], vcc
	s_xor_b64 s[0:1], exec, s[0:1]
	s_cbranch_execz .LBB118_667
; %bb.662:
	v_cmp_eq_u32_e32 vcc, 31, v89
	s_and_saveexec_b64 s[18:19], vcc
	s_cbranch_execz .LBB118_666
; %bb.663:
	v_cmp_ne_u32_e32 vcc, 31, v85
	s_xor_b64 s[20:21], s[6:7], -1
	s_and_b64 s[22:23], s[20:21], vcc
	s_and_saveexec_b64 s[20:21], s[22:23]
	s_cbranch_execz .LBB118_665
; %bb.664:
	v_ashrrev_i32_e32 v86, 31, v85
	v_lshlrev_b64 v[86:87], 2, v[85:86]
	v_add_co_u32_e32 v86, vcc, v107, v86
	v_addc_co_u32_e32 v87, vcc, v108, v87, vcc
	global_load_dword v88, v[86:87], off
	global_load_dword v89, v[107:108], off offset:124
	s_waitcnt vmcnt(1)
	global_store_dword v[107:108], v88, off offset:124
	s_waitcnt vmcnt(1)
	global_store_dword v[86:87], v89, off
.LBB118_665:
	s_or_b64 exec, exec, s[20:21]
	v_mov_b32_e32 v89, v85
	v_mov_b32_e32 v127, v85
.LBB118_666:
	s_or_b64 exec, exec, s[18:19]
.LBB118_667:
	s_andn2_saveexec_b64 s[0:1], s[0:1]
	s_cbranch_execz .LBB118_669
; %bb.668:
	buffer_load_dword v85, off, s[24:27], 0 offset:48 ; 4-byte Folded Reload
	buffer_load_dword v86, off, s[24:27], 0 offset:52 ; 4-byte Folded Reload
	;; [unrolled: 1-line block ×4, first 2 shown]
	v_mov_b32_e32 v89, 31
	s_waitcnt vmcnt(0)
	ds_write2_b64 v0, v[85:86], v[87:88] offset0:64 offset1:65
	buffer_load_dword v85, off, s[24:27], 0 offset:32 ; 4-byte Folded Reload
	buffer_load_dword v86, off, s[24:27], 0 offset:36 ; 4-byte Folded Reload
	;; [unrolled: 1-line block ×4, first 2 shown]
	s_waitcnt vmcnt(0)
	ds_write2_b64 v0, v[85:86], v[87:88] offset0:66 offset1:67
	buffer_load_dword v85, off, s[24:27], 0 offset:16 ; 4-byte Folded Reload
	buffer_load_dword v86, off, s[24:27], 0 offset:20 ; 4-byte Folded Reload
	;; [unrolled: 1-line block ×4, first 2 shown]
	s_waitcnt vmcnt(0)
	ds_write2_b64 v0, v[85:86], v[87:88] offset0:68 offset1:69
	buffer_load_dword v85, off, s[24:27], 0 ; 4-byte Folded Reload
	buffer_load_dword v86, off, s[24:27], 0 offset:4 ; 4-byte Folded Reload
	buffer_load_dword v87, off, s[24:27], 0 offset:8 ; 4-byte Folded Reload
	;; [unrolled: 1-line block ×3, first 2 shown]
	s_waitcnt vmcnt(0)
	ds_write2_b64 v0, v[85:86], v[87:88] offset0:70 offset1:71
	ds_write2_b64 v0, v[113:114], v[115:116] offset0:72 offset1:73
	;; [unrolled: 1-line block ×25, first 2 shown]
.LBB118_669:
	s_or_b64 exec, exec, s[0:1]
	v_cmp_lt_i32_e32 vcc, 31, v89
	s_waitcnt vmcnt(0) lgkmcnt(0)
	s_barrier
	s_and_saveexec_b64 s[0:1], vcc
	s_cbranch_execz .LBB118_671
; %bb.670:
	buffer_load_dword v95, off, s[24:27], 0 offset:64 ; 4-byte Folded Reload
	buffer_load_dword v96, off, s[24:27], 0 offset:68 ; 4-byte Folded Reload
	;; [unrolled: 1-line block ×4, first 2 shown]
	ds_read2_b64 v[91:94], v0 offset0:64 offset1:65
	s_waitcnt vmcnt(0)
	v_mul_f64 v[87:88], v[117:118], v[97:98]
	v_mul_f64 v[85:86], v[119:120], v[97:98]
	v_fma_f64 v[97:98], v[119:120], v[95:96], v[87:88]
	v_fma_f64 v[85:86], v[117:118], v[95:96], -v[85:86]
	s_waitcnt lgkmcnt(0)
	v_mul_f64 v[87:88], v[93:94], v[97:98]
	v_fma_f64 v[87:88], v[91:92], v[85:86], -v[87:88]
	v_mul_f64 v[91:92], v[91:92], v[97:98]
	v_fma_f64 v[91:92], v[93:94], v[85:86], v[91:92]
	buffer_load_dword v93, off, s[24:27], 0 offset:48 ; 4-byte Folded Reload
	buffer_load_dword v94, off, s[24:27], 0 offset:52 ; 4-byte Folded Reload
	buffer_load_dword v95, off, s[24:27], 0 offset:56 ; 4-byte Folded Reload
	buffer_load_dword v96, off, s[24:27], 0 offset:60 ; 4-byte Folded Reload
	s_waitcnt vmcnt(2)
	v_add_f64 v[93:94], v[93:94], -v[87:88]
	s_waitcnt vmcnt(0)
	v_add_f64 v[95:96], v[95:96], -v[91:92]
	buffer_store_dword v93, off, s[24:27], 0 offset:48 ; 4-byte Folded Spill
	s_nop 0
	buffer_store_dword v94, off, s[24:27], 0 offset:52 ; 4-byte Folded Spill
	buffer_store_dword v95, off, s[24:27], 0 offset:56 ; 4-byte Folded Spill
	buffer_store_dword v96, off, s[24:27], 0 offset:60 ; 4-byte Folded Spill
	ds_read2_b64 v[91:94], v0 offset0:66 offset1:67
	s_waitcnt lgkmcnt(0)
	v_mul_f64 v[87:88], v[93:94], v[97:98]
	v_fma_f64 v[87:88], v[91:92], v[85:86], -v[87:88]
	v_mul_f64 v[91:92], v[91:92], v[97:98]
	v_fma_f64 v[91:92], v[93:94], v[85:86], v[91:92]
	buffer_load_dword v93, off, s[24:27], 0 offset:32 ; 4-byte Folded Reload
	buffer_load_dword v94, off, s[24:27], 0 offset:36 ; 4-byte Folded Reload
	buffer_load_dword v95, off, s[24:27], 0 offset:40 ; 4-byte Folded Reload
	buffer_load_dword v96, off, s[24:27], 0 offset:44 ; 4-byte Folded Reload
	s_waitcnt vmcnt(2)
	v_add_f64 v[93:94], v[93:94], -v[87:88]
	s_waitcnt vmcnt(0)
	v_add_f64 v[95:96], v[95:96], -v[91:92]
	buffer_store_dword v93, off, s[24:27], 0 offset:32 ; 4-byte Folded Spill
	s_nop 0
	buffer_store_dword v94, off, s[24:27], 0 offset:36 ; 4-byte Folded Spill
	buffer_store_dword v95, off, s[24:27], 0 offset:40 ; 4-byte Folded Spill
	buffer_store_dword v96, off, s[24:27], 0 offset:44 ; 4-byte Folded Spill
	ds_read2_b64 v[91:94], v0 offset0:68 offset1:69
	;; [unrolled: 19-line block ×3, first 2 shown]
	s_waitcnt lgkmcnt(0)
	v_mul_f64 v[87:88], v[93:94], v[97:98]
	v_fma_f64 v[87:88], v[91:92], v[85:86], -v[87:88]
	v_mul_f64 v[91:92], v[91:92], v[97:98]
	v_fma_f64 v[91:92], v[93:94], v[85:86], v[91:92]
	buffer_load_dword v93, off, s[24:27], 0 ; 4-byte Folded Reload
	buffer_load_dword v94, off, s[24:27], 0 offset:4 ; 4-byte Folded Reload
	buffer_load_dword v95, off, s[24:27], 0 offset:8 ; 4-byte Folded Reload
	;; [unrolled: 1-line block ×3, first 2 shown]
	s_waitcnt vmcnt(2)
	v_add_f64 v[93:94], v[93:94], -v[87:88]
	s_waitcnt vmcnt(0)
	v_add_f64 v[95:96], v[95:96], -v[91:92]
	buffer_store_dword v93, off, s[24:27], 0 ; 4-byte Folded Spill
	s_nop 0
	buffer_store_dword v94, off, s[24:27], 0 offset:4 ; 4-byte Folded Spill
	buffer_store_dword v95, off, s[24:27], 0 offset:8 ; 4-byte Folded Spill
	;; [unrolled: 1-line block ×3, first 2 shown]
	ds_read2_b64 v[91:94], v0 offset0:72 offset1:73
	v_mov_b32_e32 v96, v86
	v_mov_b32_e32 v95, v85
	s_waitcnt lgkmcnt(0)
	v_mul_f64 v[87:88], v[93:94], v[97:98]
	v_fma_f64 v[87:88], v[91:92], v[85:86], -v[87:88]
	v_mul_f64 v[91:92], v[91:92], v[97:98]
	v_add_f64 v[113:114], v[113:114], -v[87:88]
	v_fma_f64 v[91:92], v[93:94], v[85:86], v[91:92]
	v_add_f64 v[115:116], v[115:116], -v[91:92]
	ds_read2_b64 v[91:94], v0 offset0:74 offset1:75
	s_waitcnt lgkmcnt(0)
	v_mul_f64 v[87:88], v[93:94], v[97:98]
	v_fma_f64 v[87:88], v[91:92], v[85:86], -v[87:88]
	v_mul_f64 v[91:92], v[91:92], v[97:98]
	v_add_f64 v[109:110], v[109:110], -v[87:88]
	v_fma_f64 v[91:92], v[93:94], v[85:86], v[91:92]
	v_add_f64 v[111:112], v[111:112], -v[91:92]
	ds_read2_b64 v[91:94], v0 offset0:76 offset1:77
	;; [unrolled: 8-line block ×23, first 2 shown]
	s_waitcnt lgkmcnt(0)
	v_mul_f64 v[87:88], v[93:94], v[97:98]
	v_fma_f64 v[87:88], v[91:92], v[85:86], -v[87:88]
	v_mul_f64 v[91:92], v[91:92], v[97:98]
	buffer_store_dword v95, off, s[24:27], 0 offset:64 ; 4-byte Folded Spill
	s_nop 0
	buffer_store_dword v96, off, s[24:27], 0 offset:68 ; 4-byte Folded Spill
	buffer_store_dword v97, off, s[24:27], 0 offset:72 ; 4-byte Folded Spill
	;; [unrolled: 1-line block ×3, first 2 shown]
	v_add_f64 v[121:122], v[121:122], -v[87:88]
	v_fma_f64 v[91:92], v[93:94], v[85:86], v[91:92]
	v_add_f64 v[123:124], v[123:124], -v[91:92]
.LBB118_671:
	s_or_b64 exec, exec, s[0:1]
	s_waitcnt vmcnt(0)
	s_barrier
	buffer_load_dword v91, off, s[24:27], 0 offset:48 ; 4-byte Folded Reload
	buffer_load_dword v92, off, s[24:27], 0 offset:52 ; 4-byte Folded Reload
	;; [unrolled: 1-line block ×4, first 2 shown]
	v_lshl_add_u32 v85, v89, 4, v0
	s_cmp_lt_i32 s3, 34
	s_waitcnt vmcnt(0)
	ds_write2_b64 v85, v[91:92], v[93:94] offset1:1
	s_waitcnt lgkmcnt(0)
	s_barrier
	ds_read2_b64 v[117:120], v0 offset0:64 offset1:65
	v_mov_b32_e32 v85, 32
	s_cbranch_scc1 .LBB118_674
; %bb.672:
	v_add_u32_e32 v86, 0x210, v0
	s_mov_b32 s0, 33
	v_mov_b32_e32 v85, 32
.LBB118_673:                            ; =>This Inner Loop Header: Depth=1
	s_waitcnt lgkmcnt(0)
	v_cmp_gt_f64_e32 vcc, 0, v[117:118]
	v_xor_b32_e32 v87, 0x80000000, v118
	ds_read2_b64 v[91:94], v86 offset1:1
	v_xor_b32_e32 v95, 0x80000000, v120
	v_add_u32_e32 v86, 16, v86
	s_waitcnt lgkmcnt(0)
	v_xor_b32_e32 v97, 0x80000000, v94
	v_cndmask_b32_e32 v88, v118, v87, vcc
	v_cmp_gt_f64_e32 vcc, 0, v[119:120]
	v_mov_b32_e32 v87, v117
	v_cndmask_b32_e32 v96, v120, v95, vcc
	v_cmp_gt_f64_e32 vcc, 0, v[91:92]
	v_mov_b32_e32 v95, v119
	v_add_f64 v[87:88], v[87:88], v[95:96]
	v_xor_b32_e32 v95, 0x80000000, v92
	v_cndmask_b32_e32 v96, v92, v95, vcc
	v_cmp_gt_f64_e32 vcc, 0, v[93:94]
	v_mov_b32_e32 v95, v91
	v_cndmask_b32_e32 v98, v94, v97, vcc
	v_mov_b32_e32 v97, v93
	v_add_f64 v[95:96], v[95:96], v[97:98]
	v_cmp_lt_f64_e32 vcc, v[87:88], v[95:96]
	v_mov_b32_e32 v87, s0
	s_add_i32 s0, s0, 1
	s_cmp_lg_u32 s3, s0
	v_cndmask_b32_e32 v118, v118, v92, vcc
	v_cndmask_b32_e32 v117, v117, v91, vcc
	;; [unrolled: 1-line block ×5, first 2 shown]
	s_cbranch_scc1 .LBB118_673
.LBB118_674:
	s_waitcnt lgkmcnt(0)
	v_cmp_eq_f64_e32 vcc, 0, v[117:118]
	v_cmp_eq_f64_e64 s[0:1], 0, v[119:120]
	s_and_b64 s[0:1], vcc, s[0:1]
	s_and_saveexec_b64 s[18:19], s[0:1]
	s_xor_b64 s[0:1], exec, s[18:19]
; %bb.675:
	v_cmp_ne_u32_e32 vcc, 0, v90
	v_cndmask_b32_e32 v90, 33, v90, vcc
; %bb.676:
	s_andn2_saveexec_b64 s[0:1], s[0:1]
	s_cbranch_execz .LBB118_682
; %bb.677:
	v_cmp_ngt_f64_e64 s[18:19], |v[117:118]|, |v[119:120]|
	s_and_saveexec_b64 s[20:21], s[18:19]
	s_xor_b64 s[18:19], exec, s[20:21]
	s_cbranch_execz .LBB118_679
; %bb.678:
	v_div_scale_f64 v[86:87], s[20:21], v[119:120], v[119:120], v[117:118]
	v_rcp_f64_e32 v[91:92], v[86:87]
	v_fma_f64 v[93:94], -v[86:87], v[91:92], 1.0
	v_fma_f64 v[91:92], v[91:92], v[93:94], v[91:92]
	v_div_scale_f64 v[93:94], vcc, v[117:118], v[119:120], v[117:118]
	v_fma_f64 v[95:96], -v[86:87], v[91:92], 1.0
	v_fma_f64 v[91:92], v[91:92], v[95:96], v[91:92]
	v_mul_f64 v[95:96], v[93:94], v[91:92]
	v_fma_f64 v[86:87], -v[86:87], v[95:96], v[93:94]
	v_div_fmas_f64 v[86:87], v[86:87], v[91:92], v[95:96]
	v_div_fixup_f64 v[86:87], v[86:87], v[119:120], v[117:118]
	v_fma_f64 v[91:92], v[117:118], v[86:87], v[119:120]
	v_div_scale_f64 v[93:94], s[20:21], v[91:92], v[91:92], 1.0
	v_div_scale_f64 v[99:100], vcc, 1.0, v[91:92], 1.0
	v_rcp_f64_e32 v[95:96], v[93:94]
	v_fma_f64 v[97:98], -v[93:94], v[95:96], 1.0
	v_fma_f64 v[95:96], v[95:96], v[97:98], v[95:96]
	v_fma_f64 v[97:98], -v[93:94], v[95:96], 1.0
	v_fma_f64 v[95:96], v[95:96], v[97:98], v[95:96]
	v_mul_f64 v[97:98], v[99:100], v[95:96]
	v_fma_f64 v[93:94], -v[93:94], v[97:98], v[99:100]
	v_div_fmas_f64 v[93:94], v[93:94], v[95:96], v[97:98]
	v_div_fixup_f64 v[119:120], v[93:94], v[91:92], 1.0
	v_mul_f64 v[117:118], v[86:87], v[119:120]
	v_xor_b32_e32 v120, 0x80000000, v120
.LBB118_679:
	s_andn2_saveexec_b64 s[18:19], s[18:19]
	s_cbranch_execz .LBB118_681
; %bb.680:
	v_div_scale_f64 v[86:87], s[20:21], v[117:118], v[117:118], v[119:120]
	v_rcp_f64_e32 v[91:92], v[86:87]
	v_fma_f64 v[93:94], -v[86:87], v[91:92], 1.0
	v_fma_f64 v[91:92], v[91:92], v[93:94], v[91:92]
	v_div_scale_f64 v[93:94], vcc, v[119:120], v[117:118], v[119:120]
	v_fma_f64 v[95:96], -v[86:87], v[91:92], 1.0
	v_fma_f64 v[91:92], v[91:92], v[95:96], v[91:92]
	v_mul_f64 v[95:96], v[93:94], v[91:92]
	v_fma_f64 v[86:87], -v[86:87], v[95:96], v[93:94]
	v_div_fmas_f64 v[86:87], v[86:87], v[91:92], v[95:96]
	v_div_fixup_f64 v[86:87], v[86:87], v[117:118], v[119:120]
	v_fma_f64 v[91:92], v[119:120], v[86:87], v[117:118]
	v_div_scale_f64 v[93:94], s[20:21], v[91:92], v[91:92], 1.0
	v_div_scale_f64 v[99:100], vcc, 1.0, v[91:92], 1.0
	v_rcp_f64_e32 v[95:96], v[93:94]
	v_fma_f64 v[97:98], -v[93:94], v[95:96], 1.0
	v_fma_f64 v[95:96], v[95:96], v[97:98], v[95:96]
	v_fma_f64 v[97:98], -v[93:94], v[95:96], 1.0
	v_fma_f64 v[95:96], v[95:96], v[97:98], v[95:96]
	v_mul_f64 v[97:98], v[99:100], v[95:96]
	v_fma_f64 v[93:94], -v[93:94], v[97:98], v[99:100]
	v_div_fmas_f64 v[93:94], v[93:94], v[95:96], v[97:98]
	v_div_fixup_f64 v[117:118], v[93:94], v[91:92], 1.0
	v_mul_f64 v[119:120], v[86:87], -v[117:118]
.LBB118_681:
	s_or_b64 exec, exec, s[18:19]
.LBB118_682:
	s_or_b64 exec, exec, s[0:1]
	v_cmp_ne_u32_e32 vcc, v89, v85
	s_and_saveexec_b64 s[0:1], vcc
	s_xor_b64 s[0:1], exec, s[0:1]
	s_cbranch_execz .LBB118_688
; %bb.683:
	v_cmp_eq_u32_e32 vcc, 32, v89
	s_and_saveexec_b64 s[18:19], vcc
	s_cbranch_execz .LBB118_687
; %bb.684:
	v_cmp_ne_u32_e32 vcc, 32, v85
	s_xor_b64 s[20:21], s[6:7], -1
	s_and_b64 s[22:23], s[20:21], vcc
	s_and_saveexec_b64 s[20:21], s[22:23]
	s_cbranch_execz .LBB118_686
; %bb.685:
	v_ashrrev_i32_e32 v86, 31, v85
	v_lshlrev_b64 v[86:87], 2, v[85:86]
	v_add_co_u32_e32 v86, vcc, v107, v86
	v_addc_co_u32_e32 v87, vcc, v108, v87, vcc
	global_load_dword v88, v[86:87], off
	global_load_dword v89, v[107:108], off offset:128
	s_waitcnt vmcnt(1)
	global_store_dword v[107:108], v88, off offset:128
	s_waitcnt vmcnt(1)
	global_store_dword v[86:87], v89, off
.LBB118_686:
	s_or_b64 exec, exec, s[20:21]
	v_mov_b32_e32 v89, v85
	v_mov_b32_e32 v127, v85
.LBB118_687:
	s_or_b64 exec, exec, s[18:19]
.LBB118_688:
	s_andn2_saveexec_b64 s[0:1], s[0:1]
	s_cbranch_execz .LBB118_690
; %bb.689:
	buffer_load_dword v85, off, s[24:27], 0 offset:32 ; 4-byte Folded Reload
	buffer_load_dword v86, off, s[24:27], 0 offset:36 ; 4-byte Folded Reload
	;; [unrolled: 1-line block ×4, first 2 shown]
	v_mov_b32_e32 v89, 32
	s_waitcnt vmcnt(0)
	ds_write2_b64 v0, v[85:86], v[87:88] offset0:66 offset1:67
	buffer_load_dword v85, off, s[24:27], 0 offset:16 ; 4-byte Folded Reload
	buffer_load_dword v86, off, s[24:27], 0 offset:20 ; 4-byte Folded Reload
	;; [unrolled: 1-line block ×4, first 2 shown]
	s_waitcnt vmcnt(0)
	ds_write2_b64 v0, v[85:86], v[87:88] offset0:68 offset1:69
	buffer_load_dword v85, off, s[24:27], 0 ; 4-byte Folded Reload
	buffer_load_dword v86, off, s[24:27], 0 offset:4 ; 4-byte Folded Reload
	buffer_load_dword v87, off, s[24:27], 0 offset:8 ; 4-byte Folded Reload
	;; [unrolled: 1-line block ×3, first 2 shown]
	s_waitcnt vmcnt(0)
	ds_write2_b64 v0, v[85:86], v[87:88] offset0:70 offset1:71
	ds_write2_b64 v0, v[113:114], v[115:116] offset0:72 offset1:73
	;; [unrolled: 1-line block ×25, first 2 shown]
.LBB118_690:
	s_or_b64 exec, exec, s[0:1]
	v_cmp_lt_i32_e32 vcc, 32, v89
	s_waitcnt vmcnt(0) lgkmcnt(0)
	s_barrier
	s_and_saveexec_b64 s[0:1], vcc
	s_cbranch_execz .LBB118_692
; %bb.691:
	buffer_load_dword v95, off, s[24:27], 0 offset:48 ; 4-byte Folded Reload
	buffer_load_dword v96, off, s[24:27], 0 offset:52 ; 4-byte Folded Reload
	;; [unrolled: 1-line block ×4, first 2 shown]
	ds_read2_b64 v[91:94], v0 offset0:66 offset1:67
	s_waitcnt vmcnt(0)
	v_mul_f64 v[87:88], v[117:118], v[97:98]
	v_mul_f64 v[85:86], v[119:120], v[97:98]
	v_fma_f64 v[97:98], v[119:120], v[95:96], v[87:88]
	v_fma_f64 v[85:86], v[117:118], v[95:96], -v[85:86]
	s_waitcnt lgkmcnt(0)
	v_mul_f64 v[87:88], v[93:94], v[97:98]
	v_fma_f64 v[87:88], v[91:92], v[85:86], -v[87:88]
	v_mul_f64 v[91:92], v[91:92], v[97:98]
	v_fma_f64 v[91:92], v[93:94], v[85:86], v[91:92]
	buffer_load_dword v93, off, s[24:27], 0 offset:32 ; 4-byte Folded Reload
	buffer_load_dword v94, off, s[24:27], 0 offset:36 ; 4-byte Folded Reload
	;; [unrolled: 1-line block ×4, first 2 shown]
	s_waitcnt vmcnt(2)
	v_add_f64 v[93:94], v[93:94], -v[87:88]
	s_waitcnt vmcnt(0)
	v_add_f64 v[95:96], v[95:96], -v[91:92]
	buffer_store_dword v93, off, s[24:27], 0 offset:32 ; 4-byte Folded Spill
	s_nop 0
	buffer_store_dword v94, off, s[24:27], 0 offset:36 ; 4-byte Folded Spill
	buffer_store_dword v95, off, s[24:27], 0 offset:40 ; 4-byte Folded Spill
	;; [unrolled: 1-line block ×3, first 2 shown]
	ds_read2_b64 v[91:94], v0 offset0:68 offset1:69
	s_waitcnt lgkmcnt(0)
	v_mul_f64 v[87:88], v[93:94], v[97:98]
	v_fma_f64 v[87:88], v[91:92], v[85:86], -v[87:88]
	v_mul_f64 v[91:92], v[91:92], v[97:98]
	v_fma_f64 v[91:92], v[93:94], v[85:86], v[91:92]
	buffer_load_dword v93, off, s[24:27], 0 offset:16 ; 4-byte Folded Reload
	buffer_load_dword v94, off, s[24:27], 0 offset:20 ; 4-byte Folded Reload
	;; [unrolled: 1-line block ×4, first 2 shown]
	s_waitcnt vmcnt(2)
	v_add_f64 v[93:94], v[93:94], -v[87:88]
	s_waitcnt vmcnt(0)
	v_add_f64 v[95:96], v[95:96], -v[91:92]
	buffer_store_dword v93, off, s[24:27], 0 offset:16 ; 4-byte Folded Spill
	s_nop 0
	buffer_store_dword v94, off, s[24:27], 0 offset:20 ; 4-byte Folded Spill
	buffer_store_dword v95, off, s[24:27], 0 offset:24 ; 4-byte Folded Spill
	;; [unrolled: 1-line block ×3, first 2 shown]
	ds_read2_b64 v[91:94], v0 offset0:70 offset1:71
	s_waitcnt lgkmcnt(0)
	v_mul_f64 v[87:88], v[93:94], v[97:98]
	v_fma_f64 v[87:88], v[91:92], v[85:86], -v[87:88]
	v_mul_f64 v[91:92], v[91:92], v[97:98]
	v_fma_f64 v[91:92], v[93:94], v[85:86], v[91:92]
	buffer_load_dword v93, off, s[24:27], 0 ; 4-byte Folded Reload
	buffer_load_dword v94, off, s[24:27], 0 offset:4 ; 4-byte Folded Reload
	buffer_load_dword v95, off, s[24:27], 0 offset:8 ; 4-byte Folded Reload
	;; [unrolled: 1-line block ×3, first 2 shown]
	s_waitcnt vmcnt(2)
	v_add_f64 v[93:94], v[93:94], -v[87:88]
	s_waitcnt vmcnt(0)
	v_add_f64 v[95:96], v[95:96], -v[91:92]
	buffer_store_dword v93, off, s[24:27], 0 ; 4-byte Folded Spill
	s_nop 0
	buffer_store_dword v94, off, s[24:27], 0 offset:4 ; 4-byte Folded Spill
	buffer_store_dword v95, off, s[24:27], 0 offset:8 ; 4-byte Folded Spill
	;; [unrolled: 1-line block ×3, first 2 shown]
	ds_read2_b64 v[91:94], v0 offset0:72 offset1:73
	v_mov_b32_e32 v96, v86
	v_mov_b32_e32 v95, v85
	s_waitcnt lgkmcnt(0)
	v_mul_f64 v[87:88], v[93:94], v[97:98]
	v_fma_f64 v[87:88], v[91:92], v[85:86], -v[87:88]
	v_mul_f64 v[91:92], v[91:92], v[97:98]
	v_add_f64 v[113:114], v[113:114], -v[87:88]
	v_fma_f64 v[91:92], v[93:94], v[85:86], v[91:92]
	v_add_f64 v[115:116], v[115:116], -v[91:92]
	ds_read2_b64 v[91:94], v0 offset0:74 offset1:75
	s_waitcnt lgkmcnt(0)
	v_mul_f64 v[87:88], v[93:94], v[97:98]
	v_fma_f64 v[87:88], v[91:92], v[85:86], -v[87:88]
	v_mul_f64 v[91:92], v[91:92], v[97:98]
	v_add_f64 v[109:110], v[109:110], -v[87:88]
	v_fma_f64 v[91:92], v[93:94], v[85:86], v[91:92]
	v_add_f64 v[111:112], v[111:112], -v[91:92]
	ds_read2_b64 v[91:94], v0 offset0:76 offset1:77
	;; [unrolled: 8-line block ×23, first 2 shown]
	s_waitcnt lgkmcnt(0)
	v_mul_f64 v[87:88], v[93:94], v[97:98]
	v_fma_f64 v[87:88], v[91:92], v[85:86], -v[87:88]
	v_mul_f64 v[91:92], v[91:92], v[97:98]
	buffer_store_dword v95, off, s[24:27], 0 offset:48 ; 4-byte Folded Spill
	s_nop 0
	buffer_store_dword v96, off, s[24:27], 0 offset:52 ; 4-byte Folded Spill
	buffer_store_dword v97, off, s[24:27], 0 offset:56 ; 4-byte Folded Spill
	;; [unrolled: 1-line block ×3, first 2 shown]
	v_add_f64 v[121:122], v[121:122], -v[87:88]
	v_fma_f64 v[91:92], v[93:94], v[85:86], v[91:92]
	v_add_f64 v[123:124], v[123:124], -v[91:92]
.LBB118_692:
	s_or_b64 exec, exec, s[0:1]
	s_waitcnt vmcnt(0)
	s_barrier
	buffer_load_dword v91, off, s[24:27], 0 offset:32 ; 4-byte Folded Reload
	buffer_load_dword v92, off, s[24:27], 0 offset:36 ; 4-byte Folded Reload
	;; [unrolled: 1-line block ×4, first 2 shown]
	v_lshl_add_u32 v85, v89, 4, v0
	s_cmp_lt_i32 s3, 35
	s_waitcnt vmcnt(0)
	ds_write2_b64 v85, v[91:92], v[93:94] offset1:1
	s_waitcnt lgkmcnt(0)
	s_barrier
	ds_read2_b64 v[117:120], v0 offset0:66 offset1:67
	v_mov_b32_e32 v85, 33
	s_cbranch_scc1 .LBB118_695
; %bb.693:
	v_add_u32_e32 v86, 0x220, v0
	s_mov_b32 s0, 34
	v_mov_b32_e32 v85, 33
.LBB118_694:                            ; =>This Inner Loop Header: Depth=1
	s_waitcnt lgkmcnt(0)
	v_cmp_gt_f64_e32 vcc, 0, v[117:118]
	v_xor_b32_e32 v87, 0x80000000, v118
	ds_read2_b64 v[91:94], v86 offset1:1
	v_xor_b32_e32 v95, 0x80000000, v120
	v_add_u32_e32 v86, 16, v86
	s_waitcnt lgkmcnt(0)
	v_xor_b32_e32 v97, 0x80000000, v94
	v_cndmask_b32_e32 v88, v118, v87, vcc
	v_cmp_gt_f64_e32 vcc, 0, v[119:120]
	v_mov_b32_e32 v87, v117
	v_cndmask_b32_e32 v96, v120, v95, vcc
	v_cmp_gt_f64_e32 vcc, 0, v[91:92]
	v_mov_b32_e32 v95, v119
	v_add_f64 v[87:88], v[87:88], v[95:96]
	v_xor_b32_e32 v95, 0x80000000, v92
	v_cndmask_b32_e32 v96, v92, v95, vcc
	v_cmp_gt_f64_e32 vcc, 0, v[93:94]
	v_mov_b32_e32 v95, v91
	v_cndmask_b32_e32 v98, v94, v97, vcc
	v_mov_b32_e32 v97, v93
	v_add_f64 v[95:96], v[95:96], v[97:98]
	v_cmp_lt_f64_e32 vcc, v[87:88], v[95:96]
	v_mov_b32_e32 v87, s0
	s_add_i32 s0, s0, 1
	s_cmp_lg_u32 s3, s0
	v_cndmask_b32_e32 v118, v118, v92, vcc
	v_cndmask_b32_e32 v117, v117, v91, vcc
	;; [unrolled: 1-line block ×5, first 2 shown]
	s_cbranch_scc1 .LBB118_694
.LBB118_695:
	s_waitcnt lgkmcnt(0)
	v_cmp_eq_f64_e32 vcc, 0, v[117:118]
	v_cmp_eq_f64_e64 s[0:1], 0, v[119:120]
	s_and_b64 s[0:1], vcc, s[0:1]
	s_and_saveexec_b64 s[18:19], s[0:1]
	s_xor_b64 s[0:1], exec, s[18:19]
; %bb.696:
	v_cmp_ne_u32_e32 vcc, 0, v90
	v_cndmask_b32_e32 v90, 34, v90, vcc
; %bb.697:
	s_andn2_saveexec_b64 s[0:1], s[0:1]
	s_cbranch_execz .LBB118_703
; %bb.698:
	v_cmp_ngt_f64_e64 s[18:19], |v[117:118]|, |v[119:120]|
	s_and_saveexec_b64 s[20:21], s[18:19]
	s_xor_b64 s[18:19], exec, s[20:21]
	s_cbranch_execz .LBB118_700
; %bb.699:
	v_div_scale_f64 v[86:87], s[20:21], v[119:120], v[119:120], v[117:118]
	v_rcp_f64_e32 v[91:92], v[86:87]
	v_fma_f64 v[93:94], -v[86:87], v[91:92], 1.0
	v_fma_f64 v[91:92], v[91:92], v[93:94], v[91:92]
	v_div_scale_f64 v[93:94], vcc, v[117:118], v[119:120], v[117:118]
	v_fma_f64 v[95:96], -v[86:87], v[91:92], 1.0
	v_fma_f64 v[91:92], v[91:92], v[95:96], v[91:92]
	v_mul_f64 v[95:96], v[93:94], v[91:92]
	v_fma_f64 v[86:87], -v[86:87], v[95:96], v[93:94]
	v_div_fmas_f64 v[86:87], v[86:87], v[91:92], v[95:96]
	v_div_fixup_f64 v[86:87], v[86:87], v[119:120], v[117:118]
	v_fma_f64 v[91:92], v[117:118], v[86:87], v[119:120]
	v_div_scale_f64 v[93:94], s[20:21], v[91:92], v[91:92], 1.0
	v_div_scale_f64 v[99:100], vcc, 1.0, v[91:92], 1.0
	v_rcp_f64_e32 v[95:96], v[93:94]
	v_fma_f64 v[97:98], -v[93:94], v[95:96], 1.0
	v_fma_f64 v[95:96], v[95:96], v[97:98], v[95:96]
	v_fma_f64 v[97:98], -v[93:94], v[95:96], 1.0
	v_fma_f64 v[95:96], v[95:96], v[97:98], v[95:96]
	v_mul_f64 v[97:98], v[99:100], v[95:96]
	v_fma_f64 v[93:94], -v[93:94], v[97:98], v[99:100]
	v_div_fmas_f64 v[93:94], v[93:94], v[95:96], v[97:98]
	v_div_fixup_f64 v[119:120], v[93:94], v[91:92], 1.0
	v_mul_f64 v[117:118], v[86:87], v[119:120]
	v_xor_b32_e32 v120, 0x80000000, v120
.LBB118_700:
	s_andn2_saveexec_b64 s[18:19], s[18:19]
	s_cbranch_execz .LBB118_702
; %bb.701:
	v_div_scale_f64 v[86:87], s[20:21], v[117:118], v[117:118], v[119:120]
	v_rcp_f64_e32 v[91:92], v[86:87]
	v_fma_f64 v[93:94], -v[86:87], v[91:92], 1.0
	v_fma_f64 v[91:92], v[91:92], v[93:94], v[91:92]
	v_div_scale_f64 v[93:94], vcc, v[119:120], v[117:118], v[119:120]
	v_fma_f64 v[95:96], -v[86:87], v[91:92], 1.0
	v_fma_f64 v[91:92], v[91:92], v[95:96], v[91:92]
	v_mul_f64 v[95:96], v[93:94], v[91:92]
	v_fma_f64 v[86:87], -v[86:87], v[95:96], v[93:94]
	v_div_fmas_f64 v[86:87], v[86:87], v[91:92], v[95:96]
	v_div_fixup_f64 v[86:87], v[86:87], v[117:118], v[119:120]
	v_fma_f64 v[91:92], v[119:120], v[86:87], v[117:118]
	v_div_scale_f64 v[93:94], s[20:21], v[91:92], v[91:92], 1.0
	v_div_scale_f64 v[99:100], vcc, 1.0, v[91:92], 1.0
	v_rcp_f64_e32 v[95:96], v[93:94]
	v_fma_f64 v[97:98], -v[93:94], v[95:96], 1.0
	v_fma_f64 v[95:96], v[95:96], v[97:98], v[95:96]
	v_fma_f64 v[97:98], -v[93:94], v[95:96], 1.0
	v_fma_f64 v[95:96], v[95:96], v[97:98], v[95:96]
	v_mul_f64 v[97:98], v[99:100], v[95:96]
	v_fma_f64 v[93:94], -v[93:94], v[97:98], v[99:100]
	v_div_fmas_f64 v[93:94], v[93:94], v[95:96], v[97:98]
	v_div_fixup_f64 v[117:118], v[93:94], v[91:92], 1.0
	v_mul_f64 v[119:120], v[86:87], -v[117:118]
.LBB118_702:
	s_or_b64 exec, exec, s[18:19]
.LBB118_703:
	s_or_b64 exec, exec, s[0:1]
	v_cmp_ne_u32_e32 vcc, v89, v85
	s_and_saveexec_b64 s[0:1], vcc
	s_xor_b64 s[0:1], exec, s[0:1]
	s_cbranch_execz .LBB118_709
; %bb.704:
	v_cmp_eq_u32_e32 vcc, 33, v89
	s_and_saveexec_b64 s[18:19], vcc
	s_cbranch_execz .LBB118_708
; %bb.705:
	v_cmp_ne_u32_e32 vcc, 33, v85
	s_xor_b64 s[20:21], s[6:7], -1
	s_and_b64 s[22:23], s[20:21], vcc
	s_and_saveexec_b64 s[20:21], s[22:23]
	s_cbranch_execz .LBB118_707
; %bb.706:
	v_ashrrev_i32_e32 v86, 31, v85
	v_lshlrev_b64 v[86:87], 2, v[85:86]
	v_add_co_u32_e32 v86, vcc, v107, v86
	v_addc_co_u32_e32 v87, vcc, v108, v87, vcc
	global_load_dword v88, v[86:87], off
	global_load_dword v89, v[107:108], off offset:132
	s_waitcnt vmcnt(1)
	global_store_dword v[107:108], v88, off offset:132
	s_waitcnt vmcnt(1)
	global_store_dword v[86:87], v89, off
.LBB118_707:
	s_or_b64 exec, exec, s[20:21]
	v_mov_b32_e32 v89, v85
	v_mov_b32_e32 v127, v85
.LBB118_708:
	s_or_b64 exec, exec, s[18:19]
.LBB118_709:
	s_andn2_saveexec_b64 s[0:1], s[0:1]
	s_cbranch_execz .LBB118_711
; %bb.710:
	buffer_load_dword v85, off, s[24:27], 0 offset:16 ; 4-byte Folded Reload
	buffer_load_dword v86, off, s[24:27], 0 offset:20 ; 4-byte Folded Reload
	;; [unrolled: 1-line block ×4, first 2 shown]
	v_mov_b32_e32 v89, 33
	s_waitcnt vmcnt(0)
	ds_write2_b64 v0, v[85:86], v[87:88] offset0:68 offset1:69
	buffer_load_dword v85, off, s[24:27], 0 ; 4-byte Folded Reload
	buffer_load_dword v86, off, s[24:27], 0 offset:4 ; 4-byte Folded Reload
	buffer_load_dword v87, off, s[24:27], 0 offset:8 ; 4-byte Folded Reload
	buffer_load_dword v88, off, s[24:27], 0 offset:12 ; 4-byte Folded Reload
	s_waitcnt vmcnt(0)
	ds_write2_b64 v0, v[85:86], v[87:88] offset0:70 offset1:71
	ds_write2_b64 v0, v[113:114], v[115:116] offset0:72 offset1:73
	;; [unrolled: 1-line block ×25, first 2 shown]
.LBB118_711:
	s_or_b64 exec, exec, s[0:1]
	v_cmp_lt_i32_e32 vcc, 33, v89
	s_waitcnt vmcnt(0) lgkmcnt(0)
	s_barrier
	s_and_saveexec_b64 s[0:1], vcc
	s_cbranch_execz .LBB118_713
; %bb.712:
	buffer_load_dword v95, off, s[24:27], 0 offset:32 ; 4-byte Folded Reload
	buffer_load_dword v96, off, s[24:27], 0 offset:36 ; 4-byte Folded Reload
	;; [unrolled: 1-line block ×4, first 2 shown]
	ds_read2_b64 v[91:94], v0 offset0:68 offset1:69
	s_waitcnt vmcnt(0)
	v_mul_f64 v[87:88], v[117:118], v[97:98]
	v_mul_f64 v[85:86], v[119:120], v[97:98]
	v_fma_f64 v[97:98], v[119:120], v[95:96], v[87:88]
	v_fma_f64 v[85:86], v[117:118], v[95:96], -v[85:86]
	s_waitcnt lgkmcnt(0)
	v_mul_f64 v[87:88], v[93:94], v[97:98]
	v_fma_f64 v[87:88], v[91:92], v[85:86], -v[87:88]
	v_mul_f64 v[91:92], v[91:92], v[97:98]
	v_fma_f64 v[91:92], v[93:94], v[85:86], v[91:92]
	buffer_load_dword v93, off, s[24:27], 0 offset:16 ; 4-byte Folded Reload
	buffer_load_dword v94, off, s[24:27], 0 offset:20 ; 4-byte Folded Reload
	;; [unrolled: 1-line block ×4, first 2 shown]
	s_waitcnt vmcnt(2)
	v_add_f64 v[93:94], v[93:94], -v[87:88]
	s_waitcnt vmcnt(0)
	v_add_f64 v[95:96], v[95:96], -v[91:92]
	buffer_store_dword v93, off, s[24:27], 0 offset:16 ; 4-byte Folded Spill
	s_nop 0
	buffer_store_dword v94, off, s[24:27], 0 offset:20 ; 4-byte Folded Spill
	buffer_store_dword v95, off, s[24:27], 0 offset:24 ; 4-byte Folded Spill
	;; [unrolled: 1-line block ×3, first 2 shown]
	ds_read2_b64 v[91:94], v0 offset0:70 offset1:71
	s_waitcnt lgkmcnt(0)
	v_mul_f64 v[87:88], v[93:94], v[97:98]
	v_fma_f64 v[87:88], v[91:92], v[85:86], -v[87:88]
	v_mul_f64 v[91:92], v[91:92], v[97:98]
	v_fma_f64 v[91:92], v[93:94], v[85:86], v[91:92]
	buffer_load_dword v93, off, s[24:27], 0 ; 4-byte Folded Reload
	buffer_load_dword v94, off, s[24:27], 0 offset:4 ; 4-byte Folded Reload
	buffer_load_dword v95, off, s[24:27], 0 offset:8 ; 4-byte Folded Reload
	;; [unrolled: 1-line block ×3, first 2 shown]
	s_waitcnt vmcnt(2)
	v_add_f64 v[93:94], v[93:94], -v[87:88]
	s_waitcnt vmcnt(0)
	v_add_f64 v[95:96], v[95:96], -v[91:92]
	buffer_store_dword v93, off, s[24:27], 0 ; 4-byte Folded Spill
	s_nop 0
	buffer_store_dword v94, off, s[24:27], 0 offset:4 ; 4-byte Folded Spill
	buffer_store_dword v95, off, s[24:27], 0 offset:8 ; 4-byte Folded Spill
	;; [unrolled: 1-line block ×3, first 2 shown]
	ds_read2_b64 v[91:94], v0 offset0:72 offset1:73
	v_mov_b32_e32 v96, v86
	v_mov_b32_e32 v95, v85
	s_waitcnt lgkmcnt(0)
	v_mul_f64 v[87:88], v[93:94], v[97:98]
	v_fma_f64 v[87:88], v[91:92], v[85:86], -v[87:88]
	v_mul_f64 v[91:92], v[91:92], v[97:98]
	v_add_f64 v[113:114], v[113:114], -v[87:88]
	v_fma_f64 v[91:92], v[93:94], v[85:86], v[91:92]
	v_add_f64 v[115:116], v[115:116], -v[91:92]
	ds_read2_b64 v[91:94], v0 offset0:74 offset1:75
	s_waitcnt lgkmcnt(0)
	v_mul_f64 v[87:88], v[93:94], v[97:98]
	v_fma_f64 v[87:88], v[91:92], v[85:86], -v[87:88]
	v_mul_f64 v[91:92], v[91:92], v[97:98]
	v_add_f64 v[109:110], v[109:110], -v[87:88]
	v_fma_f64 v[91:92], v[93:94], v[85:86], v[91:92]
	v_add_f64 v[111:112], v[111:112], -v[91:92]
	ds_read2_b64 v[91:94], v0 offset0:76 offset1:77
	;; [unrolled: 8-line block ×23, first 2 shown]
	s_waitcnt lgkmcnt(0)
	v_mul_f64 v[87:88], v[93:94], v[97:98]
	v_fma_f64 v[87:88], v[91:92], v[85:86], -v[87:88]
	v_mul_f64 v[91:92], v[91:92], v[97:98]
	buffer_store_dword v95, off, s[24:27], 0 offset:32 ; 4-byte Folded Spill
	s_nop 0
	buffer_store_dword v96, off, s[24:27], 0 offset:36 ; 4-byte Folded Spill
	buffer_store_dword v97, off, s[24:27], 0 offset:40 ; 4-byte Folded Spill
	;; [unrolled: 1-line block ×3, first 2 shown]
	v_add_f64 v[121:122], v[121:122], -v[87:88]
	v_fma_f64 v[91:92], v[93:94], v[85:86], v[91:92]
	v_add_f64 v[123:124], v[123:124], -v[91:92]
.LBB118_713:
	s_or_b64 exec, exec, s[0:1]
	s_waitcnt vmcnt(0)
	s_barrier
	buffer_load_dword v91, off, s[24:27], 0 offset:16 ; 4-byte Folded Reload
	buffer_load_dword v92, off, s[24:27], 0 offset:20 ; 4-byte Folded Reload
	;; [unrolled: 1-line block ×4, first 2 shown]
	v_lshl_add_u32 v85, v89, 4, v0
	s_cmp_lt_i32 s3, 36
	s_waitcnt vmcnt(0)
	ds_write2_b64 v85, v[91:92], v[93:94] offset1:1
	s_waitcnt lgkmcnt(0)
	s_barrier
	ds_read2_b64 v[117:120], v0 offset0:68 offset1:69
	v_mov_b32_e32 v85, 34
	s_cbranch_scc1 .LBB118_716
; %bb.714:
	v_add_u32_e32 v86, 0x230, v0
	s_mov_b32 s0, 35
	v_mov_b32_e32 v85, 34
.LBB118_715:                            ; =>This Inner Loop Header: Depth=1
	s_waitcnt lgkmcnt(0)
	v_cmp_gt_f64_e32 vcc, 0, v[117:118]
	v_xor_b32_e32 v87, 0x80000000, v118
	ds_read2_b64 v[91:94], v86 offset1:1
	v_xor_b32_e32 v95, 0x80000000, v120
	v_add_u32_e32 v86, 16, v86
	s_waitcnt lgkmcnt(0)
	v_xor_b32_e32 v97, 0x80000000, v94
	v_cndmask_b32_e32 v88, v118, v87, vcc
	v_cmp_gt_f64_e32 vcc, 0, v[119:120]
	v_mov_b32_e32 v87, v117
	v_cndmask_b32_e32 v96, v120, v95, vcc
	v_cmp_gt_f64_e32 vcc, 0, v[91:92]
	v_mov_b32_e32 v95, v119
	v_add_f64 v[87:88], v[87:88], v[95:96]
	v_xor_b32_e32 v95, 0x80000000, v92
	v_cndmask_b32_e32 v96, v92, v95, vcc
	v_cmp_gt_f64_e32 vcc, 0, v[93:94]
	v_mov_b32_e32 v95, v91
	v_cndmask_b32_e32 v98, v94, v97, vcc
	v_mov_b32_e32 v97, v93
	v_add_f64 v[95:96], v[95:96], v[97:98]
	v_cmp_lt_f64_e32 vcc, v[87:88], v[95:96]
	v_mov_b32_e32 v87, s0
	s_add_i32 s0, s0, 1
	s_cmp_lg_u32 s3, s0
	v_cndmask_b32_e32 v118, v118, v92, vcc
	v_cndmask_b32_e32 v117, v117, v91, vcc
	v_cndmask_b32_e32 v120, v120, v94, vcc
	v_cndmask_b32_e32 v119, v119, v93, vcc
	v_cndmask_b32_e32 v85, v85, v87, vcc
	s_cbranch_scc1 .LBB118_715
.LBB118_716:
	s_waitcnt lgkmcnt(0)
	v_cmp_eq_f64_e32 vcc, 0, v[117:118]
	v_cmp_eq_f64_e64 s[0:1], 0, v[119:120]
	s_and_b64 s[0:1], vcc, s[0:1]
	s_and_saveexec_b64 s[18:19], s[0:1]
	s_xor_b64 s[0:1], exec, s[18:19]
; %bb.717:
	v_cmp_ne_u32_e32 vcc, 0, v90
	v_cndmask_b32_e32 v90, 35, v90, vcc
; %bb.718:
	s_andn2_saveexec_b64 s[0:1], s[0:1]
	s_cbranch_execz .LBB118_724
; %bb.719:
	v_cmp_ngt_f64_e64 s[18:19], |v[117:118]|, |v[119:120]|
	s_and_saveexec_b64 s[20:21], s[18:19]
	s_xor_b64 s[18:19], exec, s[20:21]
	s_cbranch_execz .LBB118_721
; %bb.720:
	v_div_scale_f64 v[86:87], s[20:21], v[119:120], v[119:120], v[117:118]
	v_rcp_f64_e32 v[91:92], v[86:87]
	v_fma_f64 v[93:94], -v[86:87], v[91:92], 1.0
	v_fma_f64 v[91:92], v[91:92], v[93:94], v[91:92]
	v_div_scale_f64 v[93:94], vcc, v[117:118], v[119:120], v[117:118]
	v_fma_f64 v[95:96], -v[86:87], v[91:92], 1.0
	v_fma_f64 v[91:92], v[91:92], v[95:96], v[91:92]
	v_mul_f64 v[95:96], v[93:94], v[91:92]
	v_fma_f64 v[86:87], -v[86:87], v[95:96], v[93:94]
	v_div_fmas_f64 v[86:87], v[86:87], v[91:92], v[95:96]
	v_div_fixup_f64 v[86:87], v[86:87], v[119:120], v[117:118]
	v_fma_f64 v[91:92], v[117:118], v[86:87], v[119:120]
	v_div_scale_f64 v[93:94], s[20:21], v[91:92], v[91:92], 1.0
	v_div_scale_f64 v[99:100], vcc, 1.0, v[91:92], 1.0
	v_rcp_f64_e32 v[95:96], v[93:94]
	v_fma_f64 v[97:98], -v[93:94], v[95:96], 1.0
	v_fma_f64 v[95:96], v[95:96], v[97:98], v[95:96]
	v_fma_f64 v[97:98], -v[93:94], v[95:96], 1.0
	v_fma_f64 v[95:96], v[95:96], v[97:98], v[95:96]
	v_mul_f64 v[97:98], v[99:100], v[95:96]
	v_fma_f64 v[93:94], -v[93:94], v[97:98], v[99:100]
	v_div_fmas_f64 v[93:94], v[93:94], v[95:96], v[97:98]
	v_div_fixup_f64 v[119:120], v[93:94], v[91:92], 1.0
	v_mul_f64 v[117:118], v[86:87], v[119:120]
	v_xor_b32_e32 v120, 0x80000000, v120
.LBB118_721:
	s_andn2_saveexec_b64 s[18:19], s[18:19]
	s_cbranch_execz .LBB118_723
; %bb.722:
	v_div_scale_f64 v[86:87], s[20:21], v[117:118], v[117:118], v[119:120]
	v_rcp_f64_e32 v[91:92], v[86:87]
	v_fma_f64 v[93:94], -v[86:87], v[91:92], 1.0
	v_fma_f64 v[91:92], v[91:92], v[93:94], v[91:92]
	v_div_scale_f64 v[93:94], vcc, v[119:120], v[117:118], v[119:120]
	v_fma_f64 v[95:96], -v[86:87], v[91:92], 1.0
	v_fma_f64 v[91:92], v[91:92], v[95:96], v[91:92]
	v_mul_f64 v[95:96], v[93:94], v[91:92]
	v_fma_f64 v[86:87], -v[86:87], v[95:96], v[93:94]
	v_div_fmas_f64 v[86:87], v[86:87], v[91:92], v[95:96]
	v_div_fixup_f64 v[86:87], v[86:87], v[117:118], v[119:120]
	v_fma_f64 v[91:92], v[119:120], v[86:87], v[117:118]
	v_div_scale_f64 v[93:94], s[20:21], v[91:92], v[91:92], 1.0
	v_div_scale_f64 v[99:100], vcc, 1.0, v[91:92], 1.0
	v_rcp_f64_e32 v[95:96], v[93:94]
	v_fma_f64 v[97:98], -v[93:94], v[95:96], 1.0
	v_fma_f64 v[95:96], v[95:96], v[97:98], v[95:96]
	v_fma_f64 v[97:98], -v[93:94], v[95:96], 1.0
	v_fma_f64 v[95:96], v[95:96], v[97:98], v[95:96]
	v_mul_f64 v[97:98], v[99:100], v[95:96]
	v_fma_f64 v[93:94], -v[93:94], v[97:98], v[99:100]
	v_div_fmas_f64 v[93:94], v[93:94], v[95:96], v[97:98]
	v_div_fixup_f64 v[117:118], v[93:94], v[91:92], 1.0
	v_mul_f64 v[119:120], v[86:87], -v[117:118]
.LBB118_723:
	s_or_b64 exec, exec, s[18:19]
.LBB118_724:
	s_or_b64 exec, exec, s[0:1]
	v_cmp_ne_u32_e32 vcc, v89, v85
	s_and_saveexec_b64 s[0:1], vcc
	s_xor_b64 s[0:1], exec, s[0:1]
	s_cbranch_execz .LBB118_730
; %bb.725:
	v_cmp_eq_u32_e32 vcc, 34, v89
	s_and_saveexec_b64 s[18:19], vcc
	s_cbranch_execz .LBB118_729
; %bb.726:
	v_cmp_ne_u32_e32 vcc, 34, v85
	s_xor_b64 s[20:21], s[6:7], -1
	s_and_b64 s[22:23], s[20:21], vcc
	s_and_saveexec_b64 s[20:21], s[22:23]
	s_cbranch_execz .LBB118_728
; %bb.727:
	v_ashrrev_i32_e32 v86, 31, v85
	v_lshlrev_b64 v[86:87], 2, v[85:86]
	v_add_co_u32_e32 v86, vcc, v107, v86
	v_addc_co_u32_e32 v87, vcc, v108, v87, vcc
	global_load_dword v88, v[86:87], off
	global_load_dword v89, v[107:108], off offset:136
	s_waitcnt vmcnt(1)
	global_store_dword v[107:108], v88, off offset:136
	s_waitcnt vmcnt(1)
	global_store_dword v[86:87], v89, off
.LBB118_728:
	s_or_b64 exec, exec, s[20:21]
	v_mov_b32_e32 v89, v85
	v_mov_b32_e32 v127, v85
.LBB118_729:
	s_or_b64 exec, exec, s[18:19]
.LBB118_730:
	s_andn2_saveexec_b64 s[0:1], s[0:1]
	s_cbranch_execz .LBB118_732
; %bb.731:
	buffer_load_dword v85, off, s[24:27], 0 ; 4-byte Folded Reload
	buffer_load_dword v86, off, s[24:27], 0 offset:4 ; 4-byte Folded Reload
	buffer_load_dword v87, off, s[24:27], 0 offset:8 ; 4-byte Folded Reload
	;; [unrolled: 1-line block ×3, first 2 shown]
	v_mov_b32_e32 v89, 34
	s_waitcnt vmcnt(0)
	ds_write2_b64 v0, v[85:86], v[87:88] offset0:70 offset1:71
	ds_write2_b64 v0, v[113:114], v[115:116] offset0:72 offset1:73
	;; [unrolled: 1-line block ×25, first 2 shown]
.LBB118_732:
	s_or_b64 exec, exec, s[0:1]
	v_cmp_lt_i32_e32 vcc, 34, v89
	s_waitcnt vmcnt(0) lgkmcnt(0)
	s_barrier
	s_and_saveexec_b64 s[0:1], vcc
	s_cbranch_execz .LBB118_734
; %bb.733:
	buffer_load_dword v95, off, s[24:27], 0 offset:16 ; 4-byte Folded Reload
	buffer_load_dword v96, off, s[24:27], 0 offset:20 ; 4-byte Folded Reload
	;; [unrolled: 1-line block ×4, first 2 shown]
	ds_read2_b64 v[91:94], v0 offset0:70 offset1:71
	s_waitcnt vmcnt(0)
	v_mul_f64 v[87:88], v[117:118], v[97:98]
	v_mul_f64 v[85:86], v[119:120], v[97:98]
	v_fma_f64 v[97:98], v[119:120], v[95:96], v[87:88]
	v_fma_f64 v[85:86], v[117:118], v[95:96], -v[85:86]
	s_waitcnt lgkmcnt(0)
	v_mul_f64 v[87:88], v[93:94], v[97:98]
	v_fma_f64 v[87:88], v[91:92], v[85:86], -v[87:88]
	v_mul_f64 v[91:92], v[91:92], v[97:98]
	v_fma_f64 v[91:92], v[93:94], v[85:86], v[91:92]
	buffer_load_dword v93, off, s[24:27], 0 ; 4-byte Folded Reload
	buffer_load_dword v94, off, s[24:27], 0 offset:4 ; 4-byte Folded Reload
	buffer_load_dword v95, off, s[24:27], 0 offset:8 ; 4-byte Folded Reload
	;; [unrolled: 1-line block ×3, first 2 shown]
	s_waitcnt vmcnt(2)
	v_add_f64 v[93:94], v[93:94], -v[87:88]
	s_waitcnt vmcnt(0)
	v_add_f64 v[95:96], v[95:96], -v[91:92]
	buffer_store_dword v93, off, s[24:27], 0 ; 4-byte Folded Spill
	s_nop 0
	buffer_store_dword v94, off, s[24:27], 0 offset:4 ; 4-byte Folded Spill
	buffer_store_dword v95, off, s[24:27], 0 offset:8 ; 4-byte Folded Spill
	;; [unrolled: 1-line block ×3, first 2 shown]
	ds_read2_b64 v[91:94], v0 offset0:72 offset1:73
	v_mov_b32_e32 v96, v86
	v_mov_b32_e32 v95, v85
	s_waitcnt lgkmcnt(0)
	v_mul_f64 v[87:88], v[93:94], v[97:98]
	v_fma_f64 v[87:88], v[91:92], v[85:86], -v[87:88]
	v_mul_f64 v[91:92], v[91:92], v[97:98]
	v_add_f64 v[113:114], v[113:114], -v[87:88]
	v_fma_f64 v[91:92], v[93:94], v[85:86], v[91:92]
	v_add_f64 v[115:116], v[115:116], -v[91:92]
	ds_read2_b64 v[91:94], v0 offset0:74 offset1:75
	s_waitcnt lgkmcnt(0)
	v_mul_f64 v[87:88], v[93:94], v[97:98]
	v_fma_f64 v[87:88], v[91:92], v[85:86], -v[87:88]
	v_mul_f64 v[91:92], v[91:92], v[97:98]
	v_add_f64 v[109:110], v[109:110], -v[87:88]
	v_fma_f64 v[91:92], v[93:94], v[85:86], v[91:92]
	v_add_f64 v[111:112], v[111:112], -v[91:92]
	ds_read2_b64 v[91:94], v0 offset0:76 offset1:77
	;; [unrolled: 8-line block ×23, first 2 shown]
	s_waitcnt lgkmcnt(0)
	v_mul_f64 v[87:88], v[93:94], v[97:98]
	v_fma_f64 v[87:88], v[91:92], v[85:86], -v[87:88]
	v_mul_f64 v[91:92], v[91:92], v[97:98]
	buffer_store_dword v95, off, s[24:27], 0 offset:16 ; 4-byte Folded Spill
	s_nop 0
	buffer_store_dword v96, off, s[24:27], 0 offset:20 ; 4-byte Folded Spill
	buffer_store_dword v97, off, s[24:27], 0 offset:24 ; 4-byte Folded Spill
	;; [unrolled: 1-line block ×3, first 2 shown]
	v_add_f64 v[121:122], v[121:122], -v[87:88]
	v_fma_f64 v[91:92], v[93:94], v[85:86], v[91:92]
	v_add_f64 v[123:124], v[123:124], -v[91:92]
.LBB118_734:
	s_or_b64 exec, exec, s[0:1]
	s_waitcnt vmcnt(0)
	s_barrier
	buffer_load_dword v91, off, s[24:27], 0 ; 4-byte Folded Reload
	buffer_load_dword v92, off, s[24:27], 0 offset:4 ; 4-byte Folded Reload
	buffer_load_dword v93, off, s[24:27], 0 offset:8 ; 4-byte Folded Reload
	;; [unrolled: 1-line block ×3, first 2 shown]
	v_lshl_add_u32 v85, v89, 4, v0
	s_cmp_lt_i32 s3, 37
	s_waitcnt vmcnt(0)
	ds_write2_b64 v85, v[91:92], v[93:94] offset1:1
	s_waitcnt lgkmcnt(0)
	s_barrier
	ds_read2_b64 v[117:120], v0 offset0:70 offset1:71
	v_mov_b32_e32 v85, 35
	s_cbranch_scc1 .LBB118_737
; %bb.735:
	v_add_u32_e32 v86, 0x240, v0
	s_mov_b32 s0, 36
	v_mov_b32_e32 v85, 35
.LBB118_736:                            ; =>This Inner Loop Header: Depth=1
	s_waitcnt lgkmcnt(0)
	v_cmp_gt_f64_e32 vcc, 0, v[117:118]
	v_xor_b32_e32 v87, 0x80000000, v118
	ds_read2_b64 v[91:94], v86 offset1:1
	v_xor_b32_e32 v95, 0x80000000, v120
	v_add_u32_e32 v86, 16, v86
	s_waitcnt lgkmcnt(0)
	v_xor_b32_e32 v97, 0x80000000, v94
	v_cndmask_b32_e32 v88, v118, v87, vcc
	v_cmp_gt_f64_e32 vcc, 0, v[119:120]
	v_mov_b32_e32 v87, v117
	v_cndmask_b32_e32 v96, v120, v95, vcc
	v_cmp_gt_f64_e32 vcc, 0, v[91:92]
	v_mov_b32_e32 v95, v119
	v_add_f64 v[87:88], v[87:88], v[95:96]
	v_xor_b32_e32 v95, 0x80000000, v92
	v_cndmask_b32_e32 v96, v92, v95, vcc
	v_cmp_gt_f64_e32 vcc, 0, v[93:94]
	v_mov_b32_e32 v95, v91
	v_cndmask_b32_e32 v98, v94, v97, vcc
	v_mov_b32_e32 v97, v93
	v_add_f64 v[95:96], v[95:96], v[97:98]
	v_cmp_lt_f64_e32 vcc, v[87:88], v[95:96]
	v_mov_b32_e32 v87, s0
	s_add_i32 s0, s0, 1
	s_cmp_lg_u32 s3, s0
	v_cndmask_b32_e32 v118, v118, v92, vcc
	v_cndmask_b32_e32 v117, v117, v91, vcc
	;; [unrolled: 1-line block ×5, first 2 shown]
	s_cbranch_scc1 .LBB118_736
.LBB118_737:
	s_waitcnt lgkmcnt(0)
	v_cmp_eq_f64_e32 vcc, 0, v[117:118]
	v_cmp_eq_f64_e64 s[0:1], 0, v[119:120]
	s_and_b64 s[0:1], vcc, s[0:1]
	s_and_saveexec_b64 s[18:19], s[0:1]
	s_xor_b64 s[0:1], exec, s[18:19]
; %bb.738:
	v_cmp_ne_u32_e32 vcc, 0, v90
	v_cndmask_b32_e32 v90, 36, v90, vcc
; %bb.739:
	s_andn2_saveexec_b64 s[0:1], s[0:1]
	s_cbranch_execz .LBB118_745
; %bb.740:
	v_cmp_ngt_f64_e64 s[18:19], |v[117:118]|, |v[119:120]|
	s_and_saveexec_b64 s[20:21], s[18:19]
	s_xor_b64 s[18:19], exec, s[20:21]
	s_cbranch_execz .LBB118_742
; %bb.741:
	v_div_scale_f64 v[86:87], s[20:21], v[119:120], v[119:120], v[117:118]
	v_rcp_f64_e32 v[91:92], v[86:87]
	v_fma_f64 v[93:94], -v[86:87], v[91:92], 1.0
	v_fma_f64 v[91:92], v[91:92], v[93:94], v[91:92]
	v_div_scale_f64 v[93:94], vcc, v[117:118], v[119:120], v[117:118]
	v_fma_f64 v[95:96], -v[86:87], v[91:92], 1.0
	v_fma_f64 v[91:92], v[91:92], v[95:96], v[91:92]
	v_mul_f64 v[95:96], v[93:94], v[91:92]
	v_fma_f64 v[86:87], -v[86:87], v[95:96], v[93:94]
	v_div_fmas_f64 v[86:87], v[86:87], v[91:92], v[95:96]
	v_div_fixup_f64 v[86:87], v[86:87], v[119:120], v[117:118]
	v_fma_f64 v[91:92], v[117:118], v[86:87], v[119:120]
	v_div_scale_f64 v[93:94], s[20:21], v[91:92], v[91:92], 1.0
	v_div_scale_f64 v[99:100], vcc, 1.0, v[91:92], 1.0
	v_rcp_f64_e32 v[95:96], v[93:94]
	v_fma_f64 v[97:98], -v[93:94], v[95:96], 1.0
	v_fma_f64 v[95:96], v[95:96], v[97:98], v[95:96]
	v_fma_f64 v[97:98], -v[93:94], v[95:96], 1.0
	v_fma_f64 v[95:96], v[95:96], v[97:98], v[95:96]
	v_mul_f64 v[97:98], v[99:100], v[95:96]
	v_fma_f64 v[93:94], -v[93:94], v[97:98], v[99:100]
	v_div_fmas_f64 v[93:94], v[93:94], v[95:96], v[97:98]
	v_div_fixup_f64 v[119:120], v[93:94], v[91:92], 1.0
	v_mul_f64 v[117:118], v[86:87], v[119:120]
	v_xor_b32_e32 v120, 0x80000000, v120
.LBB118_742:
	s_andn2_saveexec_b64 s[18:19], s[18:19]
	s_cbranch_execz .LBB118_744
; %bb.743:
	v_div_scale_f64 v[86:87], s[20:21], v[117:118], v[117:118], v[119:120]
	v_rcp_f64_e32 v[91:92], v[86:87]
	v_fma_f64 v[93:94], -v[86:87], v[91:92], 1.0
	v_fma_f64 v[91:92], v[91:92], v[93:94], v[91:92]
	v_div_scale_f64 v[93:94], vcc, v[119:120], v[117:118], v[119:120]
	v_fma_f64 v[95:96], -v[86:87], v[91:92], 1.0
	v_fma_f64 v[91:92], v[91:92], v[95:96], v[91:92]
	v_mul_f64 v[95:96], v[93:94], v[91:92]
	v_fma_f64 v[86:87], -v[86:87], v[95:96], v[93:94]
	v_div_fmas_f64 v[86:87], v[86:87], v[91:92], v[95:96]
	v_div_fixup_f64 v[86:87], v[86:87], v[117:118], v[119:120]
	v_fma_f64 v[91:92], v[119:120], v[86:87], v[117:118]
	v_div_scale_f64 v[93:94], s[20:21], v[91:92], v[91:92], 1.0
	v_div_scale_f64 v[99:100], vcc, 1.0, v[91:92], 1.0
	v_rcp_f64_e32 v[95:96], v[93:94]
	v_fma_f64 v[97:98], -v[93:94], v[95:96], 1.0
	v_fma_f64 v[95:96], v[95:96], v[97:98], v[95:96]
	v_fma_f64 v[97:98], -v[93:94], v[95:96], 1.0
	v_fma_f64 v[95:96], v[95:96], v[97:98], v[95:96]
	v_mul_f64 v[97:98], v[99:100], v[95:96]
	v_fma_f64 v[93:94], -v[93:94], v[97:98], v[99:100]
	v_div_fmas_f64 v[93:94], v[93:94], v[95:96], v[97:98]
	v_div_fixup_f64 v[117:118], v[93:94], v[91:92], 1.0
	v_mul_f64 v[119:120], v[86:87], -v[117:118]
.LBB118_744:
	s_or_b64 exec, exec, s[18:19]
.LBB118_745:
	s_or_b64 exec, exec, s[0:1]
	v_cmp_ne_u32_e32 vcc, v89, v85
	s_and_saveexec_b64 s[0:1], vcc
	s_xor_b64 s[0:1], exec, s[0:1]
	s_cbranch_execz .LBB118_751
; %bb.746:
	v_cmp_eq_u32_e32 vcc, 35, v89
	s_and_saveexec_b64 s[18:19], vcc
	s_cbranch_execz .LBB118_750
; %bb.747:
	v_cmp_ne_u32_e32 vcc, 35, v85
	s_xor_b64 s[20:21], s[6:7], -1
	s_and_b64 s[22:23], s[20:21], vcc
	s_and_saveexec_b64 s[20:21], s[22:23]
	s_cbranch_execz .LBB118_749
; %bb.748:
	v_ashrrev_i32_e32 v86, 31, v85
	v_lshlrev_b64 v[86:87], 2, v[85:86]
	v_add_co_u32_e32 v86, vcc, v107, v86
	v_addc_co_u32_e32 v87, vcc, v108, v87, vcc
	global_load_dword v88, v[86:87], off
	global_load_dword v89, v[107:108], off offset:140
	s_waitcnt vmcnt(1)
	global_store_dword v[107:108], v88, off offset:140
	s_waitcnt vmcnt(1)
	global_store_dword v[86:87], v89, off
.LBB118_749:
	s_or_b64 exec, exec, s[20:21]
	v_mov_b32_e32 v89, v85
	v_mov_b32_e32 v127, v85
.LBB118_750:
	s_or_b64 exec, exec, s[18:19]
.LBB118_751:
	s_andn2_saveexec_b64 s[0:1], s[0:1]
	s_cbranch_execz .LBB118_753
; %bb.752:
	v_mov_b32_e32 v89, 35
	ds_write2_b64 v0, v[113:114], v[115:116] offset0:72 offset1:73
	ds_write2_b64 v0, v[109:110], v[111:112] offset0:74 offset1:75
	;; [unrolled: 1-line block ×24, first 2 shown]
.LBB118_753:
	s_or_b64 exec, exec, s[0:1]
	v_cmp_lt_i32_e32 vcc, 35, v89
	s_waitcnt vmcnt(0) lgkmcnt(0)
	s_barrier
	s_and_saveexec_b64 s[0:1], vcc
	s_cbranch_execz .LBB118_755
; %bb.754:
	buffer_load_dword v93, off, s[24:27], 0 ; 4-byte Folded Reload
	buffer_load_dword v94, off, s[24:27], 0 offset:4 ; 4-byte Folded Reload
	buffer_load_dword v95, off, s[24:27], 0 offset:8 ; 4-byte Folded Reload
	;; [unrolled: 1-line block ×3, first 2 shown]
	s_waitcnt vmcnt(0)
	v_mul_f64 v[87:88], v[117:118], v[95:96]
	v_mul_f64 v[85:86], v[119:120], v[95:96]
	v_fma_f64 v[95:96], v[119:120], v[93:94], v[87:88]
	v_fma_f64 v[85:86], v[117:118], v[93:94], -v[85:86]
	ds_read2_b64 v[91:94], v0 offset0:72 offset1:73
	s_waitcnt lgkmcnt(0)
	v_mul_f64 v[87:88], v[93:94], v[95:96]
	v_fma_f64 v[87:88], v[91:92], v[85:86], -v[87:88]
	v_mul_f64 v[91:92], v[91:92], v[95:96]
	v_add_f64 v[113:114], v[113:114], -v[87:88]
	v_fma_f64 v[91:92], v[93:94], v[85:86], v[91:92]
	v_add_f64 v[115:116], v[115:116], -v[91:92]
	ds_read2_b64 v[91:94], v0 offset0:74 offset1:75
	s_waitcnt lgkmcnt(0)
	v_mul_f64 v[87:88], v[93:94], v[95:96]
	v_fma_f64 v[87:88], v[91:92], v[85:86], -v[87:88]
	v_mul_f64 v[91:92], v[91:92], v[95:96]
	v_add_f64 v[109:110], v[109:110], -v[87:88]
	v_fma_f64 v[91:92], v[93:94], v[85:86], v[91:92]
	v_add_f64 v[111:112], v[111:112], -v[91:92]
	ds_read2_b64 v[91:94], v0 offset0:76 offset1:77
	s_waitcnt lgkmcnt(0)
	v_mul_f64 v[87:88], v[93:94], v[95:96]
	v_fma_f64 v[87:88], v[91:92], v[85:86], -v[87:88]
	v_mul_f64 v[91:92], v[91:92], v[95:96]
	v_add_f64 v[81:82], v[81:82], -v[87:88]
	v_fma_f64 v[91:92], v[93:94], v[85:86], v[91:92]
	v_add_f64 v[83:84], v[83:84], -v[91:92]
	ds_read2_b64 v[91:94], v0 offset0:78 offset1:79
	s_waitcnt lgkmcnt(0)
	v_mul_f64 v[87:88], v[93:94], v[95:96]
	v_fma_f64 v[87:88], v[91:92], v[85:86], -v[87:88]
	v_mul_f64 v[91:92], v[91:92], v[95:96]
	v_add_f64 v[77:78], v[77:78], -v[87:88]
	v_fma_f64 v[91:92], v[93:94], v[85:86], v[91:92]
	v_add_f64 v[79:80], v[79:80], -v[91:92]
	ds_read2_b64 v[91:94], v0 offset0:80 offset1:81
	s_waitcnt lgkmcnt(0)
	v_mul_f64 v[87:88], v[93:94], v[95:96]
	v_fma_f64 v[87:88], v[91:92], v[85:86], -v[87:88]
	v_mul_f64 v[91:92], v[91:92], v[95:96]
	v_add_f64 v[73:74], v[73:74], -v[87:88]
	v_fma_f64 v[91:92], v[93:94], v[85:86], v[91:92]
	v_add_f64 v[75:76], v[75:76], -v[91:92]
	ds_read2_b64 v[91:94], v0 offset0:82 offset1:83
	s_waitcnt lgkmcnt(0)
	v_mul_f64 v[87:88], v[93:94], v[95:96]
	v_fma_f64 v[87:88], v[91:92], v[85:86], -v[87:88]
	v_mul_f64 v[91:92], v[91:92], v[95:96]
	v_add_f64 v[69:70], v[69:70], -v[87:88]
	v_fma_f64 v[91:92], v[93:94], v[85:86], v[91:92]
	v_add_f64 v[71:72], v[71:72], -v[91:92]
	ds_read2_b64 v[91:94], v0 offset0:84 offset1:85
	s_waitcnt lgkmcnt(0)
	v_mul_f64 v[87:88], v[93:94], v[95:96]
	v_fma_f64 v[87:88], v[91:92], v[85:86], -v[87:88]
	v_mul_f64 v[91:92], v[91:92], v[95:96]
	v_add_f64 v[65:66], v[65:66], -v[87:88]
	v_fma_f64 v[91:92], v[93:94], v[85:86], v[91:92]
	v_add_f64 v[67:68], v[67:68], -v[91:92]
	ds_read2_b64 v[91:94], v0 offset0:86 offset1:87
	s_waitcnt lgkmcnt(0)
	v_mul_f64 v[87:88], v[93:94], v[95:96]
	v_fma_f64 v[87:88], v[91:92], v[85:86], -v[87:88]
	v_mul_f64 v[91:92], v[91:92], v[95:96]
	v_add_f64 v[61:62], v[61:62], -v[87:88]
	v_fma_f64 v[91:92], v[93:94], v[85:86], v[91:92]
	v_add_f64 v[63:64], v[63:64], -v[91:92]
	ds_read2_b64 v[91:94], v0 offset0:88 offset1:89
	s_waitcnt lgkmcnt(0)
	v_mul_f64 v[87:88], v[93:94], v[95:96]
	v_fma_f64 v[87:88], v[91:92], v[85:86], -v[87:88]
	v_mul_f64 v[91:92], v[91:92], v[95:96]
	v_add_f64 v[57:58], v[57:58], -v[87:88]
	v_fma_f64 v[91:92], v[93:94], v[85:86], v[91:92]
	v_add_f64 v[59:60], v[59:60], -v[91:92]
	ds_read2_b64 v[91:94], v0 offset0:90 offset1:91
	s_waitcnt lgkmcnt(0)
	v_mul_f64 v[87:88], v[93:94], v[95:96]
	v_fma_f64 v[87:88], v[91:92], v[85:86], -v[87:88]
	v_mul_f64 v[91:92], v[91:92], v[95:96]
	v_add_f64 v[53:54], v[53:54], -v[87:88]
	v_fma_f64 v[91:92], v[93:94], v[85:86], v[91:92]
	v_add_f64 v[55:56], v[55:56], -v[91:92]
	ds_read2_b64 v[91:94], v0 offset0:92 offset1:93
	s_waitcnt lgkmcnt(0)
	v_mul_f64 v[87:88], v[93:94], v[95:96]
	v_fma_f64 v[87:88], v[91:92], v[85:86], -v[87:88]
	v_mul_f64 v[91:92], v[91:92], v[95:96]
	v_add_f64 v[49:50], v[49:50], -v[87:88]
	v_fma_f64 v[91:92], v[93:94], v[85:86], v[91:92]
	v_add_f64 v[51:52], v[51:52], -v[91:92]
	ds_read2_b64 v[91:94], v0 offset0:94 offset1:95
	s_waitcnt lgkmcnt(0)
	v_mul_f64 v[87:88], v[93:94], v[95:96]
	v_fma_f64 v[87:88], v[91:92], v[85:86], -v[87:88]
	v_mul_f64 v[91:92], v[91:92], v[95:96]
	v_add_f64 v[45:46], v[45:46], -v[87:88]
	v_fma_f64 v[91:92], v[93:94], v[85:86], v[91:92]
	v_add_f64 v[47:48], v[47:48], -v[91:92]
	ds_read2_b64 v[91:94], v0 offset0:96 offset1:97
	s_waitcnt lgkmcnt(0)
	v_mul_f64 v[87:88], v[93:94], v[95:96]
	v_fma_f64 v[87:88], v[91:92], v[85:86], -v[87:88]
	v_mul_f64 v[91:92], v[91:92], v[95:96]
	v_add_f64 v[41:42], v[41:42], -v[87:88]
	v_fma_f64 v[91:92], v[93:94], v[85:86], v[91:92]
	v_add_f64 v[43:44], v[43:44], -v[91:92]
	ds_read2_b64 v[91:94], v0 offset0:98 offset1:99
	s_waitcnt lgkmcnt(0)
	v_mul_f64 v[87:88], v[93:94], v[95:96]
	v_fma_f64 v[87:88], v[91:92], v[85:86], -v[87:88]
	v_mul_f64 v[91:92], v[91:92], v[95:96]
	v_add_f64 v[37:38], v[37:38], -v[87:88]
	v_fma_f64 v[91:92], v[93:94], v[85:86], v[91:92]
	v_add_f64 v[39:40], v[39:40], -v[91:92]
	ds_read2_b64 v[91:94], v0 offset0:100 offset1:101
	s_waitcnt lgkmcnt(0)
	v_mul_f64 v[87:88], v[93:94], v[95:96]
	v_fma_f64 v[87:88], v[91:92], v[85:86], -v[87:88]
	v_mul_f64 v[91:92], v[91:92], v[95:96]
	v_add_f64 v[33:34], v[33:34], -v[87:88]
	v_fma_f64 v[91:92], v[93:94], v[85:86], v[91:92]
	v_add_f64 v[35:36], v[35:36], -v[91:92]
	ds_read2_b64 v[91:94], v0 offset0:102 offset1:103
	s_waitcnt lgkmcnt(0)
	v_mul_f64 v[87:88], v[93:94], v[95:96]
	v_fma_f64 v[87:88], v[91:92], v[85:86], -v[87:88]
	v_mul_f64 v[91:92], v[91:92], v[95:96]
	v_add_f64 v[29:30], v[29:30], -v[87:88]
	v_fma_f64 v[91:92], v[93:94], v[85:86], v[91:92]
	v_add_f64 v[31:32], v[31:32], -v[91:92]
	ds_read2_b64 v[91:94], v0 offset0:104 offset1:105
	s_waitcnt lgkmcnt(0)
	v_mul_f64 v[87:88], v[93:94], v[95:96]
	v_fma_f64 v[87:88], v[91:92], v[85:86], -v[87:88]
	v_mul_f64 v[91:92], v[91:92], v[95:96]
	v_add_f64 v[25:26], v[25:26], -v[87:88]
	v_fma_f64 v[91:92], v[93:94], v[85:86], v[91:92]
	v_add_f64 v[27:28], v[27:28], -v[91:92]
	ds_read2_b64 v[91:94], v0 offset0:106 offset1:107
	s_waitcnt lgkmcnt(0)
	v_mul_f64 v[87:88], v[93:94], v[95:96]
	v_fma_f64 v[87:88], v[91:92], v[85:86], -v[87:88]
	v_mul_f64 v[91:92], v[91:92], v[95:96]
	v_add_f64 v[21:22], v[21:22], -v[87:88]
	v_fma_f64 v[91:92], v[93:94], v[85:86], v[91:92]
	v_add_f64 v[23:24], v[23:24], -v[91:92]
	ds_read2_b64 v[91:94], v0 offset0:108 offset1:109
	s_waitcnt lgkmcnt(0)
	v_mul_f64 v[87:88], v[93:94], v[95:96]
	v_fma_f64 v[87:88], v[91:92], v[85:86], -v[87:88]
	v_mul_f64 v[91:92], v[91:92], v[95:96]
	v_add_f64 v[17:18], v[17:18], -v[87:88]
	v_fma_f64 v[91:92], v[93:94], v[85:86], v[91:92]
	v_add_f64 v[19:20], v[19:20], -v[91:92]
	ds_read2_b64 v[91:94], v0 offset0:110 offset1:111
	s_waitcnt lgkmcnt(0)
	v_mul_f64 v[87:88], v[93:94], v[95:96]
	v_fma_f64 v[87:88], v[91:92], v[85:86], -v[87:88]
	v_mul_f64 v[91:92], v[91:92], v[95:96]
	v_add_f64 v[13:14], v[13:14], -v[87:88]
	v_fma_f64 v[91:92], v[93:94], v[85:86], v[91:92]
	v_add_f64 v[15:16], v[15:16], -v[91:92]
	ds_read2_b64 v[91:94], v0 offset0:112 offset1:113
	s_waitcnt lgkmcnt(0)
	v_mul_f64 v[87:88], v[93:94], v[95:96]
	v_fma_f64 v[87:88], v[91:92], v[85:86], -v[87:88]
	v_mul_f64 v[91:92], v[91:92], v[95:96]
	v_add_f64 v[9:10], v[9:10], -v[87:88]
	v_fma_f64 v[91:92], v[93:94], v[85:86], v[91:92]
	v_add_f64 v[11:12], v[11:12], -v[91:92]
	ds_read2_b64 v[91:94], v0 offset0:114 offset1:115
	s_waitcnt lgkmcnt(0)
	v_mul_f64 v[87:88], v[93:94], v[95:96]
	v_fma_f64 v[87:88], v[91:92], v[85:86], -v[87:88]
	v_mul_f64 v[91:92], v[91:92], v[95:96]
	v_add_f64 v[5:6], v[5:6], -v[87:88]
	v_fma_f64 v[91:92], v[93:94], v[85:86], v[91:92]
	v_add_f64 v[7:8], v[7:8], -v[91:92]
	ds_read2_b64 v[91:94], v0 offset0:116 offset1:117
	s_waitcnt lgkmcnt(0)
	v_mul_f64 v[87:88], v[93:94], v[95:96]
	v_fma_f64 v[87:88], v[91:92], v[85:86], -v[87:88]
	v_mul_f64 v[91:92], v[91:92], v[95:96]
	v_add_f64 v[1:2], v[1:2], -v[87:88]
	v_fma_f64 v[91:92], v[93:94], v[85:86], v[91:92]
	v_add_f64 v[3:4], v[3:4], -v[91:92]
	ds_read2_b64 v[91:94], v0 offset0:118 offset1:119
	s_waitcnt lgkmcnt(0)
	v_mul_f64 v[87:88], v[93:94], v[95:96]
	v_fma_f64 v[87:88], v[91:92], v[85:86], -v[87:88]
	v_mul_f64 v[91:92], v[91:92], v[95:96]
	v_add_f64 v[121:122], v[121:122], -v[87:88]
	v_fma_f64 v[91:92], v[93:94], v[85:86], v[91:92]
	v_mov_b32_e32 v94, v86
	v_mov_b32_e32 v93, v85
	buffer_store_dword v93, off, s[24:27], 0 ; 4-byte Folded Spill
	s_nop 0
	buffer_store_dword v94, off, s[24:27], 0 offset:4 ; 4-byte Folded Spill
	buffer_store_dword v95, off, s[24:27], 0 offset:8 ; 4-byte Folded Spill
	;; [unrolled: 1-line block ×3, first 2 shown]
	v_add_f64 v[123:124], v[123:124], -v[91:92]
.LBB118_755:
	s_or_b64 exec, exec, s[0:1]
	v_lshl_add_u32 v85, v89, 4, v0
	s_waitcnt vmcnt(0)
	s_barrier
	ds_write2_b64 v85, v[113:114], v[115:116] offset1:1
	s_waitcnt lgkmcnt(0)
	s_barrier
	ds_read2_b64 v[117:120], v0 offset0:72 offset1:73
	s_cmp_lt_i32 s3, 38
	v_mov_b32_e32 v85, 36
	s_cbranch_scc1 .LBB118_758
; %bb.756:
	v_add_u32_e32 v86, 0x250, v0
	s_mov_b32 s0, 37
	v_mov_b32_e32 v85, 36
.LBB118_757:                            ; =>This Inner Loop Header: Depth=1
	s_waitcnt lgkmcnt(0)
	v_cmp_gt_f64_e32 vcc, 0, v[117:118]
	v_xor_b32_e32 v87, 0x80000000, v118
	ds_read2_b64 v[91:94], v86 offset1:1
	v_xor_b32_e32 v95, 0x80000000, v120
	v_add_u32_e32 v86, 16, v86
	s_waitcnt lgkmcnt(0)
	v_xor_b32_e32 v97, 0x80000000, v94
	v_cndmask_b32_e32 v88, v118, v87, vcc
	v_cmp_gt_f64_e32 vcc, 0, v[119:120]
	v_mov_b32_e32 v87, v117
	v_cndmask_b32_e32 v96, v120, v95, vcc
	v_cmp_gt_f64_e32 vcc, 0, v[91:92]
	v_mov_b32_e32 v95, v119
	v_add_f64 v[87:88], v[87:88], v[95:96]
	v_xor_b32_e32 v95, 0x80000000, v92
	v_cndmask_b32_e32 v96, v92, v95, vcc
	v_cmp_gt_f64_e32 vcc, 0, v[93:94]
	v_mov_b32_e32 v95, v91
	v_cndmask_b32_e32 v98, v94, v97, vcc
	v_mov_b32_e32 v97, v93
	v_add_f64 v[95:96], v[95:96], v[97:98]
	v_cmp_lt_f64_e32 vcc, v[87:88], v[95:96]
	v_mov_b32_e32 v87, s0
	s_add_i32 s0, s0, 1
	s_cmp_lg_u32 s3, s0
	v_cndmask_b32_e32 v118, v118, v92, vcc
	v_cndmask_b32_e32 v117, v117, v91, vcc
	;; [unrolled: 1-line block ×5, first 2 shown]
	s_cbranch_scc1 .LBB118_757
.LBB118_758:
	s_waitcnt lgkmcnt(0)
	v_cmp_eq_f64_e32 vcc, 0, v[117:118]
	v_cmp_eq_f64_e64 s[0:1], 0, v[119:120]
	s_and_b64 s[0:1], vcc, s[0:1]
	s_and_saveexec_b64 s[18:19], s[0:1]
	s_xor_b64 s[0:1], exec, s[18:19]
; %bb.759:
	v_cmp_ne_u32_e32 vcc, 0, v90
	v_cndmask_b32_e32 v90, 37, v90, vcc
; %bb.760:
	s_andn2_saveexec_b64 s[0:1], s[0:1]
	s_cbranch_execz .LBB118_766
; %bb.761:
	v_cmp_ngt_f64_e64 s[18:19], |v[117:118]|, |v[119:120]|
	s_and_saveexec_b64 s[20:21], s[18:19]
	s_xor_b64 s[18:19], exec, s[20:21]
	s_cbranch_execz .LBB118_763
; %bb.762:
	v_div_scale_f64 v[86:87], s[20:21], v[119:120], v[119:120], v[117:118]
	v_rcp_f64_e32 v[91:92], v[86:87]
	v_fma_f64 v[93:94], -v[86:87], v[91:92], 1.0
	v_fma_f64 v[91:92], v[91:92], v[93:94], v[91:92]
	v_div_scale_f64 v[93:94], vcc, v[117:118], v[119:120], v[117:118]
	v_fma_f64 v[95:96], -v[86:87], v[91:92], 1.0
	v_fma_f64 v[91:92], v[91:92], v[95:96], v[91:92]
	v_mul_f64 v[95:96], v[93:94], v[91:92]
	v_fma_f64 v[86:87], -v[86:87], v[95:96], v[93:94]
	v_div_fmas_f64 v[86:87], v[86:87], v[91:92], v[95:96]
	v_div_fixup_f64 v[86:87], v[86:87], v[119:120], v[117:118]
	v_fma_f64 v[91:92], v[117:118], v[86:87], v[119:120]
	v_div_scale_f64 v[93:94], s[20:21], v[91:92], v[91:92], 1.0
	v_div_scale_f64 v[99:100], vcc, 1.0, v[91:92], 1.0
	v_rcp_f64_e32 v[95:96], v[93:94]
	v_fma_f64 v[97:98], -v[93:94], v[95:96], 1.0
	v_fma_f64 v[95:96], v[95:96], v[97:98], v[95:96]
	v_fma_f64 v[97:98], -v[93:94], v[95:96], 1.0
	v_fma_f64 v[95:96], v[95:96], v[97:98], v[95:96]
	v_mul_f64 v[97:98], v[99:100], v[95:96]
	v_fma_f64 v[93:94], -v[93:94], v[97:98], v[99:100]
	v_div_fmas_f64 v[93:94], v[93:94], v[95:96], v[97:98]
	v_div_fixup_f64 v[119:120], v[93:94], v[91:92], 1.0
	v_mul_f64 v[117:118], v[86:87], v[119:120]
	v_xor_b32_e32 v120, 0x80000000, v120
.LBB118_763:
	s_andn2_saveexec_b64 s[18:19], s[18:19]
	s_cbranch_execz .LBB118_765
; %bb.764:
	v_div_scale_f64 v[86:87], s[20:21], v[117:118], v[117:118], v[119:120]
	v_rcp_f64_e32 v[91:92], v[86:87]
	v_fma_f64 v[93:94], -v[86:87], v[91:92], 1.0
	v_fma_f64 v[91:92], v[91:92], v[93:94], v[91:92]
	v_div_scale_f64 v[93:94], vcc, v[119:120], v[117:118], v[119:120]
	v_fma_f64 v[95:96], -v[86:87], v[91:92], 1.0
	v_fma_f64 v[91:92], v[91:92], v[95:96], v[91:92]
	v_mul_f64 v[95:96], v[93:94], v[91:92]
	v_fma_f64 v[86:87], -v[86:87], v[95:96], v[93:94]
	v_div_fmas_f64 v[86:87], v[86:87], v[91:92], v[95:96]
	v_div_fixup_f64 v[86:87], v[86:87], v[117:118], v[119:120]
	v_fma_f64 v[91:92], v[119:120], v[86:87], v[117:118]
	v_div_scale_f64 v[93:94], s[20:21], v[91:92], v[91:92], 1.0
	v_div_scale_f64 v[99:100], vcc, 1.0, v[91:92], 1.0
	v_rcp_f64_e32 v[95:96], v[93:94]
	v_fma_f64 v[97:98], -v[93:94], v[95:96], 1.0
	v_fma_f64 v[95:96], v[95:96], v[97:98], v[95:96]
	v_fma_f64 v[97:98], -v[93:94], v[95:96], 1.0
	v_fma_f64 v[95:96], v[95:96], v[97:98], v[95:96]
	v_mul_f64 v[97:98], v[99:100], v[95:96]
	v_fma_f64 v[93:94], -v[93:94], v[97:98], v[99:100]
	v_div_fmas_f64 v[93:94], v[93:94], v[95:96], v[97:98]
	v_div_fixup_f64 v[117:118], v[93:94], v[91:92], 1.0
	v_mul_f64 v[119:120], v[86:87], -v[117:118]
.LBB118_765:
	s_or_b64 exec, exec, s[18:19]
.LBB118_766:
	s_or_b64 exec, exec, s[0:1]
	v_cmp_ne_u32_e32 vcc, v89, v85
	s_and_saveexec_b64 s[0:1], vcc
	s_xor_b64 s[0:1], exec, s[0:1]
	s_cbranch_execz .LBB118_772
; %bb.767:
	v_cmp_eq_u32_e32 vcc, 36, v89
	s_and_saveexec_b64 s[18:19], vcc
	s_cbranch_execz .LBB118_771
; %bb.768:
	v_cmp_ne_u32_e32 vcc, 36, v85
	s_xor_b64 s[20:21], s[6:7], -1
	s_and_b64 s[22:23], s[20:21], vcc
	s_and_saveexec_b64 s[20:21], s[22:23]
	s_cbranch_execz .LBB118_770
; %bb.769:
	v_ashrrev_i32_e32 v86, 31, v85
	v_lshlrev_b64 v[86:87], 2, v[85:86]
	v_add_co_u32_e32 v86, vcc, v107, v86
	v_addc_co_u32_e32 v87, vcc, v108, v87, vcc
	global_load_dword v88, v[86:87], off
	global_load_dword v89, v[107:108], off offset:144
	s_waitcnt vmcnt(1)
	global_store_dword v[107:108], v88, off offset:144
	s_waitcnt vmcnt(1)
	global_store_dword v[86:87], v89, off
.LBB118_770:
	s_or_b64 exec, exec, s[20:21]
	v_mov_b32_e32 v89, v85
	v_mov_b32_e32 v127, v85
.LBB118_771:
	s_or_b64 exec, exec, s[18:19]
.LBB118_772:
	s_andn2_saveexec_b64 s[0:1], s[0:1]
	s_cbranch_execz .LBB118_774
; %bb.773:
	v_mov_b32_e32 v89, 36
	ds_write2_b64 v0, v[109:110], v[111:112] offset0:74 offset1:75
	ds_write2_b64 v0, v[81:82], v[83:84] offset0:76 offset1:77
	;; [unrolled: 1-line block ×23, first 2 shown]
.LBB118_774:
	s_or_b64 exec, exec, s[0:1]
	v_cmp_lt_i32_e32 vcc, 36, v89
	s_waitcnt vmcnt(0) lgkmcnt(0)
	s_barrier
	s_and_saveexec_b64 s[0:1], vcc
	s_cbranch_execz .LBB118_776
; %bb.775:
	v_mul_f64 v[87:88], v[117:118], v[115:116]
	v_mul_f64 v[85:86], v[119:120], v[115:116]
	ds_read2_b64 v[91:94], v0 offset0:74 offset1:75
	v_fma_f64 v[115:116], v[119:120], v[113:114], v[87:88]
	v_fma_f64 v[85:86], v[117:118], v[113:114], -v[85:86]
	s_waitcnt lgkmcnt(0)
	v_mul_f64 v[87:88], v[93:94], v[115:116]
	v_mov_b32_e32 v114, v86
	v_mov_b32_e32 v113, v85
	v_fma_f64 v[87:88], v[91:92], v[85:86], -v[87:88]
	v_mul_f64 v[91:92], v[91:92], v[115:116]
	v_add_f64 v[109:110], v[109:110], -v[87:88]
	v_fma_f64 v[91:92], v[93:94], v[85:86], v[91:92]
	v_add_f64 v[111:112], v[111:112], -v[91:92]
	ds_read2_b64 v[91:94], v0 offset0:76 offset1:77
	s_waitcnt lgkmcnt(0)
	v_mul_f64 v[87:88], v[93:94], v[115:116]
	v_fma_f64 v[87:88], v[91:92], v[85:86], -v[87:88]
	v_mul_f64 v[91:92], v[91:92], v[115:116]
	v_add_f64 v[81:82], v[81:82], -v[87:88]
	v_fma_f64 v[91:92], v[93:94], v[85:86], v[91:92]
	v_add_f64 v[83:84], v[83:84], -v[91:92]
	ds_read2_b64 v[91:94], v0 offset0:78 offset1:79
	s_waitcnt lgkmcnt(0)
	v_mul_f64 v[87:88], v[93:94], v[115:116]
	;; [unrolled: 8-line block ×22, first 2 shown]
	v_fma_f64 v[87:88], v[91:92], v[85:86], -v[87:88]
	v_mul_f64 v[91:92], v[91:92], v[115:116]
	v_add_f64 v[121:122], v[121:122], -v[87:88]
	v_fma_f64 v[91:92], v[93:94], v[85:86], v[91:92]
	v_add_f64 v[123:124], v[123:124], -v[91:92]
.LBB118_776:
	s_or_b64 exec, exec, s[0:1]
	v_lshl_add_u32 v85, v89, 4, v0
	s_barrier
	ds_write2_b64 v85, v[109:110], v[111:112] offset1:1
	s_waitcnt lgkmcnt(0)
	s_barrier
	ds_read2_b64 v[117:120], v0 offset0:74 offset1:75
	s_cmp_lt_i32 s3, 39
	v_mov_b32_e32 v85, 37
	s_cbranch_scc1 .LBB118_779
; %bb.777:
	v_add_u32_e32 v86, 0x260, v0
	s_mov_b32 s0, 38
	v_mov_b32_e32 v85, 37
.LBB118_778:                            ; =>This Inner Loop Header: Depth=1
	s_waitcnt lgkmcnt(0)
	v_cmp_gt_f64_e32 vcc, 0, v[117:118]
	v_xor_b32_e32 v87, 0x80000000, v118
	ds_read2_b64 v[91:94], v86 offset1:1
	v_xor_b32_e32 v95, 0x80000000, v120
	v_add_u32_e32 v86, 16, v86
	s_waitcnt lgkmcnt(0)
	v_xor_b32_e32 v97, 0x80000000, v94
	v_cndmask_b32_e32 v88, v118, v87, vcc
	v_cmp_gt_f64_e32 vcc, 0, v[119:120]
	v_mov_b32_e32 v87, v117
	v_cndmask_b32_e32 v96, v120, v95, vcc
	v_cmp_gt_f64_e32 vcc, 0, v[91:92]
	v_mov_b32_e32 v95, v119
	v_add_f64 v[87:88], v[87:88], v[95:96]
	v_xor_b32_e32 v95, 0x80000000, v92
	v_cndmask_b32_e32 v96, v92, v95, vcc
	v_cmp_gt_f64_e32 vcc, 0, v[93:94]
	v_mov_b32_e32 v95, v91
	v_cndmask_b32_e32 v98, v94, v97, vcc
	v_mov_b32_e32 v97, v93
	v_add_f64 v[95:96], v[95:96], v[97:98]
	v_cmp_lt_f64_e32 vcc, v[87:88], v[95:96]
	v_mov_b32_e32 v87, s0
	s_add_i32 s0, s0, 1
	s_cmp_lg_u32 s3, s0
	v_cndmask_b32_e32 v118, v118, v92, vcc
	v_cndmask_b32_e32 v117, v117, v91, vcc
	;; [unrolled: 1-line block ×5, first 2 shown]
	s_cbranch_scc1 .LBB118_778
.LBB118_779:
	s_waitcnt lgkmcnt(0)
	v_cmp_eq_f64_e32 vcc, 0, v[117:118]
	v_cmp_eq_f64_e64 s[0:1], 0, v[119:120]
	s_and_b64 s[0:1], vcc, s[0:1]
	s_and_saveexec_b64 s[18:19], s[0:1]
	s_xor_b64 s[0:1], exec, s[18:19]
; %bb.780:
	v_cmp_ne_u32_e32 vcc, 0, v90
	v_cndmask_b32_e32 v90, 38, v90, vcc
; %bb.781:
	s_andn2_saveexec_b64 s[0:1], s[0:1]
	s_cbranch_execz .LBB118_787
; %bb.782:
	v_cmp_ngt_f64_e64 s[18:19], |v[117:118]|, |v[119:120]|
	s_and_saveexec_b64 s[20:21], s[18:19]
	s_xor_b64 s[18:19], exec, s[20:21]
	s_cbranch_execz .LBB118_784
; %bb.783:
	v_div_scale_f64 v[86:87], s[20:21], v[119:120], v[119:120], v[117:118]
	v_rcp_f64_e32 v[91:92], v[86:87]
	v_fma_f64 v[93:94], -v[86:87], v[91:92], 1.0
	v_fma_f64 v[91:92], v[91:92], v[93:94], v[91:92]
	v_div_scale_f64 v[93:94], vcc, v[117:118], v[119:120], v[117:118]
	v_fma_f64 v[95:96], -v[86:87], v[91:92], 1.0
	v_fma_f64 v[91:92], v[91:92], v[95:96], v[91:92]
	v_mul_f64 v[95:96], v[93:94], v[91:92]
	v_fma_f64 v[86:87], -v[86:87], v[95:96], v[93:94]
	v_div_fmas_f64 v[86:87], v[86:87], v[91:92], v[95:96]
	v_div_fixup_f64 v[86:87], v[86:87], v[119:120], v[117:118]
	v_fma_f64 v[91:92], v[117:118], v[86:87], v[119:120]
	v_div_scale_f64 v[93:94], s[20:21], v[91:92], v[91:92], 1.0
	v_div_scale_f64 v[99:100], vcc, 1.0, v[91:92], 1.0
	v_rcp_f64_e32 v[95:96], v[93:94]
	v_fma_f64 v[97:98], -v[93:94], v[95:96], 1.0
	v_fma_f64 v[95:96], v[95:96], v[97:98], v[95:96]
	v_fma_f64 v[97:98], -v[93:94], v[95:96], 1.0
	v_fma_f64 v[95:96], v[95:96], v[97:98], v[95:96]
	v_mul_f64 v[97:98], v[99:100], v[95:96]
	v_fma_f64 v[93:94], -v[93:94], v[97:98], v[99:100]
	v_div_fmas_f64 v[93:94], v[93:94], v[95:96], v[97:98]
	v_div_fixup_f64 v[119:120], v[93:94], v[91:92], 1.0
	v_mul_f64 v[117:118], v[86:87], v[119:120]
	v_xor_b32_e32 v120, 0x80000000, v120
.LBB118_784:
	s_andn2_saveexec_b64 s[18:19], s[18:19]
	s_cbranch_execz .LBB118_786
; %bb.785:
	v_div_scale_f64 v[86:87], s[20:21], v[117:118], v[117:118], v[119:120]
	v_rcp_f64_e32 v[91:92], v[86:87]
	v_fma_f64 v[93:94], -v[86:87], v[91:92], 1.0
	v_fma_f64 v[91:92], v[91:92], v[93:94], v[91:92]
	v_div_scale_f64 v[93:94], vcc, v[119:120], v[117:118], v[119:120]
	v_fma_f64 v[95:96], -v[86:87], v[91:92], 1.0
	v_fma_f64 v[91:92], v[91:92], v[95:96], v[91:92]
	v_mul_f64 v[95:96], v[93:94], v[91:92]
	v_fma_f64 v[86:87], -v[86:87], v[95:96], v[93:94]
	v_div_fmas_f64 v[86:87], v[86:87], v[91:92], v[95:96]
	v_div_fixup_f64 v[86:87], v[86:87], v[117:118], v[119:120]
	v_fma_f64 v[91:92], v[119:120], v[86:87], v[117:118]
	v_div_scale_f64 v[93:94], s[20:21], v[91:92], v[91:92], 1.0
	v_div_scale_f64 v[99:100], vcc, 1.0, v[91:92], 1.0
	v_rcp_f64_e32 v[95:96], v[93:94]
	v_fma_f64 v[97:98], -v[93:94], v[95:96], 1.0
	v_fma_f64 v[95:96], v[95:96], v[97:98], v[95:96]
	v_fma_f64 v[97:98], -v[93:94], v[95:96], 1.0
	v_fma_f64 v[95:96], v[95:96], v[97:98], v[95:96]
	v_mul_f64 v[97:98], v[99:100], v[95:96]
	v_fma_f64 v[93:94], -v[93:94], v[97:98], v[99:100]
	v_div_fmas_f64 v[93:94], v[93:94], v[95:96], v[97:98]
	v_div_fixup_f64 v[117:118], v[93:94], v[91:92], 1.0
	v_mul_f64 v[119:120], v[86:87], -v[117:118]
.LBB118_786:
	s_or_b64 exec, exec, s[18:19]
.LBB118_787:
	s_or_b64 exec, exec, s[0:1]
	v_cmp_ne_u32_e32 vcc, v89, v85
	s_and_saveexec_b64 s[0:1], vcc
	s_xor_b64 s[0:1], exec, s[0:1]
	s_cbranch_execz .LBB118_793
; %bb.788:
	v_cmp_eq_u32_e32 vcc, 37, v89
	s_and_saveexec_b64 s[18:19], vcc
	s_cbranch_execz .LBB118_792
; %bb.789:
	v_cmp_ne_u32_e32 vcc, 37, v85
	s_xor_b64 s[20:21], s[6:7], -1
	s_and_b64 s[22:23], s[20:21], vcc
	s_and_saveexec_b64 s[20:21], s[22:23]
	s_cbranch_execz .LBB118_791
; %bb.790:
	v_ashrrev_i32_e32 v86, 31, v85
	v_lshlrev_b64 v[86:87], 2, v[85:86]
	v_add_co_u32_e32 v86, vcc, v107, v86
	v_addc_co_u32_e32 v87, vcc, v108, v87, vcc
	global_load_dword v88, v[86:87], off
	global_load_dword v89, v[107:108], off offset:148
	s_waitcnt vmcnt(1)
	global_store_dword v[107:108], v88, off offset:148
	s_waitcnt vmcnt(1)
	global_store_dword v[86:87], v89, off
.LBB118_791:
	s_or_b64 exec, exec, s[20:21]
	v_mov_b32_e32 v89, v85
	v_mov_b32_e32 v127, v85
.LBB118_792:
	s_or_b64 exec, exec, s[18:19]
.LBB118_793:
	s_andn2_saveexec_b64 s[0:1], s[0:1]
	s_cbranch_execz .LBB118_795
; %bb.794:
	v_mov_b32_e32 v89, 37
	ds_write2_b64 v0, v[81:82], v[83:84] offset0:76 offset1:77
	ds_write2_b64 v0, v[77:78], v[79:80] offset0:78 offset1:79
	;; [unrolled: 1-line block ×22, first 2 shown]
.LBB118_795:
	s_or_b64 exec, exec, s[0:1]
	v_cmp_lt_i32_e32 vcc, 37, v89
	s_waitcnt vmcnt(0) lgkmcnt(0)
	s_barrier
	s_and_saveexec_b64 s[0:1], vcc
	s_cbranch_execz .LBB118_797
; %bb.796:
	v_mul_f64 v[87:88], v[117:118], v[111:112]
	v_mul_f64 v[85:86], v[119:120], v[111:112]
	ds_read2_b64 v[91:94], v0 offset0:76 offset1:77
	v_fma_f64 v[111:112], v[119:120], v[109:110], v[87:88]
	v_fma_f64 v[85:86], v[117:118], v[109:110], -v[85:86]
	s_waitcnt lgkmcnt(0)
	v_mul_f64 v[87:88], v[93:94], v[111:112]
	v_mov_b32_e32 v110, v86
	v_mov_b32_e32 v109, v85
	v_fma_f64 v[87:88], v[91:92], v[85:86], -v[87:88]
	v_mul_f64 v[91:92], v[91:92], v[111:112]
	v_add_f64 v[81:82], v[81:82], -v[87:88]
	v_fma_f64 v[91:92], v[93:94], v[85:86], v[91:92]
	v_add_f64 v[83:84], v[83:84], -v[91:92]
	ds_read2_b64 v[91:94], v0 offset0:78 offset1:79
	s_waitcnt lgkmcnt(0)
	v_mul_f64 v[87:88], v[93:94], v[111:112]
	v_fma_f64 v[87:88], v[91:92], v[85:86], -v[87:88]
	v_mul_f64 v[91:92], v[91:92], v[111:112]
	v_add_f64 v[77:78], v[77:78], -v[87:88]
	v_fma_f64 v[91:92], v[93:94], v[85:86], v[91:92]
	v_add_f64 v[79:80], v[79:80], -v[91:92]
	ds_read2_b64 v[91:94], v0 offset0:80 offset1:81
	s_waitcnt lgkmcnt(0)
	v_mul_f64 v[87:88], v[93:94], v[111:112]
	;; [unrolled: 8-line block ×21, first 2 shown]
	v_fma_f64 v[87:88], v[91:92], v[85:86], -v[87:88]
	v_mul_f64 v[91:92], v[91:92], v[111:112]
	v_add_f64 v[121:122], v[121:122], -v[87:88]
	v_fma_f64 v[91:92], v[93:94], v[85:86], v[91:92]
	v_add_f64 v[123:124], v[123:124], -v[91:92]
.LBB118_797:
	s_or_b64 exec, exec, s[0:1]
	v_lshl_add_u32 v85, v89, 4, v0
	s_barrier
	ds_write2_b64 v85, v[81:82], v[83:84] offset1:1
	s_waitcnt lgkmcnt(0)
	s_barrier
	ds_read2_b64 v[117:120], v0 offset0:76 offset1:77
	s_cmp_lt_i32 s3, 40
	v_mov_b32_e32 v85, 38
	s_cbranch_scc1 .LBB118_800
; %bb.798:
	v_add_u32_e32 v86, 0x270, v0
	s_mov_b32 s0, 39
	v_mov_b32_e32 v85, 38
.LBB118_799:                            ; =>This Inner Loop Header: Depth=1
	s_waitcnt lgkmcnt(0)
	v_cmp_gt_f64_e32 vcc, 0, v[117:118]
	v_xor_b32_e32 v87, 0x80000000, v118
	ds_read2_b64 v[91:94], v86 offset1:1
	v_xor_b32_e32 v95, 0x80000000, v120
	v_add_u32_e32 v86, 16, v86
	s_waitcnt lgkmcnt(0)
	v_xor_b32_e32 v97, 0x80000000, v94
	v_cndmask_b32_e32 v88, v118, v87, vcc
	v_cmp_gt_f64_e32 vcc, 0, v[119:120]
	v_mov_b32_e32 v87, v117
	v_cndmask_b32_e32 v96, v120, v95, vcc
	v_cmp_gt_f64_e32 vcc, 0, v[91:92]
	v_mov_b32_e32 v95, v119
	v_add_f64 v[87:88], v[87:88], v[95:96]
	v_xor_b32_e32 v95, 0x80000000, v92
	v_cndmask_b32_e32 v96, v92, v95, vcc
	v_cmp_gt_f64_e32 vcc, 0, v[93:94]
	v_mov_b32_e32 v95, v91
	v_cndmask_b32_e32 v98, v94, v97, vcc
	v_mov_b32_e32 v97, v93
	v_add_f64 v[95:96], v[95:96], v[97:98]
	v_cmp_lt_f64_e32 vcc, v[87:88], v[95:96]
	v_mov_b32_e32 v87, s0
	s_add_i32 s0, s0, 1
	s_cmp_lg_u32 s3, s0
	v_cndmask_b32_e32 v118, v118, v92, vcc
	v_cndmask_b32_e32 v117, v117, v91, vcc
	;; [unrolled: 1-line block ×5, first 2 shown]
	s_cbranch_scc1 .LBB118_799
.LBB118_800:
	s_waitcnt lgkmcnt(0)
	v_cmp_eq_f64_e32 vcc, 0, v[117:118]
	v_cmp_eq_f64_e64 s[0:1], 0, v[119:120]
	s_and_b64 s[0:1], vcc, s[0:1]
	s_and_saveexec_b64 s[18:19], s[0:1]
	s_xor_b64 s[0:1], exec, s[18:19]
; %bb.801:
	v_cmp_ne_u32_e32 vcc, 0, v90
	v_cndmask_b32_e32 v90, 39, v90, vcc
; %bb.802:
	s_andn2_saveexec_b64 s[0:1], s[0:1]
	s_cbranch_execz .LBB118_808
; %bb.803:
	v_cmp_ngt_f64_e64 s[18:19], |v[117:118]|, |v[119:120]|
	s_and_saveexec_b64 s[20:21], s[18:19]
	s_xor_b64 s[18:19], exec, s[20:21]
	s_cbranch_execz .LBB118_805
; %bb.804:
	v_div_scale_f64 v[86:87], s[20:21], v[119:120], v[119:120], v[117:118]
	v_rcp_f64_e32 v[91:92], v[86:87]
	v_fma_f64 v[93:94], -v[86:87], v[91:92], 1.0
	v_fma_f64 v[91:92], v[91:92], v[93:94], v[91:92]
	v_div_scale_f64 v[93:94], vcc, v[117:118], v[119:120], v[117:118]
	v_fma_f64 v[95:96], -v[86:87], v[91:92], 1.0
	v_fma_f64 v[91:92], v[91:92], v[95:96], v[91:92]
	v_mul_f64 v[95:96], v[93:94], v[91:92]
	v_fma_f64 v[86:87], -v[86:87], v[95:96], v[93:94]
	v_div_fmas_f64 v[86:87], v[86:87], v[91:92], v[95:96]
	v_div_fixup_f64 v[86:87], v[86:87], v[119:120], v[117:118]
	v_fma_f64 v[91:92], v[117:118], v[86:87], v[119:120]
	v_div_scale_f64 v[93:94], s[20:21], v[91:92], v[91:92], 1.0
	v_div_scale_f64 v[99:100], vcc, 1.0, v[91:92], 1.0
	v_rcp_f64_e32 v[95:96], v[93:94]
	v_fma_f64 v[97:98], -v[93:94], v[95:96], 1.0
	v_fma_f64 v[95:96], v[95:96], v[97:98], v[95:96]
	v_fma_f64 v[97:98], -v[93:94], v[95:96], 1.0
	v_fma_f64 v[95:96], v[95:96], v[97:98], v[95:96]
	v_mul_f64 v[97:98], v[99:100], v[95:96]
	v_fma_f64 v[93:94], -v[93:94], v[97:98], v[99:100]
	v_div_fmas_f64 v[93:94], v[93:94], v[95:96], v[97:98]
	v_div_fixup_f64 v[119:120], v[93:94], v[91:92], 1.0
	v_mul_f64 v[117:118], v[86:87], v[119:120]
	v_xor_b32_e32 v120, 0x80000000, v120
.LBB118_805:
	s_andn2_saveexec_b64 s[18:19], s[18:19]
	s_cbranch_execz .LBB118_807
; %bb.806:
	v_div_scale_f64 v[86:87], s[20:21], v[117:118], v[117:118], v[119:120]
	v_rcp_f64_e32 v[91:92], v[86:87]
	v_fma_f64 v[93:94], -v[86:87], v[91:92], 1.0
	v_fma_f64 v[91:92], v[91:92], v[93:94], v[91:92]
	v_div_scale_f64 v[93:94], vcc, v[119:120], v[117:118], v[119:120]
	v_fma_f64 v[95:96], -v[86:87], v[91:92], 1.0
	v_fma_f64 v[91:92], v[91:92], v[95:96], v[91:92]
	v_mul_f64 v[95:96], v[93:94], v[91:92]
	v_fma_f64 v[86:87], -v[86:87], v[95:96], v[93:94]
	v_div_fmas_f64 v[86:87], v[86:87], v[91:92], v[95:96]
	v_div_fixup_f64 v[86:87], v[86:87], v[117:118], v[119:120]
	v_fma_f64 v[91:92], v[119:120], v[86:87], v[117:118]
	v_div_scale_f64 v[93:94], s[20:21], v[91:92], v[91:92], 1.0
	v_div_scale_f64 v[99:100], vcc, 1.0, v[91:92], 1.0
	v_rcp_f64_e32 v[95:96], v[93:94]
	v_fma_f64 v[97:98], -v[93:94], v[95:96], 1.0
	v_fma_f64 v[95:96], v[95:96], v[97:98], v[95:96]
	v_fma_f64 v[97:98], -v[93:94], v[95:96], 1.0
	v_fma_f64 v[95:96], v[95:96], v[97:98], v[95:96]
	v_mul_f64 v[97:98], v[99:100], v[95:96]
	v_fma_f64 v[93:94], -v[93:94], v[97:98], v[99:100]
	v_div_fmas_f64 v[93:94], v[93:94], v[95:96], v[97:98]
	v_div_fixup_f64 v[117:118], v[93:94], v[91:92], 1.0
	v_mul_f64 v[119:120], v[86:87], -v[117:118]
.LBB118_807:
	s_or_b64 exec, exec, s[18:19]
.LBB118_808:
	s_or_b64 exec, exec, s[0:1]
	v_cmp_ne_u32_e32 vcc, v89, v85
	s_and_saveexec_b64 s[0:1], vcc
	s_xor_b64 s[0:1], exec, s[0:1]
	s_cbranch_execz .LBB118_814
; %bb.809:
	v_cmp_eq_u32_e32 vcc, 38, v89
	s_and_saveexec_b64 s[18:19], vcc
	s_cbranch_execz .LBB118_813
; %bb.810:
	v_cmp_ne_u32_e32 vcc, 38, v85
	s_xor_b64 s[20:21], s[6:7], -1
	s_and_b64 s[22:23], s[20:21], vcc
	s_and_saveexec_b64 s[20:21], s[22:23]
	s_cbranch_execz .LBB118_812
; %bb.811:
	v_ashrrev_i32_e32 v86, 31, v85
	v_lshlrev_b64 v[86:87], 2, v[85:86]
	v_add_co_u32_e32 v86, vcc, v107, v86
	v_addc_co_u32_e32 v87, vcc, v108, v87, vcc
	global_load_dword v88, v[86:87], off
	global_load_dword v89, v[107:108], off offset:152
	s_waitcnt vmcnt(1)
	global_store_dword v[107:108], v88, off offset:152
	s_waitcnt vmcnt(1)
	global_store_dword v[86:87], v89, off
.LBB118_812:
	s_or_b64 exec, exec, s[20:21]
	v_mov_b32_e32 v89, v85
	v_mov_b32_e32 v127, v85
.LBB118_813:
	s_or_b64 exec, exec, s[18:19]
.LBB118_814:
	s_andn2_saveexec_b64 s[0:1], s[0:1]
	s_cbranch_execz .LBB118_816
; %bb.815:
	v_mov_b32_e32 v89, 38
	ds_write2_b64 v0, v[77:78], v[79:80] offset0:78 offset1:79
	ds_write2_b64 v0, v[73:74], v[75:76] offset0:80 offset1:81
	;; [unrolled: 1-line block ×21, first 2 shown]
.LBB118_816:
	s_or_b64 exec, exec, s[0:1]
	v_cmp_lt_i32_e32 vcc, 38, v89
	s_waitcnt vmcnt(0) lgkmcnt(0)
	s_barrier
	s_and_saveexec_b64 s[0:1], vcc
	s_cbranch_execz .LBB118_818
; %bb.817:
	v_mul_f64 v[85:86], v[119:120], v[83:84]
	v_mul_f64 v[83:84], v[117:118], v[83:84]
	ds_read2_b64 v[91:94], v0 offset0:78 offset1:79
	v_fma_f64 v[85:86], v[117:118], v[81:82], -v[85:86]
	v_fma_f64 v[83:84], v[119:120], v[81:82], v[83:84]
	s_waitcnt lgkmcnt(0)
	v_mul_f64 v[81:82], v[93:94], v[83:84]
	v_mul_f64 v[87:88], v[91:92], v[83:84]
	v_fma_f64 v[81:82], v[91:92], v[85:86], -v[81:82]
	v_fma_f64 v[87:88], v[93:94], v[85:86], v[87:88]
	ds_read2_b64 v[91:94], v0 offset0:80 offset1:81
	v_add_f64 v[77:78], v[77:78], -v[81:82]
	v_add_f64 v[79:80], v[79:80], -v[87:88]
	s_waitcnt lgkmcnt(0)
	v_mul_f64 v[81:82], v[93:94], v[83:84]
	v_mul_f64 v[87:88], v[91:92], v[83:84]
	v_fma_f64 v[81:82], v[91:92], v[85:86], -v[81:82]
	v_fma_f64 v[87:88], v[93:94], v[85:86], v[87:88]
	ds_read2_b64 v[91:94], v0 offset0:82 offset1:83
	v_add_f64 v[73:74], v[73:74], -v[81:82]
	v_add_f64 v[75:76], v[75:76], -v[87:88]
	;; [unrolled: 8-line block ×20, first 2 shown]
	s_waitcnt lgkmcnt(0)
	v_mul_f64 v[81:82], v[93:94], v[83:84]
	v_mul_f64 v[87:88], v[91:92], v[83:84]
	v_fma_f64 v[81:82], v[91:92], v[85:86], -v[81:82]
	v_fma_f64 v[87:88], v[93:94], v[85:86], v[87:88]
	v_add_f64 v[121:122], v[121:122], -v[81:82]
	v_add_f64 v[123:124], v[123:124], -v[87:88]
	v_mov_b32_e32 v81, v85
	v_mov_b32_e32 v82, v86
.LBB118_818:
	s_or_b64 exec, exec, s[0:1]
	v_lshl_add_u32 v85, v89, 4, v0
	s_barrier
	ds_write2_b64 v85, v[77:78], v[79:80] offset1:1
	s_waitcnt lgkmcnt(0)
	s_barrier
	ds_read2_b64 v[117:120], v0 offset0:78 offset1:79
	s_cmp_lt_i32 s3, 41
	v_mov_b32_e32 v85, 39
	s_cbranch_scc1 .LBB118_821
; %bb.819:
	v_add_u32_e32 v86, 0x280, v0
	s_mov_b32 s0, 40
	v_mov_b32_e32 v85, 39
.LBB118_820:                            ; =>This Inner Loop Header: Depth=1
	s_waitcnt lgkmcnt(0)
	v_cmp_gt_f64_e32 vcc, 0, v[117:118]
	v_xor_b32_e32 v87, 0x80000000, v118
	ds_read2_b64 v[91:94], v86 offset1:1
	v_xor_b32_e32 v95, 0x80000000, v120
	v_add_u32_e32 v86, 16, v86
	s_waitcnt lgkmcnt(0)
	v_xor_b32_e32 v97, 0x80000000, v94
	v_cndmask_b32_e32 v88, v118, v87, vcc
	v_cmp_gt_f64_e32 vcc, 0, v[119:120]
	v_mov_b32_e32 v87, v117
	v_cndmask_b32_e32 v96, v120, v95, vcc
	v_cmp_gt_f64_e32 vcc, 0, v[91:92]
	v_mov_b32_e32 v95, v119
	v_add_f64 v[87:88], v[87:88], v[95:96]
	v_xor_b32_e32 v95, 0x80000000, v92
	v_cndmask_b32_e32 v96, v92, v95, vcc
	v_cmp_gt_f64_e32 vcc, 0, v[93:94]
	v_mov_b32_e32 v95, v91
	v_cndmask_b32_e32 v98, v94, v97, vcc
	v_mov_b32_e32 v97, v93
	v_add_f64 v[95:96], v[95:96], v[97:98]
	v_cmp_lt_f64_e32 vcc, v[87:88], v[95:96]
	v_mov_b32_e32 v87, s0
	s_add_i32 s0, s0, 1
	s_cmp_lg_u32 s3, s0
	v_cndmask_b32_e32 v118, v118, v92, vcc
	v_cndmask_b32_e32 v117, v117, v91, vcc
	;; [unrolled: 1-line block ×5, first 2 shown]
	s_cbranch_scc1 .LBB118_820
.LBB118_821:
	s_waitcnt lgkmcnt(0)
	v_cmp_eq_f64_e32 vcc, 0, v[117:118]
	v_cmp_eq_f64_e64 s[0:1], 0, v[119:120]
	s_and_b64 s[0:1], vcc, s[0:1]
	s_and_saveexec_b64 s[18:19], s[0:1]
	s_xor_b64 s[0:1], exec, s[18:19]
; %bb.822:
	v_cmp_ne_u32_e32 vcc, 0, v90
	v_cndmask_b32_e32 v90, 40, v90, vcc
; %bb.823:
	s_andn2_saveexec_b64 s[0:1], s[0:1]
	s_cbranch_execz .LBB118_829
; %bb.824:
	v_cmp_ngt_f64_e64 s[18:19], |v[117:118]|, |v[119:120]|
	s_and_saveexec_b64 s[20:21], s[18:19]
	s_xor_b64 s[18:19], exec, s[20:21]
	s_cbranch_execz .LBB118_826
; %bb.825:
	v_div_scale_f64 v[86:87], s[20:21], v[119:120], v[119:120], v[117:118]
	v_rcp_f64_e32 v[91:92], v[86:87]
	v_fma_f64 v[93:94], -v[86:87], v[91:92], 1.0
	v_fma_f64 v[91:92], v[91:92], v[93:94], v[91:92]
	v_div_scale_f64 v[93:94], vcc, v[117:118], v[119:120], v[117:118]
	v_fma_f64 v[95:96], -v[86:87], v[91:92], 1.0
	v_fma_f64 v[91:92], v[91:92], v[95:96], v[91:92]
	v_mul_f64 v[95:96], v[93:94], v[91:92]
	v_fma_f64 v[86:87], -v[86:87], v[95:96], v[93:94]
	v_div_fmas_f64 v[86:87], v[86:87], v[91:92], v[95:96]
	v_div_fixup_f64 v[86:87], v[86:87], v[119:120], v[117:118]
	v_fma_f64 v[91:92], v[117:118], v[86:87], v[119:120]
	v_div_scale_f64 v[93:94], s[20:21], v[91:92], v[91:92], 1.0
	v_div_scale_f64 v[99:100], vcc, 1.0, v[91:92], 1.0
	v_rcp_f64_e32 v[95:96], v[93:94]
	v_fma_f64 v[97:98], -v[93:94], v[95:96], 1.0
	v_fma_f64 v[95:96], v[95:96], v[97:98], v[95:96]
	v_fma_f64 v[97:98], -v[93:94], v[95:96], 1.0
	v_fma_f64 v[95:96], v[95:96], v[97:98], v[95:96]
	v_mul_f64 v[97:98], v[99:100], v[95:96]
	v_fma_f64 v[93:94], -v[93:94], v[97:98], v[99:100]
	v_div_fmas_f64 v[93:94], v[93:94], v[95:96], v[97:98]
	v_div_fixup_f64 v[119:120], v[93:94], v[91:92], 1.0
	v_mul_f64 v[117:118], v[86:87], v[119:120]
	v_xor_b32_e32 v120, 0x80000000, v120
.LBB118_826:
	s_andn2_saveexec_b64 s[18:19], s[18:19]
	s_cbranch_execz .LBB118_828
; %bb.827:
	v_div_scale_f64 v[86:87], s[20:21], v[117:118], v[117:118], v[119:120]
	v_rcp_f64_e32 v[91:92], v[86:87]
	v_fma_f64 v[93:94], -v[86:87], v[91:92], 1.0
	v_fma_f64 v[91:92], v[91:92], v[93:94], v[91:92]
	v_div_scale_f64 v[93:94], vcc, v[119:120], v[117:118], v[119:120]
	v_fma_f64 v[95:96], -v[86:87], v[91:92], 1.0
	v_fma_f64 v[91:92], v[91:92], v[95:96], v[91:92]
	v_mul_f64 v[95:96], v[93:94], v[91:92]
	v_fma_f64 v[86:87], -v[86:87], v[95:96], v[93:94]
	v_div_fmas_f64 v[86:87], v[86:87], v[91:92], v[95:96]
	v_div_fixup_f64 v[86:87], v[86:87], v[117:118], v[119:120]
	v_fma_f64 v[91:92], v[119:120], v[86:87], v[117:118]
	v_div_scale_f64 v[93:94], s[20:21], v[91:92], v[91:92], 1.0
	v_div_scale_f64 v[99:100], vcc, 1.0, v[91:92], 1.0
	v_rcp_f64_e32 v[95:96], v[93:94]
	v_fma_f64 v[97:98], -v[93:94], v[95:96], 1.0
	v_fma_f64 v[95:96], v[95:96], v[97:98], v[95:96]
	v_fma_f64 v[97:98], -v[93:94], v[95:96], 1.0
	v_fma_f64 v[95:96], v[95:96], v[97:98], v[95:96]
	v_mul_f64 v[97:98], v[99:100], v[95:96]
	v_fma_f64 v[93:94], -v[93:94], v[97:98], v[99:100]
	v_div_fmas_f64 v[93:94], v[93:94], v[95:96], v[97:98]
	v_div_fixup_f64 v[117:118], v[93:94], v[91:92], 1.0
	v_mul_f64 v[119:120], v[86:87], -v[117:118]
.LBB118_828:
	s_or_b64 exec, exec, s[18:19]
.LBB118_829:
	s_or_b64 exec, exec, s[0:1]
	v_cmp_ne_u32_e32 vcc, v89, v85
	s_and_saveexec_b64 s[0:1], vcc
	s_xor_b64 s[0:1], exec, s[0:1]
	s_cbranch_execz .LBB118_835
; %bb.830:
	v_cmp_eq_u32_e32 vcc, 39, v89
	s_and_saveexec_b64 s[18:19], vcc
	s_cbranch_execz .LBB118_834
; %bb.831:
	v_cmp_ne_u32_e32 vcc, 39, v85
	s_xor_b64 s[20:21], s[6:7], -1
	s_and_b64 s[22:23], s[20:21], vcc
	s_and_saveexec_b64 s[20:21], s[22:23]
	s_cbranch_execz .LBB118_833
; %bb.832:
	v_ashrrev_i32_e32 v86, 31, v85
	v_lshlrev_b64 v[86:87], 2, v[85:86]
	v_add_co_u32_e32 v86, vcc, v107, v86
	v_addc_co_u32_e32 v87, vcc, v108, v87, vcc
	global_load_dword v88, v[86:87], off
	global_load_dword v89, v[107:108], off offset:156
	s_waitcnt vmcnt(1)
	global_store_dword v[107:108], v88, off offset:156
	s_waitcnt vmcnt(1)
	global_store_dword v[86:87], v89, off
.LBB118_833:
	s_or_b64 exec, exec, s[20:21]
	v_mov_b32_e32 v89, v85
	v_mov_b32_e32 v127, v85
.LBB118_834:
	s_or_b64 exec, exec, s[18:19]
.LBB118_835:
	s_andn2_saveexec_b64 s[0:1], s[0:1]
	s_cbranch_execz .LBB118_837
; %bb.836:
	v_mov_b32_e32 v89, 39
	ds_write2_b64 v0, v[73:74], v[75:76] offset0:80 offset1:81
	ds_write2_b64 v0, v[69:70], v[71:72] offset0:82 offset1:83
	;; [unrolled: 1-line block ×20, first 2 shown]
.LBB118_837:
	s_or_b64 exec, exec, s[0:1]
	v_cmp_lt_i32_e32 vcc, 39, v89
	s_waitcnt vmcnt(0) lgkmcnt(0)
	s_barrier
	s_and_saveexec_b64 s[0:1], vcc
	s_cbranch_execz .LBB118_839
; %bb.838:
	v_mul_f64 v[85:86], v[119:120], v[79:80]
	v_mul_f64 v[79:80], v[117:118], v[79:80]
	ds_read2_b64 v[91:94], v0 offset0:80 offset1:81
	v_fma_f64 v[85:86], v[117:118], v[77:78], -v[85:86]
	v_fma_f64 v[79:80], v[119:120], v[77:78], v[79:80]
	s_waitcnt lgkmcnt(0)
	v_mul_f64 v[77:78], v[93:94], v[79:80]
	v_mul_f64 v[87:88], v[91:92], v[79:80]
	v_fma_f64 v[77:78], v[91:92], v[85:86], -v[77:78]
	v_fma_f64 v[87:88], v[93:94], v[85:86], v[87:88]
	ds_read2_b64 v[91:94], v0 offset0:82 offset1:83
	v_add_f64 v[73:74], v[73:74], -v[77:78]
	v_add_f64 v[75:76], v[75:76], -v[87:88]
	s_waitcnt lgkmcnt(0)
	v_mul_f64 v[77:78], v[93:94], v[79:80]
	v_mul_f64 v[87:88], v[91:92], v[79:80]
	v_fma_f64 v[77:78], v[91:92], v[85:86], -v[77:78]
	v_fma_f64 v[87:88], v[93:94], v[85:86], v[87:88]
	ds_read2_b64 v[91:94], v0 offset0:84 offset1:85
	v_add_f64 v[69:70], v[69:70], -v[77:78]
	v_add_f64 v[71:72], v[71:72], -v[87:88]
	;; [unrolled: 8-line block ×19, first 2 shown]
	s_waitcnt lgkmcnt(0)
	v_mul_f64 v[77:78], v[93:94], v[79:80]
	v_mul_f64 v[87:88], v[91:92], v[79:80]
	v_fma_f64 v[77:78], v[91:92], v[85:86], -v[77:78]
	v_fma_f64 v[87:88], v[93:94], v[85:86], v[87:88]
	v_add_f64 v[121:122], v[121:122], -v[77:78]
	v_add_f64 v[123:124], v[123:124], -v[87:88]
	v_mov_b32_e32 v77, v85
	v_mov_b32_e32 v78, v86
.LBB118_839:
	s_or_b64 exec, exec, s[0:1]
	v_lshl_add_u32 v85, v89, 4, v0
	s_barrier
	ds_write2_b64 v85, v[73:74], v[75:76] offset1:1
	s_waitcnt lgkmcnt(0)
	s_barrier
	ds_read2_b64 v[117:120], v0 offset0:80 offset1:81
	s_cmp_lt_i32 s3, 42
	v_mov_b32_e32 v85, 40
	s_cbranch_scc1 .LBB118_842
; %bb.840:
	v_add_u32_e32 v86, 0x290, v0
	s_mov_b32 s0, 41
	v_mov_b32_e32 v85, 40
.LBB118_841:                            ; =>This Inner Loop Header: Depth=1
	s_waitcnt lgkmcnt(0)
	v_cmp_gt_f64_e32 vcc, 0, v[117:118]
	v_xor_b32_e32 v87, 0x80000000, v118
	ds_read2_b64 v[91:94], v86 offset1:1
	v_xor_b32_e32 v95, 0x80000000, v120
	v_add_u32_e32 v86, 16, v86
	s_waitcnt lgkmcnt(0)
	v_xor_b32_e32 v97, 0x80000000, v94
	v_cndmask_b32_e32 v88, v118, v87, vcc
	v_cmp_gt_f64_e32 vcc, 0, v[119:120]
	v_mov_b32_e32 v87, v117
	v_cndmask_b32_e32 v96, v120, v95, vcc
	v_cmp_gt_f64_e32 vcc, 0, v[91:92]
	v_mov_b32_e32 v95, v119
	v_add_f64 v[87:88], v[87:88], v[95:96]
	v_xor_b32_e32 v95, 0x80000000, v92
	v_cndmask_b32_e32 v96, v92, v95, vcc
	v_cmp_gt_f64_e32 vcc, 0, v[93:94]
	v_mov_b32_e32 v95, v91
	v_cndmask_b32_e32 v98, v94, v97, vcc
	v_mov_b32_e32 v97, v93
	v_add_f64 v[95:96], v[95:96], v[97:98]
	v_cmp_lt_f64_e32 vcc, v[87:88], v[95:96]
	v_mov_b32_e32 v87, s0
	s_add_i32 s0, s0, 1
	s_cmp_lg_u32 s3, s0
	v_cndmask_b32_e32 v118, v118, v92, vcc
	v_cndmask_b32_e32 v117, v117, v91, vcc
	;; [unrolled: 1-line block ×5, first 2 shown]
	s_cbranch_scc1 .LBB118_841
.LBB118_842:
	s_waitcnt lgkmcnt(0)
	v_cmp_eq_f64_e32 vcc, 0, v[117:118]
	v_cmp_eq_f64_e64 s[0:1], 0, v[119:120]
	s_and_b64 s[0:1], vcc, s[0:1]
	s_and_saveexec_b64 s[18:19], s[0:1]
	s_xor_b64 s[0:1], exec, s[18:19]
; %bb.843:
	v_cmp_ne_u32_e32 vcc, 0, v90
	v_cndmask_b32_e32 v90, 41, v90, vcc
; %bb.844:
	s_andn2_saveexec_b64 s[0:1], s[0:1]
	s_cbranch_execz .LBB118_850
; %bb.845:
	v_cmp_ngt_f64_e64 s[18:19], |v[117:118]|, |v[119:120]|
	s_and_saveexec_b64 s[20:21], s[18:19]
	s_xor_b64 s[18:19], exec, s[20:21]
	s_cbranch_execz .LBB118_847
; %bb.846:
	v_div_scale_f64 v[86:87], s[20:21], v[119:120], v[119:120], v[117:118]
	v_rcp_f64_e32 v[91:92], v[86:87]
	v_fma_f64 v[93:94], -v[86:87], v[91:92], 1.0
	v_fma_f64 v[91:92], v[91:92], v[93:94], v[91:92]
	v_div_scale_f64 v[93:94], vcc, v[117:118], v[119:120], v[117:118]
	v_fma_f64 v[95:96], -v[86:87], v[91:92], 1.0
	v_fma_f64 v[91:92], v[91:92], v[95:96], v[91:92]
	v_mul_f64 v[95:96], v[93:94], v[91:92]
	v_fma_f64 v[86:87], -v[86:87], v[95:96], v[93:94]
	v_div_fmas_f64 v[86:87], v[86:87], v[91:92], v[95:96]
	v_div_fixup_f64 v[86:87], v[86:87], v[119:120], v[117:118]
	v_fma_f64 v[91:92], v[117:118], v[86:87], v[119:120]
	v_div_scale_f64 v[93:94], s[20:21], v[91:92], v[91:92], 1.0
	v_div_scale_f64 v[99:100], vcc, 1.0, v[91:92], 1.0
	v_rcp_f64_e32 v[95:96], v[93:94]
	v_fma_f64 v[97:98], -v[93:94], v[95:96], 1.0
	v_fma_f64 v[95:96], v[95:96], v[97:98], v[95:96]
	v_fma_f64 v[97:98], -v[93:94], v[95:96], 1.0
	v_fma_f64 v[95:96], v[95:96], v[97:98], v[95:96]
	v_mul_f64 v[97:98], v[99:100], v[95:96]
	v_fma_f64 v[93:94], -v[93:94], v[97:98], v[99:100]
	v_div_fmas_f64 v[93:94], v[93:94], v[95:96], v[97:98]
	v_div_fixup_f64 v[119:120], v[93:94], v[91:92], 1.0
	v_mul_f64 v[117:118], v[86:87], v[119:120]
	v_xor_b32_e32 v120, 0x80000000, v120
.LBB118_847:
	s_andn2_saveexec_b64 s[18:19], s[18:19]
	s_cbranch_execz .LBB118_849
; %bb.848:
	v_div_scale_f64 v[86:87], s[20:21], v[117:118], v[117:118], v[119:120]
	v_rcp_f64_e32 v[91:92], v[86:87]
	v_fma_f64 v[93:94], -v[86:87], v[91:92], 1.0
	v_fma_f64 v[91:92], v[91:92], v[93:94], v[91:92]
	v_div_scale_f64 v[93:94], vcc, v[119:120], v[117:118], v[119:120]
	v_fma_f64 v[95:96], -v[86:87], v[91:92], 1.0
	v_fma_f64 v[91:92], v[91:92], v[95:96], v[91:92]
	v_mul_f64 v[95:96], v[93:94], v[91:92]
	v_fma_f64 v[86:87], -v[86:87], v[95:96], v[93:94]
	v_div_fmas_f64 v[86:87], v[86:87], v[91:92], v[95:96]
	v_div_fixup_f64 v[86:87], v[86:87], v[117:118], v[119:120]
	v_fma_f64 v[91:92], v[119:120], v[86:87], v[117:118]
	v_div_scale_f64 v[93:94], s[20:21], v[91:92], v[91:92], 1.0
	v_div_scale_f64 v[99:100], vcc, 1.0, v[91:92], 1.0
	v_rcp_f64_e32 v[95:96], v[93:94]
	v_fma_f64 v[97:98], -v[93:94], v[95:96], 1.0
	v_fma_f64 v[95:96], v[95:96], v[97:98], v[95:96]
	v_fma_f64 v[97:98], -v[93:94], v[95:96], 1.0
	v_fma_f64 v[95:96], v[95:96], v[97:98], v[95:96]
	v_mul_f64 v[97:98], v[99:100], v[95:96]
	v_fma_f64 v[93:94], -v[93:94], v[97:98], v[99:100]
	v_div_fmas_f64 v[93:94], v[93:94], v[95:96], v[97:98]
	v_div_fixup_f64 v[117:118], v[93:94], v[91:92], 1.0
	v_mul_f64 v[119:120], v[86:87], -v[117:118]
.LBB118_849:
	s_or_b64 exec, exec, s[18:19]
.LBB118_850:
	s_or_b64 exec, exec, s[0:1]
	v_cmp_ne_u32_e32 vcc, v89, v85
	s_and_saveexec_b64 s[0:1], vcc
	s_xor_b64 s[0:1], exec, s[0:1]
	s_cbranch_execz .LBB118_856
; %bb.851:
	v_cmp_eq_u32_e32 vcc, 40, v89
	s_and_saveexec_b64 s[18:19], vcc
	s_cbranch_execz .LBB118_855
; %bb.852:
	v_cmp_ne_u32_e32 vcc, 40, v85
	s_xor_b64 s[20:21], s[6:7], -1
	s_and_b64 s[22:23], s[20:21], vcc
	s_and_saveexec_b64 s[20:21], s[22:23]
	s_cbranch_execz .LBB118_854
; %bb.853:
	v_ashrrev_i32_e32 v86, 31, v85
	v_lshlrev_b64 v[86:87], 2, v[85:86]
	v_add_co_u32_e32 v86, vcc, v107, v86
	v_addc_co_u32_e32 v87, vcc, v108, v87, vcc
	global_load_dword v88, v[86:87], off
	global_load_dword v89, v[107:108], off offset:160
	s_waitcnt vmcnt(1)
	global_store_dword v[107:108], v88, off offset:160
	s_waitcnt vmcnt(1)
	global_store_dword v[86:87], v89, off
.LBB118_854:
	s_or_b64 exec, exec, s[20:21]
	v_mov_b32_e32 v89, v85
	v_mov_b32_e32 v127, v85
.LBB118_855:
	s_or_b64 exec, exec, s[18:19]
.LBB118_856:
	s_andn2_saveexec_b64 s[0:1], s[0:1]
	s_cbranch_execz .LBB118_858
; %bb.857:
	v_mov_b32_e32 v89, 40
	ds_write2_b64 v0, v[69:70], v[71:72] offset0:82 offset1:83
	ds_write2_b64 v0, v[65:66], v[67:68] offset0:84 offset1:85
	;; [unrolled: 1-line block ×19, first 2 shown]
.LBB118_858:
	s_or_b64 exec, exec, s[0:1]
	v_cmp_lt_i32_e32 vcc, 40, v89
	s_waitcnt vmcnt(0) lgkmcnt(0)
	s_barrier
	s_and_saveexec_b64 s[0:1], vcc
	s_cbranch_execz .LBB118_860
; %bb.859:
	v_mul_f64 v[85:86], v[119:120], v[75:76]
	v_mul_f64 v[75:76], v[117:118], v[75:76]
	ds_read2_b64 v[91:94], v0 offset0:82 offset1:83
	v_fma_f64 v[85:86], v[117:118], v[73:74], -v[85:86]
	v_fma_f64 v[75:76], v[119:120], v[73:74], v[75:76]
	s_waitcnt lgkmcnt(0)
	v_mul_f64 v[73:74], v[93:94], v[75:76]
	v_mul_f64 v[87:88], v[91:92], v[75:76]
	v_fma_f64 v[73:74], v[91:92], v[85:86], -v[73:74]
	v_fma_f64 v[87:88], v[93:94], v[85:86], v[87:88]
	ds_read2_b64 v[91:94], v0 offset0:84 offset1:85
	v_add_f64 v[69:70], v[69:70], -v[73:74]
	v_add_f64 v[71:72], v[71:72], -v[87:88]
	s_waitcnt lgkmcnt(0)
	v_mul_f64 v[73:74], v[93:94], v[75:76]
	v_mul_f64 v[87:88], v[91:92], v[75:76]
	v_fma_f64 v[73:74], v[91:92], v[85:86], -v[73:74]
	v_fma_f64 v[87:88], v[93:94], v[85:86], v[87:88]
	ds_read2_b64 v[91:94], v0 offset0:86 offset1:87
	v_add_f64 v[65:66], v[65:66], -v[73:74]
	v_add_f64 v[67:68], v[67:68], -v[87:88]
	;; [unrolled: 8-line block ×18, first 2 shown]
	s_waitcnt lgkmcnt(0)
	v_mul_f64 v[73:74], v[93:94], v[75:76]
	v_mul_f64 v[87:88], v[91:92], v[75:76]
	v_fma_f64 v[73:74], v[91:92], v[85:86], -v[73:74]
	v_fma_f64 v[87:88], v[93:94], v[85:86], v[87:88]
	v_add_f64 v[121:122], v[121:122], -v[73:74]
	v_add_f64 v[123:124], v[123:124], -v[87:88]
	v_mov_b32_e32 v73, v85
	v_mov_b32_e32 v74, v86
.LBB118_860:
	s_or_b64 exec, exec, s[0:1]
	v_lshl_add_u32 v85, v89, 4, v0
	s_barrier
	ds_write2_b64 v85, v[69:70], v[71:72] offset1:1
	s_waitcnt lgkmcnt(0)
	s_barrier
	ds_read2_b64 v[117:120], v0 offset0:82 offset1:83
	s_cmp_lt_i32 s3, 43
	v_mov_b32_e32 v85, 41
	s_cbranch_scc1 .LBB118_863
; %bb.861:
	v_add_u32_e32 v86, 0x2a0, v0
	s_mov_b32 s0, 42
	v_mov_b32_e32 v85, 41
.LBB118_862:                            ; =>This Inner Loop Header: Depth=1
	s_waitcnt lgkmcnt(0)
	v_cmp_gt_f64_e32 vcc, 0, v[117:118]
	v_xor_b32_e32 v87, 0x80000000, v118
	ds_read2_b64 v[91:94], v86 offset1:1
	v_xor_b32_e32 v95, 0x80000000, v120
	v_add_u32_e32 v86, 16, v86
	s_waitcnt lgkmcnt(0)
	v_xor_b32_e32 v97, 0x80000000, v94
	v_cndmask_b32_e32 v88, v118, v87, vcc
	v_cmp_gt_f64_e32 vcc, 0, v[119:120]
	v_mov_b32_e32 v87, v117
	v_cndmask_b32_e32 v96, v120, v95, vcc
	v_cmp_gt_f64_e32 vcc, 0, v[91:92]
	v_mov_b32_e32 v95, v119
	v_add_f64 v[87:88], v[87:88], v[95:96]
	v_xor_b32_e32 v95, 0x80000000, v92
	v_cndmask_b32_e32 v96, v92, v95, vcc
	v_cmp_gt_f64_e32 vcc, 0, v[93:94]
	v_mov_b32_e32 v95, v91
	v_cndmask_b32_e32 v98, v94, v97, vcc
	v_mov_b32_e32 v97, v93
	v_add_f64 v[95:96], v[95:96], v[97:98]
	v_cmp_lt_f64_e32 vcc, v[87:88], v[95:96]
	v_mov_b32_e32 v87, s0
	s_add_i32 s0, s0, 1
	s_cmp_lg_u32 s3, s0
	v_cndmask_b32_e32 v118, v118, v92, vcc
	v_cndmask_b32_e32 v117, v117, v91, vcc
	;; [unrolled: 1-line block ×5, first 2 shown]
	s_cbranch_scc1 .LBB118_862
.LBB118_863:
	s_waitcnt lgkmcnt(0)
	v_cmp_eq_f64_e32 vcc, 0, v[117:118]
	v_cmp_eq_f64_e64 s[0:1], 0, v[119:120]
	s_and_b64 s[0:1], vcc, s[0:1]
	s_and_saveexec_b64 s[18:19], s[0:1]
	s_xor_b64 s[0:1], exec, s[18:19]
; %bb.864:
	v_cmp_ne_u32_e32 vcc, 0, v90
	v_cndmask_b32_e32 v90, 42, v90, vcc
; %bb.865:
	s_andn2_saveexec_b64 s[0:1], s[0:1]
	s_cbranch_execz .LBB118_871
; %bb.866:
	v_cmp_ngt_f64_e64 s[18:19], |v[117:118]|, |v[119:120]|
	s_and_saveexec_b64 s[20:21], s[18:19]
	s_xor_b64 s[18:19], exec, s[20:21]
	s_cbranch_execz .LBB118_868
; %bb.867:
	v_div_scale_f64 v[86:87], s[20:21], v[119:120], v[119:120], v[117:118]
	v_rcp_f64_e32 v[91:92], v[86:87]
	v_fma_f64 v[93:94], -v[86:87], v[91:92], 1.0
	v_fma_f64 v[91:92], v[91:92], v[93:94], v[91:92]
	v_div_scale_f64 v[93:94], vcc, v[117:118], v[119:120], v[117:118]
	v_fma_f64 v[95:96], -v[86:87], v[91:92], 1.0
	v_fma_f64 v[91:92], v[91:92], v[95:96], v[91:92]
	v_mul_f64 v[95:96], v[93:94], v[91:92]
	v_fma_f64 v[86:87], -v[86:87], v[95:96], v[93:94]
	v_div_fmas_f64 v[86:87], v[86:87], v[91:92], v[95:96]
	v_div_fixup_f64 v[86:87], v[86:87], v[119:120], v[117:118]
	v_fma_f64 v[91:92], v[117:118], v[86:87], v[119:120]
	v_div_scale_f64 v[93:94], s[20:21], v[91:92], v[91:92], 1.0
	v_div_scale_f64 v[99:100], vcc, 1.0, v[91:92], 1.0
	v_rcp_f64_e32 v[95:96], v[93:94]
	v_fma_f64 v[97:98], -v[93:94], v[95:96], 1.0
	v_fma_f64 v[95:96], v[95:96], v[97:98], v[95:96]
	v_fma_f64 v[97:98], -v[93:94], v[95:96], 1.0
	v_fma_f64 v[95:96], v[95:96], v[97:98], v[95:96]
	v_mul_f64 v[97:98], v[99:100], v[95:96]
	v_fma_f64 v[93:94], -v[93:94], v[97:98], v[99:100]
	v_div_fmas_f64 v[93:94], v[93:94], v[95:96], v[97:98]
	v_div_fixup_f64 v[119:120], v[93:94], v[91:92], 1.0
	v_mul_f64 v[117:118], v[86:87], v[119:120]
	v_xor_b32_e32 v120, 0x80000000, v120
.LBB118_868:
	s_andn2_saveexec_b64 s[18:19], s[18:19]
	s_cbranch_execz .LBB118_870
; %bb.869:
	v_div_scale_f64 v[86:87], s[20:21], v[117:118], v[117:118], v[119:120]
	v_rcp_f64_e32 v[91:92], v[86:87]
	v_fma_f64 v[93:94], -v[86:87], v[91:92], 1.0
	v_fma_f64 v[91:92], v[91:92], v[93:94], v[91:92]
	v_div_scale_f64 v[93:94], vcc, v[119:120], v[117:118], v[119:120]
	v_fma_f64 v[95:96], -v[86:87], v[91:92], 1.0
	v_fma_f64 v[91:92], v[91:92], v[95:96], v[91:92]
	v_mul_f64 v[95:96], v[93:94], v[91:92]
	v_fma_f64 v[86:87], -v[86:87], v[95:96], v[93:94]
	v_div_fmas_f64 v[86:87], v[86:87], v[91:92], v[95:96]
	v_div_fixup_f64 v[86:87], v[86:87], v[117:118], v[119:120]
	v_fma_f64 v[91:92], v[119:120], v[86:87], v[117:118]
	v_div_scale_f64 v[93:94], s[20:21], v[91:92], v[91:92], 1.0
	v_div_scale_f64 v[99:100], vcc, 1.0, v[91:92], 1.0
	v_rcp_f64_e32 v[95:96], v[93:94]
	v_fma_f64 v[97:98], -v[93:94], v[95:96], 1.0
	v_fma_f64 v[95:96], v[95:96], v[97:98], v[95:96]
	v_fma_f64 v[97:98], -v[93:94], v[95:96], 1.0
	v_fma_f64 v[95:96], v[95:96], v[97:98], v[95:96]
	v_mul_f64 v[97:98], v[99:100], v[95:96]
	v_fma_f64 v[93:94], -v[93:94], v[97:98], v[99:100]
	v_div_fmas_f64 v[93:94], v[93:94], v[95:96], v[97:98]
	v_div_fixup_f64 v[117:118], v[93:94], v[91:92], 1.0
	v_mul_f64 v[119:120], v[86:87], -v[117:118]
.LBB118_870:
	s_or_b64 exec, exec, s[18:19]
.LBB118_871:
	s_or_b64 exec, exec, s[0:1]
	v_cmp_ne_u32_e32 vcc, v89, v85
	s_and_saveexec_b64 s[0:1], vcc
	s_xor_b64 s[0:1], exec, s[0:1]
	s_cbranch_execz .LBB118_877
; %bb.872:
	v_cmp_eq_u32_e32 vcc, 41, v89
	s_and_saveexec_b64 s[18:19], vcc
	s_cbranch_execz .LBB118_876
; %bb.873:
	v_cmp_ne_u32_e32 vcc, 41, v85
	s_xor_b64 s[20:21], s[6:7], -1
	s_and_b64 s[22:23], s[20:21], vcc
	s_and_saveexec_b64 s[20:21], s[22:23]
	s_cbranch_execz .LBB118_875
; %bb.874:
	v_ashrrev_i32_e32 v86, 31, v85
	v_lshlrev_b64 v[86:87], 2, v[85:86]
	v_add_co_u32_e32 v86, vcc, v107, v86
	v_addc_co_u32_e32 v87, vcc, v108, v87, vcc
	global_load_dword v88, v[86:87], off
	global_load_dword v89, v[107:108], off offset:164
	s_waitcnt vmcnt(1)
	global_store_dword v[107:108], v88, off offset:164
	s_waitcnt vmcnt(1)
	global_store_dword v[86:87], v89, off
.LBB118_875:
	s_or_b64 exec, exec, s[20:21]
	v_mov_b32_e32 v89, v85
	v_mov_b32_e32 v127, v85
.LBB118_876:
	s_or_b64 exec, exec, s[18:19]
.LBB118_877:
	s_andn2_saveexec_b64 s[0:1], s[0:1]
	s_cbranch_execz .LBB118_879
; %bb.878:
	v_mov_b32_e32 v89, 41
	ds_write2_b64 v0, v[65:66], v[67:68] offset0:84 offset1:85
	ds_write2_b64 v0, v[61:62], v[63:64] offset0:86 offset1:87
	;; [unrolled: 1-line block ×18, first 2 shown]
.LBB118_879:
	s_or_b64 exec, exec, s[0:1]
	v_cmp_lt_i32_e32 vcc, 41, v89
	s_waitcnt vmcnt(0) lgkmcnt(0)
	s_barrier
	s_and_saveexec_b64 s[0:1], vcc
	s_cbranch_execz .LBB118_881
; %bb.880:
	v_mul_f64 v[85:86], v[119:120], v[71:72]
	v_mul_f64 v[71:72], v[117:118], v[71:72]
	ds_read2_b64 v[91:94], v0 offset0:84 offset1:85
	v_fma_f64 v[85:86], v[117:118], v[69:70], -v[85:86]
	v_fma_f64 v[71:72], v[119:120], v[69:70], v[71:72]
	s_waitcnt lgkmcnt(0)
	v_mul_f64 v[69:70], v[93:94], v[71:72]
	v_mul_f64 v[87:88], v[91:92], v[71:72]
	v_fma_f64 v[69:70], v[91:92], v[85:86], -v[69:70]
	v_fma_f64 v[87:88], v[93:94], v[85:86], v[87:88]
	ds_read2_b64 v[91:94], v0 offset0:86 offset1:87
	v_add_f64 v[65:66], v[65:66], -v[69:70]
	v_add_f64 v[67:68], v[67:68], -v[87:88]
	s_waitcnt lgkmcnt(0)
	v_mul_f64 v[69:70], v[93:94], v[71:72]
	v_mul_f64 v[87:88], v[91:92], v[71:72]
	v_fma_f64 v[69:70], v[91:92], v[85:86], -v[69:70]
	v_fma_f64 v[87:88], v[93:94], v[85:86], v[87:88]
	ds_read2_b64 v[91:94], v0 offset0:88 offset1:89
	v_add_f64 v[61:62], v[61:62], -v[69:70]
	v_add_f64 v[63:64], v[63:64], -v[87:88]
	;; [unrolled: 8-line block ×17, first 2 shown]
	s_waitcnt lgkmcnt(0)
	v_mul_f64 v[69:70], v[93:94], v[71:72]
	v_mul_f64 v[87:88], v[91:92], v[71:72]
	v_fma_f64 v[69:70], v[91:92], v[85:86], -v[69:70]
	v_fma_f64 v[87:88], v[93:94], v[85:86], v[87:88]
	v_add_f64 v[121:122], v[121:122], -v[69:70]
	v_add_f64 v[123:124], v[123:124], -v[87:88]
	v_mov_b32_e32 v69, v85
	v_mov_b32_e32 v70, v86
.LBB118_881:
	s_or_b64 exec, exec, s[0:1]
	v_lshl_add_u32 v85, v89, 4, v0
	s_barrier
	ds_write2_b64 v85, v[65:66], v[67:68] offset1:1
	s_waitcnt lgkmcnt(0)
	s_barrier
	ds_read2_b64 v[117:120], v0 offset0:84 offset1:85
	s_cmp_lt_i32 s3, 44
	v_mov_b32_e32 v85, 42
	s_cbranch_scc1 .LBB118_884
; %bb.882:
	v_add_u32_e32 v86, 0x2b0, v0
	s_mov_b32 s0, 43
	v_mov_b32_e32 v85, 42
.LBB118_883:                            ; =>This Inner Loop Header: Depth=1
	s_waitcnt lgkmcnt(0)
	v_cmp_gt_f64_e32 vcc, 0, v[117:118]
	v_xor_b32_e32 v87, 0x80000000, v118
	ds_read2_b64 v[91:94], v86 offset1:1
	v_xor_b32_e32 v95, 0x80000000, v120
	v_add_u32_e32 v86, 16, v86
	s_waitcnt lgkmcnt(0)
	v_xor_b32_e32 v97, 0x80000000, v94
	v_cndmask_b32_e32 v88, v118, v87, vcc
	v_cmp_gt_f64_e32 vcc, 0, v[119:120]
	v_mov_b32_e32 v87, v117
	v_cndmask_b32_e32 v96, v120, v95, vcc
	v_cmp_gt_f64_e32 vcc, 0, v[91:92]
	v_mov_b32_e32 v95, v119
	v_add_f64 v[87:88], v[87:88], v[95:96]
	v_xor_b32_e32 v95, 0x80000000, v92
	v_cndmask_b32_e32 v96, v92, v95, vcc
	v_cmp_gt_f64_e32 vcc, 0, v[93:94]
	v_mov_b32_e32 v95, v91
	v_cndmask_b32_e32 v98, v94, v97, vcc
	v_mov_b32_e32 v97, v93
	v_add_f64 v[95:96], v[95:96], v[97:98]
	v_cmp_lt_f64_e32 vcc, v[87:88], v[95:96]
	v_mov_b32_e32 v87, s0
	s_add_i32 s0, s0, 1
	s_cmp_lg_u32 s3, s0
	v_cndmask_b32_e32 v118, v118, v92, vcc
	v_cndmask_b32_e32 v117, v117, v91, vcc
	;; [unrolled: 1-line block ×5, first 2 shown]
	s_cbranch_scc1 .LBB118_883
.LBB118_884:
	s_waitcnt lgkmcnt(0)
	v_cmp_eq_f64_e32 vcc, 0, v[117:118]
	v_cmp_eq_f64_e64 s[0:1], 0, v[119:120]
	s_and_b64 s[0:1], vcc, s[0:1]
	s_and_saveexec_b64 s[18:19], s[0:1]
	s_xor_b64 s[0:1], exec, s[18:19]
; %bb.885:
	v_cmp_ne_u32_e32 vcc, 0, v90
	v_cndmask_b32_e32 v90, 43, v90, vcc
; %bb.886:
	s_andn2_saveexec_b64 s[0:1], s[0:1]
	s_cbranch_execz .LBB118_892
; %bb.887:
	v_cmp_ngt_f64_e64 s[18:19], |v[117:118]|, |v[119:120]|
	s_and_saveexec_b64 s[20:21], s[18:19]
	s_xor_b64 s[18:19], exec, s[20:21]
	s_cbranch_execz .LBB118_889
; %bb.888:
	v_div_scale_f64 v[86:87], s[20:21], v[119:120], v[119:120], v[117:118]
	v_rcp_f64_e32 v[91:92], v[86:87]
	v_fma_f64 v[93:94], -v[86:87], v[91:92], 1.0
	v_fma_f64 v[91:92], v[91:92], v[93:94], v[91:92]
	v_div_scale_f64 v[93:94], vcc, v[117:118], v[119:120], v[117:118]
	v_fma_f64 v[95:96], -v[86:87], v[91:92], 1.0
	v_fma_f64 v[91:92], v[91:92], v[95:96], v[91:92]
	v_mul_f64 v[95:96], v[93:94], v[91:92]
	v_fma_f64 v[86:87], -v[86:87], v[95:96], v[93:94]
	v_div_fmas_f64 v[86:87], v[86:87], v[91:92], v[95:96]
	v_div_fixup_f64 v[86:87], v[86:87], v[119:120], v[117:118]
	v_fma_f64 v[91:92], v[117:118], v[86:87], v[119:120]
	v_div_scale_f64 v[93:94], s[20:21], v[91:92], v[91:92], 1.0
	v_div_scale_f64 v[99:100], vcc, 1.0, v[91:92], 1.0
	v_rcp_f64_e32 v[95:96], v[93:94]
	v_fma_f64 v[97:98], -v[93:94], v[95:96], 1.0
	v_fma_f64 v[95:96], v[95:96], v[97:98], v[95:96]
	v_fma_f64 v[97:98], -v[93:94], v[95:96], 1.0
	v_fma_f64 v[95:96], v[95:96], v[97:98], v[95:96]
	v_mul_f64 v[97:98], v[99:100], v[95:96]
	v_fma_f64 v[93:94], -v[93:94], v[97:98], v[99:100]
	v_div_fmas_f64 v[93:94], v[93:94], v[95:96], v[97:98]
	v_div_fixup_f64 v[119:120], v[93:94], v[91:92], 1.0
	v_mul_f64 v[117:118], v[86:87], v[119:120]
	v_xor_b32_e32 v120, 0x80000000, v120
.LBB118_889:
	s_andn2_saveexec_b64 s[18:19], s[18:19]
	s_cbranch_execz .LBB118_891
; %bb.890:
	v_div_scale_f64 v[86:87], s[20:21], v[117:118], v[117:118], v[119:120]
	v_rcp_f64_e32 v[91:92], v[86:87]
	v_fma_f64 v[93:94], -v[86:87], v[91:92], 1.0
	v_fma_f64 v[91:92], v[91:92], v[93:94], v[91:92]
	v_div_scale_f64 v[93:94], vcc, v[119:120], v[117:118], v[119:120]
	v_fma_f64 v[95:96], -v[86:87], v[91:92], 1.0
	v_fma_f64 v[91:92], v[91:92], v[95:96], v[91:92]
	v_mul_f64 v[95:96], v[93:94], v[91:92]
	v_fma_f64 v[86:87], -v[86:87], v[95:96], v[93:94]
	v_div_fmas_f64 v[86:87], v[86:87], v[91:92], v[95:96]
	v_div_fixup_f64 v[86:87], v[86:87], v[117:118], v[119:120]
	v_fma_f64 v[91:92], v[119:120], v[86:87], v[117:118]
	v_div_scale_f64 v[93:94], s[20:21], v[91:92], v[91:92], 1.0
	v_div_scale_f64 v[99:100], vcc, 1.0, v[91:92], 1.0
	v_rcp_f64_e32 v[95:96], v[93:94]
	v_fma_f64 v[97:98], -v[93:94], v[95:96], 1.0
	v_fma_f64 v[95:96], v[95:96], v[97:98], v[95:96]
	v_fma_f64 v[97:98], -v[93:94], v[95:96], 1.0
	v_fma_f64 v[95:96], v[95:96], v[97:98], v[95:96]
	v_mul_f64 v[97:98], v[99:100], v[95:96]
	v_fma_f64 v[93:94], -v[93:94], v[97:98], v[99:100]
	v_div_fmas_f64 v[93:94], v[93:94], v[95:96], v[97:98]
	v_div_fixup_f64 v[117:118], v[93:94], v[91:92], 1.0
	v_mul_f64 v[119:120], v[86:87], -v[117:118]
.LBB118_891:
	s_or_b64 exec, exec, s[18:19]
.LBB118_892:
	s_or_b64 exec, exec, s[0:1]
	v_cmp_ne_u32_e32 vcc, v89, v85
	s_and_saveexec_b64 s[0:1], vcc
	s_xor_b64 s[0:1], exec, s[0:1]
	s_cbranch_execz .LBB118_898
; %bb.893:
	v_cmp_eq_u32_e32 vcc, 42, v89
	s_and_saveexec_b64 s[18:19], vcc
	s_cbranch_execz .LBB118_897
; %bb.894:
	v_cmp_ne_u32_e32 vcc, 42, v85
	s_xor_b64 s[20:21], s[6:7], -1
	s_and_b64 s[22:23], s[20:21], vcc
	s_and_saveexec_b64 s[20:21], s[22:23]
	s_cbranch_execz .LBB118_896
; %bb.895:
	v_ashrrev_i32_e32 v86, 31, v85
	v_lshlrev_b64 v[86:87], 2, v[85:86]
	v_add_co_u32_e32 v86, vcc, v107, v86
	v_addc_co_u32_e32 v87, vcc, v108, v87, vcc
	global_load_dword v88, v[86:87], off
	global_load_dword v89, v[107:108], off offset:168
	s_waitcnt vmcnt(1)
	global_store_dword v[107:108], v88, off offset:168
	s_waitcnt vmcnt(1)
	global_store_dword v[86:87], v89, off
.LBB118_896:
	s_or_b64 exec, exec, s[20:21]
	v_mov_b32_e32 v89, v85
	v_mov_b32_e32 v127, v85
.LBB118_897:
	s_or_b64 exec, exec, s[18:19]
.LBB118_898:
	s_andn2_saveexec_b64 s[0:1], s[0:1]
	s_cbranch_execz .LBB118_900
; %bb.899:
	v_mov_b32_e32 v89, 42
	ds_write2_b64 v0, v[61:62], v[63:64] offset0:86 offset1:87
	ds_write2_b64 v0, v[57:58], v[59:60] offset0:88 offset1:89
	;; [unrolled: 1-line block ×17, first 2 shown]
.LBB118_900:
	s_or_b64 exec, exec, s[0:1]
	v_cmp_lt_i32_e32 vcc, 42, v89
	s_waitcnt vmcnt(0) lgkmcnt(0)
	s_barrier
	s_and_saveexec_b64 s[0:1], vcc
	s_cbranch_execz .LBB118_902
; %bb.901:
	v_mul_f64 v[85:86], v[119:120], v[67:68]
	v_mul_f64 v[67:68], v[117:118], v[67:68]
	ds_read2_b64 v[91:94], v0 offset0:86 offset1:87
	v_fma_f64 v[85:86], v[117:118], v[65:66], -v[85:86]
	v_fma_f64 v[67:68], v[119:120], v[65:66], v[67:68]
	s_waitcnt lgkmcnt(0)
	v_mul_f64 v[65:66], v[93:94], v[67:68]
	v_mul_f64 v[87:88], v[91:92], v[67:68]
	v_fma_f64 v[65:66], v[91:92], v[85:86], -v[65:66]
	v_fma_f64 v[87:88], v[93:94], v[85:86], v[87:88]
	ds_read2_b64 v[91:94], v0 offset0:88 offset1:89
	v_add_f64 v[61:62], v[61:62], -v[65:66]
	v_add_f64 v[63:64], v[63:64], -v[87:88]
	s_waitcnt lgkmcnt(0)
	v_mul_f64 v[65:66], v[93:94], v[67:68]
	v_mul_f64 v[87:88], v[91:92], v[67:68]
	v_fma_f64 v[65:66], v[91:92], v[85:86], -v[65:66]
	v_fma_f64 v[87:88], v[93:94], v[85:86], v[87:88]
	ds_read2_b64 v[91:94], v0 offset0:90 offset1:91
	v_add_f64 v[57:58], v[57:58], -v[65:66]
	v_add_f64 v[59:60], v[59:60], -v[87:88]
	;; [unrolled: 8-line block ×16, first 2 shown]
	s_waitcnt lgkmcnt(0)
	v_mul_f64 v[65:66], v[93:94], v[67:68]
	v_mul_f64 v[87:88], v[91:92], v[67:68]
	v_fma_f64 v[65:66], v[91:92], v[85:86], -v[65:66]
	v_fma_f64 v[87:88], v[93:94], v[85:86], v[87:88]
	v_add_f64 v[121:122], v[121:122], -v[65:66]
	v_add_f64 v[123:124], v[123:124], -v[87:88]
	v_mov_b32_e32 v65, v85
	v_mov_b32_e32 v66, v86
.LBB118_902:
	s_or_b64 exec, exec, s[0:1]
	v_lshl_add_u32 v85, v89, 4, v0
	s_barrier
	ds_write2_b64 v85, v[61:62], v[63:64] offset1:1
	s_waitcnt lgkmcnt(0)
	s_barrier
	ds_read2_b64 v[117:120], v0 offset0:86 offset1:87
	s_cmp_lt_i32 s3, 45
	v_mov_b32_e32 v85, 43
	s_cbranch_scc1 .LBB118_905
; %bb.903:
	v_add_u32_e32 v86, 0x2c0, v0
	s_mov_b32 s0, 44
	v_mov_b32_e32 v85, 43
.LBB118_904:                            ; =>This Inner Loop Header: Depth=1
	s_waitcnt lgkmcnt(0)
	v_cmp_gt_f64_e32 vcc, 0, v[117:118]
	v_xor_b32_e32 v87, 0x80000000, v118
	ds_read2_b64 v[91:94], v86 offset1:1
	v_xor_b32_e32 v95, 0x80000000, v120
	v_add_u32_e32 v86, 16, v86
	s_waitcnt lgkmcnt(0)
	v_xor_b32_e32 v97, 0x80000000, v94
	v_cndmask_b32_e32 v88, v118, v87, vcc
	v_cmp_gt_f64_e32 vcc, 0, v[119:120]
	v_mov_b32_e32 v87, v117
	v_cndmask_b32_e32 v96, v120, v95, vcc
	v_cmp_gt_f64_e32 vcc, 0, v[91:92]
	v_mov_b32_e32 v95, v119
	v_add_f64 v[87:88], v[87:88], v[95:96]
	v_xor_b32_e32 v95, 0x80000000, v92
	v_cndmask_b32_e32 v96, v92, v95, vcc
	v_cmp_gt_f64_e32 vcc, 0, v[93:94]
	v_mov_b32_e32 v95, v91
	v_cndmask_b32_e32 v98, v94, v97, vcc
	v_mov_b32_e32 v97, v93
	v_add_f64 v[95:96], v[95:96], v[97:98]
	v_cmp_lt_f64_e32 vcc, v[87:88], v[95:96]
	v_mov_b32_e32 v87, s0
	s_add_i32 s0, s0, 1
	s_cmp_lg_u32 s3, s0
	v_cndmask_b32_e32 v118, v118, v92, vcc
	v_cndmask_b32_e32 v117, v117, v91, vcc
	;; [unrolled: 1-line block ×5, first 2 shown]
	s_cbranch_scc1 .LBB118_904
.LBB118_905:
	s_waitcnt lgkmcnt(0)
	v_cmp_eq_f64_e32 vcc, 0, v[117:118]
	v_cmp_eq_f64_e64 s[0:1], 0, v[119:120]
	s_and_b64 s[0:1], vcc, s[0:1]
	s_and_saveexec_b64 s[18:19], s[0:1]
	s_xor_b64 s[0:1], exec, s[18:19]
; %bb.906:
	v_cmp_ne_u32_e32 vcc, 0, v90
	v_cndmask_b32_e32 v90, 44, v90, vcc
; %bb.907:
	s_andn2_saveexec_b64 s[0:1], s[0:1]
	s_cbranch_execz .LBB118_913
; %bb.908:
	v_cmp_ngt_f64_e64 s[18:19], |v[117:118]|, |v[119:120]|
	s_and_saveexec_b64 s[20:21], s[18:19]
	s_xor_b64 s[18:19], exec, s[20:21]
	s_cbranch_execz .LBB118_910
; %bb.909:
	v_div_scale_f64 v[86:87], s[20:21], v[119:120], v[119:120], v[117:118]
	v_rcp_f64_e32 v[91:92], v[86:87]
	v_fma_f64 v[93:94], -v[86:87], v[91:92], 1.0
	v_fma_f64 v[91:92], v[91:92], v[93:94], v[91:92]
	v_div_scale_f64 v[93:94], vcc, v[117:118], v[119:120], v[117:118]
	v_fma_f64 v[95:96], -v[86:87], v[91:92], 1.0
	v_fma_f64 v[91:92], v[91:92], v[95:96], v[91:92]
	v_mul_f64 v[95:96], v[93:94], v[91:92]
	v_fma_f64 v[86:87], -v[86:87], v[95:96], v[93:94]
	v_div_fmas_f64 v[86:87], v[86:87], v[91:92], v[95:96]
	v_div_fixup_f64 v[86:87], v[86:87], v[119:120], v[117:118]
	v_fma_f64 v[91:92], v[117:118], v[86:87], v[119:120]
	v_div_scale_f64 v[93:94], s[20:21], v[91:92], v[91:92], 1.0
	v_div_scale_f64 v[99:100], vcc, 1.0, v[91:92], 1.0
	v_rcp_f64_e32 v[95:96], v[93:94]
	v_fma_f64 v[97:98], -v[93:94], v[95:96], 1.0
	v_fma_f64 v[95:96], v[95:96], v[97:98], v[95:96]
	v_fma_f64 v[97:98], -v[93:94], v[95:96], 1.0
	v_fma_f64 v[95:96], v[95:96], v[97:98], v[95:96]
	v_mul_f64 v[97:98], v[99:100], v[95:96]
	v_fma_f64 v[93:94], -v[93:94], v[97:98], v[99:100]
	v_div_fmas_f64 v[93:94], v[93:94], v[95:96], v[97:98]
	v_div_fixup_f64 v[119:120], v[93:94], v[91:92], 1.0
	v_mul_f64 v[117:118], v[86:87], v[119:120]
	v_xor_b32_e32 v120, 0x80000000, v120
.LBB118_910:
	s_andn2_saveexec_b64 s[18:19], s[18:19]
	s_cbranch_execz .LBB118_912
; %bb.911:
	v_div_scale_f64 v[86:87], s[20:21], v[117:118], v[117:118], v[119:120]
	v_rcp_f64_e32 v[91:92], v[86:87]
	v_fma_f64 v[93:94], -v[86:87], v[91:92], 1.0
	v_fma_f64 v[91:92], v[91:92], v[93:94], v[91:92]
	v_div_scale_f64 v[93:94], vcc, v[119:120], v[117:118], v[119:120]
	v_fma_f64 v[95:96], -v[86:87], v[91:92], 1.0
	v_fma_f64 v[91:92], v[91:92], v[95:96], v[91:92]
	v_mul_f64 v[95:96], v[93:94], v[91:92]
	v_fma_f64 v[86:87], -v[86:87], v[95:96], v[93:94]
	v_div_fmas_f64 v[86:87], v[86:87], v[91:92], v[95:96]
	v_div_fixup_f64 v[86:87], v[86:87], v[117:118], v[119:120]
	v_fma_f64 v[91:92], v[119:120], v[86:87], v[117:118]
	v_div_scale_f64 v[93:94], s[20:21], v[91:92], v[91:92], 1.0
	v_div_scale_f64 v[99:100], vcc, 1.0, v[91:92], 1.0
	v_rcp_f64_e32 v[95:96], v[93:94]
	v_fma_f64 v[97:98], -v[93:94], v[95:96], 1.0
	v_fma_f64 v[95:96], v[95:96], v[97:98], v[95:96]
	v_fma_f64 v[97:98], -v[93:94], v[95:96], 1.0
	v_fma_f64 v[95:96], v[95:96], v[97:98], v[95:96]
	v_mul_f64 v[97:98], v[99:100], v[95:96]
	v_fma_f64 v[93:94], -v[93:94], v[97:98], v[99:100]
	v_div_fmas_f64 v[93:94], v[93:94], v[95:96], v[97:98]
	v_div_fixup_f64 v[117:118], v[93:94], v[91:92], 1.0
	v_mul_f64 v[119:120], v[86:87], -v[117:118]
.LBB118_912:
	s_or_b64 exec, exec, s[18:19]
.LBB118_913:
	s_or_b64 exec, exec, s[0:1]
	v_cmp_ne_u32_e32 vcc, v89, v85
	s_and_saveexec_b64 s[0:1], vcc
	s_xor_b64 s[0:1], exec, s[0:1]
	s_cbranch_execz .LBB118_919
; %bb.914:
	v_cmp_eq_u32_e32 vcc, 43, v89
	s_and_saveexec_b64 s[18:19], vcc
	s_cbranch_execz .LBB118_918
; %bb.915:
	v_cmp_ne_u32_e32 vcc, 43, v85
	s_xor_b64 s[20:21], s[6:7], -1
	s_and_b64 s[22:23], s[20:21], vcc
	s_and_saveexec_b64 s[20:21], s[22:23]
	s_cbranch_execz .LBB118_917
; %bb.916:
	v_ashrrev_i32_e32 v86, 31, v85
	v_lshlrev_b64 v[86:87], 2, v[85:86]
	v_add_co_u32_e32 v86, vcc, v107, v86
	v_addc_co_u32_e32 v87, vcc, v108, v87, vcc
	global_load_dword v88, v[86:87], off
	global_load_dword v89, v[107:108], off offset:172
	s_waitcnt vmcnt(1)
	global_store_dword v[107:108], v88, off offset:172
	s_waitcnt vmcnt(1)
	global_store_dword v[86:87], v89, off
.LBB118_917:
	s_or_b64 exec, exec, s[20:21]
	v_mov_b32_e32 v89, v85
	v_mov_b32_e32 v127, v85
.LBB118_918:
	s_or_b64 exec, exec, s[18:19]
.LBB118_919:
	s_andn2_saveexec_b64 s[0:1], s[0:1]
	s_cbranch_execz .LBB118_921
; %bb.920:
	v_mov_b32_e32 v89, 43
	ds_write2_b64 v0, v[57:58], v[59:60] offset0:88 offset1:89
	ds_write2_b64 v0, v[53:54], v[55:56] offset0:90 offset1:91
	;; [unrolled: 1-line block ×16, first 2 shown]
.LBB118_921:
	s_or_b64 exec, exec, s[0:1]
	v_cmp_lt_i32_e32 vcc, 43, v89
	s_waitcnt vmcnt(0) lgkmcnt(0)
	s_barrier
	s_and_saveexec_b64 s[0:1], vcc
	s_cbranch_execz .LBB118_923
; %bb.922:
	v_mul_f64 v[85:86], v[117:118], v[63:64]
	v_mul_f64 v[63:64], v[119:120], v[63:64]
	ds_read2_b64 v[91:94], v0 offset0:88 offset1:89
	v_fma_f64 v[85:86], v[119:120], v[61:62], v[85:86]
	v_fma_f64 v[61:62], v[117:118], v[61:62], -v[63:64]
	s_waitcnt lgkmcnt(0)
	v_mul_f64 v[63:64], v[93:94], v[85:86]
	v_mul_f64 v[87:88], v[91:92], v[85:86]
	v_fma_f64 v[63:64], v[91:92], v[61:62], -v[63:64]
	v_fma_f64 v[87:88], v[93:94], v[61:62], v[87:88]
	ds_read2_b64 v[91:94], v0 offset0:90 offset1:91
	v_add_f64 v[57:58], v[57:58], -v[63:64]
	v_add_f64 v[59:60], v[59:60], -v[87:88]
	s_waitcnt lgkmcnt(0)
	v_mul_f64 v[63:64], v[93:94], v[85:86]
	v_mul_f64 v[87:88], v[91:92], v[85:86]
	v_fma_f64 v[63:64], v[91:92], v[61:62], -v[63:64]
	v_fma_f64 v[87:88], v[93:94], v[61:62], v[87:88]
	ds_read2_b64 v[91:94], v0 offset0:92 offset1:93
	v_add_f64 v[53:54], v[53:54], -v[63:64]
	v_add_f64 v[55:56], v[55:56], -v[87:88]
	;; [unrolled: 8-line block ×15, first 2 shown]
	s_waitcnt lgkmcnt(0)
	v_mul_f64 v[63:64], v[93:94], v[85:86]
	v_mul_f64 v[87:88], v[91:92], v[85:86]
	v_fma_f64 v[63:64], v[91:92], v[61:62], -v[63:64]
	v_fma_f64 v[87:88], v[93:94], v[61:62], v[87:88]
	v_add_f64 v[121:122], v[121:122], -v[63:64]
	v_add_f64 v[123:124], v[123:124], -v[87:88]
	v_mov_b32_e32 v63, v85
	v_mov_b32_e32 v64, v86
.LBB118_923:
	s_or_b64 exec, exec, s[0:1]
	v_lshl_add_u32 v85, v89, 4, v0
	s_barrier
	ds_write2_b64 v85, v[57:58], v[59:60] offset1:1
	s_waitcnt lgkmcnt(0)
	s_barrier
	ds_read2_b64 v[117:120], v0 offset0:88 offset1:89
	s_cmp_lt_i32 s3, 46
	v_mov_b32_e32 v85, 44
	s_cbranch_scc1 .LBB118_926
; %bb.924:
	v_add_u32_e32 v86, 0x2d0, v0
	s_mov_b32 s0, 45
	v_mov_b32_e32 v85, 44
.LBB118_925:                            ; =>This Inner Loop Header: Depth=1
	s_waitcnt lgkmcnt(0)
	v_cmp_gt_f64_e32 vcc, 0, v[117:118]
	v_xor_b32_e32 v87, 0x80000000, v118
	ds_read2_b64 v[91:94], v86 offset1:1
	v_xor_b32_e32 v95, 0x80000000, v120
	v_add_u32_e32 v86, 16, v86
	s_waitcnt lgkmcnt(0)
	v_xor_b32_e32 v97, 0x80000000, v94
	v_cndmask_b32_e32 v88, v118, v87, vcc
	v_cmp_gt_f64_e32 vcc, 0, v[119:120]
	v_mov_b32_e32 v87, v117
	v_cndmask_b32_e32 v96, v120, v95, vcc
	v_cmp_gt_f64_e32 vcc, 0, v[91:92]
	v_mov_b32_e32 v95, v119
	v_add_f64 v[87:88], v[87:88], v[95:96]
	v_xor_b32_e32 v95, 0x80000000, v92
	v_cndmask_b32_e32 v96, v92, v95, vcc
	v_cmp_gt_f64_e32 vcc, 0, v[93:94]
	v_mov_b32_e32 v95, v91
	v_cndmask_b32_e32 v98, v94, v97, vcc
	v_mov_b32_e32 v97, v93
	v_add_f64 v[95:96], v[95:96], v[97:98]
	v_cmp_lt_f64_e32 vcc, v[87:88], v[95:96]
	v_mov_b32_e32 v87, s0
	s_add_i32 s0, s0, 1
	s_cmp_lg_u32 s3, s0
	v_cndmask_b32_e32 v118, v118, v92, vcc
	v_cndmask_b32_e32 v117, v117, v91, vcc
	;; [unrolled: 1-line block ×5, first 2 shown]
	s_cbranch_scc1 .LBB118_925
.LBB118_926:
	s_waitcnt lgkmcnt(0)
	v_cmp_eq_f64_e32 vcc, 0, v[117:118]
	v_cmp_eq_f64_e64 s[0:1], 0, v[119:120]
	s_and_b64 s[0:1], vcc, s[0:1]
	s_and_saveexec_b64 s[18:19], s[0:1]
	s_xor_b64 s[0:1], exec, s[18:19]
; %bb.927:
	v_cmp_ne_u32_e32 vcc, 0, v90
	v_cndmask_b32_e32 v90, 45, v90, vcc
; %bb.928:
	s_andn2_saveexec_b64 s[0:1], s[0:1]
	s_cbranch_execz .LBB118_934
; %bb.929:
	v_cmp_ngt_f64_e64 s[18:19], |v[117:118]|, |v[119:120]|
	s_and_saveexec_b64 s[20:21], s[18:19]
	s_xor_b64 s[18:19], exec, s[20:21]
	s_cbranch_execz .LBB118_931
; %bb.930:
	v_div_scale_f64 v[86:87], s[20:21], v[119:120], v[119:120], v[117:118]
	v_rcp_f64_e32 v[91:92], v[86:87]
	v_fma_f64 v[93:94], -v[86:87], v[91:92], 1.0
	v_fma_f64 v[91:92], v[91:92], v[93:94], v[91:92]
	v_div_scale_f64 v[93:94], vcc, v[117:118], v[119:120], v[117:118]
	v_fma_f64 v[95:96], -v[86:87], v[91:92], 1.0
	v_fma_f64 v[91:92], v[91:92], v[95:96], v[91:92]
	v_mul_f64 v[95:96], v[93:94], v[91:92]
	v_fma_f64 v[86:87], -v[86:87], v[95:96], v[93:94]
	v_div_fmas_f64 v[86:87], v[86:87], v[91:92], v[95:96]
	v_div_fixup_f64 v[86:87], v[86:87], v[119:120], v[117:118]
	v_fma_f64 v[91:92], v[117:118], v[86:87], v[119:120]
	v_div_scale_f64 v[93:94], s[20:21], v[91:92], v[91:92], 1.0
	v_div_scale_f64 v[99:100], vcc, 1.0, v[91:92], 1.0
	v_rcp_f64_e32 v[95:96], v[93:94]
	v_fma_f64 v[97:98], -v[93:94], v[95:96], 1.0
	v_fma_f64 v[95:96], v[95:96], v[97:98], v[95:96]
	v_fma_f64 v[97:98], -v[93:94], v[95:96], 1.0
	v_fma_f64 v[95:96], v[95:96], v[97:98], v[95:96]
	v_mul_f64 v[97:98], v[99:100], v[95:96]
	v_fma_f64 v[93:94], -v[93:94], v[97:98], v[99:100]
	v_div_fmas_f64 v[93:94], v[93:94], v[95:96], v[97:98]
	v_div_fixup_f64 v[119:120], v[93:94], v[91:92], 1.0
	v_mul_f64 v[117:118], v[86:87], v[119:120]
	v_xor_b32_e32 v120, 0x80000000, v120
.LBB118_931:
	s_andn2_saveexec_b64 s[18:19], s[18:19]
	s_cbranch_execz .LBB118_933
; %bb.932:
	v_div_scale_f64 v[86:87], s[20:21], v[117:118], v[117:118], v[119:120]
	v_rcp_f64_e32 v[91:92], v[86:87]
	v_fma_f64 v[93:94], -v[86:87], v[91:92], 1.0
	v_fma_f64 v[91:92], v[91:92], v[93:94], v[91:92]
	v_div_scale_f64 v[93:94], vcc, v[119:120], v[117:118], v[119:120]
	v_fma_f64 v[95:96], -v[86:87], v[91:92], 1.0
	v_fma_f64 v[91:92], v[91:92], v[95:96], v[91:92]
	v_mul_f64 v[95:96], v[93:94], v[91:92]
	v_fma_f64 v[86:87], -v[86:87], v[95:96], v[93:94]
	v_div_fmas_f64 v[86:87], v[86:87], v[91:92], v[95:96]
	v_div_fixup_f64 v[86:87], v[86:87], v[117:118], v[119:120]
	v_fma_f64 v[91:92], v[119:120], v[86:87], v[117:118]
	v_div_scale_f64 v[93:94], s[20:21], v[91:92], v[91:92], 1.0
	v_div_scale_f64 v[99:100], vcc, 1.0, v[91:92], 1.0
	v_rcp_f64_e32 v[95:96], v[93:94]
	v_fma_f64 v[97:98], -v[93:94], v[95:96], 1.0
	v_fma_f64 v[95:96], v[95:96], v[97:98], v[95:96]
	v_fma_f64 v[97:98], -v[93:94], v[95:96], 1.0
	v_fma_f64 v[95:96], v[95:96], v[97:98], v[95:96]
	v_mul_f64 v[97:98], v[99:100], v[95:96]
	v_fma_f64 v[93:94], -v[93:94], v[97:98], v[99:100]
	v_div_fmas_f64 v[93:94], v[93:94], v[95:96], v[97:98]
	v_div_fixup_f64 v[117:118], v[93:94], v[91:92], 1.0
	v_mul_f64 v[119:120], v[86:87], -v[117:118]
.LBB118_933:
	s_or_b64 exec, exec, s[18:19]
.LBB118_934:
	s_or_b64 exec, exec, s[0:1]
	v_cmp_ne_u32_e32 vcc, v89, v85
	s_and_saveexec_b64 s[0:1], vcc
	s_xor_b64 s[0:1], exec, s[0:1]
	s_cbranch_execz .LBB118_940
; %bb.935:
	v_cmp_eq_u32_e32 vcc, 44, v89
	s_and_saveexec_b64 s[18:19], vcc
	s_cbranch_execz .LBB118_939
; %bb.936:
	v_cmp_ne_u32_e32 vcc, 44, v85
	s_xor_b64 s[20:21], s[6:7], -1
	s_and_b64 s[22:23], s[20:21], vcc
	s_and_saveexec_b64 s[20:21], s[22:23]
	s_cbranch_execz .LBB118_938
; %bb.937:
	v_ashrrev_i32_e32 v86, 31, v85
	v_lshlrev_b64 v[86:87], 2, v[85:86]
	v_add_co_u32_e32 v86, vcc, v107, v86
	v_addc_co_u32_e32 v87, vcc, v108, v87, vcc
	global_load_dword v88, v[86:87], off
	global_load_dword v89, v[107:108], off offset:176
	s_waitcnt vmcnt(1)
	global_store_dword v[107:108], v88, off offset:176
	s_waitcnt vmcnt(1)
	global_store_dword v[86:87], v89, off
.LBB118_938:
	s_or_b64 exec, exec, s[20:21]
	v_mov_b32_e32 v89, v85
	v_mov_b32_e32 v127, v85
.LBB118_939:
	s_or_b64 exec, exec, s[18:19]
.LBB118_940:
	s_andn2_saveexec_b64 s[0:1], s[0:1]
	s_cbranch_execz .LBB118_942
; %bb.941:
	v_mov_b32_e32 v89, 44
	ds_write2_b64 v0, v[53:54], v[55:56] offset0:90 offset1:91
	ds_write2_b64 v0, v[49:50], v[51:52] offset0:92 offset1:93
	;; [unrolled: 1-line block ×15, first 2 shown]
.LBB118_942:
	s_or_b64 exec, exec, s[0:1]
	v_cmp_lt_i32_e32 vcc, 44, v89
	s_waitcnt vmcnt(0) lgkmcnt(0)
	s_barrier
	s_and_saveexec_b64 s[0:1], vcc
	s_cbranch_execz .LBB118_944
; %bb.943:
	v_mul_f64 v[85:86], v[117:118], v[59:60]
	v_mul_f64 v[59:60], v[119:120], v[59:60]
	ds_read2_b64 v[91:94], v0 offset0:90 offset1:91
	v_fma_f64 v[85:86], v[119:120], v[57:58], v[85:86]
	v_fma_f64 v[57:58], v[117:118], v[57:58], -v[59:60]
	s_waitcnt lgkmcnt(0)
	v_mul_f64 v[59:60], v[93:94], v[85:86]
	v_mul_f64 v[87:88], v[91:92], v[85:86]
	v_fma_f64 v[59:60], v[91:92], v[57:58], -v[59:60]
	v_fma_f64 v[87:88], v[93:94], v[57:58], v[87:88]
	ds_read2_b64 v[91:94], v0 offset0:92 offset1:93
	v_add_f64 v[53:54], v[53:54], -v[59:60]
	v_add_f64 v[55:56], v[55:56], -v[87:88]
	s_waitcnt lgkmcnt(0)
	v_mul_f64 v[59:60], v[93:94], v[85:86]
	v_mul_f64 v[87:88], v[91:92], v[85:86]
	v_fma_f64 v[59:60], v[91:92], v[57:58], -v[59:60]
	v_fma_f64 v[87:88], v[93:94], v[57:58], v[87:88]
	ds_read2_b64 v[91:94], v0 offset0:94 offset1:95
	v_add_f64 v[49:50], v[49:50], -v[59:60]
	v_add_f64 v[51:52], v[51:52], -v[87:88]
	;; [unrolled: 8-line block ×14, first 2 shown]
	s_waitcnt lgkmcnt(0)
	v_mul_f64 v[59:60], v[93:94], v[85:86]
	v_mul_f64 v[87:88], v[91:92], v[85:86]
	v_fma_f64 v[59:60], v[91:92], v[57:58], -v[59:60]
	v_fma_f64 v[87:88], v[93:94], v[57:58], v[87:88]
	v_add_f64 v[121:122], v[121:122], -v[59:60]
	v_add_f64 v[123:124], v[123:124], -v[87:88]
	v_mov_b32_e32 v59, v85
	v_mov_b32_e32 v60, v86
.LBB118_944:
	s_or_b64 exec, exec, s[0:1]
	v_lshl_add_u32 v85, v89, 4, v0
	s_barrier
	ds_write2_b64 v85, v[53:54], v[55:56] offset1:1
	s_waitcnt lgkmcnt(0)
	s_barrier
	ds_read2_b64 v[117:120], v0 offset0:90 offset1:91
	s_cmp_lt_i32 s3, 47
	v_mov_b32_e32 v85, 45
	s_cbranch_scc1 .LBB118_947
; %bb.945:
	v_add_u32_e32 v86, 0x2e0, v0
	s_mov_b32 s0, 46
	v_mov_b32_e32 v85, 45
.LBB118_946:                            ; =>This Inner Loop Header: Depth=1
	s_waitcnt lgkmcnt(0)
	v_cmp_gt_f64_e32 vcc, 0, v[117:118]
	v_xor_b32_e32 v87, 0x80000000, v118
	ds_read2_b64 v[91:94], v86 offset1:1
	v_xor_b32_e32 v95, 0x80000000, v120
	v_add_u32_e32 v86, 16, v86
	s_waitcnt lgkmcnt(0)
	v_xor_b32_e32 v97, 0x80000000, v94
	v_cndmask_b32_e32 v88, v118, v87, vcc
	v_cmp_gt_f64_e32 vcc, 0, v[119:120]
	v_mov_b32_e32 v87, v117
	v_cndmask_b32_e32 v96, v120, v95, vcc
	v_cmp_gt_f64_e32 vcc, 0, v[91:92]
	v_mov_b32_e32 v95, v119
	v_add_f64 v[87:88], v[87:88], v[95:96]
	v_xor_b32_e32 v95, 0x80000000, v92
	v_cndmask_b32_e32 v96, v92, v95, vcc
	v_cmp_gt_f64_e32 vcc, 0, v[93:94]
	v_mov_b32_e32 v95, v91
	v_cndmask_b32_e32 v98, v94, v97, vcc
	v_mov_b32_e32 v97, v93
	v_add_f64 v[95:96], v[95:96], v[97:98]
	v_cmp_lt_f64_e32 vcc, v[87:88], v[95:96]
	v_mov_b32_e32 v87, s0
	s_add_i32 s0, s0, 1
	s_cmp_lg_u32 s3, s0
	v_cndmask_b32_e32 v118, v118, v92, vcc
	v_cndmask_b32_e32 v117, v117, v91, vcc
	;; [unrolled: 1-line block ×5, first 2 shown]
	s_cbranch_scc1 .LBB118_946
.LBB118_947:
	s_waitcnt lgkmcnt(0)
	v_cmp_eq_f64_e32 vcc, 0, v[117:118]
	v_cmp_eq_f64_e64 s[0:1], 0, v[119:120]
	s_and_b64 s[0:1], vcc, s[0:1]
	s_and_saveexec_b64 s[18:19], s[0:1]
	s_xor_b64 s[0:1], exec, s[18:19]
; %bb.948:
	v_cmp_ne_u32_e32 vcc, 0, v90
	v_cndmask_b32_e32 v90, 46, v90, vcc
; %bb.949:
	s_andn2_saveexec_b64 s[0:1], s[0:1]
	s_cbranch_execz .LBB118_955
; %bb.950:
	v_cmp_ngt_f64_e64 s[18:19], |v[117:118]|, |v[119:120]|
	s_and_saveexec_b64 s[20:21], s[18:19]
	s_xor_b64 s[18:19], exec, s[20:21]
	s_cbranch_execz .LBB118_952
; %bb.951:
	v_div_scale_f64 v[86:87], s[20:21], v[119:120], v[119:120], v[117:118]
	v_rcp_f64_e32 v[91:92], v[86:87]
	v_fma_f64 v[93:94], -v[86:87], v[91:92], 1.0
	v_fma_f64 v[91:92], v[91:92], v[93:94], v[91:92]
	v_div_scale_f64 v[93:94], vcc, v[117:118], v[119:120], v[117:118]
	v_fma_f64 v[95:96], -v[86:87], v[91:92], 1.0
	v_fma_f64 v[91:92], v[91:92], v[95:96], v[91:92]
	v_mul_f64 v[95:96], v[93:94], v[91:92]
	v_fma_f64 v[86:87], -v[86:87], v[95:96], v[93:94]
	v_div_fmas_f64 v[86:87], v[86:87], v[91:92], v[95:96]
	v_div_fixup_f64 v[86:87], v[86:87], v[119:120], v[117:118]
	v_fma_f64 v[91:92], v[117:118], v[86:87], v[119:120]
	v_div_scale_f64 v[93:94], s[20:21], v[91:92], v[91:92], 1.0
	v_div_scale_f64 v[99:100], vcc, 1.0, v[91:92], 1.0
	v_rcp_f64_e32 v[95:96], v[93:94]
	v_fma_f64 v[97:98], -v[93:94], v[95:96], 1.0
	v_fma_f64 v[95:96], v[95:96], v[97:98], v[95:96]
	v_fma_f64 v[97:98], -v[93:94], v[95:96], 1.0
	v_fma_f64 v[95:96], v[95:96], v[97:98], v[95:96]
	v_mul_f64 v[97:98], v[99:100], v[95:96]
	v_fma_f64 v[93:94], -v[93:94], v[97:98], v[99:100]
	v_div_fmas_f64 v[93:94], v[93:94], v[95:96], v[97:98]
	v_div_fixup_f64 v[119:120], v[93:94], v[91:92], 1.0
	v_mul_f64 v[117:118], v[86:87], v[119:120]
	v_xor_b32_e32 v120, 0x80000000, v120
.LBB118_952:
	s_andn2_saveexec_b64 s[18:19], s[18:19]
	s_cbranch_execz .LBB118_954
; %bb.953:
	v_div_scale_f64 v[86:87], s[20:21], v[117:118], v[117:118], v[119:120]
	v_rcp_f64_e32 v[91:92], v[86:87]
	v_fma_f64 v[93:94], -v[86:87], v[91:92], 1.0
	v_fma_f64 v[91:92], v[91:92], v[93:94], v[91:92]
	v_div_scale_f64 v[93:94], vcc, v[119:120], v[117:118], v[119:120]
	v_fma_f64 v[95:96], -v[86:87], v[91:92], 1.0
	v_fma_f64 v[91:92], v[91:92], v[95:96], v[91:92]
	v_mul_f64 v[95:96], v[93:94], v[91:92]
	v_fma_f64 v[86:87], -v[86:87], v[95:96], v[93:94]
	v_div_fmas_f64 v[86:87], v[86:87], v[91:92], v[95:96]
	v_div_fixup_f64 v[86:87], v[86:87], v[117:118], v[119:120]
	v_fma_f64 v[91:92], v[119:120], v[86:87], v[117:118]
	v_div_scale_f64 v[93:94], s[20:21], v[91:92], v[91:92], 1.0
	v_div_scale_f64 v[99:100], vcc, 1.0, v[91:92], 1.0
	v_rcp_f64_e32 v[95:96], v[93:94]
	v_fma_f64 v[97:98], -v[93:94], v[95:96], 1.0
	v_fma_f64 v[95:96], v[95:96], v[97:98], v[95:96]
	v_fma_f64 v[97:98], -v[93:94], v[95:96], 1.0
	v_fma_f64 v[95:96], v[95:96], v[97:98], v[95:96]
	v_mul_f64 v[97:98], v[99:100], v[95:96]
	v_fma_f64 v[93:94], -v[93:94], v[97:98], v[99:100]
	v_div_fmas_f64 v[93:94], v[93:94], v[95:96], v[97:98]
	v_div_fixup_f64 v[117:118], v[93:94], v[91:92], 1.0
	v_mul_f64 v[119:120], v[86:87], -v[117:118]
.LBB118_954:
	s_or_b64 exec, exec, s[18:19]
.LBB118_955:
	s_or_b64 exec, exec, s[0:1]
	v_cmp_ne_u32_e32 vcc, v89, v85
	s_and_saveexec_b64 s[0:1], vcc
	s_xor_b64 s[0:1], exec, s[0:1]
	s_cbranch_execz .LBB118_961
; %bb.956:
	v_cmp_eq_u32_e32 vcc, 45, v89
	s_and_saveexec_b64 s[18:19], vcc
	s_cbranch_execz .LBB118_960
; %bb.957:
	v_cmp_ne_u32_e32 vcc, 45, v85
	s_xor_b64 s[20:21], s[6:7], -1
	s_and_b64 s[22:23], s[20:21], vcc
	s_and_saveexec_b64 s[20:21], s[22:23]
	s_cbranch_execz .LBB118_959
; %bb.958:
	v_ashrrev_i32_e32 v86, 31, v85
	v_lshlrev_b64 v[86:87], 2, v[85:86]
	v_add_co_u32_e32 v86, vcc, v107, v86
	v_addc_co_u32_e32 v87, vcc, v108, v87, vcc
	global_load_dword v88, v[86:87], off
	global_load_dword v89, v[107:108], off offset:180
	s_waitcnt vmcnt(1)
	global_store_dword v[107:108], v88, off offset:180
	s_waitcnt vmcnt(1)
	global_store_dword v[86:87], v89, off
.LBB118_959:
	s_or_b64 exec, exec, s[20:21]
	v_mov_b32_e32 v89, v85
	v_mov_b32_e32 v127, v85
.LBB118_960:
	s_or_b64 exec, exec, s[18:19]
.LBB118_961:
	s_andn2_saveexec_b64 s[0:1], s[0:1]
	s_cbranch_execz .LBB118_963
; %bb.962:
	v_mov_b32_e32 v89, 45
	ds_write2_b64 v0, v[49:50], v[51:52] offset0:92 offset1:93
	ds_write2_b64 v0, v[45:46], v[47:48] offset0:94 offset1:95
	;; [unrolled: 1-line block ×14, first 2 shown]
.LBB118_963:
	s_or_b64 exec, exec, s[0:1]
	v_cmp_lt_i32_e32 vcc, 45, v89
	s_waitcnt vmcnt(0) lgkmcnt(0)
	s_barrier
	s_and_saveexec_b64 s[0:1], vcc
	s_cbranch_execz .LBB118_965
; %bb.964:
	v_mul_f64 v[85:86], v[117:118], v[55:56]
	v_mul_f64 v[55:56], v[119:120], v[55:56]
	ds_read2_b64 v[91:94], v0 offset0:92 offset1:93
	v_fma_f64 v[85:86], v[119:120], v[53:54], v[85:86]
	v_fma_f64 v[53:54], v[117:118], v[53:54], -v[55:56]
	s_waitcnt lgkmcnt(0)
	v_mul_f64 v[55:56], v[93:94], v[85:86]
	v_mul_f64 v[87:88], v[91:92], v[85:86]
	v_fma_f64 v[55:56], v[91:92], v[53:54], -v[55:56]
	v_fma_f64 v[87:88], v[93:94], v[53:54], v[87:88]
	ds_read2_b64 v[91:94], v0 offset0:94 offset1:95
	v_add_f64 v[49:50], v[49:50], -v[55:56]
	v_add_f64 v[51:52], v[51:52], -v[87:88]
	s_waitcnt lgkmcnt(0)
	v_mul_f64 v[55:56], v[93:94], v[85:86]
	v_mul_f64 v[87:88], v[91:92], v[85:86]
	v_fma_f64 v[55:56], v[91:92], v[53:54], -v[55:56]
	v_fma_f64 v[87:88], v[93:94], v[53:54], v[87:88]
	ds_read2_b64 v[91:94], v0 offset0:96 offset1:97
	v_add_f64 v[45:46], v[45:46], -v[55:56]
	v_add_f64 v[47:48], v[47:48], -v[87:88]
	;; [unrolled: 8-line block ×13, first 2 shown]
	s_waitcnt lgkmcnt(0)
	v_mul_f64 v[55:56], v[93:94], v[85:86]
	v_mul_f64 v[87:88], v[91:92], v[85:86]
	v_fma_f64 v[55:56], v[91:92], v[53:54], -v[55:56]
	v_fma_f64 v[87:88], v[93:94], v[53:54], v[87:88]
	v_add_f64 v[121:122], v[121:122], -v[55:56]
	v_add_f64 v[123:124], v[123:124], -v[87:88]
	v_mov_b32_e32 v55, v85
	v_mov_b32_e32 v56, v86
.LBB118_965:
	s_or_b64 exec, exec, s[0:1]
	v_lshl_add_u32 v85, v89, 4, v0
	s_barrier
	ds_write2_b64 v85, v[49:50], v[51:52] offset1:1
	s_waitcnt lgkmcnt(0)
	s_barrier
	ds_read2_b64 v[117:120], v0 offset0:92 offset1:93
	s_cmp_lt_i32 s3, 48
	v_mov_b32_e32 v85, 46
	s_cbranch_scc1 .LBB118_968
; %bb.966:
	v_add_u32_e32 v86, 0x2f0, v0
	s_mov_b32 s0, 47
	v_mov_b32_e32 v85, 46
.LBB118_967:                            ; =>This Inner Loop Header: Depth=1
	s_waitcnt lgkmcnt(0)
	v_cmp_gt_f64_e32 vcc, 0, v[117:118]
	v_xor_b32_e32 v87, 0x80000000, v118
	ds_read2_b64 v[91:94], v86 offset1:1
	v_xor_b32_e32 v95, 0x80000000, v120
	v_add_u32_e32 v86, 16, v86
	s_waitcnt lgkmcnt(0)
	v_xor_b32_e32 v97, 0x80000000, v94
	v_cndmask_b32_e32 v88, v118, v87, vcc
	v_cmp_gt_f64_e32 vcc, 0, v[119:120]
	v_mov_b32_e32 v87, v117
	v_cndmask_b32_e32 v96, v120, v95, vcc
	v_cmp_gt_f64_e32 vcc, 0, v[91:92]
	v_mov_b32_e32 v95, v119
	v_add_f64 v[87:88], v[87:88], v[95:96]
	v_xor_b32_e32 v95, 0x80000000, v92
	v_cndmask_b32_e32 v96, v92, v95, vcc
	v_cmp_gt_f64_e32 vcc, 0, v[93:94]
	v_mov_b32_e32 v95, v91
	v_cndmask_b32_e32 v98, v94, v97, vcc
	v_mov_b32_e32 v97, v93
	v_add_f64 v[95:96], v[95:96], v[97:98]
	v_cmp_lt_f64_e32 vcc, v[87:88], v[95:96]
	v_mov_b32_e32 v87, s0
	s_add_i32 s0, s0, 1
	s_cmp_lg_u32 s3, s0
	v_cndmask_b32_e32 v118, v118, v92, vcc
	v_cndmask_b32_e32 v117, v117, v91, vcc
	;; [unrolled: 1-line block ×5, first 2 shown]
	s_cbranch_scc1 .LBB118_967
.LBB118_968:
	s_waitcnt lgkmcnt(0)
	v_cmp_eq_f64_e32 vcc, 0, v[117:118]
	v_cmp_eq_f64_e64 s[0:1], 0, v[119:120]
	s_and_b64 s[0:1], vcc, s[0:1]
	s_and_saveexec_b64 s[18:19], s[0:1]
	s_xor_b64 s[0:1], exec, s[18:19]
; %bb.969:
	v_cmp_ne_u32_e32 vcc, 0, v90
	v_cndmask_b32_e32 v90, 47, v90, vcc
; %bb.970:
	s_andn2_saveexec_b64 s[0:1], s[0:1]
	s_cbranch_execz .LBB118_976
; %bb.971:
	v_cmp_ngt_f64_e64 s[18:19], |v[117:118]|, |v[119:120]|
	s_and_saveexec_b64 s[20:21], s[18:19]
	s_xor_b64 s[18:19], exec, s[20:21]
	s_cbranch_execz .LBB118_973
; %bb.972:
	v_div_scale_f64 v[86:87], s[20:21], v[119:120], v[119:120], v[117:118]
	v_rcp_f64_e32 v[91:92], v[86:87]
	v_fma_f64 v[93:94], -v[86:87], v[91:92], 1.0
	v_fma_f64 v[91:92], v[91:92], v[93:94], v[91:92]
	v_div_scale_f64 v[93:94], vcc, v[117:118], v[119:120], v[117:118]
	v_fma_f64 v[95:96], -v[86:87], v[91:92], 1.0
	v_fma_f64 v[91:92], v[91:92], v[95:96], v[91:92]
	v_mul_f64 v[95:96], v[93:94], v[91:92]
	v_fma_f64 v[86:87], -v[86:87], v[95:96], v[93:94]
	v_div_fmas_f64 v[86:87], v[86:87], v[91:92], v[95:96]
	v_div_fixup_f64 v[86:87], v[86:87], v[119:120], v[117:118]
	v_fma_f64 v[91:92], v[117:118], v[86:87], v[119:120]
	v_div_scale_f64 v[93:94], s[20:21], v[91:92], v[91:92], 1.0
	v_div_scale_f64 v[99:100], vcc, 1.0, v[91:92], 1.0
	v_rcp_f64_e32 v[95:96], v[93:94]
	v_fma_f64 v[97:98], -v[93:94], v[95:96], 1.0
	v_fma_f64 v[95:96], v[95:96], v[97:98], v[95:96]
	v_fma_f64 v[97:98], -v[93:94], v[95:96], 1.0
	v_fma_f64 v[95:96], v[95:96], v[97:98], v[95:96]
	v_mul_f64 v[97:98], v[99:100], v[95:96]
	v_fma_f64 v[93:94], -v[93:94], v[97:98], v[99:100]
	v_div_fmas_f64 v[93:94], v[93:94], v[95:96], v[97:98]
	v_div_fixup_f64 v[119:120], v[93:94], v[91:92], 1.0
	v_mul_f64 v[117:118], v[86:87], v[119:120]
	v_xor_b32_e32 v120, 0x80000000, v120
.LBB118_973:
	s_andn2_saveexec_b64 s[18:19], s[18:19]
	s_cbranch_execz .LBB118_975
; %bb.974:
	v_div_scale_f64 v[86:87], s[20:21], v[117:118], v[117:118], v[119:120]
	v_rcp_f64_e32 v[91:92], v[86:87]
	v_fma_f64 v[93:94], -v[86:87], v[91:92], 1.0
	v_fma_f64 v[91:92], v[91:92], v[93:94], v[91:92]
	v_div_scale_f64 v[93:94], vcc, v[119:120], v[117:118], v[119:120]
	v_fma_f64 v[95:96], -v[86:87], v[91:92], 1.0
	v_fma_f64 v[91:92], v[91:92], v[95:96], v[91:92]
	v_mul_f64 v[95:96], v[93:94], v[91:92]
	v_fma_f64 v[86:87], -v[86:87], v[95:96], v[93:94]
	v_div_fmas_f64 v[86:87], v[86:87], v[91:92], v[95:96]
	v_div_fixup_f64 v[86:87], v[86:87], v[117:118], v[119:120]
	v_fma_f64 v[91:92], v[119:120], v[86:87], v[117:118]
	v_div_scale_f64 v[93:94], s[20:21], v[91:92], v[91:92], 1.0
	v_div_scale_f64 v[99:100], vcc, 1.0, v[91:92], 1.0
	v_rcp_f64_e32 v[95:96], v[93:94]
	v_fma_f64 v[97:98], -v[93:94], v[95:96], 1.0
	v_fma_f64 v[95:96], v[95:96], v[97:98], v[95:96]
	v_fma_f64 v[97:98], -v[93:94], v[95:96], 1.0
	v_fma_f64 v[95:96], v[95:96], v[97:98], v[95:96]
	v_mul_f64 v[97:98], v[99:100], v[95:96]
	v_fma_f64 v[93:94], -v[93:94], v[97:98], v[99:100]
	v_div_fmas_f64 v[93:94], v[93:94], v[95:96], v[97:98]
	v_div_fixup_f64 v[117:118], v[93:94], v[91:92], 1.0
	v_mul_f64 v[119:120], v[86:87], -v[117:118]
.LBB118_975:
	s_or_b64 exec, exec, s[18:19]
.LBB118_976:
	s_or_b64 exec, exec, s[0:1]
	v_cmp_ne_u32_e32 vcc, v89, v85
	s_and_saveexec_b64 s[0:1], vcc
	s_xor_b64 s[0:1], exec, s[0:1]
	s_cbranch_execz .LBB118_982
; %bb.977:
	v_cmp_eq_u32_e32 vcc, 46, v89
	s_and_saveexec_b64 s[18:19], vcc
	s_cbranch_execz .LBB118_981
; %bb.978:
	v_cmp_ne_u32_e32 vcc, 46, v85
	s_xor_b64 s[20:21], s[6:7], -1
	s_and_b64 s[22:23], s[20:21], vcc
	s_and_saveexec_b64 s[20:21], s[22:23]
	s_cbranch_execz .LBB118_980
; %bb.979:
	v_ashrrev_i32_e32 v86, 31, v85
	v_lshlrev_b64 v[86:87], 2, v[85:86]
	v_add_co_u32_e32 v86, vcc, v107, v86
	v_addc_co_u32_e32 v87, vcc, v108, v87, vcc
	global_load_dword v88, v[86:87], off
	global_load_dword v89, v[107:108], off offset:184
	s_waitcnt vmcnt(1)
	global_store_dword v[107:108], v88, off offset:184
	s_waitcnt vmcnt(1)
	global_store_dword v[86:87], v89, off
.LBB118_980:
	s_or_b64 exec, exec, s[20:21]
	v_mov_b32_e32 v89, v85
	v_mov_b32_e32 v127, v85
.LBB118_981:
	s_or_b64 exec, exec, s[18:19]
.LBB118_982:
	s_andn2_saveexec_b64 s[0:1], s[0:1]
	s_cbranch_execz .LBB118_984
; %bb.983:
	v_mov_b32_e32 v89, 46
	ds_write2_b64 v0, v[45:46], v[47:48] offset0:94 offset1:95
	ds_write2_b64 v0, v[41:42], v[43:44] offset0:96 offset1:97
	;; [unrolled: 1-line block ×13, first 2 shown]
.LBB118_984:
	s_or_b64 exec, exec, s[0:1]
	v_cmp_lt_i32_e32 vcc, 46, v89
	s_waitcnt vmcnt(0) lgkmcnt(0)
	s_barrier
	s_and_saveexec_b64 s[0:1], vcc
	s_cbranch_execz .LBB118_986
; %bb.985:
	v_mul_f64 v[85:86], v[117:118], v[51:52]
	v_mul_f64 v[51:52], v[119:120], v[51:52]
	ds_read2_b64 v[91:94], v0 offset0:94 offset1:95
	v_fma_f64 v[85:86], v[119:120], v[49:50], v[85:86]
	v_fma_f64 v[49:50], v[117:118], v[49:50], -v[51:52]
	s_waitcnt lgkmcnt(0)
	v_mul_f64 v[51:52], v[93:94], v[85:86]
	v_mul_f64 v[87:88], v[91:92], v[85:86]
	v_fma_f64 v[51:52], v[91:92], v[49:50], -v[51:52]
	v_fma_f64 v[87:88], v[93:94], v[49:50], v[87:88]
	ds_read2_b64 v[91:94], v0 offset0:96 offset1:97
	v_add_f64 v[45:46], v[45:46], -v[51:52]
	v_add_f64 v[47:48], v[47:48], -v[87:88]
	s_waitcnt lgkmcnt(0)
	v_mul_f64 v[51:52], v[93:94], v[85:86]
	v_mul_f64 v[87:88], v[91:92], v[85:86]
	v_fma_f64 v[51:52], v[91:92], v[49:50], -v[51:52]
	v_fma_f64 v[87:88], v[93:94], v[49:50], v[87:88]
	ds_read2_b64 v[91:94], v0 offset0:98 offset1:99
	v_add_f64 v[41:42], v[41:42], -v[51:52]
	v_add_f64 v[43:44], v[43:44], -v[87:88]
	;; [unrolled: 8-line block ×12, first 2 shown]
	s_waitcnt lgkmcnt(0)
	v_mul_f64 v[51:52], v[93:94], v[85:86]
	v_mul_f64 v[87:88], v[91:92], v[85:86]
	v_fma_f64 v[51:52], v[91:92], v[49:50], -v[51:52]
	v_fma_f64 v[87:88], v[93:94], v[49:50], v[87:88]
	v_add_f64 v[121:122], v[121:122], -v[51:52]
	v_add_f64 v[123:124], v[123:124], -v[87:88]
	v_mov_b32_e32 v51, v85
	v_mov_b32_e32 v52, v86
.LBB118_986:
	s_or_b64 exec, exec, s[0:1]
	v_lshl_add_u32 v85, v89, 4, v0
	s_barrier
	ds_write2_b64 v85, v[45:46], v[47:48] offset1:1
	s_waitcnt lgkmcnt(0)
	s_barrier
	ds_read2_b64 v[117:120], v0 offset0:94 offset1:95
	s_cmp_lt_i32 s3, 49
	v_mov_b32_e32 v85, 47
	s_cbranch_scc1 .LBB118_989
; %bb.987:
	v_add_u32_e32 v86, 0x300, v0
	s_mov_b32 s0, 48
	v_mov_b32_e32 v85, 47
.LBB118_988:                            ; =>This Inner Loop Header: Depth=1
	s_waitcnt lgkmcnt(0)
	v_cmp_gt_f64_e32 vcc, 0, v[117:118]
	v_xor_b32_e32 v87, 0x80000000, v118
	ds_read2_b64 v[91:94], v86 offset1:1
	v_xor_b32_e32 v95, 0x80000000, v120
	v_add_u32_e32 v86, 16, v86
	s_waitcnt lgkmcnt(0)
	v_xor_b32_e32 v97, 0x80000000, v94
	v_cndmask_b32_e32 v88, v118, v87, vcc
	v_cmp_gt_f64_e32 vcc, 0, v[119:120]
	v_mov_b32_e32 v87, v117
	v_cndmask_b32_e32 v96, v120, v95, vcc
	v_cmp_gt_f64_e32 vcc, 0, v[91:92]
	v_mov_b32_e32 v95, v119
	v_add_f64 v[87:88], v[87:88], v[95:96]
	v_xor_b32_e32 v95, 0x80000000, v92
	v_cndmask_b32_e32 v96, v92, v95, vcc
	v_cmp_gt_f64_e32 vcc, 0, v[93:94]
	v_mov_b32_e32 v95, v91
	v_cndmask_b32_e32 v98, v94, v97, vcc
	v_mov_b32_e32 v97, v93
	v_add_f64 v[95:96], v[95:96], v[97:98]
	v_cmp_lt_f64_e32 vcc, v[87:88], v[95:96]
	v_mov_b32_e32 v87, s0
	s_add_i32 s0, s0, 1
	s_cmp_lg_u32 s3, s0
	v_cndmask_b32_e32 v118, v118, v92, vcc
	v_cndmask_b32_e32 v117, v117, v91, vcc
	;; [unrolled: 1-line block ×5, first 2 shown]
	s_cbranch_scc1 .LBB118_988
.LBB118_989:
	s_waitcnt lgkmcnt(0)
	v_cmp_eq_f64_e32 vcc, 0, v[117:118]
	v_cmp_eq_f64_e64 s[0:1], 0, v[119:120]
	s_and_b64 s[0:1], vcc, s[0:1]
	s_and_saveexec_b64 s[18:19], s[0:1]
	s_xor_b64 s[0:1], exec, s[18:19]
; %bb.990:
	v_cmp_ne_u32_e32 vcc, 0, v90
	v_cndmask_b32_e32 v90, 48, v90, vcc
; %bb.991:
	s_andn2_saveexec_b64 s[0:1], s[0:1]
	s_cbranch_execz .LBB118_997
; %bb.992:
	v_cmp_ngt_f64_e64 s[18:19], |v[117:118]|, |v[119:120]|
	s_and_saveexec_b64 s[20:21], s[18:19]
	s_xor_b64 s[18:19], exec, s[20:21]
	s_cbranch_execz .LBB118_994
; %bb.993:
	v_div_scale_f64 v[86:87], s[20:21], v[119:120], v[119:120], v[117:118]
	v_rcp_f64_e32 v[91:92], v[86:87]
	v_fma_f64 v[93:94], -v[86:87], v[91:92], 1.0
	v_fma_f64 v[91:92], v[91:92], v[93:94], v[91:92]
	v_div_scale_f64 v[93:94], vcc, v[117:118], v[119:120], v[117:118]
	v_fma_f64 v[95:96], -v[86:87], v[91:92], 1.0
	v_fma_f64 v[91:92], v[91:92], v[95:96], v[91:92]
	v_mul_f64 v[95:96], v[93:94], v[91:92]
	v_fma_f64 v[86:87], -v[86:87], v[95:96], v[93:94]
	v_div_fmas_f64 v[86:87], v[86:87], v[91:92], v[95:96]
	v_div_fixup_f64 v[86:87], v[86:87], v[119:120], v[117:118]
	v_fma_f64 v[91:92], v[117:118], v[86:87], v[119:120]
	v_div_scale_f64 v[93:94], s[20:21], v[91:92], v[91:92], 1.0
	v_div_scale_f64 v[99:100], vcc, 1.0, v[91:92], 1.0
	v_rcp_f64_e32 v[95:96], v[93:94]
	v_fma_f64 v[97:98], -v[93:94], v[95:96], 1.0
	v_fma_f64 v[95:96], v[95:96], v[97:98], v[95:96]
	v_fma_f64 v[97:98], -v[93:94], v[95:96], 1.0
	v_fma_f64 v[95:96], v[95:96], v[97:98], v[95:96]
	v_mul_f64 v[97:98], v[99:100], v[95:96]
	v_fma_f64 v[93:94], -v[93:94], v[97:98], v[99:100]
	v_div_fmas_f64 v[93:94], v[93:94], v[95:96], v[97:98]
	v_div_fixup_f64 v[119:120], v[93:94], v[91:92], 1.0
	v_mul_f64 v[117:118], v[86:87], v[119:120]
	v_xor_b32_e32 v120, 0x80000000, v120
.LBB118_994:
	s_andn2_saveexec_b64 s[18:19], s[18:19]
	s_cbranch_execz .LBB118_996
; %bb.995:
	v_div_scale_f64 v[86:87], s[20:21], v[117:118], v[117:118], v[119:120]
	v_rcp_f64_e32 v[91:92], v[86:87]
	v_fma_f64 v[93:94], -v[86:87], v[91:92], 1.0
	v_fma_f64 v[91:92], v[91:92], v[93:94], v[91:92]
	v_div_scale_f64 v[93:94], vcc, v[119:120], v[117:118], v[119:120]
	v_fma_f64 v[95:96], -v[86:87], v[91:92], 1.0
	v_fma_f64 v[91:92], v[91:92], v[95:96], v[91:92]
	v_mul_f64 v[95:96], v[93:94], v[91:92]
	v_fma_f64 v[86:87], -v[86:87], v[95:96], v[93:94]
	v_div_fmas_f64 v[86:87], v[86:87], v[91:92], v[95:96]
	v_div_fixup_f64 v[86:87], v[86:87], v[117:118], v[119:120]
	v_fma_f64 v[91:92], v[119:120], v[86:87], v[117:118]
	v_div_scale_f64 v[93:94], s[20:21], v[91:92], v[91:92], 1.0
	v_div_scale_f64 v[99:100], vcc, 1.0, v[91:92], 1.0
	v_rcp_f64_e32 v[95:96], v[93:94]
	v_fma_f64 v[97:98], -v[93:94], v[95:96], 1.0
	v_fma_f64 v[95:96], v[95:96], v[97:98], v[95:96]
	v_fma_f64 v[97:98], -v[93:94], v[95:96], 1.0
	v_fma_f64 v[95:96], v[95:96], v[97:98], v[95:96]
	v_mul_f64 v[97:98], v[99:100], v[95:96]
	v_fma_f64 v[93:94], -v[93:94], v[97:98], v[99:100]
	v_div_fmas_f64 v[93:94], v[93:94], v[95:96], v[97:98]
	v_div_fixup_f64 v[117:118], v[93:94], v[91:92], 1.0
	v_mul_f64 v[119:120], v[86:87], -v[117:118]
.LBB118_996:
	s_or_b64 exec, exec, s[18:19]
.LBB118_997:
	s_or_b64 exec, exec, s[0:1]
	v_cmp_ne_u32_e32 vcc, v89, v85
	s_and_saveexec_b64 s[0:1], vcc
	s_xor_b64 s[0:1], exec, s[0:1]
	s_cbranch_execz .LBB118_1003
; %bb.998:
	v_cmp_eq_u32_e32 vcc, 47, v89
	s_and_saveexec_b64 s[18:19], vcc
	s_cbranch_execz .LBB118_1002
; %bb.999:
	v_cmp_ne_u32_e32 vcc, 47, v85
	s_xor_b64 s[20:21], s[6:7], -1
	s_and_b64 s[22:23], s[20:21], vcc
	s_and_saveexec_b64 s[20:21], s[22:23]
	s_cbranch_execz .LBB118_1001
; %bb.1000:
	v_ashrrev_i32_e32 v86, 31, v85
	v_lshlrev_b64 v[86:87], 2, v[85:86]
	v_add_co_u32_e32 v86, vcc, v107, v86
	v_addc_co_u32_e32 v87, vcc, v108, v87, vcc
	global_load_dword v88, v[86:87], off
	global_load_dword v89, v[107:108], off offset:188
	s_waitcnt vmcnt(1)
	global_store_dword v[107:108], v88, off offset:188
	s_waitcnt vmcnt(1)
	global_store_dword v[86:87], v89, off
.LBB118_1001:
	s_or_b64 exec, exec, s[20:21]
	v_mov_b32_e32 v89, v85
	v_mov_b32_e32 v127, v85
.LBB118_1002:
	s_or_b64 exec, exec, s[18:19]
.LBB118_1003:
	s_andn2_saveexec_b64 s[0:1], s[0:1]
	s_cbranch_execz .LBB118_1005
; %bb.1004:
	v_mov_b32_e32 v89, 47
	ds_write2_b64 v0, v[41:42], v[43:44] offset0:96 offset1:97
	ds_write2_b64 v0, v[37:38], v[39:40] offset0:98 offset1:99
	ds_write2_b64 v0, v[33:34], v[35:36] offset0:100 offset1:101
	ds_write2_b64 v0, v[29:30], v[31:32] offset0:102 offset1:103
	ds_write2_b64 v0, v[25:26], v[27:28] offset0:104 offset1:105
	ds_write2_b64 v0, v[21:22], v[23:24] offset0:106 offset1:107
	ds_write2_b64 v0, v[17:18], v[19:20] offset0:108 offset1:109
	ds_write2_b64 v0, v[13:14], v[15:16] offset0:110 offset1:111
	ds_write2_b64 v0, v[9:10], v[11:12] offset0:112 offset1:113
	ds_write2_b64 v0, v[5:6], v[7:8] offset0:114 offset1:115
	ds_write2_b64 v0, v[1:2], v[3:4] offset0:116 offset1:117
	ds_write2_b64 v0, v[121:122], v[123:124] offset0:118 offset1:119
.LBB118_1005:
	s_or_b64 exec, exec, s[0:1]
	v_cmp_lt_i32_e32 vcc, 47, v89
	s_waitcnt vmcnt(0) lgkmcnt(0)
	s_barrier
	s_and_saveexec_b64 s[0:1], vcc
	s_cbranch_execz .LBB118_1007
; %bb.1006:
	v_mul_f64 v[85:86], v[117:118], v[47:48]
	v_mul_f64 v[47:48], v[119:120], v[47:48]
	ds_read2_b64 v[91:94], v0 offset0:96 offset1:97
	v_fma_f64 v[85:86], v[119:120], v[45:46], v[85:86]
	v_fma_f64 v[45:46], v[117:118], v[45:46], -v[47:48]
	s_waitcnt lgkmcnt(0)
	v_mul_f64 v[47:48], v[93:94], v[85:86]
	v_mul_f64 v[87:88], v[91:92], v[85:86]
	v_fma_f64 v[47:48], v[91:92], v[45:46], -v[47:48]
	v_fma_f64 v[87:88], v[93:94], v[45:46], v[87:88]
	ds_read2_b64 v[91:94], v0 offset0:98 offset1:99
	v_add_f64 v[41:42], v[41:42], -v[47:48]
	v_add_f64 v[43:44], v[43:44], -v[87:88]
	s_waitcnt lgkmcnt(0)
	v_mul_f64 v[47:48], v[93:94], v[85:86]
	v_mul_f64 v[87:88], v[91:92], v[85:86]
	v_fma_f64 v[47:48], v[91:92], v[45:46], -v[47:48]
	v_fma_f64 v[87:88], v[93:94], v[45:46], v[87:88]
	ds_read2_b64 v[91:94], v0 offset0:100 offset1:101
	v_add_f64 v[37:38], v[37:38], -v[47:48]
	v_add_f64 v[39:40], v[39:40], -v[87:88]
	;; [unrolled: 8-line block ×11, first 2 shown]
	s_waitcnt lgkmcnt(0)
	v_mul_f64 v[47:48], v[93:94], v[85:86]
	v_mul_f64 v[87:88], v[91:92], v[85:86]
	v_fma_f64 v[47:48], v[91:92], v[45:46], -v[47:48]
	v_fma_f64 v[87:88], v[93:94], v[45:46], v[87:88]
	v_add_f64 v[121:122], v[121:122], -v[47:48]
	v_add_f64 v[123:124], v[123:124], -v[87:88]
	v_mov_b32_e32 v47, v85
	v_mov_b32_e32 v48, v86
.LBB118_1007:
	s_or_b64 exec, exec, s[0:1]
	v_lshl_add_u32 v85, v89, 4, v0
	s_barrier
	ds_write2_b64 v85, v[41:42], v[43:44] offset1:1
	s_waitcnt lgkmcnt(0)
	s_barrier
	ds_read2_b64 v[117:120], v0 offset0:96 offset1:97
	s_cmp_lt_i32 s3, 50
	v_mov_b32_e32 v85, 48
	s_cbranch_scc1 .LBB118_1010
; %bb.1008:
	v_add_u32_e32 v86, 0x310, v0
	s_mov_b32 s0, 49
	v_mov_b32_e32 v85, 48
.LBB118_1009:                           ; =>This Inner Loop Header: Depth=1
	s_waitcnt lgkmcnt(0)
	v_cmp_gt_f64_e32 vcc, 0, v[117:118]
	v_xor_b32_e32 v87, 0x80000000, v118
	ds_read2_b64 v[91:94], v86 offset1:1
	v_xor_b32_e32 v95, 0x80000000, v120
	v_add_u32_e32 v86, 16, v86
	s_waitcnt lgkmcnt(0)
	v_xor_b32_e32 v97, 0x80000000, v94
	v_cndmask_b32_e32 v88, v118, v87, vcc
	v_cmp_gt_f64_e32 vcc, 0, v[119:120]
	v_mov_b32_e32 v87, v117
	v_cndmask_b32_e32 v96, v120, v95, vcc
	v_cmp_gt_f64_e32 vcc, 0, v[91:92]
	v_mov_b32_e32 v95, v119
	v_add_f64 v[87:88], v[87:88], v[95:96]
	v_xor_b32_e32 v95, 0x80000000, v92
	v_cndmask_b32_e32 v96, v92, v95, vcc
	v_cmp_gt_f64_e32 vcc, 0, v[93:94]
	v_mov_b32_e32 v95, v91
	v_cndmask_b32_e32 v98, v94, v97, vcc
	v_mov_b32_e32 v97, v93
	v_add_f64 v[95:96], v[95:96], v[97:98]
	v_cmp_lt_f64_e32 vcc, v[87:88], v[95:96]
	v_mov_b32_e32 v87, s0
	s_add_i32 s0, s0, 1
	s_cmp_lg_u32 s3, s0
	v_cndmask_b32_e32 v118, v118, v92, vcc
	v_cndmask_b32_e32 v117, v117, v91, vcc
	;; [unrolled: 1-line block ×5, first 2 shown]
	s_cbranch_scc1 .LBB118_1009
.LBB118_1010:
	s_waitcnt lgkmcnt(0)
	v_cmp_eq_f64_e32 vcc, 0, v[117:118]
	v_cmp_eq_f64_e64 s[0:1], 0, v[119:120]
	s_and_b64 s[0:1], vcc, s[0:1]
	s_and_saveexec_b64 s[18:19], s[0:1]
	s_xor_b64 s[0:1], exec, s[18:19]
; %bb.1011:
	v_cmp_ne_u32_e32 vcc, 0, v90
	v_cndmask_b32_e32 v90, 49, v90, vcc
; %bb.1012:
	s_andn2_saveexec_b64 s[0:1], s[0:1]
	s_cbranch_execz .LBB118_1018
; %bb.1013:
	v_cmp_ngt_f64_e64 s[18:19], |v[117:118]|, |v[119:120]|
	s_and_saveexec_b64 s[20:21], s[18:19]
	s_xor_b64 s[18:19], exec, s[20:21]
	s_cbranch_execz .LBB118_1015
; %bb.1014:
	v_div_scale_f64 v[86:87], s[20:21], v[119:120], v[119:120], v[117:118]
	v_rcp_f64_e32 v[91:92], v[86:87]
	v_fma_f64 v[93:94], -v[86:87], v[91:92], 1.0
	v_fma_f64 v[91:92], v[91:92], v[93:94], v[91:92]
	v_div_scale_f64 v[93:94], vcc, v[117:118], v[119:120], v[117:118]
	v_fma_f64 v[95:96], -v[86:87], v[91:92], 1.0
	v_fma_f64 v[91:92], v[91:92], v[95:96], v[91:92]
	v_mul_f64 v[95:96], v[93:94], v[91:92]
	v_fma_f64 v[86:87], -v[86:87], v[95:96], v[93:94]
	v_div_fmas_f64 v[86:87], v[86:87], v[91:92], v[95:96]
	v_div_fixup_f64 v[86:87], v[86:87], v[119:120], v[117:118]
	v_fma_f64 v[91:92], v[117:118], v[86:87], v[119:120]
	v_div_scale_f64 v[93:94], s[20:21], v[91:92], v[91:92], 1.0
	v_div_scale_f64 v[99:100], vcc, 1.0, v[91:92], 1.0
	v_rcp_f64_e32 v[95:96], v[93:94]
	v_fma_f64 v[97:98], -v[93:94], v[95:96], 1.0
	v_fma_f64 v[95:96], v[95:96], v[97:98], v[95:96]
	v_fma_f64 v[97:98], -v[93:94], v[95:96], 1.0
	v_fma_f64 v[95:96], v[95:96], v[97:98], v[95:96]
	v_mul_f64 v[97:98], v[99:100], v[95:96]
	v_fma_f64 v[93:94], -v[93:94], v[97:98], v[99:100]
	v_div_fmas_f64 v[93:94], v[93:94], v[95:96], v[97:98]
	v_div_fixup_f64 v[119:120], v[93:94], v[91:92], 1.0
	v_mul_f64 v[117:118], v[86:87], v[119:120]
	v_xor_b32_e32 v120, 0x80000000, v120
.LBB118_1015:
	s_andn2_saveexec_b64 s[18:19], s[18:19]
	s_cbranch_execz .LBB118_1017
; %bb.1016:
	v_div_scale_f64 v[86:87], s[20:21], v[117:118], v[117:118], v[119:120]
	v_rcp_f64_e32 v[91:92], v[86:87]
	v_fma_f64 v[93:94], -v[86:87], v[91:92], 1.0
	v_fma_f64 v[91:92], v[91:92], v[93:94], v[91:92]
	v_div_scale_f64 v[93:94], vcc, v[119:120], v[117:118], v[119:120]
	v_fma_f64 v[95:96], -v[86:87], v[91:92], 1.0
	v_fma_f64 v[91:92], v[91:92], v[95:96], v[91:92]
	v_mul_f64 v[95:96], v[93:94], v[91:92]
	v_fma_f64 v[86:87], -v[86:87], v[95:96], v[93:94]
	v_div_fmas_f64 v[86:87], v[86:87], v[91:92], v[95:96]
	v_div_fixup_f64 v[86:87], v[86:87], v[117:118], v[119:120]
	v_fma_f64 v[91:92], v[119:120], v[86:87], v[117:118]
	v_div_scale_f64 v[93:94], s[20:21], v[91:92], v[91:92], 1.0
	v_div_scale_f64 v[99:100], vcc, 1.0, v[91:92], 1.0
	v_rcp_f64_e32 v[95:96], v[93:94]
	v_fma_f64 v[97:98], -v[93:94], v[95:96], 1.0
	v_fma_f64 v[95:96], v[95:96], v[97:98], v[95:96]
	v_fma_f64 v[97:98], -v[93:94], v[95:96], 1.0
	v_fma_f64 v[95:96], v[95:96], v[97:98], v[95:96]
	v_mul_f64 v[97:98], v[99:100], v[95:96]
	v_fma_f64 v[93:94], -v[93:94], v[97:98], v[99:100]
	v_div_fmas_f64 v[93:94], v[93:94], v[95:96], v[97:98]
	v_div_fixup_f64 v[117:118], v[93:94], v[91:92], 1.0
	v_mul_f64 v[119:120], v[86:87], -v[117:118]
.LBB118_1017:
	s_or_b64 exec, exec, s[18:19]
.LBB118_1018:
	s_or_b64 exec, exec, s[0:1]
	v_cmp_ne_u32_e32 vcc, v89, v85
	s_and_saveexec_b64 s[0:1], vcc
	s_xor_b64 s[0:1], exec, s[0:1]
	s_cbranch_execz .LBB118_1024
; %bb.1019:
	v_cmp_eq_u32_e32 vcc, 48, v89
	s_and_saveexec_b64 s[18:19], vcc
	s_cbranch_execz .LBB118_1023
; %bb.1020:
	v_cmp_ne_u32_e32 vcc, 48, v85
	s_xor_b64 s[20:21], s[6:7], -1
	s_and_b64 s[22:23], s[20:21], vcc
	s_and_saveexec_b64 s[20:21], s[22:23]
	s_cbranch_execz .LBB118_1022
; %bb.1021:
	v_ashrrev_i32_e32 v86, 31, v85
	v_lshlrev_b64 v[86:87], 2, v[85:86]
	v_add_co_u32_e32 v86, vcc, v107, v86
	v_addc_co_u32_e32 v87, vcc, v108, v87, vcc
	global_load_dword v88, v[86:87], off
	global_load_dword v89, v[107:108], off offset:192
	s_waitcnt vmcnt(1)
	global_store_dword v[107:108], v88, off offset:192
	s_waitcnt vmcnt(1)
	global_store_dword v[86:87], v89, off
.LBB118_1022:
	s_or_b64 exec, exec, s[20:21]
	v_mov_b32_e32 v89, v85
	v_mov_b32_e32 v127, v85
.LBB118_1023:
	s_or_b64 exec, exec, s[18:19]
.LBB118_1024:
	s_andn2_saveexec_b64 s[0:1], s[0:1]
	s_cbranch_execz .LBB118_1026
; %bb.1025:
	v_mov_b32_e32 v89, 48
	ds_write2_b64 v0, v[37:38], v[39:40] offset0:98 offset1:99
	ds_write2_b64 v0, v[33:34], v[35:36] offset0:100 offset1:101
	;; [unrolled: 1-line block ×11, first 2 shown]
.LBB118_1026:
	s_or_b64 exec, exec, s[0:1]
	v_cmp_lt_i32_e32 vcc, 48, v89
	s_waitcnt vmcnt(0) lgkmcnt(0)
	s_barrier
	s_and_saveexec_b64 s[0:1], vcc
	s_cbranch_execz .LBB118_1028
; %bb.1027:
	v_mul_f64 v[85:86], v[117:118], v[43:44]
	v_mul_f64 v[43:44], v[119:120], v[43:44]
	ds_read2_b64 v[91:94], v0 offset0:98 offset1:99
	v_fma_f64 v[85:86], v[119:120], v[41:42], v[85:86]
	v_fma_f64 v[41:42], v[117:118], v[41:42], -v[43:44]
	s_waitcnt lgkmcnt(0)
	v_mul_f64 v[43:44], v[93:94], v[85:86]
	v_mul_f64 v[87:88], v[91:92], v[85:86]
	v_fma_f64 v[43:44], v[91:92], v[41:42], -v[43:44]
	v_fma_f64 v[87:88], v[93:94], v[41:42], v[87:88]
	ds_read2_b64 v[91:94], v0 offset0:100 offset1:101
	v_add_f64 v[37:38], v[37:38], -v[43:44]
	v_add_f64 v[39:40], v[39:40], -v[87:88]
	s_waitcnt lgkmcnt(0)
	v_mul_f64 v[43:44], v[93:94], v[85:86]
	v_mul_f64 v[87:88], v[91:92], v[85:86]
	v_fma_f64 v[43:44], v[91:92], v[41:42], -v[43:44]
	v_fma_f64 v[87:88], v[93:94], v[41:42], v[87:88]
	ds_read2_b64 v[91:94], v0 offset0:102 offset1:103
	v_add_f64 v[33:34], v[33:34], -v[43:44]
	v_add_f64 v[35:36], v[35:36], -v[87:88]
	;; [unrolled: 8-line block ×10, first 2 shown]
	s_waitcnt lgkmcnt(0)
	v_mul_f64 v[43:44], v[93:94], v[85:86]
	v_mul_f64 v[87:88], v[91:92], v[85:86]
	v_fma_f64 v[43:44], v[91:92], v[41:42], -v[43:44]
	v_fma_f64 v[87:88], v[93:94], v[41:42], v[87:88]
	v_add_f64 v[121:122], v[121:122], -v[43:44]
	v_add_f64 v[123:124], v[123:124], -v[87:88]
	v_mov_b32_e32 v43, v85
	v_mov_b32_e32 v44, v86
.LBB118_1028:
	s_or_b64 exec, exec, s[0:1]
	v_lshl_add_u32 v85, v89, 4, v0
	s_barrier
	ds_write2_b64 v85, v[37:38], v[39:40] offset1:1
	s_waitcnt lgkmcnt(0)
	s_barrier
	ds_read2_b64 v[117:120], v0 offset0:98 offset1:99
	s_cmp_lt_i32 s3, 51
	v_mov_b32_e32 v85, 49
	s_cbranch_scc1 .LBB118_1031
; %bb.1029:
	v_add_u32_e32 v86, 0x320, v0
	s_mov_b32 s0, 50
	v_mov_b32_e32 v85, 49
.LBB118_1030:                           ; =>This Inner Loop Header: Depth=1
	s_waitcnt lgkmcnt(0)
	v_cmp_gt_f64_e32 vcc, 0, v[117:118]
	v_xor_b32_e32 v87, 0x80000000, v118
	ds_read2_b64 v[91:94], v86 offset1:1
	v_xor_b32_e32 v95, 0x80000000, v120
	v_add_u32_e32 v86, 16, v86
	s_waitcnt lgkmcnt(0)
	v_xor_b32_e32 v97, 0x80000000, v94
	v_cndmask_b32_e32 v88, v118, v87, vcc
	v_cmp_gt_f64_e32 vcc, 0, v[119:120]
	v_mov_b32_e32 v87, v117
	v_cndmask_b32_e32 v96, v120, v95, vcc
	v_cmp_gt_f64_e32 vcc, 0, v[91:92]
	v_mov_b32_e32 v95, v119
	v_add_f64 v[87:88], v[87:88], v[95:96]
	v_xor_b32_e32 v95, 0x80000000, v92
	v_cndmask_b32_e32 v96, v92, v95, vcc
	v_cmp_gt_f64_e32 vcc, 0, v[93:94]
	v_mov_b32_e32 v95, v91
	v_cndmask_b32_e32 v98, v94, v97, vcc
	v_mov_b32_e32 v97, v93
	v_add_f64 v[95:96], v[95:96], v[97:98]
	v_cmp_lt_f64_e32 vcc, v[87:88], v[95:96]
	v_mov_b32_e32 v87, s0
	s_add_i32 s0, s0, 1
	s_cmp_lg_u32 s3, s0
	v_cndmask_b32_e32 v118, v118, v92, vcc
	v_cndmask_b32_e32 v117, v117, v91, vcc
	;; [unrolled: 1-line block ×5, first 2 shown]
	s_cbranch_scc1 .LBB118_1030
.LBB118_1031:
	s_waitcnt lgkmcnt(0)
	v_cmp_eq_f64_e32 vcc, 0, v[117:118]
	v_cmp_eq_f64_e64 s[0:1], 0, v[119:120]
	s_and_b64 s[0:1], vcc, s[0:1]
	s_and_saveexec_b64 s[18:19], s[0:1]
	s_xor_b64 s[0:1], exec, s[18:19]
; %bb.1032:
	v_cmp_ne_u32_e32 vcc, 0, v90
	v_cndmask_b32_e32 v90, 50, v90, vcc
; %bb.1033:
	s_andn2_saveexec_b64 s[0:1], s[0:1]
	s_cbranch_execz .LBB118_1039
; %bb.1034:
	v_cmp_ngt_f64_e64 s[18:19], |v[117:118]|, |v[119:120]|
	s_and_saveexec_b64 s[20:21], s[18:19]
	s_xor_b64 s[18:19], exec, s[20:21]
	s_cbranch_execz .LBB118_1036
; %bb.1035:
	v_div_scale_f64 v[86:87], s[20:21], v[119:120], v[119:120], v[117:118]
	v_rcp_f64_e32 v[91:92], v[86:87]
	v_fma_f64 v[93:94], -v[86:87], v[91:92], 1.0
	v_fma_f64 v[91:92], v[91:92], v[93:94], v[91:92]
	v_div_scale_f64 v[93:94], vcc, v[117:118], v[119:120], v[117:118]
	v_fma_f64 v[95:96], -v[86:87], v[91:92], 1.0
	v_fma_f64 v[91:92], v[91:92], v[95:96], v[91:92]
	v_mul_f64 v[95:96], v[93:94], v[91:92]
	v_fma_f64 v[86:87], -v[86:87], v[95:96], v[93:94]
	v_div_fmas_f64 v[86:87], v[86:87], v[91:92], v[95:96]
	v_div_fixup_f64 v[86:87], v[86:87], v[119:120], v[117:118]
	v_fma_f64 v[91:92], v[117:118], v[86:87], v[119:120]
	v_div_scale_f64 v[93:94], s[20:21], v[91:92], v[91:92], 1.0
	v_div_scale_f64 v[99:100], vcc, 1.0, v[91:92], 1.0
	v_rcp_f64_e32 v[95:96], v[93:94]
	v_fma_f64 v[97:98], -v[93:94], v[95:96], 1.0
	v_fma_f64 v[95:96], v[95:96], v[97:98], v[95:96]
	v_fma_f64 v[97:98], -v[93:94], v[95:96], 1.0
	v_fma_f64 v[95:96], v[95:96], v[97:98], v[95:96]
	v_mul_f64 v[97:98], v[99:100], v[95:96]
	v_fma_f64 v[93:94], -v[93:94], v[97:98], v[99:100]
	v_div_fmas_f64 v[93:94], v[93:94], v[95:96], v[97:98]
	v_div_fixup_f64 v[119:120], v[93:94], v[91:92], 1.0
	v_mul_f64 v[117:118], v[86:87], v[119:120]
	v_xor_b32_e32 v120, 0x80000000, v120
.LBB118_1036:
	s_andn2_saveexec_b64 s[18:19], s[18:19]
	s_cbranch_execz .LBB118_1038
; %bb.1037:
	v_div_scale_f64 v[86:87], s[20:21], v[117:118], v[117:118], v[119:120]
	v_rcp_f64_e32 v[91:92], v[86:87]
	v_fma_f64 v[93:94], -v[86:87], v[91:92], 1.0
	v_fma_f64 v[91:92], v[91:92], v[93:94], v[91:92]
	v_div_scale_f64 v[93:94], vcc, v[119:120], v[117:118], v[119:120]
	v_fma_f64 v[95:96], -v[86:87], v[91:92], 1.0
	v_fma_f64 v[91:92], v[91:92], v[95:96], v[91:92]
	v_mul_f64 v[95:96], v[93:94], v[91:92]
	v_fma_f64 v[86:87], -v[86:87], v[95:96], v[93:94]
	v_div_fmas_f64 v[86:87], v[86:87], v[91:92], v[95:96]
	v_div_fixup_f64 v[86:87], v[86:87], v[117:118], v[119:120]
	v_fma_f64 v[91:92], v[119:120], v[86:87], v[117:118]
	v_div_scale_f64 v[93:94], s[20:21], v[91:92], v[91:92], 1.0
	v_div_scale_f64 v[99:100], vcc, 1.0, v[91:92], 1.0
	v_rcp_f64_e32 v[95:96], v[93:94]
	v_fma_f64 v[97:98], -v[93:94], v[95:96], 1.0
	v_fma_f64 v[95:96], v[95:96], v[97:98], v[95:96]
	v_fma_f64 v[97:98], -v[93:94], v[95:96], 1.0
	v_fma_f64 v[95:96], v[95:96], v[97:98], v[95:96]
	v_mul_f64 v[97:98], v[99:100], v[95:96]
	v_fma_f64 v[93:94], -v[93:94], v[97:98], v[99:100]
	v_div_fmas_f64 v[93:94], v[93:94], v[95:96], v[97:98]
	v_div_fixup_f64 v[117:118], v[93:94], v[91:92], 1.0
	v_mul_f64 v[119:120], v[86:87], -v[117:118]
.LBB118_1038:
	s_or_b64 exec, exec, s[18:19]
.LBB118_1039:
	s_or_b64 exec, exec, s[0:1]
	v_cmp_ne_u32_e32 vcc, v89, v85
	s_and_saveexec_b64 s[0:1], vcc
	s_xor_b64 s[0:1], exec, s[0:1]
	s_cbranch_execz .LBB118_1045
; %bb.1040:
	v_cmp_eq_u32_e32 vcc, 49, v89
	s_and_saveexec_b64 s[18:19], vcc
	s_cbranch_execz .LBB118_1044
; %bb.1041:
	v_cmp_ne_u32_e32 vcc, 49, v85
	s_xor_b64 s[20:21], s[6:7], -1
	s_and_b64 s[22:23], s[20:21], vcc
	s_and_saveexec_b64 s[20:21], s[22:23]
	s_cbranch_execz .LBB118_1043
; %bb.1042:
	v_ashrrev_i32_e32 v86, 31, v85
	v_lshlrev_b64 v[86:87], 2, v[85:86]
	v_add_co_u32_e32 v86, vcc, v107, v86
	v_addc_co_u32_e32 v87, vcc, v108, v87, vcc
	global_load_dword v88, v[86:87], off
	global_load_dword v89, v[107:108], off offset:196
	s_waitcnt vmcnt(1)
	global_store_dword v[107:108], v88, off offset:196
	s_waitcnt vmcnt(1)
	global_store_dword v[86:87], v89, off
.LBB118_1043:
	s_or_b64 exec, exec, s[20:21]
	v_mov_b32_e32 v89, v85
	v_mov_b32_e32 v127, v85
.LBB118_1044:
	s_or_b64 exec, exec, s[18:19]
.LBB118_1045:
	s_andn2_saveexec_b64 s[0:1], s[0:1]
	s_cbranch_execz .LBB118_1047
; %bb.1046:
	v_mov_b32_e32 v89, 49
	ds_write2_b64 v0, v[33:34], v[35:36] offset0:100 offset1:101
	ds_write2_b64 v0, v[29:30], v[31:32] offset0:102 offset1:103
	;; [unrolled: 1-line block ×10, first 2 shown]
.LBB118_1047:
	s_or_b64 exec, exec, s[0:1]
	v_cmp_lt_i32_e32 vcc, 49, v89
	s_waitcnt vmcnt(0) lgkmcnt(0)
	s_barrier
	s_and_saveexec_b64 s[0:1], vcc
	s_cbranch_execz .LBB118_1049
; %bb.1048:
	v_mul_f64 v[85:86], v[117:118], v[39:40]
	v_mul_f64 v[39:40], v[119:120], v[39:40]
	ds_read2_b64 v[91:94], v0 offset0:100 offset1:101
	v_fma_f64 v[85:86], v[119:120], v[37:38], v[85:86]
	v_fma_f64 v[37:38], v[117:118], v[37:38], -v[39:40]
	s_waitcnt lgkmcnt(0)
	v_mul_f64 v[39:40], v[93:94], v[85:86]
	v_mul_f64 v[87:88], v[91:92], v[85:86]
	v_fma_f64 v[39:40], v[91:92], v[37:38], -v[39:40]
	v_fma_f64 v[87:88], v[93:94], v[37:38], v[87:88]
	ds_read2_b64 v[91:94], v0 offset0:102 offset1:103
	v_add_f64 v[33:34], v[33:34], -v[39:40]
	v_add_f64 v[35:36], v[35:36], -v[87:88]
	s_waitcnt lgkmcnt(0)
	v_mul_f64 v[39:40], v[93:94], v[85:86]
	v_mul_f64 v[87:88], v[91:92], v[85:86]
	v_fma_f64 v[39:40], v[91:92], v[37:38], -v[39:40]
	v_fma_f64 v[87:88], v[93:94], v[37:38], v[87:88]
	ds_read2_b64 v[91:94], v0 offset0:104 offset1:105
	v_add_f64 v[29:30], v[29:30], -v[39:40]
	v_add_f64 v[31:32], v[31:32], -v[87:88]
	s_waitcnt lgkmcnt(0)
	v_mul_f64 v[39:40], v[93:94], v[85:86]
	v_mul_f64 v[87:88], v[91:92], v[85:86]
	v_fma_f64 v[39:40], v[91:92], v[37:38], -v[39:40]
	v_fma_f64 v[87:88], v[93:94], v[37:38], v[87:88]
	ds_read2_b64 v[91:94], v0 offset0:106 offset1:107
	v_add_f64 v[25:26], v[25:26], -v[39:40]
	v_add_f64 v[27:28], v[27:28], -v[87:88]
	s_waitcnt lgkmcnt(0)
	v_mul_f64 v[39:40], v[93:94], v[85:86]
	v_mul_f64 v[87:88], v[91:92], v[85:86]
	v_fma_f64 v[39:40], v[91:92], v[37:38], -v[39:40]
	v_fma_f64 v[87:88], v[93:94], v[37:38], v[87:88]
	ds_read2_b64 v[91:94], v0 offset0:108 offset1:109
	v_add_f64 v[21:22], v[21:22], -v[39:40]
	v_add_f64 v[23:24], v[23:24], -v[87:88]
	s_waitcnt lgkmcnt(0)
	v_mul_f64 v[39:40], v[93:94], v[85:86]
	v_mul_f64 v[87:88], v[91:92], v[85:86]
	v_fma_f64 v[39:40], v[91:92], v[37:38], -v[39:40]
	v_fma_f64 v[87:88], v[93:94], v[37:38], v[87:88]
	ds_read2_b64 v[91:94], v0 offset0:110 offset1:111
	v_add_f64 v[17:18], v[17:18], -v[39:40]
	v_add_f64 v[19:20], v[19:20], -v[87:88]
	s_waitcnt lgkmcnt(0)
	v_mul_f64 v[39:40], v[93:94], v[85:86]
	v_mul_f64 v[87:88], v[91:92], v[85:86]
	v_fma_f64 v[39:40], v[91:92], v[37:38], -v[39:40]
	v_fma_f64 v[87:88], v[93:94], v[37:38], v[87:88]
	ds_read2_b64 v[91:94], v0 offset0:112 offset1:113
	v_add_f64 v[13:14], v[13:14], -v[39:40]
	v_add_f64 v[15:16], v[15:16], -v[87:88]
	s_waitcnt lgkmcnt(0)
	v_mul_f64 v[39:40], v[93:94], v[85:86]
	v_mul_f64 v[87:88], v[91:92], v[85:86]
	v_fma_f64 v[39:40], v[91:92], v[37:38], -v[39:40]
	v_fma_f64 v[87:88], v[93:94], v[37:38], v[87:88]
	ds_read2_b64 v[91:94], v0 offset0:114 offset1:115
	v_add_f64 v[9:10], v[9:10], -v[39:40]
	v_add_f64 v[11:12], v[11:12], -v[87:88]
	s_waitcnt lgkmcnt(0)
	v_mul_f64 v[39:40], v[93:94], v[85:86]
	v_mul_f64 v[87:88], v[91:92], v[85:86]
	v_fma_f64 v[39:40], v[91:92], v[37:38], -v[39:40]
	v_fma_f64 v[87:88], v[93:94], v[37:38], v[87:88]
	ds_read2_b64 v[91:94], v0 offset0:116 offset1:117
	v_add_f64 v[5:6], v[5:6], -v[39:40]
	v_add_f64 v[7:8], v[7:8], -v[87:88]
	s_waitcnt lgkmcnt(0)
	v_mul_f64 v[39:40], v[93:94], v[85:86]
	v_mul_f64 v[87:88], v[91:92], v[85:86]
	v_fma_f64 v[39:40], v[91:92], v[37:38], -v[39:40]
	v_fma_f64 v[87:88], v[93:94], v[37:38], v[87:88]
	ds_read2_b64 v[91:94], v0 offset0:118 offset1:119
	v_add_f64 v[1:2], v[1:2], -v[39:40]
	v_add_f64 v[3:4], v[3:4], -v[87:88]
	s_waitcnt lgkmcnt(0)
	v_mul_f64 v[39:40], v[93:94], v[85:86]
	v_mul_f64 v[87:88], v[91:92], v[85:86]
	v_fma_f64 v[39:40], v[91:92], v[37:38], -v[39:40]
	v_fma_f64 v[87:88], v[93:94], v[37:38], v[87:88]
	v_add_f64 v[121:122], v[121:122], -v[39:40]
	v_add_f64 v[123:124], v[123:124], -v[87:88]
	v_mov_b32_e32 v39, v85
	v_mov_b32_e32 v40, v86
.LBB118_1049:
	s_or_b64 exec, exec, s[0:1]
	v_lshl_add_u32 v85, v89, 4, v0
	s_barrier
	ds_write2_b64 v85, v[33:34], v[35:36] offset1:1
	s_waitcnt lgkmcnt(0)
	s_barrier
	ds_read2_b64 v[117:120], v0 offset0:100 offset1:101
	s_cmp_lt_i32 s3, 52
	v_mov_b32_e32 v85, 50
	s_cbranch_scc1 .LBB118_1052
; %bb.1050:
	v_add_u32_e32 v86, 0x330, v0
	s_mov_b32 s0, 51
	v_mov_b32_e32 v85, 50
.LBB118_1051:                           ; =>This Inner Loop Header: Depth=1
	s_waitcnt lgkmcnt(0)
	v_cmp_gt_f64_e32 vcc, 0, v[117:118]
	v_xor_b32_e32 v87, 0x80000000, v118
	ds_read2_b64 v[91:94], v86 offset1:1
	v_xor_b32_e32 v95, 0x80000000, v120
	v_add_u32_e32 v86, 16, v86
	s_waitcnt lgkmcnt(0)
	v_xor_b32_e32 v97, 0x80000000, v94
	v_cndmask_b32_e32 v88, v118, v87, vcc
	v_cmp_gt_f64_e32 vcc, 0, v[119:120]
	v_mov_b32_e32 v87, v117
	v_cndmask_b32_e32 v96, v120, v95, vcc
	v_cmp_gt_f64_e32 vcc, 0, v[91:92]
	v_mov_b32_e32 v95, v119
	v_add_f64 v[87:88], v[87:88], v[95:96]
	v_xor_b32_e32 v95, 0x80000000, v92
	v_cndmask_b32_e32 v96, v92, v95, vcc
	v_cmp_gt_f64_e32 vcc, 0, v[93:94]
	v_mov_b32_e32 v95, v91
	v_cndmask_b32_e32 v98, v94, v97, vcc
	v_mov_b32_e32 v97, v93
	v_add_f64 v[95:96], v[95:96], v[97:98]
	v_cmp_lt_f64_e32 vcc, v[87:88], v[95:96]
	v_mov_b32_e32 v87, s0
	s_add_i32 s0, s0, 1
	s_cmp_lg_u32 s3, s0
	v_cndmask_b32_e32 v118, v118, v92, vcc
	v_cndmask_b32_e32 v117, v117, v91, vcc
	;; [unrolled: 1-line block ×5, first 2 shown]
	s_cbranch_scc1 .LBB118_1051
.LBB118_1052:
	s_waitcnt lgkmcnt(0)
	v_cmp_eq_f64_e32 vcc, 0, v[117:118]
	v_cmp_eq_f64_e64 s[0:1], 0, v[119:120]
	s_and_b64 s[0:1], vcc, s[0:1]
	s_and_saveexec_b64 s[18:19], s[0:1]
	s_xor_b64 s[0:1], exec, s[18:19]
; %bb.1053:
	v_cmp_ne_u32_e32 vcc, 0, v90
	v_cndmask_b32_e32 v90, 51, v90, vcc
; %bb.1054:
	s_andn2_saveexec_b64 s[0:1], s[0:1]
	s_cbranch_execz .LBB118_1060
; %bb.1055:
	v_cmp_ngt_f64_e64 s[18:19], |v[117:118]|, |v[119:120]|
	s_and_saveexec_b64 s[20:21], s[18:19]
	s_xor_b64 s[18:19], exec, s[20:21]
	s_cbranch_execz .LBB118_1057
; %bb.1056:
	v_div_scale_f64 v[86:87], s[20:21], v[119:120], v[119:120], v[117:118]
	v_rcp_f64_e32 v[91:92], v[86:87]
	v_fma_f64 v[93:94], -v[86:87], v[91:92], 1.0
	v_fma_f64 v[91:92], v[91:92], v[93:94], v[91:92]
	v_div_scale_f64 v[93:94], vcc, v[117:118], v[119:120], v[117:118]
	v_fma_f64 v[95:96], -v[86:87], v[91:92], 1.0
	v_fma_f64 v[91:92], v[91:92], v[95:96], v[91:92]
	v_mul_f64 v[95:96], v[93:94], v[91:92]
	v_fma_f64 v[86:87], -v[86:87], v[95:96], v[93:94]
	v_div_fmas_f64 v[86:87], v[86:87], v[91:92], v[95:96]
	v_div_fixup_f64 v[86:87], v[86:87], v[119:120], v[117:118]
	v_fma_f64 v[91:92], v[117:118], v[86:87], v[119:120]
	v_div_scale_f64 v[93:94], s[20:21], v[91:92], v[91:92], 1.0
	v_div_scale_f64 v[99:100], vcc, 1.0, v[91:92], 1.0
	v_rcp_f64_e32 v[95:96], v[93:94]
	v_fma_f64 v[97:98], -v[93:94], v[95:96], 1.0
	v_fma_f64 v[95:96], v[95:96], v[97:98], v[95:96]
	v_fma_f64 v[97:98], -v[93:94], v[95:96], 1.0
	v_fma_f64 v[95:96], v[95:96], v[97:98], v[95:96]
	v_mul_f64 v[97:98], v[99:100], v[95:96]
	v_fma_f64 v[93:94], -v[93:94], v[97:98], v[99:100]
	v_div_fmas_f64 v[93:94], v[93:94], v[95:96], v[97:98]
	v_div_fixup_f64 v[119:120], v[93:94], v[91:92], 1.0
	v_mul_f64 v[117:118], v[86:87], v[119:120]
	v_xor_b32_e32 v120, 0x80000000, v120
.LBB118_1057:
	s_andn2_saveexec_b64 s[18:19], s[18:19]
	s_cbranch_execz .LBB118_1059
; %bb.1058:
	v_div_scale_f64 v[86:87], s[20:21], v[117:118], v[117:118], v[119:120]
	v_rcp_f64_e32 v[91:92], v[86:87]
	v_fma_f64 v[93:94], -v[86:87], v[91:92], 1.0
	v_fma_f64 v[91:92], v[91:92], v[93:94], v[91:92]
	v_div_scale_f64 v[93:94], vcc, v[119:120], v[117:118], v[119:120]
	v_fma_f64 v[95:96], -v[86:87], v[91:92], 1.0
	v_fma_f64 v[91:92], v[91:92], v[95:96], v[91:92]
	v_mul_f64 v[95:96], v[93:94], v[91:92]
	v_fma_f64 v[86:87], -v[86:87], v[95:96], v[93:94]
	v_div_fmas_f64 v[86:87], v[86:87], v[91:92], v[95:96]
	v_div_fixup_f64 v[86:87], v[86:87], v[117:118], v[119:120]
	v_fma_f64 v[91:92], v[119:120], v[86:87], v[117:118]
	v_div_scale_f64 v[93:94], s[20:21], v[91:92], v[91:92], 1.0
	v_div_scale_f64 v[99:100], vcc, 1.0, v[91:92], 1.0
	v_rcp_f64_e32 v[95:96], v[93:94]
	v_fma_f64 v[97:98], -v[93:94], v[95:96], 1.0
	v_fma_f64 v[95:96], v[95:96], v[97:98], v[95:96]
	v_fma_f64 v[97:98], -v[93:94], v[95:96], 1.0
	v_fma_f64 v[95:96], v[95:96], v[97:98], v[95:96]
	v_mul_f64 v[97:98], v[99:100], v[95:96]
	v_fma_f64 v[93:94], -v[93:94], v[97:98], v[99:100]
	v_div_fmas_f64 v[93:94], v[93:94], v[95:96], v[97:98]
	v_div_fixup_f64 v[117:118], v[93:94], v[91:92], 1.0
	v_mul_f64 v[119:120], v[86:87], -v[117:118]
.LBB118_1059:
	s_or_b64 exec, exec, s[18:19]
.LBB118_1060:
	s_or_b64 exec, exec, s[0:1]
	v_cmp_ne_u32_e32 vcc, v89, v85
	s_and_saveexec_b64 s[0:1], vcc
	s_xor_b64 s[0:1], exec, s[0:1]
	s_cbranch_execz .LBB118_1066
; %bb.1061:
	v_cmp_eq_u32_e32 vcc, 50, v89
	s_and_saveexec_b64 s[18:19], vcc
	s_cbranch_execz .LBB118_1065
; %bb.1062:
	v_cmp_ne_u32_e32 vcc, 50, v85
	s_xor_b64 s[20:21], s[6:7], -1
	s_and_b64 s[22:23], s[20:21], vcc
	s_and_saveexec_b64 s[20:21], s[22:23]
	s_cbranch_execz .LBB118_1064
; %bb.1063:
	v_ashrrev_i32_e32 v86, 31, v85
	v_lshlrev_b64 v[86:87], 2, v[85:86]
	v_add_co_u32_e32 v86, vcc, v107, v86
	v_addc_co_u32_e32 v87, vcc, v108, v87, vcc
	global_load_dword v88, v[86:87], off
	global_load_dword v89, v[107:108], off offset:200
	s_waitcnt vmcnt(1)
	global_store_dword v[107:108], v88, off offset:200
	s_waitcnt vmcnt(1)
	global_store_dword v[86:87], v89, off
.LBB118_1064:
	s_or_b64 exec, exec, s[20:21]
	v_mov_b32_e32 v89, v85
	v_mov_b32_e32 v127, v85
.LBB118_1065:
	s_or_b64 exec, exec, s[18:19]
.LBB118_1066:
	s_andn2_saveexec_b64 s[0:1], s[0:1]
	s_cbranch_execz .LBB118_1068
; %bb.1067:
	v_mov_b32_e32 v89, 50
	ds_write2_b64 v0, v[29:30], v[31:32] offset0:102 offset1:103
	ds_write2_b64 v0, v[25:26], v[27:28] offset0:104 offset1:105
	;; [unrolled: 1-line block ×9, first 2 shown]
.LBB118_1068:
	s_or_b64 exec, exec, s[0:1]
	v_cmp_lt_i32_e32 vcc, 50, v89
	s_waitcnt vmcnt(0) lgkmcnt(0)
	s_barrier
	s_and_saveexec_b64 s[0:1], vcc
	s_cbranch_execz .LBB118_1070
; %bb.1069:
	v_mul_f64 v[85:86], v[117:118], v[35:36]
	v_mul_f64 v[35:36], v[119:120], v[35:36]
	ds_read2_b64 v[91:94], v0 offset0:102 offset1:103
	v_fma_f64 v[85:86], v[119:120], v[33:34], v[85:86]
	v_fma_f64 v[33:34], v[117:118], v[33:34], -v[35:36]
	s_waitcnt lgkmcnt(0)
	v_mul_f64 v[35:36], v[93:94], v[85:86]
	v_mul_f64 v[87:88], v[91:92], v[85:86]
	v_fma_f64 v[35:36], v[91:92], v[33:34], -v[35:36]
	v_fma_f64 v[87:88], v[93:94], v[33:34], v[87:88]
	ds_read2_b64 v[91:94], v0 offset0:104 offset1:105
	v_add_f64 v[29:30], v[29:30], -v[35:36]
	v_add_f64 v[31:32], v[31:32], -v[87:88]
	s_waitcnt lgkmcnt(0)
	v_mul_f64 v[35:36], v[93:94], v[85:86]
	v_mul_f64 v[87:88], v[91:92], v[85:86]
	v_fma_f64 v[35:36], v[91:92], v[33:34], -v[35:36]
	v_fma_f64 v[87:88], v[93:94], v[33:34], v[87:88]
	ds_read2_b64 v[91:94], v0 offset0:106 offset1:107
	v_add_f64 v[25:26], v[25:26], -v[35:36]
	v_add_f64 v[27:28], v[27:28], -v[87:88]
	;; [unrolled: 8-line block ×8, first 2 shown]
	s_waitcnt lgkmcnt(0)
	v_mul_f64 v[35:36], v[93:94], v[85:86]
	v_mul_f64 v[87:88], v[91:92], v[85:86]
	v_fma_f64 v[35:36], v[91:92], v[33:34], -v[35:36]
	v_fma_f64 v[87:88], v[93:94], v[33:34], v[87:88]
	v_add_f64 v[121:122], v[121:122], -v[35:36]
	v_add_f64 v[123:124], v[123:124], -v[87:88]
	v_mov_b32_e32 v35, v85
	v_mov_b32_e32 v36, v86
.LBB118_1070:
	s_or_b64 exec, exec, s[0:1]
	v_lshl_add_u32 v85, v89, 4, v0
	s_barrier
	ds_write2_b64 v85, v[29:30], v[31:32] offset1:1
	s_waitcnt lgkmcnt(0)
	s_barrier
	ds_read2_b64 v[117:120], v0 offset0:102 offset1:103
	s_cmp_lt_i32 s3, 53
	v_mov_b32_e32 v85, 51
	s_cbranch_scc1 .LBB118_1073
; %bb.1071:
	v_add_u32_e32 v86, 0x340, v0
	s_mov_b32 s0, 52
	v_mov_b32_e32 v85, 51
.LBB118_1072:                           ; =>This Inner Loop Header: Depth=1
	s_waitcnt lgkmcnt(0)
	v_cmp_gt_f64_e32 vcc, 0, v[117:118]
	v_xor_b32_e32 v87, 0x80000000, v118
	ds_read2_b64 v[91:94], v86 offset1:1
	v_xor_b32_e32 v95, 0x80000000, v120
	v_add_u32_e32 v86, 16, v86
	s_waitcnt lgkmcnt(0)
	v_xor_b32_e32 v97, 0x80000000, v94
	v_cndmask_b32_e32 v88, v118, v87, vcc
	v_cmp_gt_f64_e32 vcc, 0, v[119:120]
	v_mov_b32_e32 v87, v117
	v_cndmask_b32_e32 v96, v120, v95, vcc
	v_cmp_gt_f64_e32 vcc, 0, v[91:92]
	v_mov_b32_e32 v95, v119
	v_add_f64 v[87:88], v[87:88], v[95:96]
	v_xor_b32_e32 v95, 0x80000000, v92
	v_cndmask_b32_e32 v96, v92, v95, vcc
	v_cmp_gt_f64_e32 vcc, 0, v[93:94]
	v_mov_b32_e32 v95, v91
	v_cndmask_b32_e32 v98, v94, v97, vcc
	v_mov_b32_e32 v97, v93
	v_add_f64 v[95:96], v[95:96], v[97:98]
	v_cmp_lt_f64_e32 vcc, v[87:88], v[95:96]
	v_mov_b32_e32 v87, s0
	s_add_i32 s0, s0, 1
	s_cmp_lg_u32 s3, s0
	v_cndmask_b32_e32 v118, v118, v92, vcc
	v_cndmask_b32_e32 v117, v117, v91, vcc
	;; [unrolled: 1-line block ×5, first 2 shown]
	s_cbranch_scc1 .LBB118_1072
.LBB118_1073:
	s_waitcnt lgkmcnt(0)
	v_cmp_eq_f64_e32 vcc, 0, v[117:118]
	v_cmp_eq_f64_e64 s[0:1], 0, v[119:120]
	s_and_b64 s[0:1], vcc, s[0:1]
	s_and_saveexec_b64 s[18:19], s[0:1]
	s_xor_b64 s[0:1], exec, s[18:19]
; %bb.1074:
	v_cmp_ne_u32_e32 vcc, 0, v90
	v_cndmask_b32_e32 v90, 52, v90, vcc
; %bb.1075:
	s_andn2_saveexec_b64 s[0:1], s[0:1]
	s_cbranch_execz .LBB118_1081
; %bb.1076:
	v_cmp_ngt_f64_e64 s[18:19], |v[117:118]|, |v[119:120]|
	s_and_saveexec_b64 s[20:21], s[18:19]
	s_xor_b64 s[18:19], exec, s[20:21]
	s_cbranch_execz .LBB118_1078
; %bb.1077:
	v_div_scale_f64 v[86:87], s[20:21], v[119:120], v[119:120], v[117:118]
	v_rcp_f64_e32 v[91:92], v[86:87]
	v_fma_f64 v[93:94], -v[86:87], v[91:92], 1.0
	v_fma_f64 v[91:92], v[91:92], v[93:94], v[91:92]
	v_div_scale_f64 v[93:94], vcc, v[117:118], v[119:120], v[117:118]
	v_fma_f64 v[95:96], -v[86:87], v[91:92], 1.0
	v_fma_f64 v[91:92], v[91:92], v[95:96], v[91:92]
	v_mul_f64 v[95:96], v[93:94], v[91:92]
	v_fma_f64 v[86:87], -v[86:87], v[95:96], v[93:94]
	v_div_fmas_f64 v[86:87], v[86:87], v[91:92], v[95:96]
	v_div_fixup_f64 v[86:87], v[86:87], v[119:120], v[117:118]
	v_fma_f64 v[91:92], v[117:118], v[86:87], v[119:120]
	v_div_scale_f64 v[93:94], s[20:21], v[91:92], v[91:92], 1.0
	v_div_scale_f64 v[99:100], vcc, 1.0, v[91:92], 1.0
	v_rcp_f64_e32 v[95:96], v[93:94]
	v_fma_f64 v[97:98], -v[93:94], v[95:96], 1.0
	v_fma_f64 v[95:96], v[95:96], v[97:98], v[95:96]
	v_fma_f64 v[97:98], -v[93:94], v[95:96], 1.0
	v_fma_f64 v[95:96], v[95:96], v[97:98], v[95:96]
	v_mul_f64 v[97:98], v[99:100], v[95:96]
	v_fma_f64 v[93:94], -v[93:94], v[97:98], v[99:100]
	v_div_fmas_f64 v[93:94], v[93:94], v[95:96], v[97:98]
	v_div_fixup_f64 v[119:120], v[93:94], v[91:92], 1.0
	v_mul_f64 v[117:118], v[86:87], v[119:120]
	v_xor_b32_e32 v120, 0x80000000, v120
.LBB118_1078:
	s_andn2_saveexec_b64 s[18:19], s[18:19]
	s_cbranch_execz .LBB118_1080
; %bb.1079:
	v_div_scale_f64 v[86:87], s[20:21], v[117:118], v[117:118], v[119:120]
	v_rcp_f64_e32 v[91:92], v[86:87]
	v_fma_f64 v[93:94], -v[86:87], v[91:92], 1.0
	v_fma_f64 v[91:92], v[91:92], v[93:94], v[91:92]
	v_div_scale_f64 v[93:94], vcc, v[119:120], v[117:118], v[119:120]
	v_fma_f64 v[95:96], -v[86:87], v[91:92], 1.0
	v_fma_f64 v[91:92], v[91:92], v[95:96], v[91:92]
	v_mul_f64 v[95:96], v[93:94], v[91:92]
	v_fma_f64 v[86:87], -v[86:87], v[95:96], v[93:94]
	v_div_fmas_f64 v[86:87], v[86:87], v[91:92], v[95:96]
	v_div_fixup_f64 v[86:87], v[86:87], v[117:118], v[119:120]
	v_fma_f64 v[91:92], v[119:120], v[86:87], v[117:118]
	v_div_scale_f64 v[93:94], s[20:21], v[91:92], v[91:92], 1.0
	v_div_scale_f64 v[99:100], vcc, 1.0, v[91:92], 1.0
	v_rcp_f64_e32 v[95:96], v[93:94]
	v_fma_f64 v[97:98], -v[93:94], v[95:96], 1.0
	v_fma_f64 v[95:96], v[95:96], v[97:98], v[95:96]
	v_fma_f64 v[97:98], -v[93:94], v[95:96], 1.0
	v_fma_f64 v[95:96], v[95:96], v[97:98], v[95:96]
	v_mul_f64 v[97:98], v[99:100], v[95:96]
	v_fma_f64 v[93:94], -v[93:94], v[97:98], v[99:100]
	v_div_fmas_f64 v[93:94], v[93:94], v[95:96], v[97:98]
	v_div_fixup_f64 v[117:118], v[93:94], v[91:92], 1.0
	v_mul_f64 v[119:120], v[86:87], -v[117:118]
.LBB118_1080:
	s_or_b64 exec, exec, s[18:19]
.LBB118_1081:
	s_or_b64 exec, exec, s[0:1]
	v_cmp_ne_u32_e32 vcc, v89, v85
	s_and_saveexec_b64 s[0:1], vcc
	s_xor_b64 s[0:1], exec, s[0:1]
	s_cbranch_execz .LBB118_1087
; %bb.1082:
	v_cmp_eq_u32_e32 vcc, 51, v89
	s_and_saveexec_b64 s[18:19], vcc
	s_cbranch_execz .LBB118_1086
; %bb.1083:
	v_cmp_ne_u32_e32 vcc, 51, v85
	s_xor_b64 s[20:21], s[6:7], -1
	s_and_b64 s[22:23], s[20:21], vcc
	s_and_saveexec_b64 s[20:21], s[22:23]
	s_cbranch_execz .LBB118_1085
; %bb.1084:
	v_ashrrev_i32_e32 v86, 31, v85
	v_lshlrev_b64 v[86:87], 2, v[85:86]
	v_add_co_u32_e32 v86, vcc, v107, v86
	v_addc_co_u32_e32 v87, vcc, v108, v87, vcc
	global_load_dword v88, v[86:87], off
	global_load_dword v89, v[107:108], off offset:204
	s_waitcnt vmcnt(1)
	global_store_dword v[107:108], v88, off offset:204
	s_waitcnt vmcnt(1)
	global_store_dword v[86:87], v89, off
.LBB118_1085:
	s_or_b64 exec, exec, s[20:21]
	v_mov_b32_e32 v89, v85
	v_mov_b32_e32 v127, v85
.LBB118_1086:
	s_or_b64 exec, exec, s[18:19]
.LBB118_1087:
	s_andn2_saveexec_b64 s[0:1], s[0:1]
	s_cbranch_execz .LBB118_1089
; %bb.1088:
	v_mov_b32_e32 v89, 51
	ds_write2_b64 v0, v[25:26], v[27:28] offset0:104 offset1:105
	ds_write2_b64 v0, v[21:22], v[23:24] offset0:106 offset1:107
	;; [unrolled: 1-line block ×8, first 2 shown]
.LBB118_1089:
	s_or_b64 exec, exec, s[0:1]
	v_cmp_lt_i32_e32 vcc, 51, v89
	s_waitcnt vmcnt(0) lgkmcnt(0)
	s_barrier
	s_and_saveexec_b64 s[0:1], vcc
	s_cbranch_execz .LBB118_1091
; %bb.1090:
	v_mul_f64 v[85:86], v[117:118], v[31:32]
	v_mul_f64 v[31:32], v[119:120], v[31:32]
	ds_read2_b64 v[91:94], v0 offset0:104 offset1:105
	v_fma_f64 v[85:86], v[119:120], v[29:30], v[85:86]
	v_fma_f64 v[29:30], v[117:118], v[29:30], -v[31:32]
	s_waitcnt lgkmcnt(0)
	v_mul_f64 v[31:32], v[93:94], v[85:86]
	v_mul_f64 v[87:88], v[91:92], v[85:86]
	v_fma_f64 v[31:32], v[91:92], v[29:30], -v[31:32]
	v_fma_f64 v[87:88], v[93:94], v[29:30], v[87:88]
	ds_read2_b64 v[91:94], v0 offset0:106 offset1:107
	v_add_f64 v[25:26], v[25:26], -v[31:32]
	v_add_f64 v[27:28], v[27:28], -v[87:88]
	s_waitcnt lgkmcnt(0)
	v_mul_f64 v[31:32], v[93:94], v[85:86]
	v_mul_f64 v[87:88], v[91:92], v[85:86]
	v_fma_f64 v[31:32], v[91:92], v[29:30], -v[31:32]
	v_fma_f64 v[87:88], v[93:94], v[29:30], v[87:88]
	ds_read2_b64 v[91:94], v0 offset0:108 offset1:109
	v_add_f64 v[21:22], v[21:22], -v[31:32]
	v_add_f64 v[23:24], v[23:24], -v[87:88]
	;; [unrolled: 8-line block ×7, first 2 shown]
	s_waitcnt lgkmcnt(0)
	v_mul_f64 v[31:32], v[93:94], v[85:86]
	v_mul_f64 v[87:88], v[91:92], v[85:86]
	v_fma_f64 v[31:32], v[91:92], v[29:30], -v[31:32]
	v_fma_f64 v[87:88], v[93:94], v[29:30], v[87:88]
	v_add_f64 v[121:122], v[121:122], -v[31:32]
	v_add_f64 v[123:124], v[123:124], -v[87:88]
	v_mov_b32_e32 v31, v85
	v_mov_b32_e32 v32, v86
.LBB118_1091:
	s_or_b64 exec, exec, s[0:1]
	v_lshl_add_u32 v85, v89, 4, v0
	s_barrier
	ds_write2_b64 v85, v[25:26], v[27:28] offset1:1
	s_waitcnt lgkmcnt(0)
	s_barrier
	ds_read2_b64 v[117:120], v0 offset0:104 offset1:105
	s_cmp_lt_i32 s3, 54
	v_mov_b32_e32 v85, 52
	s_cbranch_scc1 .LBB118_1094
; %bb.1092:
	v_add_u32_e32 v86, 0x350, v0
	s_mov_b32 s0, 53
	v_mov_b32_e32 v85, 52
.LBB118_1093:                           ; =>This Inner Loop Header: Depth=1
	s_waitcnt lgkmcnt(0)
	v_cmp_gt_f64_e32 vcc, 0, v[117:118]
	v_xor_b32_e32 v87, 0x80000000, v118
	ds_read2_b64 v[91:94], v86 offset1:1
	v_xor_b32_e32 v95, 0x80000000, v120
	v_add_u32_e32 v86, 16, v86
	s_waitcnt lgkmcnt(0)
	v_xor_b32_e32 v97, 0x80000000, v94
	v_cndmask_b32_e32 v88, v118, v87, vcc
	v_cmp_gt_f64_e32 vcc, 0, v[119:120]
	v_mov_b32_e32 v87, v117
	v_cndmask_b32_e32 v96, v120, v95, vcc
	v_cmp_gt_f64_e32 vcc, 0, v[91:92]
	v_mov_b32_e32 v95, v119
	v_add_f64 v[87:88], v[87:88], v[95:96]
	v_xor_b32_e32 v95, 0x80000000, v92
	v_cndmask_b32_e32 v96, v92, v95, vcc
	v_cmp_gt_f64_e32 vcc, 0, v[93:94]
	v_mov_b32_e32 v95, v91
	v_cndmask_b32_e32 v98, v94, v97, vcc
	v_mov_b32_e32 v97, v93
	v_add_f64 v[95:96], v[95:96], v[97:98]
	v_cmp_lt_f64_e32 vcc, v[87:88], v[95:96]
	v_mov_b32_e32 v87, s0
	s_add_i32 s0, s0, 1
	s_cmp_lg_u32 s3, s0
	v_cndmask_b32_e32 v118, v118, v92, vcc
	v_cndmask_b32_e32 v117, v117, v91, vcc
	;; [unrolled: 1-line block ×5, first 2 shown]
	s_cbranch_scc1 .LBB118_1093
.LBB118_1094:
	s_waitcnt lgkmcnt(0)
	v_cmp_eq_f64_e32 vcc, 0, v[117:118]
	v_cmp_eq_f64_e64 s[0:1], 0, v[119:120]
	s_and_b64 s[0:1], vcc, s[0:1]
	s_and_saveexec_b64 s[18:19], s[0:1]
	s_xor_b64 s[0:1], exec, s[18:19]
; %bb.1095:
	v_cmp_ne_u32_e32 vcc, 0, v90
	v_cndmask_b32_e32 v90, 53, v90, vcc
; %bb.1096:
	s_andn2_saveexec_b64 s[0:1], s[0:1]
	s_cbranch_execz .LBB118_1102
; %bb.1097:
	v_cmp_ngt_f64_e64 s[18:19], |v[117:118]|, |v[119:120]|
	s_and_saveexec_b64 s[20:21], s[18:19]
	s_xor_b64 s[18:19], exec, s[20:21]
	s_cbranch_execz .LBB118_1099
; %bb.1098:
	v_div_scale_f64 v[86:87], s[20:21], v[119:120], v[119:120], v[117:118]
	v_rcp_f64_e32 v[91:92], v[86:87]
	v_fma_f64 v[93:94], -v[86:87], v[91:92], 1.0
	v_fma_f64 v[91:92], v[91:92], v[93:94], v[91:92]
	v_div_scale_f64 v[93:94], vcc, v[117:118], v[119:120], v[117:118]
	v_fma_f64 v[95:96], -v[86:87], v[91:92], 1.0
	v_fma_f64 v[91:92], v[91:92], v[95:96], v[91:92]
	v_mul_f64 v[95:96], v[93:94], v[91:92]
	v_fma_f64 v[86:87], -v[86:87], v[95:96], v[93:94]
	v_div_fmas_f64 v[86:87], v[86:87], v[91:92], v[95:96]
	v_div_fixup_f64 v[86:87], v[86:87], v[119:120], v[117:118]
	v_fma_f64 v[91:92], v[117:118], v[86:87], v[119:120]
	v_div_scale_f64 v[93:94], s[20:21], v[91:92], v[91:92], 1.0
	v_div_scale_f64 v[99:100], vcc, 1.0, v[91:92], 1.0
	v_rcp_f64_e32 v[95:96], v[93:94]
	v_fma_f64 v[97:98], -v[93:94], v[95:96], 1.0
	v_fma_f64 v[95:96], v[95:96], v[97:98], v[95:96]
	v_fma_f64 v[97:98], -v[93:94], v[95:96], 1.0
	v_fma_f64 v[95:96], v[95:96], v[97:98], v[95:96]
	v_mul_f64 v[97:98], v[99:100], v[95:96]
	v_fma_f64 v[93:94], -v[93:94], v[97:98], v[99:100]
	v_div_fmas_f64 v[93:94], v[93:94], v[95:96], v[97:98]
	v_div_fixup_f64 v[119:120], v[93:94], v[91:92], 1.0
	v_mul_f64 v[117:118], v[86:87], v[119:120]
	v_xor_b32_e32 v120, 0x80000000, v120
.LBB118_1099:
	s_andn2_saveexec_b64 s[18:19], s[18:19]
	s_cbranch_execz .LBB118_1101
; %bb.1100:
	v_div_scale_f64 v[86:87], s[20:21], v[117:118], v[117:118], v[119:120]
	v_rcp_f64_e32 v[91:92], v[86:87]
	v_fma_f64 v[93:94], -v[86:87], v[91:92], 1.0
	v_fma_f64 v[91:92], v[91:92], v[93:94], v[91:92]
	v_div_scale_f64 v[93:94], vcc, v[119:120], v[117:118], v[119:120]
	v_fma_f64 v[95:96], -v[86:87], v[91:92], 1.0
	v_fma_f64 v[91:92], v[91:92], v[95:96], v[91:92]
	v_mul_f64 v[95:96], v[93:94], v[91:92]
	v_fma_f64 v[86:87], -v[86:87], v[95:96], v[93:94]
	v_div_fmas_f64 v[86:87], v[86:87], v[91:92], v[95:96]
	v_div_fixup_f64 v[86:87], v[86:87], v[117:118], v[119:120]
	v_fma_f64 v[91:92], v[119:120], v[86:87], v[117:118]
	v_div_scale_f64 v[93:94], s[20:21], v[91:92], v[91:92], 1.0
	v_div_scale_f64 v[99:100], vcc, 1.0, v[91:92], 1.0
	v_rcp_f64_e32 v[95:96], v[93:94]
	v_fma_f64 v[97:98], -v[93:94], v[95:96], 1.0
	v_fma_f64 v[95:96], v[95:96], v[97:98], v[95:96]
	v_fma_f64 v[97:98], -v[93:94], v[95:96], 1.0
	v_fma_f64 v[95:96], v[95:96], v[97:98], v[95:96]
	v_mul_f64 v[97:98], v[99:100], v[95:96]
	v_fma_f64 v[93:94], -v[93:94], v[97:98], v[99:100]
	v_div_fmas_f64 v[93:94], v[93:94], v[95:96], v[97:98]
	v_div_fixup_f64 v[117:118], v[93:94], v[91:92], 1.0
	v_mul_f64 v[119:120], v[86:87], -v[117:118]
.LBB118_1101:
	s_or_b64 exec, exec, s[18:19]
.LBB118_1102:
	s_or_b64 exec, exec, s[0:1]
	v_cmp_ne_u32_e32 vcc, v89, v85
	s_and_saveexec_b64 s[0:1], vcc
	s_xor_b64 s[0:1], exec, s[0:1]
	s_cbranch_execz .LBB118_1108
; %bb.1103:
	v_cmp_eq_u32_e32 vcc, 52, v89
	s_and_saveexec_b64 s[18:19], vcc
	s_cbranch_execz .LBB118_1107
; %bb.1104:
	v_cmp_ne_u32_e32 vcc, 52, v85
	s_xor_b64 s[20:21], s[6:7], -1
	s_and_b64 s[22:23], s[20:21], vcc
	s_and_saveexec_b64 s[20:21], s[22:23]
	s_cbranch_execz .LBB118_1106
; %bb.1105:
	v_ashrrev_i32_e32 v86, 31, v85
	v_lshlrev_b64 v[86:87], 2, v[85:86]
	v_add_co_u32_e32 v86, vcc, v107, v86
	v_addc_co_u32_e32 v87, vcc, v108, v87, vcc
	global_load_dword v88, v[86:87], off
	global_load_dword v89, v[107:108], off offset:208
	s_waitcnt vmcnt(1)
	global_store_dword v[107:108], v88, off offset:208
	s_waitcnt vmcnt(1)
	global_store_dword v[86:87], v89, off
.LBB118_1106:
	s_or_b64 exec, exec, s[20:21]
	v_mov_b32_e32 v89, v85
	v_mov_b32_e32 v127, v85
.LBB118_1107:
	s_or_b64 exec, exec, s[18:19]
.LBB118_1108:
	s_andn2_saveexec_b64 s[0:1], s[0:1]
	s_cbranch_execz .LBB118_1110
; %bb.1109:
	v_mov_b32_e32 v89, 52
	ds_write2_b64 v0, v[21:22], v[23:24] offset0:106 offset1:107
	ds_write2_b64 v0, v[17:18], v[19:20] offset0:108 offset1:109
	;; [unrolled: 1-line block ×7, first 2 shown]
.LBB118_1110:
	s_or_b64 exec, exec, s[0:1]
	v_cmp_lt_i32_e32 vcc, 52, v89
	s_waitcnt vmcnt(0) lgkmcnt(0)
	s_barrier
	s_and_saveexec_b64 s[0:1], vcc
	s_cbranch_execz .LBB118_1112
; %bb.1111:
	v_mul_f64 v[85:86], v[117:118], v[27:28]
	v_mul_f64 v[27:28], v[119:120], v[27:28]
	ds_read2_b64 v[91:94], v0 offset0:106 offset1:107
	v_fma_f64 v[85:86], v[119:120], v[25:26], v[85:86]
	v_fma_f64 v[25:26], v[117:118], v[25:26], -v[27:28]
	s_waitcnt lgkmcnt(0)
	v_mul_f64 v[27:28], v[93:94], v[85:86]
	v_mul_f64 v[87:88], v[91:92], v[85:86]
	v_fma_f64 v[27:28], v[91:92], v[25:26], -v[27:28]
	v_fma_f64 v[87:88], v[93:94], v[25:26], v[87:88]
	ds_read2_b64 v[91:94], v0 offset0:108 offset1:109
	v_add_f64 v[21:22], v[21:22], -v[27:28]
	v_add_f64 v[23:24], v[23:24], -v[87:88]
	s_waitcnt lgkmcnt(0)
	v_mul_f64 v[27:28], v[93:94], v[85:86]
	v_mul_f64 v[87:88], v[91:92], v[85:86]
	v_fma_f64 v[27:28], v[91:92], v[25:26], -v[27:28]
	v_fma_f64 v[87:88], v[93:94], v[25:26], v[87:88]
	ds_read2_b64 v[91:94], v0 offset0:110 offset1:111
	v_add_f64 v[17:18], v[17:18], -v[27:28]
	v_add_f64 v[19:20], v[19:20], -v[87:88]
	;; [unrolled: 8-line block ×6, first 2 shown]
	s_waitcnt lgkmcnt(0)
	v_mul_f64 v[27:28], v[93:94], v[85:86]
	v_mul_f64 v[87:88], v[91:92], v[85:86]
	v_fma_f64 v[27:28], v[91:92], v[25:26], -v[27:28]
	v_fma_f64 v[87:88], v[93:94], v[25:26], v[87:88]
	v_add_f64 v[121:122], v[121:122], -v[27:28]
	v_add_f64 v[123:124], v[123:124], -v[87:88]
	v_mov_b32_e32 v27, v85
	v_mov_b32_e32 v28, v86
.LBB118_1112:
	s_or_b64 exec, exec, s[0:1]
	v_lshl_add_u32 v85, v89, 4, v0
	s_barrier
	ds_write2_b64 v85, v[21:22], v[23:24] offset1:1
	s_waitcnt lgkmcnt(0)
	s_barrier
	ds_read2_b64 v[117:120], v0 offset0:106 offset1:107
	s_cmp_lt_i32 s3, 55
	v_mov_b32_e32 v85, 53
	s_cbranch_scc1 .LBB118_1115
; %bb.1113:
	v_add_u32_e32 v86, 0x360, v0
	s_mov_b32 s0, 54
	v_mov_b32_e32 v85, 53
.LBB118_1114:                           ; =>This Inner Loop Header: Depth=1
	s_waitcnt lgkmcnt(0)
	v_cmp_gt_f64_e32 vcc, 0, v[117:118]
	v_xor_b32_e32 v87, 0x80000000, v118
	ds_read2_b64 v[91:94], v86 offset1:1
	v_xor_b32_e32 v95, 0x80000000, v120
	v_add_u32_e32 v86, 16, v86
	s_waitcnt lgkmcnt(0)
	v_xor_b32_e32 v97, 0x80000000, v94
	v_cndmask_b32_e32 v88, v118, v87, vcc
	v_cmp_gt_f64_e32 vcc, 0, v[119:120]
	v_mov_b32_e32 v87, v117
	v_cndmask_b32_e32 v96, v120, v95, vcc
	v_cmp_gt_f64_e32 vcc, 0, v[91:92]
	v_mov_b32_e32 v95, v119
	v_add_f64 v[87:88], v[87:88], v[95:96]
	v_xor_b32_e32 v95, 0x80000000, v92
	v_cndmask_b32_e32 v96, v92, v95, vcc
	v_cmp_gt_f64_e32 vcc, 0, v[93:94]
	v_mov_b32_e32 v95, v91
	v_cndmask_b32_e32 v98, v94, v97, vcc
	v_mov_b32_e32 v97, v93
	v_add_f64 v[95:96], v[95:96], v[97:98]
	v_cmp_lt_f64_e32 vcc, v[87:88], v[95:96]
	v_mov_b32_e32 v87, s0
	s_add_i32 s0, s0, 1
	s_cmp_lg_u32 s3, s0
	v_cndmask_b32_e32 v118, v118, v92, vcc
	v_cndmask_b32_e32 v117, v117, v91, vcc
	;; [unrolled: 1-line block ×5, first 2 shown]
	s_cbranch_scc1 .LBB118_1114
.LBB118_1115:
	s_waitcnt lgkmcnt(0)
	v_cmp_eq_f64_e32 vcc, 0, v[117:118]
	v_cmp_eq_f64_e64 s[0:1], 0, v[119:120]
	s_and_b64 s[0:1], vcc, s[0:1]
	s_and_saveexec_b64 s[18:19], s[0:1]
	s_xor_b64 s[0:1], exec, s[18:19]
; %bb.1116:
	v_cmp_ne_u32_e32 vcc, 0, v90
	v_cndmask_b32_e32 v90, 54, v90, vcc
; %bb.1117:
	s_andn2_saveexec_b64 s[0:1], s[0:1]
	s_cbranch_execz .LBB118_1123
; %bb.1118:
	v_cmp_ngt_f64_e64 s[18:19], |v[117:118]|, |v[119:120]|
	s_and_saveexec_b64 s[20:21], s[18:19]
	s_xor_b64 s[18:19], exec, s[20:21]
	s_cbranch_execz .LBB118_1120
; %bb.1119:
	v_div_scale_f64 v[86:87], s[20:21], v[119:120], v[119:120], v[117:118]
	v_rcp_f64_e32 v[91:92], v[86:87]
	v_fma_f64 v[93:94], -v[86:87], v[91:92], 1.0
	v_fma_f64 v[91:92], v[91:92], v[93:94], v[91:92]
	v_div_scale_f64 v[93:94], vcc, v[117:118], v[119:120], v[117:118]
	v_fma_f64 v[95:96], -v[86:87], v[91:92], 1.0
	v_fma_f64 v[91:92], v[91:92], v[95:96], v[91:92]
	v_mul_f64 v[95:96], v[93:94], v[91:92]
	v_fma_f64 v[86:87], -v[86:87], v[95:96], v[93:94]
	v_div_fmas_f64 v[86:87], v[86:87], v[91:92], v[95:96]
	v_div_fixup_f64 v[86:87], v[86:87], v[119:120], v[117:118]
	v_fma_f64 v[91:92], v[117:118], v[86:87], v[119:120]
	v_div_scale_f64 v[93:94], s[20:21], v[91:92], v[91:92], 1.0
	v_div_scale_f64 v[99:100], vcc, 1.0, v[91:92], 1.0
	v_rcp_f64_e32 v[95:96], v[93:94]
	v_fma_f64 v[97:98], -v[93:94], v[95:96], 1.0
	v_fma_f64 v[95:96], v[95:96], v[97:98], v[95:96]
	v_fma_f64 v[97:98], -v[93:94], v[95:96], 1.0
	v_fma_f64 v[95:96], v[95:96], v[97:98], v[95:96]
	v_mul_f64 v[97:98], v[99:100], v[95:96]
	v_fma_f64 v[93:94], -v[93:94], v[97:98], v[99:100]
	v_div_fmas_f64 v[93:94], v[93:94], v[95:96], v[97:98]
	v_div_fixup_f64 v[119:120], v[93:94], v[91:92], 1.0
	v_mul_f64 v[117:118], v[86:87], v[119:120]
	v_xor_b32_e32 v120, 0x80000000, v120
.LBB118_1120:
	s_andn2_saveexec_b64 s[18:19], s[18:19]
	s_cbranch_execz .LBB118_1122
; %bb.1121:
	v_div_scale_f64 v[86:87], s[20:21], v[117:118], v[117:118], v[119:120]
	v_rcp_f64_e32 v[91:92], v[86:87]
	v_fma_f64 v[93:94], -v[86:87], v[91:92], 1.0
	v_fma_f64 v[91:92], v[91:92], v[93:94], v[91:92]
	v_div_scale_f64 v[93:94], vcc, v[119:120], v[117:118], v[119:120]
	v_fma_f64 v[95:96], -v[86:87], v[91:92], 1.0
	v_fma_f64 v[91:92], v[91:92], v[95:96], v[91:92]
	v_mul_f64 v[95:96], v[93:94], v[91:92]
	v_fma_f64 v[86:87], -v[86:87], v[95:96], v[93:94]
	v_div_fmas_f64 v[86:87], v[86:87], v[91:92], v[95:96]
	v_div_fixup_f64 v[86:87], v[86:87], v[117:118], v[119:120]
	v_fma_f64 v[91:92], v[119:120], v[86:87], v[117:118]
	v_div_scale_f64 v[93:94], s[20:21], v[91:92], v[91:92], 1.0
	v_div_scale_f64 v[99:100], vcc, 1.0, v[91:92], 1.0
	v_rcp_f64_e32 v[95:96], v[93:94]
	v_fma_f64 v[97:98], -v[93:94], v[95:96], 1.0
	v_fma_f64 v[95:96], v[95:96], v[97:98], v[95:96]
	v_fma_f64 v[97:98], -v[93:94], v[95:96], 1.0
	v_fma_f64 v[95:96], v[95:96], v[97:98], v[95:96]
	v_mul_f64 v[97:98], v[99:100], v[95:96]
	v_fma_f64 v[93:94], -v[93:94], v[97:98], v[99:100]
	v_div_fmas_f64 v[93:94], v[93:94], v[95:96], v[97:98]
	v_div_fixup_f64 v[117:118], v[93:94], v[91:92], 1.0
	v_mul_f64 v[119:120], v[86:87], -v[117:118]
.LBB118_1122:
	s_or_b64 exec, exec, s[18:19]
.LBB118_1123:
	s_or_b64 exec, exec, s[0:1]
	v_cmp_ne_u32_e32 vcc, v89, v85
	s_and_saveexec_b64 s[0:1], vcc
	s_xor_b64 s[0:1], exec, s[0:1]
	s_cbranch_execz .LBB118_1129
; %bb.1124:
	v_cmp_eq_u32_e32 vcc, 53, v89
	s_and_saveexec_b64 s[18:19], vcc
	s_cbranch_execz .LBB118_1128
; %bb.1125:
	v_cmp_ne_u32_e32 vcc, 53, v85
	s_xor_b64 s[20:21], s[6:7], -1
	s_and_b64 s[22:23], s[20:21], vcc
	s_and_saveexec_b64 s[20:21], s[22:23]
	s_cbranch_execz .LBB118_1127
; %bb.1126:
	v_ashrrev_i32_e32 v86, 31, v85
	v_lshlrev_b64 v[86:87], 2, v[85:86]
	v_add_co_u32_e32 v86, vcc, v107, v86
	v_addc_co_u32_e32 v87, vcc, v108, v87, vcc
	global_load_dword v88, v[86:87], off
	global_load_dword v89, v[107:108], off offset:212
	s_waitcnt vmcnt(1)
	global_store_dword v[107:108], v88, off offset:212
	s_waitcnt vmcnt(1)
	global_store_dword v[86:87], v89, off
.LBB118_1127:
	s_or_b64 exec, exec, s[20:21]
	v_mov_b32_e32 v89, v85
	v_mov_b32_e32 v127, v85
.LBB118_1128:
	s_or_b64 exec, exec, s[18:19]
.LBB118_1129:
	s_andn2_saveexec_b64 s[0:1], s[0:1]
	s_cbranch_execz .LBB118_1131
; %bb.1130:
	v_mov_b32_e32 v89, 53
	ds_write2_b64 v0, v[17:18], v[19:20] offset0:108 offset1:109
	ds_write2_b64 v0, v[13:14], v[15:16] offset0:110 offset1:111
	ds_write2_b64 v0, v[9:10], v[11:12] offset0:112 offset1:113
	ds_write2_b64 v0, v[5:6], v[7:8] offset0:114 offset1:115
	ds_write2_b64 v0, v[1:2], v[3:4] offset0:116 offset1:117
	ds_write2_b64 v0, v[121:122], v[123:124] offset0:118 offset1:119
.LBB118_1131:
	s_or_b64 exec, exec, s[0:1]
	v_cmp_lt_i32_e32 vcc, 53, v89
	s_waitcnt vmcnt(0) lgkmcnt(0)
	s_barrier
	s_and_saveexec_b64 s[0:1], vcc
	s_cbranch_execz .LBB118_1133
; %bb.1132:
	v_mul_f64 v[85:86], v[117:118], v[23:24]
	v_mul_f64 v[23:24], v[119:120], v[23:24]
	ds_read2_b64 v[91:94], v0 offset0:108 offset1:109
	v_fma_f64 v[85:86], v[119:120], v[21:22], v[85:86]
	v_fma_f64 v[21:22], v[117:118], v[21:22], -v[23:24]
	s_waitcnt lgkmcnt(0)
	v_mul_f64 v[23:24], v[93:94], v[85:86]
	v_mul_f64 v[87:88], v[91:92], v[85:86]
	v_fma_f64 v[23:24], v[91:92], v[21:22], -v[23:24]
	v_fma_f64 v[87:88], v[93:94], v[21:22], v[87:88]
	ds_read2_b64 v[91:94], v0 offset0:110 offset1:111
	v_add_f64 v[17:18], v[17:18], -v[23:24]
	v_add_f64 v[19:20], v[19:20], -v[87:88]
	s_waitcnt lgkmcnt(0)
	v_mul_f64 v[23:24], v[93:94], v[85:86]
	v_mul_f64 v[87:88], v[91:92], v[85:86]
	v_fma_f64 v[23:24], v[91:92], v[21:22], -v[23:24]
	v_fma_f64 v[87:88], v[93:94], v[21:22], v[87:88]
	ds_read2_b64 v[91:94], v0 offset0:112 offset1:113
	v_add_f64 v[13:14], v[13:14], -v[23:24]
	v_add_f64 v[15:16], v[15:16], -v[87:88]
	;; [unrolled: 8-line block ×5, first 2 shown]
	s_waitcnt lgkmcnt(0)
	v_mul_f64 v[23:24], v[93:94], v[85:86]
	v_mul_f64 v[87:88], v[91:92], v[85:86]
	v_fma_f64 v[23:24], v[91:92], v[21:22], -v[23:24]
	v_fma_f64 v[87:88], v[93:94], v[21:22], v[87:88]
	v_add_f64 v[121:122], v[121:122], -v[23:24]
	v_add_f64 v[123:124], v[123:124], -v[87:88]
	v_mov_b32_e32 v23, v85
	v_mov_b32_e32 v24, v86
.LBB118_1133:
	s_or_b64 exec, exec, s[0:1]
	v_lshl_add_u32 v85, v89, 4, v0
	s_barrier
	ds_write2_b64 v85, v[17:18], v[19:20] offset1:1
	s_waitcnt lgkmcnt(0)
	s_barrier
	ds_read2_b64 v[117:120], v0 offset0:108 offset1:109
	s_cmp_lt_i32 s3, 56
	v_mov_b32_e32 v85, 54
	s_cbranch_scc1 .LBB118_1136
; %bb.1134:
	v_add_u32_e32 v86, 0x370, v0
	s_mov_b32 s0, 55
	v_mov_b32_e32 v85, 54
.LBB118_1135:                           ; =>This Inner Loop Header: Depth=1
	s_waitcnt lgkmcnt(0)
	v_cmp_gt_f64_e32 vcc, 0, v[117:118]
	v_xor_b32_e32 v87, 0x80000000, v118
	ds_read2_b64 v[91:94], v86 offset1:1
	v_xor_b32_e32 v95, 0x80000000, v120
	v_add_u32_e32 v86, 16, v86
	s_waitcnt lgkmcnt(0)
	v_xor_b32_e32 v97, 0x80000000, v94
	v_cndmask_b32_e32 v88, v118, v87, vcc
	v_cmp_gt_f64_e32 vcc, 0, v[119:120]
	v_mov_b32_e32 v87, v117
	v_cndmask_b32_e32 v96, v120, v95, vcc
	v_cmp_gt_f64_e32 vcc, 0, v[91:92]
	v_mov_b32_e32 v95, v119
	v_add_f64 v[87:88], v[87:88], v[95:96]
	v_xor_b32_e32 v95, 0x80000000, v92
	v_cndmask_b32_e32 v96, v92, v95, vcc
	v_cmp_gt_f64_e32 vcc, 0, v[93:94]
	v_mov_b32_e32 v95, v91
	v_cndmask_b32_e32 v98, v94, v97, vcc
	v_mov_b32_e32 v97, v93
	v_add_f64 v[95:96], v[95:96], v[97:98]
	v_cmp_lt_f64_e32 vcc, v[87:88], v[95:96]
	v_mov_b32_e32 v87, s0
	s_add_i32 s0, s0, 1
	s_cmp_lg_u32 s3, s0
	v_cndmask_b32_e32 v118, v118, v92, vcc
	v_cndmask_b32_e32 v117, v117, v91, vcc
	;; [unrolled: 1-line block ×5, first 2 shown]
	s_cbranch_scc1 .LBB118_1135
.LBB118_1136:
	s_waitcnt lgkmcnt(0)
	v_cmp_eq_f64_e32 vcc, 0, v[117:118]
	v_cmp_eq_f64_e64 s[0:1], 0, v[119:120]
	s_and_b64 s[0:1], vcc, s[0:1]
	s_and_saveexec_b64 s[18:19], s[0:1]
	s_xor_b64 s[0:1], exec, s[18:19]
; %bb.1137:
	v_cmp_ne_u32_e32 vcc, 0, v90
	v_cndmask_b32_e32 v90, 55, v90, vcc
; %bb.1138:
	s_andn2_saveexec_b64 s[0:1], s[0:1]
	s_cbranch_execz .LBB118_1144
; %bb.1139:
	v_cmp_ngt_f64_e64 s[18:19], |v[117:118]|, |v[119:120]|
	s_and_saveexec_b64 s[20:21], s[18:19]
	s_xor_b64 s[18:19], exec, s[20:21]
	s_cbranch_execz .LBB118_1141
; %bb.1140:
	v_div_scale_f64 v[86:87], s[20:21], v[119:120], v[119:120], v[117:118]
	v_rcp_f64_e32 v[91:92], v[86:87]
	v_fma_f64 v[93:94], -v[86:87], v[91:92], 1.0
	v_fma_f64 v[91:92], v[91:92], v[93:94], v[91:92]
	v_div_scale_f64 v[93:94], vcc, v[117:118], v[119:120], v[117:118]
	v_fma_f64 v[95:96], -v[86:87], v[91:92], 1.0
	v_fma_f64 v[91:92], v[91:92], v[95:96], v[91:92]
	v_mul_f64 v[95:96], v[93:94], v[91:92]
	v_fma_f64 v[86:87], -v[86:87], v[95:96], v[93:94]
	v_div_fmas_f64 v[86:87], v[86:87], v[91:92], v[95:96]
	v_div_fixup_f64 v[86:87], v[86:87], v[119:120], v[117:118]
	v_fma_f64 v[91:92], v[117:118], v[86:87], v[119:120]
	v_div_scale_f64 v[93:94], s[20:21], v[91:92], v[91:92], 1.0
	v_div_scale_f64 v[99:100], vcc, 1.0, v[91:92], 1.0
	v_rcp_f64_e32 v[95:96], v[93:94]
	v_fma_f64 v[97:98], -v[93:94], v[95:96], 1.0
	v_fma_f64 v[95:96], v[95:96], v[97:98], v[95:96]
	v_fma_f64 v[97:98], -v[93:94], v[95:96], 1.0
	v_fma_f64 v[95:96], v[95:96], v[97:98], v[95:96]
	v_mul_f64 v[97:98], v[99:100], v[95:96]
	v_fma_f64 v[93:94], -v[93:94], v[97:98], v[99:100]
	v_div_fmas_f64 v[93:94], v[93:94], v[95:96], v[97:98]
	v_div_fixup_f64 v[119:120], v[93:94], v[91:92], 1.0
	v_mul_f64 v[117:118], v[86:87], v[119:120]
	v_xor_b32_e32 v120, 0x80000000, v120
.LBB118_1141:
	s_andn2_saveexec_b64 s[18:19], s[18:19]
	s_cbranch_execz .LBB118_1143
; %bb.1142:
	v_div_scale_f64 v[86:87], s[20:21], v[117:118], v[117:118], v[119:120]
	v_rcp_f64_e32 v[91:92], v[86:87]
	v_fma_f64 v[93:94], -v[86:87], v[91:92], 1.0
	v_fma_f64 v[91:92], v[91:92], v[93:94], v[91:92]
	v_div_scale_f64 v[93:94], vcc, v[119:120], v[117:118], v[119:120]
	v_fma_f64 v[95:96], -v[86:87], v[91:92], 1.0
	v_fma_f64 v[91:92], v[91:92], v[95:96], v[91:92]
	v_mul_f64 v[95:96], v[93:94], v[91:92]
	v_fma_f64 v[86:87], -v[86:87], v[95:96], v[93:94]
	v_div_fmas_f64 v[86:87], v[86:87], v[91:92], v[95:96]
	v_div_fixup_f64 v[86:87], v[86:87], v[117:118], v[119:120]
	v_fma_f64 v[91:92], v[119:120], v[86:87], v[117:118]
	v_div_scale_f64 v[93:94], s[20:21], v[91:92], v[91:92], 1.0
	v_div_scale_f64 v[99:100], vcc, 1.0, v[91:92], 1.0
	v_rcp_f64_e32 v[95:96], v[93:94]
	v_fma_f64 v[97:98], -v[93:94], v[95:96], 1.0
	v_fma_f64 v[95:96], v[95:96], v[97:98], v[95:96]
	v_fma_f64 v[97:98], -v[93:94], v[95:96], 1.0
	v_fma_f64 v[95:96], v[95:96], v[97:98], v[95:96]
	v_mul_f64 v[97:98], v[99:100], v[95:96]
	v_fma_f64 v[93:94], -v[93:94], v[97:98], v[99:100]
	v_div_fmas_f64 v[93:94], v[93:94], v[95:96], v[97:98]
	v_div_fixup_f64 v[117:118], v[93:94], v[91:92], 1.0
	v_mul_f64 v[119:120], v[86:87], -v[117:118]
.LBB118_1143:
	s_or_b64 exec, exec, s[18:19]
.LBB118_1144:
	s_or_b64 exec, exec, s[0:1]
	v_cmp_ne_u32_e32 vcc, v89, v85
	s_and_saveexec_b64 s[0:1], vcc
	s_xor_b64 s[0:1], exec, s[0:1]
	s_cbranch_execz .LBB118_1150
; %bb.1145:
	v_cmp_eq_u32_e32 vcc, 54, v89
	s_and_saveexec_b64 s[18:19], vcc
	s_cbranch_execz .LBB118_1149
; %bb.1146:
	v_cmp_ne_u32_e32 vcc, 54, v85
	s_xor_b64 s[20:21], s[6:7], -1
	s_and_b64 s[22:23], s[20:21], vcc
	s_and_saveexec_b64 s[20:21], s[22:23]
	s_cbranch_execz .LBB118_1148
; %bb.1147:
	v_ashrrev_i32_e32 v86, 31, v85
	v_lshlrev_b64 v[86:87], 2, v[85:86]
	v_add_co_u32_e32 v86, vcc, v107, v86
	v_addc_co_u32_e32 v87, vcc, v108, v87, vcc
	global_load_dword v88, v[86:87], off
	global_load_dword v89, v[107:108], off offset:216
	s_waitcnt vmcnt(1)
	global_store_dword v[107:108], v88, off offset:216
	s_waitcnt vmcnt(1)
	global_store_dword v[86:87], v89, off
.LBB118_1148:
	s_or_b64 exec, exec, s[20:21]
	v_mov_b32_e32 v89, v85
	v_mov_b32_e32 v127, v85
.LBB118_1149:
	s_or_b64 exec, exec, s[18:19]
.LBB118_1150:
	s_andn2_saveexec_b64 s[0:1], s[0:1]
	s_cbranch_execz .LBB118_1152
; %bb.1151:
	v_mov_b32_e32 v89, 54
	ds_write2_b64 v0, v[13:14], v[15:16] offset0:110 offset1:111
	ds_write2_b64 v0, v[9:10], v[11:12] offset0:112 offset1:113
	;; [unrolled: 1-line block ×5, first 2 shown]
.LBB118_1152:
	s_or_b64 exec, exec, s[0:1]
	v_cmp_lt_i32_e32 vcc, 54, v89
	s_waitcnt vmcnt(0) lgkmcnt(0)
	s_barrier
	s_and_saveexec_b64 s[0:1], vcc
	s_cbranch_execz .LBB118_1154
; %bb.1153:
	v_mul_f64 v[85:86], v[117:118], v[19:20]
	v_mul_f64 v[19:20], v[119:120], v[19:20]
	v_fma_f64 v[91:92], v[119:120], v[17:18], v[85:86]
	ds_read2_b64 v[85:88], v0 offset0:110 offset1:111
	v_fma_f64 v[17:18], v[117:118], v[17:18], -v[19:20]
	s_waitcnt lgkmcnt(0)
	v_mul_f64 v[19:20], v[87:88], v[91:92]
	v_fma_f64 v[19:20], v[85:86], v[17:18], -v[19:20]
	v_mul_f64 v[85:86], v[85:86], v[91:92]
	v_add_f64 v[13:14], v[13:14], -v[19:20]
	v_fma_f64 v[85:86], v[87:88], v[17:18], v[85:86]
	v_add_f64 v[15:16], v[15:16], -v[85:86]
	ds_read2_b64 v[85:88], v0 offset0:112 offset1:113
	s_waitcnt lgkmcnt(0)
	v_mul_f64 v[19:20], v[87:88], v[91:92]
	v_fma_f64 v[19:20], v[85:86], v[17:18], -v[19:20]
	v_mul_f64 v[85:86], v[85:86], v[91:92]
	v_add_f64 v[9:10], v[9:10], -v[19:20]
	v_fma_f64 v[85:86], v[87:88], v[17:18], v[85:86]
	v_add_f64 v[11:12], v[11:12], -v[85:86]
	ds_read2_b64 v[85:88], v0 offset0:114 offset1:115
	;; [unrolled: 8-line block ×4, first 2 shown]
	s_waitcnt lgkmcnt(0)
	v_mul_f64 v[19:20], v[87:88], v[91:92]
	v_fma_f64 v[19:20], v[85:86], v[17:18], -v[19:20]
	v_mul_f64 v[85:86], v[85:86], v[91:92]
	v_add_f64 v[121:122], v[121:122], -v[19:20]
	v_fma_f64 v[85:86], v[87:88], v[17:18], v[85:86]
	v_mov_b32_e32 v19, v91
	v_mov_b32_e32 v20, v92
	v_add_f64 v[123:124], v[123:124], -v[85:86]
.LBB118_1154:
	s_or_b64 exec, exec, s[0:1]
	v_lshl_add_u32 v85, v89, 4, v0
	s_barrier
	ds_write2_b64 v85, v[13:14], v[15:16] offset1:1
	s_waitcnt lgkmcnt(0)
	s_barrier
	ds_read2_b64 v[117:120], v0 offset0:110 offset1:111
	s_cmp_lt_i32 s3, 57
	v_mov_b32_e32 v85, 55
	s_cbranch_scc1 .LBB118_1157
; %bb.1155:
	v_add_u32_e32 v86, 0x380, v0
	s_mov_b32 s0, 56
	v_mov_b32_e32 v85, 55
.LBB118_1156:                           ; =>This Inner Loop Header: Depth=1
	s_waitcnt lgkmcnt(0)
	v_cmp_gt_f64_e32 vcc, 0, v[117:118]
	v_xor_b32_e32 v87, 0x80000000, v118
	ds_read2_b64 v[91:94], v86 offset1:1
	v_xor_b32_e32 v95, 0x80000000, v120
	v_add_u32_e32 v86, 16, v86
	s_waitcnt lgkmcnt(0)
	v_xor_b32_e32 v97, 0x80000000, v94
	v_cndmask_b32_e32 v88, v118, v87, vcc
	v_cmp_gt_f64_e32 vcc, 0, v[119:120]
	v_mov_b32_e32 v87, v117
	v_cndmask_b32_e32 v96, v120, v95, vcc
	v_cmp_gt_f64_e32 vcc, 0, v[91:92]
	v_mov_b32_e32 v95, v119
	v_add_f64 v[87:88], v[87:88], v[95:96]
	v_xor_b32_e32 v95, 0x80000000, v92
	v_cndmask_b32_e32 v96, v92, v95, vcc
	v_cmp_gt_f64_e32 vcc, 0, v[93:94]
	v_mov_b32_e32 v95, v91
	v_cndmask_b32_e32 v98, v94, v97, vcc
	v_mov_b32_e32 v97, v93
	v_add_f64 v[95:96], v[95:96], v[97:98]
	v_cmp_lt_f64_e32 vcc, v[87:88], v[95:96]
	v_mov_b32_e32 v87, s0
	s_add_i32 s0, s0, 1
	s_cmp_lg_u32 s3, s0
	v_cndmask_b32_e32 v118, v118, v92, vcc
	v_cndmask_b32_e32 v117, v117, v91, vcc
	;; [unrolled: 1-line block ×5, first 2 shown]
	s_cbranch_scc1 .LBB118_1156
.LBB118_1157:
	s_waitcnt lgkmcnt(0)
	v_cmp_eq_f64_e32 vcc, 0, v[117:118]
	v_cmp_eq_f64_e64 s[0:1], 0, v[119:120]
	s_and_b64 s[0:1], vcc, s[0:1]
	s_and_saveexec_b64 s[18:19], s[0:1]
	s_xor_b64 s[0:1], exec, s[18:19]
; %bb.1158:
	v_cmp_ne_u32_e32 vcc, 0, v90
	v_cndmask_b32_e32 v90, 56, v90, vcc
; %bb.1159:
	s_andn2_saveexec_b64 s[0:1], s[0:1]
	s_cbranch_execz .LBB118_1165
; %bb.1160:
	v_cmp_ngt_f64_e64 s[18:19], |v[117:118]|, |v[119:120]|
	s_and_saveexec_b64 s[20:21], s[18:19]
	s_xor_b64 s[18:19], exec, s[20:21]
	s_cbranch_execz .LBB118_1162
; %bb.1161:
	v_div_scale_f64 v[86:87], s[20:21], v[119:120], v[119:120], v[117:118]
	v_rcp_f64_e32 v[91:92], v[86:87]
	v_fma_f64 v[93:94], -v[86:87], v[91:92], 1.0
	v_fma_f64 v[91:92], v[91:92], v[93:94], v[91:92]
	v_div_scale_f64 v[93:94], vcc, v[117:118], v[119:120], v[117:118]
	v_fma_f64 v[95:96], -v[86:87], v[91:92], 1.0
	v_fma_f64 v[91:92], v[91:92], v[95:96], v[91:92]
	v_mul_f64 v[95:96], v[93:94], v[91:92]
	v_fma_f64 v[86:87], -v[86:87], v[95:96], v[93:94]
	v_div_fmas_f64 v[86:87], v[86:87], v[91:92], v[95:96]
	v_div_fixup_f64 v[86:87], v[86:87], v[119:120], v[117:118]
	v_fma_f64 v[91:92], v[117:118], v[86:87], v[119:120]
	v_div_scale_f64 v[93:94], s[20:21], v[91:92], v[91:92], 1.0
	v_div_scale_f64 v[99:100], vcc, 1.0, v[91:92], 1.0
	v_rcp_f64_e32 v[95:96], v[93:94]
	v_fma_f64 v[97:98], -v[93:94], v[95:96], 1.0
	v_fma_f64 v[95:96], v[95:96], v[97:98], v[95:96]
	v_fma_f64 v[97:98], -v[93:94], v[95:96], 1.0
	v_fma_f64 v[95:96], v[95:96], v[97:98], v[95:96]
	v_mul_f64 v[97:98], v[99:100], v[95:96]
	v_fma_f64 v[93:94], -v[93:94], v[97:98], v[99:100]
	v_div_fmas_f64 v[93:94], v[93:94], v[95:96], v[97:98]
	v_div_fixup_f64 v[119:120], v[93:94], v[91:92], 1.0
	v_mul_f64 v[117:118], v[86:87], v[119:120]
	v_xor_b32_e32 v120, 0x80000000, v120
.LBB118_1162:
	s_andn2_saveexec_b64 s[18:19], s[18:19]
	s_cbranch_execz .LBB118_1164
; %bb.1163:
	v_div_scale_f64 v[86:87], s[20:21], v[117:118], v[117:118], v[119:120]
	v_rcp_f64_e32 v[91:92], v[86:87]
	v_fma_f64 v[93:94], -v[86:87], v[91:92], 1.0
	v_fma_f64 v[91:92], v[91:92], v[93:94], v[91:92]
	v_div_scale_f64 v[93:94], vcc, v[119:120], v[117:118], v[119:120]
	v_fma_f64 v[95:96], -v[86:87], v[91:92], 1.0
	v_fma_f64 v[91:92], v[91:92], v[95:96], v[91:92]
	v_mul_f64 v[95:96], v[93:94], v[91:92]
	v_fma_f64 v[86:87], -v[86:87], v[95:96], v[93:94]
	v_div_fmas_f64 v[86:87], v[86:87], v[91:92], v[95:96]
	v_div_fixup_f64 v[86:87], v[86:87], v[117:118], v[119:120]
	v_fma_f64 v[91:92], v[119:120], v[86:87], v[117:118]
	v_div_scale_f64 v[93:94], s[20:21], v[91:92], v[91:92], 1.0
	v_div_scale_f64 v[99:100], vcc, 1.0, v[91:92], 1.0
	v_rcp_f64_e32 v[95:96], v[93:94]
	v_fma_f64 v[97:98], -v[93:94], v[95:96], 1.0
	v_fma_f64 v[95:96], v[95:96], v[97:98], v[95:96]
	v_fma_f64 v[97:98], -v[93:94], v[95:96], 1.0
	v_fma_f64 v[95:96], v[95:96], v[97:98], v[95:96]
	v_mul_f64 v[97:98], v[99:100], v[95:96]
	v_fma_f64 v[93:94], -v[93:94], v[97:98], v[99:100]
	v_div_fmas_f64 v[93:94], v[93:94], v[95:96], v[97:98]
	v_div_fixup_f64 v[117:118], v[93:94], v[91:92], 1.0
	v_mul_f64 v[119:120], v[86:87], -v[117:118]
.LBB118_1164:
	s_or_b64 exec, exec, s[18:19]
.LBB118_1165:
	s_or_b64 exec, exec, s[0:1]
	v_cmp_ne_u32_e32 vcc, v89, v85
	s_and_saveexec_b64 s[0:1], vcc
	s_xor_b64 s[0:1], exec, s[0:1]
	s_cbranch_execz .LBB118_1171
; %bb.1166:
	v_cmp_eq_u32_e32 vcc, 55, v89
	s_and_saveexec_b64 s[18:19], vcc
	s_cbranch_execz .LBB118_1170
; %bb.1167:
	v_cmp_ne_u32_e32 vcc, 55, v85
	s_xor_b64 s[20:21], s[6:7], -1
	s_and_b64 s[22:23], s[20:21], vcc
	s_and_saveexec_b64 s[20:21], s[22:23]
	s_cbranch_execz .LBB118_1169
; %bb.1168:
	v_ashrrev_i32_e32 v86, 31, v85
	v_lshlrev_b64 v[86:87], 2, v[85:86]
	v_add_co_u32_e32 v86, vcc, v107, v86
	v_addc_co_u32_e32 v87, vcc, v108, v87, vcc
	global_load_dword v88, v[86:87], off
	global_load_dword v89, v[107:108], off offset:220
	s_waitcnt vmcnt(1)
	global_store_dword v[107:108], v88, off offset:220
	s_waitcnt vmcnt(1)
	global_store_dword v[86:87], v89, off
.LBB118_1169:
	s_or_b64 exec, exec, s[20:21]
	v_mov_b32_e32 v89, v85
	v_mov_b32_e32 v127, v85
.LBB118_1170:
	s_or_b64 exec, exec, s[18:19]
.LBB118_1171:
	s_andn2_saveexec_b64 s[0:1], s[0:1]
	s_cbranch_execz .LBB118_1173
; %bb.1172:
	v_mov_b32_e32 v89, 55
	ds_write2_b64 v0, v[9:10], v[11:12] offset0:112 offset1:113
	ds_write2_b64 v0, v[5:6], v[7:8] offset0:114 offset1:115
	;; [unrolled: 1-line block ×4, first 2 shown]
.LBB118_1173:
	s_or_b64 exec, exec, s[0:1]
	v_cmp_lt_i32_e32 vcc, 55, v89
	s_waitcnt vmcnt(0) lgkmcnt(0)
	s_barrier
	s_and_saveexec_b64 s[0:1], vcc
	s_cbranch_execz .LBB118_1175
; %bb.1174:
	v_mul_f64 v[85:86], v[117:118], v[15:16]
	v_mul_f64 v[15:16], v[119:120], v[15:16]
	v_fma_f64 v[91:92], v[119:120], v[13:14], v[85:86]
	ds_read2_b64 v[85:88], v0 offset0:112 offset1:113
	v_fma_f64 v[13:14], v[117:118], v[13:14], -v[15:16]
	s_waitcnt lgkmcnt(0)
	v_mul_f64 v[15:16], v[87:88], v[91:92]
	v_fma_f64 v[15:16], v[85:86], v[13:14], -v[15:16]
	v_mul_f64 v[85:86], v[85:86], v[91:92]
	v_add_f64 v[9:10], v[9:10], -v[15:16]
	v_fma_f64 v[85:86], v[87:88], v[13:14], v[85:86]
	v_add_f64 v[11:12], v[11:12], -v[85:86]
	ds_read2_b64 v[85:88], v0 offset0:114 offset1:115
	s_waitcnt lgkmcnt(0)
	v_mul_f64 v[15:16], v[87:88], v[91:92]
	v_fma_f64 v[15:16], v[85:86], v[13:14], -v[15:16]
	v_mul_f64 v[85:86], v[85:86], v[91:92]
	v_add_f64 v[5:6], v[5:6], -v[15:16]
	v_fma_f64 v[85:86], v[87:88], v[13:14], v[85:86]
	v_add_f64 v[7:8], v[7:8], -v[85:86]
	ds_read2_b64 v[85:88], v0 offset0:116 offset1:117
	;; [unrolled: 8-line block ×3, first 2 shown]
	s_waitcnt lgkmcnt(0)
	v_mul_f64 v[15:16], v[87:88], v[91:92]
	v_fma_f64 v[15:16], v[85:86], v[13:14], -v[15:16]
	v_mul_f64 v[85:86], v[85:86], v[91:92]
	v_add_f64 v[121:122], v[121:122], -v[15:16]
	v_fma_f64 v[85:86], v[87:88], v[13:14], v[85:86]
	v_mov_b32_e32 v15, v91
	v_mov_b32_e32 v16, v92
	v_add_f64 v[123:124], v[123:124], -v[85:86]
.LBB118_1175:
	s_or_b64 exec, exec, s[0:1]
	v_lshl_add_u32 v85, v89, 4, v0
	s_barrier
	ds_write2_b64 v85, v[9:10], v[11:12] offset1:1
	s_waitcnt lgkmcnt(0)
	s_barrier
	ds_read2_b64 v[117:120], v0 offset0:112 offset1:113
	s_cmp_lt_i32 s3, 58
	v_mov_b32_e32 v85, 56
	s_cbranch_scc1 .LBB118_1178
; %bb.1176:
	v_add_u32_e32 v86, 0x390, v0
	s_mov_b32 s0, 57
	v_mov_b32_e32 v85, 56
.LBB118_1177:                           ; =>This Inner Loop Header: Depth=1
	s_waitcnt lgkmcnt(0)
	v_cmp_gt_f64_e32 vcc, 0, v[117:118]
	v_xor_b32_e32 v87, 0x80000000, v118
	ds_read2_b64 v[91:94], v86 offset1:1
	v_xor_b32_e32 v95, 0x80000000, v120
	v_add_u32_e32 v86, 16, v86
	s_waitcnt lgkmcnt(0)
	v_xor_b32_e32 v97, 0x80000000, v94
	v_cndmask_b32_e32 v88, v118, v87, vcc
	v_cmp_gt_f64_e32 vcc, 0, v[119:120]
	v_mov_b32_e32 v87, v117
	v_cndmask_b32_e32 v96, v120, v95, vcc
	v_cmp_gt_f64_e32 vcc, 0, v[91:92]
	v_mov_b32_e32 v95, v119
	v_add_f64 v[87:88], v[87:88], v[95:96]
	v_xor_b32_e32 v95, 0x80000000, v92
	v_cndmask_b32_e32 v96, v92, v95, vcc
	v_cmp_gt_f64_e32 vcc, 0, v[93:94]
	v_mov_b32_e32 v95, v91
	v_cndmask_b32_e32 v98, v94, v97, vcc
	v_mov_b32_e32 v97, v93
	v_add_f64 v[95:96], v[95:96], v[97:98]
	v_cmp_lt_f64_e32 vcc, v[87:88], v[95:96]
	v_mov_b32_e32 v87, s0
	s_add_i32 s0, s0, 1
	s_cmp_lg_u32 s3, s0
	v_cndmask_b32_e32 v118, v118, v92, vcc
	v_cndmask_b32_e32 v117, v117, v91, vcc
	;; [unrolled: 1-line block ×5, first 2 shown]
	s_cbranch_scc1 .LBB118_1177
.LBB118_1178:
	s_waitcnt lgkmcnt(0)
	v_cmp_eq_f64_e32 vcc, 0, v[117:118]
	v_cmp_eq_f64_e64 s[0:1], 0, v[119:120]
	s_and_b64 s[0:1], vcc, s[0:1]
	s_and_saveexec_b64 s[18:19], s[0:1]
	s_xor_b64 s[0:1], exec, s[18:19]
; %bb.1179:
	v_cmp_ne_u32_e32 vcc, 0, v90
	v_cndmask_b32_e32 v90, 57, v90, vcc
; %bb.1180:
	s_andn2_saveexec_b64 s[0:1], s[0:1]
	s_cbranch_execz .LBB118_1186
; %bb.1181:
	v_cmp_ngt_f64_e64 s[18:19], |v[117:118]|, |v[119:120]|
	s_and_saveexec_b64 s[20:21], s[18:19]
	s_xor_b64 s[18:19], exec, s[20:21]
	s_cbranch_execz .LBB118_1183
; %bb.1182:
	v_div_scale_f64 v[86:87], s[20:21], v[119:120], v[119:120], v[117:118]
	v_rcp_f64_e32 v[91:92], v[86:87]
	v_fma_f64 v[93:94], -v[86:87], v[91:92], 1.0
	v_fma_f64 v[91:92], v[91:92], v[93:94], v[91:92]
	v_div_scale_f64 v[93:94], vcc, v[117:118], v[119:120], v[117:118]
	v_fma_f64 v[95:96], -v[86:87], v[91:92], 1.0
	v_fma_f64 v[91:92], v[91:92], v[95:96], v[91:92]
	v_mul_f64 v[95:96], v[93:94], v[91:92]
	v_fma_f64 v[86:87], -v[86:87], v[95:96], v[93:94]
	v_div_fmas_f64 v[86:87], v[86:87], v[91:92], v[95:96]
	v_div_fixup_f64 v[86:87], v[86:87], v[119:120], v[117:118]
	v_fma_f64 v[91:92], v[117:118], v[86:87], v[119:120]
	v_div_scale_f64 v[93:94], s[20:21], v[91:92], v[91:92], 1.0
	v_div_scale_f64 v[99:100], vcc, 1.0, v[91:92], 1.0
	v_rcp_f64_e32 v[95:96], v[93:94]
	v_fma_f64 v[97:98], -v[93:94], v[95:96], 1.0
	v_fma_f64 v[95:96], v[95:96], v[97:98], v[95:96]
	v_fma_f64 v[97:98], -v[93:94], v[95:96], 1.0
	v_fma_f64 v[95:96], v[95:96], v[97:98], v[95:96]
	v_mul_f64 v[97:98], v[99:100], v[95:96]
	v_fma_f64 v[93:94], -v[93:94], v[97:98], v[99:100]
	v_div_fmas_f64 v[93:94], v[93:94], v[95:96], v[97:98]
	v_div_fixup_f64 v[119:120], v[93:94], v[91:92], 1.0
	v_mul_f64 v[117:118], v[86:87], v[119:120]
	v_xor_b32_e32 v120, 0x80000000, v120
.LBB118_1183:
	s_andn2_saveexec_b64 s[18:19], s[18:19]
	s_cbranch_execz .LBB118_1185
; %bb.1184:
	v_div_scale_f64 v[86:87], s[20:21], v[117:118], v[117:118], v[119:120]
	v_rcp_f64_e32 v[91:92], v[86:87]
	v_fma_f64 v[93:94], -v[86:87], v[91:92], 1.0
	v_fma_f64 v[91:92], v[91:92], v[93:94], v[91:92]
	v_div_scale_f64 v[93:94], vcc, v[119:120], v[117:118], v[119:120]
	v_fma_f64 v[95:96], -v[86:87], v[91:92], 1.0
	v_fma_f64 v[91:92], v[91:92], v[95:96], v[91:92]
	v_mul_f64 v[95:96], v[93:94], v[91:92]
	v_fma_f64 v[86:87], -v[86:87], v[95:96], v[93:94]
	v_div_fmas_f64 v[86:87], v[86:87], v[91:92], v[95:96]
	v_div_fixup_f64 v[86:87], v[86:87], v[117:118], v[119:120]
	v_fma_f64 v[91:92], v[119:120], v[86:87], v[117:118]
	v_div_scale_f64 v[93:94], s[20:21], v[91:92], v[91:92], 1.0
	v_div_scale_f64 v[99:100], vcc, 1.0, v[91:92], 1.0
	v_rcp_f64_e32 v[95:96], v[93:94]
	v_fma_f64 v[97:98], -v[93:94], v[95:96], 1.0
	v_fma_f64 v[95:96], v[95:96], v[97:98], v[95:96]
	v_fma_f64 v[97:98], -v[93:94], v[95:96], 1.0
	v_fma_f64 v[95:96], v[95:96], v[97:98], v[95:96]
	v_mul_f64 v[97:98], v[99:100], v[95:96]
	v_fma_f64 v[93:94], -v[93:94], v[97:98], v[99:100]
	v_div_fmas_f64 v[93:94], v[93:94], v[95:96], v[97:98]
	v_div_fixup_f64 v[117:118], v[93:94], v[91:92], 1.0
	v_mul_f64 v[119:120], v[86:87], -v[117:118]
.LBB118_1185:
	s_or_b64 exec, exec, s[18:19]
.LBB118_1186:
	s_or_b64 exec, exec, s[0:1]
	v_cmp_ne_u32_e32 vcc, v89, v85
	s_and_saveexec_b64 s[0:1], vcc
	s_xor_b64 s[0:1], exec, s[0:1]
	s_cbranch_execz .LBB118_1192
; %bb.1187:
	v_cmp_eq_u32_e32 vcc, 56, v89
	s_and_saveexec_b64 s[18:19], vcc
	s_cbranch_execz .LBB118_1191
; %bb.1188:
	v_cmp_ne_u32_e32 vcc, 56, v85
	s_xor_b64 s[20:21], s[6:7], -1
	s_and_b64 s[22:23], s[20:21], vcc
	s_and_saveexec_b64 s[20:21], s[22:23]
	s_cbranch_execz .LBB118_1190
; %bb.1189:
	v_ashrrev_i32_e32 v86, 31, v85
	v_lshlrev_b64 v[86:87], 2, v[85:86]
	v_add_co_u32_e32 v86, vcc, v107, v86
	v_addc_co_u32_e32 v87, vcc, v108, v87, vcc
	global_load_dword v88, v[86:87], off
	global_load_dword v89, v[107:108], off offset:224
	s_waitcnt vmcnt(1)
	global_store_dword v[107:108], v88, off offset:224
	s_waitcnt vmcnt(1)
	global_store_dword v[86:87], v89, off
.LBB118_1190:
	s_or_b64 exec, exec, s[20:21]
	v_mov_b32_e32 v89, v85
	v_mov_b32_e32 v127, v85
.LBB118_1191:
	s_or_b64 exec, exec, s[18:19]
.LBB118_1192:
	s_andn2_saveexec_b64 s[0:1], s[0:1]
	s_cbranch_execz .LBB118_1194
; %bb.1193:
	v_mov_b32_e32 v89, 56
	ds_write2_b64 v0, v[5:6], v[7:8] offset0:114 offset1:115
	ds_write2_b64 v0, v[1:2], v[3:4] offset0:116 offset1:117
	;; [unrolled: 1-line block ×3, first 2 shown]
.LBB118_1194:
	s_or_b64 exec, exec, s[0:1]
	v_cmp_lt_i32_e32 vcc, 56, v89
	s_waitcnt vmcnt(0) lgkmcnt(0)
	s_barrier
	s_and_saveexec_b64 s[0:1], vcc
	s_cbranch_execz .LBB118_1196
; %bb.1195:
	v_mul_f64 v[85:86], v[117:118], v[11:12]
	v_mul_f64 v[11:12], v[119:120], v[11:12]
	v_fma_f64 v[91:92], v[119:120], v[9:10], v[85:86]
	ds_read2_b64 v[85:88], v0 offset0:114 offset1:115
	v_fma_f64 v[9:10], v[117:118], v[9:10], -v[11:12]
	s_waitcnt lgkmcnt(0)
	v_mul_f64 v[11:12], v[87:88], v[91:92]
	v_fma_f64 v[11:12], v[85:86], v[9:10], -v[11:12]
	v_mul_f64 v[85:86], v[85:86], v[91:92]
	v_add_f64 v[5:6], v[5:6], -v[11:12]
	v_fma_f64 v[85:86], v[87:88], v[9:10], v[85:86]
	v_add_f64 v[7:8], v[7:8], -v[85:86]
	ds_read2_b64 v[85:88], v0 offset0:116 offset1:117
	s_waitcnt lgkmcnt(0)
	v_mul_f64 v[11:12], v[87:88], v[91:92]
	v_fma_f64 v[11:12], v[85:86], v[9:10], -v[11:12]
	v_mul_f64 v[85:86], v[85:86], v[91:92]
	v_add_f64 v[1:2], v[1:2], -v[11:12]
	v_fma_f64 v[85:86], v[87:88], v[9:10], v[85:86]
	v_add_f64 v[3:4], v[3:4], -v[85:86]
	ds_read2_b64 v[85:88], v0 offset0:118 offset1:119
	s_waitcnt lgkmcnt(0)
	v_mul_f64 v[11:12], v[87:88], v[91:92]
	v_fma_f64 v[11:12], v[85:86], v[9:10], -v[11:12]
	v_mul_f64 v[85:86], v[85:86], v[91:92]
	v_add_f64 v[121:122], v[121:122], -v[11:12]
	v_fma_f64 v[85:86], v[87:88], v[9:10], v[85:86]
	v_mov_b32_e32 v11, v91
	v_mov_b32_e32 v12, v92
	v_add_f64 v[123:124], v[123:124], -v[85:86]
.LBB118_1196:
	s_or_b64 exec, exec, s[0:1]
	v_lshl_add_u32 v85, v89, 4, v0
	s_barrier
	ds_write2_b64 v85, v[5:6], v[7:8] offset1:1
	s_waitcnt lgkmcnt(0)
	s_barrier
	ds_read2_b64 v[117:120], v0 offset0:114 offset1:115
	s_cmp_lt_i32 s3, 59
	v_mov_b32_e32 v85, 57
	s_cbranch_scc1 .LBB118_1199
; %bb.1197:
	v_add_u32_e32 v86, 0x3a0, v0
	s_mov_b32 s0, 58
	v_mov_b32_e32 v85, 57
.LBB118_1198:                           ; =>This Inner Loop Header: Depth=1
	s_waitcnt lgkmcnt(0)
	v_cmp_gt_f64_e32 vcc, 0, v[117:118]
	v_xor_b32_e32 v87, 0x80000000, v118
	ds_read2_b64 v[91:94], v86 offset1:1
	v_xor_b32_e32 v95, 0x80000000, v120
	v_add_u32_e32 v86, 16, v86
	s_waitcnt lgkmcnt(0)
	v_xor_b32_e32 v97, 0x80000000, v94
	v_cndmask_b32_e32 v88, v118, v87, vcc
	v_cmp_gt_f64_e32 vcc, 0, v[119:120]
	v_mov_b32_e32 v87, v117
	v_cndmask_b32_e32 v96, v120, v95, vcc
	v_cmp_gt_f64_e32 vcc, 0, v[91:92]
	v_mov_b32_e32 v95, v119
	v_add_f64 v[87:88], v[87:88], v[95:96]
	v_xor_b32_e32 v95, 0x80000000, v92
	v_cndmask_b32_e32 v96, v92, v95, vcc
	v_cmp_gt_f64_e32 vcc, 0, v[93:94]
	v_mov_b32_e32 v95, v91
	v_cndmask_b32_e32 v98, v94, v97, vcc
	v_mov_b32_e32 v97, v93
	v_add_f64 v[95:96], v[95:96], v[97:98]
	v_cmp_lt_f64_e32 vcc, v[87:88], v[95:96]
	v_mov_b32_e32 v87, s0
	s_add_i32 s0, s0, 1
	s_cmp_lg_u32 s3, s0
	v_cndmask_b32_e32 v118, v118, v92, vcc
	v_cndmask_b32_e32 v117, v117, v91, vcc
	;; [unrolled: 1-line block ×5, first 2 shown]
	s_cbranch_scc1 .LBB118_1198
.LBB118_1199:
	s_waitcnt lgkmcnt(0)
	v_cmp_eq_f64_e32 vcc, 0, v[117:118]
	v_cmp_eq_f64_e64 s[0:1], 0, v[119:120]
	s_and_b64 s[0:1], vcc, s[0:1]
	s_and_saveexec_b64 s[18:19], s[0:1]
	s_xor_b64 s[0:1], exec, s[18:19]
; %bb.1200:
	v_cmp_ne_u32_e32 vcc, 0, v90
	v_cndmask_b32_e32 v90, 58, v90, vcc
; %bb.1201:
	s_andn2_saveexec_b64 s[0:1], s[0:1]
	s_cbranch_execz .LBB118_1207
; %bb.1202:
	v_cmp_ngt_f64_e64 s[18:19], |v[117:118]|, |v[119:120]|
	s_and_saveexec_b64 s[20:21], s[18:19]
	s_xor_b64 s[18:19], exec, s[20:21]
	s_cbranch_execz .LBB118_1204
; %bb.1203:
	v_div_scale_f64 v[86:87], s[20:21], v[119:120], v[119:120], v[117:118]
	v_rcp_f64_e32 v[91:92], v[86:87]
	v_fma_f64 v[93:94], -v[86:87], v[91:92], 1.0
	v_fma_f64 v[91:92], v[91:92], v[93:94], v[91:92]
	v_div_scale_f64 v[93:94], vcc, v[117:118], v[119:120], v[117:118]
	v_fma_f64 v[95:96], -v[86:87], v[91:92], 1.0
	v_fma_f64 v[91:92], v[91:92], v[95:96], v[91:92]
	v_mul_f64 v[95:96], v[93:94], v[91:92]
	v_fma_f64 v[86:87], -v[86:87], v[95:96], v[93:94]
	v_div_fmas_f64 v[86:87], v[86:87], v[91:92], v[95:96]
	v_div_fixup_f64 v[86:87], v[86:87], v[119:120], v[117:118]
	v_fma_f64 v[91:92], v[117:118], v[86:87], v[119:120]
	v_div_scale_f64 v[93:94], s[20:21], v[91:92], v[91:92], 1.0
	v_div_scale_f64 v[99:100], vcc, 1.0, v[91:92], 1.0
	v_rcp_f64_e32 v[95:96], v[93:94]
	v_fma_f64 v[97:98], -v[93:94], v[95:96], 1.0
	v_fma_f64 v[95:96], v[95:96], v[97:98], v[95:96]
	v_fma_f64 v[97:98], -v[93:94], v[95:96], 1.0
	v_fma_f64 v[95:96], v[95:96], v[97:98], v[95:96]
	v_mul_f64 v[97:98], v[99:100], v[95:96]
	v_fma_f64 v[93:94], -v[93:94], v[97:98], v[99:100]
	v_div_fmas_f64 v[93:94], v[93:94], v[95:96], v[97:98]
	v_div_fixup_f64 v[119:120], v[93:94], v[91:92], 1.0
	v_mul_f64 v[117:118], v[86:87], v[119:120]
	v_xor_b32_e32 v120, 0x80000000, v120
.LBB118_1204:
	s_andn2_saveexec_b64 s[18:19], s[18:19]
	s_cbranch_execz .LBB118_1206
; %bb.1205:
	v_div_scale_f64 v[86:87], s[20:21], v[117:118], v[117:118], v[119:120]
	v_rcp_f64_e32 v[91:92], v[86:87]
	v_fma_f64 v[93:94], -v[86:87], v[91:92], 1.0
	v_fma_f64 v[91:92], v[91:92], v[93:94], v[91:92]
	v_div_scale_f64 v[93:94], vcc, v[119:120], v[117:118], v[119:120]
	v_fma_f64 v[95:96], -v[86:87], v[91:92], 1.0
	v_fma_f64 v[91:92], v[91:92], v[95:96], v[91:92]
	v_mul_f64 v[95:96], v[93:94], v[91:92]
	v_fma_f64 v[86:87], -v[86:87], v[95:96], v[93:94]
	v_div_fmas_f64 v[86:87], v[86:87], v[91:92], v[95:96]
	v_div_fixup_f64 v[86:87], v[86:87], v[117:118], v[119:120]
	v_fma_f64 v[91:92], v[119:120], v[86:87], v[117:118]
	v_div_scale_f64 v[93:94], s[20:21], v[91:92], v[91:92], 1.0
	v_div_scale_f64 v[99:100], vcc, 1.0, v[91:92], 1.0
	v_rcp_f64_e32 v[95:96], v[93:94]
	v_fma_f64 v[97:98], -v[93:94], v[95:96], 1.0
	v_fma_f64 v[95:96], v[95:96], v[97:98], v[95:96]
	v_fma_f64 v[97:98], -v[93:94], v[95:96], 1.0
	v_fma_f64 v[95:96], v[95:96], v[97:98], v[95:96]
	v_mul_f64 v[97:98], v[99:100], v[95:96]
	v_fma_f64 v[93:94], -v[93:94], v[97:98], v[99:100]
	v_div_fmas_f64 v[93:94], v[93:94], v[95:96], v[97:98]
	v_div_fixup_f64 v[117:118], v[93:94], v[91:92], 1.0
	v_mul_f64 v[119:120], v[86:87], -v[117:118]
.LBB118_1206:
	s_or_b64 exec, exec, s[18:19]
.LBB118_1207:
	s_or_b64 exec, exec, s[0:1]
	v_cmp_ne_u32_e32 vcc, v89, v85
	s_and_saveexec_b64 s[0:1], vcc
	s_xor_b64 s[0:1], exec, s[0:1]
	s_cbranch_execz .LBB118_1213
; %bb.1208:
	v_cmp_eq_u32_e32 vcc, 57, v89
	s_and_saveexec_b64 s[18:19], vcc
	s_cbranch_execz .LBB118_1212
; %bb.1209:
	v_cmp_ne_u32_e32 vcc, 57, v85
	s_xor_b64 s[20:21], s[6:7], -1
	s_and_b64 s[22:23], s[20:21], vcc
	s_and_saveexec_b64 s[20:21], s[22:23]
	s_cbranch_execz .LBB118_1211
; %bb.1210:
	v_ashrrev_i32_e32 v86, 31, v85
	v_lshlrev_b64 v[86:87], 2, v[85:86]
	v_add_co_u32_e32 v86, vcc, v107, v86
	v_addc_co_u32_e32 v87, vcc, v108, v87, vcc
	global_load_dword v88, v[86:87], off
	global_load_dword v89, v[107:108], off offset:228
	s_waitcnt vmcnt(1)
	global_store_dword v[107:108], v88, off offset:228
	s_waitcnt vmcnt(1)
	global_store_dword v[86:87], v89, off
.LBB118_1211:
	s_or_b64 exec, exec, s[20:21]
	v_mov_b32_e32 v89, v85
	v_mov_b32_e32 v127, v85
.LBB118_1212:
	s_or_b64 exec, exec, s[18:19]
.LBB118_1213:
	s_andn2_saveexec_b64 s[0:1], s[0:1]
	s_cbranch_execz .LBB118_1215
; %bb.1214:
	v_mov_b32_e32 v89, 57
	ds_write2_b64 v0, v[1:2], v[3:4] offset0:116 offset1:117
	ds_write2_b64 v0, v[121:122], v[123:124] offset0:118 offset1:119
.LBB118_1215:
	s_or_b64 exec, exec, s[0:1]
	v_cmp_lt_i32_e32 vcc, 57, v89
	s_waitcnt vmcnt(0) lgkmcnt(0)
	s_barrier
	s_and_saveexec_b64 s[0:1], vcc
	s_cbranch_execz .LBB118_1217
; %bb.1216:
	v_mul_f64 v[85:86], v[117:118], v[7:8]
	v_mul_f64 v[7:8], v[119:120], v[7:8]
	v_fma_f64 v[91:92], v[119:120], v[5:6], v[85:86]
	ds_read2_b64 v[85:88], v0 offset0:116 offset1:117
	v_fma_f64 v[5:6], v[117:118], v[5:6], -v[7:8]
	s_waitcnt lgkmcnt(0)
	v_mul_f64 v[7:8], v[87:88], v[91:92]
	v_fma_f64 v[7:8], v[85:86], v[5:6], -v[7:8]
	v_mul_f64 v[85:86], v[85:86], v[91:92]
	v_add_f64 v[1:2], v[1:2], -v[7:8]
	v_fma_f64 v[85:86], v[87:88], v[5:6], v[85:86]
	v_add_f64 v[3:4], v[3:4], -v[85:86]
	ds_read2_b64 v[85:88], v0 offset0:118 offset1:119
	s_waitcnt lgkmcnt(0)
	v_mul_f64 v[7:8], v[87:88], v[91:92]
	v_fma_f64 v[7:8], v[85:86], v[5:6], -v[7:8]
	v_mul_f64 v[85:86], v[85:86], v[91:92]
	v_add_f64 v[121:122], v[121:122], -v[7:8]
	v_fma_f64 v[85:86], v[87:88], v[5:6], v[85:86]
	v_mov_b32_e32 v7, v91
	v_mov_b32_e32 v8, v92
	v_add_f64 v[123:124], v[123:124], -v[85:86]
.LBB118_1217:
	s_or_b64 exec, exec, s[0:1]
	v_lshl_add_u32 v85, v89, 4, v0
	s_barrier
	ds_write2_b64 v85, v[1:2], v[3:4] offset1:1
	s_waitcnt lgkmcnt(0)
	s_barrier
	ds_read2_b64 v[117:120], v0 offset0:116 offset1:117
	s_cmp_lt_i32 s3, 60
	v_mov_b32_e32 v85, 58
	s_cbranch_scc1 .LBB118_1220
; %bb.1218:
	v_add_u32_e32 v86, 0x3b0, v0
	s_mov_b32 s0, 59
	v_mov_b32_e32 v85, 58
.LBB118_1219:                           ; =>This Inner Loop Header: Depth=1
	s_waitcnt lgkmcnt(0)
	v_cmp_gt_f64_e32 vcc, 0, v[117:118]
	v_xor_b32_e32 v87, 0x80000000, v118
	ds_read2_b64 v[91:94], v86 offset1:1
	v_xor_b32_e32 v95, 0x80000000, v120
	v_add_u32_e32 v86, 16, v86
	s_waitcnt lgkmcnt(0)
	v_xor_b32_e32 v97, 0x80000000, v94
	v_cndmask_b32_e32 v88, v118, v87, vcc
	v_cmp_gt_f64_e32 vcc, 0, v[119:120]
	v_mov_b32_e32 v87, v117
	v_cndmask_b32_e32 v96, v120, v95, vcc
	v_cmp_gt_f64_e32 vcc, 0, v[91:92]
	v_mov_b32_e32 v95, v119
	v_add_f64 v[87:88], v[87:88], v[95:96]
	v_xor_b32_e32 v95, 0x80000000, v92
	v_cndmask_b32_e32 v96, v92, v95, vcc
	v_cmp_gt_f64_e32 vcc, 0, v[93:94]
	v_mov_b32_e32 v95, v91
	v_cndmask_b32_e32 v98, v94, v97, vcc
	v_mov_b32_e32 v97, v93
	v_add_f64 v[95:96], v[95:96], v[97:98]
	v_cmp_lt_f64_e32 vcc, v[87:88], v[95:96]
	v_mov_b32_e32 v87, s0
	s_add_i32 s0, s0, 1
	s_cmp_lg_u32 s3, s0
	v_cndmask_b32_e32 v118, v118, v92, vcc
	v_cndmask_b32_e32 v117, v117, v91, vcc
	;; [unrolled: 1-line block ×5, first 2 shown]
	s_cbranch_scc1 .LBB118_1219
.LBB118_1220:
	s_waitcnt lgkmcnt(0)
	v_cmp_eq_f64_e32 vcc, 0, v[117:118]
	v_cmp_eq_f64_e64 s[0:1], 0, v[119:120]
	s_and_b64 s[0:1], vcc, s[0:1]
	s_and_saveexec_b64 s[18:19], s[0:1]
	s_xor_b64 s[0:1], exec, s[18:19]
; %bb.1221:
	v_cmp_ne_u32_e32 vcc, 0, v90
	v_cndmask_b32_e32 v90, 59, v90, vcc
; %bb.1222:
	s_andn2_saveexec_b64 s[0:1], s[0:1]
	s_cbranch_execz .LBB118_1228
; %bb.1223:
	v_cmp_ngt_f64_e64 s[18:19], |v[117:118]|, |v[119:120]|
	s_and_saveexec_b64 s[20:21], s[18:19]
	s_xor_b64 s[18:19], exec, s[20:21]
	s_cbranch_execz .LBB118_1225
; %bb.1224:
	v_div_scale_f64 v[86:87], s[20:21], v[119:120], v[119:120], v[117:118]
	v_rcp_f64_e32 v[91:92], v[86:87]
	v_fma_f64 v[93:94], -v[86:87], v[91:92], 1.0
	v_fma_f64 v[91:92], v[91:92], v[93:94], v[91:92]
	v_div_scale_f64 v[93:94], vcc, v[117:118], v[119:120], v[117:118]
	v_fma_f64 v[95:96], -v[86:87], v[91:92], 1.0
	v_fma_f64 v[91:92], v[91:92], v[95:96], v[91:92]
	v_mul_f64 v[95:96], v[93:94], v[91:92]
	v_fma_f64 v[86:87], -v[86:87], v[95:96], v[93:94]
	v_div_fmas_f64 v[86:87], v[86:87], v[91:92], v[95:96]
	v_div_fixup_f64 v[86:87], v[86:87], v[119:120], v[117:118]
	v_fma_f64 v[91:92], v[117:118], v[86:87], v[119:120]
	v_div_scale_f64 v[93:94], s[20:21], v[91:92], v[91:92], 1.0
	v_div_scale_f64 v[99:100], vcc, 1.0, v[91:92], 1.0
	v_rcp_f64_e32 v[95:96], v[93:94]
	v_fma_f64 v[97:98], -v[93:94], v[95:96], 1.0
	v_fma_f64 v[95:96], v[95:96], v[97:98], v[95:96]
	v_fma_f64 v[97:98], -v[93:94], v[95:96], 1.0
	v_fma_f64 v[95:96], v[95:96], v[97:98], v[95:96]
	v_mul_f64 v[97:98], v[99:100], v[95:96]
	v_fma_f64 v[93:94], -v[93:94], v[97:98], v[99:100]
	v_div_fmas_f64 v[93:94], v[93:94], v[95:96], v[97:98]
	v_div_fixup_f64 v[119:120], v[93:94], v[91:92], 1.0
	v_mul_f64 v[117:118], v[86:87], v[119:120]
	v_xor_b32_e32 v120, 0x80000000, v120
.LBB118_1225:
	s_andn2_saveexec_b64 s[18:19], s[18:19]
	s_cbranch_execz .LBB118_1227
; %bb.1226:
	v_div_scale_f64 v[86:87], s[20:21], v[117:118], v[117:118], v[119:120]
	v_rcp_f64_e32 v[91:92], v[86:87]
	v_fma_f64 v[93:94], -v[86:87], v[91:92], 1.0
	v_fma_f64 v[91:92], v[91:92], v[93:94], v[91:92]
	v_div_scale_f64 v[93:94], vcc, v[119:120], v[117:118], v[119:120]
	v_fma_f64 v[95:96], -v[86:87], v[91:92], 1.0
	v_fma_f64 v[91:92], v[91:92], v[95:96], v[91:92]
	v_mul_f64 v[95:96], v[93:94], v[91:92]
	v_fma_f64 v[86:87], -v[86:87], v[95:96], v[93:94]
	v_div_fmas_f64 v[86:87], v[86:87], v[91:92], v[95:96]
	v_div_fixup_f64 v[86:87], v[86:87], v[117:118], v[119:120]
	v_fma_f64 v[91:92], v[119:120], v[86:87], v[117:118]
	v_div_scale_f64 v[93:94], s[20:21], v[91:92], v[91:92], 1.0
	v_div_scale_f64 v[99:100], vcc, 1.0, v[91:92], 1.0
	v_rcp_f64_e32 v[95:96], v[93:94]
	v_fma_f64 v[97:98], -v[93:94], v[95:96], 1.0
	v_fma_f64 v[95:96], v[95:96], v[97:98], v[95:96]
	v_fma_f64 v[97:98], -v[93:94], v[95:96], 1.0
	v_fma_f64 v[95:96], v[95:96], v[97:98], v[95:96]
	v_mul_f64 v[97:98], v[99:100], v[95:96]
	v_fma_f64 v[93:94], -v[93:94], v[97:98], v[99:100]
	v_div_fmas_f64 v[93:94], v[93:94], v[95:96], v[97:98]
	v_div_fixup_f64 v[117:118], v[93:94], v[91:92], 1.0
	v_mul_f64 v[119:120], v[86:87], -v[117:118]
.LBB118_1227:
	s_or_b64 exec, exec, s[18:19]
.LBB118_1228:
	s_or_b64 exec, exec, s[0:1]
	v_cmp_ne_u32_e32 vcc, v89, v85
	s_and_saveexec_b64 s[0:1], vcc
	s_xor_b64 s[0:1], exec, s[0:1]
	s_cbranch_execz .LBB118_1234
; %bb.1229:
	v_cmp_eq_u32_e32 vcc, 58, v89
	s_and_saveexec_b64 s[18:19], vcc
	s_cbranch_execz .LBB118_1233
; %bb.1230:
	v_cmp_ne_u32_e32 vcc, 58, v85
	s_xor_b64 s[20:21], s[6:7], -1
	s_and_b64 s[22:23], s[20:21], vcc
	s_and_saveexec_b64 s[20:21], s[22:23]
	s_cbranch_execz .LBB118_1232
; %bb.1231:
	v_ashrrev_i32_e32 v86, 31, v85
	v_lshlrev_b64 v[86:87], 2, v[85:86]
	v_add_co_u32_e32 v86, vcc, v107, v86
	v_addc_co_u32_e32 v87, vcc, v108, v87, vcc
	global_load_dword v88, v[86:87], off
	global_load_dword v89, v[107:108], off offset:232
	s_waitcnt vmcnt(1)
	global_store_dword v[107:108], v88, off offset:232
	s_waitcnt vmcnt(1)
	global_store_dword v[86:87], v89, off
.LBB118_1232:
	s_or_b64 exec, exec, s[20:21]
	v_mov_b32_e32 v89, v85
	v_mov_b32_e32 v127, v85
.LBB118_1233:
	s_or_b64 exec, exec, s[18:19]
.LBB118_1234:
	s_andn2_saveexec_b64 s[0:1], s[0:1]
; %bb.1235:
	v_mov_b32_e32 v89, 58
	ds_write2_b64 v0, v[121:122], v[123:124] offset0:118 offset1:119
; %bb.1236:
	s_or_b64 exec, exec, s[0:1]
	v_cmp_lt_i32_e32 vcc, 58, v89
	s_waitcnt vmcnt(0) lgkmcnt(0)
	s_barrier
	s_and_saveexec_b64 s[0:1], vcc
	s_cbranch_execz .LBB118_1238
; %bb.1237:
	v_mul_f64 v[85:86], v[117:118], v[3:4]
	v_mul_f64 v[3:4], v[119:120], v[3:4]
	v_fma_f64 v[91:92], v[119:120], v[1:2], v[85:86]
	ds_read2_b64 v[85:88], v0 offset0:118 offset1:119
	v_fma_f64 v[1:2], v[117:118], v[1:2], -v[3:4]
	s_waitcnt lgkmcnt(0)
	v_mul_f64 v[3:4], v[87:88], v[91:92]
	v_fma_f64 v[3:4], v[85:86], v[1:2], -v[3:4]
	v_mul_f64 v[85:86], v[85:86], v[91:92]
	v_add_f64 v[121:122], v[121:122], -v[3:4]
	v_fma_f64 v[85:86], v[87:88], v[1:2], v[85:86]
	v_mov_b32_e32 v3, v91
	v_mov_b32_e32 v4, v92
	v_add_f64 v[123:124], v[123:124], -v[85:86]
.LBB118_1238:
	s_or_b64 exec, exec, s[0:1]
	v_lshl_add_u32 v85, v89, 4, v0
	s_barrier
	ds_write2_b64 v85, v[121:122], v[123:124] offset1:1
	s_waitcnt lgkmcnt(0)
	s_barrier
	ds_read2_b64 v[117:120], v0 offset0:118 offset1:119
	s_cmp_lt_i32 s3, 61
	v_mov_b32_e32 v85, 59
	s_cbranch_scc1 .LBB118_1241
; %bb.1239:
	v_add_u32_e32 v0, 0x3c0, v0
	s_mov_b32 s0, 60
	v_mov_b32_e32 v85, 59
.LBB118_1240:                           ; =>This Inner Loop Header: Depth=1
	s_waitcnt lgkmcnt(0)
	v_cmp_gt_f64_e32 vcc, 0, v[117:118]
	v_xor_b32_e32 v86, 0x80000000, v118
	ds_read2_b64 v[91:94], v0 offset1:1
	v_xor_b32_e32 v88, 0x80000000, v120
	v_mov_b32_e32 v95, v119
	v_add_u32_e32 v0, 16, v0
	s_waitcnt lgkmcnt(0)
	v_mov_b32_e32 v97, v93
	v_cndmask_b32_e32 v87, v118, v86, vcc
	v_cmp_gt_f64_e32 vcc, 0, v[119:120]
	v_mov_b32_e32 v86, v117
	v_cndmask_b32_e32 v96, v120, v88, vcc
	v_cmp_gt_f64_e32 vcc, 0, v[91:92]
	v_xor_b32_e32 v88, 0x80000000, v92
	v_add_f64 v[86:87], v[86:87], v[95:96]
	v_mov_b32_e32 v95, v91
	v_cndmask_b32_e32 v96, v92, v88, vcc
	v_cmp_gt_f64_e32 vcc, 0, v[93:94]
	v_xor_b32_e32 v88, 0x80000000, v94
	v_cndmask_b32_e32 v98, v94, v88, vcc
	v_add_f64 v[95:96], v[95:96], v[97:98]
	v_cmp_lt_f64_e32 vcc, v[86:87], v[95:96]
	v_mov_b32_e32 v86, s0
	s_add_i32 s0, s0, 1
	s_cmp_lg_u32 s3, s0
	v_cndmask_b32_e32 v118, v118, v92, vcc
	v_cndmask_b32_e32 v117, v117, v91, vcc
	;; [unrolled: 1-line block ×5, first 2 shown]
	s_cbranch_scc1 .LBB118_1240
.LBB118_1241:
	s_waitcnt lgkmcnt(0)
	v_cmp_eq_f64_e32 vcc, 0, v[117:118]
	v_cmp_eq_f64_e64 s[0:1], 0, v[119:120]
	s_and_b64 s[0:1], vcc, s[0:1]
	s_and_saveexec_b64 s[18:19], s[0:1]
	s_xor_b64 s[0:1], exec, s[18:19]
; %bb.1242:
	v_cmp_ne_u32_e32 vcc, 0, v90
	v_cndmask_b32_e32 v90, 60, v90, vcc
; %bb.1243:
	s_andn2_saveexec_b64 s[0:1], s[0:1]
	s_cbranch_execz .LBB118_1249
; %bb.1244:
	v_cmp_ngt_f64_e64 s[18:19], |v[117:118]|, |v[119:120]|
	s_and_saveexec_b64 s[20:21], s[18:19]
	s_xor_b64 s[18:19], exec, s[20:21]
	s_cbranch_execz .LBB118_1246
; %bb.1245:
	v_div_scale_f64 v[86:87], s[20:21], v[119:120], v[119:120], v[117:118]
	v_rcp_f64_e32 v[91:92], v[86:87]
	v_fma_f64 v[93:94], -v[86:87], v[91:92], 1.0
	v_fma_f64 v[91:92], v[91:92], v[93:94], v[91:92]
	v_div_scale_f64 v[93:94], vcc, v[117:118], v[119:120], v[117:118]
	v_fma_f64 v[95:96], -v[86:87], v[91:92], 1.0
	v_fma_f64 v[91:92], v[91:92], v[95:96], v[91:92]
	v_mul_f64 v[95:96], v[93:94], v[91:92]
	v_fma_f64 v[86:87], -v[86:87], v[95:96], v[93:94]
	v_div_fmas_f64 v[86:87], v[86:87], v[91:92], v[95:96]
	v_div_fixup_f64 v[86:87], v[86:87], v[119:120], v[117:118]
	v_fma_f64 v[91:92], v[117:118], v[86:87], v[119:120]
	v_div_scale_f64 v[93:94], s[20:21], v[91:92], v[91:92], 1.0
	v_div_scale_f64 v[99:100], vcc, 1.0, v[91:92], 1.0
	v_rcp_f64_e32 v[95:96], v[93:94]
	v_fma_f64 v[97:98], -v[93:94], v[95:96], 1.0
	v_fma_f64 v[95:96], v[95:96], v[97:98], v[95:96]
	v_fma_f64 v[97:98], -v[93:94], v[95:96], 1.0
	v_fma_f64 v[95:96], v[95:96], v[97:98], v[95:96]
	v_mul_f64 v[97:98], v[99:100], v[95:96]
	v_fma_f64 v[93:94], -v[93:94], v[97:98], v[99:100]
	v_div_fmas_f64 v[93:94], v[93:94], v[95:96], v[97:98]
	v_div_fixup_f64 v[119:120], v[93:94], v[91:92], 1.0
	v_mul_f64 v[117:118], v[86:87], v[119:120]
	v_xor_b32_e32 v120, 0x80000000, v120
.LBB118_1246:
	s_andn2_saveexec_b64 s[18:19], s[18:19]
	s_cbranch_execz .LBB118_1248
; %bb.1247:
	v_div_scale_f64 v[86:87], s[20:21], v[117:118], v[117:118], v[119:120]
	v_rcp_f64_e32 v[91:92], v[86:87]
	v_fma_f64 v[93:94], -v[86:87], v[91:92], 1.0
	v_fma_f64 v[91:92], v[91:92], v[93:94], v[91:92]
	v_div_scale_f64 v[93:94], vcc, v[119:120], v[117:118], v[119:120]
	v_fma_f64 v[95:96], -v[86:87], v[91:92], 1.0
	v_fma_f64 v[91:92], v[91:92], v[95:96], v[91:92]
	v_mul_f64 v[95:96], v[93:94], v[91:92]
	v_fma_f64 v[86:87], -v[86:87], v[95:96], v[93:94]
	v_div_fmas_f64 v[86:87], v[86:87], v[91:92], v[95:96]
	v_div_fixup_f64 v[86:87], v[86:87], v[117:118], v[119:120]
	v_fma_f64 v[91:92], v[119:120], v[86:87], v[117:118]
	v_div_scale_f64 v[93:94], s[20:21], v[91:92], v[91:92], 1.0
	v_div_scale_f64 v[99:100], vcc, 1.0, v[91:92], 1.0
	v_rcp_f64_e32 v[95:96], v[93:94]
	v_fma_f64 v[97:98], -v[93:94], v[95:96], 1.0
	v_fma_f64 v[95:96], v[95:96], v[97:98], v[95:96]
	v_fma_f64 v[97:98], -v[93:94], v[95:96], 1.0
	v_fma_f64 v[95:96], v[95:96], v[97:98], v[95:96]
	v_mul_f64 v[97:98], v[99:100], v[95:96]
	v_fma_f64 v[93:94], -v[93:94], v[97:98], v[99:100]
	v_div_fmas_f64 v[93:94], v[93:94], v[95:96], v[97:98]
	v_div_fixup_f64 v[117:118], v[93:94], v[91:92], 1.0
	v_mul_f64 v[119:120], v[86:87], -v[117:118]
.LBB118_1248:
	s_or_b64 exec, exec, s[18:19]
.LBB118_1249:
	s_or_b64 exec, exec, s[0:1]
	v_cmp_ne_u32_e32 vcc, v89, v85
	v_mov_b32_e32 v86, 59
	s_and_saveexec_b64 s[0:1], vcc
	s_cbranch_execz .LBB118_1255
; %bb.1250:
	v_cmp_eq_u32_e32 vcc, 59, v89
	s_and_saveexec_b64 s[18:19], vcc
	s_cbranch_execz .LBB118_1254
; %bb.1251:
	v_cmp_ne_u32_e32 vcc, 59, v85
	s_xor_b64 s[6:7], s[6:7], -1
	s_and_b64 s[20:21], s[6:7], vcc
	s_and_saveexec_b64 s[6:7], s[20:21]
	s_cbranch_execz .LBB118_1253
; %bb.1252:
	v_ashrrev_i32_e32 v86, 31, v85
	v_lshlrev_b64 v[86:87], 2, v[85:86]
	v_add_co_u32_e32 v86, vcc, v107, v86
	v_addc_co_u32_e32 v87, vcc, v108, v87, vcc
	global_load_dword v0, v[86:87], off
	global_load_dword v88, v[107:108], off offset:236
	s_waitcnt vmcnt(1)
	global_store_dword v[107:108], v0, off offset:236
	s_waitcnt vmcnt(1)
	global_store_dword v[86:87], v88, off
.LBB118_1253:
	s_or_b64 exec, exec, s[6:7]
	v_mov_b32_e32 v89, v85
	v_mov_b32_e32 v127, v85
.LBB118_1254:
	s_or_b64 exec, exec, s[18:19]
	v_mov_b32_e32 v86, v89
.LBB118_1255:
	s_or_b64 exec, exec, s[0:1]
	v_cmp_gt_i32_e32 vcc, 60, v86
	v_ashrrev_i32_e32 v87, 31, v86
	s_waitcnt vmcnt(0)
	s_barrier
	s_barrier
	s_and_saveexec_b64 s[0:1], vcc
	s_cbranch_execz .LBB118_1257
; %bb.1256:
	v_mul_lo_u32 v0, s15, v103
	v_mul_lo_u32 v85, s14, v104
	v_mad_u64_u32 v[88:89], s[6:7], s14, v103, 0
	s_lshl_b64 s[6:7], s[12:13], 2
	v_add3_u32 v89, v89, v85, v0
	v_lshlrev_b64 v[88:89], 2, v[88:89]
	v_mov_b32_e32 v0, s11
	v_add_co_u32_e32 v85, vcc, s10, v88
	v_addc_co_u32_e32 v0, vcc, v0, v89, vcc
	v_mov_b32_e32 v88, s7
	v_add_co_u32_e32 v85, vcc, s6, v85
	v_addc_co_u32_e32 v0, vcc, v0, v88, vcc
	v_lshlrev_b64 v[88:89], 2, v[86:87]
	v_add_co_u32_e32 v88, vcc, v85, v88
	v_addc_co_u32_e32 v89, vcc, v0, v89, vcc
	v_add3_u32 v0, v127, s17, 1
	global_store_dword v[88:89], v0, off
.LBB118_1257:
	s_or_b64 exec, exec, s[0:1]
	v_cmp_eq_u32_e32 vcc, 0, v86
	s_and_saveexec_b64 s[6:7], vcc
	s_cbranch_execz .LBB118_1260
; %bb.1258:
	v_lshlrev_b64 v[88:89], 2, v[103:104]
	v_mov_b32_e32 v0, s5
	v_add_co_u32_e32 v88, vcc, s4, v88
	v_addc_co_u32_e32 v89, vcc, v0, v89, vcc
	global_load_dword v0, v[88:89], off
	v_cmp_ne_u32_e64 s[0:1], 0, v90
	s_waitcnt vmcnt(0)
	v_cmp_eq_u32_e32 vcc, 0, v0
	s_and_b64 s[0:1], vcc, s[0:1]
	s_and_b64 exec, exec, s[0:1]
	s_cbranch_execz .LBB118_1260
; %bb.1259:
	v_add_u32_e32 v0, s17, v90
	global_store_dword v[88:89], v0, off
.LBB118_1260:
	s_or_b64 exec, exec, s[6:7]
	v_mul_f64 v[88:89], v[117:118], v[123:124]
	v_mul_f64 v[90:91], v[119:120], v[123:124]
	v_cmp_lt_i32_e32 vcc, 59, v86
	buffer_load_dword v94, off, s[24:27], 0 offset:596 ; 4-byte Folded Reload
	v_mov_b32_e32 v0, s9
	v_add_u32_e32 v85, s16, v86
	v_fma_f64 v[88:89], v[119:120], v[121:122], v[88:89]
	v_fma_f64 v[90:91], v[117:118], v[121:122], -v[90:91]
	v_cndmask_b32_e32 v120, v124, v89, vcc
	buffer_load_dword v89, off, s[24:27], 0 offset:576 ; 4-byte Folded Reload
	v_cndmask_b32_e32 v118, v122, v91, vcc
	v_cndmask_b32_e32 v117, v121, v90, vcc
	buffer_load_dword v90, off, s[24:27], 0 offset:560 ; 4-byte Folded Reload
	buffer_load_dword v91, off, s[24:27], 0 offset:564 ; 4-byte Folded Reload
	;; [unrolled: 1-line block ×4, first 2 shown]
	v_cndmask_b32_e32 v119, v123, v88, vcc
	v_lshlrev_b64 v[87:88], 4, v[86:87]
	v_ashrrev_i32_e32 v86, 31, v85
	s_waitcnt vmcnt(5)
	v_add_co_u32_e32 v87, vcc, v94, v87
	s_waitcnt vmcnt(4)
	v_addc_co_u32_e32 v88, vcc, v89, v88, vcc
	s_waitcnt vmcnt(0)
	global_store_dwordx4 v[87:88], v[90:93], off
	buffer_load_dword v90, off, s[24:27], 0 offset:544 ; 4-byte Folded Reload
	s_nop 0
	buffer_load_dword v91, off, s[24:27], 0 offset:548 ; 4-byte Folded Reload
	buffer_load_dword v92, off, s[24:27], 0 offset:552 ; 4-byte Folded Reload
	;; [unrolled: 1-line block ×3, first 2 shown]
	v_add_co_u32_e32 v87, vcc, s8, v87
	v_addc_co_u32_e32 v88, vcc, v88, v0, vcc
	s_waitcnt vmcnt(0)
	global_store_dwordx4 v[87:88], v[90:93], off
	buffer_load_dword v90, off, s[24:27], 0 offset:528 ; 4-byte Folded Reload
	s_nop 0
	buffer_load_dword v91, off, s[24:27], 0 offset:532 ; 4-byte Folded Reload
	buffer_load_dword v92, off, s[24:27], 0 offset:536 ; 4-byte Folded Reload
	;; [unrolled: 1-line block ×3, first 2 shown]
	v_lshlrev_b64 v[86:87], 4, v[85:86]
	v_add_u32_e32 v85, s2, v85
	v_add_co_u32_e32 v86, vcc, v94, v86
	v_addc_co_u32_e32 v87, vcc, v89, v87, vcc
	s_waitcnt vmcnt(0)
	global_store_dwordx4 v[86:87], v[90:93], off
	buffer_load_dword v90, off, s[24:27], 0 offset:512 ; 4-byte Folded Reload
	s_nop 0
	buffer_load_dword v91, off, s[24:27], 0 offset:516 ; 4-byte Folded Reload
	buffer_load_dword v92, off, s[24:27], 0 offset:520 ; 4-byte Folded Reload
	buffer_load_dword v93, off, s[24:27], 0 offset:524 ; 4-byte Folded Reload
	v_ashrrev_i32_e32 v86, 31, v85
	v_lshlrev_b64 v[86:87], 4, v[85:86]
	v_add_u32_e32 v85, s2, v85
	v_add_co_u32_e32 v86, vcc, v94, v86
	v_addc_co_u32_e32 v87, vcc, v89, v87, vcc
	s_waitcnt vmcnt(0)
	global_store_dwordx4 v[86:87], v[90:93], off
	buffer_load_dword v90, off, s[24:27], 0 offset:496 ; 4-byte Folded Reload
	s_nop 0
	buffer_load_dword v91, off, s[24:27], 0 offset:500 ; 4-byte Folded Reload
	buffer_load_dword v92, off, s[24:27], 0 offset:504 ; 4-byte Folded Reload
	buffer_load_dword v93, off, s[24:27], 0 offset:508 ; 4-byte Folded Reload
	v_ashrrev_i32_e32 v86, 31, v85
	v_lshlrev_b64 v[86:87], 4, v[85:86]
	v_add_u32_e32 v85, s2, v85
	v_add_co_u32_e32 v86, vcc, v94, v86
	v_addc_co_u32_e32 v87, vcc, v89, v87, vcc
	s_waitcnt vmcnt(0)
	global_store_dwordx4 v[86:87], v[90:93], off
	buffer_load_dword v90, off, s[24:27], 0 offset:480 ; 4-byte Folded Reload
	s_nop 0
	buffer_load_dword v91, off, s[24:27], 0 offset:484 ; 4-byte Folded Reload
	buffer_load_dword v92, off, s[24:27], 0 offset:488 ; 4-byte Folded Reload
	buffer_load_dword v93, off, s[24:27], 0 offset:492 ; 4-byte Folded Reload
	v_ashrrev_i32_e32 v86, 31, v85
	v_lshlrev_b64 v[86:87], 4, v[85:86]
	v_add_u32_e32 v85, s2, v85
	v_add_co_u32_e32 v86, vcc, v94, v86
	v_addc_co_u32_e32 v87, vcc, v89, v87, vcc
	s_waitcnt vmcnt(0)
	global_store_dwordx4 v[86:87], v[90:93], off
	buffer_load_dword v90, off, s[24:27], 0 offset:464 ; 4-byte Folded Reload
	s_nop 0
	buffer_load_dword v91, off, s[24:27], 0 offset:468 ; 4-byte Folded Reload
	buffer_load_dword v92, off, s[24:27], 0 offset:472 ; 4-byte Folded Reload
	buffer_load_dword v93, off, s[24:27], 0 offset:476 ; 4-byte Folded Reload
	v_ashrrev_i32_e32 v86, 31, v85
	v_lshlrev_b64 v[86:87], 4, v[85:86]
	v_add_u32_e32 v85, s2, v85
	v_add_co_u32_e32 v86, vcc, v94, v86
	v_addc_co_u32_e32 v87, vcc, v89, v87, vcc
	s_waitcnt vmcnt(0)
	global_store_dwordx4 v[86:87], v[90:93], off
	buffer_load_dword v90, off, s[24:27], 0 offset:448 ; 4-byte Folded Reload
	s_nop 0
	buffer_load_dword v91, off, s[24:27], 0 offset:452 ; 4-byte Folded Reload
	buffer_load_dword v92, off, s[24:27], 0 offset:456 ; 4-byte Folded Reload
	buffer_load_dword v93, off, s[24:27], 0 offset:460 ; 4-byte Folded Reload
	v_ashrrev_i32_e32 v86, 31, v85
	v_lshlrev_b64 v[86:87], 4, v[85:86]
	v_add_u32_e32 v85, s2, v85
	v_add_co_u32_e32 v86, vcc, v94, v86
	v_addc_co_u32_e32 v87, vcc, v89, v87, vcc
	s_waitcnt vmcnt(0)
	global_store_dwordx4 v[86:87], v[90:93], off
	buffer_load_dword v90, off, s[24:27], 0 offset:432 ; 4-byte Folded Reload
	s_nop 0
	buffer_load_dword v91, off, s[24:27], 0 offset:436 ; 4-byte Folded Reload
	buffer_load_dword v92, off, s[24:27], 0 offset:440 ; 4-byte Folded Reload
	buffer_load_dword v93, off, s[24:27], 0 offset:444 ; 4-byte Folded Reload
	v_ashrrev_i32_e32 v86, 31, v85
	v_lshlrev_b64 v[86:87], 4, v[85:86]
	v_add_u32_e32 v85, s2, v85
	v_add_co_u32_e32 v86, vcc, v94, v86
	v_addc_co_u32_e32 v87, vcc, v89, v87, vcc
	s_waitcnt vmcnt(0)
	global_store_dwordx4 v[86:87], v[90:93], off
	buffer_load_dword v90, off, s[24:27], 0 offset:416 ; 4-byte Folded Reload
	s_nop 0
	buffer_load_dword v91, off, s[24:27], 0 offset:420 ; 4-byte Folded Reload
	buffer_load_dword v92, off, s[24:27], 0 offset:424 ; 4-byte Folded Reload
	buffer_load_dword v93, off, s[24:27], 0 offset:428 ; 4-byte Folded Reload
	v_ashrrev_i32_e32 v86, 31, v85
	v_lshlrev_b64 v[86:87], 4, v[85:86]
	v_add_u32_e32 v85, s2, v85
	v_add_co_u32_e32 v86, vcc, v94, v86
	v_addc_co_u32_e32 v87, vcc, v89, v87, vcc
	s_waitcnt vmcnt(0)
	global_store_dwordx4 v[86:87], v[90:93], off
	buffer_load_dword v90, off, s[24:27], 0 offset:400 ; 4-byte Folded Reload
	s_nop 0
	buffer_load_dword v91, off, s[24:27], 0 offset:404 ; 4-byte Folded Reload
	buffer_load_dword v92, off, s[24:27], 0 offset:408 ; 4-byte Folded Reload
	buffer_load_dword v93, off, s[24:27], 0 offset:412 ; 4-byte Folded Reload
	v_ashrrev_i32_e32 v86, 31, v85
	v_lshlrev_b64 v[86:87], 4, v[85:86]
	v_add_u32_e32 v85, s2, v85
	v_add_co_u32_e32 v86, vcc, v94, v86
	v_addc_co_u32_e32 v87, vcc, v89, v87, vcc
	s_waitcnt vmcnt(0)
	global_store_dwordx4 v[86:87], v[90:93], off
	buffer_load_dword v90, off, s[24:27], 0 offset:384 ; 4-byte Folded Reload
	s_nop 0
	buffer_load_dword v91, off, s[24:27], 0 offset:388 ; 4-byte Folded Reload
	buffer_load_dword v92, off, s[24:27], 0 offset:392 ; 4-byte Folded Reload
	buffer_load_dword v93, off, s[24:27], 0 offset:396 ; 4-byte Folded Reload
	v_ashrrev_i32_e32 v86, 31, v85
	v_lshlrev_b64 v[86:87], 4, v[85:86]
	v_add_u32_e32 v85, s2, v85
	v_add_co_u32_e32 v86, vcc, v94, v86
	v_addc_co_u32_e32 v87, vcc, v89, v87, vcc
	s_waitcnt vmcnt(0)
	global_store_dwordx4 v[86:87], v[90:93], off
	buffer_load_dword v90, off, s[24:27], 0 offset:368 ; 4-byte Folded Reload
	s_nop 0
	buffer_load_dword v91, off, s[24:27], 0 offset:372 ; 4-byte Folded Reload
	buffer_load_dword v92, off, s[24:27], 0 offset:376 ; 4-byte Folded Reload
	buffer_load_dword v93, off, s[24:27], 0 offset:380 ; 4-byte Folded Reload
	v_ashrrev_i32_e32 v86, 31, v85
	v_lshlrev_b64 v[86:87], 4, v[85:86]
	v_add_u32_e32 v85, s2, v85
	v_add_co_u32_e32 v86, vcc, v94, v86
	v_addc_co_u32_e32 v87, vcc, v89, v87, vcc
	s_waitcnt vmcnt(0)
	global_store_dwordx4 v[86:87], v[90:93], off
	buffer_load_dword v90, off, s[24:27], 0 offset:352 ; 4-byte Folded Reload
	s_nop 0
	buffer_load_dword v91, off, s[24:27], 0 offset:356 ; 4-byte Folded Reload
	buffer_load_dword v92, off, s[24:27], 0 offset:360 ; 4-byte Folded Reload
	buffer_load_dword v93, off, s[24:27], 0 offset:364 ; 4-byte Folded Reload
	v_ashrrev_i32_e32 v86, 31, v85
	v_lshlrev_b64 v[86:87], 4, v[85:86]
	v_add_u32_e32 v85, s2, v85
	v_add_co_u32_e32 v86, vcc, v94, v86
	v_addc_co_u32_e32 v87, vcc, v89, v87, vcc
	s_waitcnt vmcnt(0)
	global_store_dwordx4 v[86:87], v[90:93], off
	buffer_load_dword v90, off, s[24:27], 0 offset:336 ; 4-byte Folded Reload
	s_nop 0
	buffer_load_dword v91, off, s[24:27], 0 offset:340 ; 4-byte Folded Reload
	buffer_load_dword v92, off, s[24:27], 0 offset:344 ; 4-byte Folded Reload
	buffer_load_dword v93, off, s[24:27], 0 offset:348 ; 4-byte Folded Reload
	v_ashrrev_i32_e32 v86, 31, v85
	v_lshlrev_b64 v[86:87], 4, v[85:86]
	v_add_u32_e32 v85, s2, v85
	v_add_co_u32_e32 v86, vcc, v94, v86
	v_addc_co_u32_e32 v87, vcc, v89, v87, vcc
	s_waitcnt vmcnt(0)
	global_store_dwordx4 v[86:87], v[90:93], off
	buffer_load_dword v90, off, s[24:27], 0 offset:320 ; 4-byte Folded Reload
	s_nop 0
	buffer_load_dword v91, off, s[24:27], 0 offset:324 ; 4-byte Folded Reload
	buffer_load_dword v92, off, s[24:27], 0 offset:328 ; 4-byte Folded Reload
	buffer_load_dword v93, off, s[24:27], 0 offset:332 ; 4-byte Folded Reload
	v_ashrrev_i32_e32 v86, 31, v85
	v_lshlrev_b64 v[86:87], 4, v[85:86]
	v_add_u32_e32 v85, s2, v85
	v_add_co_u32_e32 v86, vcc, v94, v86
	v_addc_co_u32_e32 v87, vcc, v89, v87, vcc
	s_waitcnt vmcnt(0)
	global_store_dwordx4 v[86:87], v[90:93], off
	buffer_load_dword v90, off, s[24:27], 0 offset:304 ; 4-byte Folded Reload
	s_nop 0
	buffer_load_dword v91, off, s[24:27], 0 offset:308 ; 4-byte Folded Reload
	buffer_load_dword v92, off, s[24:27], 0 offset:312 ; 4-byte Folded Reload
	buffer_load_dword v93, off, s[24:27], 0 offset:316 ; 4-byte Folded Reload
	v_ashrrev_i32_e32 v86, 31, v85
	v_lshlrev_b64 v[86:87], 4, v[85:86]
	v_add_u32_e32 v85, s2, v85
	v_add_co_u32_e32 v86, vcc, v94, v86
	v_addc_co_u32_e32 v87, vcc, v89, v87, vcc
	s_waitcnt vmcnt(0)
	global_store_dwordx4 v[86:87], v[90:93], off
	buffer_load_dword v90, off, s[24:27], 0 offset:288 ; 4-byte Folded Reload
	s_nop 0
	buffer_load_dword v91, off, s[24:27], 0 offset:292 ; 4-byte Folded Reload
	buffer_load_dword v92, off, s[24:27], 0 offset:296 ; 4-byte Folded Reload
	buffer_load_dword v93, off, s[24:27], 0 offset:300 ; 4-byte Folded Reload
	v_ashrrev_i32_e32 v86, 31, v85
	v_lshlrev_b64 v[86:87], 4, v[85:86]
	v_add_u32_e32 v85, s2, v85
	v_add_co_u32_e32 v86, vcc, v94, v86
	v_addc_co_u32_e32 v87, vcc, v89, v87, vcc
	s_waitcnt vmcnt(0)
	global_store_dwordx4 v[86:87], v[90:93], off
	buffer_load_dword v90, off, s[24:27], 0 offset:272 ; 4-byte Folded Reload
	s_nop 0
	buffer_load_dword v91, off, s[24:27], 0 offset:276 ; 4-byte Folded Reload
	buffer_load_dword v92, off, s[24:27], 0 offset:280 ; 4-byte Folded Reload
	buffer_load_dword v93, off, s[24:27], 0 offset:284 ; 4-byte Folded Reload
	v_ashrrev_i32_e32 v86, 31, v85
	v_lshlrev_b64 v[86:87], 4, v[85:86]
	v_add_u32_e32 v85, s2, v85
	v_add_co_u32_e32 v86, vcc, v94, v86
	v_addc_co_u32_e32 v87, vcc, v89, v87, vcc
	s_waitcnt vmcnt(0)
	global_store_dwordx4 v[86:87], v[90:93], off
	buffer_load_dword v90, off, s[24:27], 0 offset:256 ; 4-byte Folded Reload
	s_nop 0
	buffer_load_dword v91, off, s[24:27], 0 offset:260 ; 4-byte Folded Reload
	buffer_load_dword v92, off, s[24:27], 0 offset:264 ; 4-byte Folded Reload
	buffer_load_dword v93, off, s[24:27], 0 offset:268 ; 4-byte Folded Reload
	v_ashrrev_i32_e32 v86, 31, v85
	v_lshlrev_b64 v[86:87], 4, v[85:86]
	v_add_u32_e32 v85, s2, v85
	v_add_co_u32_e32 v86, vcc, v94, v86
	v_addc_co_u32_e32 v87, vcc, v89, v87, vcc
	s_waitcnt vmcnt(0)
	global_store_dwordx4 v[86:87], v[90:93], off
	buffer_load_dword v90, off, s[24:27], 0 offset:240 ; 4-byte Folded Reload
	s_nop 0
	buffer_load_dword v91, off, s[24:27], 0 offset:244 ; 4-byte Folded Reload
	buffer_load_dword v92, off, s[24:27], 0 offset:248 ; 4-byte Folded Reload
	buffer_load_dword v93, off, s[24:27], 0 offset:252 ; 4-byte Folded Reload
	v_ashrrev_i32_e32 v86, 31, v85
	v_lshlrev_b64 v[86:87], 4, v[85:86]
	v_add_u32_e32 v85, s2, v85
	v_add_co_u32_e32 v86, vcc, v94, v86
	v_addc_co_u32_e32 v87, vcc, v89, v87, vcc
	s_waitcnt vmcnt(0)
	global_store_dwordx4 v[86:87], v[90:93], off
	buffer_load_dword v90, off, s[24:27], 0 offset:224 ; 4-byte Folded Reload
	s_nop 0
	buffer_load_dword v91, off, s[24:27], 0 offset:228 ; 4-byte Folded Reload
	buffer_load_dword v92, off, s[24:27], 0 offset:232 ; 4-byte Folded Reload
	buffer_load_dword v93, off, s[24:27], 0 offset:236 ; 4-byte Folded Reload
	v_ashrrev_i32_e32 v86, 31, v85
	v_lshlrev_b64 v[86:87], 4, v[85:86]
	v_add_u32_e32 v85, s2, v85
	v_add_co_u32_e32 v86, vcc, v94, v86
	v_addc_co_u32_e32 v87, vcc, v89, v87, vcc
	s_waitcnt vmcnt(0)
	global_store_dwordx4 v[86:87], v[90:93], off
	buffer_load_dword v90, off, s[24:27], 0 offset:208 ; 4-byte Folded Reload
	s_nop 0
	buffer_load_dword v91, off, s[24:27], 0 offset:212 ; 4-byte Folded Reload
	buffer_load_dword v92, off, s[24:27], 0 offset:216 ; 4-byte Folded Reload
	buffer_load_dword v93, off, s[24:27], 0 offset:220 ; 4-byte Folded Reload
	v_ashrrev_i32_e32 v86, 31, v85
	v_lshlrev_b64 v[86:87], 4, v[85:86]
	v_add_u32_e32 v85, s2, v85
	v_add_co_u32_e32 v86, vcc, v94, v86
	v_addc_co_u32_e32 v87, vcc, v89, v87, vcc
	s_waitcnt vmcnt(0)
	global_store_dwordx4 v[86:87], v[90:93], off
	buffer_load_dword v90, off, s[24:27], 0 offset:192 ; 4-byte Folded Reload
	s_nop 0
	buffer_load_dword v91, off, s[24:27], 0 offset:196 ; 4-byte Folded Reload
	buffer_load_dword v92, off, s[24:27], 0 offset:200 ; 4-byte Folded Reload
	buffer_load_dword v93, off, s[24:27], 0 offset:204 ; 4-byte Folded Reload
	v_ashrrev_i32_e32 v86, 31, v85
	v_lshlrev_b64 v[86:87], 4, v[85:86]
	v_add_u32_e32 v85, s2, v85
	v_add_co_u32_e32 v86, vcc, v94, v86
	v_addc_co_u32_e32 v87, vcc, v89, v87, vcc
	s_waitcnt vmcnt(0)
	global_store_dwordx4 v[86:87], v[90:93], off
	buffer_load_dword v90, off, s[24:27], 0 offset:176 ; 4-byte Folded Reload
	s_nop 0
	buffer_load_dword v91, off, s[24:27], 0 offset:180 ; 4-byte Folded Reload
	buffer_load_dword v92, off, s[24:27], 0 offset:184 ; 4-byte Folded Reload
	buffer_load_dword v93, off, s[24:27], 0 offset:188 ; 4-byte Folded Reload
	v_ashrrev_i32_e32 v86, 31, v85
	v_lshlrev_b64 v[86:87], 4, v[85:86]
	v_add_u32_e32 v85, s2, v85
	v_add_co_u32_e32 v86, vcc, v94, v86
	v_addc_co_u32_e32 v87, vcc, v89, v87, vcc
	s_waitcnt vmcnt(0)
	global_store_dwordx4 v[86:87], v[90:93], off
	buffer_load_dword v90, off, s[24:27], 0 offset:160 ; 4-byte Folded Reload
	s_nop 0
	buffer_load_dword v91, off, s[24:27], 0 offset:164 ; 4-byte Folded Reload
	buffer_load_dword v92, off, s[24:27], 0 offset:168 ; 4-byte Folded Reload
	buffer_load_dword v93, off, s[24:27], 0 offset:172 ; 4-byte Folded Reload
	v_ashrrev_i32_e32 v86, 31, v85
	v_lshlrev_b64 v[86:87], 4, v[85:86]
	v_add_u32_e32 v85, s2, v85
	v_add_co_u32_e32 v86, vcc, v94, v86
	v_addc_co_u32_e32 v87, vcc, v89, v87, vcc
	s_waitcnt vmcnt(0)
	global_store_dwordx4 v[86:87], v[90:93], off
	buffer_load_dword v90, off, s[24:27], 0 offset:144 ; 4-byte Folded Reload
	s_nop 0
	buffer_load_dword v91, off, s[24:27], 0 offset:148 ; 4-byte Folded Reload
	buffer_load_dword v92, off, s[24:27], 0 offset:152 ; 4-byte Folded Reload
	buffer_load_dword v93, off, s[24:27], 0 offset:156 ; 4-byte Folded Reload
	v_ashrrev_i32_e32 v86, 31, v85
	v_lshlrev_b64 v[86:87], 4, v[85:86]
	v_add_u32_e32 v85, s2, v85
	v_add_co_u32_e32 v86, vcc, v94, v86
	v_addc_co_u32_e32 v87, vcc, v89, v87, vcc
	s_waitcnt vmcnt(0)
	global_store_dwordx4 v[86:87], v[90:93], off
	buffer_load_dword v90, off, s[24:27], 0 offset:128 ; 4-byte Folded Reload
	s_nop 0
	buffer_load_dword v91, off, s[24:27], 0 offset:132 ; 4-byte Folded Reload
	buffer_load_dword v92, off, s[24:27], 0 offset:136 ; 4-byte Folded Reload
	buffer_load_dword v93, off, s[24:27], 0 offset:140 ; 4-byte Folded Reload
	v_ashrrev_i32_e32 v86, 31, v85
	v_lshlrev_b64 v[86:87], 4, v[85:86]
	v_add_u32_e32 v85, s2, v85
	v_add_co_u32_e32 v86, vcc, v94, v86
	v_addc_co_u32_e32 v87, vcc, v89, v87, vcc
	s_waitcnt vmcnt(0)
	global_store_dwordx4 v[86:87], v[90:93], off
	buffer_load_dword v90, off, s[24:27], 0 offset:112 ; 4-byte Folded Reload
	s_nop 0
	buffer_load_dword v91, off, s[24:27], 0 offset:116 ; 4-byte Folded Reload
	buffer_load_dword v92, off, s[24:27], 0 offset:120 ; 4-byte Folded Reload
	buffer_load_dword v93, off, s[24:27], 0 offset:124 ; 4-byte Folded Reload
	v_ashrrev_i32_e32 v86, 31, v85
	v_lshlrev_b64 v[86:87], 4, v[85:86]
	v_add_u32_e32 v85, s2, v85
	v_add_co_u32_e32 v86, vcc, v94, v86
	v_addc_co_u32_e32 v87, vcc, v89, v87, vcc
	s_waitcnt vmcnt(0)
	global_store_dwordx4 v[86:87], v[90:93], off
	buffer_load_dword v90, off, s[24:27], 0 offset:96 ; 4-byte Folded Reload
	s_nop 0
	buffer_load_dword v91, off, s[24:27], 0 offset:100 ; 4-byte Folded Reload
	buffer_load_dword v92, off, s[24:27], 0 offset:104 ; 4-byte Folded Reload
	buffer_load_dword v93, off, s[24:27], 0 offset:108 ; 4-byte Folded Reload
	v_ashrrev_i32_e32 v86, 31, v85
	v_lshlrev_b64 v[86:87], 4, v[85:86]
	v_add_u32_e32 v85, s2, v85
	v_add_co_u32_e32 v86, vcc, v94, v86
	v_addc_co_u32_e32 v87, vcc, v89, v87, vcc
	s_waitcnt vmcnt(0)
	global_store_dwordx4 v[86:87], v[90:93], off
	buffer_load_dword v90, off, s[24:27], 0 offset:80 ; 4-byte Folded Reload
	s_nop 0
	buffer_load_dword v91, off, s[24:27], 0 offset:84 ; 4-byte Folded Reload
	buffer_load_dword v92, off, s[24:27], 0 offset:88 ; 4-byte Folded Reload
	buffer_load_dword v93, off, s[24:27], 0 offset:92 ; 4-byte Folded Reload
	v_ashrrev_i32_e32 v86, 31, v85
	v_lshlrev_b64 v[86:87], 4, v[85:86]
	v_add_u32_e32 v85, s2, v85
	v_add_co_u32_e32 v86, vcc, v94, v86
	v_addc_co_u32_e32 v87, vcc, v89, v87, vcc
	s_waitcnt vmcnt(0)
	global_store_dwordx4 v[86:87], v[90:93], off
	buffer_load_dword v90, off, s[24:27], 0 offset:64 ; 4-byte Folded Reload
	s_nop 0
	buffer_load_dword v91, off, s[24:27], 0 offset:68 ; 4-byte Folded Reload
	buffer_load_dword v92, off, s[24:27], 0 offset:72 ; 4-byte Folded Reload
	buffer_load_dword v93, off, s[24:27], 0 offset:76 ; 4-byte Folded Reload
	v_ashrrev_i32_e32 v86, 31, v85
	v_lshlrev_b64 v[86:87], 4, v[85:86]
	v_add_u32_e32 v85, s2, v85
	v_add_co_u32_e32 v86, vcc, v94, v86
	v_addc_co_u32_e32 v87, vcc, v89, v87, vcc
	s_waitcnt vmcnt(0)
	global_store_dwordx4 v[86:87], v[90:93], off
	buffer_load_dword v90, off, s[24:27], 0 offset:48 ; 4-byte Folded Reload
	s_nop 0
	buffer_load_dword v91, off, s[24:27], 0 offset:52 ; 4-byte Folded Reload
	buffer_load_dword v92, off, s[24:27], 0 offset:56 ; 4-byte Folded Reload
	buffer_load_dword v93, off, s[24:27], 0 offset:60 ; 4-byte Folded Reload
	v_ashrrev_i32_e32 v86, 31, v85
	v_lshlrev_b64 v[86:87], 4, v[85:86]
	v_add_u32_e32 v85, s2, v85
	v_add_co_u32_e32 v86, vcc, v94, v86
	v_addc_co_u32_e32 v87, vcc, v89, v87, vcc
	s_waitcnt vmcnt(0)
	global_store_dwordx4 v[86:87], v[90:93], off
	buffer_load_dword v90, off, s[24:27], 0 offset:32 ; 4-byte Folded Reload
	s_nop 0
	buffer_load_dword v91, off, s[24:27], 0 offset:36 ; 4-byte Folded Reload
	buffer_load_dword v92, off, s[24:27], 0 offset:40 ; 4-byte Folded Reload
	buffer_load_dword v93, off, s[24:27], 0 offset:44 ; 4-byte Folded Reload
	v_ashrrev_i32_e32 v86, 31, v85
	v_lshlrev_b64 v[86:87], 4, v[85:86]
	v_add_u32_e32 v85, s2, v85
	v_add_co_u32_e32 v86, vcc, v94, v86
	v_addc_co_u32_e32 v87, vcc, v89, v87, vcc
	s_waitcnt vmcnt(0)
	global_store_dwordx4 v[86:87], v[90:93], off
	buffer_load_dword v90, off, s[24:27], 0 offset:16 ; 4-byte Folded Reload
	s_nop 0
	buffer_load_dword v91, off, s[24:27], 0 offset:20 ; 4-byte Folded Reload
	buffer_load_dword v92, off, s[24:27], 0 offset:24 ; 4-byte Folded Reload
	buffer_load_dword v93, off, s[24:27], 0 offset:28 ; 4-byte Folded Reload
	v_ashrrev_i32_e32 v86, 31, v85
	v_lshlrev_b64 v[86:87], 4, v[85:86]
	v_add_u32_e32 v85, s2, v85
	v_add_co_u32_e32 v86, vcc, v94, v86
	v_addc_co_u32_e32 v87, vcc, v89, v87, vcc
	s_waitcnt vmcnt(0)
	global_store_dwordx4 v[86:87], v[90:93], off
	buffer_load_dword v90, off, s[24:27], 0 ; 4-byte Folded Reload
	s_nop 0
	buffer_load_dword v91, off, s[24:27], 0 offset:4 ; 4-byte Folded Reload
	buffer_load_dword v92, off, s[24:27], 0 offset:8 ; 4-byte Folded Reload
	;; [unrolled: 1-line block ×3, first 2 shown]
	v_ashrrev_i32_e32 v86, 31, v85
	v_lshlrev_b64 v[86:87], 4, v[85:86]
	v_add_u32_e32 v85, s2, v85
	v_add_co_u32_e32 v86, vcc, v94, v86
	v_addc_co_u32_e32 v87, vcc, v89, v87, vcc
	s_waitcnt vmcnt(0)
	global_store_dwordx4 v[86:87], v[90:93], off
	v_ashrrev_i32_e32 v86, 31, v85
	v_lshlrev_b64 v[86:87], 4, v[85:86]
	v_add_u32_e32 v85, s2, v85
	v_add_co_u32_e32 v86, vcc, v94, v86
	v_addc_co_u32_e32 v87, vcc, v89, v87, vcc
	global_store_dwordx4 v[86:87], v[113:116], off
	v_ashrrev_i32_e32 v86, 31, v85
	v_lshlrev_b64 v[86:87], 4, v[85:86]
	v_add_u32_e32 v85, s2, v85
	v_add_co_u32_e32 v86, vcc, v94, v86
	v_addc_co_u32_e32 v87, vcc, v89, v87, vcc
	global_store_dwordx4 v[86:87], v[109:112], off
	v_ashrrev_i32_e32 v86, 31, v85
	v_lshlrev_b64 v[86:87], 4, v[85:86]
	v_add_co_u32_e32 v86, vcc, v94, v86
	v_addc_co_u32_e32 v87, vcc, v89, v87, vcc
	global_store_dwordx4 v[86:87], v[81:84], off
	s_nop 0
	v_add_u32_e32 v81, s2, v85
	v_ashrrev_i32_e32 v82, 31, v81
	v_lshlrev_b64 v[82:83], 4, v[81:82]
	v_add_co_u32_e32 v82, vcc, v94, v82
	v_addc_co_u32_e32 v83, vcc, v89, v83, vcc
	global_store_dwordx4 v[82:83], v[77:80], off
	s_nop 0
	v_add_u32_e32 v77, s2, v81
	;; [unrolled: 7-line block ×20, first 2 shown]
	v_ashrrev_i32_e32 v6, 31, v5
	v_lshlrev_b64 v[6:7], 4, v[5:6]
	v_add_u32_e32 v0, s2, v5
	v_add_co_u32_e32 v6, vcc, v94, v6
	v_addc_co_u32_e32 v7, vcc, v89, v7, vcc
	global_store_dwordx4 v[6:7], v[1:4], off
	s_nop 0
	v_ashrrev_i32_e32 v1, 31, v0
	v_lshlrev_b64 v[0:1], 4, v[0:1]
	v_add_co_u32_e32 v0, vcc, v94, v0
	v_addc_co_u32_e32 v1, vcc, v89, v1, vcc
	global_store_dwordx4 v[0:1], v[117:120], off
.LBB118_1261:
	s_endpgm
	.section	.rodata,"a",@progbits
	.p2align	6, 0x0
	.amdhsa_kernel _ZN9rocsolver6v33100L18getf2_small_kernelILi60E19rocblas_complex_numIdEiiPS3_EEvT1_T3_lS5_lPS5_llPT2_S5_S5_S7_l
		.amdhsa_group_segment_fixed_size 0
		.amdhsa_private_segment_fixed_size 604
		.amdhsa_kernarg_size 352
		.amdhsa_user_sgpr_count 6
		.amdhsa_user_sgpr_private_segment_buffer 1
		.amdhsa_user_sgpr_dispatch_ptr 0
		.amdhsa_user_sgpr_queue_ptr 0
		.amdhsa_user_sgpr_kernarg_segment_ptr 1
		.amdhsa_user_sgpr_dispatch_id 0
		.amdhsa_user_sgpr_flat_scratch_init 0
		.amdhsa_user_sgpr_private_segment_size 0
		.amdhsa_uses_dynamic_stack 0
		.amdhsa_system_sgpr_private_segment_wavefront_offset 1
		.amdhsa_system_sgpr_workgroup_id_x 1
		.amdhsa_system_sgpr_workgroup_id_y 1
		.amdhsa_system_sgpr_workgroup_id_z 0
		.amdhsa_system_sgpr_workgroup_info 0
		.amdhsa_system_vgpr_workitem_id 1
		.amdhsa_next_free_vgpr 128
		.amdhsa_next_free_sgpr 30
		.amdhsa_reserve_vcc 1
		.amdhsa_reserve_flat_scratch 0
		.amdhsa_float_round_mode_32 0
		.amdhsa_float_round_mode_16_64 0
		.amdhsa_float_denorm_mode_32 3
		.amdhsa_float_denorm_mode_16_64 3
		.amdhsa_dx10_clamp 1
		.amdhsa_ieee_mode 1
		.amdhsa_fp16_overflow 0
		.amdhsa_exception_fp_ieee_invalid_op 0
		.amdhsa_exception_fp_denorm_src 0
		.amdhsa_exception_fp_ieee_div_zero 0
		.amdhsa_exception_fp_ieee_overflow 0
		.amdhsa_exception_fp_ieee_underflow 0
		.amdhsa_exception_fp_ieee_inexact 0
		.amdhsa_exception_int_div_zero 0
	.end_amdhsa_kernel
	.section	.text._ZN9rocsolver6v33100L18getf2_small_kernelILi60E19rocblas_complex_numIdEiiPS3_EEvT1_T3_lS5_lPS5_llPT2_S5_S5_S7_l,"axG",@progbits,_ZN9rocsolver6v33100L18getf2_small_kernelILi60E19rocblas_complex_numIdEiiPS3_EEvT1_T3_lS5_lPS5_llPT2_S5_S5_S7_l,comdat
.Lfunc_end118:
	.size	_ZN9rocsolver6v33100L18getf2_small_kernelILi60E19rocblas_complex_numIdEiiPS3_EEvT1_T3_lS5_lPS5_llPT2_S5_S5_S7_l, .Lfunc_end118-_ZN9rocsolver6v33100L18getf2_small_kernelILi60E19rocblas_complex_numIdEiiPS3_EEvT1_T3_lS5_lPS5_llPT2_S5_S5_S7_l
                                        ; -- End function
	.set _ZN9rocsolver6v33100L18getf2_small_kernelILi60E19rocblas_complex_numIdEiiPS3_EEvT1_T3_lS5_lPS5_llPT2_S5_S5_S7_l.num_vgpr, 128
	.set _ZN9rocsolver6v33100L18getf2_small_kernelILi60E19rocblas_complex_numIdEiiPS3_EEvT1_T3_lS5_lPS5_llPT2_S5_S5_S7_l.num_agpr, 0
	.set _ZN9rocsolver6v33100L18getf2_small_kernelILi60E19rocblas_complex_numIdEiiPS3_EEvT1_T3_lS5_lPS5_llPT2_S5_S5_S7_l.numbered_sgpr, 30
	.set _ZN9rocsolver6v33100L18getf2_small_kernelILi60E19rocblas_complex_numIdEiiPS3_EEvT1_T3_lS5_lPS5_llPT2_S5_S5_S7_l.num_named_barrier, 0
	.set _ZN9rocsolver6v33100L18getf2_small_kernelILi60E19rocblas_complex_numIdEiiPS3_EEvT1_T3_lS5_lPS5_llPT2_S5_S5_S7_l.private_seg_size, 604
	.set _ZN9rocsolver6v33100L18getf2_small_kernelILi60E19rocblas_complex_numIdEiiPS3_EEvT1_T3_lS5_lPS5_llPT2_S5_S5_S7_l.uses_vcc, 1
	.set _ZN9rocsolver6v33100L18getf2_small_kernelILi60E19rocblas_complex_numIdEiiPS3_EEvT1_T3_lS5_lPS5_llPT2_S5_S5_S7_l.uses_flat_scratch, 0
	.set _ZN9rocsolver6v33100L18getf2_small_kernelILi60E19rocblas_complex_numIdEiiPS3_EEvT1_T3_lS5_lPS5_llPT2_S5_S5_S7_l.has_dyn_sized_stack, 0
	.set _ZN9rocsolver6v33100L18getf2_small_kernelILi60E19rocblas_complex_numIdEiiPS3_EEvT1_T3_lS5_lPS5_llPT2_S5_S5_S7_l.has_recursion, 0
	.set _ZN9rocsolver6v33100L18getf2_small_kernelILi60E19rocblas_complex_numIdEiiPS3_EEvT1_T3_lS5_lPS5_llPT2_S5_S5_S7_l.has_indirect_call, 0
	.section	.AMDGPU.csdata,"",@progbits
; Kernel info:
; codeLenInByte = 255152
; TotalNumSgprs: 34
; NumVgprs: 128
; ScratchSize: 604
; MemoryBound: 0
; FloatMode: 240
; IeeeMode: 1
; LDSByteSize: 0 bytes/workgroup (compile time only)
; SGPRBlocks: 4
; VGPRBlocks: 31
; NumSGPRsForWavesPerEU: 34
; NumVGPRsForWavesPerEU: 128
; Occupancy: 2
; WaveLimiterHint : 0
; COMPUTE_PGM_RSRC2:SCRATCH_EN: 1
; COMPUTE_PGM_RSRC2:USER_SGPR: 6
; COMPUTE_PGM_RSRC2:TRAP_HANDLER: 0
; COMPUTE_PGM_RSRC2:TGID_X_EN: 1
; COMPUTE_PGM_RSRC2:TGID_Y_EN: 1
; COMPUTE_PGM_RSRC2:TGID_Z_EN: 0
; COMPUTE_PGM_RSRC2:TIDIG_COMP_CNT: 1
	.section	.text._ZN9rocsolver6v33100L23getf2_npvt_small_kernelILi60E19rocblas_complex_numIdEiiPS3_EEvT1_T3_lS5_lPT2_S5_S5_,"axG",@progbits,_ZN9rocsolver6v33100L23getf2_npvt_small_kernelILi60E19rocblas_complex_numIdEiiPS3_EEvT1_T3_lS5_lPT2_S5_S5_,comdat
	.globl	_ZN9rocsolver6v33100L23getf2_npvt_small_kernelILi60E19rocblas_complex_numIdEiiPS3_EEvT1_T3_lS5_lPT2_S5_S5_ ; -- Begin function _ZN9rocsolver6v33100L23getf2_npvt_small_kernelILi60E19rocblas_complex_numIdEiiPS3_EEvT1_T3_lS5_lPT2_S5_S5_
	.p2align	8
	.type	_ZN9rocsolver6v33100L23getf2_npvt_small_kernelILi60E19rocblas_complex_numIdEiiPS3_EEvT1_T3_lS5_lPT2_S5_S5_,@function
_ZN9rocsolver6v33100L23getf2_npvt_small_kernelILi60E19rocblas_complex_numIdEiiPS3_EEvT1_T3_lS5_lPT2_S5_S5_: ; @_ZN9rocsolver6v33100L23getf2_npvt_small_kernelILi60E19rocblas_complex_numIdEiiPS3_EEvT1_T3_lS5_lPT2_S5_S5_
; %bb.0:
	s_mov_b64 s[22:23], s[2:3]
	s_mov_b64 s[20:21], s[0:1]
	s_load_dword s0, s[4:5], 0x44
	s_load_dwordx2 s[12:13], s[4:5], 0x30
	s_add_u32 s20, s20, s8
	s_addc_u32 s21, s21, 0
	s_waitcnt lgkmcnt(0)
	s_lshr_b32 s2, s0, 16
	s_mul_i32 s7, s7, s2
	v_add_u32_e32 v2, s7, v1
	v_cmp_gt_i32_e32 vcc, s12, v2
	s_and_saveexec_b64 s[0:1], vcc
	s_cbranch_execnz .LBB119_1
; %bb.544:
	s_getpc_b64 s[14:15]
.Lpost_getpc33:
	s_add_u32 s14, s14, (.LBB119_543-.Lpost_getpc33)&4294967295
	s_addc_u32 s15, s15, (.LBB119_543-.Lpost_getpc33)>>32
	s_setpc_b64 s[14:15]
.LBB119_1:
	s_load_dwordx4 s[8:11], s[4:5], 0x20
	s_load_dwordx4 s[16:19], s[4:5], 0x8
	v_ashrrev_i32_e32 v3, 31, v2
	s_mulk_i32 s2, 0x3c0
	s_waitcnt lgkmcnt(0)
	v_mul_lo_u32 v4, s9, v2
	v_mul_lo_u32 v5, s8, v3
	buffer_store_dword v2, off, s[20:23], 0 offset:1952 ; 4-byte Folded Spill
	s_nop 0
	buffer_store_dword v3, off, s[20:23], 0 offset:1956 ; 4-byte Folded Spill
	v_mov_b32_e32 v6, s17
	v_mad_u64_u32 v[2:3], s[0:1], s8, v2, 0
	s_load_dword s0, s[4:5], 0x18
	s_lshl_b64 s[4:5], s[18:19], 4
	v_add3_u32 v3, v3, v5, v4
	v_lshlrev_b64 v[2:3], 4, v[2:3]
	v_mov_b32_e32 v4, s5
	v_add_co_u32_e32 v2, vcc, s16, v2
	v_addc_co_u32_e32 v3, vcc, v6, v3, vcc
	v_add_co_u32_e32 v2, vcc, s4, v2
	s_waitcnt lgkmcnt(0)
	s_add_i32 s1, s0, s0
	v_addc_co_u32_e32 v3, vcc, v3, v4, vcc
	v_add_u32_e32 v4, s1, v0
	v_ashrrev_i32_e32 v5, 31, v4
	v_lshlrev_b64 v[5:6], 4, v[4:5]
	v_add_u32_e32 v4, s0, v4
	v_add_co_u32_e32 v75, vcc, v2, v5
	v_ashrrev_i32_e32 v5, 31, v4
	v_addc_co_u32_e32 v76, vcc, v3, v6, vcc
	v_lshlrev_b64 v[5:6], 4, v[4:5]
	v_add_u32_e32 v4, s0, v4
	v_add_co_u32_e32 v77, vcc, v2, v5
	v_ashrrev_i32_e32 v5, 31, v4
	v_addc_co_u32_e32 v78, vcc, v3, v6, vcc
	;; [unrolled: 5-line block ×56, first 2 shown]
	v_lshlrev_b64 v[5:6], 4, v[4:5]
	v_add_u32_e32 v4, s0, v4
	v_add_co_u32_e32 v119, vcc, v2, v5
	v_ashrrev_i32_e32 v5, 31, v4
	v_lshlrev_b64 v[4:5], 4, v[4:5]
	v_addc_co_u32_e32 v120, vcc, v3, v6, vcc
	v_add_co_u32_e32 v89, vcc, v2, v4
	v_addc_co_u32_e32 v90, vcc, v3, v5, vcc
	v_lshlrev_b32_e32 v4, 4, v0
	v_add_co_u32_e32 v4, vcc, v2, v4
	s_ashr_i32 s1, s0, 31
	v_addc_co_u32_e32 v5, vcc, 0, v3, vcc
	s_lshl_b64 s[0:1], s[0:1], 4
	v_mov_b32_e32 v2, s1
	v_add_co_u32_e32 v83, vcc, s0, v4
	v_addc_co_u32_e32 v84, vcc, v5, v2, vcc
	buffer_store_dword v4, off, s[20:23], 0 offset:1208 ; 4-byte Folded Spill
	s_nop 0
	buffer_store_dword v5, off, s[20:23], 0 offset:1212 ; 4-byte Folded Spill
	s_movk_i32 s0, 0x3c0
	s_add_i32 s1, s2, 0
	v_mad_u32_u24 v125, v1, s0, 0
	v_lshl_add_u32 v127, v1, 4, s1
	v_cmp_ne_u32_e64 s[2:3], 0, v0
	v_cmp_eq_u32_e64 s[0:1], 0, v0
	global_load_dwordx4 v[1:4], v[4:5], off
	s_waitcnt vmcnt(0)
	buffer_store_dword v1, off, s[20:23], 0 offset:736 ; 4-byte Folded Spill
	s_nop 0
	buffer_store_dword v2, off, s[20:23], 0 offset:740 ; 4-byte Folded Spill
	buffer_store_dword v3, off, s[20:23], 0 offset:744 ; 4-byte Folded Spill
	buffer_store_dword v4, off, s[20:23], 0 offset:748 ; 4-byte Folded Spill
	buffer_store_dword v83, off, s[20:23], 0 offset:1216 ; 4-byte Folded Spill
	s_nop 0
	buffer_store_dword v84, off, s[20:23], 0 offset:1220 ; 4-byte Folded Spill
	global_load_dwordx4 v[1:4], v[83:84], off
	s_waitcnt vmcnt(0)
	buffer_store_dword v1, off, s[20:23], 0 offset:720 ; 4-byte Folded Spill
	s_nop 0
	buffer_store_dword v2, off, s[20:23], 0 offset:724 ; 4-byte Folded Spill
	buffer_store_dword v3, off, s[20:23], 0 offset:728 ; 4-byte Folded Spill
	buffer_store_dword v4, off, s[20:23], 0 offset:732 ; 4-byte Folded Spill
	buffer_store_dword v75, off, s[20:23], 0 offset:1152 ; 4-byte Folded Spill
	s_nop 0
	buffer_store_dword v76, off, s[20:23], 0 offset:1156 ; 4-byte Folded Spill
	;; [unrolled: 10-line block ×35, first 2 shown]
	global_load_dwordx4 v[37:40], v[63:64], off
	s_nop 0
	buffer_store_dword v65, off, s[20:23], 0 offset:984 ; 4-byte Folded Spill
	s_nop 0
	buffer_store_dword v66, off, s[20:23], 0 offset:988 ; 4-byte Folded Spill
	global_load_dwordx4 v[1:4], v[65:66], off
	s_waitcnt vmcnt(0)
	buffer_store_dword v1, off, s[20:23], 0 offset:176 ; 4-byte Folded Spill
	s_nop 0
	buffer_store_dword v2, off, s[20:23], 0 offset:180 ; 4-byte Folded Spill
	buffer_store_dword v3, off, s[20:23], 0 offset:184 ; 4-byte Folded Spill
	buffer_store_dword v4, off, s[20:23], 0 offset:188 ; 4-byte Folded Spill
	buffer_store_dword v67, off, s[20:23], 0 offset:992 ; 4-byte Folded Spill
	s_nop 0
	buffer_store_dword v68, off, s[20:23], 0 offset:996 ; 4-byte Folded Spill
	global_load_dwordx4 v[1:4], v[67:68], off
	s_waitcnt vmcnt(0)
	buffer_store_dword v1, off, s[20:23], 0 offset:160 ; 4-byte Folded Spill
	s_nop 0
	buffer_store_dword v2, off, s[20:23], 0 offset:164 ; 4-byte Folded Spill
	buffer_store_dword v3, off, s[20:23], 0 offset:168 ; 4-byte Folded Spill
	buffer_store_dword v4, off, s[20:23], 0 offset:172 ; 4-byte Folded Spill
	;; [unrolled: 10-line block ×11, first 2 shown]
	buffer_store_dword v103, off, s[20:23], 0 offset:1072 ; 4-byte Folded Spill
	s_nop 0
	buffer_store_dword v104, off, s[20:23], 0 offset:1076 ; 4-byte Folded Spill
	global_load_dwordx4 v[1:4], v[103:104], off
	s_waitcnt vmcnt(0)
	buffer_store_dword v1, off, s[20:23], 0 ; 4-byte Folded Spill
	s_nop 0
	buffer_store_dword v2, off, s[20:23], 0 offset:4 ; 4-byte Folded Spill
	buffer_store_dword v3, off, s[20:23], 0 offset:8 ; 4-byte Folded Spill
	;; [unrolled: 1-line block ×4, first 2 shown]
	s_nop 0
	buffer_store_dword v106, off, s[20:23], 0 offset:1084 ; 4-byte Folded Spill
	global_load_dwordx4 v[93:96], v[105:106], off
	s_nop 0
	buffer_store_dword v107, off, s[20:23], 0 offset:1088 ; 4-byte Folded Spill
	s_nop 0
	buffer_store_dword v108, off, s[20:23], 0 offset:1092 ; 4-byte Folded Spill
	global_load_dwordx4 v[97:100], v[107:108], off
	s_nop 0
	buffer_store_dword v109, off, s[20:23], 0 offset:1096 ; 4-byte Folded Spill
	;; [unrolled: 5-line block ×6, first 2 shown]
	s_nop 0
	buffer_store_dword v122, off, s[20:23], 0 offset:1132 ; 4-byte Folded Spill
	s_waitcnt vmcnt(17)
	v_mov_b32_e32 v116, v96
	v_mov_b32_e32 v115, v95
	;; [unrolled: 1-line block ×8, first 2 shown]
	s_waitcnt vmcnt(14)
	v_mov_b32_e32 v37, v97
	v_mov_b32_e32 v38, v98
	;; [unrolled: 1-line block ×4, first 2 shown]
	global_load_dwordx4 v[17:20], v[121:122], off
	s_nop 0
	buffer_store_dword v123, off, s[20:23], 0 offset:1136 ; 4-byte Folded Spill
	s_nop 0
	buffer_store_dword v124, off, s[20:23], 0 offset:1140 ; 4-byte Folded Spill
	global_load_dwordx4 v[13:16], v[123:124], off
	s_nop 0
	buffer_store_dword v117, off, s[20:23], 0 offset:1144 ; 4-byte Folded Spill
	s_nop 0
	buffer_store_dword v118, off, s[20:23], 0 offset:1148 ; 4-byte Folded Spill
	;; [unrolled: 5-line block ×5, first 2 shown]
	global_load_dwordx4 v[121:124], v[89:90], off
	s_and_saveexec_b64 s[6:7], s[0:1]
	s_cbranch_execz .LBB119_8
; %bb.2:
	buffer_load_dword v65, off, s[20:23], 0 offset:736 ; 4-byte Folded Reload
	buffer_load_dword v66, off, s[20:23], 0 offset:740 ; 4-byte Folded Reload
	;; [unrolled: 1-line block ×4, first 2 shown]
	s_waitcnt vmcnt(0)
	ds_write2_b64 v127, v[65:66], v[67:68] offset1:1
	buffer_load_dword v65, off, s[20:23], 0 offset:720 ; 4-byte Folded Reload
	buffer_load_dword v66, off, s[20:23], 0 offset:724 ; 4-byte Folded Reload
	buffer_load_dword v67, off, s[20:23], 0 offset:728 ; 4-byte Folded Reload
	buffer_load_dword v68, off, s[20:23], 0 offset:732 ; 4-byte Folded Reload
	s_waitcnt vmcnt(0)
	ds_write2_b64 v125, v[65:66], v[67:68] offset0:2 offset1:3
	buffer_load_dword v65, off, s[20:23], 0 offset:704 ; 4-byte Folded Reload
	buffer_load_dword v66, off, s[20:23], 0 offset:708 ; 4-byte Folded Reload
	buffer_load_dword v67, off, s[20:23], 0 offset:712 ; 4-byte Folded Reload
	buffer_load_dword v68, off, s[20:23], 0 offset:716 ; 4-byte Folded Reload
	s_waitcnt vmcnt(0)
	ds_write2_b64 v125, v[65:66], v[67:68] offset0:4 offset1:5
	;; [unrolled: 6-line block ×34, first 2 shown]
	ds_write2_b64 v125, v[93:94], v[95:96] offset0:70 offset1:71
	buffer_load_dword v41, off, s[20:23], 0 offset:176 ; 4-byte Folded Reload
	buffer_load_dword v42, off, s[20:23], 0 offset:180 ; 4-byte Folded Reload
	buffer_load_dword v43, off, s[20:23], 0 offset:184 ; 4-byte Folded Reload
	buffer_load_dword v44, off, s[20:23], 0 offset:188 ; 4-byte Folded Reload
	s_waitcnt vmcnt(0)
	ds_write2_b64 v125, v[41:42], v[43:44] offset0:72 offset1:73
	buffer_load_dword v65, off, s[20:23], 0 offset:160 ; 4-byte Folded Reload
	buffer_load_dword v66, off, s[20:23], 0 offset:164 ; 4-byte Folded Reload
	buffer_load_dword v67, off, s[20:23], 0 offset:168 ; 4-byte Folded Reload
	buffer_load_dword v68, off, s[20:23], 0 offset:172 ; 4-byte Folded Reload
	s_waitcnt vmcnt(0)
	;; [unrolled: 6-line block ×11, first 2 shown]
	ds_write2_b64 v125, v[49:50], v[51:52] offset0:92 offset1:93
	buffer_load_dword v45, off, s[20:23], 0 ; 4-byte Folded Reload
	buffer_load_dword v46, off, s[20:23], 0 offset:4 ; 4-byte Folded Reload
	buffer_load_dword v47, off, s[20:23], 0 offset:8 ; 4-byte Folded Reload
	;; [unrolled: 1-line block ×3, first 2 shown]
	s_waitcnt vmcnt(0)
	ds_write2_b64 v125, v[45:46], v[47:48] offset0:94 offset1:95
	ds_write2_b64 v125, v[113:114], v[115:116] offset0:96 offset1:97
	;; [unrolled: 1-line block ×13, first 2 shown]
	ds_read2_b64 v[97:100], v127 offset1:1
	s_waitcnt lgkmcnt(0)
	v_cmp_neq_f64_e32 vcc, 0, v[97:98]
	v_cmp_neq_f64_e64 s[4:5], 0, v[99:100]
	s_or_b64 s[4:5], vcc, s[4:5]
	s_and_b64 exec, exec, s[4:5]
	s_cbranch_execz .LBB119_8
; %bb.3:
	v_cmp_ngt_f64_e64 s[4:5], |v[97:98]|, |v[99:100]|
                                        ; implicit-def: $vgpr101_vgpr102
	s_and_saveexec_b64 s[8:9], s[4:5]
	s_xor_b64 s[4:5], exec, s[8:9]
                                        ; implicit-def: $vgpr103_vgpr104
	s_cbranch_execz .LBB119_5
; %bb.4:
	v_div_scale_f64 v[101:102], s[8:9], v[99:100], v[99:100], v[97:98]
	v_rcp_f64_e32 v[103:104], v[101:102]
	v_fma_f64 v[105:106], -v[101:102], v[103:104], 1.0
	v_fma_f64 v[103:104], v[103:104], v[105:106], v[103:104]
	v_div_scale_f64 v[105:106], vcc, v[97:98], v[99:100], v[97:98]
	v_fma_f64 v[107:108], -v[101:102], v[103:104], 1.0
	v_fma_f64 v[103:104], v[103:104], v[107:108], v[103:104]
	v_mul_f64 v[107:108], v[105:106], v[103:104]
	v_fma_f64 v[101:102], -v[101:102], v[107:108], v[105:106]
	v_div_fmas_f64 v[101:102], v[101:102], v[103:104], v[107:108]
	v_div_fixup_f64 v[101:102], v[101:102], v[99:100], v[97:98]
	v_fma_f64 v[97:98], v[97:98], v[101:102], v[99:100]
	v_div_scale_f64 v[99:100], s[8:9], v[97:98], v[97:98], 1.0
	v_div_scale_f64 v[107:108], vcc, 1.0, v[97:98], 1.0
	v_rcp_f64_e32 v[103:104], v[99:100]
	v_fma_f64 v[105:106], -v[99:100], v[103:104], 1.0
	v_fma_f64 v[103:104], v[103:104], v[105:106], v[103:104]
	v_fma_f64 v[105:106], -v[99:100], v[103:104], 1.0
	v_fma_f64 v[103:104], v[103:104], v[105:106], v[103:104]
	v_mul_f64 v[105:106], v[107:108], v[103:104]
	v_fma_f64 v[99:100], -v[99:100], v[105:106], v[107:108]
	v_div_fmas_f64 v[99:100], v[99:100], v[103:104], v[105:106]
	v_div_fixup_f64 v[103:104], v[99:100], v[97:98], 1.0
                                        ; implicit-def: $vgpr97_vgpr98
	v_mul_f64 v[101:102], v[101:102], v[103:104]
	v_xor_b32_e32 v104, 0x80000000, v104
.LBB119_5:
	s_andn2_saveexec_b64 s[4:5], s[4:5]
	s_cbranch_execz .LBB119_7
; %bb.6:
	v_div_scale_f64 v[101:102], s[8:9], v[97:98], v[97:98], v[99:100]
	v_rcp_f64_e32 v[103:104], v[101:102]
	v_fma_f64 v[105:106], -v[101:102], v[103:104], 1.0
	v_fma_f64 v[103:104], v[103:104], v[105:106], v[103:104]
	v_div_scale_f64 v[105:106], vcc, v[99:100], v[97:98], v[99:100]
	v_fma_f64 v[107:108], -v[101:102], v[103:104], 1.0
	v_fma_f64 v[103:104], v[103:104], v[107:108], v[103:104]
	v_mul_f64 v[107:108], v[105:106], v[103:104]
	v_fma_f64 v[101:102], -v[101:102], v[107:108], v[105:106]
	v_div_fmas_f64 v[101:102], v[101:102], v[103:104], v[107:108]
	v_div_fixup_f64 v[103:104], v[101:102], v[97:98], v[99:100]
	v_fma_f64 v[97:98], v[99:100], v[103:104], v[97:98]
	v_div_scale_f64 v[99:100], s[8:9], v[97:98], v[97:98], 1.0
	v_div_scale_f64 v[107:108], vcc, 1.0, v[97:98], 1.0
	v_rcp_f64_e32 v[101:102], v[99:100]
	v_fma_f64 v[105:106], -v[99:100], v[101:102], 1.0
	v_fma_f64 v[101:102], v[101:102], v[105:106], v[101:102]
	v_fma_f64 v[105:106], -v[99:100], v[101:102], 1.0
	v_fma_f64 v[101:102], v[101:102], v[105:106], v[101:102]
	v_mul_f64 v[105:106], v[107:108], v[101:102]
	v_fma_f64 v[99:100], -v[99:100], v[105:106], v[107:108]
	v_div_fmas_f64 v[99:100], v[99:100], v[101:102], v[105:106]
	v_div_fixup_f64 v[101:102], v[99:100], v[97:98], 1.0
	v_mul_f64 v[103:104], v[103:104], -v[101:102]
.LBB119_7:
	s_or_b64 exec, exec, s[4:5]
	ds_write2_b64 v127, v[101:102], v[103:104] offset1:1
.LBB119_8:
	s_or_b64 exec, exec, s[6:7]
	s_waitcnt vmcnt(0) lgkmcnt(0)
	s_barrier
	ds_read2_b64 v[65:68], v127 offset1:1
	s_waitcnt lgkmcnt(0)
	buffer_store_dword v65, off, s[20:23], 0 offset:1224 ; 4-byte Folded Spill
	s_nop 0
	buffer_store_dword v66, off, s[20:23], 0 offset:1228 ; 4-byte Folded Spill
	buffer_store_dword v67, off, s[20:23], 0 offset:1232 ; 4-byte Folded Spill
	;; [unrolled: 1-line block ×3, first 2 shown]
	s_and_saveexec_b64 s[4:5], s[2:3]
	s_cbranch_execz .LBB119_10
; %bb.9:
	buffer_load_dword v103, off, s[20:23], 0 offset:736 ; 4-byte Folded Reload
	buffer_load_dword v104, off, s[20:23], 0 offset:740 ; 4-byte Folded Reload
	;; [unrolled: 1-line block ×8, first 2 shown]
	s_waitcnt vmcnt(2)
	v_mul_f64 v[99:100], v[65:66], v[105:106]
	s_waitcnt vmcnt(0)
	v_mul_f64 v[97:98], v[67:68], v[105:106]
	v_fma_f64 v[105:106], v[67:68], v[103:104], v[99:100]
	ds_read2_b64 v[99:102], v125 offset0:2 offset1:3
	v_fma_f64 v[97:98], v[65:66], v[103:104], -v[97:98]
	buffer_load_dword v65, off, s[20:23], 0 offset:720 ; 4-byte Folded Reload
	buffer_load_dword v66, off, s[20:23], 0 offset:724 ; 4-byte Folded Reload
	buffer_load_dword v67, off, s[20:23], 0 offset:728 ; 4-byte Folded Reload
	buffer_load_dword v68, off, s[20:23], 0 offset:732 ; 4-byte Folded Reload
	s_waitcnt lgkmcnt(0)
	v_mul_f64 v[103:104], v[101:102], v[105:106]
	v_fma_f64 v[103:104], v[99:100], v[97:98], -v[103:104]
	v_mul_f64 v[99:100], v[99:100], v[105:106]
	v_fma_f64 v[99:100], v[101:102], v[97:98], v[99:100]
	s_waitcnt vmcnt(2)
	v_add_f64 v[65:66], v[65:66], -v[103:104]
	s_waitcnt vmcnt(0)
	v_add_f64 v[67:68], v[67:68], -v[99:100]
	buffer_store_dword v65, off, s[20:23], 0 offset:720 ; 4-byte Folded Spill
	s_nop 0
	buffer_store_dword v66, off, s[20:23], 0 offset:724 ; 4-byte Folded Spill
	buffer_store_dword v67, off, s[20:23], 0 offset:728 ; 4-byte Folded Spill
	buffer_store_dword v68, off, s[20:23], 0 offset:732 ; 4-byte Folded Spill
	ds_read2_b64 v[99:102], v125 offset0:4 offset1:5
	buffer_load_dword v65, off, s[20:23], 0 offset:704 ; 4-byte Folded Reload
	buffer_load_dword v66, off, s[20:23], 0 offset:708 ; 4-byte Folded Reload
	buffer_load_dword v67, off, s[20:23], 0 offset:712 ; 4-byte Folded Reload
	buffer_load_dword v68, off, s[20:23], 0 offset:716 ; 4-byte Folded Reload
	s_waitcnt lgkmcnt(0)
	v_mul_f64 v[103:104], v[101:102], v[105:106]
	v_fma_f64 v[103:104], v[99:100], v[97:98], -v[103:104]
	v_mul_f64 v[99:100], v[99:100], v[105:106]
	v_fma_f64 v[99:100], v[101:102], v[97:98], v[99:100]
	s_waitcnt vmcnt(2)
	v_add_f64 v[65:66], v[65:66], -v[103:104]
	s_waitcnt vmcnt(0)
	v_add_f64 v[67:68], v[67:68], -v[99:100]
	buffer_store_dword v65, off, s[20:23], 0 offset:704 ; 4-byte Folded Spill
	s_nop 0
	buffer_store_dword v66, off, s[20:23], 0 offset:708 ; 4-byte Folded Spill
	buffer_store_dword v67, off, s[20:23], 0 offset:712 ; 4-byte Folded Spill
	buffer_store_dword v68, off, s[20:23], 0 offset:716 ; 4-byte Folded Spill
	ds_read2_b64 v[99:102], v125 offset0:6 offset1:7
	;; [unrolled: 19-line block ×34, first 2 shown]
	s_waitcnt lgkmcnt(0)
	v_mul_f64 v[103:104], v[101:102], v[105:106]
	v_fma_f64 v[103:104], v[99:100], v[97:98], -v[103:104]
	v_mul_f64 v[99:100], v[99:100], v[105:106]
	v_add_f64 v[93:94], v[93:94], -v[103:104]
	v_fma_f64 v[99:100], v[101:102], v[97:98], v[99:100]
	v_add_f64 v[95:96], v[95:96], -v[99:100]
	ds_read2_b64 v[99:102], v125 offset0:72 offset1:73
	buffer_load_dword v41, off, s[20:23], 0 offset:176 ; 4-byte Folded Reload
	buffer_load_dword v42, off, s[20:23], 0 offset:180 ; 4-byte Folded Reload
	buffer_load_dword v43, off, s[20:23], 0 offset:184 ; 4-byte Folded Reload
	buffer_load_dword v44, off, s[20:23], 0 offset:188 ; 4-byte Folded Reload
	s_waitcnt lgkmcnt(0)
	v_mul_f64 v[103:104], v[101:102], v[105:106]
	v_fma_f64 v[103:104], v[99:100], v[97:98], -v[103:104]
	v_mul_f64 v[99:100], v[99:100], v[105:106]
	v_fma_f64 v[99:100], v[101:102], v[97:98], v[99:100]
	s_waitcnt vmcnt(2)
	v_add_f64 v[41:42], v[41:42], -v[103:104]
	s_waitcnt vmcnt(0)
	v_add_f64 v[43:44], v[43:44], -v[99:100]
	buffer_store_dword v41, off, s[20:23], 0 offset:176 ; 4-byte Folded Spill
	s_nop 0
	buffer_store_dword v42, off, s[20:23], 0 offset:180 ; 4-byte Folded Spill
	buffer_store_dword v43, off, s[20:23], 0 offset:184 ; 4-byte Folded Spill
	buffer_store_dword v44, off, s[20:23], 0 offset:188 ; 4-byte Folded Spill
	ds_read2_b64 v[99:102], v125 offset0:74 offset1:75
	buffer_load_dword v65, off, s[20:23], 0 offset:160 ; 4-byte Folded Reload
	buffer_load_dword v66, off, s[20:23], 0 offset:164 ; 4-byte Folded Reload
	buffer_load_dword v67, off, s[20:23], 0 offset:168 ; 4-byte Folded Reload
	buffer_load_dword v68, off, s[20:23], 0 offset:172 ; 4-byte Folded Reload
	s_waitcnt lgkmcnt(0)
	v_mul_f64 v[103:104], v[101:102], v[105:106]
	v_fma_f64 v[103:104], v[99:100], v[97:98], -v[103:104]
	v_mul_f64 v[99:100], v[99:100], v[105:106]
	v_fma_f64 v[99:100], v[101:102], v[97:98], v[99:100]
	s_waitcnt vmcnt(2)
	v_add_f64 v[65:66], v[65:66], -v[103:104]
	s_waitcnt vmcnt(0)
	v_add_f64 v[67:68], v[67:68], -v[99:100]
	buffer_store_dword v65, off, s[20:23], 0 offset:160 ; 4-byte Folded Spill
	s_nop 0
	buffer_store_dword v66, off, s[20:23], 0 offset:164 ; 4-byte Folded Spill
	buffer_store_dword v67, off, s[20:23], 0 offset:168 ; 4-byte Folded Spill
	buffer_store_dword v68, off, s[20:23], 0 offset:172 ; 4-byte Folded Spill
	;; [unrolled: 19-line block ×11, first 2 shown]
	ds_read2_b64 v[99:102], v125 offset0:94 offset1:95
	buffer_load_dword v45, off, s[20:23], 0 ; 4-byte Folded Reload
	buffer_load_dword v46, off, s[20:23], 0 offset:4 ; 4-byte Folded Reload
	buffer_load_dword v47, off, s[20:23], 0 offset:8 ; 4-byte Folded Reload
	;; [unrolled: 1-line block ×3, first 2 shown]
	s_waitcnt lgkmcnt(0)
	v_mul_f64 v[103:104], v[101:102], v[105:106]
	v_fma_f64 v[103:104], v[99:100], v[97:98], -v[103:104]
	v_mul_f64 v[99:100], v[99:100], v[105:106]
	v_fma_f64 v[99:100], v[101:102], v[97:98], v[99:100]
	s_waitcnt vmcnt(2)
	v_add_f64 v[45:46], v[45:46], -v[103:104]
	s_waitcnt vmcnt(0)
	v_add_f64 v[47:48], v[47:48], -v[99:100]
	buffer_store_dword v45, off, s[20:23], 0 ; 4-byte Folded Spill
	s_nop 0
	buffer_store_dword v46, off, s[20:23], 0 offset:4 ; 4-byte Folded Spill
	buffer_store_dword v47, off, s[20:23], 0 offset:8 ; 4-byte Folded Spill
	;; [unrolled: 1-line block ×3, first 2 shown]
	ds_read2_b64 v[99:102], v125 offset0:96 offset1:97
	s_waitcnt lgkmcnt(0)
	v_mul_f64 v[103:104], v[101:102], v[105:106]
	v_fma_f64 v[103:104], v[99:100], v[97:98], -v[103:104]
	v_mul_f64 v[99:100], v[99:100], v[105:106]
	v_add_f64 v[113:114], v[113:114], -v[103:104]
	v_fma_f64 v[99:100], v[101:102], v[97:98], v[99:100]
	v_add_f64 v[115:116], v[115:116], -v[99:100]
	ds_read2_b64 v[99:102], v125 offset0:98 offset1:99
	s_waitcnt lgkmcnt(0)
	v_mul_f64 v[103:104], v[101:102], v[105:106]
	v_fma_f64 v[103:104], v[99:100], v[97:98], -v[103:104]
	v_mul_f64 v[99:100], v[99:100], v[105:106]
	v_add_f64 v[37:38], v[37:38], -v[103:104]
	v_fma_f64 v[99:100], v[101:102], v[97:98], v[99:100]
	v_add_f64 v[39:40], v[39:40], -v[99:100]
	;; [unrolled: 8-line block ×10, first 2 shown]
	ds_read2_b64 v[99:102], v125 offset0:116 offset1:117
	s_waitcnt lgkmcnt(0)
	v_mul_f64 v[103:104], v[101:102], v[105:106]
	v_fma_f64 v[103:104], v[99:100], v[97:98], -v[103:104]
	v_mul_f64 v[99:100], v[99:100], v[105:106]
	v_add_f64 v[1:2], v[1:2], -v[103:104]
	v_fma_f64 v[99:100], v[101:102], v[97:98], v[99:100]
	ds_read2_b64 v[101:104], v125 offset0:118 offset1:119
	v_add_f64 v[3:4], v[3:4], -v[99:100]
	s_waitcnt lgkmcnt(0)
	v_mul_f64 v[99:100], v[103:104], v[105:106]
	v_fma_f64 v[99:100], v[101:102], v[97:98], -v[99:100]
	v_mul_f64 v[101:102], v[101:102], v[105:106]
	v_add_f64 v[121:122], v[121:122], -v[99:100]
	v_fma_f64 v[101:102], v[103:104], v[97:98], v[101:102]
	v_mov_b32_e32 v104, v98
	v_mov_b32_e32 v103, v97
	buffer_store_dword v103, off, s[20:23], 0 offset:736 ; 4-byte Folded Spill
	s_nop 0
	buffer_store_dword v104, off, s[20:23], 0 offset:740 ; 4-byte Folded Spill
	buffer_store_dword v105, off, s[20:23], 0 offset:744 ; 4-byte Folded Spill
	;; [unrolled: 1-line block ×3, first 2 shown]
	v_add_f64 v[123:124], v[123:124], -v[101:102]
.LBB119_10:
	s_or_b64 exec, exec, s[4:5]
	v_cmp_eq_u32_e32 vcc, 1, v0
	s_waitcnt vmcnt(0)
	s_barrier
	s_and_saveexec_b64 s[4:5], vcc
	s_cbranch_execz .LBB119_17
; %bb.11:
	buffer_load_dword v65, off, s[20:23], 0 offset:720 ; 4-byte Folded Reload
	buffer_load_dword v66, off, s[20:23], 0 offset:724 ; 4-byte Folded Reload
	;; [unrolled: 1-line block ×4, first 2 shown]
	s_waitcnt vmcnt(0)
	ds_write2_b64 v127, v[65:66], v[67:68] offset1:1
	buffer_load_dword v65, off, s[20:23], 0 offset:704 ; 4-byte Folded Reload
	buffer_load_dword v66, off, s[20:23], 0 offset:708 ; 4-byte Folded Reload
	buffer_load_dword v67, off, s[20:23], 0 offset:712 ; 4-byte Folded Reload
	buffer_load_dword v68, off, s[20:23], 0 offset:716 ; 4-byte Folded Reload
	s_waitcnt vmcnt(0)
	ds_write2_b64 v125, v[65:66], v[67:68] offset0:4 offset1:5
	buffer_load_dword v65, off, s[20:23], 0 offset:688 ; 4-byte Folded Reload
	buffer_load_dword v66, off, s[20:23], 0 offset:692 ; 4-byte Folded Reload
	buffer_load_dword v67, off, s[20:23], 0 offset:696 ; 4-byte Folded Reload
	buffer_load_dword v68, off, s[20:23], 0 offset:700 ; 4-byte Folded Reload
	s_waitcnt vmcnt(0)
	ds_write2_b64 v125, v[65:66], v[67:68] offset0:6 offset1:7
	;; [unrolled: 6-line block ×33, first 2 shown]
	ds_write2_b64 v125, v[93:94], v[95:96] offset0:70 offset1:71
	buffer_load_dword v41, off, s[20:23], 0 offset:176 ; 4-byte Folded Reload
	buffer_load_dword v42, off, s[20:23], 0 offset:180 ; 4-byte Folded Reload
	buffer_load_dword v43, off, s[20:23], 0 offset:184 ; 4-byte Folded Reload
	buffer_load_dword v44, off, s[20:23], 0 offset:188 ; 4-byte Folded Reload
	s_waitcnt vmcnt(0)
	ds_write2_b64 v125, v[41:42], v[43:44] offset0:72 offset1:73
	buffer_load_dword v65, off, s[20:23], 0 offset:160 ; 4-byte Folded Reload
	buffer_load_dword v66, off, s[20:23], 0 offset:164 ; 4-byte Folded Reload
	buffer_load_dword v67, off, s[20:23], 0 offset:168 ; 4-byte Folded Reload
	buffer_load_dword v68, off, s[20:23], 0 offset:172 ; 4-byte Folded Reload
	s_waitcnt vmcnt(0)
	;; [unrolled: 6-line block ×11, first 2 shown]
	ds_write2_b64 v125, v[49:50], v[51:52] offset0:92 offset1:93
	buffer_load_dword v45, off, s[20:23], 0 ; 4-byte Folded Reload
	buffer_load_dword v46, off, s[20:23], 0 offset:4 ; 4-byte Folded Reload
	buffer_load_dword v47, off, s[20:23], 0 offset:8 ; 4-byte Folded Reload
	;; [unrolled: 1-line block ×3, first 2 shown]
	s_waitcnt vmcnt(0)
	ds_write2_b64 v125, v[45:46], v[47:48] offset0:94 offset1:95
	ds_write2_b64 v125, v[113:114], v[115:116] offset0:96 offset1:97
	;; [unrolled: 1-line block ×13, first 2 shown]
	ds_read2_b64 v[97:100], v127 offset1:1
	s_waitcnt lgkmcnt(0)
	v_cmp_neq_f64_e32 vcc, 0, v[97:98]
	v_cmp_neq_f64_e64 s[2:3], 0, v[99:100]
	s_or_b64 s[2:3], vcc, s[2:3]
	s_and_b64 exec, exec, s[2:3]
	s_cbranch_execz .LBB119_17
; %bb.12:
	v_cmp_ngt_f64_e64 s[2:3], |v[97:98]|, |v[99:100]|
                                        ; implicit-def: $vgpr101_vgpr102
	s_and_saveexec_b64 s[6:7], s[2:3]
	s_xor_b64 s[2:3], exec, s[6:7]
                                        ; implicit-def: $vgpr103_vgpr104
	s_cbranch_execz .LBB119_14
; %bb.13:
	v_div_scale_f64 v[101:102], s[6:7], v[99:100], v[99:100], v[97:98]
	v_rcp_f64_e32 v[103:104], v[101:102]
	v_fma_f64 v[105:106], -v[101:102], v[103:104], 1.0
	v_fma_f64 v[103:104], v[103:104], v[105:106], v[103:104]
	v_div_scale_f64 v[105:106], vcc, v[97:98], v[99:100], v[97:98]
	v_fma_f64 v[107:108], -v[101:102], v[103:104], 1.0
	v_fma_f64 v[103:104], v[103:104], v[107:108], v[103:104]
	v_mul_f64 v[107:108], v[105:106], v[103:104]
	v_fma_f64 v[101:102], -v[101:102], v[107:108], v[105:106]
	v_div_fmas_f64 v[101:102], v[101:102], v[103:104], v[107:108]
	v_div_fixup_f64 v[101:102], v[101:102], v[99:100], v[97:98]
	v_fma_f64 v[97:98], v[97:98], v[101:102], v[99:100]
	v_div_scale_f64 v[99:100], s[6:7], v[97:98], v[97:98], 1.0
	v_div_scale_f64 v[107:108], vcc, 1.0, v[97:98], 1.0
	v_rcp_f64_e32 v[103:104], v[99:100]
	v_fma_f64 v[105:106], -v[99:100], v[103:104], 1.0
	v_fma_f64 v[103:104], v[103:104], v[105:106], v[103:104]
	v_fma_f64 v[105:106], -v[99:100], v[103:104], 1.0
	v_fma_f64 v[103:104], v[103:104], v[105:106], v[103:104]
	v_mul_f64 v[105:106], v[107:108], v[103:104]
	v_fma_f64 v[99:100], -v[99:100], v[105:106], v[107:108]
	v_div_fmas_f64 v[99:100], v[99:100], v[103:104], v[105:106]
	v_div_fixup_f64 v[103:104], v[99:100], v[97:98], 1.0
                                        ; implicit-def: $vgpr97_vgpr98
	v_mul_f64 v[101:102], v[101:102], v[103:104]
	v_xor_b32_e32 v104, 0x80000000, v104
.LBB119_14:
	s_andn2_saveexec_b64 s[2:3], s[2:3]
	s_cbranch_execz .LBB119_16
; %bb.15:
	v_div_scale_f64 v[101:102], s[6:7], v[97:98], v[97:98], v[99:100]
	v_rcp_f64_e32 v[103:104], v[101:102]
	v_fma_f64 v[105:106], -v[101:102], v[103:104], 1.0
	v_fma_f64 v[103:104], v[103:104], v[105:106], v[103:104]
	v_div_scale_f64 v[105:106], vcc, v[99:100], v[97:98], v[99:100]
	v_fma_f64 v[107:108], -v[101:102], v[103:104], 1.0
	v_fma_f64 v[103:104], v[103:104], v[107:108], v[103:104]
	v_mul_f64 v[107:108], v[105:106], v[103:104]
	v_fma_f64 v[101:102], -v[101:102], v[107:108], v[105:106]
	v_div_fmas_f64 v[101:102], v[101:102], v[103:104], v[107:108]
	v_div_fixup_f64 v[103:104], v[101:102], v[97:98], v[99:100]
	v_fma_f64 v[97:98], v[99:100], v[103:104], v[97:98]
	v_div_scale_f64 v[99:100], s[6:7], v[97:98], v[97:98], 1.0
	v_div_scale_f64 v[107:108], vcc, 1.0, v[97:98], 1.0
	v_rcp_f64_e32 v[101:102], v[99:100]
	v_fma_f64 v[105:106], -v[99:100], v[101:102], 1.0
	v_fma_f64 v[101:102], v[101:102], v[105:106], v[101:102]
	v_fma_f64 v[105:106], -v[99:100], v[101:102], 1.0
	v_fma_f64 v[101:102], v[101:102], v[105:106], v[101:102]
	v_mul_f64 v[105:106], v[107:108], v[101:102]
	v_fma_f64 v[99:100], -v[99:100], v[105:106], v[107:108]
	v_div_fmas_f64 v[99:100], v[99:100], v[101:102], v[105:106]
	v_div_fixup_f64 v[101:102], v[99:100], v[97:98], 1.0
	v_mul_f64 v[103:104], v[103:104], -v[101:102]
.LBB119_16:
	s_or_b64 exec, exec, s[2:3]
	ds_write2_b64 v127, v[101:102], v[103:104] offset1:1
.LBB119_17:
	s_or_b64 exec, exec, s[4:5]
	s_waitcnt lgkmcnt(0)
	s_barrier
	ds_read2_b64 v[65:68], v127 offset1:1
	v_cmp_lt_u32_e32 vcc, 1, v0
	s_waitcnt lgkmcnt(0)
	buffer_store_dword v65, off, s[20:23], 0 offset:1240 ; 4-byte Folded Spill
	s_nop 0
	buffer_store_dword v66, off, s[20:23], 0 offset:1244 ; 4-byte Folded Spill
	buffer_store_dword v67, off, s[20:23], 0 offset:1248 ; 4-byte Folded Spill
	;; [unrolled: 1-line block ×3, first 2 shown]
	s_and_saveexec_b64 s[2:3], vcc
	s_cbranch_execz .LBB119_19
; %bb.18:
	buffer_load_dword v103, off, s[20:23], 0 offset:720 ; 4-byte Folded Reload
	buffer_load_dword v104, off, s[20:23], 0 offset:724 ; 4-byte Folded Reload
	;; [unrolled: 1-line block ×8, first 2 shown]
	s_waitcnt vmcnt(2)
	v_mul_f64 v[99:100], v[65:66], v[105:106]
	s_waitcnt vmcnt(0)
	v_mul_f64 v[97:98], v[67:68], v[105:106]
	v_fma_f64 v[105:106], v[67:68], v[103:104], v[99:100]
	ds_read2_b64 v[99:102], v125 offset0:4 offset1:5
	v_fma_f64 v[97:98], v[65:66], v[103:104], -v[97:98]
	buffer_load_dword v65, off, s[20:23], 0 offset:704 ; 4-byte Folded Reload
	buffer_load_dword v66, off, s[20:23], 0 offset:708 ; 4-byte Folded Reload
	buffer_load_dword v67, off, s[20:23], 0 offset:712 ; 4-byte Folded Reload
	buffer_load_dword v68, off, s[20:23], 0 offset:716 ; 4-byte Folded Reload
	s_waitcnt lgkmcnt(0)
	v_mul_f64 v[103:104], v[101:102], v[105:106]
	v_fma_f64 v[103:104], v[99:100], v[97:98], -v[103:104]
	v_mul_f64 v[99:100], v[99:100], v[105:106]
	v_fma_f64 v[99:100], v[101:102], v[97:98], v[99:100]
	s_waitcnt vmcnt(2)
	v_add_f64 v[65:66], v[65:66], -v[103:104]
	s_waitcnt vmcnt(0)
	v_add_f64 v[67:68], v[67:68], -v[99:100]
	buffer_store_dword v65, off, s[20:23], 0 offset:704 ; 4-byte Folded Spill
	s_nop 0
	buffer_store_dword v66, off, s[20:23], 0 offset:708 ; 4-byte Folded Spill
	buffer_store_dword v67, off, s[20:23], 0 offset:712 ; 4-byte Folded Spill
	buffer_store_dword v68, off, s[20:23], 0 offset:716 ; 4-byte Folded Spill
	ds_read2_b64 v[99:102], v125 offset0:6 offset1:7
	buffer_load_dword v65, off, s[20:23], 0 offset:688 ; 4-byte Folded Reload
	buffer_load_dword v66, off, s[20:23], 0 offset:692 ; 4-byte Folded Reload
	buffer_load_dword v67, off, s[20:23], 0 offset:696 ; 4-byte Folded Reload
	buffer_load_dword v68, off, s[20:23], 0 offset:700 ; 4-byte Folded Reload
	s_waitcnt lgkmcnt(0)
	v_mul_f64 v[103:104], v[101:102], v[105:106]
	v_fma_f64 v[103:104], v[99:100], v[97:98], -v[103:104]
	v_mul_f64 v[99:100], v[99:100], v[105:106]
	v_fma_f64 v[99:100], v[101:102], v[97:98], v[99:100]
	s_waitcnt vmcnt(2)
	v_add_f64 v[65:66], v[65:66], -v[103:104]
	s_waitcnt vmcnt(0)
	v_add_f64 v[67:68], v[67:68], -v[99:100]
	buffer_store_dword v65, off, s[20:23], 0 offset:688 ; 4-byte Folded Spill
	s_nop 0
	buffer_store_dword v66, off, s[20:23], 0 offset:692 ; 4-byte Folded Spill
	buffer_store_dword v67, off, s[20:23], 0 offset:696 ; 4-byte Folded Spill
	buffer_store_dword v68, off, s[20:23], 0 offset:700 ; 4-byte Folded Spill
	ds_read2_b64 v[99:102], v125 offset0:8 offset1:9
	;; [unrolled: 19-line block ×33, first 2 shown]
	s_waitcnt lgkmcnt(0)
	v_mul_f64 v[103:104], v[101:102], v[105:106]
	v_fma_f64 v[103:104], v[99:100], v[97:98], -v[103:104]
	v_mul_f64 v[99:100], v[99:100], v[105:106]
	v_add_f64 v[93:94], v[93:94], -v[103:104]
	v_fma_f64 v[99:100], v[101:102], v[97:98], v[99:100]
	v_add_f64 v[95:96], v[95:96], -v[99:100]
	ds_read2_b64 v[99:102], v125 offset0:72 offset1:73
	buffer_load_dword v41, off, s[20:23], 0 offset:176 ; 4-byte Folded Reload
	buffer_load_dword v42, off, s[20:23], 0 offset:180 ; 4-byte Folded Reload
	buffer_load_dword v43, off, s[20:23], 0 offset:184 ; 4-byte Folded Reload
	buffer_load_dword v44, off, s[20:23], 0 offset:188 ; 4-byte Folded Reload
	s_waitcnt lgkmcnt(0)
	v_mul_f64 v[103:104], v[101:102], v[105:106]
	v_fma_f64 v[103:104], v[99:100], v[97:98], -v[103:104]
	v_mul_f64 v[99:100], v[99:100], v[105:106]
	v_fma_f64 v[99:100], v[101:102], v[97:98], v[99:100]
	s_waitcnt vmcnt(2)
	v_add_f64 v[41:42], v[41:42], -v[103:104]
	s_waitcnt vmcnt(0)
	v_add_f64 v[43:44], v[43:44], -v[99:100]
	buffer_store_dword v41, off, s[20:23], 0 offset:176 ; 4-byte Folded Spill
	s_nop 0
	buffer_store_dword v42, off, s[20:23], 0 offset:180 ; 4-byte Folded Spill
	buffer_store_dword v43, off, s[20:23], 0 offset:184 ; 4-byte Folded Spill
	buffer_store_dword v44, off, s[20:23], 0 offset:188 ; 4-byte Folded Spill
	ds_read2_b64 v[99:102], v125 offset0:74 offset1:75
	buffer_load_dword v65, off, s[20:23], 0 offset:160 ; 4-byte Folded Reload
	buffer_load_dword v66, off, s[20:23], 0 offset:164 ; 4-byte Folded Reload
	buffer_load_dword v67, off, s[20:23], 0 offset:168 ; 4-byte Folded Reload
	buffer_load_dword v68, off, s[20:23], 0 offset:172 ; 4-byte Folded Reload
	s_waitcnt lgkmcnt(0)
	v_mul_f64 v[103:104], v[101:102], v[105:106]
	v_fma_f64 v[103:104], v[99:100], v[97:98], -v[103:104]
	v_mul_f64 v[99:100], v[99:100], v[105:106]
	v_fma_f64 v[99:100], v[101:102], v[97:98], v[99:100]
	s_waitcnt vmcnt(2)
	v_add_f64 v[65:66], v[65:66], -v[103:104]
	s_waitcnt vmcnt(0)
	v_add_f64 v[67:68], v[67:68], -v[99:100]
	buffer_store_dword v65, off, s[20:23], 0 offset:160 ; 4-byte Folded Spill
	s_nop 0
	buffer_store_dword v66, off, s[20:23], 0 offset:164 ; 4-byte Folded Spill
	buffer_store_dword v67, off, s[20:23], 0 offset:168 ; 4-byte Folded Spill
	buffer_store_dword v68, off, s[20:23], 0 offset:172 ; 4-byte Folded Spill
	;; [unrolled: 19-line block ×11, first 2 shown]
	ds_read2_b64 v[99:102], v125 offset0:94 offset1:95
	buffer_load_dword v45, off, s[20:23], 0 ; 4-byte Folded Reload
	buffer_load_dword v46, off, s[20:23], 0 offset:4 ; 4-byte Folded Reload
	buffer_load_dword v47, off, s[20:23], 0 offset:8 ; 4-byte Folded Reload
	;; [unrolled: 1-line block ×3, first 2 shown]
	s_waitcnt lgkmcnt(0)
	v_mul_f64 v[103:104], v[101:102], v[105:106]
	v_fma_f64 v[103:104], v[99:100], v[97:98], -v[103:104]
	v_mul_f64 v[99:100], v[99:100], v[105:106]
	v_fma_f64 v[99:100], v[101:102], v[97:98], v[99:100]
	s_waitcnt vmcnt(2)
	v_add_f64 v[45:46], v[45:46], -v[103:104]
	s_waitcnt vmcnt(0)
	v_add_f64 v[47:48], v[47:48], -v[99:100]
	buffer_store_dword v45, off, s[20:23], 0 ; 4-byte Folded Spill
	s_nop 0
	buffer_store_dword v46, off, s[20:23], 0 offset:4 ; 4-byte Folded Spill
	buffer_store_dword v47, off, s[20:23], 0 offset:8 ; 4-byte Folded Spill
	;; [unrolled: 1-line block ×3, first 2 shown]
	ds_read2_b64 v[99:102], v125 offset0:96 offset1:97
	s_waitcnt lgkmcnt(0)
	v_mul_f64 v[103:104], v[101:102], v[105:106]
	v_fma_f64 v[103:104], v[99:100], v[97:98], -v[103:104]
	v_mul_f64 v[99:100], v[99:100], v[105:106]
	v_add_f64 v[113:114], v[113:114], -v[103:104]
	v_fma_f64 v[99:100], v[101:102], v[97:98], v[99:100]
	v_add_f64 v[115:116], v[115:116], -v[99:100]
	ds_read2_b64 v[99:102], v125 offset0:98 offset1:99
	s_waitcnt lgkmcnt(0)
	v_mul_f64 v[103:104], v[101:102], v[105:106]
	v_fma_f64 v[103:104], v[99:100], v[97:98], -v[103:104]
	v_mul_f64 v[99:100], v[99:100], v[105:106]
	v_add_f64 v[37:38], v[37:38], -v[103:104]
	v_fma_f64 v[99:100], v[101:102], v[97:98], v[99:100]
	v_add_f64 v[39:40], v[39:40], -v[99:100]
	;; [unrolled: 8-line block ×10, first 2 shown]
	ds_read2_b64 v[99:102], v125 offset0:116 offset1:117
	s_waitcnt lgkmcnt(0)
	v_mul_f64 v[103:104], v[101:102], v[105:106]
	v_fma_f64 v[103:104], v[99:100], v[97:98], -v[103:104]
	v_mul_f64 v[99:100], v[99:100], v[105:106]
	v_add_f64 v[1:2], v[1:2], -v[103:104]
	v_fma_f64 v[99:100], v[101:102], v[97:98], v[99:100]
	ds_read2_b64 v[101:104], v125 offset0:118 offset1:119
	v_add_f64 v[3:4], v[3:4], -v[99:100]
	s_waitcnt lgkmcnt(0)
	v_mul_f64 v[99:100], v[103:104], v[105:106]
	v_fma_f64 v[99:100], v[101:102], v[97:98], -v[99:100]
	v_mul_f64 v[101:102], v[101:102], v[105:106]
	v_add_f64 v[121:122], v[121:122], -v[99:100]
	v_fma_f64 v[101:102], v[103:104], v[97:98], v[101:102]
	v_mov_b32_e32 v104, v98
	v_mov_b32_e32 v103, v97
	buffer_store_dword v103, off, s[20:23], 0 offset:720 ; 4-byte Folded Spill
	s_nop 0
	buffer_store_dword v104, off, s[20:23], 0 offset:724 ; 4-byte Folded Spill
	buffer_store_dword v105, off, s[20:23], 0 offset:728 ; 4-byte Folded Spill
	;; [unrolled: 1-line block ×3, first 2 shown]
	v_add_f64 v[123:124], v[123:124], -v[101:102]
.LBB119_19:
	s_or_b64 exec, exec, s[2:3]
	v_cmp_eq_u32_e32 vcc, 2, v0
	s_waitcnt vmcnt(0)
	s_barrier
	s_and_saveexec_b64 s[4:5], vcc
	s_cbranch_execz .LBB119_26
; %bb.20:
	buffer_load_dword v65, off, s[20:23], 0 offset:704 ; 4-byte Folded Reload
	buffer_load_dword v66, off, s[20:23], 0 offset:708 ; 4-byte Folded Reload
	;; [unrolled: 1-line block ×4, first 2 shown]
	s_waitcnt vmcnt(0)
	ds_write2_b64 v127, v[65:66], v[67:68] offset1:1
	buffer_load_dword v65, off, s[20:23], 0 offset:688 ; 4-byte Folded Reload
	buffer_load_dword v66, off, s[20:23], 0 offset:692 ; 4-byte Folded Reload
	buffer_load_dword v67, off, s[20:23], 0 offset:696 ; 4-byte Folded Reload
	buffer_load_dword v68, off, s[20:23], 0 offset:700 ; 4-byte Folded Reload
	s_waitcnt vmcnt(0)
	ds_write2_b64 v125, v[65:66], v[67:68] offset0:6 offset1:7
	buffer_load_dword v65, off, s[20:23], 0 offset:672 ; 4-byte Folded Reload
	buffer_load_dword v66, off, s[20:23], 0 offset:676 ; 4-byte Folded Reload
	buffer_load_dword v67, off, s[20:23], 0 offset:680 ; 4-byte Folded Reload
	buffer_load_dword v68, off, s[20:23], 0 offset:684 ; 4-byte Folded Reload
	s_waitcnt vmcnt(0)
	ds_write2_b64 v125, v[65:66], v[67:68] offset0:8 offset1:9
	;; [unrolled: 6-line block ×32, first 2 shown]
	ds_write2_b64 v125, v[93:94], v[95:96] offset0:70 offset1:71
	buffer_load_dword v41, off, s[20:23], 0 offset:176 ; 4-byte Folded Reload
	buffer_load_dword v42, off, s[20:23], 0 offset:180 ; 4-byte Folded Reload
	buffer_load_dword v43, off, s[20:23], 0 offset:184 ; 4-byte Folded Reload
	buffer_load_dword v44, off, s[20:23], 0 offset:188 ; 4-byte Folded Reload
	s_waitcnt vmcnt(0)
	ds_write2_b64 v125, v[41:42], v[43:44] offset0:72 offset1:73
	buffer_load_dword v65, off, s[20:23], 0 offset:160 ; 4-byte Folded Reload
	buffer_load_dword v66, off, s[20:23], 0 offset:164 ; 4-byte Folded Reload
	buffer_load_dword v67, off, s[20:23], 0 offset:168 ; 4-byte Folded Reload
	buffer_load_dword v68, off, s[20:23], 0 offset:172 ; 4-byte Folded Reload
	s_waitcnt vmcnt(0)
	;; [unrolled: 6-line block ×11, first 2 shown]
	ds_write2_b64 v125, v[49:50], v[51:52] offset0:92 offset1:93
	buffer_load_dword v45, off, s[20:23], 0 ; 4-byte Folded Reload
	buffer_load_dword v46, off, s[20:23], 0 offset:4 ; 4-byte Folded Reload
	buffer_load_dword v47, off, s[20:23], 0 offset:8 ; 4-byte Folded Reload
	;; [unrolled: 1-line block ×3, first 2 shown]
	s_waitcnt vmcnt(0)
	ds_write2_b64 v125, v[45:46], v[47:48] offset0:94 offset1:95
	ds_write2_b64 v125, v[113:114], v[115:116] offset0:96 offset1:97
	ds_write2_b64 v125, v[37:38], v[39:40] offset0:98 offset1:99
	ds_write2_b64 v125, v[33:34], v[35:36] offset0:100 offset1:101
	ds_write2_b64 v125, v[29:30], v[31:32] offset0:102 offset1:103
	ds_write2_b64 v125, v[25:26], v[27:28] offset0:104 offset1:105
	ds_write2_b64 v125, v[21:22], v[23:24] offset0:106 offset1:107
	ds_write2_b64 v125, v[17:18], v[19:20] offset0:108 offset1:109
	ds_write2_b64 v125, v[13:14], v[15:16] offset0:110 offset1:111
	ds_write2_b64 v125, v[9:10], v[11:12] offset0:112 offset1:113
	ds_write2_b64 v125, v[5:6], v[7:8] offset0:114 offset1:115
	ds_write2_b64 v125, v[1:2], v[3:4] offset0:116 offset1:117
	ds_write2_b64 v125, v[121:122], v[123:124] offset0:118 offset1:119
	ds_read2_b64 v[97:100], v127 offset1:1
	s_waitcnt lgkmcnt(0)
	v_cmp_neq_f64_e32 vcc, 0, v[97:98]
	v_cmp_neq_f64_e64 s[2:3], 0, v[99:100]
	s_or_b64 s[2:3], vcc, s[2:3]
	s_and_b64 exec, exec, s[2:3]
	s_cbranch_execz .LBB119_26
; %bb.21:
	v_cmp_ngt_f64_e64 s[2:3], |v[97:98]|, |v[99:100]|
                                        ; implicit-def: $vgpr101_vgpr102
	s_and_saveexec_b64 s[6:7], s[2:3]
	s_xor_b64 s[2:3], exec, s[6:7]
                                        ; implicit-def: $vgpr103_vgpr104
	s_cbranch_execz .LBB119_23
; %bb.22:
	v_div_scale_f64 v[101:102], s[6:7], v[99:100], v[99:100], v[97:98]
	v_rcp_f64_e32 v[103:104], v[101:102]
	v_fma_f64 v[105:106], -v[101:102], v[103:104], 1.0
	v_fma_f64 v[103:104], v[103:104], v[105:106], v[103:104]
	v_div_scale_f64 v[105:106], vcc, v[97:98], v[99:100], v[97:98]
	v_fma_f64 v[107:108], -v[101:102], v[103:104], 1.0
	v_fma_f64 v[103:104], v[103:104], v[107:108], v[103:104]
	v_mul_f64 v[107:108], v[105:106], v[103:104]
	v_fma_f64 v[101:102], -v[101:102], v[107:108], v[105:106]
	v_div_fmas_f64 v[101:102], v[101:102], v[103:104], v[107:108]
	v_div_fixup_f64 v[101:102], v[101:102], v[99:100], v[97:98]
	v_fma_f64 v[97:98], v[97:98], v[101:102], v[99:100]
	v_div_scale_f64 v[99:100], s[6:7], v[97:98], v[97:98], 1.0
	v_div_scale_f64 v[107:108], vcc, 1.0, v[97:98], 1.0
	v_rcp_f64_e32 v[103:104], v[99:100]
	v_fma_f64 v[105:106], -v[99:100], v[103:104], 1.0
	v_fma_f64 v[103:104], v[103:104], v[105:106], v[103:104]
	v_fma_f64 v[105:106], -v[99:100], v[103:104], 1.0
	v_fma_f64 v[103:104], v[103:104], v[105:106], v[103:104]
	v_mul_f64 v[105:106], v[107:108], v[103:104]
	v_fma_f64 v[99:100], -v[99:100], v[105:106], v[107:108]
	v_div_fmas_f64 v[99:100], v[99:100], v[103:104], v[105:106]
	v_div_fixup_f64 v[103:104], v[99:100], v[97:98], 1.0
                                        ; implicit-def: $vgpr97_vgpr98
	v_mul_f64 v[101:102], v[101:102], v[103:104]
	v_xor_b32_e32 v104, 0x80000000, v104
.LBB119_23:
	s_andn2_saveexec_b64 s[2:3], s[2:3]
	s_cbranch_execz .LBB119_25
; %bb.24:
	v_div_scale_f64 v[101:102], s[6:7], v[97:98], v[97:98], v[99:100]
	v_rcp_f64_e32 v[103:104], v[101:102]
	v_fma_f64 v[105:106], -v[101:102], v[103:104], 1.0
	v_fma_f64 v[103:104], v[103:104], v[105:106], v[103:104]
	v_div_scale_f64 v[105:106], vcc, v[99:100], v[97:98], v[99:100]
	v_fma_f64 v[107:108], -v[101:102], v[103:104], 1.0
	v_fma_f64 v[103:104], v[103:104], v[107:108], v[103:104]
	v_mul_f64 v[107:108], v[105:106], v[103:104]
	v_fma_f64 v[101:102], -v[101:102], v[107:108], v[105:106]
	v_div_fmas_f64 v[101:102], v[101:102], v[103:104], v[107:108]
	v_div_fixup_f64 v[103:104], v[101:102], v[97:98], v[99:100]
	v_fma_f64 v[97:98], v[99:100], v[103:104], v[97:98]
	v_div_scale_f64 v[99:100], s[6:7], v[97:98], v[97:98], 1.0
	v_div_scale_f64 v[107:108], vcc, 1.0, v[97:98], 1.0
	v_rcp_f64_e32 v[101:102], v[99:100]
	v_fma_f64 v[105:106], -v[99:100], v[101:102], 1.0
	v_fma_f64 v[101:102], v[101:102], v[105:106], v[101:102]
	v_fma_f64 v[105:106], -v[99:100], v[101:102], 1.0
	v_fma_f64 v[101:102], v[101:102], v[105:106], v[101:102]
	v_mul_f64 v[105:106], v[107:108], v[101:102]
	v_fma_f64 v[99:100], -v[99:100], v[105:106], v[107:108]
	v_div_fmas_f64 v[99:100], v[99:100], v[101:102], v[105:106]
	v_div_fixup_f64 v[101:102], v[99:100], v[97:98], 1.0
	v_mul_f64 v[103:104], v[103:104], -v[101:102]
.LBB119_25:
	s_or_b64 exec, exec, s[2:3]
	ds_write2_b64 v127, v[101:102], v[103:104] offset1:1
.LBB119_26:
	s_or_b64 exec, exec, s[4:5]
	s_waitcnt lgkmcnt(0)
	s_barrier
	ds_read2_b64 v[65:68], v127 offset1:1
	v_cmp_lt_u32_e32 vcc, 2, v0
	s_waitcnt lgkmcnt(0)
	buffer_store_dword v65, off, s[20:23], 0 offset:1256 ; 4-byte Folded Spill
	s_nop 0
	buffer_store_dword v66, off, s[20:23], 0 offset:1260 ; 4-byte Folded Spill
	buffer_store_dword v67, off, s[20:23], 0 offset:1264 ; 4-byte Folded Spill
	;; [unrolled: 1-line block ×3, first 2 shown]
	s_and_saveexec_b64 s[2:3], vcc
	s_cbranch_execz .LBB119_28
; %bb.27:
	buffer_load_dword v103, off, s[20:23], 0 offset:704 ; 4-byte Folded Reload
	buffer_load_dword v104, off, s[20:23], 0 offset:708 ; 4-byte Folded Reload
	;; [unrolled: 1-line block ×8, first 2 shown]
	s_waitcnt vmcnt(2)
	v_mul_f64 v[99:100], v[65:66], v[105:106]
	s_waitcnt vmcnt(0)
	v_mul_f64 v[97:98], v[67:68], v[105:106]
	v_fma_f64 v[105:106], v[67:68], v[103:104], v[99:100]
	ds_read2_b64 v[99:102], v125 offset0:6 offset1:7
	v_fma_f64 v[97:98], v[65:66], v[103:104], -v[97:98]
	buffer_load_dword v65, off, s[20:23], 0 offset:688 ; 4-byte Folded Reload
	buffer_load_dword v66, off, s[20:23], 0 offset:692 ; 4-byte Folded Reload
	buffer_load_dword v67, off, s[20:23], 0 offset:696 ; 4-byte Folded Reload
	buffer_load_dword v68, off, s[20:23], 0 offset:700 ; 4-byte Folded Reload
	s_waitcnt lgkmcnt(0)
	v_mul_f64 v[103:104], v[101:102], v[105:106]
	v_fma_f64 v[103:104], v[99:100], v[97:98], -v[103:104]
	v_mul_f64 v[99:100], v[99:100], v[105:106]
	v_fma_f64 v[99:100], v[101:102], v[97:98], v[99:100]
	s_waitcnt vmcnt(2)
	v_add_f64 v[65:66], v[65:66], -v[103:104]
	s_waitcnt vmcnt(0)
	v_add_f64 v[67:68], v[67:68], -v[99:100]
	buffer_store_dword v65, off, s[20:23], 0 offset:688 ; 4-byte Folded Spill
	s_nop 0
	buffer_store_dword v66, off, s[20:23], 0 offset:692 ; 4-byte Folded Spill
	buffer_store_dword v67, off, s[20:23], 0 offset:696 ; 4-byte Folded Spill
	buffer_store_dword v68, off, s[20:23], 0 offset:700 ; 4-byte Folded Spill
	ds_read2_b64 v[99:102], v125 offset0:8 offset1:9
	buffer_load_dword v65, off, s[20:23], 0 offset:672 ; 4-byte Folded Reload
	buffer_load_dword v66, off, s[20:23], 0 offset:676 ; 4-byte Folded Reload
	buffer_load_dword v67, off, s[20:23], 0 offset:680 ; 4-byte Folded Reload
	buffer_load_dword v68, off, s[20:23], 0 offset:684 ; 4-byte Folded Reload
	s_waitcnt lgkmcnt(0)
	v_mul_f64 v[103:104], v[101:102], v[105:106]
	v_fma_f64 v[103:104], v[99:100], v[97:98], -v[103:104]
	v_mul_f64 v[99:100], v[99:100], v[105:106]
	v_fma_f64 v[99:100], v[101:102], v[97:98], v[99:100]
	s_waitcnt vmcnt(2)
	v_add_f64 v[65:66], v[65:66], -v[103:104]
	s_waitcnt vmcnt(0)
	v_add_f64 v[67:68], v[67:68], -v[99:100]
	buffer_store_dword v65, off, s[20:23], 0 offset:672 ; 4-byte Folded Spill
	s_nop 0
	buffer_store_dword v66, off, s[20:23], 0 offset:676 ; 4-byte Folded Spill
	buffer_store_dword v67, off, s[20:23], 0 offset:680 ; 4-byte Folded Spill
	buffer_store_dword v68, off, s[20:23], 0 offset:684 ; 4-byte Folded Spill
	ds_read2_b64 v[99:102], v125 offset0:10 offset1:11
	;; [unrolled: 19-line block ×32, first 2 shown]
	s_waitcnt lgkmcnt(0)
	v_mul_f64 v[103:104], v[101:102], v[105:106]
	v_fma_f64 v[103:104], v[99:100], v[97:98], -v[103:104]
	v_mul_f64 v[99:100], v[99:100], v[105:106]
	v_add_f64 v[93:94], v[93:94], -v[103:104]
	v_fma_f64 v[99:100], v[101:102], v[97:98], v[99:100]
	v_add_f64 v[95:96], v[95:96], -v[99:100]
	ds_read2_b64 v[99:102], v125 offset0:72 offset1:73
	buffer_load_dword v41, off, s[20:23], 0 offset:176 ; 4-byte Folded Reload
	buffer_load_dword v42, off, s[20:23], 0 offset:180 ; 4-byte Folded Reload
	buffer_load_dword v43, off, s[20:23], 0 offset:184 ; 4-byte Folded Reload
	buffer_load_dword v44, off, s[20:23], 0 offset:188 ; 4-byte Folded Reload
	s_waitcnt lgkmcnt(0)
	v_mul_f64 v[103:104], v[101:102], v[105:106]
	v_fma_f64 v[103:104], v[99:100], v[97:98], -v[103:104]
	v_mul_f64 v[99:100], v[99:100], v[105:106]
	v_fma_f64 v[99:100], v[101:102], v[97:98], v[99:100]
	s_waitcnt vmcnt(2)
	v_add_f64 v[41:42], v[41:42], -v[103:104]
	s_waitcnt vmcnt(0)
	v_add_f64 v[43:44], v[43:44], -v[99:100]
	buffer_store_dword v41, off, s[20:23], 0 offset:176 ; 4-byte Folded Spill
	s_nop 0
	buffer_store_dword v42, off, s[20:23], 0 offset:180 ; 4-byte Folded Spill
	buffer_store_dword v43, off, s[20:23], 0 offset:184 ; 4-byte Folded Spill
	buffer_store_dword v44, off, s[20:23], 0 offset:188 ; 4-byte Folded Spill
	ds_read2_b64 v[99:102], v125 offset0:74 offset1:75
	buffer_load_dword v65, off, s[20:23], 0 offset:160 ; 4-byte Folded Reload
	buffer_load_dword v66, off, s[20:23], 0 offset:164 ; 4-byte Folded Reload
	buffer_load_dword v67, off, s[20:23], 0 offset:168 ; 4-byte Folded Reload
	buffer_load_dword v68, off, s[20:23], 0 offset:172 ; 4-byte Folded Reload
	s_waitcnt lgkmcnt(0)
	v_mul_f64 v[103:104], v[101:102], v[105:106]
	v_fma_f64 v[103:104], v[99:100], v[97:98], -v[103:104]
	v_mul_f64 v[99:100], v[99:100], v[105:106]
	v_fma_f64 v[99:100], v[101:102], v[97:98], v[99:100]
	s_waitcnt vmcnt(2)
	v_add_f64 v[65:66], v[65:66], -v[103:104]
	s_waitcnt vmcnt(0)
	v_add_f64 v[67:68], v[67:68], -v[99:100]
	buffer_store_dword v65, off, s[20:23], 0 offset:160 ; 4-byte Folded Spill
	s_nop 0
	buffer_store_dword v66, off, s[20:23], 0 offset:164 ; 4-byte Folded Spill
	buffer_store_dword v67, off, s[20:23], 0 offset:168 ; 4-byte Folded Spill
	buffer_store_dword v68, off, s[20:23], 0 offset:172 ; 4-byte Folded Spill
	;; [unrolled: 19-line block ×11, first 2 shown]
	ds_read2_b64 v[99:102], v125 offset0:94 offset1:95
	buffer_load_dword v45, off, s[20:23], 0 ; 4-byte Folded Reload
	buffer_load_dword v46, off, s[20:23], 0 offset:4 ; 4-byte Folded Reload
	buffer_load_dword v47, off, s[20:23], 0 offset:8 ; 4-byte Folded Reload
	;; [unrolled: 1-line block ×3, first 2 shown]
	s_waitcnt lgkmcnt(0)
	v_mul_f64 v[103:104], v[101:102], v[105:106]
	v_fma_f64 v[103:104], v[99:100], v[97:98], -v[103:104]
	v_mul_f64 v[99:100], v[99:100], v[105:106]
	v_fma_f64 v[99:100], v[101:102], v[97:98], v[99:100]
	s_waitcnt vmcnt(2)
	v_add_f64 v[45:46], v[45:46], -v[103:104]
	s_waitcnt vmcnt(0)
	v_add_f64 v[47:48], v[47:48], -v[99:100]
	buffer_store_dword v45, off, s[20:23], 0 ; 4-byte Folded Spill
	s_nop 0
	buffer_store_dword v46, off, s[20:23], 0 offset:4 ; 4-byte Folded Spill
	buffer_store_dword v47, off, s[20:23], 0 offset:8 ; 4-byte Folded Spill
	;; [unrolled: 1-line block ×3, first 2 shown]
	ds_read2_b64 v[99:102], v125 offset0:96 offset1:97
	s_waitcnt lgkmcnt(0)
	v_mul_f64 v[103:104], v[101:102], v[105:106]
	v_fma_f64 v[103:104], v[99:100], v[97:98], -v[103:104]
	v_mul_f64 v[99:100], v[99:100], v[105:106]
	v_add_f64 v[113:114], v[113:114], -v[103:104]
	v_fma_f64 v[99:100], v[101:102], v[97:98], v[99:100]
	v_add_f64 v[115:116], v[115:116], -v[99:100]
	ds_read2_b64 v[99:102], v125 offset0:98 offset1:99
	s_waitcnt lgkmcnt(0)
	v_mul_f64 v[103:104], v[101:102], v[105:106]
	v_fma_f64 v[103:104], v[99:100], v[97:98], -v[103:104]
	v_mul_f64 v[99:100], v[99:100], v[105:106]
	v_add_f64 v[37:38], v[37:38], -v[103:104]
	v_fma_f64 v[99:100], v[101:102], v[97:98], v[99:100]
	v_add_f64 v[39:40], v[39:40], -v[99:100]
	;; [unrolled: 8-line block ×10, first 2 shown]
	ds_read2_b64 v[99:102], v125 offset0:116 offset1:117
	s_waitcnt lgkmcnt(0)
	v_mul_f64 v[103:104], v[101:102], v[105:106]
	v_fma_f64 v[103:104], v[99:100], v[97:98], -v[103:104]
	v_mul_f64 v[99:100], v[99:100], v[105:106]
	v_add_f64 v[1:2], v[1:2], -v[103:104]
	v_fma_f64 v[99:100], v[101:102], v[97:98], v[99:100]
	ds_read2_b64 v[101:104], v125 offset0:118 offset1:119
	v_add_f64 v[3:4], v[3:4], -v[99:100]
	s_waitcnt lgkmcnt(0)
	v_mul_f64 v[99:100], v[103:104], v[105:106]
	v_fma_f64 v[99:100], v[101:102], v[97:98], -v[99:100]
	v_mul_f64 v[101:102], v[101:102], v[105:106]
	v_add_f64 v[121:122], v[121:122], -v[99:100]
	v_fma_f64 v[101:102], v[103:104], v[97:98], v[101:102]
	v_mov_b32_e32 v104, v98
	v_mov_b32_e32 v103, v97
	buffer_store_dword v103, off, s[20:23], 0 offset:704 ; 4-byte Folded Spill
	s_nop 0
	buffer_store_dword v104, off, s[20:23], 0 offset:708 ; 4-byte Folded Spill
	buffer_store_dword v105, off, s[20:23], 0 offset:712 ; 4-byte Folded Spill
	;; [unrolled: 1-line block ×3, first 2 shown]
	v_add_f64 v[123:124], v[123:124], -v[101:102]
.LBB119_28:
	s_or_b64 exec, exec, s[2:3]
	v_cmp_eq_u32_e32 vcc, 3, v0
	s_waitcnt vmcnt(0)
	s_barrier
	s_and_saveexec_b64 s[4:5], vcc
	s_cbranch_execz .LBB119_35
; %bb.29:
	buffer_load_dword v65, off, s[20:23], 0 offset:688 ; 4-byte Folded Reload
	buffer_load_dword v66, off, s[20:23], 0 offset:692 ; 4-byte Folded Reload
	;; [unrolled: 1-line block ×4, first 2 shown]
	s_waitcnt vmcnt(0)
	ds_write2_b64 v127, v[65:66], v[67:68] offset1:1
	buffer_load_dword v65, off, s[20:23], 0 offset:672 ; 4-byte Folded Reload
	buffer_load_dword v66, off, s[20:23], 0 offset:676 ; 4-byte Folded Reload
	buffer_load_dword v67, off, s[20:23], 0 offset:680 ; 4-byte Folded Reload
	buffer_load_dword v68, off, s[20:23], 0 offset:684 ; 4-byte Folded Reload
	s_waitcnt vmcnt(0)
	ds_write2_b64 v125, v[65:66], v[67:68] offset0:8 offset1:9
	buffer_load_dword v65, off, s[20:23], 0 offset:656 ; 4-byte Folded Reload
	buffer_load_dword v66, off, s[20:23], 0 offset:660 ; 4-byte Folded Reload
	buffer_load_dword v67, off, s[20:23], 0 offset:664 ; 4-byte Folded Reload
	buffer_load_dword v68, off, s[20:23], 0 offset:668 ; 4-byte Folded Reload
	s_waitcnt vmcnt(0)
	ds_write2_b64 v125, v[65:66], v[67:68] offset0:10 offset1:11
	;; [unrolled: 6-line block ×31, first 2 shown]
	ds_write2_b64 v125, v[93:94], v[95:96] offset0:70 offset1:71
	buffer_load_dword v41, off, s[20:23], 0 offset:176 ; 4-byte Folded Reload
	buffer_load_dword v42, off, s[20:23], 0 offset:180 ; 4-byte Folded Reload
	buffer_load_dword v43, off, s[20:23], 0 offset:184 ; 4-byte Folded Reload
	buffer_load_dword v44, off, s[20:23], 0 offset:188 ; 4-byte Folded Reload
	s_waitcnt vmcnt(0)
	ds_write2_b64 v125, v[41:42], v[43:44] offset0:72 offset1:73
	buffer_load_dword v65, off, s[20:23], 0 offset:160 ; 4-byte Folded Reload
	buffer_load_dword v66, off, s[20:23], 0 offset:164 ; 4-byte Folded Reload
	buffer_load_dword v67, off, s[20:23], 0 offset:168 ; 4-byte Folded Reload
	buffer_load_dword v68, off, s[20:23], 0 offset:172 ; 4-byte Folded Reload
	s_waitcnt vmcnt(0)
	;; [unrolled: 6-line block ×11, first 2 shown]
	ds_write2_b64 v125, v[49:50], v[51:52] offset0:92 offset1:93
	buffer_load_dword v45, off, s[20:23], 0 ; 4-byte Folded Reload
	buffer_load_dword v46, off, s[20:23], 0 offset:4 ; 4-byte Folded Reload
	buffer_load_dword v47, off, s[20:23], 0 offset:8 ; 4-byte Folded Reload
	;; [unrolled: 1-line block ×3, first 2 shown]
	s_waitcnt vmcnt(0)
	ds_write2_b64 v125, v[45:46], v[47:48] offset0:94 offset1:95
	ds_write2_b64 v125, v[113:114], v[115:116] offset0:96 offset1:97
	;; [unrolled: 1-line block ×13, first 2 shown]
	ds_read2_b64 v[97:100], v127 offset1:1
	s_waitcnt lgkmcnt(0)
	v_cmp_neq_f64_e32 vcc, 0, v[97:98]
	v_cmp_neq_f64_e64 s[2:3], 0, v[99:100]
	s_or_b64 s[2:3], vcc, s[2:3]
	s_and_b64 exec, exec, s[2:3]
	s_cbranch_execz .LBB119_35
; %bb.30:
	v_cmp_ngt_f64_e64 s[2:3], |v[97:98]|, |v[99:100]|
                                        ; implicit-def: $vgpr101_vgpr102
	s_and_saveexec_b64 s[6:7], s[2:3]
	s_xor_b64 s[2:3], exec, s[6:7]
                                        ; implicit-def: $vgpr103_vgpr104
	s_cbranch_execz .LBB119_32
; %bb.31:
	v_div_scale_f64 v[101:102], s[6:7], v[99:100], v[99:100], v[97:98]
	v_rcp_f64_e32 v[103:104], v[101:102]
	v_fma_f64 v[105:106], -v[101:102], v[103:104], 1.0
	v_fma_f64 v[103:104], v[103:104], v[105:106], v[103:104]
	v_div_scale_f64 v[105:106], vcc, v[97:98], v[99:100], v[97:98]
	v_fma_f64 v[107:108], -v[101:102], v[103:104], 1.0
	v_fma_f64 v[103:104], v[103:104], v[107:108], v[103:104]
	v_mul_f64 v[107:108], v[105:106], v[103:104]
	v_fma_f64 v[101:102], -v[101:102], v[107:108], v[105:106]
	v_div_fmas_f64 v[101:102], v[101:102], v[103:104], v[107:108]
	v_div_fixup_f64 v[101:102], v[101:102], v[99:100], v[97:98]
	v_fma_f64 v[97:98], v[97:98], v[101:102], v[99:100]
	v_div_scale_f64 v[99:100], s[6:7], v[97:98], v[97:98], 1.0
	v_div_scale_f64 v[107:108], vcc, 1.0, v[97:98], 1.0
	v_rcp_f64_e32 v[103:104], v[99:100]
	v_fma_f64 v[105:106], -v[99:100], v[103:104], 1.0
	v_fma_f64 v[103:104], v[103:104], v[105:106], v[103:104]
	v_fma_f64 v[105:106], -v[99:100], v[103:104], 1.0
	v_fma_f64 v[103:104], v[103:104], v[105:106], v[103:104]
	v_mul_f64 v[105:106], v[107:108], v[103:104]
	v_fma_f64 v[99:100], -v[99:100], v[105:106], v[107:108]
	v_div_fmas_f64 v[99:100], v[99:100], v[103:104], v[105:106]
	v_div_fixup_f64 v[103:104], v[99:100], v[97:98], 1.0
                                        ; implicit-def: $vgpr97_vgpr98
	v_mul_f64 v[101:102], v[101:102], v[103:104]
	v_xor_b32_e32 v104, 0x80000000, v104
.LBB119_32:
	s_andn2_saveexec_b64 s[2:3], s[2:3]
	s_cbranch_execz .LBB119_34
; %bb.33:
	v_div_scale_f64 v[101:102], s[6:7], v[97:98], v[97:98], v[99:100]
	v_rcp_f64_e32 v[103:104], v[101:102]
	v_fma_f64 v[105:106], -v[101:102], v[103:104], 1.0
	v_fma_f64 v[103:104], v[103:104], v[105:106], v[103:104]
	v_div_scale_f64 v[105:106], vcc, v[99:100], v[97:98], v[99:100]
	v_fma_f64 v[107:108], -v[101:102], v[103:104], 1.0
	v_fma_f64 v[103:104], v[103:104], v[107:108], v[103:104]
	v_mul_f64 v[107:108], v[105:106], v[103:104]
	v_fma_f64 v[101:102], -v[101:102], v[107:108], v[105:106]
	v_div_fmas_f64 v[101:102], v[101:102], v[103:104], v[107:108]
	v_div_fixup_f64 v[103:104], v[101:102], v[97:98], v[99:100]
	v_fma_f64 v[97:98], v[99:100], v[103:104], v[97:98]
	v_div_scale_f64 v[99:100], s[6:7], v[97:98], v[97:98], 1.0
	v_div_scale_f64 v[107:108], vcc, 1.0, v[97:98], 1.0
	v_rcp_f64_e32 v[101:102], v[99:100]
	v_fma_f64 v[105:106], -v[99:100], v[101:102], 1.0
	v_fma_f64 v[101:102], v[101:102], v[105:106], v[101:102]
	v_fma_f64 v[105:106], -v[99:100], v[101:102], 1.0
	v_fma_f64 v[101:102], v[101:102], v[105:106], v[101:102]
	v_mul_f64 v[105:106], v[107:108], v[101:102]
	v_fma_f64 v[99:100], -v[99:100], v[105:106], v[107:108]
	v_div_fmas_f64 v[99:100], v[99:100], v[101:102], v[105:106]
	v_div_fixup_f64 v[101:102], v[99:100], v[97:98], 1.0
	v_mul_f64 v[103:104], v[103:104], -v[101:102]
.LBB119_34:
	s_or_b64 exec, exec, s[2:3]
	ds_write2_b64 v127, v[101:102], v[103:104] offset1:1
.LBB119_35:
	s_or_b64 exec, exec, s[4:5]
	s_waitcnt lgkmcnt(0)
	s_barrier
	ds_read2_b64 v[65:68], v127 offset1:1
	v_cmp_lt_u32_e32 vcc, 3, v0
	s_waitcnt lgkmcnt(0)
	buffer_store_dword v65, off, s[20:23], 0 offset:1272 ; 4-byte Folded Spill
	s_nop 0
	buffer_store_dword v66, off, s[20:23], 0 offset:1276 ; 4-byte Folded Spill
	buffer_store_dword v67, off, s[20:23], 0 offset:1280 ; 4-byte Folded Spill
	;; [unrolled: 1-line block ×3, first 2 shown]
	s_and_saveexec_b64 s[2:3], vcc
	s_cbranch_execz .LBB119_37
; %bb.36:
	buffer_load_dword v103, off, s[20:23], 0 offset:688 ; 4-byte Folded Reload
	buffer_load_dword v104, off, s[20:23], 0 offset:692 ; 4-byte Folded Reload
	;; [unrolled: 1-line block ×8, first 2 shown]
	s_waitcnt vmcnt(2)
	v_mul_f64 v[99:100], v[65:66], v[105:106]
	s_waitcnt vmcnt(0)
	v_mul_f64 v[97:98], v[67:68], v[105:106]
	v_fma_f64 v[105:106], v[67:68], v[103:104], v[99:100]
	ds_read2_b64 v[99:102], v125 offset0:8 offset1:9
	v_fma_f64 v[97:98], v[65:66], v[103:104], -v[97:98]
	buffer_load_dword v65, off, s[20:23], 0 offset:672 ; 4-byte Folded Reload
	buffer_load_dword v66, off, s[20:23], 0 offset:676 ; 4-byte Folded Reload
	buffer_load_dword v67, off, s[20:23], 0 offset:680 ; 4-byte Folded Reload
	buffer_load_dword v68, off, s[20:23], 0 offset:684 ; 4-byte Folded Reload
	s_waitcnt lgkmcnt(0)
	v_mul_f64 v[103:104], v[101:102], v[105:106]
	v_fma_f64 v[103:104], v[99:100], v[97:98], -v[103:104]
	v_mul_f64 v[99:100], v[99:100], v[105:106]
	v_fma_f64 v[99:100], v[101:102], v[97:98], v[99:100]
	s_waitcnt vmcnt(2)
	v_add_f64 v[65:66], v[65:66], -v[103:104]
	s_waitcnt vmcnt(0)
	v_add_f64 v[67:68], v[67:68], -v[99:100]
	buffer_store_dword v65, off, s[20:23], 0 offset:672 ; 4-byte Folded Spill
	s_nop 0
	buffer_store_dword v66, off, s[20:23], 0 offset:676 ; 4-byte Folded Spill
	buffer_store_dword v67, off, s[20:23], 0 offset:680 ; 4-byte Folded Spill
	buffer_store_dword v68, off, s[20:23], 0 offset:684 ; 4-byte Folded Spill
	ds_read2_b64 v[99:102], v125 offset0:10 offset1:11
	buffer_load_dword v65, off, s[20:23], 0 offset:656 ; 4-byte Folded Reload
	buffer_load_dword v66, off, s[20:23], 0 offset:660 ; 4-byte Folded Reload
	buffer_load_dword v67, off, s[20:23], 0 offset:664 ; 4-byte Folded Reload
	buffer_load_dword v68, off, s[20:23], 0 offset:668 ; 4-byte Folded Reload
	s_waitcnt lgkmcnt(0)
	v_mul_f64 v[103:104], v[101:102], v[105:106]
	v_fma_f64 v[103:104], v[99:100], v[97:98], -v[103:104]
	v_mul_f64 v[99:100], v[99:100], v[105:106]
	v_fma_f64 v[99:100], v[101:102], v[97:98], v[99:100]
	s_waitcnt vmcnt(2)
	v_add_f64 v[65:66], v[65:66], -v[103:104]
	s_waitcnt vmcnt(0)
	v_add_f64 v[67:68], v[67:68], -v[99:100]
	buffer_store_dword v65, off, s[20:23], 0 offset:656 ; 4-byte Folded Spill
	s_nop 0
	buffer_store_dword v66, off, s[20:23], 0 offset:660 ; 4-byte Folded Spill
	buffer_store_dword v67, off, s[20:23], 0 offset:664 ; 4-byte Folded Spill
	buffer_store_dword v68, off, s[20:23], 0 offset:668 ; 4-byte Folded Spill
	ds_read2_b64 v[99:102], v125 offset0:12 offset1:13
	;; [unrolled: 19-line block ×31, first 2 shown]
	s_waitcnt lgkmcnt(0)
	v_mul_f64 v[103:104], v[101:102], v[105:106]
	v_fma_f64 v[103:104], v[99:100], v[97:98], -v[103:104]
	v_mul_f64 v[99:100], v[99:100], v[105:106]
	v_add_f64 v[93:94], v[93:94], -v[103:104]
	v_fma_f64 v[99:100], v[101:102], v[97:98], v[99:100]
	v_add_f64 v[95:96], v[95:96], -v[99:100]
	ds_read2_b64 v[99:102], v125 offset0:72 offset1:73
	buffer_load_dword v41, off, s[20:23], 0 offset:176 ; 4-byte Folded Reload
	buffer_load_dword v42, off, s[20:23], 0 offset:180 ; 4-byte Folded Reload
	buffer_load_dword v43, off, s[20:23], 0 offset:184 ; 4-byte Folded Reload
	buffer_load_dword v44, off, s[20:23], 0 offset:188 ; 4-byte Folded Reload
	s_waitcnt lgkmcnt(0)
	v_mul_f64 v[103:104], v[101:102], v[105:106]
	v_fma_f64 v[103:104], v[99:100], v[97:98], -v[103:104]
	v_mul_f64 v[99:100], v[99:100], v[105:106]
	v_fma_f64 v[99:100], v[101:102], v[97:98], v[99:100]
	s_waitcnt vmcnt(2)
	v_add_f64 v[41:42], v[41:42], -v[103:104]
	s_waitcnt vmcnt(0)
	v_add_f64 v[43:44], v[43:44], -v[99:100]
	buffer_store_dword v41, off, s[20:23], 0 offset:176 ; 4-byte Folded Spill
	s_nop 0
	buffer_store_dword v42, off, s[20:23], 0 offset:180 ; 4-byte Folded Spill
	buffer_store_dword v43, off, s[20:23], 0 offset:184 ; 4-byte Folded Spill
	buffer_store_dword v44, off, s[20:23], 0 offset:188 ; 4-byte Folded Spill
	ds_read2_b64 v[99:102], v125 offset0:74 offset1:75
	buffer_load_dword v65, off, s[20:23], 0 offset:160 ; 4-byte Folded Reload
	buffer_load_dword v66, off, s[20:23], 0 offset:164 ; 4-byte Folded Reload
	buffer_load_dword v67, off, s[20:23], 0 offset:168 ; 4-byte Folded Reload
	buffer_load_dword v68, off, s[20:23], 0 offset:172 ; 4-byte Folded Reload
	s_waitcnt lgkmcnt(0)
	v_mul_f64 v[103:104], v[101:102], v[105:106]
	v_fma_f64 v[103:104], v[99:100], v[97:98], -v[103:104]
	v_mul_f64 v[99:100], v[99:100], v[105:106]
	v_fma_f64 v[99:100], v[101:102], v[97:98], v[99:100]
	s_waitcnt vmcnt(2)
	v_add_f64 v[65:66], v[65:66], -v[103:104]
	s_waitcnt vmcnt(0)
	v_add_f64 v[67:68], v[67:68], -v[99:100]
	buffer_store_dword v65, off, s[20:23], 0 offset:160 ; 4-byte Folded Spill
	s_nop 0
	buffer_store_dword v66, off, s[20:23], 0 offset:164 ; 4-byte Folded Spill
	buffer_store_dword v67, off, s[20:23], 0 offset:168 ; 4-byte Folded Spill
	buffer_store_dword v68, off, s[20:23], 0 offset:172 ; 4-byte Folded Spill
	;; [unrolled: 19-line block ×11, first 2 shown]
	ds_read2_b64 v[99:102], v125 offset0:94 offset1:95
	buffer_load_dword v45, off, s[20:23], 0 ; 4-byte Folded Reload
	buffer_load_dword v46, off, s[20:23], 0 offset:4 ; 4-byte Folded Reload
	buffer_load_dword v47, off, s[20:23], 0 offset:8 ; 4-byte Folded Reload
	;; [unrolled: 1-line block ×3, first 2 shown]
	s_waitcnt lgkmcnt(0)
	v_mul_f64 v[103:104], v[101:102], v[105:106]
	v_fma_f64 v[103:104], v[99:100], v[97:98], -v[103:104]
	v_mul_f64 v[99:100], v[99:100], v[105:106]
	v_fma_f64 v[99:100], v[101:102], v[97:98], v[99:100]
	s_waitcnt vmcnt(2)
	v_add_f64 v[45:46], v[45:46], -v[103:104]
	s_waitcnt vmcnt(0)
	v_add_f64 v[47:48], v[47:48], -v[99:100]
	buffer_store_dword v45, off, s[20:23], 0 ; 4-byte Folded Spill
	s_nop 0
	buffer_store_dword v46, off, s[20:23], 0 offset:4 ; 4-byte Folded Spill
	buffer_store_dword v47, off, s[20:23], 0 offset:8 ; 4-byte Folded Spill
	;; [unrolled: 1-line block ×3, first 2 shown]
	ds_read2_b64 v[99:102], v125 offset0:96 offset1:97
	s_waitcnt lgkmcnt(0)
	v_mul_f64 v[103:104], v[101:102], v[105:106]
	v_fma_f64 v[103:104], v[99:100], v[97:98], -v[103:104]
	v_mul_f64 v[99:100], v[99:100], v[105:106]
	v_add_f64 v[113:114], v[113:114], -v[103:104]
	v_fma_f64 v[99:100], v[101:102], v[97:98], v[99:100]
	v_add_f64 v[115:116], v[115:116], -v[99:100]
	ds_read2_b64 v[99:102], v125 offset0:98 offset1:99
	s_waitcnt lgkmcnt(0)
	v_mul_f64 v[103:104], v[101:102], v[105:106]
	v_fma_f64 v[103:104], v[99:100], v[97:98], -v[103:104]
	v_mul_f64 v[99:100], v[99:100], v[105:106]
	v_add_f64 v[37:38], v[37:38], -v[103:104]
	v_fma_f64 v[99:100], v[101:102], v[97:98], v[99:100]
	v_add_f64 v[39:40], v[39:40], -v[99:100]
	;; [unrolled: 8-line block ×10, first 2 shown]
	ds_read2_b64 v[99:102], v125 offset0:116 offset1:117
	s_waitcnt lgkmcnt(0)
	v_mul_f64 v[103:104], v[101:102], v[105:106]
	v_fma_f64 v[103:104], v[99:100], v[97:98], -v[103:104]
	v_mul_f64 v[99:100], v[99:100], v[105:106]
	v_add_f64 v[1:2], v[1:2], -v[103:104]
	v_fma_f64 v[99:100], v[101:102], v[97:98], v[99:100]
	ds_read2_b64 v[101:104], v125 offset0:118 offset1:119
	v_add_f64 v[3:4], v[3:4], -v[99:100]
	s_waitcnt lgkmcnt(0)
	v_mul_f64 v[99:100], v[103:104], v[105:106]
	v_fma_f64 v[99:100], v[101:102], v[97:98], -v[99:100]
	v_mul_f64 v[101:102], v[101:102], v[105:106]
	v_add_f64 v[121:122], v[121:122], -v[99:100]
	v_fma_f64 v[101:102], v[103:104], v[97:98], v[101:102]
	v_mov_b32_e32 v104, v98
	v_mov_b32_e32 v103, v97
	buffer_store_dword v103, off, s[20:23], 0 offset:688 ; 4-byte Folded Spill
	s_nop 0
	buffer_store_dword v104, off, s[20:23], 0 offset:692 ; 4-byte Folded Spill
	buffer_store_dword v105, off, s[20:23], 0 offset:696 ; 4-byte Folded Spill
	;; [unrolled: 1-line block ×3, first 2 shown]
	v_add_f64 v[123:124], v[123:124], -v[101:102]
.LBB119_37:
	s_or_b64 exec, exec, s[2:3]
	v_cmp_eq_u32_e32 vcc, 4, v0
	s_waitcnt vmcnt(0)
	s_barrier
	s_and_saveexec_b64 s[4:5], vcc
	s_cbranch_execz .LBB119_44
; %bb.38:
	buffer_load_dword v65, off, s[20:23], 0 offset:672 ; 4-byte Folded Reload
	buffer_load_dword v66, off, s[20:23], 0 offset:676 ; 4-byte Folded Reload
	buffer_load_dword v67, off, s[20:23], 0 offset:680 ; 4-byte Folded Reload
	buffer_load_dword v68, off, s[20:23], 0 offset:684 ; 4-byte Folded Reload
	s_waitcnt vmcnt(0)
	ds_write2_b64 v127, v[65:66], v[67:68] offset1:1
	buffer_load_dword v65, off, s[20:23], 0 offset:656 ; 4-byte Folded Reload
	buffer_load_dword v66, off, s[20:23], 0 offset:660 ; 4-byte Folded Reload
	buffer_load_dword v67, off, s[20:23], 0 offset:664 ; 4-byte Folded Reload
	buffer_load_dword v68, off, s[20:23], 0 offset:668 ; 4-byte Folded Reload
	s_waitcnt vmcnt(0)
	ds_write2_b64 v125, v[65:66], v[67:68] offset0:10 offset1:11
	buffer_load_dword v65, off, s[20:23], 0 offset:640 ; 4-byte Folded Reload
	buffer_load_dword v66, off, s[20:23], 0 offset:644 ; 4-byte Folded Reload
	buffer_load_dword v67, off, s[20:23], 0 offset:648 ; 4-byte Folded Reload
	buffer_load_dword v68, off, s[20:23], 0 offset:652 ; 4-byte Folded Reload
	s_waitcnt vmcnt(0)
	ds_write2_b64 v125, v[65:66], v[67:68] offset0:12 offset1:13
	;; [unrolled: 6-line block ×30, first 2 shown]
	ds_write2_b64 v125, v[93:94], v[95:96] offset0:70 offset1:71
	buffer_load_dword v41, off, s[20:23], 0 offset:176 ; 4-byte Folded Reload
	buffer_load_dword v42, off, s[20:23], 0 offset:180 ; 4-byte Folded Reload
	buffer_load_dword v43, off, s[20:23], 0 offset:184 ; 4-byte Folded Reload
	buffer_load_dword v44, off, s[20:23], 0 offset:188 ; 4-byte Folded Reload
	s_waitcnt vmcnt(0)
	ds_write2_b64 v125, v[41:42], v[43:44] offset0:72 offset1:73
	buffer_load_dword v65, off, s[20:23], 0 offset:160 ; 4-byte Folded Reload
	buffer_load_dword v66, off, s[20:23], 0 offset:164 ; 4-byte Folded Reload
	buffer_load_dword v67, off, s[20:23], 0 offset:168 ; 4-byte Folded Reload
	buffer_load_dword v68, off, s[20:23], 0 offset:172 ; 4-byte Folded Reload
	s_waitcnt vmcnt(0)
	ds_write2_b64 v125, v[65:66], v[67:68] offset0:74 offset1:75
	buffer_load_dword v65, off, s[20:23], 0 offset:144 ; 4-byte Folded Reload
	buffer_load_dword v66, off, s[20:23], 0 offset:148 ; 4-byte Folded Reload
	buffer_load_dword v67, off, s[20:23], 0 offset:152 ; 4-byte Folded Reload
	buffer_load_dword v68, off, s[20:23], 0 offset:156 ; 4-byte Folded Reload
	s_waitcnt vmcnt(0)
	ds_write2_b64 v125, v[65:66], v[67:68] offset0:76 offset1:77
	buffer_load_dword v65, off, s[20:23], 0 offset:128 ; 4-byte Folded Reload
	buffer_load_dword v66, off, s[20:23], 0 offset:132 ; 4-byte Folded Reload
	buffer_load_dword v67, off, s[20:23], 0 offset:136 ; 4-byte Folded Reload
	buffer_load_dword v68, off, s[20:23], 0 offset:140 ; 4-byte Folded Reload
	s_waitcnt vmcnt(0)
	ds_write2_b64 v125, v[65:66], v[67:68] offset0:78 offset1:79
	buffer_load_dword v65, off, s[20:23], 0 offset:112 ; 4-byte Folded Reload
	buffer_load_dword v66, off, s[20:23], 0 offset:116 ; 4-byte Folded Reload
	buffer_load_dword v67, off, s[20:23], 0 offset:120 ; 4-byte Folded Reload
	buffer_load_dword v68, off, s[20:23], 0 offset:124 ; 4-byte Folded Reload
	s_waitcnt vmcnt(0)
	ds_write2_b64 v125, v[65:66], v[67:68] offset0:80 offset1:81
	buffer_load_dword v65, off, s[20:23], 0 offset:96 ; 4-byte Folded Reload
	buffer_load_dword v66, off, s[20:23], 0 offset:100 ; 4-byte Folded Reload
	buffer_load_dword v67, off, s[20:23], 0 offset:104 ; 4-byte Folded Reload
	buffer_load_dword v68, off, s[20:23], 0 offset:108 ; 4-byte Folded Reload
	s_waitcnt vmcnt(0)
	ds_write2_b64 v125, v[65:66], v[67:68] offset0:82 offset1:83
	buffer_load_dword v65, off, s[20:23], 0 offset:80 ; 4-byte Folded Reload
	buffer_load_dword v66, off, s[20:23], 0 offset:84 ; 4-byte Folded Reload
	buffer_load_dword v67, off, s[20:23], 0 offset:88 ; 4-byte Folded Reload
	buffer_load_dword v68, off, s[20:23], 0 offset:92 ; 4-byte Folded Reload
	s_waitcnt vmcnt(0)
	ds_write2_b64 v125, v[65:66], v[67:68] offset0:84 offset1:85
	buffer_load_dword v61, off, s[20:23], 0 offset:64 ; 4-byte Folded Reload
	buffer_load_dword v62, off, s[20:23], 0 offset:68 ; 4-byte Folded Reload
	buffer_load_dword v63, off, s[20:23], 0 offset:72 ; 4-byte Folded Reload
	buffer_load_dword v64, off, s[20:23], 0 offset:76 ; 4-byte Folded Reload
	s_waitcnt vmcnt(0)
	ds_write2_b64 v125, v[61:62], v[63:64] offset0:86 offset1:87
	buffer_load_dword v57, off, s[20:23], 0 offset:48 ; 4-byte Folded Reload
	buffer_load_dword v58, off, s[20:23], 0 offset:52 ; 4-byte Folded Reload
	buffer_load_dword v59, off, s[20:23], 0 offset:56 ; 4-byte Folded Reload
	buffer_load_dword v60, off, s[20:23], 0 offset:60 ; 4-byte Folded Reload
	s_waitcnt vmcnt(0)
	ds_write2_b64 v125, v[57:58], v[59:60] offset0:88 offset1:89
	buffer_load_dword v53, off, s[20:23], 0 offset:32 ; 4-byte Folded Reload
	buffer_load_dword v54, off, s[20:23], 0 offset:36 ; 4-byte Folded Reload
	buffer_load_dword v55, off, s[20:23], 0 offset:40 ; 4-byte Folded Reload
	buffer_load_dword v56, off, s[20:23], 0 offset:44 ; 4-byte Folded Reload
	s_waitcnt vmcnt(0)
	ds_write2_b64 v125, v[53:54], v[55:56] offset0:90 offset1:91
	buffer_load_dword v49, off, s[20:23], 0 offset:16 ; 4-byte Folded Reload
	buffer_load_dword v50, off, s[20:23], 0 offset:20 ; 4-byte Folded Reload
	buffer_load_dword v51, off, s[20:23], 0 offset:24 ; 4-byte Folded Reload
	buffer_load_dword v52, off, s[20:23], 0 offset:28 ; 4-byte Folded Reload
	s_waitcnt vmcnt(0)
	ds_write2_b64 v125, v[49:50], v[51:52] offset0:92 offset1:93
	buffer_load_dword v45, off, s[20:23], 0 ; 4-byte Folded Reload
	buffer_load_dword v46, off, s[20:23], 0 offset:4 ; 4-byte Folded Reload
	buffer_load_dword v47, off, s[20:23], 0 offset:8 ; 4-byte Folded Reload
	;; [unrolled: 1-line block ×3, first 2 shown]
	s_waitcnt vmcnt(0)
	ds_write2_b64 v125, v[45:46], v[47:48] offset0:94 offset1:95
	ds_write2_b64 v125, v[113:114], v[115:116] offset0:96 offset1:97
	;; [unrolled: 1-line block ×13, first 2 shown]
	ds_read2_b64 v[97:100], v127 offset1:1
	s_waitcnt lgkmcnt(0)
	v_cmp_neq_f64_e32 vcc, 0, v[97:98]
	v_cmp_neq_f64_e64 s[2:3], 0, v[99:100]
	s_or_b64 s[2:3], vcc, s[2:3]
	s_and_b64 exec, exec, s[2:3]
	s_cbranch_execz .LBB119_44
; %bb.39:
	v_cmp_ngt_f64_e64 s[2:3], |v[97:98]|, |v[99:100]|
                                        ; implicit-def: $vgpr101_vgpr102
	s_and_saveexec_b64 s[6:7], s[2:3]
	s_xor_b64 s[2:3], exec, s[6:7]
                                        ; implicit-def: $vgpr103_vgpr104
	s_cbranch_execz .LBB119_41
; %bb.40:
	v_div_scale_f64 v[101:102], s[6:7], v[99:100], v[99:100], v[97:98]
	v_rcp_f64_e32 v[103:104], v[101:102]
	v_fma_f64 v[105:106], -v[101:102], v[103:104], 1.0
	v_fma_f64 v[103:104], v[103:104], v[105:106], v[103:104]
	v_div_scale_f64 v[105:106], vcc, v[97:98], v[99:100], v[97:98]
	v_fma_f64 v[107:108], -v[101:102], v[103:104], 1.0
	v_fma_f64 v[103:104], v[103:104], v[107:108], v[103:104]
	v_mul_f64 v[107:108], v[105:106], v[103:104]
	v_fma_f64 v[101:102], -v[101:102], v[107:108], v[105:106]
	v_div_fmas_f64 v[101:102], v[101:102], v[103:104], v[107:108]
	v_div_fixup_f64 v[101:102], v[101:102], v[99:100], v[97:98]
	v_fma_f64 v[97:98], v[97:98], v[101:102], v[99:100]
	v_div_scale_f64 v[99:100], s[6:7], v[97:98], v[97:98], 1.0
	v_div_scale_f64 v[107:108], vcc, 1.0, v[97:98], 1.0
	v_rcp_f64_e32 v[103:104], v[99:100]
	v_fma_f64 v[105:106], -v[99:100], v[103:104], 1.0
	v_fma_f64 v[103:104], v[103:104], v[105:106], v[103:104]
	v_fma_f64 v[105:106], -v[99:100], v[103:104], 1.0
	v_fma_f64 v[103:104], v[103:104], v[105:106], v[103:104]
	v_mul_f64 v[105:106], v[107:108], v[103:104]
	v_fma_f64 v[99:100], -v[99:100], v[105:106], v[107:108]
	v_div_fmas_f64 v[99:100], v[99:100], v[103:104], v[105:106]
	v_div_fixup_f64 v[103:104], v[99:100], v[97:98], 1.0
                                        ; implicit-def: $vgpr97_vgpr98
	v_mul_f64 v[101:102], v[101:102], v[103:104]
	v_xor_b32_e32 v104, 0x80000000, v104
.LBB119_41:
	s_andn2_saveexec_b64 s[2:3], s[2:3]
	s_cbranch_execz .LBB119_43
; %bb.42:
	v_div_scale_f64 v[101:102], s[6:7], v[97:98], v[97:98], v[99:100]
	v_rcp_f64_e32 v[103:104], v[101:102]
	v_fma_f64 v[105:106], -v[101:102], v[103:104], 1.0
	v_fma_f64 v[103:104], v[103:104], v[105:106], v[103:104]
	v_div_scale_f64 v[105:106], vcc, v[99:100], v[97:98], v[99:100]
	v_fma_f64 v[107:108], -v[101:102], v[103:104], 1.0
	v_fma_f64 v[103:104], v[103:104], v[107:108], v[103:104]
	v_mul_f64 v[107:108], v[105:106], v[103:104]
	v_fma_f64 v[101:102], -v[101:102], v[107:108], v[105:106]
	v_div_fmas_f64 v[101:102], v[101:102], v[103:104], v[107:108]
	v_div_fixup_f64 v[103:104], v[101:102], v[97:98], v[99:100]
	v_fma_f64 v[97:98], v[99:100], v[103:104], v[97:98]
	v_div_scale_f64 v[99:100], s[6:7], v[97:98], v[97:98], 1.0
	v_div_scale_f64 v[107:108], vcc, 1.0, v[97:98], 1.0
	v_rcp_f64_e32 v[101:102], v[99:100]
	v_fma_f64 v[105:106], -v[99:100], v[101:102], 1.0
	v_fma_f64 v[101:102], v[101:102], v[105:106], v[101:102]
	v_fma_f64 v[105:106], -v[99:100], v[101:102], 1.0
	v_fma_f64 v[101:102], v[101:102], v[105:106], v[101:102]
	v_mul_f64 v[105:106], v[107:108], v[101:102]
	v_fma_f64 v[99:100], -v[99:100], v[105:106], v[107:108]
	v_div_fmas_f64 v[99:100], v[99:100], v[101:102], v[105:106]
	v_div_fixup_f64 v[101:102], v[99:100], v[97:98], 1.0
	v_mul_f64 v[103:104], v[103:104], -v[101:102]
.LBB119_43:
	s_or_b64 exec, exec, s[2:3]
	ds_write2_b64 v127, v[101:102], v[103:104] offset1:1
.LBB119_44:
	s_or_b64 exec, exec, s[4:5]
	s_waitcnt lgkmcnt(0)
	s_barrier
	ds_read2_b64 v[65:68], v127 offset1:1
	v_cmp_lt_u32_e32 vcc, 4, v0
	s_waitcnt lgkmcnt(0)
	buffer_store_dword v65, off, s[20:23], 0 offset:1288 ; 4-byte Folded Spill
	s_nop 0
	buffer_store_dword v66, off, s[20:23], 0 offset:1292 ; 4-byte Folded Spill
	buffer_store_dword v67, off, s[20:23], 0 offset:1296 ; 4-byte Folded Spill
	;; [unrolled: 1-line block ×3, first 2 shown]
	s_and_saveexec_b64 s[2:3], vcc
	s_cbranch_execz .LBB119_46
; %bb.45:
	buffer_load_dword v103, off, s[20:23], 0 offset:672 ; 4-byte Folded Reload
	buffer_load_dword v104, off, s[20:23], 0 offset:676 ; 4-byte Folded Reload
	;; [unrolled: 1-line block ×8, first 2 shown]
	s_waitcnt vmcnt(2)
	v_mul_f64 v[99:100], v[65:66], v[105:106]
	s_waitcnt vmcnt(0)
	v_mul_f64 v[97:98], v[67:68], v[105:106]
	v_fma_f64 v[105:106], v[67:68], v[103:104], v[99:100]
	ds_read2_b64 v[99:102], v125 offset0:10 offset1:11
	v_fma_f64 v[97:98], v[65:66], v[103:104], -v[97:98]
	buffer_load_dword v65, off, s[20:23], 0 offset:656 ; 4-byte Folded Reload
	buffer_load_dword v66, off, s[20:23], 0 offset:660 ; 4-byte Folded Reload
	buffer_load_dword v67, off, s[20:23], 0 offset:664 ; 4-byte Folded Reload
	buffer_load_dword v68, off, s[20:23], 0 offset:668 ; 4-byte Folded Reload
	s_waitcnt lgkmcnt(0)
	v_mul_f64 v[103:104], v[101:102], v[105:106]
	v_fma_f64 v[103:104], v[99:100], v[97:98], -v[103:104]
	v_mul_f64 v[99:100], v[99:100], v[105:106]
	v_fma_f64 v[99:100], v[101:102], v[97:98], v[99:100]
	s_waitcnt vmcnt(2)
	v_add_f64 v[65:66], v[65:66], -v[103:104]
	s_waitcnt vmcnt(0)
	v_add_f64 v[67:68], v[67:68], -v[99:100]
	buffer_store_dword v65, off, s[20:23], 0 offset:656 ; 4-byte Folded Spill
	s_nop 0
	buffer_store_dword v66, off, s[20:23], 0 offset:660 ; 4-byte Folded Spill
	buffer_store_dword v67, off, s[20:23], 0 offset:664 ; 4-byte Folded Spill
	buffer_store_dword v68, off, s[20:23], 0 offset:668 ; 4-byte Folded Spill
	ds_read2_b64 v[99:102], v125 offset0:12 offset1:13
	buffer_load_dword v65, off, s[20:23], 0 offset:640 ; 4-byte Folded Reload
	buffer_load_dword v66, off, s[20:23], 0 offset:644 ; 4-byte Folded Reload
	buffer_load_dword v67, off, s[20:23], 0 offset:648 ; 4-byte Folded Reload
	buffer_load_dword v68, off, s[20:23], 0 offset:652 ; 4-byte Folded Reload
	s_waitcnt lgkmcnt(0)
	v_mul_f64 v[103:104], v[101:102], v[105:106]
	v_fma_f64 v[103:104], v[99:100], v[97:98], -v[103:104]
	v_mul_f64 v[99:100], v[99:100], v[105:106]
	v_fma_f64 v[99:100], v[101:102], v[97:98], v[99:100]
	s_waitcnt vmcnt(2)
	v_add_f64 v[65:66], v[65:66], -v[103:104]
	s_waitcnt vmcnt(0)
	v_add_f64 v[67:68], v[67:68], -v[99:100]
	buffer_store_dword v65, off, s[20:23], 0 offset:640 ; 4-byte Folded Spill
	s_nop 0
	buffer_store_dword v66, off, s[20:23], 0 offset:644 ; 4-byte Folded Spill
	buffer_store_dword v67, off, s[20:23], 0 offset:648 ; 4-byte Folded Spill
	buffer_store_dword v68, off, s[20:23], 0 offset:652 ; 4-byte Folded Spill
	ds_read2_b64 v[99:102], v125 offset0:14 offset1:15
	buffer_load_dword v65, off, s[20:23], 0 offset:624 ; 4-byte Folded Reload
	buffer_load_dword v66, off, s[20:23], 0 offset:628 ; 4-byte Folded Reload
	buffer_load_dword v67, off, s[20:23], 0 offset:632 ; 4-byte Folded Reload
	buffer_load_dword v68, off, s[20:23], 0 offset:636 ; 4-byte Folded Reload
	s_waitcnt lgkmcnt(0)
	v_mul_f64 v[103:104], v[101:102], v[105:106]
	v_fma_f64 v[103:104], v[99:100], v[97:98], -v[103:104]
	v_mul_f64 v[99:100], v[99:100], v[105:106]
	v_fma_f64 v[99:100], v[101:102], v[97:98], v[99:100]
	s_waitcnt vmcnt(2)
	v_add_f64 v[65:66], v[65:66], -v[103:104]
	s_waitcnt vmcnt(0)
	v_add_f64 v[67:68], v[67:68], -v[99:100]
	buffer_store_dword v65, off, s[20:23], 0 offset:624 ; 4-byte Folded Spill
	s_nop 0
	buffer_store_dword v66, off, s[20:23], 0 offset:628 ; 4-byte Folded Spill
	buffer_store_dword v67, off, s[20:23], 0 offset:632 ; 4-byte Folded Spill
	buffer_store_dword v68, off, s[20:23], 0 offset:636 ; 4-byte Folded Spill
	ds_read2_b64 v[99:102], v125 offset0:16 offset1:17
	buffer_load_dword v65, off, s[20:23], 0 offset:608 ; 4-byte Folded Reload
	buffer_load_dword v66, off, s[20:23], 0 offset:612 ; 4-byte Folded Reload
	buffer_load_dword v67, off, s[20:23], 0 offset:616 ; 4-byte Folded Reload
	buffer_load_dword v68, off, s[20:23], 0 offset:620 ; 4-byte Folded Reload
	s_waitcnt lgkmcnt(0)
	v_mul_f64 v[103:104], v[101:102], v[105:106]
	v_fma_f64 v[103:104], v[99:100], v[97:98], -v[103:104]
	v_mul_f64 v[99:100], v[99:100], v[105:106]
	v_fma_f64 v[99:100], v[101:102], v[97:98], v[99:100]
	s_waitcnt vmcnt(2)
	v_add_f64 v[65:66], v[65:66], -v[103:104]
	s_waitcnt vmcnt(0)
	v_add_f64 v[67:68], v[67:68], -v[99:100]
	buffer_store_dword v65, off, s[20:23], 0 offset:608 ; 4-byte Folded Spill
	s_nop 0
	buffer_store_dword v66, off, s[20:23], 0 offset:612 ; 4-byte Folded Spill
	buffer_store_dword v67, off, s[20:23], 0 offset:616 ; 4-byte Folded Spill
	buffer_store_dword v68, off, s[20:23], 0 offset:620 ; 4-byte Folded Spill
	ds_read2_b64 v[99:102], v125 offset0:18 offset1:19
	buffer_load_dword v65, off, s[20:23], 0 offset:592 ; 4-byte Folded Reload
	buffer_load_dword v66, off, s[20:23], 0 offset:596 ; 4-byte Folded Reload
	buffer_load_dword v67, off, s[20:23], 0 offset:600 ; 4-byte Folded Reload
	buffer_load_dword v68, off, s[20:23], 0 offset:604 ; 4-byte Folded Reload
	s_waitcnt lgkmcnt(0)
	v_mul_f64 v[103:104], v[101:102], v[105:106]
	v_fma_f64 v[103:104], v[99:100], v[97:98], -v[103:104]
	v_mul_f64 v[99:100], v[99:100], v[105:106]
	v_fma_f64 v[99:100], v[101:102], v[97:98], v[99:100]
	s_waitcnt vmcnt(2)
	v_add_f64 v[65:66], v[65:66], -v[103:104]
	s_waitcnt vmcnt(0)
	v_add_f64 v[67:68], v[67:68], -v[99:100]
	buffer_store_dword v65, off, s[20:23], 0 offset:592 ; 4-byte Folded Spill
	s_nop 0
	buffer_store_dword v66, off, s[20:23], 0 offset:596 ; 4-byte Folded Spill
	buffer_store_dword v67, off, s[20:23], 0 offset:600 ; 4-byte Folded Spill
	buffer_store_dword v68, off, s[20:23], 0 offset:604 ; 4-byte Folded Spill
	ds_read2_b64 v[99:102], v125 offset0:20 offset1:21
	buffer_load_dword v65, off, s[20:23], 0 offset:576 ; 4-byte Folded Reload
	buffer_load_dword v66, off, s[20:23], 0 offset:580 ; 4-byte Folded Reload
	buffer_load_dword v67, off, s[20:23], 0 offset:584 ; 4-byte Folded Reload
	buffer_load_dword v68, off, s[20:23], 0 offset:588 ; 4-byte Folded Reload
	s_waitcnt lgkmcnt(0)
	v_mul_f64 v[103:104], v[101:102], v[105:106]
	v_fma_f64 v[103:104], v[99:100], v[97:98], -v[103:104]
	v_mul_f64 v[99:100], v[99:100], v[105:106]
	v_fma_f64 v[99:100], v[101:102], v[97:98], v[99:100]
	s_waitcnt vmcnt(2)
	v_add_f64 v[65:66], v[65:66], -v[103:104]
	s_waitcnt vmcnt(0)
	v_add_f64 v[67:68], v[67:68], -v[99:100]
	buffer_store_dword v65, off, s[20:23], 0 offset:576 ; 4-byte Folded Spill
	s_nop 0
	buffer_store_dword v66, off, s[20:23], 0 offset:580 ; 4-byte Folded Spill
	buffer_store_dword v67, off, s[20:23], 0 offset:584 ; 4-byte Folded Spill
	buffer_store_dword v68, off, s[20:23], 0 offset:588 ; 4-byte Folded Spill
	ds_read2_b64 v[99:102], v125 offset0:22 offset1:23
	buffer_load_dword v65, off, s[20:23], 0 offset:560 ; 4-byte Folded Reload
	buffer_load_dword v66, off, s[20:23], 0 offset:564 ; 4-byte Folded Reload
	buffer_load_dword v67, off, s[20:23], 0 offset:568 ; 4-byte Folded Reload
	buffer_load_dword v68, off, s[20:23], 0 offset:572 ; 4-byte Folded Reload
	s_waitcnt lgkmcnt(0)
	v_mul_f64 v[103:104], v[101:102], v[105:106]
	v_fma_f64 v[103:104], v[99:100], v[97:98], -v[103:104]
	v_mul_f64 v[99:100], v[99:100], v[105:106]
	v_fma_f64 v[99:100], v[101:102], v[97:98], v[99:100]
	s_waitcnt vmcnt(2)
	v_add_f64 v[65:66], v[65:66], -v[103:104]
	s_waitcnt vmcnt(0)
	v_add_f64 v[67:68], v[67:68], -v[99:100]
	buffer_store_dword v65, off, s[20:23], 0 offset:560 ; 4-byte Folded Spill
	s_nop 0
	buffer_store_dword v66, off, s[20:23], 0 offset:564 ; 4-byte Folded Spill
	buffer_store_dword v67, off, s[20:23], 0 offset:568 ; 4-byte Folded Spill
	buffer_store_dword v68, off, s[20:23], 0 offset:572 ; 4-byte Folded Spill
	ds_read2_b64 v[99:102], v125 offset0:24 offset1:25
	buffer_load_dword v65, off, s[20:23], 0 offset:544 ; 4-byte Folded Reload
	buffer_load_dword v66, off, s[20:23], 0 offset:548 ; 4-byte Folded Reload
	buffer_load_dword v67, off, s[20:23], 0 offset:552 ; 4-byte Folded Reload
	buffer_load_dword v68, off, s[20:23], 0 offset:556 ; 4-byte Folded Reload
	s_waitcnt lgkmcnt(0)
	v_mul_f64 v[103:104], v[101:102], v[105:106]
	v_fma_f64 v[103:104], v[99:100], v[97:98], -v[103:104]
	v_mul_f64 v[99:100], v[99:100], v[105:106]
	v_fma_f64 v[99:100], v[101:102], v[97:98], v[99:100]
	s_waitcnt vmcnt(2)
	v_add_f64 v[65:66], v[65:66], -v[103:104]
	s_waitcnt vmcnt(0)
	v_add_f64 v[67:68], v[67:68], -v[99:100]
	buffer_store_dword v65, off, s[20:23], 0 offset:544 ; 4-byte Folded Spill
	s_nop 0
	buffer_store_dword v66, off, s[20:23], 0 offset:548 ; 4-byte Folded Spill
	buffer_store_dword v67, off, s[20:23], 0 offset:552 ; 4-byte Folded Spill
	buffer_store_dword v68, off, s[20:23], 0 offset:556 ; 4-byte Folded Spill
	ds_read2_b64 v[99:102], v125 offset0:26 offset1:27
	buffer_load_dword v65, off, s[20:23], 0 offset:528 ; 4-byte Folded Reload
	buffer_load_dword v66, off, s[20:23], 0 offset:532 ; 4-byte Folded Reload
	buffer_load_dword v67, off, s[20:23], 0 offset:536 ; 4-byte Folded Reload
	buffer_load_dword v68, off, s[20:23], 0 offset:540 ; 4-byte Folded Reload
	s_waitcnt lgkmcnt(0)
	v_mul_f64 v[103:104], v[101:102], v[105:106]
	v_fma_f64 v[103:104], v[99:100], v[97:98], -v[103:104]
	v_mul_f64 v[99:100], v[99:100], v[105:106]
	v_fma_f64 v[99:100], v[101:102], v[97:98], v[99:100]
	s_waitcnt vmcnt(2)
	v_add_f64 v[65:66], v[65:66], -v[103:104]
	s_waitcnt vmcnt(0)
	v_add_f64 v[67:68], v[67:68], -v[99:100]
	buffer_store_dword v65, off, s[20:23], 0 offset:528 ; 4-byte Folded Spill
	s_nop 0
	buffer_store_dword v66, off, s[20:23], 0 offset:532 ; 4-byte Folded Spill
	buffer_store_dword v67, off, s[20:23], 0 offset:536 ; 4-byte Folded Spill
	buffer_store_dword v68, off, s[20:23], 0 offset:540 ; 4-byte Folded Spill
	ds_read2_b64 v[99:102], v125 offset0:28 offset1:29
	buffer_load_dword v65, off, s[20:23], 0 offset:512 ; 4-byte Folded Reload
	buffer_load_dword v66, off, s[20:23], 0 offset:516 ; 4-byte Folded Reload
	buffer_load_dword v67, off, s[20:23], 0 offset:520 ; 4-byte Folded Reload
	buffer_load_dword v68, off, s[20:23], 0 offset:524 ; 4-byte Folded Reload
	s_waitcnt lgkmcnt(0)
	v_mul_f64 v[103:104], v[101:102], v[105:106]
	v_fma_f64 v[103:104], v[99:100], v[97:98], -v[103:104]
	v_mul_f64 v[99:100], v[99:100], v[105:106]
	v_fma_f64 v[99:100], v[101:102], v[97:98], v[99:100]
	s_waitcnt vmcnt(2)
	v_add_f64 v[65:66], v[65:66], -v[103:104]
	s_waitcnt vmcnt(0)
	v_add_f64 v[67:68], v[67:68], -v[99:100]
	buffer_store_dword v65, off, s[20:23], 0 offset:512 ; 4-byte Folded Spill
	s_nop 0
	buffer_store_dword v66, off, s[20:23], 0 offset:516 ; 4-byte Folded Spill
	buffer_store_dword v67, off, s[20:23], 0 offset:520 ; 4-byte Folded Spill
	buffer_store_dword v68, off, s[20:23], 0 offset:524 ; 4-byte Folded Spill
	ds_read2_b64 v[99:102], v125 offset0:30 offset1:31
	buffer_load_dword v65, off, s[20:23], 0 offset:496 ; 4-byte Folded Reload
	buffer_load_dword v66, off, s[20:23], 0 offset:500 ; 4-byte Folded Reload
	buffer_load_dword v67, off, s[20:23], 0 offset:504 ; 4-byte Folded Reload
	buffer_load_dword v68, off, s[20:23], 0 offset:508 ; 4-byte Folded Reload
	s_waitcnt lgkmcnt(0)
	v_mul_f64 v[103:104], v[101:102], v[105:106]
	v_fma_f64 v[103:104], v[99:100], v[97:98], -v[103:104]
	v_mul_f64 v[99:100], v[99:100], v[105:106]
	v_fma_f64 v[99:100], v[101:102], v[97:98], v[99:100]
	s_waitcnt vmcnt(2)
	v_add_f64 v[65:66], v[65:66], -v[103:104]
	s_waitcnt vmcnt(0)
	v_add_f64 v[67:68], v[67:68], -v[99:100]
	buffer_store_dword v65, off, s[20:23], 0 offset:496 ; 4-byte Folded Spill
	s_nop 0
	buffer_store_dword v66, off, s[20:23], 0 offset:500 ; 4-byte Folded Spill
	buffer_store_dword v67, off, s[20:23], 0 offset:504 ; 4-byte Folded Spill
	buffer_store_dword v68, off, s[20:23], 0 offset:508 ; 4-byte Folded Spill
	ds_read2_b64 v[99:102], v125 offset0:32 offset1:33
	buffer_load_dword v65, off, s[20:23], 0 offset:480 ; 4-byte Folded Reload
	buffer_load_dword v66, off, s[20:23], 0 offset:484 ; 4-byte Folded Reload
	buffer_load_dword v67, off, s[20:23], 0 offset:488 ; 4-byte Folded Reload
	buffer_load_dword v68, off, s[20:23], 0 offset:492 ; 4-byte Folded Reload
	s_waitcnt lgkmcnt(0)
	v_mul_f64 v[103:104], v[101:102], v[105:106]
	v_fma_f64 v[103:104], v[99:100], v[97:98], -v[103:104]
	v_mul_f64 v[99:100], v[99:100], v[105:106]
	v_fma_f64 v[99:100], v[101:102], v[97:98], v[99:100]
	s_waitcnt vmcnt(2)
	v_add_f64 v[65:66], v[65:66], -v[103:104]
	s_waitcnt vmcnt(0)
	v_add_f64 v[67:68], v[67:68], -v[99:100]
	buffer_store_dword v65, off, s[20:23], 0 offset:480 ; 4-byte Folded Spill
	s_nop 0
	buffer_store_dword v66, off, s[20:23], 0 offset:484 ; 4-byte Folded Spill
	buffer_store_dword v67, off, s[20:23], 0 offset:488 ; 4-byte Folded Spill
	buffer_store_dword v68, off, s[20:23], 0 offset:492 ; 4-byte Folded Spill
	ds_read2_b64 v[99:102], v125 offset0:34 offset1:35
	buffer_load_dword v65, off, s[20:23], 0 offset:464 ; 4-byte Folded Reload
	buffer_load_dword v66, off, s[20:23], 0 offset:468 ; 4-byte Folded Reload
	buffer_load_dword v67, off, s[20:23], 0 offset:472 ; 4-byte Folded Reload
	buffer_load_dword v68, off, s[20:23], 0 offset:476 ; 4-byte Folded Reload
	s_waitcnt lgkmcnt(0)
	v_mul_f64 v[103:104], v[101:102], v[105:106]
	v_fma_f64 v[103:104], v[99:100], v[97:98], -v[103:104]
	v_mul_f64 v[99:100], v[99:100], v[105:106]
	v_fma_f64 v[99:100], v[101:102], v[97:98], v[99:100]
	s_waitcnt vmcnt(2)
	v_add_f64 v[65:66], v[65:66], -v[103:104]
	s_waitcnt vmcnt(0)
	v_add_f64 v[67:68], v[67:68], -v[99:100]
	buffer_store_dword v65, off, s[20:23], 0 offset:464 ; 4-byte Folded Spill
	s_nop 0
	buffer_store_dword v66, off, s[20:23], 0 offset:468 ; 4-byte Folded Spill
	buffer_store_dword v67, off, s[20:23], 0 offset:472 ; 4-byte Folded Spill
	buffer_store_dword v68, off, s[20:23], 0 offset:476 ; 4-byte Folded Spill
	ds_read2_b64 v[99:102], v125 offset0:36 offset1:37
	buffer_load_dword v65, off, s[20:23], 0 offset:448 ; 4-byte Folded Reload
	buffer_load_dword v66, off, s[20:23], 0 offset:452 ; 4-byte Folded Reload
	buffer_load_dword v67, off, s[20:23], 0 offset:456 ; 4-byte Folded Reload
	buffer_load_dword v68, off, s[20:23], 0 offset:460 ; 4-byte Folded Reload
	s_waitcnt lgkmcnt(0)
	v_mul_f64 v[103:104], v[101:102], v[105:106]
	v_fma_f64 v[103:104], v[99:100], v[97:98], -v[103:104]
	v_mul_f64 v[99:100], v[99:100], v[105:106]
	v_fma_f64 v[99:100], v[101:102], v[97:98], v[99:100]
	s_waitcnt vmcnt(2)
	v_add_f64 v[65:66], v[65:66], -v[103:104]
	s_waitcnt vmcnt(0)
	v_add_f64 v[67:68], v[67:68], -v[99:100]
	buffer_store_dword v65, off, s[20:23], 0 offset:448 ; 4-byte Folded Spill
	s_nop 0
	buffer_store_dword v66, off, s[20:23], 0 offset:452 ; 4-byte Folded Spill
	buffer_store_dword v67, off, s[20:23], 0 offset:456 ; 4-byte Folded Spill
	buffer_store_dword v68, off, s[20:23], 0 offset:460 ; 4-byte Folded Spill
	ds_read2_b64 v[99:102], v125 offset0:38 offset1:39
	buffer_load_dword v65, off, s[20:23], 0 offset:432 ; 4-byte Folded Reload
	buffer_load_dword v66, off, s[20:23], 0 offset:436 ; 4-byte Folded Reload
	buffer_load_dword v67, off, s[20:23], 0 offset:440 ; 4-byte Folded Reload
	buffer_load_dword v68, off, s[20:23], 0 offset:444 ; 4-byte Folded Reload
	s_waitcnt lgkmcnt(0)
	v_mul_f64 v[103:104], v[101:102], v[105:106]
	v_fma_f64 v[103:104], v[99:100], v[97:98], -v[103:104]
	v_mul_f64 v[99:100], v[99:100], v[105:106]
	v_fma_f64 v[99:100], v[101:102], v[97:98], v[99:100]
	s_waitcnt vmcnt(2)
	v_add_f64 v[65:66], v[65:66], -v[103:104]
	s_waitcnt vmcnt(0)
	v_add_f64 v[67:68], v[67:68], -v[99:100]
	buffer_store_dword v65, off, s[20:23], 0 offset:432 ; 4-byte Folded Spill
	s_nop 0
	buffer_store_dword v66, off, s[20:23], 0 offset:436 ; 4-byte Folded Spill
	buffer_store_dword v67, off, s[20:23], 0 offset:440 ; 4-byte Folded Spill
	buffer_store_dword v68, off, s[20:23], 0 offset:444 ; 4-byte Folded Spill
	ds_read2_b64 v[99:102], v125 offset0:40 offset1:41
	buffer_load_dword v65, off, s[20:23], 0 offset:416 ; 4-byte Folded Reload
	buffer_load_dword v66, off, s[20:23], 0 offset:420 ; 4-byte Folded Reload
	buffer_load_dword v67, off, s[20:23], 0 offset:424 ; 4-byte Folded Reload
	buffer_load_dword v68, off, s[20:23], 0 offset:428 ; 4-byte Folded Reload
	s_waitcnt lgkmcnt(0)
	v_mul_f64 v[103:104], v[101:102], v[105:106]
	v_fma_f64 v[103:104], v[99:100], v[97:98], -v[103:104]
	v_mul_f64 v[99:100], v[99:100], v[105:106]
	v_fma_f64 v[99:100], v[101:102], v[97:98], v[99:100]
	s_waitcnt vmcnt(2)
	v_add_f64 v[65:66], v[65:66], -v[103:104]
	s_waitcnt vmcnt(0)
	v_add_f64 v[67:68], v[67:68], -v[99:100]
	buffer_store_dword v65, off, s[20:23], 0 offset:416 ; 4-byte Folded Spill
	s_nop 0
	buffer_store_dword v66, off, s[20:23], 0 offset:420 ; 4-byte Folded Spill
	buffer_store_dword v67, off, s[20:23], 0 offset:424 ; 4-byte Folded Spill
	buffer_store_dword v68, off, s[20:23], 0 offset:428 ; 4-byte Folded Spill
	ds_read2_b64 v[99:102], v125 offset0:42 offset1:43
	buffer_load_dword v65, off, s[20:23], 0 offset:400 ; 4-byte Folded Reload
	buffer_load_dword v66, off, s[20:23], 0 offset:404 ; 4-byte Folded Reload
	buffer_load_dword v67, off, s[20:23], 0 offset:408 ; 4-byte Folded Reload
	buffer_load_dword v68, off, s[20:23], 0 offset:412 ; 4-byte Folded Reload
	s_waitcnt lgkmcnt(0)
	v_mul_f64 v[103:104], v[101:102], v[105:106]
	v_fma_f64 v[103:104], v[99:100], v[97:98], -v[103:104]
	v_mul_f64 v[99:100], v[99:100], v[105:106]
	v_fma_f64 v[99:100], v[101:102], v[97:98], v[99:100]
	s_waitcnt vmcnt(2)
	v_add_f64 v[65:66], v[65:66], -v[103:104]
	s_waitcnt vmcnt(0)
	v_add_f64 v[67:68], v[67:68], -v[99:100]
	buffer_store_dword v65, off, s[20:23], 0 offset:400 ; 4-byte Folded Spill
	s_nop 0
	buffer_store_dword v66, off, s[20:23], 0 offset:404 ; 4-byte Folded Spill
	buffer_store_dword v67, off, s[20:23], 0 offset:408 ; 4-byte Folded Spill
	buffer_store_dword v68, off, s[20:23], 0 offset:412 ; 4-byte Folded Spill
	ds_read2_b64 v[99:102], v125 offset0:44 offset1:45
	buffer_load_dword v65, off, s[20:23], 0 offset:384 ; 4-byte Folded Reload
	buffer_load_dword v66, off, s[20:23], 0 offset:388 ; 4-byte Folded Reload
	buffer_load_dword v67, off, s[20:23], 0 offset:392 ; 4-byte Folded Reload
	buffer_load_dword v68, off, s[20:23], 0 offset:396 ; 4-byte Folded Reload
	s_waitcnt lgkmcnt(0)
	v_mul_f64 v[103:104], v[101:102], v[105:106]
	v_fma_f64 v[103:104], v[99:100], v[97:98], -v[103:104]
	v_mul_f64 v[99:100], v[99:100], v[105:106]
	v_fma_f64 v[99:100], v[101:102], v[97:98], v[99:100]
	s_waitcnt vmcnt(2)
	v_add_f64 v[65:66], v[65:66], -v[103:104]
	s_waitcnt vmcnt(0)
	v_add_f64 v[67:68], v[67:68], -v[99:100]
	buffer_store_dword v65, off, s[20:23], 0 offset:384 ; 4-byte Folded Spill
	s_nop 0
	buffer_store_dword v66, off, s[20:23], 0 offset:388 ; 4-byte Folded Spill
	buffer_store_dword v67, off, s[20:23], 0 offset:392 ; 4-byte Folded Spill
	buffer_store_dword v68, off, s[20:23], 0 offset:396 ; 4-byte Folded Spill
	ds_read2_b64 v[99:102], v125 offset0:46 offset1:47
	buffer_load_dword v65, off, s[20:23], 0 offset:368 ; 4-byte Folded Reload
	buffer_load_dword v66, off, s[20:23], 0 offset:372 ; 4-byte Folded Reload
	buffer_load_dword v67, off, s[20:23], 0 offset:376 ; 4-byte Folded Reload
	buffer_load_dword v68, off, s[20:23], 0 offset:380 ; 4-byte Folded Reload
	s_waitcnt lgkmcnt(0)
	v_mul_f64 v[103:104], v[101:102], v[105:106]
	v_fma_f64 v[103:104], v[99:100], v[97:98], -v[103:104]
	v_mul_f64 v[99:100], v[99:100], v[105:106]
	v_fma_f64 v[99:100], v[101:102], v[97:98], v[99:100]
	s_waitcnt vmcnt(2)
	v_add_f64 v[65:66], v[65:66], -v[103:104]
	s_waitcnt vmcnt(0)
	v_add_f64 v[67:68], v[67:68], -v[99:100]
	buffer_store_dword v65, off, s[20:23], 0 offset:368 ; 4-byte Folded Spill
	s_nop 0
	buffer_store_dword v66, off, s[20:23], 0 offset:372 ; 4-byte Folded Spill
	buffer_store_dword v67, off, s[20:23], 0 offset:376 ; 4-byte Folded Spill
	buffer_store_dword v68, off, s[20:23], 0 offset:380 ; 4-byte Folded Spill
	ds_read2_b64 v[99:102], v125 offset0:48 offset1:49
	buffer_load_dword v65, off, s[20:23], 0 offset:352 ; 4-byte Folded Reload
	buffer_load_dword v66, off, s[20:23], 0 offset:356 ; 4-byte Folded Reload
	buffer_load_dword v67, off, s[20:23], 0 offset:360 ; 4-byte Folded Reload
	buffer_load_dword v68, off, s[20:23], 0 offset:364 ; 4-byte Folded Reload
	s_waitcnt lgkmcnt(0)
	v_mul_f64 v[103:104], v[101:102], v[105:106]
	v_fma_f64 v[103:104], v[99:100], v[97:98], -v[103:104]
	v_mul_f64 v[99:100], v[99:100], v[105:106]
	v_fma_f64 v[99:100], v[101:102], v[97:98], v[99:100]
	s_waitcnt vmcnt(2)
	v_add_f64 v[65:66], v[65:66], -v[103:104]
	s_waitcnt vmcnt(0)
	v_add_f64 v[67:68], v[67:68], -v[99:100]
	buffer_store_dword v65, off, s[20:23], 0 offset:352 ; 4-byte Folded Spill
	s_nop 0
	buffer_store_dword v66, off, s[20:23], 0 offset:356 ; 4-byte Folded Spill
	buffer_store_dword v67, off, s[20:23], 0 offset:360 ; 4-byte Folded Spill
	buffer_store_dword v68, off, s[20:23], 0 offset:364 ; 4-byte Folded Spill
	ds_read2_b64 v[99:102], v125 offset0:50 offset1:51
	buffer_load_dword v65, off, s[20:23], 0 offset:336 ; 4-byte Folded Reload
	buffer_load_dword v66, off, s[20:23], 0 offset:340 ; 4-byte Folded Reload
	buffer_load_dword v67, off, s[20:23], 0 offset:344 ; 4-byte Folded Reload
	buffer_load_dword v68, off, s[20:23], 0 offset:348 ; 4-byte Folded Reload
	s_waitcnt lgkmcnt(0)
	v_mul_f64 v[103:104], v[101:102], v[105:106]
	v_fma_f64 v[103:104], v[99:100], v[97:98], -v[103:104]
	v_mul_f64 v[99:100], v[99:100], v[105:106]
	v_fma_f64 v[99:100], v[101:102], v[97:98], v[99:100]
	s_waitcnt vmcnt(2)
	v_add_f64 v[65:66], v[65:66], -v[103:104]
	s_waitcnt vmcnt(0)
	v_add_f64 v[67:68], v[67:68], -v[99:100]
	buffer_store_dword v65, off, s[20:23], 0 offset:336 ; 4-byte Folded Spill
	s_nop 0
	buffer_store_dword v66, off, s[20:23], 0 offset:340 ; 4-byte Folded Spill
	buffer_store_dword v67, off, s[20:23], 0 offset:344 ; 4-byte Folded Spill
	buffer_store_dword v68, off, s[20:23], 0 offset:348 ; 4-byte Folded Spill
	ds_read2_b64 v[99:102], v125 offset0:52 offset1:53
	buffer_load_dword v65, off, s[20:23], 0 offset:320 ; 4-byte Folded Reload
	buffer_load_dword v66, off, s[20:23], 0 offset:324 ; 4-byte Folded Reload
	buffer_load_dword v67, off, s[20:23], 0 offset:328 ; 4-byte Folded Reload
	buffer_load_dword v68, off, s[20:23], 0 offset:332 ; 4-byte Folded Reload
	s_waitcnt lgkmcnt(0)
	v_mul_f64 v[103:104], v[101:102], v[105:106]
	v_fma_f64 v[103:104], v[99:100], v[97:98], -v[103:104]
	v_mul_f64 v[99:100], v[99:100], v[105:106]
	v_fma_f64 v[99:100], v[101:102], v[97:98], v[99:100]
	s_waitcnt vmcnt(2)
	v_add_f64 v[65:66], v[65:66], -v[103:104]
	s_waitcnt vmcnt(0)
	v_add_f64 v[67:68], v[67:68], -v[99:100]
	buffer_store_dword v65, off, s[20:23], 0 offset:320 ; 4-byte Folded Spill
	s_nop 0
	buffer_store_dword v66, off, s[20:23], 0 offset:324 ; 4-byte Folded Spill
	buffer_store_dword v67, off, s[20:23], 0 offset:328 ; 4-byte Folded Spill
	buffer_store_dword v68, off, s[20:23], 0 offset:332 ; 4-byte Folded Spill
	ds_read2_b64 v[99:102], v125 offset0:54 offset1:55
	buffer_load_dword v65, off, s[20:23], 0 offset:304 ; 4-byte Folded Reload
	buffer_load_dword v66, off, s[20:23], 0 offset:308 ; 4-byte Folded Reload
	buffer_load_dword v67, off, s[20:23], 0 offset:312 ; 4-byte Folded Reload
	buffer_load_dword v68, off, s[20:23], 0 offset:316 ; 4-byte Folded Reload
	s_waitcnt lgkmcnt(0)
	v_mul_f64 v[103:104], v[101:102], v[105:106]
	v_fma_f64 v[103:104], v[99:100], v[97:98], -v[103:104]
	v_mul_f64 v[99:100], v[99:100], v[105:106]
	v_fma_f64 v[99:100], v[101:102], v[97:98], v[99:100]
	s_waitcnt vmcnt(2)
	v_add_f64 v[65:66], v[65:66], -v[103:104]
	s_waitcnt vmcnt(0)
	v_add_f64 v[67:68], v[67:68], -v[99:100]
	buffer_store_dword v65, off, s[20:23], 0 offset:304 ; 4-byte Folded Spill
	s_nop 0
	buffer_store_dword v66, off, s[20:23], 0 offset:308 ; 4-byte Folded Spill
	buffer_store_dword v67, off, s[20:23], 0 offset:312 ; 4-byte Folded Spill
	buffer_store_dword v68, off, s[20:23], 0 offset:316 ; 4-byte Folded Spill
	ds_read2_b64 v[99:102], v125 offset0:56 offset1:57
	buffer_load_dword v65, off, s[20:23], 0 offset:288 ; 4-byte Folded Reload
	buffer_load_dword v66, off, s[20:23], 0 offset:292 ; 4-byte Folded Reload
	buffer_load_dword v67, off, s[20:23], 0 offset:296 ; 4-byte Folded Reload
	buffer_load_dword v68, off, s[20:23], 0 offset:300 ; 4-byte Folded Reload
	s_waitcnt lgkmcnt(0)
	v_mul_f64 v[103:104], v[101:102], v[105:106]
	v_fma_f64 v[103:104], v[99:100], v[97:98], -v[103:104]
	v_mul_f64 v[99:100], v[99:100], v[105:106]
	v_fma_f64 v[99:100], v[101:102], v[97:98], v[99:100]
	s_waitcnt vmcnt(2)
	v_add_f64 v[65:66], v[65:66], -v[103:104]
	s_waitcnt vmcnt(0)
	v_add_f64 v[67:68], v[67:68], -v[99:100]
	buffer_store_dword v65, off, s[20:23], 0 offset:288 ; 4-byte Folded Spill
	s_nop 0
	buffer_store_dword v66, off, s[20:23], 0 offset:292 ; 4-byte Folded Spill
	buffer_store_dword v67, off, s[20:23], 0 offset:296 ; 4-byte Folded Spill
	buffer_store_dword v68, off, s[20:23], 0 offset:300 ; 4-byte Folded Spill
	ds_read2_b64 v[99:102], v125 offset0:58 offset1:59
	buffer_load_dword v65, off, s[20:23], 0 offset:272 ; 4-byte Folded Reload
	buffer_load_dword v66, off, s[20:23], 0 offset:276 ; 4-byte Folded Reload
	buffer_load_dword v67, off, s[20:23], 0 offset:280 ; 4-byte Folded Reload
	buffer_load_dword v68, off, s[20:23], 0 offset:284 ; 4-byte Folded Reload
	s_waitcnt lgkmcnt(0)
	v_mul_f64 v[103:104], v[101:102], v[105:106]
	v_fma_f64 v[103:104], v[99:100], v[97:98], -v[103:104]
	v_mul_f64 v[99:100], v[99:100], v[105:106]
	v_fma_f64 v[99:100], v[101:102], v[97:98], v[99:100]
	s_waitcnt vmcnt(2)
	v_add_f64 v[65:66], v[65:66], -v[103:104]
	s_waitcnt vmcnt(0)
	v_add_f64 v[67:68], v[67:68], -v[99:100]
	buffer_store_dword v65, off, s[20:23], 0 offset:272 ; 4-byte Folded Spill
	s_nop 0
	buffer_store_dword v66, off, s[20:23], 0 offset:276 ; 4-byte Folded Spill
	buffer_store_dword v67, off, s[20:23], 0 offset:280 ; 4-byte Folded Spill
	buffer_store_dword v68, off, s[20:23], 0 offset:284 ; 4-byte Folded Spill
	ds_read2_b64 v[99:102], v125 offset0:60 offset1:61
	buffer_load_dword v65, off, s[20:23], 0 offset:256 ; 4-byte Folded Reload
	buffer_load_dword v66, off, s[20:23], 0 offset:260 ; 4-byte Folded Reload
	buffer_load_dword v67, off, s[20:23], 0 offset:264 ; 4-byte Folded Reload
	buffer_load_dword v68, off, s[20:23], 0 offset:268 ; 4-byte Folded Reload
	s_waitcnt lgkmcnt(0)
	v_mul_f64 v[103:104], v[101:102], v[105:106]
	v_fma_f64 v[103:104], v[99:100], v[97:98], -v[103:104]
	v_mul_f64 v[99:100], v[99:100], v[105:106]
	v_fma_f64 v[99:100], v[101:102], v[97:98], v[99:100]
	s_waitcnt vmcnt(2)
	v_add_f64 v[65:66], v[65:66], -v[103:104]
	s_waitcnt vmcnt(0)
	v_add_f64 v[67:68], v[67:68], -v[99:100]
	buffer_store_dword v65, off, s[20:23], 0 offset:256 ; 4-byte Folded Spill
	s_nop 0
	buffer_store_dword v66, off, s[20:23], 0 offset:260 ; 4-byte Folded Spill
	buffer_store_dword v67, off, s[20:23], 0 offset:264 ; 4-byte Folded Spill
	buffer_store_dword v68, off, s[20:23], 0 offset:268 ; 4-byte Folded Spill
	ds_read2_b64 v[99:102], v125 offset0:62 offset1:63
	buffer_load_dword v65, off, s[20:23], 0 offset:240 ; 4-byte Folded Reload
	buffer_load_dword v66, off, s[20:23], 0 offset:244 ; 4-byte Folded Reload
	buffer_load_dword v67, off, s[20:23], 0 offset:248 ; 4-byte Folded Reload
	buffer_load_dword v68, off, s[20:23], 0 offset:252 ; 4-byte Folded Reload
	s_waitcnt lgkmcnt(0)
	v_mul_f64 v[103:104], v[101:102], v[105:106]
	v_fma_f64 v[103:104], v[99:100], v[97:98], -v[103:104]
	v_mul_f64 v[99:100], v[99:100], v[105:106]
	v_fma_f64 v[99:100], v[101:102], v[97:98], v[99:100]
	s_waitcnt vmcnt(2)
	v_add_f64 v[65:66], v[65:66], -v[103:104]
	s_waitcnt vmcnt(0)
	v_add_f64 v[67:68], v[67:68], -v[99:100]
	buffer_store_dword v65, off, s[20:23], 0 offset:240 ; 4-byte Folded Spill
	s_nop 0
	buffer_store_dword v66, off, s[20:23], 0 offset:244 ; 4-byte Folded Spill
	buffer_store_dword v67, off, s[20:23], 0 offset:248 ; 4-byte Folded Spill
	buffer_store_dword v68, off, s[20:23], 0 offset:252 ; 4-byte Folded Spill
	ds_read2_b64 v[99:102], v125 offset0:64 offset1:65
	buffer_load_dword v65, off, s[20:23], 0 offset:224 ; 4-byte Folded Reload
	buffer_load_dword v66, off, s[20:23], 0 offset:228 ; 4-byte Folded Reload
	buffer_load_dword v67, off, s[20:23], 0 offset:232 ; 4-byte Folded Reload
	buffer_load_dword v68, off, s[20:23], 0 offset:236 ; 4-byte Folded Reload
	s_waitcnt lgkmcnt(0)
	v_mul_f64 v[103:104], v[101:102], v[105:106]
	v_fma_f64 v[103:104], v[99:100], v[97:98], -v[103:104]
	v_mul_f64 v[99:100], v[99:100], v[105:106]
	v_fma_f64 v[99:100], v[101:102], v[97:98], v[99:100]
	s_waitcnt vmcnt(2)
	v_add_f64 v[65:66], v[65:66], -v[103:104]
	s_waitcnt vmcnt(0)
	v_add_f64 v[67:68], v[67:68], -v[99:100]
	buffer_store_dword v65, off, s[20:23], 0 offset:224 ; 4-byte Folded Spill
	s_nop 0
	buffer_store_dword v66, off, s[20:23], 0 offset:228 ; 4-byte Folded Spill
	buffer_store_dword v67, off, s[20:23], 0 offset:232 ; 4-byte Folded Spill
	buffer_store_dword v68, off, s[20:23], 0 offset:236 ; 4-byte Folded Spill
	ds_read2_b64 v[99:102], v125 offset0:66 offset1:67
	buffer_load_dword v65, off, s[20:23], 0 offset:208 ; 4-byte Folded Reload
	buffer_load_dword v66, off, s[20:23], 0 offset:212 ; 4-byte Folded Reload
	buffer_load_dword v67, off, s[20:23], 0 offset:216 ; 4-byte Folded Reload
	buffer_load_dword v68, off, s[20:23], 0 offset:220 ; 4-byte Folded Reload
	s_waitcnt lgkmcnt(0)
	v_mul_f64 v[103:104], v[101:102], v[105:106]
	v_fma_f64 v[103:104], v[99:100], v[97:98], -v[103:104]
	v_mul_f64 v[99:100], v[99:100], v[105:106]
	v_fma_f64 v[99:100], v[101:102], v[97:98], v[99:100]
	s_waitcnt vmcnt(2)
	v_add_f64 v[65:66], v[65:66], -v[103:104]
	s_waitcnt vmcnt(0)
	v_add_f64 v[67:68], v[67:68], -v[99:100]
	buffer_store_dword v65, off, s[20:23], 0 offset:208 ; 4-byte Folded Spill
	s_nop 0
	buffer_store_dword v66, off, s[20:23], 0 offset:212 ; 4-byte Folded Spill
	buffer_store_dword v67, off, s[20:23], 0 offset:216 ; 4-byte Folded Spill
	buffer_store_dword v68, off, s[20:23], 0 offset:220 ; 4-byte Folded Spill
	ds_read2_b64 v[99:102], v125 offset0:68 offset1:69
	buffer_load_dword v65, off, s[20:23], 0 offset:192 ; 4-byte Folded Reload
	buffer_load_dword v66, off, s[20:23], 0 offset:196 ; 4-byte Folded Reload
	buffer_load_dword v67, off, s[20:23], 0 offset:200 ; 4-byte Folded Reload
	buffer_load_dword v68, off, s[20:23], 0 offset:204 ; 4-byte Folded Reload
	s_waitcnt lgkmcnt(0)
	v_mul_f64 v[103:104], v[101:102], v[105:106]
	v_fma_f64 v[103:104], v[99:100], v[97:98], -v[103:104]
	v_mul_f64 v[99:100], v[99:100], v[105:106]
	v_fma_f64 v[99:100], v[101:102], v[97:98], v[99:100]
	s_waitcnt vmcnt(2)
	v_add_f64 v[65:66], v[65:66], -v[103:104]
	s_waitcnt vmcnt(0)
	v_add_f64 v[67:68], v[67:68], -v[99:100]
	buffer_store_dword v65, off, s[20:23], 0 offset:192 ; 4-byte Folded Spill
	s_nop 0
	buffer_store_dword v66, off, s[20:23], 0 offset:196 ; 4-byte Folded Spill
	buffer_store_dword v67, off, s[20:23], 0 offset:200 ; 4-byte Folded Spill
	buffer_store_dword v68, off, s[20:23], 0 offset:204 ; 4-byte Folded Spill
	ds_read2_b64 v[99:102], v125 offset0:70 offset1:71
	s_waitcnt lgkmcnt(0)
	v_mul_f64 v[103:104], v[101:102], v[105:106]
	v_fma_f64 v[103:104], v[99:100], v[97:98], -v[103:104]
	v_mul_f64 v[99:100], v[99:100], v[105:106]
	v_add_f64 v[93:94], v[93:94], -v[103:104]
	v_fma_f64 v[99:100], v[101:102], v[97:98], v[99:100]
	v_add_f64 v[95:96], v[95:96], -v[99:100]
	ds_read2_b64 v[99:102], v125 offset0:72 offset1:73
	buffer_load_dword v41, off, s[20:23], 0 offset:176 ; 4-byte Folded Reload
	buffer_load_dword v42, off, s[20:23], 0 offset:180 ; 4-byte Folded Reload
	buffer_load_dword v43, off, s[20:23], 0 offset:184 ; 4-byte Folded Reload
	buffer_load_dword v44, off, s[20:23], 0 offset:188 ; 4-byte Folded Reload
	s_waitcnt lgkmcnt(0)
	v_mul_f64 v[103:104], v[101:102], v[105:106]
	v_fma_f64 v[103:104], v[99:100], v[97:98], -v[103:104]
	v_mul_f64 v[99:100], v[99:100], v[105:106]
	v_fma_f64 v[99:100], v[101:102], v[97:98], v[99:100]
	s_waitcnt vmcnt(2)
	v_add_f64 v[41:42], v[41:42], -v[103:104]
	s_waitcnt vmcnt(0)
	v_add_f64 v[43:44], v[43:44], -v[99:100]
	buffer_store_dword v41, off, s[20:23], 0 offset:176 ; 4-byte Folded Spill
	s_nop 0
	buffer_store_dword v42, off, s[20:23], 0 offset:180 ; 4-byte Folded Spill
	buffer_store_dword v43, off, s[20:23], 0 offset:184 ; 4-byte Folded Spill
	buffer_store_dword v44, off, s[20:23], 0 offset:188 ; 4-byte Folded Spill
	ds_read2_b64 v[99:102], v125 offset0:74 offset1:75
	buffer_load_dword v65, off, s[20:23], 0 offset:160 ; 4-byte Folded Reload
	buffer_load_dword v66, off, s[20:23], 0 offset:164 ; 4-byte Folded Reload
	buffer_load_dword v67, off, s[20:23], 0 offset:168 ; 4-byte Folded Reload
	buffer_load_dword v68, off, s[20:23], 0 offset:172 ; 4-byte Folded Reload
	s_waitcnt lgkmcnt(0)
	v_mul_f64 v[103:104], v[101:102], v[105:106]
	v_fma_f64 v[103:104], v[99:100], v[97:98], -v[103:104]
	v_mul_f64 v[99:100], v[99:100], v[105:106]
	v_fma_f64 v[99:100], v[101:102], v[97:98], v[99:100]
	s_waitcnt vmcnt(2)
	v_add_f64 v[65:66], v[65:66], -v[103:104]
	s_waitcnt vmcnt(0)
	v_add_f64 v[67:68], v[67:68], -v[99:100]
	buffer_store_dword v65, off, s[20:23], 0 offset:160 ; 4-byte Folded Spill
	s_nop 0
	buffer_store_dword v66, off, s[20:23], 0 offset:164 ; 4-byte Folded Spill
	buffer_store_dword v67, off, s[20:23], 0 offset:168 ; 4-byte Folded Spill
	buffer_store_dword v68, off, s[20:23], 0 offset:172 ; 4-byte Folded Spill
	;; [unrolled: 19-line block ×11, first 2 shown]
	ds_read2_b64 v[99:102], v125 offset0:94 offset1:95
	buffer_load_dword v45, off, s[20:23], 0 ; 4-byte Folded Reload
	buffer_load_dword v46, off, s[20:23], 0 offset:4 ; 4-byte Folded Reload
	buffer_load_dword v47, off, s[20:23], 0 offset:8 ; 4-byte Folded Reload
	;; [unrolled: 1-line block ×3, first 2 shown]
	s_waitcnt lgkmcnt(0)
	v_mul_f64 v[103:104], v[101:102], v[105:106]
	v_fma_f64 v[103:104], v[99:100], v[97:98], -v[103:104]
	v_mul_f64 v[99:100], v[99:100], v[105:106]
	v_fma_f64 v[99:100], v[101:102], v[97:98], v[99:100]
	s_waitcnt vmcnt(2)
	v_add_f64 v[45:46], v[45:46], -v[103:104]
	s_waitcnt vmcnt(0)
	v_add_f64 v[47:48], v[47:48], -v[99:100]
	buffer_store_dword v45, off, s[20:23], 0 ; 4-byte Folded Spill
	s_nop 0
	buffer_store_dword v46, off, s[20:23], 0 offset:4 ; 4-byte Folded Spill
	buffer_store_dword v47, off, s[20:23], 0 offset:8 ; 4-byte Folded Spill
	;; [unrolled: 1-line block ×3, first 2 shown]
	ds_read2_b64 v[99:102], v125 offset0:96 offset1:97
	s_waitcnt lgkmcnt(0)
	v_mul_f64 v[103:104], v[101:102], v[105:106]
	v_fma_f64 v[103:104], v[99:100], v[97:98], -v[103:104]
	v_mul_f64 v[99:100], v[99:100], v[105:106]
	v_add_f64 v[113:114], v[113:114], -v[103:104]
	v_fma_f64 v[99:100], v[101:102], v[97:98], v[99:100]
	v_add_f64 v[115:116], v[115:116], -v[99:100]
	ds_read2_b64 v[99:102], v125 offset0:98 offset1:99
	s_waitcnt lgkmcnt(0)
	v_mul_f64 v[103:104], v[101:102], v[105:106]
	v_fma_f64 v[103:104], v[99:100], v[97:98], -v[103:104]
	v_mul_f64 v[99:100], v[99:100], v[105:106]
	v_add_f64 v[37:38], v[37:38], -v[103:104]
	v_fma_f64 v[99:100], v[101:102], v[97:98], v[99:100]
	v_add_f64 v[39:40], v[39:40], -v[99:100]
	;; [unrolled: 8-line block ×10, first 2 shown]
	ds_read2_b64 v[99:102], v125 offset0:116 offset1:117
	s_waitcnt lgkmcnt(0)
	v_mul_f64 v[103:104], v[101:102], v[105:106]
	v_fma_f64 v[103:104], v[99:100], v[97:98], -v[103:104]
	v_mul_f64 v[99:100], v[99:100], v[105:106]
	v_add_f64 v[1:2], v[1:2], -v[103:104]
	v_fma_f64 v[99:100], v[101:102], v[97:98], v[99:100]
	ds_read2_b64 v[101:104], v125 offset0:118 offset1:119
	v_add_f64 v[3:4], v[3:4], -v[99:100]
	s_waitcnt lgkmcnt(0)
	v_mul_f64 v[99:100], v[103:104], v[105:106]
	v_fma_f64 v[99:100], v[101:102], v[97:98], -v[99:100]
	v_mul_f64 v[101:102], v[101:102], v[105:106]
	v_add_f64 v[121:122], v[121:122], -v[99:100]
	v_fma_f64 v[101:102], v[103:104], v[97:98], v[101:102]
	v_mov_b32_e32 v104, v98
	v_mov_b32_e32 v103, v97
	buffer_store_dword v103, off, s[20:23], 0 offset:672 ; 4-byte Folded Spill
	s_nop 0
	buffer_store_dword v104, off, s[20:23], 0 offset:676 ; 4-byte Folded Spill
	buffer_store_dword v105, off, s[20:23], 0 offset:680 ; 4-byte Folded Spill
	;; [unrolled: 1-line block ×3, first 2 shown]
	v_add_f64 v[123:124], v[123:124], -v[101:102]
.LBB119_46:
	s_or_b64 exec, exec, s[2:3]
	v_cmp_eq_u32_e32 vcc, 5, v0
	s_waitcnt vmcnt(0)
	s_barrier
	s_and_saveexec_b64 s[4:5], vcc
	s_cbranch_execz .LBB119_53
; %bb.47:
	buffer_load_dword v65, off, s[20:23], 0 offset:656 ; 4-byte Folded Reload
	buffer_load_dword v66, off, s[20:23], 0 offset:660 ; 4-byte Folded Reload
	;; [unrolled: 1-line block ×4, first 2 shown]
	s_waitcnt vmcnt(0)
	ds_write2_b64 v127, v[65:66], v[67:68] offset1:1
	buffer_load_dword v65, off, s[20:23], 0 offset:640 ; 4-byte Folded Reload
	buffer_load_dword v66, off, s[20:23], 0 offset:644 ; 4-byte Folded Reload
	buffer_load_dword v67, off, s[20:23], 0 offset:648 ; 4-byte Folded Reload
	buffer_load_dword v68, off, s[20:23], 0 offset:652 ; 4-byte Folded Reload
	s_waitcnt vmcnt(0)
	ds_write2_b64 v125, v[65:66], v[67:68] offset0:12 offset1:13
	buffer_load_dword v65, off, s[20:23], 0 offset:624 ; 4-byte Folded Reload
	buffer_load_dword v66, off, s[20:23], 0 offset:628 ; 4-byte Folded Reload
	buffer_load_dword v67, off, s[20:23], 0 offset:632 ; 4-byte Folded Reload
	buffer_load_dword v68, off, s[20:23], 0 offset:636 ; 4-byte Folded Reload
	s_waitcnt vmcnt(0)
	ds_write2_b64 v125, v[65:66], v[67:68] offset0:14 offset1:15
	;; [unrolled: 6-line block ×29, first 2 shown]
	ds_write2_b64 v125, v[93:94], v[95:96] offset0:70 offset1:71
	buffer_load_dword v41, off, s[20:23], 0 offset:176 ; 4-byte Folded Reload
	buffer_load_dword v42, off, s[20:23], 0 offset:180 ; 4-byte Folded Reload
	buffer_load_dword v43, off, s[20:23], 0 offset:184 ; 4-byte Folded Reload
	buffer_load_dword v44, off, s[20:23], 0 offset:188 ; 4-byte Folded Reload
	s_waitcnt vmcnt(0)
	ds_write2_b64 v125, v[41:42], v[43:44] offset0:72 offset1:73
	buffer_load_dword v65, off, s[20:23], 0 offset:160 ; 4-byte Folded Reload
	buffer_load_dword v66, off, s[20:23], 0 offset:164 ; 4-byte Folded Reload
	buffer_load_dword v67, off, s[20:23], 0 offset:168 ; 4-byte Folded Reload
	buffer_load_dword v68, off, s[20:23], 0 offset:172 ; 4-byte Folded Reload
	s_waitcnt vmcnt(0)
	;; [unrolled: 6-line block ×11, first 2 shown]
	ds_write2_b64 v125, v[49:50], v[51:52] offset0:92 offset1:93
	buffer_load_dword v45, off, s[20:23], 0 ; 4-byte Folded Reload
	buffer_load_dword v46, off, s[20:23], 0 offset:4 ; 4-byte Folded Reload
	buffer_load_dword v47, off, s[20:23], 0 offset:8 ; 4-byte Folded Reload
	;; [unrolled: 1-line block ×3, first 2 shown]
	s_waitcnt vmcnt(0)
	ds_write2_b64 v125, v[45:46], v[47:48] offset0:94 offset1:95
	ds_write2_b64 v125, v[113:114], v[115:116] offset0:96 offset1:97
	;; [unrolled: 1-line block ×13, first 2 shown]
	ds_read2_b64 v[97:100], v127 offset1:1
	s_waitcnt lgkmcnt(0)
	v_cmp_neq_f64_e32 vcc, 0, v[97:98]
	v_cmp_neq_f64_e64 s[2:3], 0, v[99:100]
	s_or_b64 s[2:3], vcc, s[2:3]
	s_and_b64 exec, exec, s[2:3]
	s_cbranch_execz .LBB119_53
; %bb.48:
	v_cmp_ngt_f64_e64 s[2:3], |v[97:98]|, |v[99:100]|
                                        ; implicit-def: $vgpr101_vgpr102
	s_and_saveexec_b64 s[6:7], s[2:3]
	s_xor_b64 s[2:3], exec, s[6:7]
                                        ; implicit-def: $vgpr103_vgpr104
	s_cbranch_execz .LBB119_50
; %bb.49:
	v_div_scale_f64 v[101:102], s[6:7], v[99:100], v[99:100], v[97:98]
	v_rcp_f64_e32 v[103:104], v[101:102]
	v_fma_f64 v[105:106], -v[101:102], v[103:104], 1.0
	v_fma_f64 v[103:104], v[103:104], v[105:106], v[103:104]
	v_div_scale_f64 v[105:106], vcc, v[97:98], v[99:100], v[97:98]
	v_fma_f64 v[107:108], -v[101:102], v[103:104], 1.0
	v_fma_f64 v[103:104], v[103:104], v[107:108], v[103:104]
	v_mul_f64 v[107:108], v[105:106], v[103:104]
	v_fma_f64 v[101:102], -v[101:102], v[107:108], v[105:106]
	v_div_fmas_f64 v[101:102], v[101:102], v[103:104], v[107:108]
	v_div_fixup_f64 v[101:102], v[101:102], v[99:100], v[97:98]
	v_fma_f64 v[97:98], v[97:98], v[101:102], v[99:100]
	v_div_scale_f64 v[99:100], s[6:7], v[97:98], v[97:98], 1.0
	v_div_scale_f64 v[107:108], vcc, 1.0, v[97:98], 1.0
	v_rcp_f64_e32 v[103:104], v[99:100]
	v_fma_f64 v[105:106], -v[99:100], v[103:104], 1.0
	v_fma_f64 v[103:104], v[103:104], v[105:106], v[103:104]
	v_fma_f64 v[105:106], -v[99:100], v[103:104], 1.0
	v_fma_f64 v[103:104], v[103:104], v[105:106], v[103:104]
	v_mul_f64 v[105:106], v[107:108], v[103:104]
	v_fma_f64 v[99:100], -v[99:100], v[105:106], v[107:108]
	v_div_fmas_f64 v[99:100], v[99:100], v[103:104], v[105:106]
	v_div_fixup_f64 v[103:104], v[99:100], v[97:98], 1.0
                                        ; implicit-def: $vgpr97_vgpr98
	v_mul_f64 v[101:102], v[101:102], v[103:104]
	v_xor_b32_e32 v104, 0x80000000, v104
.LBB119_50:
	s_andn2_saveexec_b64 s[2:3], s[2:3]
	s_cbranch_execz .LBB119_52
; %bb.51:
	v_div_scale_f64 v[101:102], s[6:7], v[97:98], v[97:98], v[99:100]
	v_rcp_f64_e32 v[103:104], v[101:102]
	v_fma_f64 v[105:106], -v[101:102], v[103:104], 1.0
	v_fma_f64 v[103:104], v[103:104], v[105:106], v[103:104]
	v_div_scale_f64 v[105:106], vcc, v[99:100], v[97:98], v[99:100]
	v_fma_f64 v[107:108], -v[101:102], v[103:104], 1.0
	v_fma_f64 v[103:104], v[103:104], v[107:108], v[103:104]
	v_mul_f64 v[107:108], v[105:106], v[103:104]
	v_fma_f64 v[101:102], -v[101:102], v[107:108], v[105:106]
	v_div_fmas_f64 v[101:102], v[101:102], v[103:104], v[107:108]
	v_div_fixup_f64 v[103:104], v[101:102], v[97:98], v[99:100]
	v_fma_f64 v[97:98], v[99:100], v[103:104], v[97:98]
	v_div_scale_f64 v[99:100], s[6:7], v[97:98], v[97:98], 1.0
	v_div_scale_f64 v[107:108], vcc, 1.0, v[97:98], 1.0
	v_rcp_f64_e32 v[101:102], v[99:100]
	v_fma_f64 v[105:106], -v[99:100], v[101:102], 1.0
	v_fma_f64 v[101:102], v[101:102], v[105:106], v[101:102]
	v_fma_f64 v[105:106], -v[99:100], v[101:102], 1.0
	v_fma_f64 v[101:102], v[101:102], v[105:106], v[101:102]
	v_mul_f64 v[105:106], v[107:108], v[101:102]
	v_fma_f64 v[99:100], -v[99:100], v[105:106], v[107:108]
	v_div_fmas_f64 v[99:100], v[99:100], v[101:102], v[105:106]
	v_div_fixup_f64 v[101:102], v[99:100], v[97:98], 1.0
	v_mul_f64 v[103:104], v[103:104], -v[101:102]
.LBB119_52:
	s_or_b64 exec, exec, s[2:3]
	ds_write2_b64 v127, v[101:102], v[103:104] offset1:1
.LBB119_53:
	s_or_b64 exec, exec, s[4:5]
	s_waitcnt lgkmcnt(0)
	s_barrier
	ds_read2_b64 v[65:68], v127 offset1:1
	v_cmp_lt_u32_e32 vcc, 5, v0
	s_waitcnt lgkmcnt(0)
	buffer_store_dword v65, off, s[20:23], 0 offset:1304 ; 4-byte Folded Spill
	s_nop 0
	buffer_store_dword v66, off, s[20:23], 0 offset:1308 ; 4-byte Folded Spill
	buffer_store_dword v67, off, s[20:23], 0 offset:1312 ; 4-byte Folded Spill
	;; [unrolled: 1-line block ×3, first 2 shown]
	s_and_saveexec_b64 s[2:3], vcc
	s_cbranch_execz .LBB119_55
; %bb.54:
	buffer_load_dword v103, off, s[20:23], 0 offset:656 ; 4-byte Folded Reload
	buffer_load_dword v104, off, s[20:23], 0 offset:660 ; 4-byte Folded Reload
	;; [unrolled: 1-line block ×8, first 2 shown]
	s_waitcnt vmcnt(2)
	v_mul_f64 v[99:100], v[65:66], v[105:106]
	s_waitcnt vmcnt(0)
	v_mul_f64 v[97:98], v[67:68], v[105:106]
	v_fma_f64 v[105:106], v[67:68], v[103:104], v[99:100]
	ds_read2_b64 v[99:102], v125 offset0:12 offset1:13
	v_fma_f64 v[97:98], v[65:66], v[103:104], -v[97:98]
	buffer_load_dword v65, off, s[20:23], 0 offset:640 ; 4-byte Folded Reload
	buffer_load_dword v66, off, s[20:23], 0 offset:644 ; 4-byte Folded Reload
	buffer_load_dword v67, off, s[20:23], 0 offset:648 ; 4-byte Folded Reload
	buffer_load_dword v68, off, s[20:23], 0 offset:652 ; 4-byte Folded Reload
	s_waitcnt lgkmcnt(0)
	v_mul_f64 v[103:104], v[101:102], v[105:106]
	v_fma_f64 v[103:104], v[99:100], v[97:98], -v[103:104]
	v_mul_f64 v[99:100], v[99:100], v[105:106]
	v_fma_f64 v[99:100], v[101:102], v[97:98], v[99:100]
	s_waitcnt vmcnt(2)
	v_add_f64 v[65:66], v[65:66], -v[103:104]
	s_waitcnt vmcnt(0)
	v_add_f64 v[67:68], v[67:68], -v[99:100]
	buffer_store_dword v65, off, s[20:23], 0 offset:640 ; 4-byte Folded Spill
	s_nop 0
	buffer_store_dword v66, off, s[20:23], 0 offset:644 ; 4-byte Folded Spill
	buffer_store_dword v67, off, s[20:23], 0 offset:648 ; 4-byte Folded Spill
	buffer_store_dword v68, off, s[20:23], 0 offset:652 ; 4-byte Folded Spill
	ds_read2_b64 v[99:102], v125 offset0:14 offset1:15
	buffer_load_dword v65, off, s[20:23], 0 offset:624 ; 4-byte Folded Reload
	buffer_load_dword v66, off, s[20:23], 0 offset:628 ; 4-byte Folded Reload
	buffer_load_dword v67, off, s[20:23], 0 offset:632 ; 4-byte Folded Reload
	buffer_load_dword v68, off, s[20:23], 0 offset:636 ; 4-byte Folded Reload
	s_waitcnt lgkmcnt(0)
	v_mul_f64 v[103:104], v[101:102], v[105:106]
	v_fma_f64 v[103:104], v[99:100], v[97:98], -v[103:104]
	v_mul_f64 v[99:100], v[99:100], v[105:106]
	v_fma_f64 v[99:100], v[101:102], v[97:98], v[99:100]
	s_waitcnt vmcnt(2)
	v_add_f64 v[65:66], v[65:66], -v[103:104]
	s_waitcnt vmcnt(0)
	v_add_f64 v[67:68], v[67:68], -v[99:100]
	buffer_store_dword v65, off, s[20:23], 0 offset:624 ; 4-byte Folded Spill
	s_nop 0
	buffer_store_dword v66, off, s[20:23], 0 offset:628 ; 4-byte Folded Spill
	buffer_store_dword v67, off, s[20:23], 0 offset:632 ; 4-byte Folded Spill
	buffer_store_dword v68, off, s[20:23], 0 offset:636 ; 4-byte Folded Spill
	ds_read2_b64 v[99:102], v125 offset0:16 offset1:17
	;; [unrolled: 19-line block ×29, first 2 shown]
	s_waitcnt lgkmcnt(0)
	v_mul_f64 v[103:104], v[101:102], v[105:106]
	v_fma_f64 v[103:104], v[99:100], v[97:98], -v[103:104]
	v_mul_f64 v[99:100], v[99:100], v[105:106]
	v_add_f64 v[93:94], v[93:94], -v[103:104]
	v_fma_f64 v[99:100], v[101:102], v[97:98], v[99:100]
	v_add_f64 v[95:96], v[95:96], -v[99:100]
	ds_read2_b64 v[99:102], v125 offset0:72 offset1:73
	buffer_load_dword v41, off, s[20:23], 0 offset:176 ; 4-byte Folded Reload
	buffer_load_dword v42, off, s[20:23], 0 offset:180 ; 4-byte Folded Reload
	buffer_load_dword v43, off, s[20:23], 0 offset:184 ; 4-byte Folded Reload
	buffer_load_dword v44, off, s[20:23], 0 offset:188 ; 4-byte Folded Reload
	s_waitcnt lgkmcnt(0)
	v_mul_f64 v[103:104], v[101:102], v[105:106]
	v_fma_f64 v[103:104], v[99:100], v[97:98], -v[103:104]
	v_mul_f64 v[99:100], v[99:100], v[105:106]
	v_fma_f64 v[99:100], v[101:102], v[97:98], v[99:100]
	s_waitcnt vmcnt(2)
	v_add_f64 v[41:42], v[41:42], -v[103:104]
	s_waitcnt vmcnt(0)
	v_add_f64 v[43:44], v[43:44], -v[99:100]
	buffer_store_dword v41, off, s[20:23], 0 offset:176 ; 4-byte Folded Spill
	s_nop 0
	buffer_store_dword v42, off, s[20:23], 0 offset:180 ; 4-byte Folded Spill
	buffer_store_dword v43, off, s[20:23], 0 offset:184 ; 4-byte Folded Spill
	buffer_store_dword v44, off, s[20:23], 0 offset:188 ; 4-byte Folded Spill
	ds_read2_b64 v[99:102], v125 offset0:74 offset1:75
	buffer_load_dword v65, off, s[20:23], 0 offset:160 ; 4-byte Folded Reload
	buffer_load_dword v66, off, s[20:23], 0 offset:164 ; 4-byte Folded Reload
	buffer_load_dword v67, off, s[20:23], 0 offset:168 ; 4-byte Folded Reload
	buffer_load_dword v68, off, s[20:23], 0 offset:172 ; 4-byte Folded Reload
	s_waitcnt lgkmcnt(0)
	v_mul_f64 v[103:104], v[101:102], v[105:106]
	v_fma_f64 v[103:104], v[99:100], v[97:98], -v[103:104]
	v_mul_f64 v[99:100], v[99:100], v[105:106]
	v_fma_f64 v[99:100], v[101:102], v[97:98], v[99:100]
	s_waitcnt vmcnt(2)
	v_add_f64 v[65:66], v[65:66], -v[103:104]
	s_waitcnt vmcnt(0)
	v_add_f64 v[67:68], v[67:68], -v[99:100]
	buffer_store_dword v65, off, s[20:23], 0 offset:160 ; 4-byte Folded Spill
	s_nop 0
	buffer_store_dword v66, off, s[20:23], 0 offset:164 ; 4-byte Folded Spill
	buffer_store_dword v67, off, s[20:23], 0 offset:168 ; 4-byte Folded Spill
	buffer_store_dword v68, off, s[20:23], 0 offset:172 ; 4-byte Folded Spill
	;; [unrolled: 19-line block ×11, first 2 shown]
	ds_read2_b64 v[99:102], v125 offset0:94 offset1:95
	buffer_load_dword v45, off, s[20:23], 0 ; 4-byte Folded Reload
	buffer_load_dword v46, off, s[20:23], 0 offset:4 ; 4-byte Folded Reload
	buffer_load_dword v47, off, s[20:23], 0 offset:8 ; 4-byte Folded Reload
	;; [unrolled: 1-line block ×3, first 2 shown]
	s_waitcnt lgkmcnt(0)
	v_mul_f64 v[103:104], v[101:102], v[105:106]
	v_fma_f64 v[103:104], v[99:100], v[97:98], -v[103:104]
	v_mul_f64 v[99:100], v[99:100], v[105:106]
	v_fma_f64 v[99:100], v[101:102], v[97:98], v[99:100]
	s_waitcnt vmcnt(2)
	v_add_f64 v[45:46], v[45:46], -v[103:104]
	s_waitcnt vmcnt(0)
	v_add_f64 v[47:48], v[47:48], -v[99:100]
	buffer_store_dword v45, off, s[20:23], 0 ; 4-byte Folded Spill
	s_nop 0
	buffer_store_dword v46, off, s[20:23], 0 offset:4 ; 4-byte Folded Spill
	buffer_store_dword v47, off, s[20:23], 0 offset:8 ; 4-byte Folded Spill
	buffer_store_dword v48, off, s[20:23], 0 offset:12 ; 4-byte Folded Spill
	ds_read2_b64 v[99:102], v125 offset0:96 offset1:97
	s_waitcnt lgkmcnt(0)
	v_mul_f64 v[103:104], v[101:102], v[105:106]
	v_fma_f64 v[103:104], v[99:100], v[97:98], -v[103:104]
	v_mul_f64 v[99:100], v[99:100], v[105:106]
	v_add_f64 v[113:114], v[113:114], -v[103:104]
	v_fma_f64 v[99:100], v[101:102], v[97:98], v[99:100]
	v_add_f64 v[115:116], v[115:116], -v[99:100]
	ds_read2_b64 v[99:102], v125 offset0:98 offset1:99
	s_waitcnt lgkmcnt(0)
	v_mul_f64 v[103:104], v[101:102], v[105:106]
	v_fma_f64 v[103:104], v[99:100], v[97:98], -v[103:104]
	v_mul_f64 v[99:100], v[99:100], v[105:106]
	v_add_f64 v[37:38], v[37:38], -v[103:104]
	v_fma_f64 v[99:100], v[101:102], v[97:98], v[99:100]
	v_add_f64 v[39:40], v[39:40], -v[99:100]
	;; [unrolled: 8-line block ×10, first 2 shown]
	ds_read2_b64 v[99:102], v125 offset0:116 offset1:117
	s_waitcnt lgkmcnt(0)
	v_mul_f64 v[103:104], v[101:102], v[105:106]
	v_fma_f64 v[103:104], v[99:100], v[97:98], -v[103:104]
	v_mul_f64 v[99:100], v[99:100], v[105:106]
	v_add_f64 v[1:2], v[1:2], -v[103:104]
	v_fma_f64 v[99:100], v[101:102], v[97:98], v[99:100]
	ds_read2_b64 v[101:104], v125 offset0:118 offset1:119
	v_add_f64 v[3:4], v[3:4], -v[99:100]
	s_waitcnt lgkmcnt(0)
	v_mul_f64 v[99:100], v[103:104], v[105:106]
	v_fma_f64 v[99:100], v[101:102], v[97:98], -v[99:100]
	v_mul_f64 v[101:102], v[101:102], v[105:106]
	v_add_f64 v[121:122], v[121:122], -v[99:100]
	v_fma_f64 v[101:102], v[103:104], v[97:98], v[101:102]
	v_mov_b32_e32 v104, v98
	v_mov_b32_e32 v103, v97
	buffer_store_dword v103, off, s[20:23], 0 offset:656 ; 4-byte Folded Spill
	s_nop 0
	buffer_store_dword v104, off, s[20:23], 0 offset:660 ; 4-byte Folded Spill
	buffer_store_dword v105, off, s[20:23], 0 offset:664 ; 4-byte Folded Spill
	buffer_store_dword v106, off, s[20:23], 0 offset:668 ; 4-byte Folded Spill
	v_add_f64 v[123:124], v[123:124], -v[101:102]
.LBB119_55:
	s_or_b64 exec, exec, s[2:3]
	v_cmp_eq_u32_e32 vcc, 6, v0
	s_waitcnt vmcnt(0)
	s_barrier
	s_and_saveexec_b64 s[4:5], vcc
	s_cbranch_execz .LBB119_62
; %bb.56:
	buffer_load_dword v65, off, s[20:23], 0 offset:640 ; 4-byte Folded Reload
	buffer_load_dword v66, off, s[20:23], 0 offset:644 ; 4-byte Folded Reload
	;; [unrolled: 1-line block ×4, first 2 shown]
	s_waitcnt vmcnt(0)
	ds_write2_b64 v127, v[65:66], v[67:68] offset1:1
	buffer_load_dword v65, off, s[20:23], 0 offset:624 ; 4-byte Folded Reload
	buffer_load_dword v66, off, s[20:23], 0 offset:628 ; 4-byte Folded Reload
	buffer_load_dword v67, off, s[20:23], 0 offset:632 ; 4-byte Folded Reload
	buffer_load_dword v68, off, s[20:23], 0 offset:636 ; 4-byte Folded Reload
	s_waitcnt vmcnt(0)
	ds_write2_b64 v125, v[65:66], v[67:68] offset0:14 offset1:15
	buffer_load_dword v65, off, s[20:23], 0 offset:608 ; 4-byte Folded Reload
	buffer_load_dword v66, off, s[20:23], 0 offset:612 ; 4-byte Folded Reload
	buffer_load_dword v67, off, s[20:23], 0 offset:616 ; 4-byte Folded Reload
	buffer_load_dword v68, off, s[20:23], 0 offset:620 ; 4-byte Folded Reload
	s_waitcnt vmcnt(0)
	ds_write2_b64 v125, v[65:66], v[67:68] offset0:16 offset1:17
	buffer_load_dword v65, off, s[20:23], 0 offset:592 ; 4-byte Folded Reload
	buffer_load_dword v66, off, s[20:23], 0 offset:596 ; 4-byte Folded Reload
	buffer_load_dword v67, off, s[20:23], 0 offset:600 ; 4-byte Folded Reload
	buffer_load_dword v68, off, s[20:23], 0 offset:604 ; 4-byte Folded Reload
	s_waitcnt vmcnt(0)
	ds_write2_b64 v125, v[65:66], v[67:68] offset0:18 offset1:19
	buffer_load_dword v65, off, s[20:23], 0 offset:576 ; 4-byte Folded Reload
	buffer_load_dword v66, off, s[20:23], 0 offset:580 ; 4-byte Folded Reload
	buffer_load_dword v67, off, s[20:23], 0 offset:584 ; 4-byte Folded Reload
	buffer_load_dword v68, off, s[20:23], 0 offset:588 ; 4-byte Folded Reload
	s_waitcnt vmcnt(0)
	ds_write2_b64 v125, v[65:66], v[67:68] offset0:20 offset1:21
	buffer_load_dword v65, off, s[20:23], 0 offset:560 ; 4-byte Folded Reload
	buffer_load_dword v66, off, s[20:23], 0 offset:564 ; 4-byte Folded Reload
	buffer_load_dword v67, off, s[20:23], 0 offset:568 ; 4-byte Folded Reload
	buffer_load_dword v68, off, s[20:23], 0 offset:572 ; 4-byte Folded Reload
	s_waitcnt vmcnt(0)
	ds_write2_b64 v125, v[65:66], v[67:68] offset0:22 offset1:23
	buffer_load_dword v65, off, s[20:23], 0 offset:544 ; 4-byte Folded Reload
	buffer_load_dword v66, off, s[20:23], 0 offset:548 ; 4-byte Folded Reload
	buffer_load_dword v67, off, s[20:23], 0 offset:552 ; 4-byte Folded Reload
	buffer_load_dword v68, off, s[20:23], 0 offset:556 ; 4-byte Folded Reload
	s_waitcnt vmcnt(0)
	ds_write2_b64 v125, v[65:66], v[67:68] offset0:24 offset1:25
	buffer_load_dword v65, off, s[20:23], 0 offset:528 ; 4-byte Folded Reload
	buffer_load_dword v66, off, s[20:23], 0 offset:532 ; 4-byte Folded Reload
	buffer_load_dword v67, off, s[20:23], 0 offset:536 ; 4-byte Folded Reload
	buffer_load_dword v68, off, s[20:23], 0 offset:540 ; 4-byte Folded Reload
	s_waitcnt vmcnt(0)
	ds_write2_b64 v125, v[65:66], v[67:68] offset0:26 offset1:27
	buffer_load_dword v65, off, s[20:23], 0 offset:512 ; 4-byte Folded Reload
	buffer_load_dword v66, off, s[20:23], 0 offset:516 ; 4-byte Folded Reload
	buffer_load_dword v67, off, s[20:23], 0 offset:520 ; 4-byte Folded Reload
	buffer_load_dword v68, off, s[20:23], 0 offset:524 ; 4-byte Folded Reload
	s_waitcnt vmcnt(0)
	ds_write2_b64 v125, v[65:66], v[67:68] offset0:28 offset1:29
	buffer_load_dword v65, off, s[20:23], 0 offset:496 ; 4-byte Folded Reload
	buffer_load_dword v66, off, s[20:23], 0 offset:500 ; 4-byte Folded Reload
	buffer_load_dword v67, off, s[20:23], 0 offset:504 ; 4-byte Folded Reload
	buffer_load_dword v68, off, s[20:23], 0 offset:508 ; 4-byte Folded Reload
	s_waitcnt vmcnt(0)
	ds_write2_b64 v125, v[65:66], v[67:68] offset0:30 offset1:31
	buffer_load_dword v65, off, s[20:23], 0 offset:480 ; 4-byte Folded Reload
	buffer_load_dword v66, off, s[20:23], 0 offset:484 ; 4-byte Folded Reload
	buffer_load_dword v67, off, s[20:23], 0 offset:488 ; 4-byte Folded Reload
	buffer_load_dword v68, off, s[20:23], 0 offset:492 ; 4-byte Folded Reload
	s_waitcnt vmcnt(0)
	ds_write2_b64 v125, v[65:66], v[67:68] offset0:32 offset1:33
	buffer_load_dword v65, off, s[20:23], 0 offset:464 ; 4-byte Folded Reload
	buffer_load_dword v66, off, s[20:23], 0 offset:468 ; 4-byte Folded Reload
	buffer_load_dword v67, off, s[20:23], 0 offset:472 ; 4-byte Folded Reload
	buffer_load_dword v68, off, s[20:23], 0 offset:476 ; 4-byte Folded Reload
	s_waitcnt vmcnt(0)
	ds_write2_b64 v125, v[65:66], v[67:68] offset0:34 offset1:35
	buffer_load_dword v65, off, s[20:23], 0 offset:448 ; 4-byte Folded Reload
	buffer_load_dword v66, off, s[20:23], 0 offset:452 ; 4-byte Folded Reload
	buffer_load_dword v67, off, s[20:23], 0 offset:456 ; 4-byte Folded Reload
	buffer_load_dword v68, off, s[20:23], 0 offset:460 ; 4-byte Folded Reload
	s_waitcnt vmcnt(0)
	ds_write2_b64 v125, v[65:66], v[67:68] offset0:36 offset1:37
	buffer_load_dword v65, off, s[20:23], 0 offset:432 ; 4-byte Folded Reload
	buffer_load_dword v66, off, s[20:23], 0 offset:436 ; 4-byte Folded Reload
	buffer_load_dword v67, off, s[20:23], 0 offset:440 ; 4-byte Folded Reload
	buffer_load_dword v68, off, s[20:23], 0 offset:444 ; 4-byte Folded Reload
	s_waitcnt vmcnt(0)
	ds_write2_b64 v125, v[65:66], v[67:68] offset0:38 offset1:39
	buffer_load_dword v65, off, s[20:23], 0 offset:416 ; 4-byte Folded Reload
	buffer_load_dword v66, off, s[20:23], 0 offset:420 ; 4-byte Folded Reload
	buffer_load_dword v67, off, s[20:23], 0 offset:424 ; 4-byte Folded Reload
	buffer_load_dword v68, off, s[20:23], 0 offset:428 ; 4-byte Folded Reload
	s_waitcnt vmcnt(0)
	ds_write2_b64 v125, v[65:66], v[67:68] offset0:40 offset1:41
	buffer_load_dword v65, off, s[20:23], 0 offset:400 ; 4-byte Folded Reload
	buffer_load_dword v66, off, s[20:23], 0 offset:404 ; 4-byte Folded Reload
	buffer_load_dword v67, off, s[20:23], 0 offset:408 ; 4-byte Folded Reload
	buffer_load_dword v68, off, s[20:23], 0 offset:412 ; 4-byte Folded Reload
	s_waitcnt vmcnt(0)
	ds_write2_b64 v125, v[65:66], v[67:68] offset0:42 offset1:43
	buffer_load_dword v65, off, s[20:23], 0 offset:384 ; 4-byte Folded Reload
	buffer_load_dword v66, off, s[20:23], 0 offset:388 ; 4-byte Folded Reload
	buffer_load_dword v67, off, s[20:23], 0 offset:392 ; 4-byte Folded Reload
	buffer_load_dword v68, off, s[20:23], 0 offset:396 ; 4-byte Folded Reload
	s_waitcnt vmcnt(0)
	ds_write2_b64 v125, v[65:66], v[67:68] offset0:44 offset1:45
	buffer_load_dword v65, off, s[20:23], 0 offset:368 ; 4-byte Folded Reload
	buffer_load_dword v66, off, s[20:23], 0 offset:372 ; 4-byte Folded Reload
	buffer_load_dword v67, off, s[20:23], 0 offset:376 ; 4-byte Folded Reload
	buffer_load_dword v68, off, s[20:23], 0 offset:380 ; 4-byte Folded Reload
	s_waitcnt vmcnt(0)
	ds_write2_b64 v125, v[65:66], v[67:68] offset0:46 offset1:47
	buffer_load_dword v65, off, s[20:23], 0 offset:352 ; 4-byte Folded Reload
	buffer_load_dword v66, off, s[20:23], 0 offset:356 ; 4-byte Folded Reload
	buffer_load_dword v67, off, s[20:23], 0 offset:360 ; 4-byte Folded Reload
	buffer_load_dword v68, off, s[20:23], 0 offset:364 ; 4-byte Folded Reload
	s_waitcnt vmcnt(0)
	ds_write2_b64 v125, v[65:66], v[67:68] offset0:48 offset1:49
	buffer_load_dword v65, off, s[20:23], 0 offset:336 ; 4-byte Folded Reload
	buffer_load_dword v66, off, s[20:23], 0 offset:340 ; 4-byte Folded Reload
	buffer_load_dword v67, off, s[20:23], 0 offset:344 ; 4-byte Folded Reload
	buffer_load_dword v68, off, s[20:23], 0 offset:348 ; 4-byte Folded Reload
	s_waitcnt vmcnt(0)
	ds_write2_b64 v125, v[65:66], v[67:68] offset0:50 offset1:51
	buffer_load_dword v65, off, s[20:23], 0 offset:320 ; 4-byte Folded Reload
	buffer_load_dword v66, off, s[20:23], 0 offset:324 ; 4-byte Folded Reload
	buffer_load_dword v67, off, s[20:23], 0 offset:328 ; 4-byte Folded Reload
	buffer_load_dword v68, off, s[20:23], 0 offset:332 ; 4-byte Folded Reload
	s_waitcnt vmcnt(0)
	ds_write2_b64 v125, v[65:66], v[67:68] offset0:52 offset1:53
	buffer_load_dword v65, off, s[20:23], 0 offset:304 ; 4-byte Folded Reload
	buffer_load_dword v66, off, s[20:23], 0 offset:308 ; 4-byte Folded Reload
	buffer_load_dword v67, off, s[20:23], 0 offset:312 ; 4-byte Folded Reload
	buffer_load_dword v68, off, s[20:23], 0 offset:316 ; 4-byte Folded Reload
	s_waitcnt vmcnt(0)
	ds_write2_b64 v125, v[65:66], v[67:68] offset0:54 offset1:55
	buffer_load_dword v65, off, s[20:23], 0 offset:288 ; 4-byte Folded Reload
	buffer_load_dword v66, off, s[20:23], 0 offset:292 ; 4-byte Folded Reload
	buffer_load_dword v67, off, s[20:23], 0 offset:296 ; 4-byte Folded Reload
	buffer_load_dword v68, off, s[20:23], 0 offset:300 ; 4-byte Folded Reload
	s_waitcnt vmcnt(0)
	ds_write2_b64 v125, v[65:66], v[67:68] offset0:56 offset1:57
	buffer_load_dword v65, off, s[20:23], 0 offset:272 ; 4-byte Folded Reload
	buffer_load_dword v66, off, s[20:23], 0 offset:276 ; 4-byte Folded Reload
	buffer_load_dword v67, off, s[20:23], 0 offset:280 ; 4-byte Folded Reload
	buffer_load_dword v68, off, s[20:23], 0 offset:284 ; 4-byte Folded Reload
	s_waitcnt vmcnt(0)
	ds_write2_b64 v125, v[65:66], v[67:68] offset0:58 offset1:59
	buffer_load_dword v65, off, s[20:23], 0 offset:256 ; 4-byte Folded Reload
	buffer_load_dword v66, off, s[20:23], 0 offset:260 ; 4-byte Folded Reload
	buffer_load_dword v67, off, s[20:23], 0 offset:264 ; 4-byte Folded Reload
	buffer_load_dword v68, off, s[20:23], 0 offset:268 ; 4-byte Folded Reload
	s_waitcnt vmcnt(0)
	ds_write2_b64 v125, v[65:66], v[67:68] offset0:60 offset1:61
	buffer_load_dword v65, off, s[20:23], 0 offset:240 ; 4-byte Folded Reload
	buffer_load_dword v66, off, s[20:23], 0 offset:244 ; 4-byte Folded Reload
	buffer_load_dword v67, off, s[20:23], 0 offset:248 ; 4-byte Folded Reload
	buffer_load_dword v68, off, s[20:23], 0 offset:252 ; 4-byte Folded Reload
	s_waitcnt vmcnt(0)
	ds_write2_b64 v125, v[65:66], v[67:68] offset0:62 offset1:63
	buffer_load_dword v65, off, s[20:23], 0 offset:224 ; 4-byte Folded Reload
	buffer_load_dword v66, off, s[20:23], 0 offset:228 ; 4-byte Folded Reload
	buffer_load_dword v67, off, s[20:23], 0 offset:232 ; 4-byte Folded Reload
	buffer_load_dword v68, off, s[20:23], 0 offset:236 ; 4-byte Folded Reload
	s_waitcnt vmcnt(0)
	ds_write2_b64 v125, v[65:66], v[67:68] offset0:64 offset1:65
	buffer_load_dword v65, off, s[20:23], 0 offset:208 ; 4-byte Folded Reload
	buffer_load_dword v66, off, s[20:23], 0 offset:212 ; 4-byte Folded Reload
	buffer_load_dword v67, off, s[20:23], 0 offset:216 ; 4-byte Folded Reload
	buffer_load_dword v68, off, s[20:23], 0 offset:220 ; 4-byte Folded Reload
	s_waitcnt vmcnt(0)
	ds_write2_b64 v125, v[65:66], v[67:68] offset0:66 offset1:67
	buffer_load_dword v65, off, s[20:23], 0 offset:192 ; 4-byte Folded Reload
	buffer_load_dword v66, off, s[20:23], 0 offset:196 ; 4-byte Folded Reload
	buffer_load_dword v67, off, s[20:23], 0 offset:200 ; 4-byte Folded Reload
	buffer_load_dword v68, off, s[20:23], 0 offset:204 ; 4-byte Folded Reload
	s_waitcnt vmcnt(0)
	ds_write2_b64 v125, v[65:66], v[67:68] offset0:68 offset1:69
	ds_write2_b64 v125, v[93:94], v[95:96] offset0:70 offset1:71
	buffer_load_dword v41, off, s[20:23], 0 offset:176 ; 4-byte Folded Reload
	buffer_load_dword v42, off, s[20:23], 0 offset:180 ; 4-byte Folded Reload
	buffer_load_dword v43, off, s[20:23], 0 offset:184 ; 4-byte Folded Reload
	buffer_load_dword v44, off, s[20:23], 0 offset:188 ; 4-byte Folded Reload
	s_waitcnt vmcnt(0)
	ds_write2_b64 v125, v[41:42], v[43:44] offset0:72 offset1:73
	buffer_load_dword v65, off, s[20:23], 0 offset:160 ; 4-byte Folded Reload
	buffer_load_dword v66, off, s[20:23], 0 offset:164 ; 4-byte Folded Reload
	buffer_load_dword v67, off, s[20:23], 0 offset:168 ; 4-byte Folded Reload
	buffer_load_dword v68, off, s[20:23], 0 offset:172 ; 4-byte Folded Reload
	s_waitcnt vmcnt(0)
	;; [unrolled: 6-line block ×11, first 2 shown]
	ds_write2_b64 v125, v[49:50], v[51:52] offset0:92 offset1:93
	buffer_load_dword v45, off, s[20:23], 0 ; 4-byte Folded Reload
	buffer_load_dword v46, off, s[20:23], 0 offset:4 ; 4-byte Folded Reload
	buffer_load_dword v47, off, s[20:23], 0 offset:8 ; 4-byte Folded Reload
	;; [unrolled: 1-line block ×3, first 2 shown]
	s_waitcnt vmcnt(0)
	ds_write2_b64 v125, v[45:46], v[47:48] offset0:94 offset1:95
	ds_write2_b64 v125, v[113:114], v[115:116] offset0:96 offset1:97
	;; [unrolled: 1-line block ×13, first 2 shown]
	ds_read2_b64 v[97:100], v127 offset1:1
	s_waitcnt lgkmcnt(0)
	v_cmp_neq_f64_e32 vcc, 0, v[97:98]
	v_cmp_neq_f64_e64 s[2:3], 0, v[99:100]
	s_or_b64 s[2:3], vcc, s[2:3]
	s_and_b64 exec, exec, s[2:3]
	s_cbranch_execz .LBB119_62
; %bb.57:
	v_cmp_ngt_f64_e64 s[2:3], |v[97:98]|, |v[99:100]|
                                        ; implicit-def: $vgpr101_vgpr102
	s_and_saveexec_b64 s[6:7], s[2:3]
	s_xor_b64 s[2:3], exec, s[6:7]
                                        ; implicit-def: $vgpr103_vgpr104
	s_cbranch_execz .LBB119_59
; %bb.58:
	v_div_scale_f64 v[101:102], s[6:7], v[99:100], v[99:100], v[97:98]
	v_rcp_f64_e32 v[103:104], v[101:102]
	v_fma_f64 v[105:106], -v[101:102], v[103:104], 1.0
	v_fma_f64 v[103:104], v[103:104], v[105:106], v[103:104]
	v_div_scale_f64 v[105:106], vcc, v[97:98], v[99:100], v[97:98]
	v_fma_f64 v[107:108], -v[101:102], v[103:104], 1.0
	v_fma_f64 v[103:104], v[103:104], v[107:108], v[103:104]
	v_mul_f64 v[107:108], v[105:106], v[103:104]
	v_fma_f64 v[101:102], -v[101:102], v[107:108], v[105:106]
	v_div_fmas_f64 v[101:102], v[101:102], v[103:104], v[107:108]
	v_div_fixup_f64 v[101:102], v[101:102], v[99:100], v[97:98]
	v_fma_f64 v[97:98], v[97:98], v[101:102], v[99:100]
	v_div_scale_f64 v[99:100], s[6:7], v[97:98], v[97:98], 1.0
	v_div_scale_f64 v[107:108], vcc, 1.0, v[97:98], 1.0
	v_rcp_f64_e32 v[103:104], v[99:100]
	v_fma_f64 v[105:106], -v[99:100], v[103:104], 1.0
	v_fma_f64 v[103:104], v[103:104], v[105:106], v[103:104]
	v_fma_f64 v[105:106], -v[99:100], v[103:104], 1.0
	v_fma_f64 v[103:104], v[103:104], v[105:106], v[103:104]
	v_mul_f64 v[105:106], v[107:108], v[103:104]
	v_fma_f64 v[99:100], -v[99:100], v[105:106], v[107:108]
	v_div_fmas_f64 v[99:100], v[99:100], v[103:104], v[105:106]
	v_div_fixup_f64 v[103:104], v[99:100], v[97:98], 1.0
                                        ; implicit-def: $vgpr97_vgpr98
	v_mul_f64 v[101:102], v[101:102], v[103:104]
	v_xor_b32_e32 v104, 0x80000000, v104
.LBB119_59:
	s_andn2_saveexec_b64 s[2:3], s[2:3]
	s_cbranch_execz .LBB119_61
; %bb.60:
	v_div_scale_f64 v[101:102], s[6:7], v[97:98], v[97:98], v[99:100]
	v_rcp_f64_e32 v[103:104], v[101:102]
	v_fma_f64 v[105:106], -v[101:102], v[103:104], 1.0
	v_fma_f64 v[103:104], v[103:104], v[105:106], v[103:104]
	v_div_scale_f64 v[105:106], vcc, v[99:100], v[97:98], v[99:100]
	v_fma_f64 v[107:108], -v[101:102], v[103:104], 1.0
	v_fma_f64 v[103:104], v[103:104], v[107:108], v[103:104]
	v_mul_f64 v[107:108], v[105:106], v[103:104]
	v_fma_f64 v[101:102], -v[101:102], v[107:108], v[105:106]
	v_div_fmas_f64 v[101:102], v[101:102], v[103:104], v[107:108]
	v_div_fixup_f64 v[103:104], v[101:102], v[97:98], v[99:100]
	v_fma_f64 v[97:98], v[99:100], v[103:104], v[97:98]
	v_div_scale_f64 v[99:100], s[6:7], v[97:98], v[97:98], 1.0
	v_div_scale_f64 v[107:108], vcc, 1.0, v[97:98], 1.0
	v_rcp_f64_e32 v[101:102], v[99:100]
	v_fma_f64 v[105:106], -v[99:100], v[101:102], 1.0
	v_fma_f64 v[101:102], v[101:102], v[105:106], v[101:102]
	v_fma_f64 v[105:106], -v[99:100], v[101:102], 1.0
	v_fma_f64 v[101:102], v[101:102], v[105:106], v[101:102]
	v_mul_f64 v[105:106], v[107:108], v[101:102]
	v_fma_f64 v[99:100], -v[99:100], v[105:106], v[107:108]
	v_div_fmas_f64 v[99:100], v[99:100], v[101:102], v[105:106]
	v_div_fixup_f64 v[101:102], v[99:100], v[97:98], 1.0
	v_mul_f64 v[103:104], v[103:104], -v[101:102]
.LBB119_61:
	s_or_b64 exec, exec, s[2:3]
	ds_write2_b64 v127, v[101:102], v[103:104] offset1:1
.LBB119_62:
	s_or_b64 exec, exec, s[4:5]
	s_waitcnt lgkmcnt(0)
	s_barrier
	ds_read2_b64 v[65:68], v127 offset1:1
	v_cmp_lt_u32_e32 vcc, 6, v0
	s_waitcnt lgkmcnt(0)
	buffer_store_dword v65, off, s[20:23], 0 offset:1320 ; 4-byte Folded Spill
	s_nop 0
	buffer_store_dword v66, off, s[20:23], 0 offset:1324 ; 4-byte Folded Spill
	buffer_store_dword v67, off, s[20:23], 0 offset:1328 ; 4-byte Folded Spill
	;; [unrolled: 1-line block ×3, first 2 shown]
	s_and_saveexec_b64 s[2:3], vcc
	s_cbranch_execz .LBB119_64
; %bb.63:
	buffer_load_dword v103, off, s[20:23], 0 offset:640 ; 4-byte Folded Reload
	buffer_load_dword v104, off, s[20:23], 0 offset:644 ; 4-byte Folded Reload
	;; [unrolled: 1-line block ×8, first 2 shown]
	s_waitcnt vmcnt(2)
	v_mul_f64 v[99:100], v[65:66], v[105:106]
	s_waitcnt vmcnt(0)
	v_mul_f64 v[97:98], v[67:68], v[105:106]
	v_fma_f64 v[105:106], v[67:68], v[103:104], v[99:100]
	ds_read2_b64 v[99:102], v125 offset0:14 offset1:15
	v_fma_f64 v[97:98], v[65:66], v[103:104], -v[97:98]
	buffer_load_dword v65, off, s[20:23], 0 offset:624 ; 4-byte Folded Reload
	buffer_load_dword v66, off, s[20:23], 0 offset:628 ; 4-byte Folded Reload
	buffer_load_dword v67, off, s[20:23], 0 offset:632 ; 4-byte Folded Reload
	buffer_load_dword v68, off, s[20:23], 0 offset:636 ; 4-byte Folded Reload
	s_waitcnt lgkmcnt(0)
	v_mul_f64 v[103:104], v[101:102], v[105:106]
	v_fma_f64 v[103:104], v[99:100], v[97:98], -v[103:104]
	v_mul_f64 v[99:100], v[99:100], v[105:106]
	v_fma_f64 v[99:100], v[101:102], v[97:98], v[99:100]
	s_waitcnt vmcnt(2)
	v_add_f64 v[65:66], v[65:66], -v[103:104]
	s_waitcnt vmcnt(0)
	v_add_f64 v[67:68], v[67:68], -v[99:100]
	buffer_store_dword v65, off, s[20:23], 0 offset:624 ; 4-byte Folded Spill
	s_nop 0
	buffer_store_dword v66, off, s[20:23], 0 offset:628 ; 4-byte Folded Spill
	buffer_store_dword v67, off, s[20:23], 0 offset:632 ; 4-byte Folded Spill
	buffer_store_dword v68, off, s[20:23], 0 offset:636 ; 4-byte Folded Spill
	ds_read2_b64 v[99:102], v125 offset0:16 offset1:17
	buffer_load_dword v65, off, s[20:23], 0 offset:608 ; 4-byte Folded Reload
	buffer_load_dword v66, off, s[20:23], 0 offset:612 ; 4-byte Folded Reload
	buffer_load_dword v67, off, s[20:23], 0 offset:616 ; 4-byte Folded Reload
	buffer_load_dword v68, off, s[20:23], 0 offset:620 ; 4-byte Folded Reload
	s_waitcnt lgkmcnt(0)
	v_mul_f64 v[103:104], v[101:102], v[105:106]
	v_fma_f64 v[103:104], v[99:100], v[97:98], -v[103:104]
	v_mul_f64 v[99:100], v[99:100], v[105:106]
	v_fma_f64 v[99:100], v[101:102], v[97:98], v[99:100]
	s_waitcnt vmcnt(2)
	v_add_f64 v[65:66], v[65:66], -v[103:104]
	s_waitcnt vmcnt(0)
	v_add_f64 v[67:68], v[67:68], -v[99:100]
	buffer_store_dword v65, off, s[20:23], 0 offset:608 ; 4-byte Folded Spill
	s_nop 0
	buffer_store_dword v66, off, s[20:23], 0 offset:612 ; 4-byte Folded Spill
	buffer_store_dword v67, off, s[20:23], 0 offset:616 ; 4-byte Folded Spill
	buffer_store_dword v68, off, s[20:23], 0 offset:620 ; 4-byte Folded Spill
	ds_read2_b64 v[99:102], v125 offset0:18 offset1:19
	;; [unrolled: 19-line block ×28, first 2 shown]
	s_waitcnt lgkmcnt(0)
	v_mul_f64 v[103:104], v[101:102], v[105:106]
	v_fma_f64 v[103:104], v[99:100], v[97:98], -v[103:104]
	v_mul_f64 v[99:100], v[99:100], v[105:106]
	v_add_f64 v[93:94], v[93:94], -v[103:104]
	v_fma_f64 v[99:100], v[101:102], v[97:98], v[99:100]
	v_add_f64 v[95:96], v[95:96], -v[99:100]
	ds_read2_b64 v[99:102], v125 offset0:72 offset1:73
	buffer_load_dword v41, off, s[20:23], 0 offset:176 ; 4-byte Folded Reload
	buffer_load_dword v42, off, s[20:23], 0 offset:180 ; 4-byte Folded Reload
	buffer_load_dword v43, off, s[20:23], 0 offset:184 ; 4-byte Folded Reload
	buffer_load_dword v44, off, s[20:23], 0 offset:188 ; 4-byte Folded Reload
	s_waitcnt lgkmcnt(0)
	v_mul_f64 v[103:104], v[101:102], v[105:106]
	v_fma_f64 v[103:104], v[99:100], v[97:98], -v[103:104]
	v_mul_f64 v[99:100], v[99:100], v[105:106]
	v_fma_f64 v[99:100], v[101:102], v[97:98], v[99:100]
	s_waitcnt vmcnt(2)
	v_add_f64 v[41:42], v[41:42], -v[103:104]
	s_waitcnt vmcnt(0)
	v_add_f64 v[43:44], v[43:44], -v[99:100]
	buffer_store_dword v41, off, s[20:23], 0 offset:176 ; 4-byte Folded Spill
	s_nop 0
	buffer_store_dword v42, off, s[20:23], 0 offset:180 ; 4-byte Folded Spill
	buffer_store_dword v43, off, s[20:23], 0 offset:184 ; 4-byte Folded Spill
	buffer_store_dword v44, off, s[20:23], 0 offset:188 ; 4-byte Folded Spill
	ds_read2_b64 v[99:102], v125 offset0:74 offset1:75
	buffer_load_dword v65, off, s[20:23], 0 offset:160 ; 4-byte Folded Reload
	buffer_load_dword v66, off, s[20:23], 0 offset:164 ; 4-byte Folded Reload
	buffer_load_dword v67, off, s[20:23], 0 offset:168 ; 4-byte Folded Reload
	buffer_load_dword v68, off, s[20:23], 0 offset:172 ; 4-byte Folded Reload
	s_waitcnt lgkmcnt(0)
	v_mul_f64 v[103:104], v[101:102], v[105:106]
	v_fma_f64 v[103:104], v[99:100], v[97:98], -v[103:104]
	v_mul_f64 v[99:100], v[99:100], v[105:106]
	v_fma_f64 v[99:100], v[101:102], v[97:98], v[99:100]
	s_waitcnt vmcnt(2)
	v_add_f64 v[65:66], v[65:66], -v[103:104]
	s_waitcnt vmcnt(0)
	v_add_f64 v[67:68], v[67:68], -v[99:100]
	buffer_store_dword v65, off, s[20:23], 0 offset:160 ; 4-byte Folded Spill
	s_nop 0
	buffer_store_dword v66, off, s[20:23], 0 offset:164 ; 4-byte Folded Spill
	buffer_store_dword v67, off, s[20:23], 0 offset:168 ; 4-byte Folded Spill
	buffer_store_dword v68, off, s[20:23], 0 offset:172 ; 4-byte Folded Spill
	;; [unrolled: 19-line block ×11, first 2 shown]
	ds_read2_b64 v[99:102], v125 offset0:94 offset1:95
	buffer_load_dword v45, off, s[20:23], 0 ; 4-byte Folded Reload
	buffer_load_dword v46, off, s[20:23], 0 offset:4 ; 4-byte Folded Reload
	buffer_load_dword v47, off, s[20:23], 0 offset:8 ; 4-byte Folded Reload
	;; [unrolled: 1-line block ×3, first 2 shown]
	s_waitcnt lgkmcnt(0)
	v_mul_f64 v[103:104], v[101:102], v[105:106]
	v_fma_f64 v[103:104], v[99:100], v[97:98], -v[103:104]
	v_mul_f64 v[99:100], v[99:100], v[105:106]
	v_fma_f64 v[99:100], v[101:102], v[97:98], v[99:100]
	s_waitcnt vmcnt(2)
	v_add_f64 v[45:46], v[45:46], -v[103:104]
	s_waitcnt vmcnt(0)
	v_add_f64 v[47:48], v[47:48], -v[99:100]
	buffer_store_dword v45, off, s[20:23], 0 ; 4-byte Folded Spill
	s_nop 0
	buffer_store_dword v46, off, s[20:23], 0 offset:4 ; 4-byte Folded Spill
	buffer_store_dword v47, off, s[20:23], 0 offset:8 ; 4-byte Folded Spill
	;; [unrolled: 1-line block ×3, first 2 shown]
	ds_read2_b64 v[99:102], v125 offset0:96 offset1:97
	s_waitcnt lgkmcnt(0)
	v_mul_f64 v[103:104], v[101:102], v[105:106]
	v_fma_f64 v[103:104], v[99:100], v[97:98], -v[103:104]
	v_mul_f64 v[99:100], v[99:100], v[105:106]
	v_add_f64 v[113:114], v[113:114], -v[103:104]
	v_fma_f64 v[99:100], v[101:102], v[97:98], v[99:100]
	v_add_f64 v[115:116], v[115:116], -v[99:100]
	ds_read2_b64 v[99:102], v125 offset0:98 offset1:99
	s_waitcnt lgkmcnt(0)
	v_mul_f64 v[103:104], v[101:102], v[105:106]
	v_fma_f64 v[103:104], v[99:100], v[97:98], -v[103:104]
	v_mul_f64 v[99:100], v[99:100], v[105:106]
	v_add_f64 v[37:38], v[37:38], -v[103:104]
	v_fma_f64 v[99:100], v[101:102], v[97:98], v[99:100]
	v_add_f64 v[39:40], v[39:40], -v[99:100]
	;; [unrolled: 8-line block ×10, first 2 shown]
	ds_read2_b64 v[99:102], v125 offset0:116 offset1:117
	s_waitcnt lgkmcnt(0)
	v_mul_f64 v[103:104], v[101:102], v[105:106]
	v_fma_f64 v[103:104], v[99:100], v[97:98], -v[103:104]
	v_mul_f64 v[99:100], v[99:100], v[105:106]
	v_add_f64 v[1:2], v[1:2], -v[103:104]
	v_fma_f64 v[99:100], v[101:102], v[97:98], v[99:100]
	ds_read2_b64 v[101:104], v125 offset0:118 offset1:119
	v_add_f64 v[3:4], v[3:4], -v[99:100]
	s_waitcnt lgkmcnt(0)
	v_mul_f64 v[99:100], v[103:104], v[105:106]
	v_fma_f64 v[99:100], v[101:102], v[97:98], -v[99:100]
	v_mul_f64 v[101:102], v[101:102], v[105:106]
	v_add_f64 v[121:122], v[121:122], -v[99:100]
	v_fma_f64 v[101:102], v[103:104], v[97:98], v[101:102]
	v_mov_b32_e32 v104, v98
	v_mov_b32_e32 v103, v97
	buffer_store_dword v103, off, s[20:23], 0 offset:640 ; 4-byte Folded Spill
	s_nop 0
	buffer_store_dword v104, off, s[20:23], 0 offset:644 ; 4-byte Folded Spill
	buffer_store_dword v105, off, s[20:23], 0 offset:648 ; 4-byte Folded Spill
	;; [unrolled: 1-line block ×3, first 2 shown]
	v_add_f64 v[123:124], v[123:124], -v[101:102]
.LBB119_64:
	s_or_b64 exec, exec, s[2:3]
	v_cmp_eq_u32_e32 vcc, 7, v0
	s_waitcnt vmcnt(0)
	s_barrier
	s_and_saveexec_b64 s[4:5], vcc
	s_cbranch_execz .LBB119_71
; %bb.65:
	buffer_load_dword v65, off, s[20:23], 0 offset:624 ; 4-byte Folded Reload
	buffer_load_dword v66, off, s[20:23], 0 offset:628 ; 4-byte Folded Reload
	;; [unrolled: 1-line block ×4, first 2 shown]
	s_waitcnt vmcnt(0)
	ds_write2_b64 v127, v[65:66], v[67:68] offset1:1
	buffer_load_dword v65, off, s[20:23], 0 offset:608 ; 4-byte Folded Reload
	buffer_load_dword v66, off, s[20:23], 0 offset:612 ; 4-byte Folded Reload
	buffer_load_dword v67, off, s[20:23], 0 offset:616 ; 4-byte Folded Reload
	buffer_load_dword v68, off, s[20:23], 0 offset:620 ; 4-byte Folded Reload
	s_waitcnt vmcnt(0)
	ds_write2_b64 v125, v[65:66], v[67:68] offset0:16 offset1:17
	buffer_load_dword v65, off, s[20:23], 0 offset:592 ; 4-byte Folded Reload
	buffer_load_dword v66, off, s[20:23], 0 offset:596 ; 4-byte Folded Reload
	buffer_load_dword v67, off, s[20:23], 0 offset:600 ; 4-byte Folded Reload
	buffer_load_dword v68, off, s[20:23], 0 offset:604 ; 4-byte Folded Reload
	s_waitcnt vmcnt(0)
	ds_write2_b64 v125, v[65:66], v[67:68] offset0:18 offset1:19
	;; [unrolled: 6-line block ×27, first 2 shown]
	ds_write2_b64 v125, v[93:94], v[95:96] offset0:70 offset1:71
	buffer_load_dword v41, off, s[20:23], 0 offset:176 ; 4-byte Folded Reload
	buffer_load_dword v42, off, s[20:23], 0 offset:180 ; 4-byte Folded Reload
	buffer_load_dword v43, off, s[20:23], 0 offset:184 ; 4-byte Folded Reload
	buffer_load_dword v44, off, s[20:23], 0 offset:188 ; 4-byte Folded Reload
	s_waitcnt vmcnt(0)
	ds_write2_b64 v125, v[41:42], v[43:44] offset0:72 offset1:73
	buffer_load_dword v65, off, s[20:23], 0 offset:160 ; 4-byte Folded Reload
	buffer_load_dword v66, off, s[20:23], 0 offset:164 ; 4-byte Folded Reload
	buffer_load_dword v67, off, s[20:23], 0 offset:168 ; 4-byte Folded Reload
	buffer_load_dword v68, off, s[20:23], 0 offset:172 ; 4-byte Folded Reload
	s_waitcnt vmcnt(0)
	;; [unrolled: 6-line block ×11, first 2 shown]
	ds_write2_b64 v125, v[49:50], v[51:52] offset0:92 offset1:93
	buffer_load_dword v45, off, s[20:23], 0 ; 4-byte Folded Reload
	buffer_load_dword v46, off, s[20:23], 0 offset:4 ; 4-byte Folded Reload
	buffer_load_dword v47, off, s[20:23], 0 offset:8 ; 4-byte Folded Reload
	;; [unrolled: 1-line block ×3, first 2 shown]
	s_waitcnt vmcnt(0)
	ds_write2_b64 v125, v[45:46], v[47:48] offset0:94 offset1:95
	ds_write2_b64 v125, v[113:114], v[115:116] offset0:96 offset1:97
	;; [unrolled: 1-line block ×13, first 2 shown]
	ds_read2_b64 v[97:100], v127 offset1:1
	s_waitcnt lgkmcnt(0)
	v_cmp_neq_f64_e32 vcc, 0, v[97:98]
	v_cmp_neq_f64_e64 s[2:3], 0, v[99:100]
	s_or_b64 s[2:3], vcc, s[2:3]
	s_and_b64 exec, exec, s[2:3]
	s_cbranch_execz .LBB119_71
; %bb.66:
	v_cmp_ngt_f64_e64 s[2:3], |v[97:98]|, |v[99:100]|
                                        ; implicit-def: $vgpr101_vgpr102
	s_and_saveexec_b64 s[6:7], s[2:3]
	s_xor_b64 s[2:3], exec, s[6:7]
                                        ; implicit-def: $vgpr103_vgpr104
	s_cbranch_execz .LBB119_68
; %bb.67:
	v_div_scale_f64 v[101:102], s[6:7], v[99:100], v[99:100], v[97:98]
	v_rcp_f64_e32 v[103:104], v[101:102]
	v_fma_f64 v[105:106], -v[101:102], v[103:104], 1.0
	v_fma_f64 v[103:104], v[103:104], v[105:106], v[103:104]
	v_div_scale_f64 v[105:106], vcc, v[97:98], v[99:100], v[97:98]
	v_fma_f64 v[107:108], -v[101:102], v[103:104], 1.0
	v_fma_f64 v[103:104], v[103:104], v[107:108], v[103:104]
	v_mul_f64 v[107:108], v[105:106], v[103:104]
	v_fma_f64 v[101:102], -v[101:102], v[107:108], v[105:106]
	v_div_fmas_f64 v[101:102], v[101:102], v[103:104], v[107:108]
	v_div_fixup_f64 v[101:102], v[101:102], v[99:100], v[97:98]
	v_fma_f64 v[97:98], v[97:98], v[101:102], v[99:100]
	v_div_scale_f64 v[99:100], s[6:7], v[97:98], v[97:98], 1.0
	v_div_scale_f64 v[107:108], vcc, 1.0, v[97:98], 1.0
	v_rcp_f64_e32 v[103:104], v[99:100]
	v_fma_f64 v[105:106], -v[99:100], v[103:104], 1.0
	v_fma_f64 v[103:104], v[103:104], v[105:106], v[103:104]
	v_fma_f64 v[105:106], -v[99:100], v[103:104], 1.0
	v_fma_f64 v[103:104], v[103:104], v[105:106], v[103:104]
	v_mul_f64 v[105:106], v[107:108], v[103:104]
	v_fma_f64 v[99:100], -v[99:100], v[105:106], v[107:108]
	v_div_fmas_f64 v[99:100], v[99:100], v[103:104], v[105:106]
	v_div_fixup_f64 v[103:104], v[99:100], v[97:98], 1.0
                                        ; implicit-def: $vgpr97_vgpr98
	v_mul_f64 v[101:102], v[101:102], v[103:104]
	v_xor_b32_e32 v104, 0x80000000, v104
.LBB119_68:
	s_andn2_saveexec_b64 s[2:3], s[2:3]
	s_cbranch_execz .LBB119_70
; %bb.69:
	v_div_scale_f64 v[101:102], s[6:7], v[97:98], v[97:98], v[99:100]
	v_rcp_f64_e32 v[103:104], v[101:102]
	v_fma_f64 v[105:106], -v[101:102], v[103:104], 1.0
	v_fma_f64 v[103:104], v[103:104], v[105:106], v[103:104]
	v_div_scale_f64 v[105:106], vcc, v[99:100], v[97:98], v[99:100]
	v_fma_f64 v[107:108], -v[101:102], v[103:104], 1.0
	v_fma_f64 v[103:104], v[103:104], v[107:108], v[103:104]
	v_mul_f64 v[107:108], v[105:106], v[103:104]
	v_fma_f64 v[101:102], -v[101:102], v[107:108], v[105:106]
	v_div_fmas_f64 v[101:102], v[101:102], v[103:104], v[107:108]
	v_div_fixup_f64 v[103:104], v[101:102], v[97:98], v[99:100]
	v_fma_f64 v[97:98], v[99:100], v[103:104], v[97:98]
	v_div_scale_f64 v[99:100], s[6:7], v[97:98], v[97:98], 1.0
	v_div_scale_f64 v[107:108], vcc, 1.0, v[97:98], 1.0
	v_rcp_f64_e32 v[101:102], v[99:100]
	v_fma_f64 v[105:106], -v[99:100], v[101:102], 1.0
	v_fma_f64 v[101:102], v[101:102], v[105:106], v[101:102]
	v_fma_f64 v[105:106], -v[99:100], v[101:102], 1.0
	v_fma_f64 v[101:102], v[101:102], v[105:106], v[101:102]
	v_mul_f64 v[105:106], v[107:108], v[101:102]
	v_fma_f64 v[99:100], -v[99:100], v[105:106], v[107:108]
	v_div_fmas_f64 v[99:100], v[99:100], v[101:102], v[105:106]
	v_div_fixup_f64 v[101:102], v[99:100], v[97:98], 1.0
	v_mul_f64 v[103:104], v[103:104], -v[101:102]
.LBB119_70:
	s_or_b64 exec, exec, s[2:3]
	ds_write2_b64 v127, v[101:102], v[103:104] offset1:1
.LBB119_71:
	s_or_b64 exec, exec, s[4:5]
	s_waitcnt lgkmcnt(0)
	s_barrier
	ds_read2_b64 v[65:68], v127 offset1:1
	v_cmp_lt_u32_e32 vcc, 7, v0
	s_waitcnt lgkmcnt(0)
	buffer_store_dword v65, off, s[20:23], 0 offset:1336 ; 4-byte Folded Spill
	s_nop 0
	buffer_store_dword v66, off, s[20:23], 0 offset:1340 ; 4-byte Folded Spill
	buffer_store_dword v67, off, s[20:23], 0 offset:1344 ; 4-byte Folded Spill
	buffer_store_dword v68, off, s[20:23], 0 offset:1348 ; 4-byte Folded Spill
	s_and_saveexec_b64 s[2:3], vcc
	s_cbranch_execz .LBB119_73
; %bb.72:
	buffer_load_dword v103, off, s[20:23], 0 offset:624 ; 4-byte Folded Reload
	buffer_load_dword v104, off, s[20:23], 0 offset:628 ; 4-byte Folded Reload
	buffer_load_dword v105, off, s[20:23], 0 offset:632 ; 4-byte Folded Reload
	buffer_load_dword v106, off, s[20:23], 0 offset:636 ; 4-byte Folded Reload
	buffer_load_dword v65, off, s[20:23], 0 offset:1336 ; 4-byte Folded Reload
	buffer_load_dword v66, off, s[20:23], 0 offset:1340 ; 4-byte Folded Reload
	buffer_load_dword v67, off, s[20:23], 0 offset:1344 ; 4-byte Folded Reload
	buffer_load_dword v68, off, s[20:23], 0 offset:1348 ; 4-byte Folded Reload
	s_waitcnt vmcnt(2)
	v_mul_f64 v[99:100], v[65:66], v[105:106]
	s_waitcnt vmcnt(0)
	v_mul_f64 v[97:98], v[67:68], v[105:106]
	v_fma_f64 v[105:106], v[67:68], v[103:104], v[99:100]
	ds_read2_b64 v[99:102], v125 offset0:16 offset1:17
	v_fma_f64 v[97:98], v[65:66], v[103:104], -v[97:98]
	buffer_load_dword v65, off, s[20:23], 0 offset:608 ; 4-byte Folded Reload
	buffer_load_dword v66, off, s[20:23], 0 offset:612 ; 4-byte Folded Reload
	buffer_load_dword v67, off, s[20:23], 0 offset:616 ; 4-byte Folded Reload
	buffer_load_dword v68, off, s[20:23], 0 offset:620 ; 4-byte Folded Reload
	s_waitcnt lgkmcnt(0)
	v_mul_f64 v[103:104], v[101:102], v[105:106]
	v_fma_f64 v[103:104], v[99:100], v[97:98], -v[103:104]
	v_mul_f64 v[99:100], v[99:100], v[105:106]
	v_fma_f64 v[99:100], v[101:102], v[97:98], v[99:100]
	s_waitcnt vmcnt(2)
	v_add_f64 v[65:66], v[65:66], -v[103:104]
	s_waitcnt vmcnt(0)
	v_add_f64 v[67:68], v[67:68], -v[99:100]
	buffer_store_dword v65, off, s[20:23], 0 offset:608 ; 4-byte Folded Spill
	s_nop 0
	buffer_store_dword v66, off, s[20:23], 0 offset:612 ; 4-byte Folded Spill
	buffer_store_dword v67, off, s[20:23], 0 offset:616 ; 4-byte Folded Spill
	buffer_store_dword v68, off, s[20:23], 0 offset:620 ; 4-byte Folded Spill
	ds_read2_b64 v[99:102], v125 offset0:18 offset1:19
	buffer_load_dword v65, off, s[20:23], 0 offset:592 ; 4-byte Folded Reload
	buffer_load_dword v66, off, s[20:23], 0 offset:596 ; 4-byte Folded Reload
	buffer_load_dword v67, off, s[20:23], 0 offset:600 ; 4-byte Folded Reload
	buffer_load_dword v68, off, s[20:23], 0 offset:604 ; 4-byte Folded Reload
	s_waitcnt lgkmcnt(0)
	v_mul_f64 v[103:104], v[101:102], v[105:106]
	v_fma_f64 v[103:104], v[99:100], v[97:98], -v[103:104]
	v_mul_f64 v[99:100], v[99:100], v[105:106]
	v_fma_f64 v[99:100], v[101:102], v[97:98], v[99:100]
	s_waitcnt vmcnt(2)
	v_add_f64 v[65:66], v[65:66], -v[103:104]
	s_waitcnt vmcnt(0)
	v_add_f64 v[67:68], v[67:68], -v[99:100]
	buffer_store_dword v65, off, s[20:23], 0 offset:592 ; 4-byte Folded Spill
	s_nop 0
	buffer_store_dword v66, off, s[20:23], 0 offset:596 ; 4-byte Folded Spill
	buffer_store_dword v67, off, s[20:23], 0 offset:600 ; 4-byte Folded Spill
	buffer_store_dword v68, off, s[20:23], 0 offset:604 ; 4-byte Folded Spill
	ds_read2_b64 v[99:102], v125 offset0:20 offset1:21
	buffer_load_dword v65, off, s[20:23], 0 offset:576 ; 4-byte Folded Reload
	buffer_load_dword v66, off, s[20:23], 0 offset:580 ; 4-byte Folded Reload
	buffer_load_dword v67, off, s[20:23], 0 offset:584 ; 4-byte Folded Reload
	buffer_load_dword v68, off, s[20:23], 0 offset:588 ; 4-byte Folded Reload
	s_waitcnt lgkmcnt(0)
	v_mul_f64 v[103:104], v[101:102], v[105:106]
	v_fma_f64 v[103:104], v[99:100], v[97:98], -v[103:104]
	v_mul_f64 v[99:100], v[99:100], v[105:106]
	v_fma_f64 v[99:100], v[101:102], v[97:98], v[99:100]
	s_waitcnt vmcnt(2)
	v_add_f64 v[65:66], v[65:66], -v[103:104]
	s_waitcnt vmcnt(0)
	v_add_f64 v[67:68], v[67:68], -v[99:100]
	buffer_store_dword v65, off, s[20:23], 0 offset:576 ; 4-byte Folded Spill
	s_nop 0
	buffer_store_dword v66, off, s[20:23], 0 offset:580 ; 4-byte Folded Spill
	buffer_store_dword v67, off, s[20:23], 0 offset:584 ; 4-byte Folded Spill
	buffer_store_dword v68, off, s[20:23], 0 offset:588 ; 4-byte Folded Spill
	ds_read2_b64 v[99:102], v125 offset0:22 offset1:23
	buffer_load_dword v65, off, s[20:23], 0 offset:560 ; 4-byte Folded Reload
	buffer_load_dword v66, off, s[20:23], 0 offset:564 ; 4-byte Folded Reload
	buffer_load_dword v67, off, s[20:23], 0 offset:568 ; 4-byte Folded Reload
	buffer_load_dword v68, off, s[20:23], 0 offset:572 ; 4-byte Folded Reload
	s_waitcnt lgkmcnt(0)
	v_mul_f64 v[103:104], v[101:102], v[105:106]
	v_fma_f64 v[103:104], v[99:100], v[97:98], -v[103:104]
	v_mul_f64 v[99:100], v[99:100], v[105:106]
	v_fma_f64 v[99:100], v[101:102], v[97:98], v[99:100]
	s_waitcnt vmcnt(2)
	v_add_f64 v[65:66], v[65:66], -v[103:104]
	s_waitcnt vmcnt(0)
	v_add_f64 v[67:68], v[67:68], -v[99:100]
	buffer_store_dword v65, off, s[20:23], 0 offset:560 ; 4-byte Folded Spill
	s_nop 0
	buffer_store_dword v66, off, s[20:23], 0 offset:564 ; 4-byte Folded Spill
	buffer_store_dword v67, off, s[20:23], 0 offset:568 ; 4-byte Folded Spill
	buffer_store_dword v68, off, s[20:23], 0 offset:572 ; 4-byte Folded Spill
	ds_read2_b64 v[99:102], v125 offset0:24 offset1:25
	buffer_load_dword v65, off, s[20:23], 0 offset:544 ; 4-byte Folded Reload
	buffer_load_dword v66, off, s[20:23], 0 offset:548 ; 4-byte Folded Reload
	buffer_load_dword v67, off, s[20:23], 0 offset:552 ; 4-byte Folded Reload
	buffer_load_dword v68, off, s[20:23], 0 offset:556 ; 4-byte Folded Reload
	s_waitcnt lgkmcnt(0)
	v_mul_f64 v[103:104], v[101:102], v[105:106]
	v_fma_f64 v[103:104], v[99:100], v[97:98], -v[103:104]
	v_mul_f64 v[99:100], v[99:100], v[105:106]
	v_fma_f64 v[99:100], v[101:102], v[97:98], v[99:100]
	s_waitcnt vmcnt(2)
	v_add_f64 v[65:66], v[65:66], -v[103:104]
	s_waitcnt vmcnt(0)
	v_add_f64 v[67:68], v[67:68], -v[99:100]
	buffer_store_dword v65, off, s[20:23], 0 offset:544 ; 4-byte Folded Spill
	s_nop 0
	buffer_store_dword v66, off, s[20:23], 0 offset:548 ; 4-byte Folded Spill
	buffer_store_dword v67, off, s[20:23], 0 offset:552 ; 4-byte Folded Spill
	buffer_store_dword v68, off, s[20:23], 0 offset:556 ; 4-byte Folded Spill
	ds_read2_b64 v[99:102], v125 offset0:26 offset1:27
	buffer_load_dword v65, off, s[20:23], 0 offset:528 ; 4-byte Folded Reload
	buffer_load_dword v66, off, s[20:23], 0 offset:532 ; 4-byte Folded Reload
	buffer_load_dword v67, off, s[20:23], 0 offset:536 ; 4-byte Folded Reload
	buffer_load_dword v68, off, s[20:23], 0 offset:540 ; 4-byte Folded Reload
	s_waitcnt lgkmcnt(0)
	v_mul_f64 v[103:104], v[101:102], v[105:106]
	v_fma_f64 v[103:104], v[99:100], v[97:98], -v[103:104]
	v_mul_f64 v[99:100], v[99:100], v[105:106]
	v_fma_f64 v[99:100], v[101:102], v[97:98], v[99:100]
	s_waitcnt vmcnt(2)
	v_add_f64 v[65:66], v[65:66], -v[103:104]
	s_waitcnt vmcnt(0)
	v_add_f64 v[67:68], v[67:68], -v[99:100]
	buffer_store_dword v65, off, s[20:23], 0 offset:528 ; 4-byte Folded Spill
	s_nop 0
	buffer_store_dword v66, off, s[20:23], 0 offset:532 ; 4-byte Folded Spill
	buffer_store_dword v67, off, s[20:23], 0 offset:536 ; 4-byte Folded Spill
	buffer_store_dword v68, off, s[20:23], 0 offset:540 ; 4-byte Folded Spill
	ds_read2_b64 v[99:102], v125 offset0:28 offset1:29
	buffer_load_dword v65, off, s[20:23], 0 offset:512 ; 4-byte Folded Reload
	buffer_load_dword v66, off, s[20:23], 0 offset:516 ; 4-byte Folded Reload
	buffer_load_dword v67, off, s[20:23], 0 offset:520 ; 4-byte Folded Reload
	buffer_load_dword v68, off, s[20:23], 0 offset:524 ; 4-byte Folded Reload
	s_waitcnt lgkmcnt(0)
	v_mul_f64 v[103:104], v[101:102], v[105:106]
	v_fma_f64 v[103:104], v[99:100], v[97:98], -v[103:104]
	v_mul_f64 v[99:100], v[99:100], v[105:106]
	v_fma_f64 v[99:100], v[101:102], v[97:98], v[99:100]
	s_waitcnt vmcnt(2)
	v_add_f64 v[65:66], v[65:66], -v[103:104]
	s_waitcnt vmcnt(0)
	v_add_f64 v[67:68], v[67:68], -v[99:100]
	buffer_store_dword v65, off, s[20:23], 0 offset:512 ; 4-byte Folded Spill
	s_nop 0
	buffer_store_dword v66, off, s[20:23], 0 offset:516 ; 4-byte Folded Spill
	buffer_store_dword v67, off, s[20:23], 0 offset:520 ; 4-byte Folded Spill
	buffer_store_dword v68, off, s[20:23], 0 offset:524 ; 4-byte Folded Spill
	ds_read2_b64 v[99:102], v125 offset0:30 offset1:31
	buffer_load_dword v65, off, s[20:23], 0 offset:496 ; 4-byte Folded Reload
	buffer_load_dword v66, off, s[20:23], 0 offset:500 ; 4-byte Folded Reload
	buffer_load_dword v67, off, s[20:23], 0 offset:504 ; 4-byte Folded Reload
	buffer_load_dword v68, off, s[20:23], 0 offset:508 ; 4-byte Folded Reload
	s_waitcnt lgkmcnt(0)
	v_mul_f64 v[103:104], v[101:102], v[105:106]
	v_fma_f64 v[103:104], v[99:100], v[97:98], -v[103:104]
	v_mul_f64 v[99:100], v[99:100], v[105:106]
	v_fma_f64 v[99:100], v[101:102], v[97:98], v[99:100]
	s_waitcnt vmcnt(2)
	v_add_f64 v[65:66], v[65:66], -v[103:104]
	s_waitcnt vmcnt(0)
	v_add_f64 v[67:68], v[67:68], -v[99:100]
	buffer_store_dword v65, off, s[20:23], 0 offset:496 ; 4-byte Folded Spill
	s_nop 0
	buffer_store_dword v66, off, s[20:23], 0 offset:500 ; 4-byte Folded Spill
	buffer_store_dword v67, off, s[20:23], 0 offset:504 ; 4-byte Folded Spill
	buffer_store_dword v68, off, s[20:23], 0 offset:508 ; 4-byte Folded Spill
	ds_read2_b64 v[99:102], v125 offset0:32 offset1:33
	buffer_load_dword v65, off, s[20:23], 0 offset:480 ; 4-byte Folded Reload
	buffer_load_dword v66, off, s[20:23], 0 offset:484 ; 4-byte Folded Reload
	buffer_load_dword v67, off, s[20:23], 0 offset:488 ; 4-byte Folded Reload
	buffer_load_dword v68, off, s[20:23], 0 offset:492 ; 4-byte Folded Reload
	s_waitcnt lgkmcnt(0)
	v_mul_f64 v[103:104], v[101:102], v[105:106]
	v_fma_f64 v[103:104], v[99:100], v[97:98], -v[103:104]
	v_mul_f64 v[99:100], v[99:100], v[105:106]
	v_fma_f64 v[99:100], v[101:102], v[97:98], v[99:100]
	s_waitcnt vmcnt(2)
	v_add_f64 v[65:66], v[65:66], -v[103:104]
	s_waitcnt vmcnt(0)
	v_add_f64 v[67:68], v[67:68], -v[99:100]
	buffer_store_dword v65, off, s[20:23], 0 offset:480 ; 4-byte Folded Spill
	s_nop 0
	buffer_store_dword v66, off, s[20:23], 0 offset:484 ; 4-byte Folded Spill
	buffer_store_dword v67, off, s[20:23], 0 offset:488 ; 4-byte Folded Spill
	buffer_store_dword v68, off, s[20:23], 0 offset:492 ; 4-byte Folded Spill
	ds_read2_b64 v[99:102], v125 offset0:34 offset1:35
	buffer_load_dword v65, off, s[20:23], 0 offset:464 ; 4-byte Folded Reload
	buffer_load_dword v66, off, s[20:23], 0 offset:468 ; 4-byte Folded Reload
	buffer_load_dword v67, off, s[20:23], 0 offset:472 ; 4-byte Folded Reload
	buffer_load_dword v68, off, s[20:23], 0 offset:476 ; 4-byte Folded Reload
	s_waitcnt lgkmcnt(0)
	v_mul_f64 v[103:104], v[101:102], v[105:106]
	v_fma_f64 v[103:104], v[99:100], v[97:98], -v[103:104]
	v_mul_f64 v[99:100], v[99:100], v[105:106]
	v_fma_f64 v[99:100], v[101:102], v[97:98], v[99:100]
	s_waitcnt vmcnt(2)
	v_add_f64 v[65:66], v[65:66], -v[103:104]
	s_waitcnt vmcnt(0)
	v_add_f64 v[67:68], v[67:68], -v[99:100]
	buffer_store_dword v65, off, s[20:23], 0 offset:464 ; 4-byte Folded Spill
	s_nop 0
	buffer_store_dword v66, off, s[20:23], 0 offset:468 ; 4-byte Folded Spill
	buffer_store_dword v67, off, s[20:23], 0 offset:472 ; 4-byte Folded Spill
	buffer_store_dword v68, off, s[20:23], 0 offset:476 ; 4-byte Folded Spill
	ds_read2_b64 v[99:102], v125 offset0:36 offset1:37
	buffer_load_dword v65, off, s[20:23], 0 offset:448 ; 4-byte Folded Reload
	buffer_load_dword v66, off, s[20:23], 0 offset:452 ; 4-byte Folded Reload
	buffer_load_dword v67, off, s[20:23], 0 offset:456 ; 4-byte Folded Reload
	buffer_load_dword v68, off, s[20:23], 0 offset:460 ; 4-byte Folded Reload
	s_waitcnt lgkmcnt(0)
	v_mul_f64 v[103:104], v[101:102], v[105:106]
	v_fma_f64 v[103:104], v[99:100], v[97:98], -v[103:104]
	v_mul_f64 v[99:100], v[99:100], v[105:106]
	v_fma_f64 v[99:100], v[101:102], v[97:98], v[99:100]
	s_waitcnt vmcnt(2)
	v_add_f64 v[65:66], v[65:66], -v[103:104]
	s_waitcnt vmcnt(0)
	v_add_f64 v[67:68], v[67:68], -v[99:100]
	buffer_store_dword v65, off, s[20:23], 0 offset:448 ; 4-byte Folded Spill
	s_nop 0
	buffer_store_dword v66, off, s[20:23], 0 offset:452 ; 4-byte Folded Spill
	buffer_store_dword v67, off, s[20:23], 0 offset:456 ; 4-byte Folded Spill
	buffer_store_dword v68, off, s[20:23], 0 offset:460 ; 4-byte Folded Spill
	ds_read2_b64 v[99:102], v125 offset0:38 offset1:39
	buffer_load_dword v65, off, s[20:23], 0 offset:432 ; 4-byte Folded Reload
	buffer_load_dword v66, off, s[20:23], 0 offset:436 ; 4-byte Folded Reload
	buffer_load_dword v67, off, s[20:23], 0 offset:440 ; 4-byte Folded Reload
	buffer_load_dword v68, off, s[20:23], 0 offset:444 ; 4-byte Folded Reload
	s_waitcnt lgkmcnt(0)
	v_mul_f64 v[103:104], v[101:102], v[105:106]
	v_fma_f64 v[103:104], v[99:100], v[97:98], -v[103:104]
	v_mul_f64 v[99:100], v[99:100], v[105:106]
	v_fma_f64 v[99:100], v[101:102], v[97:98], v[99:100]
	s_waitcnt vmcnt(2)
	v_add_f64 v[65:66], v[65:66], -v[103:104]
	s_waitcnt vmcnt(0)
	v_add_f64 v[67:68], v[67:68], -v[99:100]
	buffer_store_dword v65, off, s[20:23], 0 offset:432 ; 4-byte Folded Spill
	s_nop 0
	buffer_store_dword v66, off, s[20:23], 0 offset:436 ; 4-byte Folded Spill
	buffer_store_dword v67, off, s[20:23], 0 offset:440 ; 4-byte Folded Spill
	buffer_store_dword v68, off, s[20:23], 0 offset:444 ; 4-byte Folded Spill
	ds_read2_b64 v[99:102], v125 offset0:40 offset1:41
	buffer_load_dword v65, off, s[20:23], 0 offset:416 ; 4-byte Folded Reload
	buffer_load_dword v66, off, s[20:23], 0 offset:420 ; 4-byte Folded Reload
	buffer_load_dword v67, off, s[20:23], 0 offset:424 ; 4-byte Folded Reload
	buffer_load_dword v68, off, s[20:23], 0 offset:428 ; 4-byte Folded Reload
	s_waitcnt lgkmcnt(0)
	v_mul_f64 v[103:104], v[101:102], v[105:106]
	v_fma_f64 v[103:104], v[99:100], v[97:98], -v[103:104]
	v_mul_f64 v[99:100], v[99:100], v[105:106]
	v_fma_f64 v[99:100], v[101:102], v[97:98], v[99:100]
	s_waitcnt vmcnt(2)
	v_add_f64 v[65:66], v[65:66], -v[103:104]
	s_waitcnt vmcnt(0)
	v_add_f64 v[67:68], v[67:68], -v[99:100]
	buffer_store_dword v65, off, s[20:23], 0 offset:416 ; 4-byte Folded Spill
	s_nop 0
	buffer_store_dword v66, off, s[20:23], 0 offset:420 ; 4-byte Folded Spill
	buffer_store_dword v67, off, s[20:23], 0 offset:424 ; 4-byte Folded Spill
	buffer_store_dword v68, off, s[20:23], 0 offset:428 ; 4-byte Folded Spill
	ds_read2_b64 v[99:102], v125 offset0:42 offset1:43
	buffer_load_dword v65, off, s[20:23], 0 offset:400 ; 4-byte Folded Reload
	buffer_load_dword v66, off, s[20:23], 0 offset:404 ; 4-byte Folded Reload
	buffer_load_dword v67, off, s[20:23], 0 offset:408 ; 4-byte Folded Reload
	buffer_load_dword v68, off, s[20:23], 0 offset:412 ; 4-byte Folded Reload
	s_waitcnt lgkmcnt(0)
	v_mul_f64 v[103:104], v[101:102], v[105:106]
	v_fma_f64 v[103:104], v[99:100], v[97:98], -v[103:104]
	v_mul_f64 v[99:100], v[99:100], v[105:106]
	v_fma_f64 v[99:100], v[101:102], v[97:98], v[99:100]
	s_waitcnt vmcnt(2)
	v_add_f64 v[65:66], v[65:66], -v[103:104]
	s_waitcnt vmcnt(0)
	v_add_f64 v[67:68], v[67:68], -v[99:100]
	buffer_store_dword v65, off, s[20:23], 0 offset:400 ; 4-byte Folded Spill
	s_nop 0
	buffer_store_dword v66, off, s[20:23], 0 offset:404 ; 4-byte Folded Spill
	buffer_store_dword v67, off, s[20:23], 0 offset:408 ; 4-byte Folded Spill
	buffer_store_dword v68, off, s[20:23], 0 offset:412 ; 4-byte Folded Spill
	ds_read2_b64 v[99:102], v125 offset0:44 offset1:45
	buffer_load_dword v65, off, s[20:23], 0 offset:384 ; 4-byte Folded Reload
	buffer_load_dword v66, off, s[20:23], 0 offset:388 ; 4-byte Folded Reload
	buffer_load_dword v67, off, s[20:23], 0 offset:392 ; 4-byte Folded Reload
	buffer_load_dword v68, off, s[20:23], 0 offset:396 ; 4-byte Folded Reload
	s_waitcnt lgkmcnt(0)
	v_mul_f64 v[103:104], v[101:102], v[105:106]
	v_fma_f64 v[103:104], v[99:100], v[97:98], -v[103:104]
	v_mul_f64 v[99:100], v[99:100], v[105:106]
	v_fma_f64 v[99:100], v[101:102], v[97:98], v[99:100]
	s_waitcnt vmcnt(2)
	v_add_f64 v[65:66], v[65:66], -v[103:104]
	s_waitcnt vmcnt(0)
	v_add_f64 v[67:68], v[67:68], -v[99:100]
	buffer_store_dword v65, off, s[20:23], 0 offset:384 ; 4-byte Folded Spill
	s_nop 0
	buffer_store_dword v66, off, s[20:23], 0 offset:388 ; 4-byte Folded Spill
	buffer_store_dword v67, off, s[20:23], 0 offset:392 ; 4-byte Folded Spill
	buffer_store_dword v68, off, s[20:23], 0 offset:396 ; 4-byte Folded Spill
	ds_read2_b64 v[99:102], v125 offset0:46 offset1:47
	buffer_load_dword v65, off, s[20:23], 0 offset:368 ; 4-byte Folded Reload
	buffer_load_dword v66, off, s[20:23], 0 offset:372 ; 4-byte Folded Reload
	buffer_load_dword v67, off, s[20:23], 0 offset:376 ; 4-byte Folded Reload
	buffer_load_dword v68, off, s[20:23], 0 offset:380 ; 4-byte Folded Reload
	s_waitcnt lgkmcnt(0)
	v_mul_f64 v[103:104], v[101:102], v[105:106]
	v_fma_f64 v[103:104], v[99:100], v[97:98], -v[103:104]
	v_mul_f64 v[99:100], v[99:100], v[105:106]
	v_fma_f64 v[99:100], v[101:102], v[97:98], v[99:100]
	s_waitcnt vmcnt(2)
	v_add_f64 v[65:66], v[65:66], -v[103:104]
	s_waitcnt vmcnt(0)
	v_add_f64 v[67:68], v[67:68], -v[99:100]
	buffer_store_dword v65, off, s[20:23], 0 offset:368 ; 4-byte Folded Spill
	s_nop 0
	buffer_store_dword v66, off, s[20:23], 0 offset:372 ; 4-byte Folded Spill
	buffer_store_dword v67, off, s[20:23], 0 offset:376 ; 4-byte Folded Spill
	buffer_store_dword v68, off, s[20:23], 0 offset:380 ; 4-byte Folded Spill
	ds_read2_b64 v[99:102], v125 offset0:48 offset1:49
	buffer_load_dword v65, off, s[20:23], 0 offset:352 ; 4-byte Folded Reload
	buffer_load_dword v66, off, s[20:23], 0 offset:356 ; 4-byte Folded Reload
	buffer_load_dword v67, off, s[20:23], 0 offset:360 ; 4-byte Folded Reload
	buffer_load_dword v68, off, s[20:23], 0 offset:364 ; 4-byte Folded Reload
	s_waitcnt lgkmcnt(0)
	v_mul_f64 v[103:104], v[101:102], v[105:106]
	v_fma_f64 v[103:104], v[99:100], v[97:98], -v[103:104]
	v_mul_f64 v[99:100], v[99:100], v[105:106]
	v_fma_f64 v[99:100], v[101:102], v[97:98], v[99:100]
	s_waitcnt vmcnt(2)
	v_add_f64 v[65:66], v[65:66], -v[103:104]
	s_waitcnt vmcnt(0)
	v_add_f64 v[67:68], v[67:68], -v[99:100]
	buffer_store_dword v65, off, s[20:23], 0 offset:352 ; 4-byte Folded Spill
	s_nop 0
	buffer_store_dword v66, off, s[20:23], 0 offset:356 ; 4-byte Folded Spill
	buffer_store_dword v67, off, s[20:23], 0 offset:360 ; 4-byte Folded Spill
	buffer_store_dword v68, off, s[20:23], 0 offset:364 ; 4-byte Folded Spill
	ds_read2_b64 v[99:102], v125 offset0:50 offset1:51
	buffer_load_dword v65, off, s[20:23], 0 offset:336 ; 4-byte Folded Reload
	buffer_load_dword v66, off, s[20:23], 0 offset:340 ; 4-byte Folded Reload
	buffer_load_dword v67, off, s[20:23], 0 offset:344 ; 4-byte Folded Reload
	buffer_load_dword v68, off, s[20:23], 0 offset:348 ; 4-byte Folded Reload
	s_waitcnt lgkmcnt(0)
	v_mul_f64 v[103:104], v[101:102], v[105:106]
	v_fma_f64 v[103:104], v[99:100], v[97:98], -v[103:104]
	v_mul_f64 v[99:100], v[99:100], v[105:106]
	v_fma_f64 v[99:100], v[101:102], v[97:98], v[99:100]
	s_waitcnt vmcnt(2)
	v_add_f64 v[65:66], v[65:66], -v[103:104]
	s_waitcnt vmcnt(0)
	v_add_f64 v[67:68], v[67:68], -v[99:100]
	buffer_store_dword v65, off, s[20:23], 0 offset:336 ; 4-byte Folded Spill
	s_nop 0
	buffer_store_dword v66, off, s[20:23], 0 offset:340 ; 4-byte Folded Spill
	buffer_store_dword v67, off, s[20:23], 0 offset:344 ; 4-byte Folded Spill
	buffer_store_dword v68, off, s[20:23], 0 offset:348 ; 4-byte Folded Spill
	ds_read2_b64 v[99:102], v125 offset0:52 offset1:53
	buffer_load_dword v65, off, s[20:23], 0 offset:320 ; 4-byte Folded Reload
	buffer_load_dword v66, off, s[20:23], 0 offset:324 ; 4-byte Folded Reload
	buffer_load_dword v67, off, s[20:23], 0 offset:328 ; 4-byte Folded Reload
	buffer_load_dword v68, off, s[20:23], 0 offset:332 ; 4-byte Folded Reload
	s_waitcnt lgkmcnt(0)
	v_mul_f64 v[103:104], v[101:102], v[105:106]
	v_fma_f64 v[103:104], v[99:100], v[97:98], -v[103:104]
	v_mul_f64 v[99:100], v[99:100], v[105:106]
	v_fma_f64 v[99:100], v[101:102], v[97:98], v[99:100]
	s_waitcnt vmcnt(2)
	v_add_f64 v[65:66], v[65:66], -v[103:104]
	s_waitcnt vmcnt(0)
	v_add_f64 v[67:68], v[67:68], -v[99:100]
	buffer_store_dword v65, off, s[20:23], 0 offset:320 ; 4-byte Folded Spill
	s_nop 0
	buffer_store_dword v66, off, s[20:23], 0 offset:324 ; 4-byte Folded Spill
	buffer_store_dword v67, off, s[20:23], 0 offset:328 ; 4-byte Folded Spill
	buffer_store_dword v68, off, s[20:23], 0 offset:332 ; 4-byte Folded Spill
	ds_read2_b64 v[99:102], v125 offset0:54 offset1:55
	buffer_load_dword v65, off, s[20:23], 0 offset:304 ; 4-byte Folded Reload
	buffer_load_dword v66, off, s[20:23], 0 offset:308 ; 4-byte Folded Reload
	buffer_load_dword v67, off, s[20:23], 0 offset:312 ; 4-byte Folded Reload
	buffer_load_dword v68, off, s[20:23], 0 offset:316 ; 4-byte Folded Reload
	s_waitcnt lgkmcnt(0)
	v_mul_f64 v[103:104], v[101:102], v[105:106]
	v_fma_f64 v[103:104], v[99:100], v[97:98], -v[103:104]
	v_mul_f64 v[99:100], v[99:100], v[105:106]
	v_fma_f64 v[99:100], v[101:102], v[97:98], v[99:100]
	s_waitcnt vmcnt(2)
	v_add_f64 v[65:66], v[65:66], -v[103:104]
	s_waitcnt vmcnt(0)
	v_add_f64 v[67:68], v[67:68], -v[99:100]
	buffer_store_dword v65, off, s[20:23], 0 offset:304 ; 4-byte Folded Spill
	s_nop 0
	buffer_store_dword v66, off, s[20:23], 0 offset:308 ; 4-byte Folded Spill
	buffer_store_dword v67, off, s[20:23], 0 offset:312 ; 4-byte Folded Spill
	buffer_store_dword v68, off, s[20:23], 0 offset:316 ; 4-byte Folded Spill
	ds_read2_b64 v[99:102], v125 offset0:56 offset1:57
	buffer_load_dword v65, off, s[20:23], 0 offset:288 ; 4-byte Folded Reload
	buffer_load_dword v66, off, s[20:23], 0 offset:292 ; 4-byte Folded Reload
	buffer_load_dword v67, off, s[20:23], 0 offset:296 ; 4-byte Folded Reload
	buffer_load_dword v68, off, s[20:23], 0 offset:300 ; 4-byte Folded Reload
	s_waitcnt lgkmcnt(0)
	v_mul_f64 v[103:104], v[101:102], v[105:106]
	v_fma_f64 v[103:104], v[99:100], v[97:98], -v[103:104]
	v_mul_f64 v[99:100], v[99:100], v[105:106]
	v_fma_f64 v[99:100], v[101:102], v[97:98], v[99:100]
	s_waitcnt vmcnt(2)
	v_add_f64 v[65:66], v[65:66], -v[103:104]
	s_waitcnt vmcnt(0)
	v_add_f64 v[67:68], v[67:68], -v[99:100]
	buffer_store_dword v65, off, s[20:23], 0 offset:288 ; 4-byte Folded Spill
	s_nop 0
	buffer_store_dword v66, off, s[20:23], 0 offset:292 ; 4-byte Folded Spill
	buffer_store_dword v67, off, s[20:23], 0 offset:296 ; 4-byte Folded Spill
	buffer_store_dword v68, off, s[20:23], 0 offset:300 ; 4-byte Folded Spill
	ds_read2_b64 v[99:102], v125 offset0:58 offset1:59
	buffer_load_dword v65, off, s[20:23], 0 offset:272 ; 4-byte Folded Reload
	buffer_load_dword v66, off, s[20:23], 0 offset:276 ; 4-byte Folded Reload
	buffer_load_dword v67, off, s[20:23], 0 offset:280 ; 4-byte Folded Reload
	buffer_load_dword v68, off, s[20:23], 0 offset:284 ; 4-byte Folded Reload
	s_waitcnt lgkmcnt(0)
	v_mul_f64 v[103:104], v[101:102], v[105:106]
	v_fma_f64 v[103:104], v[99:100], v[97:98], -v[103:104]
	v_mul_f64 v[99:100], v[99:100], v[105:106]
	v_fma_f64 v[99:100], v[101:102], v[97:98], v[99:100]
	s_waitcnt vmcnt(2)
	v_add_f64 v[65:66], v[65:66], -v[103:104]
	s_waitcnt vmcnt(0)
	v_add_f64 v[67:68], v[67:68], -v[99:100]
	buffer_store_dword v65, off, s[20:23], 0 offset:272 ; 4-byte Folded Spill
	s_nop 0
	buffer_store_dword v66, off, s[20:23], 0 offset:276 ; 4-byte Folded Spill
	buffer_store_dword v67, off, s[20:23], 0 offset:280 ; 4-byte Folded Spill
	buffer_store_dword v68, off, s[20:23], 0 offset:284 ; 4-byte Folded Spill
	ds_read2_b64 v[99:102], v125 offset0:60 offset1:61
	buffer_load_dword v65, off, s[20:23], 0 offset:256 ; 4-byte Folded Reload
	buffer_load_dword v66, off, s[20:23], 0 offset:260 ; 4-byte Folded Reload
	buffer_load_dword v67, off, s[20:23], 0 offset:264 ; 4-byte Folded Reload
	buffer_load_dword v68, off, s[20:23], 0 offset:268 ; 4-byte Folded Reload
	s_waitcnt lgkmcnt(0)
	v_mul_f64 v[103:104], v[101:102], v[105:106]
	v_fma_f64 v[103:104], v[99:100], v[97:98], -v[103:104]
	v_mul_f64 v[99:100], v[99:100], v[105:106]
	v_fma_f64 v[99:100], v[101:102], v[97:98], v[99:100]
	s_waitcnt vmcnt(2)
	v_add_f64 v[65:66], v[65:66], -v[103:104]
	s_waitcnt vmcnt(0)
	v_add_f64 v[67:68], v[67:68], -v[99:100]
	buffer_store_dword v65, off, s[20:23], 0 offset:256 ; 4-byte Folded Spill
	s_nop 0
	buffer_store_dword v66, off, s[20:23], 0 offset:260 ; 4-byte Folded Spill
	buffer_store_dword v67, off, s[20:23], 0 offset:264 ; 4-byte Folded Spill
	buffer_store_dword v68, off, s[20:23], 0 offset:268 ; 4-byte Folded Spill
	ds_read2_b64 v[99:102], v125 offset0:62 offset1:63
	buffer_load_dword v65, off, s[20:23], 0 offset:240 ; 4-byte Folded Reload
	buffer_load_dword v66, off, s[20:23], 0 offset:244 ; 4-byte Folded Reload
	buffer_load_dword v67, off, s[20:23], 0 offset:248 ; 4-byte Folded Reload
	buffer_load_dword v68, off, s[20:23], 0 offset:252 ; 4-byte Folded Reload
	s_waitcnt lgkmcnt(0)
	v_mul_f64 v[103:104], v[101:102], v[105:106]
	v_fma_f64 v[103:104], v[99:100], v[97:98], -v[103:104]
	v_mul_f64 v[99:100], v[99:100], v[105:106]
	v_fma_f64 v[99:100], v[101:102], v[97:98], v[99:100]
	s_waitcnt vmcnt(2)
	v_add_f64 v[65:66], v[65:66], -v[103:104]
	s_waitcnt vmcnt(0)
	v_add_f64 v[67:68], v[67:68], -v[99:100]
	buffer_store_dword v65, off, s[20:23], 0 offset:240 ; 4-byte Folded Spill
	s_nop 0
	buffer_store_dword v66, off, s[20:23], 0 offset:244 ; 4-byte Folded Spill
	buffer_store_dword v67, off, s[20:23], 0 offset:248 ; 4-byte Folded Spill
	buffer_store_dword v68, off, s[20:23], 0 offset:252 ; 4-byte Folded Spill
	ds_read2_b64 v[99:102], v125 offset0:64 offset1:65
	buffer_load_dword v65, off, s[20:23], 0 offset:224 ; 4-byte Folded Reload
	buffer_load_dword v66, off, s[20:23], 0 offset:228 ; 4-byte Folded Reload
	buffer_load_dword v67, off, s[20:23], 0 offset:232 ; 4-byte Folded Reload
	buffer_load_dword v68, off, s[20:23], 0 offset:236 ; 4-byte Folded Reload
	s_waitcnt lgkmcnt(0)
	v_mul_f64 v[103:104], v[101:102], v[105:106]
	v_fma_f64 v[103:104], v[99:100], v[97:98], -v[103:104]
	v_mul_f64 v[99:100], v[99:100], v[105:106]
	v_fma_f64 v[99:100], v[101:102], v[97:98], v[99:100]
	s_waitcnt vmcnt(2)
	v_add_f64 v[65:66], v[65:66], -v[103:104]
	s_waitcnt vmcnt(0)
	v_add_f64 v[67:68], v[67:68], -v[99:100]
	buffer_store_dword v65, off, s[20:23], 0 offset:224 ; 4-byte Folded Spill
	s_nop 0
	buffer_store_dword v66, off, s[20:23], 0 offset:228 ; 4-byte Folded Spill
	buffer_store_dword v67, off, s[20:23], 0 offset:232 ; 4-byte Folded Spill
	buffer_store_dword v68, off, s[20:23], 0 offset:236 ; 4-byte Folded Spill
	ds_read2_b64 v[99:102], v125 offset0:66 offset1:67
	buffer_load_dword v65, off, s[20:23], 0 offset:208 ; 4-byte Folded Reload
	buffer_load_dword v66, off, s[20:23], 0 offset:212 ; 4-byte Folded Reload
	buffer_load_dword v67, off, s[20:23], 0 offset:216 ; 4-byte Folded Reload
	buffer_load_dword v68, off, s[20:23], 0 offset:220 ; 4-byte Folded Reload
	s_waitcnt lgkmcnt(0)
	v_mul_f64 v[103:104], v[101:102], v[105:106]
	v_fma_f64 v[103:104], v[99:100], v[97:98], -v[103:104]
	v_mul_f64 v[99:100], v[99:100], v[105:106]
	v_fma_f64 v[99:100], v[101:102], v[97:98], v[99:100]
	s_waitcnt vmcnt(2)
	v_add_f64 v[65:66], v[65:66], -v[103:104]
	s_waitcnt vmcnt(0)
	v_add_f64 v[67:68], v[67:68], -v[99:100]
	buffer_store_dword v65, off, s[20:23], 0 offset:208 ; 4-byte Folded Spill
	s_nop 0
	buffer_store_dword v66, off, s[20:23], 0 offset:212 ; 4-byte Folded Spill
	buffer_store_dword v67, off, s[20:23], 0 offset:216 ; 4-byte Folded Spill
	buffer_store_dword v68, off, s[20:23], 0 offset:220 ; 4-byte Folded Spill
	ds_read2_b64 v[99:102], v125 offset0:68 offset1:69
	buffer_load_dword v65, off, s[20:23], 0 offset:192 ; 4-byte Folded Reload
	buffer_load_dword v66, off, s[20:23], 0 offset:196 ; 4-byte Folded Reload
	buffer_load_dword v67, off, s[20:23], 0 offset:200 ; 4-byte Folded Reload
	buffer_load_dword v68, off, s[20:23], 0 offset:204 ; 4-byte Folded Reload
	s_waitcnt lgkmcnt(0)
	v_mul_f64 v[103:104], v[101:102], v[105:106]
	v_fma_f64 v[103:104], v[99:100], v[97:98], -v[103:104]
	v_mul_f64 v[99:100], v[99:100], v[105:106]
	v_fma_f64 v[99:100], v[101:102], v[97:98], v[99:100]
	s_waitcnt vmcnt(2)
	v_add_f64 v[65:66], v[65:66], -v[103:104]
	s_waitcnt vmcnt(0)
	v_add_f64 v[67:68], v[67:68], -v[99:100]
	buffer_store_dword v65, off, s[20:23], 0 offset:192 ; 4-byte Folded Spill
	s_nop 0
	buffer_store_dword v66, off, s[20:23], 0 offset:196 ; 4-byte Folded Spill
	buffer_store_dword v67, off, s[20:23], 0 offset:200 ; 4-byte Folded Spill
	buffer_store_dword v68, off, s[20:23], 0 offset:204 ; 4-byte Folded Spill
	ds_read2_b64 v[99:102], v125 offset0:70 offset1:71
	s_waitcnt lgkmcnt(0)
	v_mul_f64 v[103:104], v[101:102], v[105:106]
	v_fma_f64 v[103:104], v[99:100], v[97:98], -v[103:104]
	v_mul_f64 v[99:100], v[99:100], v[105:106]
	v_add_f64 v[93:94], v[93:94], -v[103:104]
	v_fma_f64 v[99:100], v[101:102], v[97:98], v[99:100]
	v_add_f64 v[95:96], v[95:96], -v[99:100]
	ds_read2_b64 v[99:102], v125 offset0:72 offset1:73
	buffer_load_dword v41, off, s[20:23], 0 offset:176 ; 4-byte Folded Reload
	buffer_load_dword v42, off, s[20:23], 0 offset:180 ; 4-byte Folded Reload
	buffer_load_dword v43, off, s[20:23], 0 offset:184 ; 4-byte Folded Reload
	buffer_load_dword v44, off, s[20:23], 0 offset:188 ; 4-byte Folded Reload
	s_waitcnt lgkmcnt(0)
	v_mul_f64 v[103:104], v[101:102], v[105:106]
	v_fma_f64 v[103:104], v[99:100], v[97:98], -v[103:104]
	v_mul_f64 v[99:100], v[99:100], v[105:106]
	v_fma_f64 v[99:100], v[101:102], v[97:98], v[99:100]
	s_waitcnt vmcnt(2)
	v_add_f64 v[41:42], v[41:42], -v[103:104]
	s_waitcnt vmcnt(0)
	v_add_f64 v[43:44], v[43:44], -v[99:100]
	buffer_store_dword v41, off, s[20:23], 0 offset:176 ; 4-byte Folded Spill
	s_nop 0
	buffer_store_dword v42, off, s[20:23], 0 offset:180 ; 4-byte Folded Spill
	buffer_store_dword v43, off, s[20:23], 0 offset:184 ; 4-byte Folded Spill
	buffer_store_dword v44, off, s[20:23], 0 offset:188 ; 4-byte Folded Spill
	ds_read2_b64 v[99:102], v125 offset0:74 offset1:75
	buffer_load_dword v65, off, s[20:23], 0 offset:160 ; 4-byte Folded Reload
	buffer_load_dword v66, off, s[20:23], 0 offset:164 ; 4-byte Folded Reload
	buffer_load_dword v67, off, s[20:23], 0 offset:168 ; 4-byte Folded Reload
	buffer_load_dword v68, off, s[20:23], 0 offset:172 ; 4-byte Folded Reload
	s_waitcnt lgkmcnt(0)
	v_mul_f64 v[103:104], v[101:102], v[105:106]
	v_fma_f64 v[103:104], v[99:100], v[97:98], -v[103:104]
	v_mul_f64 v[99:100], v[99:100], v[105:106]
	v_fma_f64 v[99:100], v[101:102], v[97:98], v[99:100]
	s_waitcnt vmcnt(2)
	v_add_f64 v[65:66], v[65:66], -v[103:104]
	s_waitcnt vmcnt(0)
	v_add_f64 v[67:68], v[67:68], -v[99:100]
	buffer_store_dword v65, off, s[20:23], 0 offset:160 ; 4-byte Folded Spill
	s_nop 0
	buffer_store_dword v66, off, s[20:23], 0 offset:164 ; 4-byte Folded Spill
	buffer_store_dword v67, off, s[20:23], 0 offset:168 ; 4-byte Folded Spill
	buffer_store_dword v68, off, s[20:23], 0 offset:172 ; 4-byte Folded Spill
	;; [unrolled: 19-line block ×11, first 2 shown]
	ds_read2_b64 v[99:102], v125 offset0:94 offset1:95
	buffer_load_dword v45, off, s[20:23], 0 ; 4-byte Folded Reload
	buffer_load_dword v46, off, s[20:23], 0 offset:4 ; 4-byte Folded Reload
	buffer_load_dword v47, off, s[20:23], 0 offset:8 ; 4-byte Folded Reload
	;; [unrolled: 1-line block ×3, first 2 shown]
	s_waitcnt lgkmcnt(0)
	v_mul_f64 v[103:104], v[101:102], v[105:106]
	v_fma_f64 v[103:104], v[99:100], v[97:98], -v[103:104]
	v_mul_f64 v[99:100], v[99:100], v[105:106]
	v_fma_f64 v[99:100], v[101:102], v[97:98], v[99:100]
	s_waitcnt vmcnt(2)
	v_add_f64 v[45:46], v[45:46], -v[103:104]
	s_waitcnt vmcnt(0)
	v_add_f64 v[47:48], v[47:48], -v[99:100]
	buffer_store_dword v45, off, s[20:23], 0 ; 4-byte Folded Spill
	s_nop 0
	buffer_store_dword v46, off, s[20:23], 0 offset:4 ; 4-byte Folded Spill
	buffer_store_dword v47, off, s[20:23], 0 offset:8 ; 4-byte Folded Spill
	;; [unrolled: 1-line block ×3, first 2 shown]
	ds_read2_b64 v[99:102], v125 offset0:96 offset1:97
	s_waitcnt lgkmcnt(0)
	v_mul_f64 v[103:104], v[101:102], v[105:106]
	v_fma_f64 v[103:104], v[99:100], v[97:98], -v[103:104]
	v_mul_f64 v[99:100], v[99:100], v[105:106]
	v_add_f64 v[113:114], v[113:114], -v[103:104]
	v_fma_f64 v[99:100], v[101:102], v[97:98], v[99:100]
	v_add_f64 v[115:116], v[115:116], -v[99:100]
	ds_read2_b64 v[99:102], v125 offset0:98 offset1:99
	s_waitcnt lgkmcnt(0)
	v_mul_f64 v[103:104], v[101:102], v[105:106]
	v_fma_f64 v[103:104], v[99:100], v[97:98], -v[103:104]
	v_mul_f64 v[99:100], v[99:100], v[105:106]
	v_add_f64 v[37:38], v[37:38], -v[103:104]
	v_fma_f64 v[99:100], v[101:102], v[97:98], v[99:100]
	v_add_f64 v[39:40], v[39:40], -v[99:100]
	;; [unrolled: 8-line block ×10, first 2 shown]
	ds_read2_b64 v[99:102], v125 offset0:116 offset1:117
	s_waitcnt lgkmcnt(0)
	v_mul_f64 v[103:104], v[101:102], v[105:106]
	v_fma_f64 v[103:104], v[99:100], v[97:98], -v[103:104]
	v_mul_f64 v[99:100], v[99:100], v[105:106]
	v_add_f64 v[1:2], v[1:2], -v[103:104]
	v_fma_f64 v[99:100], v[101:102], v[97:98], v[99:100]
	ds_read2_b64 v[101:104], v125 offset0:118 offset1:119
	v_add_f64 v[3:4], v[3:4], -v[99:100]
	s_waitcnt lgkmcnt(0)
	v_mul_f64 v[99:100], v[103:104], v[105:106]
	v_fma_f64 v[99:100], v[101:102], v[97:98], -v[99:100]
	v_mul_f64 v[101:102], v[101:102], v[105:106]
	v_add_f64 v[121:122], v[121:122], -v[99:100]
	v_fma_f64 v[101:102], v[103:104], v[97:98], v[101:102]
	v_mov_b32_e32 v104, v98
	v_mov_b32_e32 v103, v97
	buffer_store_dword v103, off, s[20:23], 0 offset:624 ; 4-byte Folded Spill
	s_nop 0
	buffer_store_dword v104, off, s[20:23], 0 offset:628 ; 4-byte Folded Spill
	buffer_store_dword v105, off, s[20:23], 0 offset:632 ; 4-byte Folded Spill
	;; [unrolled: 1-line block ×3, first 2 shown]
	v_add_f64 v[123:124], v[123:124], -v[101:102]
.LBB119_73:
	s_or_b64 exec, exec, s[2:3]
	v_cmp_eq_u32_e32 vcc, 8, v0
	s_waitcnt vmcnt(0)
	s_barrier
	s_and_saveexec_b64 s[4:5], vcc
	s_cbranch_execz .LBB119_80
; %bb.74:
	buffer_load_dword v65, off, s[20:23], 0 offset:608 ; 4-byte Folded Reload
	buffer_load_dword v66, off, s[20:23], 0 offset:612 ; 4-byte Folded Reload
	;; [unrolled: 1-line block ×4, first 2 shown]
	s_waitcnt vmcnt(0)
	ds_write2_b64 v127, v[65:66], v[67:68] offset1:1
	buffer_load_dword v65, off, s[20:23], 0 offset:592 ; 4-byte Folded Reload
	buffer_load_dword v66, off, s[20:23], 0 offset:596 ; 4-byte Folded Reload
	buffer_load_dword v67, off, s[20:23], 0 offset:600 ; 4-byte Folded Reload
	buffer_load_dword v68, off, s[20:23], 0 offset:604 ; 4-byte Folded Reload
	s_waitcnt vmcnt(0)
	ds_write2_b64 v125, v[65:66], v[67:68] offset0:18 offset1:19
	buffer_load_dword v65, off, s[20:23], 0 offset:576 ; 4-byte Folded Reload
	buffer_load_dword v66, off, s[20:23], 0 offset:580 ; 4-byte Folded Reload
	buffer_load_dword v67, off, s[20:23], 0 offset:584 ; 4-byte Folded Reload
	buffer_load_dword v68, off, s[20:23], 0 offset:588 ; 4-byte Folded Reload
	s_waitcnt vmcnt(0)
	ds_write2_b64 v125, v[65:66], v[67:68] offset0:20 offset1:21
	;; [unrolled: 6-line block ×26, first 2 shown]
	ds_write2_b64 v125, v[93:94], v[95:96] offset0:70 offset1:71
	buffer_load_dword v41, off, s[20:23], 0 offset:176 ; 4-byte Folded Reload
	buffer_load_dword v42, off, s[20:23], 0 offset:180 ; 4-byte Folded Reload
	buffer_load_dword v43, off, s[20:23], 0 offset:184 ; 4-byte Folded Reload
	buffer_load_dword v44, off, s[20:23], 0 offset:188 ; 4-byte Folded Reload
	s_waitcnt vmcnt(0)
	ds_write2_b64 v125, v[41:42], v[43:44] offset0:72 offset1:73
	buffer_load_dword v65, off, s[20:23], 0 offset:160 ; 4-byte Folded Reload
	buffer_load_dword v66, off, s[20:23], 0 offset:164 ; 4-byte Folded Reload
	buffer_load_dword v67, off, s[20:23], 0 offset:168 ; 4-byte Folded Reload
	buffer_load_dword v68, off, s[20:23], 0 offset:172 ; 4-byte Folded Reload
	s_waitcnt vmcnt(0)
	;; [unrolled: 6-line block ×11, first 2 shown]
	ds_write2_b64 v125, v[49:50], v[51:52] offset0:92 offset1:93
	buffer_load_dword v45, off, s[20:23], 0 ; 4-byte Folded Reload
	buffer_load_dword v46, off, s[20:23], 0 offset:4 ; 4-byte Folded Reload
	buffer_load_dword v47, off, s[20:23], 0 offset:8 ; 4-byte Folded Reload
	;; [unrolled: 1-line block ×3, first 2 shown]
	s_waitcnt vmcnt(0)
	ds_write2_b64 v125, v[45:46], v[47:48] offset0:94 offset1:95
	ds_write2_b64 v125, v[113:114], v[115:116] offset0:96 offset1:97
	;; [unrolled: 1-line block ×13, first 2 shown]
	ds_read2_b64 v[97:100], v127 offset1:1
	s_waitcnt lgkmcnt(0)
	v_cmp_neq_f64_e32 vcc, 0, v[97:98]
	v_cmp_neq_f64_e64 s[2:3], 0, v[99:100]
	s_or_b64 s[2:3], vcc, s[2:3]
	s_and_b64 exec, exec, s[2:3]
	s_cbranch_execz .LBB119_80
; %bb.75:
	v_cmp_ngt_f64_e64 s[2:3], |v[97:98]|, |v[99:100]|
                                        ; implicit-def: $vgpr101_vgpr102
	s_and_saveexec_b64 s[6:7], s[2:3]
	s_xor_b64 s[2:3], exec, s[6:7]
                                        ; implicit-def: $vgpr103_vgpr104
	s_cbranch_execz .LBB119_77
; %bb.76:
	v_div_scale_f64 v[101:102], s[6:7], v[99:100], v[99:100], v[97:98]
	v_rcp_f64_e32 v[103:104], v[101:102]
	v_fma_f64 v[105:106], -v[101:102], v[103:104], 1.0
	v_fma_f64 v[103:104], v[103:104], v[105:106], v[103:104]
	v_div_scale_f64 v[105:106], vcc, v[97:98], v[99:100], v[97:98]
	v_fma_f64 v[107:108], -v[101:102], v[103:104], 1.0
	v_fma_f64 v[103:104], v[103:104], v[107:108], v[103:104]
	v_mul_f64 v[107:108], v[105:106], v[103:104]
	v_fma_f64 v[101:102], -v[101:102], v[107:108], v[105:106]
	v_div_fmas_f64 v[101:102], v[101:102], v[103:104], v[107:108]
	v_div_fixup_f64 v[101:102], v[101:102], v[99:100], v[97:98]
	v_fma_f64 v[97:98], v[97:98], v[101:102], v[99:100]
	v_div_scale_f64 v[99:100], s[6:7], v[97:98], v[97:98], 1.0
	v_div_scale_f64 v[107:108], vcc, 1.0, v[97:98], 1.0
	v_rcp_f64_e32 v[103:104], v[99:100]
	v_fma_f64 v[105:106], -v[99:100], v[103:104], 1.0
	v_fma_f64 v[103:104], v[103:104], v[105:106], v[103:104]
	v_fma_f64 v[105:106], -v[99:100], v[103:104], 1.0
	v_fma_f64 v[103:104], v[103:104], v[105:106], v[103:104]
	v_mul_f64 v[105:106], v[107:108], v[103:104]
	v_fma_f64 v[99:100], -v[99:100], v[105:106], v[107:108]
	v_div_fmas_f64 v[99:100], v[99:100], v[103:104], v[105:106]
	v_div_fixup_f64 v[103:104], v[99:100], v[97:98], 1.0
                                        ; implicit-def: $vgpr97_vgpr98
	v_mul_f64 v[101:102], v[101:102], v[103:104]
	v_xor_b32_e32 v104, 0x80000000, v104
.LBB119_77:
	s_andn2_saveexec_b64 s[2:3], s[2:3]
	s_cbranch_execz .LBB119_79
; %bb.78:
	v_div_scale_f64 v[101:102], s[6:7], v[97:98], v[97:98], v[99:100]
	v_rcp_f64_e32 v[103:104], v[101:102]
	v_fma_f64 v[105:106], -v[101:102], v[103:104], 1.0
	v_fma_f64 v[103:104], v[103:104], v[105:106], v[103:104]
	v_div_scale_f64 v[105:106], vcc, v[99:100], v[97:98], v[99:100]
	v_fma_f64 v[107:108], -v[101:102], v[103:104], 1.0
	v_fma_f64 v[103:104], v[103:104], v[107:108], v[103:104]
	v_mul_f64 v[107:108], v[105:106], v[103:104]
	v_fma_f64 v[101:102], -v[101:102], v[107:108], v[105:106]
	v_div_fmas_f64 v[101:102], v[101:102], v[103:104], v[107:108]
	v_div_fixup_f64 v[103:104], v[101:102], v[97:98], v[99:100]
	v_fma_f64 v[97:98], v[99:100], v[103:104], v[97:98]
	v_div_scale_f64 v[99:100], s[6:7], v[97:98], v[97:98], 1.0
	v_div_scale_f64 v[107:108], vcc, 1.0, v[97:98], 1.0
	v_rcp_f64_e32 v[101:102], v[99:100]
	v_fma_f64 v[105:106], -v[99:100], v[101:102], 1.0
	v_fma_f64 v[101:102], v[101:102], v[105:106], v[101:102]
	v_fma_f64 v[105:106], -v[99:100], v[101:102], 1.0
	v_fma_f64 v[101:102], v[101:102], v[105:106], v[101:102]
	v_mul_f64 v[105:106], v[107:108], v[101:102]
	v_fma_f64 v[99:100], -v[99:100], v[105:106], v[107:108]
	v_div_fmas_f64 v[99:100], v[99:100], v[101:102], v[105:106]
	v_div_fixup_f64 v[101:102], v[99:100], v[97:98], 1.0
	v_mul_f64 v[103:104], v[103:104], -v[101:102]
.LBB119_79:
	s_or_b64 exec, exec, s[2:3]
	ds_write2_b64 v127, v[101:102], v[103:104] offset1:1
.LBB119_80:
	s_or_b64 exec, exec, s[4:5]
	s_waitcnt lgkmcnt(0)
	s_barrier
	ds_read2_b64 v[65:68], v127 offset1:1
	v_cmp_lt_u32_e32 vcc, 8, v0
	s_waitcnt lgkmcnt(0)
	buffer_store_dword v65, off, s[20:23], 0 offset:1352 ; 4-byte Folded Spill
	s_nop 0
	buffer_store_dword v66, off, s[20:23], 0 offset:1356 ; 4-byte Folded Spill
	buffer_store_dword v67, off, s[20:23], 0 offset:1360 ; 4-byte Folded Spill
	;; [unrolled: 1-line block ×3, first 2 shown]
	s_and_saveexec_b64 s[2:3], vcc
	s_cbranch_execz .LBB119_82
; %bb.81:
	buffer_load_dword v103, off, s[20:23], 0 offset:608 ; 4-byte Folded Reload
	buffer_load_dword v104, off, s[20:23], 0 offset:612 ; 4-byte Folded Reload
	;; [unrolled: 1-line block ×8, first 2 shown]
	s_waitcnt vmcnt(2)
	v_mul_f64 v[99:100], v[65:66], v[105:106]
	s_waitcnt vmcnt(0)
	v_mul_f64 v[97:98], v[67:68], v[105:106]
	v_fma_f64 v[105:106], v[67:68], v[103:104], v[99:100]
	ds_read2_b64 v[99:102], v125 offset0:18 offset1:19
	v_fma_f64 v[97:98], v[65:66], v[103:104], -v[97:98]
	buffer_load_dword v65, off, s[20:23], 0 offset:592 ; 4-byte Folded Reload
	buffer_load_dword v66, off, s[20:23], 0 offset:596 ; 4-byte Folded Reload
	buffer_load_dword v67, off, s[20:23], 0 offset:600 ; 4-byte Folded Reload
	buffer_load_dword v68, off, s[20:23], 0 offset:604 ; 4-byte Folded Reload
	s_waitcnt lgkmcnt(0)
	v_mul_f64 v[103:104], v[101:102], v[105:106]
	v_fma_f64 v[103:104], v[99:100], v[97:98], -v[103:104]
	v_mul_f64 v[99:100], v[99:100], v[105:106]
	v_fma_f64 v[99:100], v[101:102], v[97:98], v[99:100]
	s_waitcnt vmcnt(2)
	v_add_f64 v[65:66], v[65:66], -v[103:104]
	s_waitcnt vmcnt(0)
	v_add_f64 v[67:68], v[67:68], -v[99:100]
	buffer_store_dword v65, off, s[20:23], 0 offset:592 ; 4-byte Folded Spill
	s_nop 0
	buffer_store_dword v66, off, s[20:23], 0 offset:596 ; 4-byte Folded Spill
	buffer_store_dword v67, off, s[20:23], 0 offset:600 ; 4-byte Folded Spill
	buffer_store_dword v68, off, s[20:23], 0 offset:604 ; 4-byte Folded Spill
	ds_read2_b64 v[99:102], v125 offset0:20 offset1:21
	buffer_load_dword v65, off, s[20:23], 0 offset:576 ; 4-byte Folded Reload
	buffer_load_dword v66, off, s[20:23], 0 offset:580 ; 4-byte Folded Reload
	buffer_load_dword v67, off, s[20:23], 0 offset:584 ; 4-byte Folded Reload
	buffer_load_dword v68, off, s[20:23], 0 offset:588 ; 4-byte Folded Reload
	s_waitcnt lgkmcnt(0)
	v_mul_f64 v[103:104], v[101:102], v[105:106]
	v_fma_f64 v[103:104], v[99:100], v[97:98], -v[103:104]
	v_mul_f64 v[99:100], v[99:100], v[105:106]
	v_fma_f64 v[99:100], v[101:102], v[97:98], v[99:100]
	s_waitcnt vmcnt(2)
	v_add_f64 v[65:66], v[65:66], -v[103:104]
	s_waitcnt vmcnt(0)
	v_add_f64 v[67:68], v[67:68], -v[99:100]
	buffer_store_dword v65, off, s[20:23], 0 offset:576 ; 4-byte Folded Spill
	s_nop 0
	buffer_store_dword v66, off, s[20:23], 0 offset:580 ; 4-byte Folded Spill
	buffer_store_dword v67, off, s[20:23], 0 offset:584 ; 4-byte Folded Spill
	buffer_store_dword v68, off, s[20:23], 0 offset:588 ; 4-byte Folded Spill
	ds_read2_b64 v[99:102], v125 offset0:22 offset1:23
	;; [unrolled: 19-line block ×26, first 2 shown]
	s_waitcnt lgkmcnt(0)
	v_mul_f64 v[103:104], v[101:102], v[105:106]
	v_fma_f64 v[103:104], v[99:100], v[97:98], -v[103:104]
	v_mul_f64 v[99:100], v[99:100], v[105:106]
	v_add_f64 v[93:94], v[93:94], -v[103:104]
	v_fma_f64 v[99:100], v[101:102], v[97:98], v[99:100]
	v_add_f64 v[95:96], v[95:96], -v[99:100]
	ds_read2_b64 v[99:102], v125 offset0:72 offset1:73
	buffer_load_dword v41, off, s[20:23], 0 offset:176 ; 4-byte Folded Reload
	buffer_load_dword v42, off, s[20:23], 0 offset:180 ; 4-byte Folded Reload
	buffer_load_dword v43, off, s[20:23], 0 offset:184 ; 4-byte Folded Reload
	buffer_load_dword v44, off, s[20:23], 0 offset:188 ; 4-byte Folded Reload
	s_waitcnt lgkmcnt(0)
	v_mul_f64 v[103:104], v[101:102], v[105:106]
	v_fma_f64 v[103:104], v[99:100], v[97:98], -v[103:104]
	v_mul_f64 v[99:100], v[99:100], v[105:106]
	v_fma_f64 v[99:100], v[101:102], v[97:98], v[99:100]
	s_waitcnt vmcnt(2)
	v_add_f64 v[41:42], v[41:42], -v[103:104]
	s_waitcnt vmcnt(0)
	v_add_f64 v[43:44], v[43:44], -v[99:100]
	buffer_store_dword v41, off, s[20:23], 0 offset:176 ; 4-byte Folded Spill
	s_nop 0
	buffer_store_dword v42, off, s[20:23], 0 offset:180 ; 4-byte Folded Spill
	buffer_store_dword v43, off, s[20:23], 0 offset:184 ; 4-byte Folded Spill
	buffer_store_dword v44, off, s[20:23], 0 offset:188 ; 4-byte Folded Spill
	ds_read2_b64 v[99:102], v125 offset0:74 offset1:75
	buffer_load_dword v65, off, s[20:23], 0 offset:160 ; 4-byte Folded Reload
	buffer_load_dword v66, off, s[20:23], 0 offset:164 ; 4-byte Folded Reload
	buffer_load_dword v67, off, s[20:23], 0 offset:168 ; 4-byte Folded Reload
	buffer_load_dword v68, off, s[20:23], 0 offset:172 ; 4-byte Folded Reload
	s_waitcnt lgkmcnt(0)
	v_mul_f64 v[103:104], v[101:102], v[105:106]
	v_fma_f64 v[103:104], v[99:100], v[97:98], -v[103:104]
	v_mul_f64 v[99:100], v[99:100], v[105:106]
	v_fma_f64 v[99:100], v[101:102], v[97:98], v[99:100]
	s_waitcnt vmcnt(2)
	v_add_f64 v[65:66], v[65:66], -v[103:104]
	s_waitcnt vmcnt(0)
	v_add_f64 v[67:68], v[67:68], -v[99:100]
	buffer_store_dword v65, off, s[20:23], 0 offset:160 ; 4-byte Folded Spill
	s_nop 0
	buffer_store_dword v66, off, s[20:23], 0 offset:164 ; 4-byte Folded Spill
	buffer_store_dword v67, off, s[20:23], 0 offset:168 ; 4-byte Folded Spill
	buffer_store_dword v68, off, s[20:23], 0 offset:172 ; 4-byte Folded Spill
	;; [unrolled: 19-line block ×11, first 2 shown]
	ds_read2_b64 v[99:102], v125 offset0:94 offset1:95
	buffer_load_dword v45, off, s[20:23], 0 ; 4-byte Folded Reload
	buffer_load_dword v46, off, s[20:23], 0 offset:4 ; 4-byte Folded Reload
	buffer_load_dword v47, off, s[20:23], 0 offset:8 ; 4-byte Folded Reload
	;; [unrolled: 1-line block ×3, first 2 shown]
	s_waitcnt lgkmcnt(0)
	v_mul_f64 v[103:104], v[101:102], v[105:106]
	v_fma_f64 v[103:104], v[99:100], v[97:98], -v[103:104]
	v_mul_f64 v[99:100], v[99:100], v[105:106]
	v_fma_f64 v[99:100], v[101:102], v[97:98], v[99:100]
	s_waitcnt vmcnt(2)
	v_add_f64 v[45:46], v[45:46], -v[103:104]
	s_waitcnt vmcnt(0)
	v_add_f64 v[47:48], v[47:48], -v[99:100]
	buffer_store_dword v45, off, s[20:23], 0 ; 4-byte Folded Spill
	s_nop 0
	buffer_store_dword v46, off, s[20:23], 0 offset:4 ; 4-byte Folded Spill
	buffer_store_dword v47, off, s[20:23], 0 offset:8 ; 4-byte Folded Spill
	;; [unrolled: 1-line block ×3, first 2 shown]
	ds_read2_b64 v[99:102], v125 offset0:96 offset1:97
	s_waitcnt lgkmcnt(0)
	v_mul_f64 v[103:104], v[101:102], v[105:106]
	v_fma_f64 v[103:104], v[99:100], v[97:98], -v[103:104]
	v_mul_f64 v[99:100], v[99:100], v[105:106]
	v_add_f64 v[113:114], v[113:114], -v[103:104]
	v_fma_f64 v[99:100], v[101:102], v[97:98], v[99:100]
	v_add_f64 v[115:116], v[115:116], -v[99:100]
	ds_read2_b64 v[99:102], v125 offset0:98 offset1:99
	s_waitcnt lgkmcnt(0)
	v_mul_f64 v[103:104], v[101:102], v[105:106]
	v_fma_f64 v[103:104], v[99:100], v[97:98], -v[103:104]
	v_mul_f64 v[99:100], v[99:100], v[105:106]
	v_add_f64 v[37:38], v[37:38], -v[103:104]
	v_fma_f64 v[99:100], v[101:102], v[97:98], v[99:100]
	v_add_f64 v[39:40], v[39:40], -v[99:100]
	;; [unrolled: 8-line block ×10, first 2 shown]
	ds_read2_b64 v[99:102], v125 offset0:116 offset1:117
	s_waitcnt lgkmcnt(0)
	v_mul_f64 v[103:104], v[101:102], v[105:106]
	v_fma_f64 v[103:104], v[99:100], v[97:98], -v[103:104]
	v_mul_f64 v[99:100], v[99:100], v[105:106]
	v_add_f64 v[1:2], v[1:2], -v[103:104]
	v_fma_f64 v[99:100], v[101:102], v[97:98], v[99:100]
	ds_read2_b64 v[101:104], v125 offset0:118 offset1:119
	v_add_f64 v[3:4], v[3:4], -v[99:100]
	s_waitcnt lgkmcnt(0)
	v_mul_f64 v[99:100], v[103:104], v[105:106]
	v_fma_f64 v[99:100], v[101:102], v[97:98], -v[99:100]
	v_mul_f64 v[101:102], v[101:102], v[105:106]
	v_add_f64 v[121:122], v[121:122], -v[99:100]
	v_fma_f64 v[101:102], v[103:104], v[97:98], v[101:102]
	v_mov_b32_e32 v104, v98
	v_mov_b32_e32 v103, v97
	buffer_store_dword v103, off, s[20:23], 0 offset:608 ; 4-byte Folded Spill
	s_nop 0
	buffer_store_dword v104, off, s[20:23], 0 offset:612 ; 4-byte Folded Spill
	buffer_store_dword v105, off, s[20:23], 0 offset:616 ; 4-byte Folded Spill
	;; [unrolled: 1-line block ×3, first 2 shown]
	v_add_f64 v[123:124], v[123:124], -v[101:102]
.LBB119_82:
	s_or_b64 exec, exec, s[2:3]
	v_cmp_eq_u32_e32 vcc, 9, v0
	s_waitcnt vmcnt(0)
	s_barrier
	s_and_saveexec_b64 s[4:5], vcc
	s_cbranch_execz .LBB119_89
; %bb.83:
	buffer_load_dword v65, off, s[20:23], 0 offset:592 ; 4-byte Folded Reload
	buffer_load_dword v66, off, s[20:23], 0 offset:596 ; 4-byte Folded Reload
	;; [unrolled: 1-line block ×4, first 2 shown]
	s_waitcnt vmcnt(0)
	ds_write2_b64 v127, v[65:66], v[67:68] offset1:1
	buffer_load_dword v65, off, s[20:23], 0 offset:576 ; 4-byte Folded Reload
	buffer_load_dword v66, off, s[20:23], 0 offset:580 ; 4-byte Folded Reload
	buffer_load_dword v67, off, s[20:23], 0 offset:584 ; 4-byte Folded Reload
	buffer_load_dword v68, off, s[20:23], 0 offset:588 ; 4-byte Folded Reload
	s_waitcnt vmcnt(0)
	ds_write2_b64 v125, v[65:66], v[67:68] offset0:20 offset1:21
	buffer_load_dword v65, off, s[20:23], 0 offset:560 ; 4-byte Folded Reload
	buffer_load_dword v66, off, s[20:23], 0 offset:564 ; 4-byte Folded Reload
	buffer_load_dword v67, off, s[20:23], 0 offset:568 ; 4-byte Folded Reload
	buffer_load_dword v68, off, s[20:23], 0 offset:572 ; 4-byte Folded Reload
	s_waitcnt vmcnt(0)
	ds_write2_b64 v125, v[65:66], v[67:68] offset0:22 offset1:23
	;; [unrolled: 6-line block ×25, first 2 shown]
	ds_write2_b64 v125, v[93:94], v[95:96] offset0:70 offset1:71
	buffer_load_dword v41, off, s[20:23], 0 offset:176 ; 4-byte Folded Reload
	buffer_load_dword v42, off, s[20:23], 0 offset:180 ; 4-byte Folded Reload
	buffer_load_dword v43, off, s[20:23], 0 offset:184 ; 4-byte Folded Reload
	buffer_load_dword v44, off, s[20:23], 0 offset:188 ; 4-byte Folded Reload
	s_waitcnt vmcnt(0)
	ds_write2_b64 v125, v[41:42], v[43:44] offset0:72 offset1:73
	buffer_load_dword v65, off, s[20:23], 0 offset:160 ; 4-byte Folded Reload
	buffer_load_dword v66, off, s[20:23], 0 offset:164 ; 4-byte Folded Reload
	buffer_load_dword v67, off, s[20:23], 0 offset:168 ; 4-byte Folded Reload
	buffer_load_dword v68, off, s[20:23], 0 offset:172 ; 4-byte Folded Reload
	s_waitcnt vmcnt(0)
	;; [unrolled: 6-line block ×11, first 2 shown]
	ds_write2_b64 v125, v[49:50], v[51:52] offset0:92 offset1:93
	buffer_load_dword v45, off, s[20:23], 0 ; 4-byte Folded Reload
	buffer_load_dword v46, off, s[20:23], 0 offset:4 ; 4-byte Folded Reload
	buffer_load_dword v47, off, s[20:23], 0 offset:8 ; 4-byte Folded Reload
	;; [unrolled: 1-line block ×3, first 2 shown]
	s_waitcnt vmcnt(0)
	ds_write2_b64 v125, v[45:46], v[47:48] offset0:94 offset1:95
	ds_write2_b64 v125, v[113:114], v[115:116] offset0:96 offset1:97
	;; [unrolled: 1-line block ×13, first 2 shown]
	ds_read2_b64 v[97:100], v127 offset1:1
	s_waitcnt lgkmcnt(0)
	v_cmp_neq_f64_e32 vcc, 0, v[97:98]
	v_cmp_neq_f64_e64 s[2:3], 0, v[99:100]
	s_or_b64 s[2:3], vcc, s[2:3]
	s_and_b64 exec, exec, s[2:3]
	s_cbranch_execz .LBB119_89
; %bb.84:
	v_cmp_ngt_f64_e64 s[2:3], |v[97:98]|, |v[99:100]|
                                        ; implicit-def: $vgpr101_vgpr102
	s_and_saveexec_b64 s[6:7], s[2:3]
	s_xor_b64 s[2:3], exec, s[6:7]
                                        ; implicit-def: $vgpr103_vgpr104
	s_cbranch_execz .LBB119_86
; %bb.85:
	v_div_scale_f64 v[101:102], s[6:7], v[99:100], v[99:100], v[97:98]
	v_rcp_f64_e32 v[103:104], v[101:102]
	v_fma_f64 v[105:106], -v[101:102], v[103:104], 1.0
	v_fma_f64 v[103:104], v[103:104], v[105:106], v[103:104]
	v_div_scale_f64 v[105:106], vcc, v[97:98], v[99:100], v[97:98]
	v_fma_f64 v[107:108], -v[101:102], v[103:104], 1.0
	v_fma_f64 v[103:104], v[103:104], v[107:108], v[103:104]
	v_mul_f64 v[107:108], v[105:106], v[103:104]
	v_fma_f64 v[101:102], -v[101:102], v[107:108], v[105:106]
	v_div_fmas_f64 v[101:102], v[101:102], v[103:104], v[107:108]
	v_div_fixup_f64 v[101:102], v[101:102], v[99:100], v[97:98]
	v_fma_f64 v[97:98], v[97:98], v[101:102], v[99:100]
	v_div_scale_f64 v[99:100], s[6:7], v[97:98], v[97:98], 1.0
	v_div_scale_f64 v[107:108], vcc, 1.0, v[97:98], 1.0
	v_rcp_f64_e32 v[103:104], v[99:100]
	v_fma_f64 v[105:106], -v[99:100], v[103:104], 1.0
	v_fma_f64 v[103:104], v[103:104], v[105:106], v[103:104]
	v_fma_f64 v[105:106], -v[99:100], v[103:104], 1.0
	v_fma_f64 v[103:104], v[103:104], v[105:106], v[103:104]
	v_mul_f64 v[105:106], v[107:108], v[103:104]
	v_fma_f64 v[99:100], -v[99:100], v[105:106], v[107:108]
	v_div_fmas_f64 v[99:100], v[99:100], v[103:104], v[105:106]
	v_div_fixup_f64 v[103:104], v[99:100], v[97:98], 1.0
                                        ; implicit-def: $vgpr97_vgpr98
	v_mul_f64 v[101:102], v[101:102], v[103:104]
	v_xor_b32_e32 v104, 0x80000000, v104
.LBB119_86:
	s_andn2_saveexec_b64 s[2:3], s[2:3]
	s_cbranch_execz .LBB119_88
; %bb.87:
	v_div_scale_f64 v[101:102], s[6:7], v[97:98], v[97:98], v[99:100]
	v_rcp_f64_e32 v[103:104], v[101:102]
	v_fma_f64 v[105:106], -v[101:102], v[103:104], 1.0
	v_fma_f64 v[103:104], v[103:104], v[105:106], v[103:104]
	v_div_scale_f64 v[105:106], vcc, v[99:100], v[97:98], v[99:100]
	v_fma_f64 v[107:108], -v[101:102], v[103:104], 1.0
	v_fma_f64 v[103:104], v[103:104], v[107:108], v[103:104]
	v_mul_f64 v[107:108], v[105:106], v[103:104]
	v_fma_f64 v[101:102], -v[101:102], v[107:108], v[105:106]
	v_div_fmas_f64 v[101:102], v[101:102], v[103:104], v[107:108]
	v_div_fixup_f64 v[103:104], v[101:102], v[97:98], v[99:100]
	v_fma_f64 v[97:98], v[99:100], v[103:104], v[97:98]
	v_div_scale_f64 v[99:100], s[6:7], v[97:98], v[97:98], 1.0
	v_div_scale_f64 v[107:108], vcc, 1.0, v[97:98], 1.0
	v_rcp_f64_e32 v[101:102], v[99:100]
	v_fma_f64 v[105:106], -v[99:100], v[101:102], 1.0
	v_fma_f64 v[101:102], v[101:102], v[105:106], v[101:102]
	v_fma_f64 v[105:106], -v[99:100], v[101:102], 1.0
	v_fma_f64 v[101:102], v[101:102], v[105:106], v[101:102]
	v_mul_f64 v[105:106], v[107:108], v[101:102]
	v_fma_f64 v[99:100], -v[99:100], v[105:106], v[107:108]
	v_div_fmas_f64 v[99:100], v[99:100], v[101:102], v[105:106]
	v_div_fixup_f64 v[101:102], v[99:100], v[97:98], 1.0
	v_mul_f64 v[103:104], v[103:104], -v[101:102]
.LBB119_88:
	s_or_b64 exec, exec, s[2:3]
	ds_write2_b64 v127, v[101:102], v[103:104] offset1:1
.LBB119_89:
	s_or_b64 exec, exec, s[4:5]
	s_waitcnt lgkmcnt(0)
	s_barrier
	ds_read2_b64 v[65:68], v127 offset1:1
	v_cmp_lt_u32_e32 vcc, 9, v0
	s_waitcnt lgkmcnt(0)
	buffer_store_dword v65, off, s[20:23], 0 offset:1368 ; 4-byte Folded Spill
	s_nop 0
	buffer_store_dword v66, off, s[20:23], 0 offset:1372 ; 4-byte Folded Spill
	buffer_store_dword v67, off, s[20:23], 0 offset:1376 ; 4-byte Folded Spill
	;; [unrolled: 1-line block ×3, first 2 shown]
	s_and_saveexec_b64 s[2:3], vcc
	s_cbranch_execz .LBB119_91
; %bb.90:
	buffer_load_dword v103, off, s[20:23], 0 offset:592 ; 4-byte Folded Reload
	buffer_load_dword v104, off, s[20:23], 0 offset:596 ; 4-byte Folded Reload
	;; [unrolled: 1-line block ×8, first 2 shown]
	s_waitcnt vmcnt(2)
	v_mul_f64 v[99:100], v[65:66], v[105:106]
	s_waitcnt vmcnt(0)
	v_mul_f64 v[97:98], v[67:68], v[105:106]
	v_fma_f64 v[105:106], v[67:68], v[103:104], v[99:100]
	ds_read2_b64 v[99:102], v125 offset0:20 offset1:21
	v_fma_f64 v[97:98], v[65:66], v[103:104], -v[97:98]
	buffer_load_dword v65, off, s[20:23], 0 offset:576 ; 4-byte Folded Reload
	buffer_load_dword v66, off, s[20:23], 0 offset:580 ; 4-byte Folded Reload
	buffer_load_dword v67, off, s[20:23], 0 offset:584 ; 4-byte Folded Reload
	buffer_load_dword v68, off, s[20:23], 0 offset:588 ; 4-byte Folded Reload
	s_waitcnt lgkmcnt(0)
	v_mul_f64 v[103:104], v[101:102], v[105:106]
	v_fma_f64 v[103:104], v[99:100], v[97:98], -v[103:104]
	v_mul_f64 v[99:100], v[99:100], v[105:106]
	v_fma_f64 v[99:100], v[101:102], v[97:98], v[99:100]
	s_waitcnt vmcnt(2)
	v_add_f64 v[65:66], v[65:66], -v[103:104]
	s_waitcnt vmcnt(0)
	v_add_f64 v[67:68], v[67:68], -v[99:100]
	buffer_store_dword v65, off, s[20:23], 0 offset:576 ; 4-byte Folded Spill
	s_nop 0
	buffer_store_dword v66, off, s[20:23], 0 offset:580 ; 4-byte Folded Spill
	buffer_store_dword v67, off, s[20:23], 0 offset:584 ; 4-byte Folded Spill
	buffer_store_dword v68, off, s[20:23], 0 offset:588 ; 4-byte Folded Spill
	ds_read2_b64 v[99:102], v125 offset0:22 offset1:23
	buffer_load_dword v65, off, s[20:23], 0 offset:560 ; 4-byte Folded Reload
	buffer_load_dword v66, off, s[20:23], 0 offset:564 ; 4-byte Folded Reload
	buffer_load_dword v67, off, s[20:23], 0 offset:568 ; 4-byte Folded Reload
	buffer_load_dword v68, off, s[20:23], 0 offset:572 ; 4-byte Folded Reload
	s_waitcnt lgkmcnt(0)
	v_mul_f64 v[103:104], v[101:102], v[105:106]
	v_fma_f64 v[103:104], v[99:100], v[97:98], -v[103:104]
	v_mul_f64 v[99:100], v[99:100], v[105:106]
	v_fma_f64 v[99:100], v[101:102], v[97:98], v[99:100]
	s_waitcnt vmcnt(2)
	v_add_f64 v[65:66], v[65:66], -v[103:104]
	s_waitcnt vmcnt(0)
	v_add_f64 v[67:68], v[67:68], -v[99:100]
	buffer_store_dword v65, off, s[20:23], 0 offset:560 ; 4-byte Folded Spill
	s_nop 0
	buffer_store_dword v66, off, s[20:23], 0 offset:564 ; 4-byte Folded Spill
	buffer_store_dword v67, off, s[20:23], 0 offset:568 ; 4-byte Folded Spill
	buffer_store_dword v68, off, s[20:23], 0 offset:572 ; 4-byte Folded Spill
	ds_read2_b64 v[99:102], v125 offset0:24 offset1:25
	;; [unrolled: 19-line block ×25, first 2 shown]
	s_waitcnt lgkmcnt(0)
	v_mul_f64 v[103:104], v[101:102], v[105:106]
	v_fma_f64 v[103:104], v[99:100], v[97:98], -v[103:104]
	v_mul_f64 v[99:100], v[99:100], v[105:106]
	v_add_f64 v[93:94], v[93:94], -v[103:104]
	v_fma_f64 v[99:100], v[101:102], v[97:98], v[99:100]
	v_add_f64 v[95:96], v[95:96], -v[99:100]
	ds_read2_b64 v[99:102], v125 offset0:72 offset1:73
	buffer_load_dword v41, off, s[20:23], 0 offset:176 ; 4-byte Folded Reload
	buffer_load_dword v42, off, s[20:23], 0 offset:180 ; 4-byte Folded Reload
	buffer_load_dword v43, off, s[20:23], 0 offset:184 ; 4-byte Folded Reload
	buffer_load_dword v44, off, s[20:23], 0 offset:188 ; 4-byte Folded Reload
	s_waitcnt lgkmcnt(0)
	v_mul_f64 v[103:104], v[101:102], v[105:106]
	v_fma_f64 v[103:104], v[99:100], v[97:98], -v[103:104]
	v_mul_f64 v[99:100], v[99:100], v[105:106]
	v_fma_f64 v[99:100], v[101:102], v[97:98], v[99:100]
	s_waitcnt vmcnt(2)
	v_add_f64 v[41:42], v[41:42], -v[103:104]
	s_waitcnt vmcnt(0)
	v_add_f64 v[43:44], v[43:44], -v[99:100]
	buffer_store_dword v41, off, s[20:23], 0 offset:176 ; 4-byte Folded Spill
	s_nop 0
	buffer_store_dword v42, off, s[20:23], 0 offset:180 ; 4-byte Folded Spill
	buffer_store_dword v43, off, s[20:23], 0 offset:184 ; 4-byte Folded Spill
	buffer_store_dword v44, off, s[20:23], 0 offset:188 ; 4-byte Folded Spill
	ds_read2_b64 v[99:102], v125 offset0:74 offset1:75
	buffer_load_dword v65, off, s[20:23], 0 offset:160 ; 4-byte Folded Reload
	buffer_load_dword v66, off, s[20:23], 0 offset:164 ; 4-byte Folded Reload
	buffer_load_dword v67, off, s[20:23], 0 offset:168 ; 4-byte Folded Reload
	buffer_load_dword v68, off, s[20:23], 0 offset:172 ; 4-byte Folded Reload
	s_waitcnt lgkmcnt(0)
	v_mul_f64 v[103:104], v[101:102], v[105:106]
	v_fma_f64 v[103:104], v[99:100], v[97:98], -v[103:104]
	v_mul_f64 v[99:100], v[99:100], v[105:106]
	v_fma_f64 v[99:100], v[101:102], v[97:98], v[99:100]
	s_waitcnt vmcnt(2)
	v_add_f64 v[65:66], v[65:66], -v[103:104]
	s_waitcnt vmcnt(0)
	v_add_f64 v[67:68], v[67:68], -v[99:100]
	buffer_store_dword v65, off, s[20:23], 0 offset:160 ; 4-byte Folded Spill
	s_nop 0
	buffer_store_dword v66, off, s[20:23], 0 offset:164 ; 4-byte Folded Spill
	buffer_store_dword v67, off, s[20:23], 0 offset:168 ; 4-byte Folded Spill
	buffer_store_dword v68, off, s[20:23], 0 offset:172 ; 4-byte Folded Spill
	;; [unrolled: 19-line block ×11, first 2 shown]
	ds_read2_b64 v[99:102], v125 offset0:94 offset1:95
	buffer_load_dword v45, off, s[20:23], 0 ; 4-byte Folded Reload
	buffer_load_dword v46, off, s[20:23], 0 offset:4 ; 4-byte Folded Reload
	buffer_load_dword v47, off, s[20:23], 0 offset:8 ; 4-byte Folded Reload
	;; [unrolled: 1-line block ×3, first 2 shown]
	s_waitcnt lgkmcnt(0)
	v_mul_f64 v[103:104], v[101:102], v[105:106]
	v_fma_f64 v[103:104], v[99:100], v[97:98], -v[103:104]
	v_mul_f64 v[99:100], v[99:100], v[105:106]
	v_fma_f64 v[99:100], v[101:102], v[97:98], v[99:100]
	s_waitcnt vmcnt(2)
	v_add_f64 v[45:46], v[45:46], -v[103:104]
	s_waitcnt vmcnt(0)
	v_add_f64 v[47:48], v[47:48], -v[99:100]
	buffer_store_dword v45, off, s[20:23], 0 ; 4-byte Folded Spill
	s_nop 0
	buffer_store_dword v46, off, s[20:23], 0 offset:4 ; 4-byte Folded Spill
	buffer_store_dword v47, off, s[20:23], 0 offset:8 ; 4-byte Folded Spill
	;; [unrolled: 1-line block ×3, first 2 shown]
	ds_read2_b64 v[99:102], v125 offset0:96 offset1:97
	s_waitcnt lgkmcnt(0)
	v_mul_f64 v[103:104], v[101:102], v[105:106]
	v_fma_f64 v[103:104], v[99:100], v[97:98], -v[103:104]
	v_mul_f64 v[99:100], v[99:100], v[105:106]
	v_add_f64 v[113:114], v[113:114], -v[103:104]
	v_fma_f64 v[99:100], v[101:102], v[97:98], v[99:100]
	v_add_f64 v[115:116], v[115:116], -v[99:100]
	ds_read2_b64 v[99:102], v125 offset0:98 offset1:99
	s_waitcnt lgkmcnt(0)
	v_mul_f64 v[103:104], v[101:102], v[105:106]
	v_fma_f64 v[103:104], v[99:100], v[97:98], -v[103:104]
	v_mul_f64 v[99:100], v[99:100], v[105:106]
	v_add_f64 v[37:38], v[37:38], -v[103:104]
	v_fma_f64 v[99:100], v[101:102], v[97:98], v[99:100]
	v_add_f64 v[39:40], v[39:40], -v[99:100]
	;; [unrolled: 8-line block ×10, first 2 shown]
	ds_read2_b64 v[99:102], v125 offset0:116 offset1:117
	s_waitcnt lgkmcnt(0)
	v_mul_f64 v[103:104], v[101:102], v[105:106]
	v_fma_f64 v[103:104], v[99:100], v[97:98], -v[103:104]
	v_mul_f64 v[99:100], v[99:100], v[105:106]
	v_add_f64 v[1:2], v[1:2], -v[103:104]
	v_fma_f64 v[99:100], v[101:102], v[97:98], v[99:100]
	ds_read2_b64 v[101:104], v125 offset0:118 offset1:119
	v_add_f64 v[3:4], v[3:4], -v[99:100]
	s_waitcnt lgkmcnt(0)
	v_mul_f64 v[99:100], v[103:104], v[105:106]
	v_fma_f64 v[99:100], v[101:102], v[97:98], -v[99:100]
	v_mul_f64 v[101:102], v[101:102], v[105:106]
	v_add_f64 v[121:122], v[121:122], -v[99:100]
	v_fma_f64 v[101:102], v[103:104], v[97:98], v[101:102]
	v_mov_b32_e32 v104, v98
	v_mov_b32_e32 v103, v97
	buffer_store_dword v103, off, s[20:23], 0 offset:592 ; 4-byte Folded Spill
	s_nop 0
	buffer_store_dword v104, off, s[20:23], 0 offset:596 ; 4-byte Folded Spill
	buffer_store_dword v105, off, s[20:23], 0 offset:600 ; 4-byte Folded Spill
	;; [unrolled: 1-line block ×3, first 2 shown]
	v_add_f64 v[123:124], v[123:124], -v[101:102]
.LBB119_91:
	s_or_b64 exec, exec, s[2:3]
	v_cmp_eq_u32_e32 vcc, 10, v0
	s_waitcnt vmcnt(0)
	s_barrier
	s_and_saveexec_b64 s[4:5], vcc
	s_cbranch_execz .LBB119_98
; %bb.92:
	buffer_load_dword v65, off, s[20:23], 0 offset:576 ; 4-byte Folded Reload
	buffer_load_dword v66, off, s[20:23], 0 offset:580 ; 4-byte Folded Reload
	;; [unrolled: 1-line block ×4, first 2 shown]
	s_waitcnt vmcnt(0)
	ds_write2_b64 v127, v[65:66], v[67:68] offset1:1
	buffer_load_dword v65, off, s[20:23], 0 offset:560 ; 4-byte Folded Reload
	buffer_load_dword v66, off, s[20:23], 0 offset:564 ; 4-byte Folded Reload
	buffer_load_dword v67, off, s[20:23], 0 offset:568 ; 4-byte Folded Reload
	buffer_load_dword v68, off, s[20:23], 0 offset:572 ; 4-byte Folded Reload
	s_waitcnt vmcnt(0)
	ds_write2_b64 v125, v[65:66], v[67:68] offset0:22 offset1:23
	buffer_load_dword v65, off, s[20:23], 0 offset:544 ; 4-byte Folded Reload
	buffer_load_dword v66, off, s[20:23], 0 offset:548 ; 4-byte Folded Reload
	buffer_load_dword v67, off, s[20:23], 0 offset:552 ; 4-byte Folded Reload
	buffer_load_dword v68, off, s[20:23], 0 offset:556 ; 4-byte Folded Reload
	s_waitcnt vmcnt(0)
	ds_write2_b64 v125, v[65:66], v[67:68] offset0:24 offset1:25
	;; [unrolled: 6-line block ×24, first 2 shown]
	ds_write2_b64 v125, v[93:94], v[95:96] offset0:70 offset1:71
	buffer_load_dword v41, off, s[20:23], 0 offset:176 ; 4-byte Folded Reload
	buffer_load_dword v42, off, s[20:23], 0 offset:180 ; 4-byte Folded Reload
	buffer_load_dword v43, off, s[20:23], 0 offset:184 ; 4-byte Folded Reload
	buffer_load_dword v44, off, s[20:23], 0 offset:188 ; 4-byte Folded Reload
	s_waitcnt vmcnt(0)
	ds_write2_b64 v125, v[41:42], v[43:44] offset0:72 offset1:73
	buffer_load_dword v65, off, s[20:23], 0 offset:160 ; 4-byte Folded Reload
	buffer_load_dword v66, off, s[20:23], 0 offset:164 ; 4-byte Folded Reload
	buffer_load_dword v67, off, s[20:23], 0 offset:168 ; 4-byte Folded Reload
	buffer_load_dword v68, off, s[20:23], 0 offset:172 ; 4-byte Folded Reload
	s_waitcnt vmcnt(0)
	;; [unrolled: 6-line block ×11, first 2 shown]
	ds_write2_b64 v125, v[49:50], v[51:52] offset0:92 offset1:93
	buffer_load_dword v45, off, s[20:23], 0 ; 4-byte Folded Reload
	buffer_load_dword v46, off, s[20:23], 0 offset:4 ; 4-byte Folded Reload
	buffer_load_dword v47, off, s[20:23], 0 offset:8 ; 4-byte Folded Reload
	buffer_load_dword v48, off, s[20:23], 0 offset:12 ; 4-byte Folded Reload
	s_waitcnt vmcnt(0)
	ds_write2_b64 v125, v[45:46], v[47:48] offset0:94 offset1:95
	ds_write2_b64 v125, v[113:114], v[115:116] offset0:96 offset1:97
	;; [unrolled: 1-line block ×13, first 2 shown]
	ds_read2_b64 v[97:100], v127 offset1:1
	s_waitcnt lgkmcnt(0)
	v_cmp_neq_f64_e32 vcc, 0, v[97:98]
	v_cmp_neq_f64_e64 s[2:3], 0, v[99:100]
	s_or_b64 s[2:3], vcc, s[2:3]
	s_and_b64 exec, exec, s[2:3]
	s_cbranch_execz .LBB119_98
; %bb.93:
	v_cmp_ngt_f64_e64 s[2:3], |v[97:98]|, |v[99:100]|
                                        ; implicit-def: $vgpr101_vgpr102
	s_and_saveexec_b64 s[6:7], s[2:3]
	s_xor_b64 s[2:3], exec, s[6:7]
                                        ; implicit-def: $vgpr103_vgpr104
	s_cbranch_execz .LBB119_95
; %bb.94:
	v_div_scale_f64 v[101:102], s[6:7], v[99:100], v[99:100], v[97:98]
	v_rcp_f64_e32 v[103:104], v[101:102]
	v_fma_f64 v[105:106], -v[101:102], v[103:104], 1.0
	v_fma_f64 v[103:104], v[103:104], v[105:106], v[103:104]
	v_div_scale_f64 v[105:106], vcc, v[97:98], v[99:100], v[97:98]
	v_fma_f64 v[107:108], -v[101:102], v[103:104], 1.0
	v_fma_f64 v[103:104], v[103:104], v[107:108], v[103:104]
	v_mul_f64 v[107:108], v[105:106], v[103:104]
	v_fma_f64 v[101:102], -v[101:102], v[107:108], v[105:106]
	v_div_fmas_f64 v[101:102], v[101:102], v[103:104], v[107:108]
	v_div_fixup_f64 v[101:102], v[101:102], v[99:100], v[97:98]
	v_fma_f64 v[97:98], v[97:98], v[101:102], v[99:100]
	v_div_scale_f64 v[99:100], s[6:7], v[97:98], v[97:98], 1.0
	v_div_scale_f64 v[107:108], vcc, 1.0, v[97:98], 1.0
	v_rcp_f64_e32 v[103:104], v[99:100]
	v_fma_f64 v[105:106], -v[99:100], v[103:104], 1.0
	v_fma_f64 v[103:104], v[103:104], v[105:106], v[103:104]
	v_fma_f64 v[105:106], -v[99:100], v[103:104], 1.0
	v_fma_f64 v[103:104], v[103:104], v[105:106], v[103:104]
	v_mul_f64 v[105:106], v[107:108], v[103:104]
	v_fma_f64 v[99:100], -v[99:100], v[105:106], v[107:108]
	v_div_fmas_f64 v[99:100], v[99:100], v[103:104], v[105:106]
	v_div_fixup_f64 v[103:104], v[99:100], v[97:98], 1.0
                                        ; implicit-def: $vgpr97_vgpr98
	v_mul_f64 v[101:102], v[101:102], v[103:104]
	v_xor_b32_e32 v104, 0x80000000, v104
.LBB119_95:
	s_andn2_saveexec_b64 s[2:3], s[2:3]
	s_cbranch_execz .LBB119_97
; %bb.96:
	v_div_scale_f64 v[101:102], s[6:7], v[97:98], v[97:98], v[99:100]
	v_rcp_f64_e32 v[103:104], v[101:102]
	v_fma_f64 v[105:106], -v[101:102], v[103:104], 1.0
	v_fma_f64 v[103:104], v[103:104], v[105:106], v[103:104]
	v_div_scale_f64 v[105:106], vcc, v[99:100], v[97:98], v[99:100]
	v_fma_f64 v[107:108], -v[101:102], v[103:104], 1.0
	v_fma_f64 v[103:104], v[103:104], v[107:108], v[103:104]
	v_mul_f64 v[107:108], v[105:106], v[103:104]
	v_fma_f64 v[101:102], -v[101:102], v[107:108], v[105:106]
	v_div_fmas_f64 v[101:102], v[101:102], v[103:104], v[107:108]
	v_div_fixup_f64 v[103:104], v[101:102], v[97:98], v[99:100]
	v_fma_f64 v[97:98], v[99:100], v[103:104], v[97:98]
	v_div_scale_f64 v[99:100], s[6:7], v[97:98], v[97:98], 1.0
	v_div_scale_f64 v[107:108], vcc, 1.0, v[97:98], 1.0
	v_rcp_f64_e32 v[101:102], v[99:100]
	v_fma_f64 v[105:106], -v[99:100], v[101:102], 1.0
	v_fma_f64 v[101:102], v[101:102], v[105:106], v[101:102]
	v_fma_f64 v[105:106], -v[99:100], v[101:102], 1.0
	v_fma_f64 v[101:102], v[101:102], v[105:106], v[101:102]
	v_mul_f64 v[105:106], v[107:108], v[101:102]
	v_fma_f64 v[99:100], -v[99:100], v[105:106], v[107:108]
	v_div_fmas_f64 v[99:100], v[99:100], v[101:102], v[105:106]
	v_div_fixup_f64 v[101:102], v[99:100], v[97:98], 1.0
	v_mul_f64 v[103:104], v[103:104], -v[101:102]
.LBB119_97:
	s_or_b64 exec, exec, s[2:3]
	ds_write2_b64 v127, v[101:102], v[103:104] offset1:1
.LBB119_98:
	s_or_b64 exec, exec, s[4:5]
	s_waitcnt lgkmcnt(0)
	s_barrier
	ds_read2_b64 v[65:68], v127 offset1:1
	v_cmp_lt_u32_e32 vcc, 10, v0
	s_waitcnt lgkmcnt(0)
	buffer_store_dword v65, off, s[20:23], 0 offset:1384 ; 4-byte Folded Spill
	s_nop 0
	buffer_store_dword v66, off, s[20:23], 0 offset:1388 ; 4-byte Folded Spill
	buffer_store_dword v67, off, s[20:23], 0 offset:1392 ; 4-byte Folded Spill
	;; [unrolled: 1-line block ×3, first 2 shown]
	s_and_saveexec_b64 s[2:3], vcc
	s_cbranch_execz .LBB119_100
; %bb.99:
	buffer_load_dword v103, off, s[20:23], 0 offset:576 ; 4-byte Folded Reload
	buffer_load_dword v104, off, s[20:23], 0 offset:580 ; 4-byte Folded Reload
	buffer_load_dword v105, off, s[20:23], 0 offset:584 ; 4-byte Folded Reload
	buffer_load_dword v106, off, s[20:23], 0 offset:588 ; 4-byte Folded Reload
	buffer_load_dword v65, off, s[20:23], 0 offset:1384 ; 4-byte Folded Reload
	buffer_load_dword v66, off, s[20:23], 0 offset:1388 ; 4-byte Folded Reload
	buffer_load_dword v67, off, s[20:23], 0 offset:1392 ; 4-byte Folded Reload
	buffer_load_dword v68, off, s[20:23], 0 offset:1396 ; 4-byte Folded Reload
	s_waitcnt vmcnt(2)
	v_mul_f64 v[99:100], v[65:66], v[105:106]
	s_waitcnt vmcnt(0)
	v_mul_f64 v[97:98], v[67:68], v[105:106]
	v_fma_f64 v[105:106], v[67:68], v[103:104], v[99:100]
	ds_read2_b64 v[99:102], v125 offset0:22 offset1:23
	v_fma_f64 v[97:98], v[65:66], v[103:104], -v[97:98]
	buffer_load_dword v65, off, s[20:23], 0 offset:560 ; 4-byte Folded Reload
	buffer_load_dword v66, off, s[20:23], 0 offset:564 ; 4-byte Folded Reload
	buffer_load_dword v67, off, s[20:23], 0 offset:568 ; 4-byte Folded Reload
	buffer_load_dword v68, off, s[20:23], 0 offset:572 ; 4-byte Folded Reload
	s_waitcnt lgkmcnt(0)
	v_mul_f64 v[103:104], v[101:102], v[105:106]
	v_fma_f64 v[103:104], v[99:100], v[97:98], -v[103:104]
	v_mul_f64 v[99:100], v[99:100], v[105:106]
	v_fma_f64 v[99:100], v[101:102], v[97:98], v[99:100]
	s_waitcnt vmcnt(2)
	v_add_f64 v[65:66], v[65:66], -v[103:104]
	s_waitcnt vmcnt(0)
	v_add_f64 v[67:68], v[67:68], -v[99:100]
	buffer_store_dword v65, off, s[20:23], 0 offset:560 ; 4-byte Folded Spill
	s_nop 0
	buffer_store_dword v66, off, s[20:23], 0 offset:564 ; 4-byte Folded Spill
	buffer_store_dword v67, off, s[20:23], 0 offset:568 ; 4-byte Folded Spill
	buffer_store_dword v68, off, s[20:23], 0 offset:572 ; 4-byte Folded Spill
	ds_read2_b64 v[99:102], v125 offset0:24 offset1:25
	buffer_load_dword v65, off, s[20:23], 0 offset:544 ; 4-byte Folded Reload
	buffer_load_dword v66, off, s[20:23], 0 offset:548 ; 4-byte Folded Reload
	buffer_load_dword v67, off, s[20:23], 0 offset:552 ; 4-byte Folded Reload
	buffer_load_dword v68, off, s[20:23], 0 offset:556 ; 4-byte Folded Reload
	s_waitcnt lgkmcnt(0)
	v_mul_f64 v[103:104], v[101:102], v[105:106]
	v_fma_f64 v[103:104], v[99:100], v[97:98], -v[103:104]
	v_mul_f64 v[99:100], v[99:100], v[105:106]
	v_fma_f64 v[99:100], v[101:102], v[97:98], v[99:100]
	s_waitcnt vmcnt(2)
	v_add_f64 v[65:66], v[65:66], -v[103:104]
	s_waitcnt vmcnt(0)
	v_add_f64 v[67:68], v[67:68], -v[99:100]
	buffer_store_dword v65, off, s[20:23], 0 offset:544 ; 4-byte Folded Spill
	s_nop 0
	buffer_store_dword v66, off, s[20:23], 0 offset:548 ; 4-byte Folded Spill
	buffer_store_dword v67, off, s[20:23], 0 offset:552 ; 4-byte Folded Spill
	buffer_store_dword v68, off, s[20:23], 0 offset:556 ; 4-byte Folded Spill
	ds_read2_b64 v[99:102], v125 offset0:26 offset1:27
	;; [unrolled: 19-line block ×24, first 2 shown]
	s_waitcnt lgkmcnt(0)
	v_mul_f64 v[103:104], v[101:102], v[105:106]
	v_fma_f64 v[103:104], v[99:100], v[97:98], -v[103:104]
	v_mul_f64 v[99:100], v[99:100], v[105:106]
	v_add_f64 v[93:94], v[93:94], -v[103:104]
	v_fma_f64 v[99:100], v[101:102], v[97:98], v[99:100]
	v_add_f64 v[95:96], v[95:96], -v[99:100]
	ds_read2_b64 v[99:102], v125 offset0:72 offset1:73
	buffer_load_dword v41, off, s[20:23], 0 offset:176 ; 4-byte Folded Reload
	buffer_load_dword v42, off, s[20:23], 0 offset:180 ; 4-byte Folded Reload
	buffer_load_dword v43, off, s[20:23], 0 offset:184 ; 4-byte Folded Reload
	buffer_load_dword v44, off, s[20:23], 0 offset:188 ; 4-byte Folded Reload
	s_waitcnt lgkmcnt(0)
	v_mul_f64 v[103:104], v[101:102], v[105:106]
	v_fma_f64 v[103:104], v[99:100], v[97:98], -v[103:104]
	v_mul_f64 v[99:100], v[99:100], v[105:106]
	v_fma_f64 v[99:100], v[101:102], v[97:98], v[99:100]
	s_waitcnt vmcnt(2)
	v_add_f64 v[41:42], v[41:42], -v[103:104]
	s_waitcnt vmcnt(0)
	v_add_f64 v[43:44], v[43:44], -v[99:100]
	buffer_store_dword v41, off, s[20:23], 0 offset:176 ; 4-byte Folded Spill
	s_nop 0
	buffer_store_dword v42, off, s[20:23], 0 offset:180 ; 4-byte Folded Spill
	buffer_store_dword v43, off, s[20:23], 0 offset:184 ; 4-byte Folded Spill
	buffer_store_dword v44, off, s[20:23], 0 offset:188 ; 4-byte Folded Spill
	ds_read2_b64 v[99:102], v125 offset0:74 offset1:75
	buffer_load_dword v65, off, s[20:23], 0 offset:160 ; 4-byte Folded Reload
	buffer_load_dword v66, off, s[20:23], 0 offset:164 ; 4-byte Folded Reload
	buffer_load_dword v67, off, s[20:23], 0 offset:168 ; 4-byte Folded Reload
	buffer_load_dword v68, off, s[20:23], 0 offset:172 ; 4-byte Folded Reload
	s_waitcnt lgkmcnt(0)
	v_mul_f64 v[103:104], v[101:102], v[105:106]
	v_fma_f64 v[103:104], v[99:100], v[97:98], -v[103:104]
	v_mul_f64 v[99:100], v[99:100], v[105:106]
	v_fma_f64 v[99:100], v[101:102], v[97:98], v[99:100]
	s_waitcnt vmcnt(2)
	v_add_f64 v[65:66], v[65:66], -v[103:104]
	s_waitcnt vmcnt(0)
	v_add_f64 v[67:68], v[67:68], -v[99:100]
	buffer_store_dword v65, off, s[20:23], 0 offset:160 ; 4-byte Folded Spill
	s_nop 0
	buffer_store_dword v66, off, s[20:23], 0 offset:164 ; 4-byte Folded Spill
	buffer_store_dword v67, off, s[20:23], 0 offset:168 ; 4-byte Folded Spill
	buffer_store_dword v68, off, s[20:23], 0 offset:172 ; 4-byte Folded Spill
	;; [unrolled: 19-line block ×11, first 2 shown]
	ds_read2_b64 v[99:102], v125 offset0:94 offset1:95
	buffer_load_dword v45, off, s[20:23], 0 ; 4-byte Folded Reload
	buffer_load_dword v46, off, s[20:23], 0 offset:4 ; 4-byte Folded Reload
	buffer_load_dword v47, off, s[20:23], 0 offset:8 ; 4-byte Folded Reload
	;; [unrolled: 1-line block ×3, first 2 shown]
	s_waitcnt lgkmcnt(0)
	v_mul_f64 v[103:104], v[101:102], v[105:106]
	v_fma_f64 v[103:104], v[99:100], v[97:98], -v[103:104]
	v_mul_f64 v[99:100], v[99:100], v[105:106]
	v_fma_f64 v[99:100], v[101:102], v[97:98], v[99:100]
	s_waitcnt vmcnt(2)
	v_add_f64 v[45:46], v[45:46], -v[103:104]
	s_waitcnt vmcnt(0)
	v_add_f64 v[47:48], v[47:48], -v[99:100]
	buffer_store_dword v45, off, s[20:23], 0 ; 4-byte Folded Spill
	s_nop 0
	buffer_store_dword v46, off, s[20:23], 0 offset:4 ; 4-byte Folded Spill
	buffer_store_dword v47, off, s[20:23], 0 offset:8 ; 4-byte Folded Spill
	;; [unrolled: 1-line block ×3, first 2 shown]
	ds_read2_b64 v[99:102], v125 offset0:96 offset1:97
	s_waitcnt lgkmcnt(0)
	v_mul_f64 v[103:104], v[101:102], v[105:106]
	v_fma_f64 v[103:104], v[99:100], v[97:98], -v[103:104]
	v_mul_f64 v[99:100], v[99:100], v[105:106]
	v_add_f64 v[113:114], v[113:114], -v[103:104]
	v_fma_f64 v[99:100], v[101:102], v[97:98], v[99:100]
	v_add_f64 v[115:116], v[115:116], -v[99:100]
	ds_read2_b64 v[99:102], v125 offset0:98 offset1:99
	s_waitcnt lgkmcnt(0)
	v_mul_f64 v[103:104], v[101:102], v[105:106]
	v_fma_f64 v[103:104], v[99:100], v[97:98], -v[103:104]
	v_mul_f64 v[99:100], v[99:100], v[105:106]
	v_add_f64 v[37:38], v[37:38], -v[103:104]
	v_fma_f64 v[99:100], v[101:102], v[97:98], v[99:100]
	v_add_f64 v[39:40], v[39:40], -v[99:100]
	;; [unrolled: 8-line block ×10, first 2 shown]
	ds_read2_b64 v[99:102], v125 offset0:116 offset1:117
	s_waitcnt lgkmcnt(0)
	v_mul_f64 v[103:104], v[101:102], v[105:106]
	v_fma_f64 v[103:104], v[99:100], v[97:98], -v[103:104]
	v_mul_f64 v[99:100], v[99:100], v[105:106]
	v_add_f64 v[1:2], v[1:2], -v[103:104]
	v_fma_f64 v[99:100], v[101:102], v[97:98], v[99:100]
	ds_read2_b64 v[101:104], v125 offset0:118 offset1:119
	v_add_f64 v[3:4], v[3:4], -v[99:100]
	s_waitcnt lgkmcnt(0)
	v_mul_f64 v[99:100], v[103:104], v[105:106]
	v_fma_f64 v[99:100], v[101:102], v[97:98], -v[99:100]
	v_mul_f64 v[101:102], v[101:102], v[105:106]
	v_add_f64 v[121:122], v[121:122], -v[99:100]
	v_fma_f64 v[101:102], v[103:104], v[97:98], v[101:102]
	v_mov_b32_e32 v104, v98
	v_mov_b32_e32 v103, v97
	buffer_store_dword v103, off, s[20:23], 0 offset:576 ; 4-byte Folded Spill
	s_nop 0
	buffer_store_dword v104, off, s[20:23], 0 offset:580 ; 4-byte Folded Spill
	buffer_store_dword v105, off, s[20:23], 0 offset:584 ; 4-byte Folded Spill
	;; [unrolled: 1-line block ×3, first 2 shown]
	v_add_f64 v[123:124], v[123:124], -v[101:102]
.LBB119_100:
	s_or_b64 exec, exec, s[2:3]
	v_cmp_eq_u32_e32 vcc, 11, v0
	s_waitcnt vmcnt(0)
	s_barrier
	s_and_saveexec_b64 s[4:5], vcc
	s_cbranch_execz .LBB119_107
; %bb.101:
	buffer_load_dword v65, off, s[20:23], 0 offset:560 ; 4-byte Folded Reload
	buffer_load_dword v66, off, s[20:23], 0 offset:564 ; 4-byte Folded Reload
	;; [unrolled: 1-line block ×4, first 2 shown]
	s_waitcnt vmcnt(0)
	ds_write2_b64 v127, v[65:66], v[67:68] offset1:1
	buffer_load_dword v65, off, s[20:23], 0 offset:544 ; 4-byte Folded Reload
	buffer_load_dword v66, off, s[20:23], 0 offset:548 ; 4-byte Folded Reload
	buffer_load_dword v67, off, s[20:23], 0 offset:552 ; 4-byte Folded Reload
	buffer_load_dword v68, off, s[20:23], 0 offset:556 ; 4-byte Folded Reload
	s_waitcnt vmcnt(0)
	ds_write2_b64 v125, v[65:66], v[67:68] offset0:24 offset1:25
	buffer_load_dword v65, off, s[20:23], 0 offset:528 ; 4-byte Folded Reload
	buffer_load_dword v66, off, s[20:23], 0 offset:532 ; 4-byte Folded Reload
	buffer_load_dword v67, off, s[20:23], 0 offset:536 ; 4-byte Folded Reload
	buffer_load_dword v68, off, s[20:23], 0 offset:540 ; 4-byte Folded Reload
	s_waitcnt vmcnt(0)
	ds_write2_b64 v125, v[65:66], v[67:68] offset0:26 offset1:27
	;; [unrolled: 6-line block ×23, first 2 shown]
	ds_write2_b64 v125, v[93:94], v[95:96] offset0:70 offset1:71
	buffer_load_dword v41, off, s[20:23], 0 offset:176 ; 4-byte Folded Reload
	buffer_load_dword v42, off, s[20:23], 0 offset:180 ; 4-byte Folded Reload
	buffer_load_dword v43, off, s[20:23], 0 offset:184 ; 4-byte Folded Reload
	buffer_load_dword v44, off, s[20:23], 0 offset:188 ; 4-byte Folded Reload
	s_waitcnt vmcnt(0)
	ds_write2_b64 v125, v[41:42], v[43:44] offset0:72 offset1:73
	buffer_load_dword v65, off, s[20:23], 0 offset:160 ; 4-byte Folded Reload
	buffer_load_dword v66, off, s[20:23], 0 offset:164 ; 4-byte Folded Reload
	buffer_load_dword v67, off, s[20:23], 0 offset:168 ; 4-byte Folded Reload
	buffer_load_dword v68, off, s[20:23], 0 offset:172 ; 4-byte Folded Reload
	s_waitcnt vmcnt(0)
	;; [unrolled: 6-line block ×11, first 2 shown]
	ds_write2_b64 v125, v[49:50], v[51:52] offset0:92 offset1:93
	buffer_load_dword v45, off, s[20:23], 0 ; 4-byte Folded Reload
	buffer_load_dword v46, off, s[20:23], 0 offset:4 ; 4-byte Folded Reload
	buffer_load_dword v47, off, s[20:23], 0 offset:8 ; 4-byte Folded Reload
	buffer_load_dword v48, off, s[20:23], 0 offset:12 ; 4-byte Folded Reload
	s_waitcnt vmcnt(0)
	ds_write2_b64 v125, v[45:46], v[47:48] offset0:94 offset1:95
	ds_write2_b64 v125, v[113:114], v[115:116] offset0:96 offset1:97
	;; [unrolled: 1-line block ×13, first 2 shown]
	ds_read2_b64 v[97:100], v127 offset1:1
	s_waitcnt lgkmcnt(0)
	v_cmp_neq_f64_e32 vcc, 0, v[97:98]
	v_cmp_neq_f64_e64 s[2:3], 0, v[99:100]
	s_or_b64 s[2:3], vcc, s[2:3]
	s_and_b64 exec, exec, s[2:3]
	s_cbranch_execz .LBB119_107
; %bb.102:
	v_cmp_ngt_f64_e64 s[2:3], |v[97:98]|, |v[99:100]|
                                        ; implicit-def: $vgpr101_vgpr102
	s_and_saveexec_b64 s[6:7], s[2:3]
	s_xor_b64 s[2:3], exec, s[6:7]
                                        ; implicit-def: $vgpr103_vgpr104
	s_cbranch_execz .LBB119_104
; %bb.103:
	v_div_scale_f64 v[101:102], s[6:7], v[99:100], v[99:100], v[97:98]
	v_rcp_f64_e32 v[103:104], v[101:102]
	v_fma_f64 v[105:106], -v[101:102], v[103:104], 1.0
	v_fma_f64 v[103:104], v[103:104], v[105:106], v[103:104]
	v_div_scale_f64 v[105:106], vcc, v[97:98], v[99:100], v[97:98]
	v_fma_f64 v[107:108], -v[101:102], v[103:104], 1.0
	v_fma_f64 v[103:104], v[103:104], v[107:108], v[103:104]
	v_mul_f64 v[107:108], v[105:106], v[103:104]
	v_fma_f64 v[101:102], -v[101:102], v[107:108], v[105:106]
	v_div_fmas_f64 v[101:102], v[101:102], v[103:104], v[107:108]
	v_div_fixup_f64 v[101:102], v[101:102], v[99:100], v[97:98]
	v_fma_f64 v[97:98], v[97:98], v[101:102], v[99:100]
	v_div_scale_f64 v[99:100], s[6:7], v[97:98], v[97:98], 1.0
	v_div_scale_f64 v[107:108], vcc, 1.0, v[97:98], 1.0
	v_rcp_f64_e32 v[103:104], v[99:100]
	v_fma_f64 v[105:106], -v[99:100], v[103:104], 1.0
	v_fma_f64 v[103:104], v[103:104], v[105:106], v[103:104]
	v_fma_f64 v[105:106], -v[99:100], v[103:104], 1.0
	v_fma_f64 v[103:104], v[103:104], v[105:106], v[103:104]
	v_mul_f64 v[105:106], v[107:108], v[103:104]
	v_fma_f64 v[99:100], -v[99:100], v[105:106], v[107:108]
	v_div_fmas_f64 v[99:100], v[99:100], v[103:104], v[105:106]
	v_div_fixup_f64 v[103:104], v[99:100], v[97:98], 1.0
                                        ; implicit-def: $vgpr97_vgpr98
	v_mul_f64 v[101:102], v[101:102], v[103:104]
	v_xor_b32_e32 v104, 0x80000000, v104
.LBB119_104:
	s_andn2_saveexec_b64 s[2:3], s[2:3]
	s_cbranch_execz .LBB119_106
; %bb.105:
	v_div_scale_f64 v[101:102], s[6:7], v[97:98], v[97:98], v[99:100]
	v_rcp_f64_e32 v[103:104], v[101:102]
	v_fma_f64 v[105:106], -v[101:102], v[103:104], 1.0
	v_fma_f64 v[103:104], v[103:104], v[105:106], v[103:104]
	v_div_scale_f64 v[105:106], vcc, v[99:100], v[97:98], v[99:100]
	v_fma_f64 v[107:108], -v[101:102], v[103:104], 1.0
	v_fma_f64 v[103:104], v[103:104], v[107:108], v[103:104]
	v_mul_f64 v[107:108], v[105:106], v[103:104]
	v_fma_f64 v[101:102], -v[101:102], v[107:108], v[105:106]
	v_div_fmas_f64 v[101:102], v[101:102], v[103:104], v[107:108]
	v_div_fixup_f64 v[103:104], v[101:102], v[97:98], v[99:100]
	v_fma_f64 v[97:98], v[99:100], v[103:104], v[97:98]
	v_div_scale_f64 v[99:100], s[6:7], v[97:98], v[97:98], 1.0
	v_div_scale_f64 v[107:108], vcc, 1.0, v[97:98], 1.0
	v_rcp_f64_e32 v[101:102], v[99:100]
	v_fma_f64 v[105:106], -v[99:100], v[101:102], 1.0
	v_fma_f64 v[101:102], v[101:102], v[105:106], v[101:102]
	v_fma_f64 v[105:106], -v[99:100], v[101:102], 1.0
	v_fma_f64 v[101:102], v[101:102], v[105:106], v[101:102]
	v_mul_f64 v[105:106], v[107:108], v[101:102]
	v_fma_f64 v[99:100], -v[99:100], v[105:106], v[107:108]
	v_div_fmas_f64 v[99:100], v[99:100], v[101:102], v[105:106]
	v_div_fixup_f64 v[101:102], v[99:100], v[97:98], 1.0
	v_mul_f64 v[103:104], v[103:104], -v[101:102]
.LBB119_106:
	s_or_b64 exec, exec, s[2:3]
	ds_write2_b64 v127, v[101:102], v[103:104] offset1:1
.LBB119_107:
	s_or_b64 exec, exec, s[4:5]
	s_waitcnt lgkmcnt(0)
	s_barrier
	ds_read2_b64 v[65:68], v127 offset1:1
	v_cmp_lt_u32_e32 vcc, 11, v0
	s_waitcnt lgkmcnt(0)
	buffer_store_dword v65, off, s[20:23], 0 offset:1400 ; 4-byte Folded Spill
	s_nop 0
	buffer_store_dword v66, off, s[20:23], 0 offset:1404 ; 4-byte Folded Spill
	buffer_store_dword v67, off, s[20:23], 0 offset:1408 ; 4-byte Folded Spill
	;; [unrolled: 1-line block ×3, first 2 shown]
	s_and_saveexec_b64 s[2:3], vcc
	s_cbranch_execz .LBB119_109
; %bb.108:
	buffer_load_dword v103, off, s[20:23], 0 offset:560 ; 4-byte Folded Reload
	buffer_load_dword v104, off, s[20:23], 0 offset:564 ; 4-byte Folded Reload
	;; [unrolled: 1-line block ×8, first 2 shown]
	s_waitcnt vmcnt(2)
	v_mul_f64 v[99:100], v[65:66], v[105:106]
	s_waitcnt vmcnt(0)
	v_mul_f64 v[97:98], v[67:68], v[105:106]
	v_fma_f64 v[105:106], v[67:68], v[103:104], v[99:100]
	ds_read2_b64 v[99:102], v125 offset0:24 offset1:25
	v_fma_f64 v[97:98], v[65:66], v[103:104], -v[97:98]
	buffer_load_dword v65, off, s[20:23], 0 offset:544 ; 4-byte Folded Reload
	buffer_load_dword v66, off, s[20:23], 0 offset:548 ; 4-byte Folded Reload
	buffer_load_dword v67, off, s[20:23], 0 offset:552 ; 4-byte Folded Reload
	buffer_load_dword v68, off, s[20:23], 0 offset:556 ; 4-byte Folded Reload
	s_waitcnt lgkmcnt(0)
	v_mul_f64 v[103:104], v[101:102], v[105:106]
	v_fma_f64 v[103:104], v[99:100], v[97:98], -v[103:104]
	v_mul_f64 v[99:100], v[99:100], v[105:106]
	v_fma_f64 v[99:100], v[101:102], v[97:98], v[99:100]
	s_waitcnt vmcnt(2)
	v_add_f64 v[65:66], v[65:66], -v[103:104]
	s_waitcnt vmcnt(0)
	v_add_f64 v[67:68], v[67:68], -v[99:100]
	buffer_store_dword v65, off, s[20:23], 0 offset:544 ; 4-byte Folded Spill
	s_nop 0
	buffer_store_dword v66, off, s[20:23], 0 offset:548 ; 4-byte Folded Spill
	buffer_store_dword v67, off, s[20:23], 0 offset:552 ; 4-byte Folded Spill
	buffer_store_dword v68, off, s[20:23], 0 offset:556 ; 4-byte Folded Spill
	ds_read2_b64 v[99:102], v125 offset0:26 offset1:27
	buffer_load_dword v65, off, s[20:23], 0 offset:528 ; 4-byte Folded Reload
	buffer_load_dword v66, off, s[20:23], 0 offset:532 ; 4-byte Folded Reload
	buffer_load_dword v67, off, s[20:23], 0 offset:536 ; 4-byte Folded Reload
	buffer_load_dword v68, off, s[20:23], 0 offset:540 ; 4-byte Folded Reload
	s_waitcnt lgkmcnt(0)
	v_mul_f64 v[103:104], v[101:102], v[105:106]
	v_fma_f64 v[103:104], v[99:100], v[97:98], -v[103:104]
	v_mul_f64 v[99:100], v[99:100], v[105:106]
	v_fma_f64 v[99:100], v[101:102], v[97:98], v[99:100]
	s_waitcnt vmcnt(2)
	v_add_f64 v[65:66], v[65:66], -v[103:104]
	s_waitcnt vmcnt(0)
	v_add_f64 v[67:68], v[67:68], -v[99:100]
	buffer_store_dword v65, off, s[20:23], 0 offset:528 ; 4-byte Folded Spill
	s_nop 0
	buffer_store_dword v66, off, s[20:23], 0 offset:532 ; 4-byte Folded Spill
	buffer_store_dword v67, off, s[20:23], 0 offset:536 ; 4-byte Folded Spill
	buffer_store_dword v68, off, s[20:23], 0 offset:540 ; 4-byte Folded Spill
	ds_read2_b64 v[99:102], v125 offset0:28 offset1:29
	;; [unrolled: 19-line block ×23, first 2 shown]
	s_waitcnt lgkmcnt(0)
	v_mul_f64 v[103:104], v[101:102], v[105:106]
	v_fma_f64 v[103:104], v[99:100], v[97:98], -v[103:104]
	v_mul_f64 v[99:100], v[99:100], v[105:106]
	v_add_f64 v[93:94], v[93:94], -v[103:104]
	v_fma_f64 v[99:100], v[101:102], v[97:98], v[99:100]
	v_add_f64 v[95:96], v[95:96], -v[99:100]
	ds_read2_b64 v[99:102], v125 offset0:72 offset1:73
	buffer_load_dword v41, off, s[20:23], 0 offset:176 ; 4-byte Folded Reload
	buffer_load_dword v42, off, s[20:23], 0 offset:180 ; 4-byte Folded Reload
	buffer_load_dword v43, off, s[20:23], 0 offset:184 ; 4-byte Folded Reload
	buffer_load_dword v44, off, s[20:23], 0 offset:188 ; 4-byte Folded Reload
	s_waitcnt lgkmcnt(0)
	v_mul_f64 v[103:104], v[101:102], v[105:106]
	v_fma_f64 v[103:104], v[99:100], v[97:98], -v[103:104]
	v_mul_f64 v[99:100], v[99:100], v[105:106]
	v_fma_f64 v[99:100], v[101:102], v[97:98], v[99:100]
	s_waitcnt vmcnt(2)
	v_add_f64 v[41:42], v[41:42], -v[103:104]
	s_waitcnt vmcnt(0)
	v_add_f64 v[43:44], v[43:44], -v[99:100]
	buffer_store_dword v41, off, s[20:23], 0 offset:176 ; 4-byte Folded Spill
	s_nop 0
	buffer_store_dword v42, off, s[20:23], 0 offset:180 ; 4-byte Folded Spill
	buffer_store_dword v43, off, s[20:23], 0 offset:184 ; 4-byte Folded Spill
	buffer_store_dword v44, off, s[20:23], 0 offset:188 ; 4-byte Folded Spill
	ds_read2_b64 v[99:102], v125 offset0:74 offset1:75
	buffer_load_dword v65, off, s[20:23], 0 offset:160 ; 4-byte Folded Reload
	buffer_load_dword v66, off, s[20:23], 0 offset:164 ; 4-byte Folded Reload
	buffer_load_dword v67, off, s[20:23], 0 offset:168 ; 4-byte Folded Reload
	buffer_load_dword v68, off, s[20:23], 0 offset:172 ; 4-byte Folded Reload
	s_waitcnt lgkmcnt(0)
	v_mul_f64 v[103:104], v[101:102], v[105:106]
	v_fma_f64 v[103:104], v[99:100], v[97:98], -v[103:104]
	v_mul_f64 v[99:100], v[99:100], v[105:106]
	v_fma_f64 v[99:100], v[101:102], v[97:98], v[99:100]
	s_waitcnt vmcnt(2)
	v_add_f64 v[65:66], v[65:66], -v[103:104]
	s_waitcnt vmcnt(0)
	v_add_f64 v[67:68], v[67:68], -v[99:100]
	buffer_store_dword v65, off, s[20:23], 0 offset:160 ; 4-byte Folded Spill
	s_nop 0
	buffer_store_dword v66, off, s[20:23], 0 offset:164 ; 4-byte Folded Spill
	buffer_store_dword v67, off, s[20:23], 0 offset:168 ; 4-byte Folded Spill
	buffer_store_dword v68, off, s[20:23], 0 offset:172 ; 4-byte Folded Spill
	;; [unrolled: 19-line block ×11, first 2 shown]
	ds_read2_b64 v[99:102], v125 offset0:94 offset1:95
	buffer_load_dword v45, off, s[20:23], 0 ; 4-byte Folded Reload
	buffer_load_dword v46, off, s[20:23], 0 offset:4 ; 4-byte Folded Reload
	buffer_load_dword v47, off, s[20:23], 0 offset:8 ; 4-byte Folded Reload
	;; [unrolled: 1-line block ×3, first 2 shown]
	s_waitcnt lgkmcnt(0)
	v_mul_f64 v[103:104], v[101:102], v[105:106]
	v_fma_f64 v[103:104], v[99:100], v[97:98], -v[103:104]
	v_mul_f64 v[99:100], v[99:100], v[105:106]
	v_fma_f64 v[99:100], v[101:102], v[97:98], v[99:100]
	s_waitcnt vmcnt(2)
	v_add_f64 v[45:46], v[45:46], -v[103:104]
	s_waitcnt vmcnt(0)
	v_add_f64 v[47:48], v[47:48], -v[99:100]
	buffer_store_dword v45, off, s[20:23], 0 ; 4-byte Folded Spill
	s_nop 0
	buffer_store_dword v46, off, s[20:23], 0 offset:4 ; 4-byte Folded Spill
	buffer_store_dword v47, off, s[20:23], 0 offset:8 ; 4-byte Folded Spill
	;; [unrolled: 1-line block ×3, first 2 shown]
	ds_read2_b64 v[99:102], v125 offset0:96 offset1:97
	s_waitcnt lgkmcnt(0)
	v_mul_f64 v[103:104], v[101:102], v[105:106]
	v_fma_f64 v[103:104], v[99:100], v[97:98], -v[103:104]
	v_mul_f64 v[99:100], v[99:100], v[105:106]
	v_add_f64 v[113:114], v[113:114], -v[103:104]
	v_fma_f64 v[99:100], v[101:102], v[97:98], v[99:100]
	v_add_f64 v[115:116], v[115:116], -v[99:100]
	ds_read2_b64 v[99:102], v125 offset0:98 offset1:99
	s_waitcnt lgkmcnt(0)
	v_mul_f64 v[103:104], v[101:102], v[105:106]
	v_fma_f64 v[103:104], v[99:100], v[97:98], -v[103:104]
	v_mul_f64 v[99:100], v[99:100], v[105:106]
	v_add_f64 v[37:38], v[37:38], -v[103:104]
	v_fma_f64 v[99:100], v[101:102], v[97:98], v[99:100]
	v_add_f64 v[39:40], v[39:40], -v[99:100]
	;; [unrolled: 8-line block ×10, first 2 shown]
	ds_read2_b64 v[99:102], v125 offset0:116 offset1:117
	s_waitcnt lgkmcnt(0)
	v_mul_f64 v[103:104], v[101:102], v[105:106]
	v_fma_f64 v[103:104], v[99:100], v[97:98], -v[103:104]
	v_mul_f64 v[99:100], v[99:100], v[105:106]
	v_add_f64 v[1:2], v[1:2], -v[103:104]
	v_fma_f64 v[99:100], v[101:102], v[97:98], v[99:100]
	ds_read2_b64 v[101:104], v125 offset0:118 offset1:119
	v_add_f64 v[3:4], v[3:4], -v[99:100]
	s_waitcnt lgkmcnt(0)
	v_mul_f64 v[99:100], v[103:104], v[105:106]
	v_fma_f64 v[99:100], v[101:102], v[97:98], -v[99:100]
	v_mul_f64 v[101:102], v[101:102], v[105:106]
	v_add_f64 v[121:122], v[121:122], -v[99:100]
	v_fma_f64 v[101:102], v[103:104], v[97:98], v[101:102]
	v_mov_b32_e32 v104, v98
	v_mov_b32_e32 v103, v97
	buffer_store_dword v103, off, s[20:23], 0 offset:560 ; 4-byte Folded Spill
	s_nop 0
	buffer_store_dword v104, off, s[20:23], 0 offset:564 ; 4-byte Folded Spill
	buffer_store_dword v105, off, s[20:23], 0 offset:568 ; 4-byte Folded Spill
	;; [unrolled: 1-line block ×3, first 2 shown]
	v_add_f64 v[123:124], v[123:124], -v[101:102]
.LBB119_109:
	s_or_b64 exec, exec, s[2:3]
	v_cmp_eq_u32_e32 vcc, 12, v0
	s_waitcnt vmcnt(0)
	s_barrier
	s_and_saveexec_b64 s[4:5], vcc
	s_cbranch_execz .LBB119_116
; %bb.110:
	buffer_load_dword v65, off, s[20:23], 0 offset:544 ; 4-byte Folded Reload
	buffer_load_dword v66, off, s[20:23], 0 offset:548 ; 4-byte Folded Reload
	;; [unrolled: 1-line block ×4, first 2 shown]
	s_waitcnt vmcnt(0)
	ds_write2_b64 v127, v[65:66], v[67:68] offset1:1
	buffer_load_dword v65, off, s[20:23], 0 offset:528 ; 4-byte Folded Reload
	buffer_load_dword v66, off, s[20:23], 0 offset:532 ; 4-byte Folded Reload
	buffer_load_dword v67, off, s[20:23], 0 offset:536 ; 4-byte Folded Reload
	buffer_load_dword v68, off, s[20:23], 0 offset:540 ; 4-byte Folded Reload
	s_waitcnt vmcnt(0)
	ds_write2_b64 v125, v[65:66], v[67:68] offset0:26 offset1:27
	buffer_load_dword v65, off, s[20:23], 0 offset:512 ; 4-byte Folded Reload
	buffer_load_dword v66, off, s[20:23], 0 offset:516 ; 4-byte Folded Reload
	buffer_load_dword v67, off, s[20:23], 0 offset:520 ; 4-byte Folded Reload
	buffer_load_dword v68, off, s[20:23], 0 offset:524 ; 4-byte Folded Reload
	s_waitcnt vmcnt(0)
	ds_write2_b64 v125, v[65:66], v[67:68] offset0:28 offset1:29
	;; [unrolled: 6-line block ×22, first 2 shown]
	ds_write2_b64 v125, v[93:94], v[95:96] offset0:70 offset1:71
	buffer_load_dword v41, off, s[20:23], 0 offset:176 ; 4-byte Folded Reload
	buffer_load_dword v42, off, s[20:23], 0 offset:180 ; 4-byte Folded Reload
	buffer_load_dword v43, off, s[20:23], 0 offset:184 ; 4-byte Folded Reload
	buffer_load_dword v44, off, s[20:23], 0 offset:188 ; 4-byte Folded Reload
	s_waitcnt vmcnt(0)
	ds_write2_b64 v125, v[41:42], v[43:44] offset0:72 offset1:73
	buffer_load_dword v65, off, s[20:23], 0 offset:160 ; 4-byte Folded Reload
	buffer_load_dword v66, off, s[20:23], 0 offset:164 ; 4-byte Folded Reload
	buffer_load_dword v67, off, s[20:23], 0 offset:168 ; 4-byte Folded Reload
	buffer_load_dword v68, off, s[20:23], 0 offset:172 ; 4-byte Folded Reload
	s_waitcnt vmcnt(0)
	;; [unrolled: 6-line block ×11, first 2 shown]
	ds_write2_b64 v125, v[49:50], v[51:52] offset0:92 offset1:93
	buffer_load_dword v45, off, s[20:23], 0 ; 4-byte Folded Reload
	buffer_load_dword v46, off, s[20:23], 0 offset:4 ; 4-byte Folded Reload
	buffer_load_dword v47, off, s[20:23], 0 offset:8 ; 4-byte Folded Reload
	;; [unrolled: 1-line block ×3, first 2 shown]
	s_waitcnt vmcnt(0)
	ds_write2_b64 v125, v[45:46], v[47:48] offset0:94 offset1:95
	ds_write2_b64 v125, v[113:114], v[115:116] offset0:96 offset1:97
	;; [unrolled: 1-line block ×13, first 2 shown]
	ds_read2_b64 v[97:100], v127 offset1:1
	s_waitcnt lgkmcnt(0)
	v_cmp_neq_f64_e32 vcc, 0, v[97:98]
	v_cmp_neq_f64_e64 s[2:3], 0, v[99:100]
	s_or_b64 s[2:3], vcc, s[2:3]
	s_and_b64 exec, exec, s[2:3]
	s_cbranch_execz .LBB119_116
; %bb.111:
	v_cmp_ngt_f64_e64 s[2:3], |v[97:98]|, |v[99:100]|
                                        ; implicit-def: $vgpr101_vgpr102
	s_and_saveexec_b64 s[6:7], s[2:3]
	s_xor_b64 s[2:3], exec, s[6:7]
                                        ; implicit-def: $vgpr103_vgpr104
	s_cbranch_execz .LBB119_113
; %bb.112:
	v_div_scale_f64 v[101:102], s[6:7], v[99:100], v[99:100], v[97:98]
	v_rcp_f64_e32 v[103:104], v[101:102]
	v_fma_f64 v[105:106], -v[101:102], v[103:104], 1.0
	v_fma_f64 v[103:104], v[103:104], v[105:106], v[103:104]
	v_div_scale_f64 v[105:106], vcc, v[97:98], v[99:100], v[97:98]
	v_fma_f64 v[107:108], -v[101:102], v[103:104], 1.0
	v_fma_f64 v[103:104], v[103:104], v[107:108], v[103:104]
	v_mul_f64 v[107:108], v[105:106], v[103:104]
	v_fma_f64 v[101:102], -v[101:102], v[107:108], v[105:106]
	v_div_fmas_f64 v[101:102], v[101:102], v[103:104], v[107:108]
	v_div_fixup_f64 v[101:102], v[101:102], v[99:100], v[97:98]
	v_fma_f64 v[97:98], v[97:98], v[101:102], v[99:100]
	v_div_scale_f64 v[99:100], s[6:7], v[97:98], v[97:98], 1.0
	v_div_scale_f64 v[107:108], vcc, 1.0, v[97:98], 1.0
	v_rcp_f64_e32 v[103:104], v[99:100]
	v_fma_f64 v[105:106], -v[99:100], v[103:104], 1.0
	v_fma_f64 v[103:104], v[103:104], v[105:106], v[103:104]
	v_fma_f64 v[105:106], -v[99:100], v[103:104], 1.0
	v_fma_f64 v[103:104], v[103:104], v[105:106], v[103:104]
	v_mul_f64 v[105:106], v[107:108], v[103:104]
	v_fma_f64 v[99:100], -v[99:100], v[105:106], v[107:108]
	v_div_fmas_f64 v[99:100], v[99:100], v[103:104], v[105:106]
	v_div_fixup_f64 v[103:104], v[99:100], v[97:98], 1.0
                                        ; implicit-def: $vgpr97_vgpr98
	v_mul_f64 v[101:102], v[101:102], v[103:104]
	v_xor_b32_e32 v104, 0x80000000, v104
.LBB119_113:
	s_andn2_saveexec_b64 s[2:3], s[2:3]
	s_cbranch_execz .LBB119_115
; %bb.114:
	v_div_scale_f64 v[101:102], s[6:7], v[97:98], v[97:98], v[99:100]
	v_rcp_f64_e32 v[103:104], v[101:102]
	v_fma_f64 v[105:106], -v[101:102], v[103:104], 1.0
	v_fma_f64 v[103:104], v[103:104], v[105:106], v[103:104]
	v_div_scale_f64 v[105:106], vcc, v[99:100], v[97:98], v[99:100]
	v_fma_f64 v[107:108], -v[101:102], v[103:104], 1.0
	v_fma_f64 v[103:104], v[103:104], v[107:108], v[103:104]
	v_mul_f64 v[107:108], v[105:106], v[103:104]
	v_fma_f64 v[101:102], -v[101:102], v[107:108], v[105:106]
	v_div_fmas_f64 v[101:102], v[101:102], v[103:104], v[107:108]
	v_div_fixup_f64 v[103:104], v[101:102], v[97:98], v[99:100]
	v_fma_f64 v[97:98], v[99:100], v[103:104], v[97:98]
	v_div_scale_f64 v[99:100], s[6:7], v[97:98], v[97:98], 1.0
	v_div_scale_f64 v[107:108], vcc, 1.0, v[97:98], 1.0
	v_rcp_f64_e32 v[101:102], v[99:100]
	v_fma_f64 v[105:106], -v[99:100], v[101:102], 1.0
	v_fma_f64 v[101:102], v[101:102], v[105:106], v[101:102]
	v_fma_f64 v[105:106], -v[99:100], v[101:102], 1.0
	v_fma_f64 v[101:102], v[101:102], v[105:106], v[101:102]
	v_mul_f64 v[105:106], v[107:108], v[101:102]
	v_fma_f64 v[99:100], -v[99:100], v[105:106], v[107:108]
	v_div_fmas_f64 v[99:100], v[99:100], v[101:102], v[105:106]
	v_div_fixup_f64 v[101:102], v[99:100], v[97:98], 1.0
	v_mul_f64 v[103:104], v[103:104], -v[101:102]
.LBB119_115:
	s_or_b64 exec, exec, s[2:3]
	ds_write2_b64 v127, v[101:102], v[103:104] offset1:1
.LBB119_116:
	s_or_b64 exec, exec, s[4:5]
	s_waitcnt lgkmcnt(0)
	s_barrier
	ds_read2_b64 v[65:68], v127 offset1:1
	v_cmp_lt_u32_e32 vcc, 12, v0
	s_waitcnt lgkmcnt(0)
	buffer_store_dword v65, off, s[20:23], 0 offset:1416 ; 4-byte Folded Spill
	s_nop 0
	buffer_store_dword v66, off, s[20:23], 0 offset:1420 ; 4-byte Folded Spill
	buffer_store_dword v67, off, s[20:23], 0 offset:1424 ; 4-byte Folded Spill
	;; [unrolled: 1-line block ×3, first 2 shown]
	s_and_saveexec_b64 s[2:3], vcc
	s_cbranch_execz .LBB119_118
; %bb.117:
	buffer_load_dword v103, off, s[20:23], 0 offset:544 ; 4-byte Folded Reload
	buffer_load_dword v104, off, s[20:23], 0 offset:548 ; 4-byte Folded Reload
	;; [unrolled: 1-line block ×8, first 2 shown]
	s_waitcnt vmcnt(2)
	v_mul_f64 v[99:100], v[65:66], v[105:106]
	s_waitcnt vmcnt(0)
	v_mul_f64 v[97:98], v[67:68], v[105:106]
	v_fma_f64 v[105:106], v[67:68], v[103:104], v[99:100]
	ds_read2_b64 v[99:102], v125 offset0:26 offset1:27
	v_fma_f64 v[97:98], v[65:66], v[103:104], -v[97:98]
	buffer_load_dword v65, off, s[20:23], 0 offset:528 ; 4-byte Folded Reload
	buffer_load_dword v66, off, s[20:23], 0 offset:532 ; 4-byte Folded Reload
	buffer_load_dword v67, off, s[20:23], 0 offset:536 ; 4-byte Folded Reload
	buffer_load_dword v68, off, s[20:23], 0 offset:540 ; 4-byte Folded Reload
	s_waitcnt lgkmcnt(0)
	v_mul_f64 v[103:104], v[101:102], v[105:106]
	v_fma_f64 v[103:104], v[99:100], v[97:98], -v[103:104]
	v_mul_f64 v[99:100], v[99:100], v[105:106]
	v_fma_f64 v[99:100], v[101:102], v[97:98], v[99:100]
	s_waitcnt vmcnt(2)
	v_add_f64 v[65:66], v[65:66], -v[103:104]
	s_waitcnt vmcnt(0)
	v_add_f64 v[67:68], v[67:68], -v[99:100]
	buffer_store_dword v65, off, s[20:23], 0 offset:528 ; 4-byte Folded Spill
	s_nop 0
	buffer_store_dword v66, off, s[20:23], 0 offset:532 ; 4-byte Folded Spill
	buffer_store_dword v67, off, s[20:23], 0 offset:536 ; 4-byte Folded Spill
	buffer_store_dword v68, off, s[20:23], 0 offset:540 ; 4-byte Folded Spill
	ds_read2_b64 v[99:102], v125 offset0:28 offset1:29
	buffer_load_dword v65, off, s[20:23], 0 offset:512 ; 4-byte Folded Reload
	buffer_load_dword v66, off, s[20:23], 0 offset:516 ; 4-byte Folded Reload
	buffer_load_dword v67, off, s[20:23], 0 offset:520 ; 4-byte Folded Reload
	buffer_load_dword v68, off, s[20:23], 0 offset:524 ; 4-byte Folded Reload
	s_waitcnt lgkmcnt(0)
	v_mul_f64 v[103:104], v[101:102], v[105:106]
	v_fma_f64 v[103:104], v[99:100], v[97:98], -v[103:104]
	v_mul_f64 v[99:100], v[99:100], v[105:106]
	v_fma_f64 v[99:100], v[101:102], v[97:98], v[99:100]
	s_waitcnt vmcnt(2)
	v_add_f64 v[65:66], v[65:66], -v[103:104]
	s_waitcnt vmcnt(0)
	v_add_f64 v[67:68], v[67:68], -v[99:100]
	buffer_store_dword v65, off, s[20:23], 0 offset:512 ; 4-byte Folded Spill
	s_nop 0
	buffer_store_dword v66, off, s[20:23], 0 offset:516 ; 4-byte Folded Spill
	buffer_store_dword v67, off, s[20:23], 0 offset:520 ; 4-byte Folded Spill
	buffer_store_dword v68, off, s[20:23], 0 offset:524 ; 4-byte Folded Spill
	ds_read2_b64 v[99:102], v125 offset0:30 offset1:31
	;; [unrolled: 19-line block ×22, first 2 shown]
	s_waitcnt lgkmcnt(0)
	v_mul_f64 v[103:104], v[101:102], v[105:106]
	v_fma_f64 v[103:104], v[99:100], v[97:98], -v[103:104]
	v_mul_f64 v[99:100], v[99:100], v[105:106]
	v_add_f64 v[93:94], v[93:94], -v[103:104]
	v_fma_f64 v[99:100], v[101:102], v[97:98], v[99:100]
	v_add_f64 v[95:96], v[95:96], -v[99:100]
	ds_read2_b64 v[99:102], v125 offset0:72 offset1:73
	buffer_load_dword v41, off, s[20:23], 0 offset:176 ; 4-byte Folded Reload
	buffer_load_dword v42, off, s[20:23], 0 offset:180 ; 4-byte Folded Reload
	buffer_load_dword v43, off, s[20:23], 0 offset:184 ; 4-byte Folded Reload
	buffer_load_dword v44, off, s[20:23], 0 offset:188 ; 4-byte Folded Reload
	s_waitcnt lgkmcnt(0)
	v_mul_f64 v[103:104], v[101:102], v[105:106]
	v_fma_f64 v[103:104], v[99:100], v[97:98], -v[103:104]
	v_mul_f64 v[99:100], v[99:100], v[105:106]
	v_fma_f64 v[99:100], v[101:102], v[97:98], v[99:100]
	s_waitcnt vmcnt(2)
	v_add_f64 v[41:42], v[41:42], -v[103:104]
	s_waitcnt vmcnt(0)
	v_add_f64 v[43:44], v[43:44], -v[99:100]
	buffer_store_dword v41, off, s[20:23], 0 offset:176 ; 4-byte Folded Spill
	s_nop 0
	buffer_store_dword v42, off, s[20:23], 0 offset:180 ; 4-byte Folded Spill
	buffer_store_dword v43, off, s[20:23], 0 offset:184 ; 4-byte Folded Spill
	buffer_store_dword v44, off, s[20:23], 0 offset:188 ; 4-byte Folded Spill
	ds_read2_b64 v[99:102], v125 offset0:74 offset1:75
	buffer_load_dword v65, off, s[20:23], 0 offset:160 ; 4-byte Folded Reload
	buffer_load_dword v66, off, s[20:23], 0 offset:164 ; 4-byte Folded Reload
	buffer_load_dword v67, off, s[20:23], 0 offset:168 ; 4-byte Folded Reload
	buffer_load_dword v68, off, s[20:23], 0 offset:172 ; 4-byte Folded Reload
	s_waitcnt lgkmcnt(0)
	v_mul_f64 v[103:104], v[101:102], v[105:106]
	v_fma_f64 v[103:104], v[99:100], v[97:98], -v[103:104]
	v_mul_f64 v[99:100], v[99:100], v[105:106]
	v_fma_f64 v[99:100], v[101:102], v[97:98], v[99:100]
	s_waitcnt vmcnt(2)
	v_add_f64 v[65:66], v[65:66], -v[103:104]
	s_waitcnt vmcnt(0)
	v_add_f64 v[67:68], v[67:68], -v[99:100]
	buffer_store_dword v65, off, s[20:23], 0 offset:160 ; 4-byte Folded Spill
	s_nop 0
	buffer_store_dword v66, off, s[20:23], 0 offset:164 ; 4-byte Folded Spill
	buffer_store_dword v67, off, s[20:23], 0 offset:168 ; 4-byte Folded Spill
	buffer_store_dword v68, off, s[20:23], 0 offset:172 ; 4-byte Folded Spill
	;; [unrolled: 19-line block ×11, first 2 shown]
	ds_read2_b64 v[99:102], v125 offset0:94 offset1:95
	buffer_load_dword v45, off, s[20:23], 0 ; 4-byte Folded Reload
	buffer_load_dword v46, off, s[20:23], 0 offset:4 ; 4-byte Folded Reload
	buffer_load_dword v47, off, s[20:23], 0 offset:8 ; 4-byte Folded Reload
	;; [unrolled: 1-line block ×3, first 2 shown]
	s_waitcnt lgkmcnt(0)
	v_mul_f64 v[103:104], v[101:102], v[105:106]
	v_fma_f64 v[103:104], v[99:100], v[97:98], -v[103:104]
	v_mul_f64 v[99:100], v[99:100], v[105:106]
	v_fma_f64 v[99:100], v[101:102], v[97:98], v[99:100]
	s_waitcnt vmcnt(2)
	v_add_f64 v[45:46], v[45:46], -v[103:104]
	s_waitcnt vmcnt(0)
	v_add_f64 v[47:48], v[47:48], -v[99:100]
	buffer_store_dword v45, off, s[20:23], 0 ; 4-byte Folded Spill
	s_nop 0
	buffer_store_dword v46, off, s[20:23], 0 offset:4 ; 4-byte Folded Spill
	buffer_store_dword v47, off, s[20:23], 0 offset:8 ; 4-byte Folded Spill
	;; [unrolled: 1-line block ×3, first 2 shown]
	ds_read2_b64 v[99:102], v125 offset0:96 offset1:97
	s_waitcnt lgkmcnt(0)
	v_mul_f64 v[103:104], v[101:102], v[105:106]
	v_fma_f64 v[103:104], v[99:100], v[97:98], -v[103:104]
	v_mul_f64 v[99:100], v[99:100], v[105:106]
	v_add_f64 v[113:114], v[113:114], -v[103:104]
	v_fma_f64 v[99:100], v[101:102], v[97:98], v[99:100]
	v_add_f64 v[115:116], v[115:116], -v[99:100]
	ds_read2_b64 v[99:102], v125 offset0:98 offset1:99
	s_waitcnt lgkmcnt(0)
	v_mul_f64 v[103:104], v[101:102], v[105:106]
	v_fma_f64 v[103:104], v[99:100], v[97:98], -v[103:104]
	v_mul_f64 v[99:100], v[99:100], v[105:106]
	v_add_f64 v[37:38], v[37:38], -v[103:104]
	v_fma_f64 v[99:100], v[101:102], v[97:98], v[99:100]
	v_add_f64 v[39:40], v[39:40], -v[99:100]
	;; [unrolled: 8-line block ×10, first 2 shown]
	ds_read2_b64 v[99:102], v125 offset0:116 offset1:117
	s_waitcnt lgkmcnt(0)
	v_mul_f64 v[103:104], v[101:102], v[105:106]
	v_fma_f64 v[103:104], v[99:100], v[97:98], -v[103:104]
	v_mul_f64 v[99:100], v[99:100], v[105:106]
	v_add_f64 v[1:2], v[1:2], -v[103:104]
	v_fma_f64 v[99:100], v[101:102], v[97:98], v[99:100]
	ds_read2_b64 v[101:104], v125 offset0:118 offset1:119
	v_add_f64 v[3:4], v[3:4], -v[99:100]
	s_waitcnt lgkmcnt(0)
	v_mul_f64 v[99:100], v[103:104], v[105:106]
	v_fma_f64 v[99:100], v[101:102], v[97:98], -v[99:100]
	v_mul_f64 v[101:102], v[101:102], v[105:106]
	v_add_f64 v[121:122], v[121:122], -v[99:100]
	v_fma_f64 v[101:102], v[103:104], v[97:98], v[101:102]
	v_mov_b32_e32 v104, v98
	v_mov_b32_e32 v103, v97
	buffer_store_dword v103, off, s[20:23], 0 offset:544 ; 4-byte Folded Spill
	s_nop 0
	buffer_store_dword v104, off, s[20:23], 0 offset:548 ; 4-byte Folded Spill
	buffer_store_dword v105, off, s[20:23], 0 offset:552 ; 4-byte Folded Spill
	;; [unrolled: 1-line block ×3, first 2 shown]
	v_add_f64 v[123:124], v[123:124], -v[101:102]
.LBB119_118:
	s_or_b64 exec, exec, s[2:3]
	v_cmp_eq_u32_e32 vcc, 13, v0
	s_waitcnt vmcnt(0)
	s_barrier
	s_and_saveexec_b64 s[4:5], vcc
	s_cbranch_execz .LBB119_125
; %bb.119:
	buffer_load_dword v65, off, s[20:23], 0 offset:528 ; 4-byte Folded Reload
	buffer_load_dword v66, off, s[20:23], 0 offset:532 ; 4-byte Folded Reload
	;; [unrolled: 1-line block ×4, first 2 shown]
	s_waitcnt vmcnt(0)
	ds_write2_b64 v127, v[65:66], v[67:68] offset1:1
	buffer_load_dword v65, off, s[20:23], 0 offset:512 ; 4-byte Folded Reload
	buffer_load_dword v66, off, s[20:23], 0 offset:516 ; 4-byte Folded Reload
	buffer_load_dword v67, off, s[20:23], 0 offset:520 ; 4-byte Folded Reload
	buffer_load_dword v68, off, s[20:23], 0 offset:524 ; 4-byte Folded Reload
	s_waitcnt vmcnt(0)
	ds_write2_b64 v125, v[65:66], v[67:68] offset0:28 offset1:29
	buffer_load_dword v65, off, s[20:23], 0 offset:496 ; 4-byte Folded Reload
	buffer_load_dword v66, off, s[20:23], 0 offset:500 ; 4-byte Folded Reload
	buffer_load_dword v67, off, s[20:23], 0 offset:504 ; 4-byte Folded Reload
	buffer_load_dword v68, off, s[20:23], 0 offset:508 ; 4-byte Folded Reload
	s_waitcnt vmcnt(0)
	ds_write2_b64 v125, v[65:66], v[67:68] offset0:30 offset1:31
	;; [unrolled: 6-line block ×21, first 2 shown]
	ds_write2_b64 v125, v[93:94], v[95:96] offset0:70 offset1:71
	buffer_load_dword v41, off, s[20:23], 0 offset:176 ; 4-byte Folded Reload
	buffer_load_dword v42, off, s[20:23], 0 offset:180 ; 4-byte Folded Reload
	buffer_load_dword v43, off, s[20:23], 0 offset:184 ; 4-byte Folded Reload
	buffer_load_dword v44, off, s[20:23], 0 offset:188 ; 4-byte Folded Reload
	s_waitcnt vmcnt(0)
	ds_write2_b64 v125, v[41:42], v[43:44] offset0:72 offset1:73
	buffer_load_dword v65, off, s[20:23], 0 offset:160 ; 4-byte Folded Reload
	buffer_load_dword v66, off, s[20:23], 0 offset:164 ; 4-byte Folded Reload
	buffer_load_dword v67, off, s[20:23], 0 offset:168 ; 4-byte Folded Reload
	buffer_load_dword v68, off, s[20:23], 0 offset:172 ; 4-byte Folded Reload
	s_waitcnt vmcnt(0)
	ds_write2_b64 v125, v[65:66], v[67:68] offset0:74 offset1:75
	buffer_load_dword v65, off, s[20:23], 0 offset:144 ; 4-byte Folded Reload
	buffer_load_dword v66, off, s[20:23], 0 offset:148 ; 4-byte Folded Reload
	buffer_load_dword v67, off, s[20:23], 0 offset:152 ; 4-byte Folded Reload
	buffer_load_dword v68, off, s[20:23], 0 offset:156 ; 4-byte Folded Reload
	s_waitcnt vmcnt(0)
	ds_write2_b64 v125, v[65:66], v[67:68] offset0:76 offset1:77
	buffer_load_dword v65, off, s[20:23], 0 offset:128 ; 4-byte Folded Reload
	buffer_load_dword v66, off, s[20:23], 0 offset:132 ; 4-byte Folded Reload
	buffer_load_dword v67, off, s[20:23], 0 offset:136 ; 4-byte Folded Reload
	buffer_load_dword v68, off, s[20:23], 0 offset:140 ; 4-byte Folded Reload
	s_waitcnt vmcnt(0)
	ds_write2_b64 v125, v[65:66], v[67:68] offset0:78 offset1:79
	buffer_load_dword v65, off, s[20:23], 0 offset:112 ; 4-byte Folded Reload
	buffer_load_dword v66, off, s[20:23], 0 offset:116 ; 4-byte Folded Reload
	buffer_load_dword v67, off, s[20:23], 0 offset:120 ; 4-byte Folded Reload
	buffer_load_dword v68, off, s[20:23], 0 offset:124 ; 4-byte Folded Reload
	s_waitcnt vmcnt(0)
	ds_write2_b64 v125, v[65:66], v[67:68] offset0:80 offset1:81
	buffer_load_dword v65, off, s[20:23], 0 offset:96 ; 4-byte Folded Reload
	buffer_load_dword v66, off, s[20:23], 0 offset:100 ; 4-byte Folded Reload
	buffer_load_dword v67, off, s[20:23], 0 offset:104 ; 4-byte Folded Reload
	buffer_load_dword v68, off, s[20:23], 0 offset:108 ; 4-byte Folded Reload
	s_waitcnt vmcnt(0)
	ds_write2_b64 v125, v[65:66], v[67:68] offset0:82 offset1:83
	buffer_load_dword v65, off, s[20:23], 0 offset:80 ; 4-byte Folded Reload
	buffer_load_dword v66, off, s[20:23], 0 offset:84 ; 4-byte Folded Reload
	buffer_load_dword v67, off, s[20:23], 0 offset:88 ; 4-byte Folded Reload
	buffer_load_dword v68, off, s[20:23], 0 offset:92 ; 4-byte Folded Reload
	s_waitcnt vmcnt(0)
	ds_write2_b64 v125, v[65:66], v[67:68] offset0:84 offset1:85
	buffer_load_dword v61, off, s[20:23], 0 offset:64 ; 4-byte Folded Reload
	buffer_load_dword v62, off, s[20:23], 0 offset:68 ; 4-byte Folded Reload
	buffer_load_dword v63, off, s[20:23], 0 offset:72 ; 4-byte Folded Reload
	buffer_load_dword v64, off, s[20:23], 0 offset:76 ; 4-byte Folded Reload
	s_waitcnt vmcnt(0)
	ds_write2_b64 v125, v[61:62], v[63:64] offset0:86 offset1:87
	buffer_load_dword v57, off, s[20:23], 0 offset:48 ; 4-byte Folded Reload
	buffer_load_dword v58, off, s[20:23], 0 offset:52 ; 4-byte Folded Reload
	buffer_load_dword v59, off, s[20:23], 0 offset:56 ; 4-byte Folded Reload
	buffer_load_dword v60, off, s[20:23], 0 offset:60 ; 4-byte Folded Reload
	s_waitcnt vmcnt(0)
	ds_write2_b64 v125, v[57:58], v[59:60] offset0:88 offset1:89
	buffer_load_dword v53, off, s[20:23], 0 offset:32 ; 4-byte Folded Reload
	buffer_load_dword v54, off, s[20:23], 0 offset:36 ; 4-byte Folded Reload
	buffer_load_dword v55, off, s[20:23], 0 offset:40 ; 4-byte Folded Reload
	buffer_load_dword v56, off, s[20:23], 0 offset:44 ; 4-byte Folded Reload
	s_waitcnt vmcnt(0)
	ds_write2_b64 v125, v[53:54], v[55:56] offset0:90 offset1:91
	buffer_load_dword v49, off, s[20:23], 0 offset:16 ; 4-byte Folded Reload
	buffer_load_dword v50, off, s[20:23], 0 offset:20 ; 4-byte Folded Reload
	buffer_load_dword v51, off, s[20:23], 0 offset:24 ; 4-byte Folded Reload
	buffer_load_dword v52, off, s[20:23], 0 offset:28 ; 4-byte Folded Reload
	s_waitcnt vmcnt(0)
	ds_write2_b64 v125, v[49:50], v[51:52] offset0:92 offset1:93
	buffer_load_dword v45, off, s[20:23], 0 ; 4-byte Folded Reload
	buffer_load_dword v46, off, s[20:23], 0 offset:4 ; 4-byte Folded Reload
	buffer_load_dword v47, off, s[20:23], 0 offset:8 ; 4-byte Folded Reload
	;; [unrolled: 1-line block ×3, first 2 shown]
	s_waitcnt vmcnt(0)
	ds_write2_b64 v125, v[45:46], v[47:48] offset0:94 offset1:95
	ds_write2_b64 v125, v[113:114], v[115:116] offset0:96 offset1:97
	;; [unrolled: 1-line block ×13, first 2 shown]
	ds_read2_b64 v[97:100], v127 offset1:1
	s_waitcnt lgkmcnt(0)
	v_cmp_neq_f64_e32 vcc, 0, v[97:98]
	v_cmp_neq_f64_e64 s[2:3], 0, v[99:100]
	s_or_b64 s[2:3], vcc, s[2:3]
	s_and_b64 exec, exec, s[2:3]
	s_cbranch_execz .LBB119_125
; %bb.120:
	v_cmp_ngt_f64_e64 s[2:3], |v[97:98]|, |v[99:100]|
                                        ; implicit-def: $vgpr101_vgpr102
	s_and_saveexec_b64 s[6:7], s[2:3]
	s_xor_b64 s[2:3], exec, s[6:7]
                                        ; implicit-def: $vgpr103_vgpr104
	s_cbranch_execz .LBB119_122
; %bb.121:
	v_div_scale_f64 v[101:102], s[6:7], v[99:100], v[99:100], v[97:98]
	v_rcp_f64_e32 v[103:104], v[101:102]
	v_fma_f64 v[105:106], -v[101:102], v[103:104], 1.0
	v_fma_f64 v[103:104], v[103:104], v[105:106], v[103:104]
	v_div_scale_f64 v[105:106], vcc, v[97:98], v[99:100], v[97:98]
	v_fma_f64 v[107:108], -v[101:102], v[103:104], 1.0
	v_fma_f64 v[103:104], v[103:104], v[107:108], v[103:104]
	v_mul_f64 v[107:108], v[105:106], v[103:104]
	v_fma_f64 v[101:102], -v[101:102], v[107:108], v[105:106]
	v_div_fmas_f64 v[101:102], v[101:102], v[103:104], v[107:108]
	v_div_fixup_f64 v[101:102], v[101:102], v[99:100], v[97:98]
	v_fma_f64 v[97:98], v[97:98], v[101:102], v[99:100]
	v_div_scale_f64 v[99:100], s[6:7], v[97:98], v[97:98], 1.0
	v_div_scale_f64 v[107:108], vcc, 1.0, v[97:98], 1.0
	v_rcp_f64_e32 v[103:104], v[99:100]
	v_fma_f64 v[105:106], -v[99:100], v[103:104], 1.0
	v_fma_f64 v[103:104], v[103:104], v[105:106], v[103:104]
	v_fma_f64 v[105:106], -v[99:100], v[103:104], 1.0
	v_fma_f64 v[103:104], v[103:104], v[105:106], v[103:104]
	v_mul_f64 v[105:106], v[107:108], v[103:104]
	v_fma_f64 v[99:100], -v[99:100], v[105:106], v[107:108]
	v_div_fmas_f64 v[99:100], v[99:100], v[103:104], v[105:106]
	v_div_fixup_f64 v[103:104], v[99:100], v[97:98], 1.0
                                        ; implicit-def: $vgpr97_vgpr98
	v_mul_f64 v[101:102], v[101:102], v[103:104]
	v_xor_b32_e32 v104, 0x80000000, v104
.LBB119_122:
	s_andn2_saveexec_b64 s[2:3], s[2:3]
	s_cbranch_execz .LBB119_124
; %bb.123:
	v_div_scale_f64 v[101:102], s[6:7], v[97:98], v[97:98], v[99:100]
	v_rcp_f64_e32 v[103:104], v[101:102]
	v_fma_f64 v[105:106], -v[101:102], v[103:104], 1.0
	v_fma_f64 v[103:104], v[103:104], v[105:106], v[103:104]
	v_div_scale_f64 v[105:106], vcc, v[99:100], v[97:98], v[99:100]
	v_fma_f64 v[107:108], -v[101:102], v[103:104], 1.0
	v_fma_f64 v[103:104], v[103:104], v[107:108], v[103:104]
	v_mul_f64 v[107:108], v[105:106], v[103:104]
	v_fma_f64 v[101:102], -v[101:102], v[107:108], v[105:106]
	v_div_fmas_f64 v[101:102], v[101:102], v[103:104], v[107:108]
	v_div_fixup_f64 v[103:104], v[101:102], v[97:98], v[99:100]
	v_fma_f64 v[97:98], v[99:100], v[103:104], v[97:98]
	v_div_scale_f64 v[99:100], s[6:7], v[97:98], v[97:98], 1.0
	v_div_scale_f64 v[107:108], vcc, 1.0, v[97:98], 1.0
	v_rcp_f64_e32 v[101:102], v[99:100]
	v_fma_f64 v[105:106], -v[99:100], v[101:102], 1.0
	v_fma_f64 v[101:102], v[101:102], v[105:106], v[101:102]
	v_fma_f64 v[105:106], -v[99:100], v[101:102], 1.0
	v_fma_f64 v[101:102], v[101:102], v[105:106], v[101:102]
	v_mul_f64 v[105:106], v[107:108], v[101:102]
	v_fma_f64 v[99:100], -v[99:100], v[105:106], v[107:108]
	v_div_fmas_f64 v[99:100], v[99:100], v[101:102], v[105:106]
	v_div_fixup_f64 v[101:102], v[99:100], v[97:98], 1.0
	v_mul_f64 v[103:104], v[103:104], -v[101:102]
.LBB119_124:
	s_or_b64 exec, exec, s[2:3]
	ds_write2_b64 v127, v[101:102], v[103:104] offset1:1
.LBB119_125:
	s_or_b64 exec, exec, s[4:5]
	s_waitcnt lgkmcnt(0)
	s_barrier
	ds_read2_b64 v[65:68], v127 offset1:1
	v_cmp_lt_u32_e32 vcc, 13, v0
	s_waitcnt lgkmcnt(0)
	buffer_store_dword v65, off, s[20:23], 0 offset:1432 ; 4-byte Folded Spill
	s_nop 0
	buffer_store_dword v66, off, s[20:23], 0 offset:1436 ; 4-byte Folded Spill
	buffer_store_dword v67, off, s[20:23], 0 offset:1440 ; 4-byte Folded Spill
	;; [unrolled: 1-line block ×3, first 2 shown]
	s_and_saveexec_b64 s[2:3], vcc
	s_cbranch_execz .LBB119_127
; %bb.126:
	buffer_load_dword v103, off, s[20:23], 0 offset:528 ; 4-byte Folded Reload
	buffer_load_dword v104, off, s[20:23], 0 offset:532 ; 4-byte Folded Reload
	;; [unrolled: 1-line block ×8, first 2 shown]
	s_waitcnt vmcnt(2)
	v_mul_f64 v[99:100], v[65:66], v[105:106]
	s_waitcnt vmcnt(0)
	v_mul_f64 v[97:98], v[67:68], v[105:106]
	v_fma_f64 v[105:106], v[67:68], v[103:104], v[99:100]
	ds_read2_b64 v[99:102], v125 offset0:28 offset1:29
	v_fma_f64 v[97:98], v[65:66], v[103:104], -v[97:98]
	buffer_load_dword v65, off, s[20:23], 0 offset:512 ; 4-byte Folded Reload
	buffer_load_dword v66, off, s[20:23], 0 offset:516 ; 4-byte Folded Reload
	buffer_load_dword v67, off, s[20:23], 0 offset:520 ; 4-byte Folded Reload
	buffer_load_dword v68, off, s[20:23], 0 offset:524 ; 4-byte Folded Reload
	s_waitcnt lgkmcnt(0)
	v_mul_f64 v[103:104], v[101:102], v[105:106]
	v_fma_f64 v[103:104], v[99:100], v[97:98], -v[103:104]
	v_mul_f64 v[99:100], v[99:100], v[105:106]
	v_fma_f64 v[99:100], v[101:102], v[97:98], v[99:100]
	s_waitcnt vmcnt(2)
	v_add_f64 v[65:66], v[65:66], -v[103:104]
	s_waitcnt vmcnt(0)
	v_add_f64 v[67:68], v[67:68], -v[99:100]
	buffer_store_dword v65, off, s[20:23], 0 offset:512 ; 4-byte Folded Spill
	s_nop 0
	buffer_store_dword v66, off, s[20:23], 0 offset:516 ; 4-byte Folded Spill
	buffer_store_dword v67, off, s[20:23], 0 offset:520 ; 4-byte Folded Spill
	buffer_store_dword v68, off, s[20:23], 0 offset:524 ; 4-byte Folded Spill
	ds_read2_b64 v[99:102], v125 offset0:30 offset1:31
	buffer_load_dword v65, off, s[20:23], 0 offset:496 ; 4-byte Folded Reload
	buffer_load_dword v66, off, s[20:23], 0 offset:500 ; 4-byte Folded Reload
	buffer_load_dword v67, off, s[20:23], 0 offset:504 ; 4-byte Folded Reload
	buffer_load_dword v68, off, s[20:23], 0 offset:508 ; 4-byte Folded Reload
	s_waitcnt lgkmcnt(0)
	v_mul_f64 v[103:104], v[101:102], v[105:106]
	v_fma_f64 v[103:104], v[99:100], v[97:98], -v[103:104]
	v_mul_f64 v[99:100], v[99:100], v[105:106]
	v_fma_f64 v[99:100], v[101:102], v[97:98], v[99:100]
	s_waitcnt vmcnt(2)
	v_add_f64 v[65:66], v[65:66], -v[103:104]
	s_waitcnt vmcnt(0)
	v_add_f64 v[67:68], v[67:68], -v[99:100]
	buffer_store_dword v65, off, s[20:23], 0 offset:496 ; 4-byte Folded Spill
	s_nop 0
	buffer_store_dword v66, off, s[20:23], 0 offset:500 ; 4-byte Folded Spill
	buffer_store_dword v67, off, s[20:23], 0 offset:504 ; 4-byte Folded Spill
	buffer_store_dword v68, off, s[20:23], 0 offset:508 ; 4-byte Folded Spill
	ds_read2_b64 v[99:102], v125 offset0:32 offset1:33
	buffer_load_dword v65, off, s[20:23], 0 offset:480 ; 4-byte Folded Reload
	buffer_load_dword v66, off, s[20:23], 0 offset:484 ; 4-byte Folded Reload
	buffer_load_dword v67, off, s[20:23], 0 offset:488 ; 4-byte Folded Reload
	buffer_load_dword v68, off, s[20:23], 0 offset:492 ; 4-byte Folded Reload
	s_waitcnt lgkmcnt(0)
	v_mul_f64 v[103:104], v[101:102], v[105:106]
	v_fma_f64 v[103:104], v[99:100], v[97:98], -v[103:104]
	v_mul_f64 v[99:100], v[99:100], v[105:106]
	v_fma_f64 v[99:100], v[101:102], v[97:98], v[99:100]
	s_waitcnt vmcnt(2)
	v_add_f64 v[65:66], v[65:66], -v[103:104]
	s_waitcnt vmcnt(0)
	v_add_f64 v[67:68], v[67:68], -v[99:100]
	buffer_store_dword v65, off, s[20:23], 0 offset:480 ; 4-byte Folded Spill
	s_nop 0
	buffer_store_dword v66, off, s[20:23], 0 offset:484 ; 4-byte Folded Spill
	buffer_store_dword v67, off, s[20:23], 0 offset:488 ; 4-byte Folded Spill
	buffer_store_dword v68, off, s[20:23], 0 offset:492 ; 4-byte Folded Spill
	ds_read2_b64 v[99:102], v125 offset0:34 offset1:35
	buffer_load_dword v65, off, s[20:23], 0 offset:464 ; 4-byte Folded Reload
	buffer_load_dword v66, off, s[20:23], 0 offset:468 ; 4-byte Folded Reload
	buffer_load_dword v67, off, s[20:23], 0 offset:472 ; 4-byte Folded Reload
	buffer_load_dword v68, off, s[20:23], 0 offset:476 ; 4-byte Folded Reload
	s_waitcnt lgkmcnt(0)
	v_mul_f64 v[103:104], v[101:102], v[105:106]
	v_fma_f64 v[103:104], v[99:100], v[97:98], -v[103:104]
	v_mul_f64 v[99:100], v[99:100], v[105:106]
	v_fma_f64 v[99:100], v[101:102], v[97:98], v[99:100]
	s_waitcnt vmcnt(2)
	v_add_f64 v[65:66], v[65:66], -v[103:104]
	s_waitcnt vmcnt(0)
	v_add_f64 v[67:68], v[67:68], -v[99:100]
	buffer_store_dword v65, off, s[20:23], 0 offset:464 ; 4-byte Folded Spill
	s_nop 0
	buffer_store_dword v66, off, s[20:23], 0 offset:468 ; 4-byte Folded Spill
	buffer_store_dword v67, off, s[20:23], 0 offset:472 ; 4-byte Folded Spill
	buffer_store_dword v68, off, s[20:23], 0 offset:476 ; 4-byte Folded Spill
	ds_read2_b64 v[99:102], v125 offset0:36 offset1:37
	buffer_load_dword v65, off, s[20:23], 0 offset:448 ; 4-byte Folded Reload
	buffer_load_dword v66, off, s[20:23], 0 offset:452 ; 4-byte Folded Reload
	buffer_load_dword v67, off, s[20:23], 0 offset:456 ; 4-byte Folded Reload
	buffer_load_dword v68, off, s[20:23], 0 offset:460 ; 4-byte Folded Reload
	s_waitcnt lgkmcnt(0)
	v_mul_f64 v[103:104], v[101:102], v[105:106]
	v_fma_f64 v[103:104], v[99:100], v[97:98], -v[103:104]
	v_mul_f64 v[99:100], v[99:100], v[105:106]
	v_fma_f64 v[99:100], v[101:102], v[97:98], v[99:100]
	s_waitcnt vmcnt(2)
	v_add_f64 v[65:66], v[65:66], -v[103:104]
	s_waitcnt vmcnt(0)
	v_add_f64 v[67:68], v[67:68], -v[99:100]
	buffer_store_dword v65, off, s[20:23], 0 offset:448 ; 4-byte Folded Spill
	s_nop 0
	buffer_store_dword v66, off, s[20:23], 0 offset:452 ; 4-byte Folded Spill
	buffer_store_dword v67, off, s[20:23], 0 offset:456 ; 4-byte Folded Spill
	buffer_store_dword v68, off, s[20:23], 0 offset:460 ; 4-byte Folded Spill
	ds_read2_b64 v[99:102], v125 offset0:38 offset1:39
	buffer_load_dword v65, off, s[20:23], 0 offset:432 ; 4-byte Folded Reload
	buffer_load_dword v66, off, s[20:23], 0 offset:436 ; 4-byte Folded Reload
	buffer_load_dword v67, off, s[20:23], 0 offset:440 ; 4-byte Folded Reload
	buffer_load_dword v68, off, s[20:23], 0 offset:444 ; 4-byte Folded Reload
	s_waitcnt lgkmcnt(0)
	v_mul_f64 v[103:104], v[101:102], v[105:106]
	v_fma_f64 v[103:104], v[99:100], v[97:98], -v[103:104]
	v_mul_f64 v[99:100], v[99:100], v[105:106]
	v_fma_f64 v[99:100], v[101:102], v[97:98], v[99:100]
	s_waitcnt vmcnt(2)
	v_add_f64 v[65:66], v[65:66], -v[103:104]
	s_waitcnt vmcnt(0)
	v_add_f64 v[67:68], v[67:68], -v[99:100]
	buffer_store_dword v65, off, s[20:23], 0 offset:432 ; 4-byte Folded Spill
	s_nop 0
	buffer_store_dword v66, off, s[20:23], 0 offset:436 ; 4-byte Folded Spill
	buffer_store_dword v67, off, s[20:23], 0 offset:440 ; 4-byte Folded Spill
	buffer_store_dword v68, off, s[20:23], 0 offset:444 ; 4-byte Folded Spill
	ds_read2_b64 v[99:102], v125 offset0:40 offset1:41
	buffer_load_dword v65, off, s[20:23], 0 offset:416 ; 4-byte Folded Reload
	buffer_load_dword v66, off, s[20:23], 0 offset:420 ; 4-byte Folded Reload
	buffer_load_dword v67, off, s[20:23], 0 offset:424 ; 4-byte Folded Reload
	buffer_load_dword v68, off, s[20:23], 0 offset:428 ; 4-byte Folded Reload
	s_waitcnt lgkmcnt(0)
	v_mul_f64 v[103:104], v[101:102], v[105:106]
	v_fma_f64 v[103:104], v[99:100], v[97:98], -v[103:104]
	v_mul_f64 v[99:100], v[99:100], v[105:106]
	v_fma_f64 v[99:100], v[101:102], v[97:98], v[99:100]
	s_waitcnt vmcnt(2)
	v_add_f64 v[65:66], v[65:66], -v[103:104]
	s_waitcnt vmcnt(0)
	v_add_f64 v[67:68], v[67:68], -v[99:100]
	buffer_store_dword v65, off, s[20:23], 0 offset:416 ; 4-byte Folded Spill
	s_nop 0
	buffer_store_dword v66, off, s[20:23], 0 offset:420 ; 4-byte Folded Spill
	buffer_store_dword v67, off, s[20:23], 0 offset:424 ; 4-byte Folded Spill
	buffer_store_dword v68, off, s[20:23], 0 offset:428 ; 4-byte Folded Spill
	ds_read2_b64 v[99:102], v125 offset0:42 offset1:43
	buffer_load_dword v65, off, s[20:23], 0 offset:400 ; 4-byte Folded Reload
	buffer_load_dword v66, off, s[20:23], 0 offset:404 ; 4-byte Folded Reload
	buffer_load_dword v67, off, s[20:23], 0 offset:408 ; 4-byte Folded Reload
	buffer_load_dword v68, off, s[20:23], 0 offset:412 ; 4-byte Folded Reload
	s_waitcnt lgkmcnt(0)
	v_mul_f64 v[103:104], v[101:102], v[105:106]
	v_fma_f64 v[103:104], v[99:100], v[97:98], -v[103:104]
	v_mul_f64 v[99:100], v[99:100], v[105:106]
	v_fma_f64 v[99:100], v[101:102], v[97:98], v[99:100]
	s_waitcnt vmcnt(2)
	v_add_f64 v[65:66], v[65:66], -v[103:104]
	s_waitcnt vmcnt(0)
	v_add_f64 v[67:68], v[67:68], -v[99:100]
	buffer_store_dword v65, off, s[20:23], 0 offset:400 ; 4-byte Folded Spill
	s_nop 0
	buffer_store_dword v66, off, s[20:23], 0 offset:404 ; 4-byte Folded Spill
	buffer_store_dword v67, off, s[20:23], 0 offset:408 ; 4-byte Folded Spill
	buffer_store_dword v68, off, s[20:23], 0 offset:412 ; 4-byte Folded Spill
	ds_read2_b64 v[99:102], v125 offset0:44 offset1:45
	buffer_load_dword v65, off, s[20:23], 0 offset:384 ; 4-byte Folded Reload
	buffer_load_dword v66, off, s[20:23], 0 offset:388 ; 4-byte Folded Reload
	buffer_load_dword v67, off, s[20:23], 0 offset:392 ; 4-byte Folded Reload
	buffer_load_dword v68, off, s[20:23], 0 offset:396 ; 4-byte Folded Reload
	s_waitcnt lgkmcnt(0)
	v_mul_f64 v[103:104], v[101:102], v[105:106]
	v_fma_f64 v[103:104], v[99:100], v[97:98], -v[103:104]
	v_mul_f64 v[99:100], v[99:100], v[105:106]
	v_fma_f64 v[99:100], v[101:102], v[97:98], v[99:100]
	s_waitcnt vmcnt(2)
	v_add_f64 v[65:66], v[65:66], -v[103:104]
	s_waitcnt vmcnt(0)
	v_add_f64 v[67:68], v[67:68], -v[99:100]
	buffer_store_dword v65, off, s[20:23], 0 offset:384 ; 4-byte Folded Spill
	s_nop 0
	buffer_store_dword v66, off, s[20:23], 0 offset:388 ; 4-byte Folded Spill
	buffer_store_dword v67, off, s[20:23], 0 offset:392 ; 4-byte Folded Spill
	buffer_store_dword v68, off, s[20:23], 0 offset:396 ; 4-byte Folded Spill
	ds_read2_b64 v[99:102], v125 offset0:46 offset1:47
	buffer_load_dword v65, off, s[20:23], 0 offset:368 ; 4-byte Folded Reload
	buffer_load_dword v66, off, s[20:23], 0 offset:372 ; 4-byte Folded Reload
	buffer_load_dword v67, off, s[20:23], 0 offset:376 ; 4-byte Folded Reload
	buffer_load_dword v68, off, s[20:23], 0 offset:380 ; 4-byte Folded Reload
	s_waitcnt lgkmcnt(0)
	v_mul_f64 v[103:104], v[101:102], v[105:106]
	v_fma_f64 v[103:104], v[99:100], v[97:98], -v[103:104]
	v_mul_f64 v[99:100], v[99:100], v[105:106]
	v_fma_f64 v[99:100], v[101:102], v[97:98], v[99:100]
	s_waitcnt vmcnt(2)
	v_add_f64 v[65:66], v[65:66], -v[103:104]
	s_waitcnt vmcnt(0)
	v_add_f64 v[67:68], v[67:68], -v[99:100]
	buffer_store_dword v65, off, s[20:23], 0 offset:368 ; 4-byte Folded Spill
	s_nop 0
	buffer_store_dword v66, off, s[20:23], 0 offset:372 ; 4-byte Folded Spill
	buffer_store_dword v67, off, s[20:23], 0 offset:376 ; 4-byte Folded Spill
	buffer_store_dword v68, off, s[20:23], 0 offset:380 ; 4-byte Folded Spill
	ds_read2_b64 v[99:102], v125 offset0:48 offset1:49
	buffer_load_dword v65, off, s[20:23], 0 offset:352 ; 4-byte Folded Reload
	buffer_load_dword v66, off, s[20:23], 0 offset:356 ; 4-byte Folded Reload
	buffer_load_dword v67, off, s[20:23], 0 offset:360 ; 4-byte Folded Reload
	buffer_load_dword v68, off, s[20:23], 0 offset:364 ; 4-byte Folded Reload
	s_waitcnt lgkmcnt(0)
	v_mul_f64 v[103:104], v[101:102], v[105:106]
	v_fma_f64 v[103:104], v[99:100], v[97:98], -v[103:104]
	v_mul_f64 v[99:100], v[99:100], v[105:106]
	v_fma_f64 v[99:100], v[101:102], v[97:98], v[99:100]
	s_waitcnt vmcnt(2)
	v_add_f64 v[65:66], v[65:66], -v[103:104]
	s_waitcnt vmcnt(0)
	v_add_f64 v[67:68], v[67:68], -v[99:100]
	buffer_store_dword v65, off, s[20:23], 0 offset:352 ; 4-byte Folded Spill
	s_nop 0
	buffer_store_dword v66, off, s[20:23], 0 offset:356 ; 4-byte Folded Spill
	buffer_store_dword v67, off, s[20:23], 0 offset:360 ; 4-byte Folded Spill
	buffer_store_dword v68, off, s[20:23], 0 offset:364 ; 4-byte Folded Spill
	ds_read2_b64 v[99:102], v125 offset0:50 offset1:51
	buffer_load_dword v65, off, s[20:23], 0 offset:336 ; 4-byte Folded Reload
	buffer_load_dword v66, off, s[20:23], 0 offset:340 ; 4-byte Folded Reload
	buffer_load_dword v67, off, s[20:23], 0 offset:344 ; 4-byte Folded Reload
	buffer_load_dword v68, off, s[20:23], 0 offset:348 ; 4-byte Folded Reload
	s_waitcnt lgkmcnt(0)
	v_mul_f64 v[103:104], v[101:102], v[105:106]
	v_fma_f64 v[103:104], v[99:100], v[97:98], -v[103:104]
	v_mul_f64 v[99:100], v[99:100], v[105:106]
	v_fma_f64 v[99:100], v[101:102], v[97:98], v[99:100]
	s_waitcnt vmcnt(2)
	v_add_f64 v[65:66], v[65:66], -v[103:104]
	s_waitcnt vmcnt(0)
	v_add_f64 v[67:68], v[67:68], -v[99:100]
	buffer_store_dword v65, off, s[20:23], 0 offset:336 ; 4-byte Folded Spill
	s_nop 0
	buffer_store_dword v66, off, s[20:23], 0 offset:340 ; 4-byte Folded Spill
	buffer_store_dword v67, off, s[20:23], 0 offset:344 ; 4-byte Folded Spill
	buffer_store_dword v68, off, s[20:23], 0 offset:348 ; 4-byte Folded Spill
	ds_read2_b64 v[99:102], v125 offset0:52 offset1:53
	buffer_load_dword v65, off, s[20:23], 0 offset:320 ; 4-byte Folded Reload
	buffer_load_dword v66, off, s[20:23], 0 offset:324 ; 4-byte Folded Reload
	buffer_load_dword v67, off, s[20:23], 0 offset:328 ; 4-byte Folded Reload
	buffer_load_dword v68, off, s[20:23], 0 offset:332 ; 4-byte Folded Reload
	s_waitcnt lgkmcnt(0)
	v_mul_f64 v[103:104], v[101:102], v[105:106]
	v_fma_f64 v[103:104], v[99:100], v[97:98], -v[103:104]
	v_mul_f64 v[99:100], v[99:100], v[105:106]
	v_fma_f64 v[99:100], v[101:102], v[97:98], v[99:100]
	s_waitcnt vmcnt(2)
	v_add_f64 v[65:66], v[65:66], -v[103:104]
	s_waitcnt vmcnt(0)
	v_add_f64 v[67:68], v[67:68], -v[99:100]
	buffer_store_dword v65, off, s[20:23], 0 offset:320 ; 4-byte Folded Spill
	s_nop 0
	buffer_store_dword v66, off, s[20:23], 0 offset:324 ; 4-byte Folded Spill
	buffer_store_dword v67, off, s[20:23], 0 offset:328 ; 4-byte Folded Spill
	buffer_store_dword v68, off, s[20:23], 0 offset:332 ; 4-byte Folded Spill
	ds_read2_b64 v[99:102], v125 offset0:54 offset1:55
	buffer_load_dword v65, off, s[20:23], 0 offset:304 ; 4-byte Folded Reload
	buffer_load_dword v66, off, s[20:23], 0 offset:308 ; 4-byte Folded Reload
	buffer_load_dword v67, off, s[20:23], 0 offset:312 ; 4-byte Folded Reload
	buffer_load_dword v68, off, s[20:23], 0 offset:316 ; 4-byte Folded Reload
	s_waitcnt lgkmcnt(0)
	v_mul_f64 v[103:104], v[101:102], v[105:106]
	v_fma_f64 v[103:104], v[99:100], v[97:98], -v[103:104]
	v_mul_f64 v[99:100], v[99:100], v[105:106]
	v_fma_f64 v[99:100], v[101:102], v[97:98], v[99:100]
	s_waitcnt vmcnt(2)
	v_add_f64 v[65:66], v[65:66], -v[103:104]
	s_waitcnt vmcnt(0)
	v_add_f64 v[67:68], v[67:68], -v[99:100]
	buffer_store_dword v65, off, s[20:23], 0 offset:304 ; 4-byte Folded Spill
	s_nop 0
	buffer_store_dword v66, off, s[20:23], 0 offset:308 ; 4-byte Folded Spill
	buffer_store_dword v67, off, s[20:23], 0 offset:312 ; 4-byte Folded Spill
	buffer_store_dword v68, off, s[20:23], 0 offset:316 ; 4-byte Folded Spill
	ds_read2_b64 v[99:102], v125 offset0:56 offset1:57
	buffer_load_dword v65, off, s[20:23], 0 offset:288 ; 4-byte Folded Reload
	buffer_load_dword v66, off, s[20:23], 0 offset:292 ; 4-byte Folded Reload
	buffer_load_dword v67, off, s[20:23], 0 offset:296 ; 4-byte Folded Reload
	buffer_load_dword v68, off, s[20:23], 0 offset:300 ; 4-byte Folded Reload
	s_waitcnt lgkmcnt(0)
	v_mul_f64 v[103:104], v[101:102], v[105:106]
	v_fma_f64 v[103:104], v[99:100], v[97:98], -v[103:104]
	v_mul_f64 v[99:100], v[99:100], v[105:106]
	v_fma_f64 v[99:100], v[101:102], v[97:98], v[99:100]
	s_waitcnt vmcnt(2)
	v_add_f64 v[65:66], v[65:66], -v[103:104]
	s_waitcnt vmcnt(0)
	v_add_f64 v[67:68], v[67:68], -v[99:100]
	buffer_store_dword v65, off, s[20:23], 0 offset:288 ; 4-byte Folded Spill
	s_nop 0
	buffer_store_dword v66, off, s[20:23], 0 offset:292 ; 4-byte Folded Spill
	buffer_store_dword v67, off, s[20:23], 0 offset:296 ; 4-byte Folded Spill
	buffer_store_dword v68, off, s[20:23], 0 offset:300 ; 4-byte Folded Spill
	ds_read2_b64 v[99:102], v125 offset0:58 offset1:59
	buffer_load_dword v65, off, s[20:23], 0 offset:272 ; 4-byte Folded Reload
	buffer_load_dword v66, off, s[20:23], 0 offset:276 ; 4-byte Folded Reload
	buffer_load_dword v67, off, s[20:23], 0 offset:280 ; 4-byte Folded Reload
	buffer_load_dword v68, off, s[20:23], 0 offset:284 ; 4-byte Folded Reload
	s_waitcnt lgkmcnt(0)
	v_mul_f64 v[103:104], v[101:102], v[105:106]
	v_fma_f64 v[103:104], v[99:100], v[97:98], -v[103:104]
	v_mul_f64 v[99:100], v[99:100], v[105:106]
	v_fma_f64 v[99:100], v[101:102], v[97:98], v[99:100]
	s_waitcnt vmcnt(2)
	v_add_f64 v[65:66], v[65:66], -v[103:104]
	s_waitcnt vmcnt(0)
	v_add_f64 v[67:68], v[67:68], -v[99:100]
	buffer_store_dword v65, off, s[20:23], 0 offset:272 ; 4-byte Folded Spill
	s_nop 0
	buffer_store_dword v66, off, s[20:23], 0 offset:276 ; 4-byte Folded Spill
	buffer_store_dword v67, off, s[20:23], 0 offset:280 ; 4-byte Folded Spill
	buffer_store_dword v68, off, s[20:23], 0 offset:284 ; 4-byte Folded Spill
	ds_read2_b64 v[99:102], v125 offset0:60 offset1:61
	buffer_load_dword v65, off, s[20:23], 0 offset:256 ; 4-byte Folded Reload
	buffer_load_dword v66, off, s[20:23], 0 offset:260 ; 4-byte Folded Reload
	buffer_load_dword v67, off, s[20:23], 0 offset:264 ; 4-byte Folded Reload
	buffer_load_dword v68, off, s[20:23], 0 offset:268 ; 4-byte Folded Reload
	s_waitcnt lgkmcnt(0)
	v_mul_f64 v[103:104], v[101:102], v[105:106]
	v_fma_f64 v[103:104], v[99:100], v[97:98], -v[103:104]
	v_mul_f64 v[99:100], v[99:100], v[105:106]
	v_fma_f64 v[99:100], v[101:102], v[97:98], v[99:100]
	s_waitcnt vmcnt(2)
	v_add_f64 v[65:66], v[65:66], -v[103:104]
	s_waitcnt vmcnt(0)
	v_add_f64 v[67:68], v[67:68], -v[99:100]
	buffer_store_dword v65, off, s[20:23], 0 offset:256 ; 4-byte Folded Spill
	s_nop 0
	buffer_store_dword v66, off, s[20:23], 0 offset:260 ; 4-byte Folded Spill
	buffer_store_dword v67, off, s[20:23], 0 offset:264 ; 4-byte Folded Spill
	buffer_store_dword v68, off, s[20:23], 0 offset:268 ; 4-byte Folded Spill
	ds_read2_b64 v[99:102], v125 offset0:62 offset1:63
	buffer_load_dword v65, off, s[20:23], 0 offset:240 ; 4-byte Folded Reload
	buffer_load_dword v66, off, s[20:23], 0 offset:244 ; 4-byte Folded Reload
	buffer_load_dword v67, off, s[20:23], 0 offset:248 ; 4-byte Folded Reload
	buffer_load_dword v68, off, s[20:23], 0 offset:252 ; 4-byte Folded Reload
	s_waitcnt lgkmcnt(0)
	v_mul_f64 v[103:104], v[101:102], v[105:106]
	v_fma_f64 v[103:104], v[99:100], v[97:98], -v[103:104]
	v_mul_f64 v[99:100], v[99:100], v[105:106]
	v_fma_f64 v[99:100], v[101:102], v[97:98], v[99:100]
	s_waitcnt vmcnt(2)
	v_add_f64 v[65:66], v[65:66], -v[103:104]
	s_waitcnt vmcnt(0)
	v_add_f64 v[67:68], v[67:68], -v[99:100]
	buffer_store_dword v65, off, s[20:23], 0 offset:240 ; 4-byte Folded Spill
	s_nop 0
	buffer_store_dword v66, off, s[20:23], 0 offset:244 ; 4-byte Folded Spill
	buffer_store_dword v67, off, s[20:23], 0 offset:248 ; 4-byte Folded Spill
	buffer_store_dword v68, off, s[20:23], 0 offset:252 ; 4-byte Folded Spill
	ds_read2_b64 v[99:102], v125 offset0:64 offset1:65
	buffer_load_dword v65, off, s[20:23], 0 offset:224 ; 4-byte Folded Reload
	buffer_load_dword v66, off, s[20:23], 0 offset:228 ; 4-byte Folded Reload
	buffer_load_dword v67, off, s[20:23], 0 offset:232 ; 4-byte Folded Reload
	buffer_load_dword v68, off, s[20:23], 0 offset:236 ; 4-byte Folded Reload
	s_waitcnt lgkmcnt(0)
	v_mul_f64 v[103:104], v[101:102], v[105:106]
	v_fma_f64 v[103:104], v[99:100], v[97:98], -v[103:104]
	v_mul_f64 v[99:100], v[99:100], v[105:106]
	v_fma_f64 v[99:100], v[101:102], v[97:98], v[99:100]
	s_waitcnt vmcnt(2)
	v_add_f64 v[65:66], v[65:66], -v[103:104]
	s_waitcnt vmcnt(0)
	v_add_f64 v[67:68], v[67:68], -v[99:100]
	buffer_store_dword v65, off, s[20:23], 0 offset:224 ; 4-byte Folded Spill
	s_nop 0
	buffer_store_dword v66, off, s[20:23], 0 offset:228 ; 4-byte Folded Spill
	buffer_store_dword v67, off, s[20:23], 0 offset:232 ; 4-byte Folded Spill
	buffer_store_dword v68, off, s[20:23], 0 offset:236 ; 4-byte Folded Spill
	ds_read2_b64 v[99:102], v125 offset0:66 offset1:67
	buffer_load_dword v65, off, s[20:23], 0 offset:208 ; 4-byte Folded Reload
	buffer_load_dword v66, off, s[20:23], 0 offset:212 ; 4-byte Folded Reload
	buffer_load_dword v67, off, s[20:23], 0 offset:216 ; 4-byte Folded Reload
	buffer_load_dword v68, off, s[20:23], 0 offset:220 ; 4-byte Folded Reload
	s_waitcnt lgkmcnt(0)
	v_mul_f64 v[103:104], v[101:102], v[105:106]
	v_fma_f64 v[103:104], v[99:100], v[97:98], -v[103:104]
	v_mul_f64 v[99:100], v[99:100], v[105:106]
	v_fma_f64 v[99:100], v[101:102], v[97:98], v[99:100]
	s_waitcnt vmcnt(2)
	v_add_f64 v[65:66], v[65:66], -v[103:104]
	s_waitcnt vmcnt(0)
	v_add_f64 v[67:68], v[67:68], -v[99:100]
	buffer_store_dword v65, off, s[20:23], 0 offset:208 ; 4-byte Folded Spill
	s_nop 0
	buffer_store_dword v66, off, s[20:23], 0 offset:212 ; 4-byte Folded Spill
	buffer_store_dword v67, off, s[20:23], 0 offset:216 ; 4-byte Folded Spill
	buffer_store_dword v68, off, s[20:23], 0 offset:220 ; 4-byte Folded Spill
	ds_read2_b64 v[99:102], v125 offset0:68 offset1:69
	buffer_load_dword v65, off, s[20:23], 0 offset:192 ; 4-byte Folded Reload
	buffer_load_dword v66, off, s[20:23], 0 offset:196 ; 4-byte Folded Reload
	buffer_load_dword v67, off, s[20:23], 0 offset:200 ; 4-byte Folded Reload
	buffer_load_dword v68, off, s[20:23], 0 offset:204 ; 4-byte Folded Reload
	s_waitcnt lgkmcnt(0)
	v_mul_f64 v[103:104], v[101:102], v[105:106]
	v_fma_f64 v[103:104], v[99:100], v[97:98], -v[103:104]
	v_mul_f64 v[99:100], v[99:100], v[105:106]
	v_fma_f64 v[99:100], v[101:102], v[97:98], v[99:100]
	s_waitcnt vmcnt(2)
	v_add_f64 v[65:66], v[65:66], -v[103:104]
	s_waitcnt vmcnt(0)
	v_add_f64 v[67:68], v[67:68], -v[99:100]
	buffer_store_dword v65, off, s[20:23], 0 offset:192 ; 4-byte Folded Spill
	s_nop 0
	buffer_store_dword v66, off, s[20:23], 0 offset:196 ; 4-byte Folded Spill
	buffer_store_dword v67, off, s[20:23], 0 offset:200 ; 4-byte Folded Spill
	buffer_store_dword v68, off, s[20:23], 0 offset:204 ; 4-byte Folded Spill
	ds_read2_b64 v[99:102], v125 offset0:70 offset1:71
	s_waitcnt lgkmcnt(0)
	v_mul_f64 v[103:104], v[101:102], v[105:106]
	v_fma_f64 v[103:104], v[99:100], v[97:98], -v[103:104]
	v_mul_f64 v[99:100], v[99:100], v[105:106]
	v_add_f64 v[93:94], v[93:94], -v[103:104]
	v_fma_f64 v[99:100], v[101:102], v[97:98], v[99:100]
	v_add_f64 v[95:96], v[95:96], -v[99:100]
	ds_read2_b64 v[99:102], v125 offset0:72 offset1:73
	buffer_load_dword v41, off, s[20:23], 0 offset:176 ; 4-byte Folded Reload
	buffer_load_dword v42, off, s[20:23], 0 offset:180 ; 4-byte Folded Reload
	buffer_load_dword v43, off, s[20:23], 0 offset:184 ; 4-byte Folded Reload
	buffer_load_dword v44, off, s[20:23], 0 offset:188 ; 4-byte Folded Reload
	s_waitcnt lgkmcnt(0)
	v_mul_f64 v[103:104], v[101:102], v[105:106]
	v_fma_f64 v[103:104], v[99:100], v[97:98], -v[103:104]
	v_mul_f64 v[99:100], v[99:100], v[105:106]
	v_fma_f64 v[99:100], v[101:102], v[97:98], v[99:100]
	s_waitcnt vmcnt(2)
	v_add_f64 v[41:42], v[41:42], -v[103:104]
	s_waitcnt vmcnt(0)
	v_add_f64 v[43:44], v[43:44], -v[99:100]
	buffer_store_dword v41, off, s[20:23], 0 offset:176 ; 4-byte Folded Spill
	s_nop 0
	buffer_store_dword v42, off, s[20:23], 0 offset:180 ; 4-byte Folded Spill
	buffer_store_dword v43, off, s[20:23], 0 offset:184 ; 4-byte Folded Spill
	buffer_store_dword v44, off, s[20:23], 0 offset:188 ; 4-byte Folded Spill
	ds_read2_b64 v[99:102], v125 offset0:74 offset1:75
	buffer_load_dword v65, off, s[20:23], 0 offset:160 ; 4-byte Folded Reload
	buffer_load_dword v66, off, s[20:23], 0 offset:164 ; 4-byte Folded Reload
	buffer_load_dword v67, off, s[20:23], 0 offset:168 ; 4-byte Folded Reload
	buffer_load_dword v68, off, s[20:23], 0 offset:172 ; 4-byte Folded Reload
	s_waitcnt lgkmcnt(0)
	v_mul_f64 v[103:104], v[101:102], v[105:106]
	v_fma_f64 v[103:104], v[99:100], v[97:98], -v[103:104]
	v_mul_f64 v[99:100], v[99:100], v[105:106]
	v_fma_f64 v[99:100], v[101:102], v[97:98], v[99:100]
	s_waitcnt vmcnt(2)
	v_add_f64 v[65:66], v[65:66], -v[103:104]
	s_waitcnt vmcnt(0)
	v_add_f64 v[67:68], v[67:68], -v[99:100]
	buffer_store_dword v65, off, s[20:23], 0 offset:160 ; 4-byte Folded Spill
	s_nop 0
	buffer_store_dword v66, off, s[20:23], 0 offset:164 ; 4-byte Folded Spill
	buffer_store_dword v67, off, s[20:23], 0 offset:168 ; 4-byte Folded Spill
	buffer_store_dword v68, off, s[20:23], 0 offset:172 ; 4-byte Folded Spill
	;; [unrolled: 19-line block ×11, first 2 shown]
	ds_read2_b64 v[99:102], v125 offset0:94 offset1:95
	buffer_load_dword v45, off, s[20:23], 0 ; 4-byte Folded Reload
	buffer_load_dword v46, off, s[20:23], 0 offset:4 ; 4-byte Folded Reload
	buffer_load_dword v47, off, s[20:23], 0 offset:8 ; 4-byte Folded Reload
	;; [unrolled: 1-line block ×3, first 2 shown]
	s_waitcnt lgkmcnt(0)
	v_mul_f64 v[103:104], v[101:102], v[105:106]
	v_fma_f64 v[103:104], v[99:100], v[97:98], -v[103:104]
	v_mul_f64 v[99:100], v[99:100], v[105:106]
	v_fma_f64 v[99:100], v[101:102], v[97:98], v[99:100]
	s_waitcnt vmcnt(2)
	v_add_f64 v[45:46], v[45:46], -v[103:104]
	s_waitcnt vmcnt(0)
	v_add_f64 v[47:48], v[47:48], -v[99:100]
	buffer_store_dword v45, off, s[20:23], 0 ; 4-byte Folded Spill
	s_nop 0
	buffer_store_dword v46, off, s[20:23], 0 offset:4 ; 4-byte Folded Spill
	buffer_store_dword v47, off, s[20:23], 0 offset:8 ; 4-byte Folded Spill
	;; [unrolled: 1-line block ×3, first 2 shown]
	ds_read2_b64 v[99:102], v125 offset0:96 offset1:97
	s_waitcnt lgkmcnt(0)
	v_mul_f64 v[103:104], v[101:102], v[105:106]
	v_fma_f64 v[103:104], v[99:100], v[97:98], -v[103:104]
	v_mul_f64 v[99:100], v[99:100], v[105:106]
	v_add_f64 v[113:114], v[113:114], -v[103:104]
	v_fma_f64 v[99:100], v[101:102], v[97:98], v[99:100]
	v_add_f64 v[115:116], v[115:116], -v[99:100]
	ds_read2_b64 v[99:102], v125 offset0:98 offset1:99
	s_waitcnt lgkmcnt(0)
	v_mul_f64 v[103:104], v[101:102], v[105:106]
	v_fma_f64 v[103:104], v[99:100], v[97:98], -v[103:104]
	v_mul_f64 v[99:100], v[99:100], v[105:106]
	v_add_f64 v[37:38], v[37:38], -v[103:104]
	v_fma_f64 v[99:100], v[101:102], v[97:98], v[99:100]
	v_add_f64 v[39:40], v[39:40], -v[99:100]
	;; [unrolled: 8-line block ×10, first 2 shown]
	ds_read2_b64 v[99:102], v125 offset0:116 offset1:117
	s_waitcnt lgkmcnt(0)
	v_mul_f64 v[103:104], v[101:102], v[105:106]
	v_fma_f64 v[103:104], v[99:100], v[97:98], -v[103:104]
	v_mul_f64 v[99:100], v[99:100], v[105:106]
	v_add_f64 v[1:2], v[1:2], -v[103:104]
	v_fma_f64 v[99:100], v[101:102], v[97:98], v[99:100]
	ds_read2_b64 v[101:104], v125 offset0:118 offset1:119
	v_add_f64 v[3:4], v[3:4], -v[99:100]
	s_waitcnt lgkmcnt(0)
	v_mul_f64 v[99:100], v[103:104], v[105:106]
	v_fma_f64 v[99:100], v[101:102], v[97:98], -v[99:100]
	v_mul_f64 v[101:102], v[101:102], v[105:106]
	v_add_f64 v[121:122], v[121:122], -v[99:100]
	v_fma_f64 v[101:102], v[103:104], v[97:98], v[101:102]
	v_mov_b32_e32 v104, v98
	v_mov_b32_e32 v103, v97
	buffer_store_dword v103, off, s[20:23], 0 offset:528 ; 4-byte Folded Spill
	s_nop 0
	buffer_store_dword v104, off, s[20:23], 0 offset:532 ; 4-byte Folded Spill
	buffer_store_dword v105, off, s[20:23], 0 offset:536 ; 4-byte Folded Spill
	;; [unrolled: 1-line block ×3, first 2 shown]
	v_add_f64 v[123:124], v[123:124], -v[101:102]
.LBB119_127:
	s_or_b64 exec, exec, s[2:3]
	v_cmp_eq_u32_e32 vcc, 14, v0
	s_waitcnt vmcnt(0)
	s_barrier
	s_and_saveexec_b64 s[4:5], vcc
	s_cbranch_execz .LBB119_134
; %bb.128:
	buffer_load_dword v65, off, s[20:23], 0 offset:512 ; 4-byte Folded Reload
	buffer_load_dword v66, off, s[20:23], 0 offset:516 ; 4-byte Folded Reload
	;; [unrolled: 1-line block ×4, first 2 shown]
	s_waitcnt vmcnt(0)
	ds_write2_b64 v127, v[65:66], v[67:68] offset1:1
	buffer_load_dword v65, off, s[20:23], 0 offset:496 ; 4-byte Folded Reload
	buffer_load_dword v66, off, s[20:23], 0 offset:500 ; 4-byte Folded Reload
	buffer_load_dword v67, off, s[20:23], 0 offset:504 ; 4-byte Folded Reload
	buffer_load_dword v68, off, s[20:23], 0 offset:508 ; 4-byte Folded Reload
	s_waitcnt vmcnt(0)
	ds_write2_b64 v125, v[65:66], v[67:68] offset0:30 offset1:31
	buffer_load_dword v65, off, s[20:23], 0 offset:480 ; 4-byte Folded Reload
	buffer_load_dword v66, off, s[20:23], 0 offset:484 ; 4-byte Folded Reload
	buffer_load_dword v67, off, s[20:23], 0 offset:488 ; 4-byte Folded Reload
	buffer_load_dword v68, off, s[20:23], 0 offset:492 ; 4-byte Folded Reload
	s_waitcnt vmcnt(0)
	ds_write2_b64 v125, v[65:66], v[67:68] offset0:32 offset1:33
	;; [unrolled: 6-line block ×20, first 2 shown]
	ds_write2_b64 v125, v[93:94], v[95:96] offset0:70 offset1:71
	buffer_load_dword v41, off, s[20:23], 0 offset:176 ; 4-byte Folded Reload
	buffer_load_dword v42, off, s[20:23], 0 offset:180 ; 4-byte Folded Reload
	buffer_load_dword v43, off, s[20:23], 0 offset:184 ; 4-byte Folded Reload
	buffer_load_dword v44, off, s[20:23], 0 offset:188 ; 4-byte Folded Reload
	s_waitcnt vmcnt(0)
	ds_write2_b64 v125, v[41:42], v[43:44] offset0:72 offset1:73
	buffer_load_dword v65, off, s[20:23], 0 offset:160 ; 4-byte Folded Reload
	buffer_load_dword v66, off, s[20:23], 0 offset:164 ; 4-byte Folded Reload
	buffer_load_dword v67, off, s[20:23], 0 offset:168 ; 4-byte Folded Reload
	buffer_load_dword v68, off, s[20:23], 0 offset:172 ; 4-byte Folded Reload
	s_waitcnt vmcnt(0)
	;; [unrolled: 6-line block ×11, first 2 shown]
	ds_write2_b64 v125, v[49:50], v[51:52] offset0:92 offset1:93
	buffer_load_dword v45, off, s[20:23], 0 ; 4-byte Folded Reload
	buffer_load_dword v46, off, s[20:23], 0 offset:4 ; 4-byte Folded Reload
	buffer_load_dword v47, off, s[20:23], 0 offset:8 ; 4-byte Folded Reload
	;; [unrolled: 1-line block ×3, first 2 shown]
	s_waitcnt vmcnt(0)
	ds_write2_b64 v125, v[45:46], v[47:48] offset0:94 offset1:95
	ds_write2_b64 v125, v[113:114], v[115:116] offset0:96 offset1:97
	;; [unrolled: 1-line block ×13, first 2 shown]
	ds_read2_b64 v[97:100], v127 offset1:1
	s_waitcnt lgkmcnt(0)
	v_cmp_neq_f64_e32 vcc, 0, v[97:98]
	v_cmp_neq_f64_e64 s[2:3], 0, v[99:100]
	s_or_b64 s[2:3], vcc, s[2:3]
	s_and_b64 exec, exec, s[2:3]
	s_cbranch_execz .LBB119_134
; %bb.129:
	v_cmp_ngt_f64_e64 s[2:3], |v[97:98]|, |v[99:100]|
                                        ; implicit-def: $vgpr101_vgpr102
	s_and_saveexec_b64 s[6:7], s[2:3]
	s_xor_b64 s[2:3], exec, s[6:7]
                                        ; implicit-def: $vgpr103_vgpr104
	s_cbranch_execz .LBB119_131
; %bb.130:
	v_div_scale_f64 v[101:102], s[6:7], v[99:100], v[99:100], v[97:98]
	v_rcp_f64_e32 v[103:104], v[101:102]
	v_fma_f64 v[105:106], -v[101:102], v[103:104], 1.0
	v_fma_f64 v[103:104], v[103:104], v[105:106], v[103:104]
	v_div_scale_f64 v[105:106], vcc, v[97:98], v[99:100], v[97:98]
	v_fma_f64 v[107:108], -v[101:102], v[103:104], 1.0
	v_fma_f64 v[103:104], v[103:104], v[107:108], v[103:104]
	v_mul_f64 v[107:108], v[105:106], v[103:104]
	v_fma_f64 v[101:102], -v[101:102], v[107:108], v[105:106]
	v_div_fmas_f64 v[101:102], v[101:102], v[103:104], v[107:108]
	v_div_fixup_f64 v[101:102], v[101:102], v[99:100], v[97:98]
	v_fma_f64 v[97:98], v[97:98], v[101:102], v[99:100]
	v_div_scale_f64 v[99:100], s[6:7], v[97:98], v[97:98], 1.0
	v_div_scale_f64 v[107:108], vcc, 1.0, v[97:98], 1.0
	v_rcp_f64_e32 v[103:104], v[99:100]
	v_fma_f64 v[105:106], -v[99:100], v[103:104], 1.0
	v_fma_f64 v[103:104], v[103:104], v[105:106], v[103:104]
	v_fma_f64 v[105:106], -v[99:100], v[103:104], 1.0
	v_fma_f64 v[103:104], v[103:104], v[105:106], v[103:104]
	v_mul_f64 v[105:106], v[107:108], v[103:104]
	v_fma_f64 v[99:100], -v[99:100], v[105:106], v[107:108]
	v_div_fmas_f64 v[99:100], v[99:100], v[103:104], v[105:106]
	v_div_fixup_f64 v[103:104], v[99:100], v[97:98], 1.0
                                        ; implicit-def: $vgpr97_vgpr98
	v_mul_f64 v[101:102], v[101:102], v[103:104]
	v_xor_b32_e32 v104, 0x80000000, v104
.LBB119_131:
	s_andn2_saveexec_b64 s[2:3], s[2:3]
	s_cbranch_execz .LBB119_133
; %bb.132:
	v_div_scale_f64 v[101:102], s[6:7], v[97:98], v[97:98], v[99:100]
	v_rcp_f64_e32 v[103:104], v[101:102]
	v_fma_f64 v[105:106], -v[101:102], v[103:104], 1.0
	v_fma_f64 v[103:104], v[103:104], v[105:106], v[103:104]
	v_div_scale_f64 v[105:106], vcc, v[99:100], v[97:98], v[99:100]
	v_fma_f64 v[107:108], -v[101:102], v[103:104], 1.0
	v_fma_f64 v[103:104], v[103:104], v[107:108], v[103:104]
	v_mul_f64 v[107:108], v[105:106], v[103:104]
	v_fma_f64 v[101:102], -v[101:102], v[107:108], v[105:106]
	v_div_fmas_f64 v[101:102], v[101:102], v[103:104], v[107:108]
	v_div_fixup_f64 v[103:104], v[101:102], v[97:98], v[99:100]
	v_fma_f64 v[97:98], v[99:100], v[103:104], v[97:98]
	v_div_scale_f64 v[99:100], s[6:7], v[97:98], v[97:98], 1.0
	v_div_scale_f64 v[107:108], vcc, 1.0, v[97:98], 1.0
	v_rcp_f64_e32 v[101:102], v[99:100]
	v_fma_f64 v[105:106], -v[99:100], v[101:102], 1.0
	v_fma_f64 v[101:102], v[101:102], v[105:106], v[101:102]
	v_fma_f64 v[105:106], -v[99:100], v[101:102], 1.0
	v_fma_f64 v[101:102], v[101:102], v[105:106], v[101:102]
	v_mul_f64 v[105:106], v[107:108], v[101:102]
	v_fma_f64 v[99:100], -v[99:100], v[105:106], v[107:108]
	v_div_fmas_f64 v[99:100], v[99:100], v[101:102], v[105:106]
	v_div_fixup_f64 v[101:102], v[99:100], v[97:98], 1.0
	v_mul_f64 v[103:104], v[103:104], -v[101:102]
.LBB119_133:
	s_or_b64 exec, exec, s[2:3]
	ds_write2_b64 v127, v[101:102], v[103:104] offset1:1
.LBB119_134:
	s_or_b64 exec, exec, s[4:5]
	s_waitcnt lgkmcnt(0)
	s_barrier
	ds_read2_b64 v[65:68], v127 offset1:1
	v_cmp_lt_u32_e32 vcc, 14, v0
	s_waitcnt lgkmcnt(0)
	buffer_store_dword v65, off, s[20:23], 0 offset:1448 ; 4-byte Folded Spill
	s_nop 0
	buffer_store_dword v66, off, s[20:23], 0 offset:1452 ; 4-byte Folded Spill
	buffer_store_dword v67, off, s[20:23], 0 offset:1456 ; 4-byte Folded Spill
	;; [unrolled: 1-line block ×3, first 2 shown]
	s_and_saveexec_b64 s[2:3], vcc
	s_cbranch_execz .LBB119_136
; %bb.135:
	buffer_load_dword v103, off, s[20:23], 0 offset:512 ; 4-byte Folded Reload
	buffer_load_dword v104, off, s[20:23], 0 offset:516 ; 4-byte Folded Reload
	;; [unrolled: 1-line block ×8, first 2 shown]
	s_waitcnt vmcnt(2)
	v_mul_f64 v[99:100], v[65:66], v[105:106]
	s_waitcnt vmcnt(0)
	v_mul_f64 v[97:98], v[67:68], v[105:106]
	v_fma_f64 v[105:106], v[67:68], v[103:104], v[99:100]
	ds_read2_b64 v[99:102], v125 offset0:30 offset1:31
	v_fma_f64 v[97:98], v[65:66], v[103:104], -v[97:98]
	buffer_load_dword v65, off, s[20:23], 0 offset:496 ; 4-byte Folded Reload
	buffer_load_dword v66, off, s[20:23], 0 offset:500 ; 4-byte Folded Reload
	buffer_load_dword v67, off, s[20:23], 0 offset:504 ; 4-byte Folded Reload
	buffer_load_dword v68, off, s[20:23], 0 offset:508 ; 4-byte Folded Reload
	s_waitcnt lgkmcnt(0)
	v_mul_f64 v[103:104], v[101:102], v[105:106]
	v_fma_f64 v[103:104], v[99:100], v[97:98], -v[103:104]
	v_mul_f64 v[99:100], v[99:100], v[105:106]
	v_fma_f64 v[99:100], v[101:102], v[97:98], v[99:100]
	s_waitcnt vmcnt(2)
	v_add_f64 v[65:66], v[65:66], -v[103:104]
	s_waitcnt vmcnt(0)
	v_add_f64 v[67:68], v[67:68], -v[99:100]
	buffer_store_dword v65, off, s[20:23], 0 offset:496 ; 4-byte Folded Spill
	s_nop 0
	buffer_store_dword v66, off, s[20:23], 0 offset:500 ; 4-byte Folded Spill
	buffer_store_dword v67, off, s[20:23], 0 offset:504 ; 4-byte Folded Spill
	buffer_store_dword v68, off, s[20:23], 0 offset:508 ; 4-byte Folded Spill
	ds_read2_b64 v[99:102], v125 offset0:32 offset1:33
	buffer_load_dword v65, off, s[20:23], 0 offset:480 ; 4-byte Folded Reload
	buffer_load_dword v66, off, s[20:23], 0 offset:484 ; 4-byte Folded Reload
	buffer_load_dword v67, off, s[20:23], 0 offset:488 ; 4-byte Folded Reload
	buffer_load_dword v68, off, s[20:23], 0 offset:492 ; 4-byte Folded Reload
	s_waitcnt lgkmcnt(0)
	v_mul_f64 v[103:104], v[101:102], v[105:106]
	v_fma_f64 v[103:104], v[99:100], v[97:98], -v[103:104]
	v_mul_f64 v[99:100], v[99:100], v[105:106]
	v_fma_f64 v[99:100], v[101:102], v[97:98], v[99:100]
	s_waitcnt vmcnt(2)
	v_add_f64 v[65:66], v[65:66], -v[103:104]
	s_waitcnt vmcnt(0)
	v_add_f64 v[67:68], v[67:68], -v[99:100]
	buffer_store_dword v65, off, s[20:23], 0 offset:480 ; 4-byte Folded Spill
	s_nop 0
	buffer_store_dword v66, off, s[20:23], 0 offset:484 ; 4-byte Folded Spill
	buffer_store_dword v67, off, s[20:23], 0 offset:488 ; 4-byte Folded Spill
	buffer_store_dword v68, off, s[20:23], 0 offset:492 ; 4-byte Folded Spill
	ds_read2_b64 v[99:102], v125 offset0:34 offset1:35
	buffer_load_dword v65, off, s[20:23], 0 offset:464 ; 4-byte Folded Reload
	buffer_load_dword v66, off, s[20:23], 0 offset:468 ; 4-byte Folded Reload
	buffer_load_dword v67, off, s[20:23], 0 offset:472 ; 4-byte Folded Reload
	buffer_load_dword v68, off, s[20:23], 0 offset:476 ; 4-byte Folded Reload
	s_waitcnt lgkmcnt(0)
	v_mul_f64 v[103:104], v[101:102], v[105:106]
	v_fma_f64 v[103:104], v[99:100], v[97:98], -v[103:104]
	v_mul_f64 v[99:100], v[99:100], v[105:106]
	v_fma_f64 v[99:100], v[101:102], v[97:98], v[99:100]
	s_waitcnt vmcnt(2)
	v_add_f64 v[65:66], v[65:66], -v[103:104]
	s_waitcnt vmcnt(0)
	v_add_f64 v[67:68], v[67:68], -v[99:100]
	buffer_store_dword v65, off, s[20:23], 0 offset:464 ; 4-byte Folded Spill
	s_nop 0
	buffer_store_dword v66, off, s[20:23], 0 offset:468 ; 4-byte Folded Spill
	buffer_store_dword v67, off, s[20:23], 0 offset:472 ; 4-byte Folded Spill
	buffer_store_dword v68, off, s[20:23], 0 offset:476 ; 4-byte Folded Spill
	ds_read2_b64 v[99:102], v125 offset0:36 offset1:37
	buffer_load_dword v65, off, s[20:23], 0 offset:448 ; 4-byte Folded Reload
	buffer_load_dword v66, off, s[20:23], 0 offset:452 ; 4-byte Folded Reload
	buffer_load_dword v67, off, s[20:23], 0 offset:456 ; 4-byte Folded Reload
	buffer_load_dword v68, off, s[20:23], 0 offset:460 ; 4-byte Folded Reload
	s_waitcnt lgkmcnt(0)
	v_mul_f64 v[103:104], v[101:102], v[105:106]
	v_fma_f64 v[103:104], v[99:100], v[97:98], -v[103:104]
	v_mul_f64 v[99:100], v[99:100], v[105:106]
	v_fma_f64 v[99:100], v[101:102], v[97:98], v[99:100]
	s_waitcnt vmcnt(2)
	v_add_f64 v[65:66], v[65:66], -v[103:104]
	s_waitcnt vmcnt(0)
	v_add_f64 v[67:68], v[67:68], -v[99:100]
	buffer_store_dword v65, off, s[20:23], 0 offset:448 ; 4-byte Folded Spill
	s_nop 0
	buffer_store_dword v66, off, s[20:23], 0 offset:452 ; 4-byte Folded Spill
	buffer_store_dword v67, off, s[20:23], 0 offset:456 ; 4-byte Folded Spill
	buffer_store_dword v68, off, s[20:23], 0 offset:460 ; 4-byte Folded Spill
	ds_read2_b64 v[99:102], v125 offset0:38 offset1:39
	buffer_load_dword v65, off, s[20:23], 0 offset:432 ; 4-byte Folded Reload
	buffer_load_dword v66, off, s[20:23], 0 offset:436 ; 4-byte Folded Reload
	buffer_load_dword v67, off, s[20:23], 0 offset:440 ; 4-byte Folded Reload
	buffer_load_dword v68, off, s[20:23], 0 offset:444 ; 4-byte Folded Reload
	s_waitcnt lgkmcnt(0)
	v_mul_f64 v[103:104], v[101:102], v[105:106]
	v_fma_f64 v[103:104], v[99:100], v[97:98], -v[103:104]
	v_mul_f64 v[99:100], v[99:100], v[105:106]
	v_fma_f64 v[99:100], v[101:102], v[97:98], v[99:100]
	s_waitcnt vmcnt(2)
	v_add_f64 v[65:66], v[65:66], -v[103:104]
	s_waitcnt vmcnt(0)
	v_add_f64 v[67:68], v[67:68], -v[99:100]
	buffer_store_dword v65, off, s[20:23], 0 offset:432 ; 4-byte Folded Spill
	s_nop 0
	buffer_store_dword v66, off, s[20:23], 0 offset:436 ; 4-byte Folded Spill
	buffer_store_dword v67, off, s[20:23], 0 offset:440 ; 4-byte Folded Spill
	buffer_store_dword v68, off, s[20:23], 0 offset:444 ; 4-byte Folded Spill
	ds_read2_b64 v[99:102], v125 offset0:40 offset1:41
	buffer_load_dword v65, off, s[20:23], 0 offset:416 ; 4-byte Folded Reload
	buffer_load_dword v66, off, s[20:23], 0 offset:420 ; 4-byte Folded Reload
	buffer_load_dword v67, off, s[20:23], 0 offset:424 ; 4-byte Folded Reload
	buffer_load_dword v68, off, s[20:23], 0 offset:428 ; 4-byte Folded Reload
	s_waitcnt lgkmcnt(0)
	v_mul_f64 v[103:104], v[101:102], v[105:106]
	v_fma_f64 v[103:104], v[99:100], v[97:98], -v[103:104]
	v_mul_f64 v[99:100], v[99:100], v[105:106]
	v_fma_f64 v[99:100], v[101:102], v[97:98], v[99:100]
	s_waitcnt vmcnt(2)
	v_add_f64 v[65:66], v[65:66], -v[103:104]
	s_waitcnt vmcnt(0)
	v_add_f64 v[67:68], v[67:68], -v[99:100]
	buffer_store_dword v65, off, s[20:23], 0 offset:416 ; 4-byte Folded Spill
	s_nop 0
	buffer_store_dword v66, off, s[20:23], 0 offset:420 ; 4-byte Folded Spill
	buffer_store_dword v67, off, s[20:23], 0 offset:424 ; 4-byte Folded Spill
	buffer_store_dword v68, off, s[20:23], 0 offset:428 ; 4-byte Folded Spill
	ds_read2_b64 v[99:102], v125 offset0:42 offset1:43
	buffer_load_dword v65, off, s[20:23], 0 offset:400 ; 4-byte Folded Reload
	buffer_load_dword v66, off, s[20:23], 0 offset:404 ; 4-byte Folded Reload
	buffer_load_dword v67, off, s[20:23], 0 offset:408 ; 4-byte Folded Reload
	buffer_load_dword v68, off, s[20:23], 0 offset:412 ; 4-byte Folded Reload
	s_waitcnt lgkmcnt(0)
	v_mul_f64 v[103:104], v[101:102], v[105:106]
	v_fma_f64 v[103:104], v[99:100], v[97:98], -v[103:104]
	v_mul_f64 v[99:100], v[99:100], v[105:106]
	v_fma_f64 v[99:100], v[101:102], v[97:98], v[99:100]
	s_waitcnt vmcnt(2)
	v_add_f64 v[65:66], v[65:66], -v[103:104]
	s_waitcnt vmcnt(0)
	v_add_f64 v[67:68], v[67:68], -v[99:100]
	buffer_store_dword v65, off, s[20:23], 0 offset:400 ; 4-byte Folded Spill
	s_nop 0
	buffer_store_dword v66, off, s[20:23], 0 offset:404 ; 4-byte Folded Spill
	buffer_store_dword v67, off, s[20:23], 0 offset:408 ; 4-byte Folded Spill
	buffer_store_dword v68, off, s[20:23], 0 offset:412 ; 4-byte Folded Spill
	ds_read2_b64 v[99:102], v125 offset0:44 offset1:45
	buffer_load_dword v65, off, s[20:23], 0 offset:384 ; 4-byte Folded Reload
	buffer_load_dword v66, off, s[20:23], 0 offset:388 ; 4-byte Folded Reload
	buffer_load_dword v67, off, s[20:23], 0 offset:392 ; 4-byte Folded Reload
	buffer_load_dword v68, off, s[20:23], 0 offset:396 ; 4-byte Folded Reload
	s_waitcnt lgkmcnt(0)
	v_mul_f64 v[103:104], v[101:102], v[105:106]
	v_fma_f64 v[103:104], v[99:100], v[97:98], -v[103:104]
	v_mul_f64 v[99:100], v[99:100], v[105:106]
	v_fma_f64 v[99:100], v[101:102], v[97:98], v[99:100]
	s_waitcnt vmcnt(2)
	v_add_f64 v[65:66], v[65:66], -v[103:104]
	s_waitcnt vmcnt(0)
	v_add_f64 v[67:68], v[67:68], -v[99:100]
	buffer_store_dword v65, off, s[20:23], 0 offset:384 ; 4-byte Folded Spill
	s_nop 0
	buffer_store_dword v66, off, s[20:23], 0 offset:388 ; 4-byte Folded Spill
	buffer_store_dword v67, off, s[20:23], 0 offset:392 ; 4-byte Folded Spill
	buffer_store_dword v68, off, s[20:23], 0 offset:396 ; 4-byte Folded Spill
	ds_read2_b64 v[99:102], v125 offset0:46 offset1:47
	buffer_load_dword v65, off, s[20:23], 0 offset:368 ; 4-byte Folded Reload
	buffer_load_dword v66, off, s[20:23], 0 offset:372 ; 4-byte Folded Reload
	buffer_load_dword v67, off, s[20:23], 0 offset:376 ; 4-byte Folded Reload
	buffer_load_dword v68, off, s[20:23], 0 offset:380 ; 4-byte Folded Reload
	s_waitcnt lgkmcnt(0)
	v_mul_f64 v[103:104], v[101:102], v[105:106]
	v_fma_f64 v[103:104], v[99:100], v[97:98], -v[103:104]
	v_mul_f64 v[99:100], v[99:100], v[105:106]
	v_fma_f64 v[99:100], v[101:102], v[97:98], v[99:100]
	s_waitcnt vmcnt(2)
	v_add_f64 v[65:66], v[65:66], -v[103:104]
	s_waitcnt vmcnt(0)
	v_add_f64 v[67:68], v[67:68], -v[99:100]
	buffer_store_dword v65, off, s[20:23], 0 offset:368 ; 4-byte Folded Spill
	s_nop 0
	buffer_store_dword v66, off, s[20:23], 0 offset:372 ; 4-byte Folded Spill
	buffer_store_dword v67, off, s[20:23], 0 offset:376 ; 4-byte Folded Spill
	buffer_store_dword v68, off, s[20:23], 0 offset:380 ; 4-byte Folded Spill
	ds_read2_b64 v[99:102], v125 offset0:48 offset1:49
	buffer_load_dword v65, off, s[20:23], 0 offset:352 ; 4-byte Folded Reload
	buffer_load_dword v66, off, s[20:23], 0 offset:356 ; 4-byte Folded Reload
	buffer_load_dword v67, off, s[20:23], 0 offset:360 ; 4-byte Folded Reload
	buffer_load_dword v68, off, s[20:23], 0 offset:364 ; 4-byte Folded Reload
	s_waitcnt lgkmcnt(0)
	v_mul_f64 v[103:104], v[101:102], v[105:106]
	v_fma_f64 v[103:104], v[99:100], v[97:98], -v[103:104]
	v_mul_f64 v[99:100], v[99:100], v[105:106]
	v_fma_f64 v[99:100], v[101:102], v[97:98], v[99:100]
	s_waitcnt vmcnt(2)
	v_add_f64 v[65:66], v[65:66], -v[103:104]
	s_waitcnt vmcnt(0)
	v_add_f64 v[67:68], v[67:68], -v[99:100]
	buffer_store_dword v65, off, s[20:23], 0 offset:352 ; 4-byte Folded Spill
	s_nop 0
	buffer_store_dword v66, off, s[20:23], 0 offset:356 ; 4-byte Folded Spill
	buffer_store_dword v67, off, s[20:23], 0 offset:360 ; 4-byte Folded Spill
	buffer_store_dword v68, off, s[20:23], 0 offset:364 ; 4-byte Folded Spill
	ds_read2_b64 v[99:102], v125 offset0:50 offset1:51
	buffer_load_dword v65, off, s[20:23], 0 offset:336 ; 4-byte Folded Reload
	buffer_load_dword v66, off, s[20:23], 0 offset:340 ; 4-byte Folded Reload
	buffer_load_dword v67, off, s[20:23], 0 offset:344 ; 4-byte Folded Reload
	buffer_load_dword v68, off, s[20:23], 0 offset:348 ; 4-byte Folded Reload
	s_waitcnt lgkmcnt(0)
	v_mul_f64 v[103:104], v[101:102], v[105:106]
	v_fma_f64 v[103:104], v[99:100], v[97:98], -v[103:104]
	v_mul_f64 v[99:100], v[99:100], v[105:106]
	v_fma_f64 v[99:100], v[101:102], v[97:98], v[99:100]
	s_waitcnt vmcnt(2)
	v_add_f64 v[65:66], v[65:66], -v[103:104]
	s_waitcnt vmcnt(0)
	v_add_f64 v[67:68], v[67:68], -v[99:100]
	buffer_store_dword v65, off, s[20:23], 0 offset:336 ; 4-byte Folded Spill
	s_nop 0
	buffer_store_dword v66, off, s[20:23], 0 offset:340 ; 4-byte Folded Spill
	buffer_store_dword v67, off, s[20:23], 0 offset:344 ; 4-byte Folded Spill
	buffer_store_dword v68, off, s[20:23], 0 offset:348 ; 4-byte Folded Spill
	ds_read2_b64 v[99:102], v125 offset0:52 offset1:53
	buffer_load_dword v65, off, s[20:23], 0 offset:320 ; 4-byte Folded Reload
	buffer_load_dword v66, off, s[20:23], 0 offset:324 ; 4-byte Folded Reload
	buffer_load_dword v67, off, s[20:23], 0 offset:328 ; 4-byte Folded Reload
	buffer_load_dword v68, off, s[20:23], 0 offset:332 ; 4-byte Folded Reload
	s_waitcnt lgkmcnt(0)
	v_mul_f64 v[103:104], v[101:102], v[105:106]
	v_fma_f64 v[103:104], v[99:100], v[97:98], -v[103:104]
	v_mul_f64 v[99:100], v[99:100], v[105:106]
	v_fma_f64 v[99:100], v[101:102], v[97:98], v[99:100]
	s_waitcnt vmcnt(2)
	v_add_f64 v[65:66], v[65:66], -v[103:104]
	s_waitcnt vmcnt(0)
	v_add_f64 v[67:68], v[67:68], -v[99:100]
	buffer_store_dword v65, off, s[20:23], 0 offset:320 ; 4-byte Folded Spill
	s_nop 0
	buffer_store_dword v66, off, s[20:23], 0 offset:324 ; 4-byte Folded Spill
	buffer_store_dword v67, off, s[20:23], 0 offset:328 ; 4-byte Folded Spill
	buffer_store_dword v68, off, s[20:23], 0 offset:332 ; 4-byte Folded Spill
	ds_read2_b64 v[99:102], v125 offset0:54 offset1:55
	buffer_load_dword v65, off, s[20:23], 0 offset:304 ; 4-byte Folded Reload
	buffer_load_dword v66, off, s[20:23], 0 offset:308 ; 4-byte Folded Reload
	buffer_load_dword v67, off, s[20:23], 0 offset:312 ; 4-byte Folded Reload
	buffer_load_dword v68, off, s[20:23], 0 offset:316 ; 4-byte Folded Reload
	s_waitcnt lgkmcnt(0)
	v_mul_f64 v[103:104], v[101:102], v[105:106]
	v_fma_f64 v[103:104], v[99:100], v[97:98], -v[103:104]
	v_mul_f64 v[99:100], v[99:100], v[105:106]
	v_fma_f64 v[99:100], v[101:102], v[97:98], v[99:100]
	s_waitcnt vmcnt(2)
	v_add_f64 v[65:66], v[65:66], -v[103:104]
	s_waitcnt vmcnt(0)
	v_add_f64 v[67:68], v[67:68], -v[99:100]
	buffer_store_dword v65, off, s[20:23], 0 offset:304 ; 4-byte Folded Spill
	s_nop 0
	buffer_store_dword v66, off, s[20:23], 0 offset:308 ; 4-byte Folded Spill
	buffer_store_dword v67, off, s[20:23], 0 offset:312 ; 4-byte Folded Spill
	buffer_store_dword v68, off, s[20:23], 0 offset:316 ; 4-byte Folded Spill
	ds_read2_b64 v[99:102], v125 offset0:56 offset1:57
	buffer_load_dword v65, off, s[20:23], 0 offset:288 ; 4-byte Folded Reload
	buffer_load_dword v66, off, s[20:23], 0 offset:292 ; 4-byte Folded Reload
	buffer_load_dword v67, off, s[20:23], 0 offset:296 ; 4-byte Folded Reload
	buffer_load_dword v68, off, s[20:23], 0 offset:300 ; 4-byte Folded Reload
	s_waitcnt lgkmcnt(0)
	v_mul_f64 v[103:104], v[101:102], v[105:106]
	v_fma_f64 v[103:104], v[99:100], v[97:98], -v[103:104]
	v_mul_f64 v[99:100], v[99:100], v[105:106]
	v_fma_f64 v[99:100], v[101:102], v[97:98], v[99:100]
	s_waitcnt vmcnt(2)
	v_add_f64 v[65:66], v[65:66], -v[103:104]
	s_waitcnt vmcnt(0)
	v_add_f64 v[67:68], v[67:68], -v[99:100]
	buffer_store_dword v65, off, s[20:23], 0 offset:288 ; 4-byte Folded Spill
	s_nop 0
	buffer_store_dword v66, off, s[20:23], 0 offset:292 ; 4-byte Folded Spill
	buffer_store_dword v67, off, s[20:23], 0 offset:296 ; 4-byte Folded Spill
	buffer_store_dword v68, off, s[20:23], 0 offset:300 ; 4-byte Folded Spill
	ds_read2_b64 v[99:102], v125 offset0:58 offset1:59
	buffer_load_dword v65, off, s[20:23], 0 offset:272 ; 4-byte Folded Reload
	buffer_load_dword v66, off, s[20:23], 0 offset:276 ; 4-byte Folded Reload
	buffer_load_dword v67, off, s[20:23], 0 offset:280 ; 4-byte Folded Reload
	buffer_load_dword v68, off, s[20:23], 0 offset:284 ; 4-byte Folded Reload
	s_waitcnt lgkmcnt(0)
	v_mul_f64 v[103:104], v[101:102], v[105:106]
	v_fma_f64 v[103:104], v[99:100], v[97:98], -v[103:104]
	v_mul_f64 v[99:100], v[99:100], v[105:106]
	v_fma_f64 v[99:100], v[101:102], v[97:98], v[99:100]
	s_waitcnt vmcnt(2)
	v_add_f64 v[65:66], v[65:66], -v[103:104]
	s_waitcnt vmcnt(0)
	v_add_f64 v[67:68], v[67:68], -v[99:100]
	buffer_store_dword v65, off, s[20:23], 0 offset:272 ; 4-byte Folded Spill
	s_nop 0
	buffer_store_dword v66, off, s[20:23], 0 offset:276 ; 4-byte Folded Spill
	buffer_store_dword v67, off, s[20:23], 0 offset:280 ; 4-byte Folded Spill
	buffer_store_dword v68, off, s[20:23], 0 offset:284 ; 4-byte Folded Spill
	ds_read2_b64 v[99:102], v125 offset0:60 offset1:61
	buffer_load_dword v65, off, s[20:23], 0 offset:256 ; 4-byte Folded Reload
	buffer_load_dword v66, off, s[20:23], 0 offset:260 ; 4-byte Folded Reload
	buffer_load_dword v67, off, s[20:23], 0 offset:264 ; 4-byte Folded Reload
	buffer_load_dword v68, off, s[20:23], 0 offset:268 ; 4-byte Folded Reload
	s_waitcnt lgkmcnt(0)
	v_mul_f64 v[103:104], v[101:102], v[105:106]
	v_fma_f64 v[103:104], v[99:100], v[97:98], -v[103:104]
	v_mul_f64 v[99:100], v[99:100], v[105:106]
	v_fma_f64 v[99:100], v[101:102], v[97:98], v[99:100]
	s_waitcnt vmcnt(2)
	v_add_f64 v[65:66], v[65:66], -v[103:104]
	s_waitcnt vmcnt(0)
	v_add_f64 v[67:68], v[67:68], -v[99:100]
	buffer_store_dword v65, off, s[20:23], 0 offset:256 ; 4-byte Folded Spill
	s_nop 0
	buffer_store_dword v66, off, s[20:23], 0 offset:260 ; 4-byte Folded Spill
	buffer_store_dword v67, off, s[20:23], 0 offset:264 ; 4-byte Folded Spill
	buffer_store_dword v68, off, s[20:23], 0 offset:268 ; 4-byte Folded Spill
	ds_read2_b64 v[99:102], v125 offset0:62 offset1:63
	buffer_load_dword v65, off, s[20:23], 0 offset:240 ; 4-byte Folded Reload
	buffer_load_dword v66, off, s[20:23], 0 offset:244 ; 4-byte Folded Reload
	buffer_load_dword v67, off, s[20:23], 0 offset:248 ; 4-byte Folded Reload
	buffer_load_dword v68, off, s[20:23], 0 offset:252 ; 4-byte Folded Reload
	s_waitcnt lgkmcnt(0)
	v_mul_f64 v[103:104], v[101:102], v[105:106]
	v_fma_f64 v[103:104], v[99:100], v[97:98], -v[103:104]
	v_mul_f64 v[99:100], v[99:100], v[105:106]
	v_fma_f64 v[99:100], v[101:102], v[97:98], v[99:100]
	s_waitcnt vmcnt(2)
	v_add_f64 v[65:66], v[65:66], -v[103:104]
	s_waitcnt vmcnt(0)
	v_add_f64 v[67:68], v[67:68], -v[99:100]
	buffer_store_dword v65, off, s[20:23], 0 offset:240 ; 4-byte Folded Spill
	s_nop 0
	buffer_store_dword v66, off, s[20:23], 0 offset:244 ; 4-byte Folded Spill
	buffer_store_dword v67, off, s[20:23], 0 offset:248 ; 4-byte Folded Spill
	buffer_store_dword v68, off, s[20:23], 0 offset:252 ; 4-byte Folded Spill
	ds_read2_b64 v[99:102], v125 offset0:64 offset1:65
	buffer_load_dword v65, off, s[20:23], 0 offset:224 ; 4-byte Folded Reload
	buffer_load_dword v66, off, s[20:23], 0 offset:228 ; 4-byte Folded Reload
	buffer_load_dword v67, off, s[20:23], 0 offset:232 ; 4-byte Folded Reload
	buffer_load_dword v68, off, s[20:23], 0 offset:236 ; 4-byte Folded Reload
	s_waitcnt lgkmcnt(0)
	v_mul_f64 v[103:104], v[101:102], v[105:106]
	v_fma_f64 v[103:104], v[99:100], v[97:98], -v[103:104]
	v_mul_f64 v[99:100], v[99:100], v[105:106]
	v_fma_f64 v[99:100], v[101:102], v[97:98], v[99:100]
	s_waitcnt vmcnt(2)
	v_add_f64 v[65:66], v[65:66], -v[103:104]
	s_waitcnt vmcnt(0)
	v_add_f64 v[67:68], v[67:68], -v[99:100]
	buffer_store_dword v65, off, s[20:23], 0 offset:224 ; 4-byte Folded Spill
	s_nop 0
	buffer_store_dword v66, off, s[20:23], 0 offset:228 ; 4-byte Folded Spill
	buffer_store_dword v67, off, s[20:23], 0 offset:232 ; 4-byte Folded Spill
	buffer_store_dword v68, off, s[20:23], 0 offset:236 ; 4-byte Folded Spill
	ds_read2_b64 v[99:102], v125 offset0:66 offset1:67
	buffer_load_dword v65, off, s[20:23], 0 offset:208 ; 4-byte Folded Reload
	buffer_load_dword v66, off, s[20:23], 0 offset:212 ; 4-byte Folded Reload
	buffer_load_dword v67, off, s[20:23], 0 offset:216 ; 4-byte Folded Reload
	buffer_load_dword v68, off, s[20:23], 0 offset:220 ; 4-byte Folded Reload
	s_waitcnt lgkmcnt(0)
	v_mul_f64 v[103:104], v[101:102], v[105:106]
	v_fma_f64 v[103:104], v[99:100], v[97:98], -v[103:104]
	v_mul_f64 v[99:100], v[99:100], v[105:106]
	v_fma_f64 v[99:100], v[101:102], v[97:98], v[99:100]
	s_waitcnt vmcnt(2)
	v_add_f64 v[65:66], v[65:66], -v[103:104]
	s_waitcnt vmcnt(0)
	v_add_f64 v[67:68], v[67:68], -v[99:100]
	buffer_store_dword v65, off, s[20:23], 0 offset:208 ; 4-byte Folded Spill
	s_nop 0
	buffer_store_dword v66, off, s[20:23], 0 offset:212 ; 4-byte Folded Spill
	buffer_store_dword v67, off, s[20:23], 0 offset:216 ; 4-byte Folded Spill
	buffer_store_dword v68, off, s[20:23], 0 offset:220 ; 4-byte Folded Spill
	ds_read2_b64 v[99:102], v125 offset0:68 offset1:69
	buffer_load_dword v65, off, s[20:23], 0 offset:192 ; 4-byte Folded Reload
	buffer_load_dword v66, off, s[20:23], 0 offset:196 ; 4-byte Folded Reload
	buffer_load_dword v67, off, s[20:23], 0 offset:200 ; 4-byte Folded Reload
	buffer_load_dword v68, off, s[20:23], 0 offset:204 ; 4-byte Folded Reload
	s_waitcnt lgkmcnt(0)
	v_mul_f64 v[103:104], v[101:102], v[105:106]
	v_fma_f64 v[103:104], v[99:100], v[97:98], -v[103:104]
	v_mul_f64 v[99:100], v[99:100], v[105:106]
	v_fma_f64 v[99:100], v[101:102], v[97:98], v[99:100]
	s_waitcnt vmcnt(2)
	v_add_f64 v[65:66], v[65:66], -v[103:104]
	s_waitcnt vmcnt(0)
	v_add_f64 v[67:68], v[67:68], -v[99:100]
	buffer_store_dword v65, off, s[20:23], 0 offset:192 ; 4-byte Folded Spill
	s_nop 0
	buffer_store_dword v66, off, s[20:23], 0 offset:196 ; 4-byte Folded Spill
	buffer_store_dword v67, off, s[20:23], 0 offset:200 ; 4-byte Folded Spill
	buffer_store_dword v68, off, s[20:23], 0 offset:204 ; 4-byte Folded Spill
	ds_read2_b64 v[99:102], v125 offset0:70 offset1:71
	s_waitcnt lgkmcnt(0)
	v_mul_f64 v[103:104], v[101:102], v[105:106]
	v_fma_f64 v[103:104], v[99:100], v[97:98], -v[103:104]
	v_mul_f64 v[99:100], v[99:100], v[105:106]
	v_add_f64 v[93:94], v[93:94], -v[103:104]
	v_fma_f64 v[99:100], v[101:102], v[97:98], v[99:100]
	v_add_f64 v[95:96], v[95:96], -v[99:100]
	ds_read2_b64 v[99:102], v125 offset0:72 offset1:73
	buffer_load_dword v41, off, s[20:23], 0 offset:176 ; 4-byte Folded Reload
	buffer_load_dword v42, off, s[20:23], 0 offset:180 ; 4-byte Folded Reload
	buffer_load_dword v43, off, s[20:23], 0 offset:184 ; 4-byte Folded Reload
	buffer_load_dword v44, off, s[20:23], 0 offset:188 ; 4-byte Folded Reload
	s_waitcnt lgkmcnt(0)
	v_mul_f64 v[103:104], v[101:102], v[105:106]
	v_fma_f64 v[103:104], v[99:100], v[97:98], -v[103:104]
	v_mul_f64 v[99:100], v[99:100], v[105:106]
	v_fma_f64 v[99:100], v[101:102], v[97:98], v[99:100]
	s_waitcnt vmcnt(2)
	v_add_f64 v[41:42], v[41:42], -v[103:104]
	s_waitcnt vmcnt(0)
	v_add_f64 v[43:44], v[43:44], -v[99:100]
	buffer_store_dword v41, off, s[20:23], 0 offset:176 ; 4-byte Folded Spill
	s_nop 0
	buffer_store_dword v42, off, s[20:23], 0 offset:180 ; 4-byte Folded Spill
	buffer_store_dword v43, off, s[20:23], 0 offset:184 ; 4-byte Folded Spill
	buffer_store_dword v44, off, s[20:23], 0 offset:188 ; 4-byte Folded Spill
	ds_read2_b64 v[99:102], v125 offset0:74 offset1:75
	buffer_load_dword v65, off, s[20:23], 0 offset:160 ; 4-byte Folded Reload
	buffer_load_dword v66, off, s[20:23], 0 offset:164 ; 4-byte Folded Reload
	buffer_load_dword v67, off, s[20:23], 0 offset:168 ; 4-byte Folded Reload
	buffer_load_dword v68, off, s[20:23], 0 offset:172 ; 4-byte Folded Reload
	s_waitcnt lgkmcnt(0)
	v_mul_f64 v[103:104], v[101:102], v[105:106]
	v_fma_f64 v[103:104], v[99:100], v[97:98], -v[103:104]
	v_mul_f64 v[99:100], v[99:100], v[105:106]
	v_fma_f64 v[99:100], v[101:102], v[97:98], v[99:100]
	s_waitcnt vmcnt(2)
	v_add_f64 v[65:66], v[65:66], -v[103:104]
	s_waitcnt vmcnt(0)
	v_add_f64 v[67:68], v[67:68], -v[99:100]
	buffer_store_dword v65, off, s[20:23], 0 offset:160 ; 4-byte Folded Spill
	s_nop 0
	buffer_store_dword v66, off, s[20:23], 0 offset:164 ; 4-byte Folded Spill
	buffer_store_dword v67, off, s[20:23], 0 offset:168 ; 4-byte Folded Spill
	buffer_store_dword v68, off, s[20:23], 0 offset:172 ; 4-byte Folded Spill
	;; [unrolled: 19-line block ×11, first 2 shown]
	ds_read2_b64 v[99:102], v125 offset0:94 offset1:95
	buffer_load_dword v45, off, s[20:23], 0 ; 4-byte Folded Reload
	buffer_load_dword v46, off, s[20:23], 0 offset:4 ; 4-byte Folded Reload
	buffer_load_dword v47, off, s[20:23], 0 offset:8 ; 4-byte Folded Reload
	;; [unrolled: 1-line block ×3, first 2 shown]
	s_waitcnt lgkmcnt(0)
	v_mul_f64 v[103:104], v[101:102], v[105:106]
	v_fma_f64 v[103:104], v[99:100], v[97:98], -v[103:104]
	v_mul_f64 v[99:100], v[99:100], v[105:106]
	v_fma_f64 v[99:100], v[101:102], v[97:98], v[99:100]
	s_waitcnt vmcnt(2)
	v_add_f64 v[45:46], v[45:46], -v[103:104]
	s_waitcnt vmcnt(0)
	v_add_f64 v[47:48], v[47:48], -v[99:100]
	buffer_store_dword v45, off, s[20:23], 0 ; 4-byte Folded Spill
	s_nop 0
	buffer_store_dword v46, off, s[20:23], 0 offset:4 ; 4-byte Folded Spill
	buffer_store_dword v47, off, s[20:23], 0 offset:8 ; 4-byte Folded Spill
	;; [unrolled: 1-line block ×3, first 2 shown]
	ds_read2_b64 v[99:102], v125 offset0:96 offset1:97
	s_waitcnt lgkmcnt(0)
	v_mul_f64 v[103:104], v[101:102], v[105:106]
	v_fma_f64 v[103:104], v[99:100], v[97:98], -v[103:104]
	v_mul_f64 v[99:100], v[99:100], v[105:106]
	v_add_f64 v[113:114], v[113:114], -v[103:104]
	v_fma_f64 v[99:100], v[101:102], v[97:98], v[99:100]
	v_add_f64 v[115:116], v[115:116], -v[99:100]
	ds_read2_b64 v[99:102], v125 offset0:98 offset1:99
	s_waitcnt lgkmcnt(0)
	v_mul_f64 v[103:104], v[101:102], v[105:106]
	v_fma_f64 v[103:104], v[99:100], v[97:98], -v[103:104]
	v_mul_f64 v[99:100], v[99:100], v[105:106]
	v_add_f64 v[37:38], v[37:38], -v[103:104]
	v_fma_f64 v[99:100], v[101:102], v[97:98], v[99:100]
	v_add_f64 v[39:40], v[39:40], -v[99:100]
	;; [unrolled: 8-line block ×10, first 2 shown]
	ds_read2_b64 v[99:102], v125 offset0:116 offset1:117
	s_waitcnt lgkmcnt(0)
	v_mul_f64 v[103:104], v[101:102], v[105:106]
	v_fma_f64 v[103:104], v[99:100], v[97:98], -v[103:104]
	v_mul_f64 v[99:100], v[99:100], v[105:106]
	v_add_f64 v[1:2], v[1:2], -v[103:104]
	v_fma_f64 v[99:100], v[101:102], v[97:98], v[99:100]
	ds_read2_b64 v[101:104], v125 offset0:118 offset1:119
	v_add_f64 v[3:4], v[3:4], -v[99:100]
	s_waitcnt lgkmcnt(0)
	v_mul_f64 v[99:100], v[103:104], v[105:106]
	v_fma_f64 v[99:100], v[101:102], v[97:98], -v[99:100]
	v_mul_f64 v[101:102], v[101:102], v[105:106]
	v_add_f64 v[121:122], v[121:122], -v[99:100]
	v_fma_f64 v[101:102], v[103:104], v[97:98], v[101:102]
	v_mov_b32_e32 v104, v98
	v_mov_b32_e32 v103, v97
	buffer_store_dword v103, off, s[20:23], 0 offset:512 ; 4-byte Folded Spill
	s_nop 0
	buffer_store_dword v104, off, s[20:23], 0 offset:516 ; 4-byte Folded Spill
	buffer_store_dword v105, off, s[20:23], 0 offset:520 ; 4-byte Folded Spill
	;; [unrolled: 1-line block ×3, first 2 shown]
	v_add_f64 v[123:124], v[123:124], -v[101:102]
.LBB119_136:
	s_or_b64 exec, exec, s[2:3]
	v_cmp_eq_u32_e32 vcc, 15, v0
	s_waitcnt vmcnt(0)
	s_barrier
	s_and_saveexec_b64 s[4:5], vcc
	s_cbranch_execz .LBB119_143
; %bb.137:
	buffer_load_dword v65, off, s[20:23], 0 offset:496 ; 4-byte Folded Reload
	buffer_load_dword v66, off, s[20:23], 0 offset:500 ; 4-byte Folded Reload
	;; [unrolled: 1-line block ×4, first 2 shown]
	s_waitcnt vmcnt(0)
	ds_write2_b64 v127, v[65:66], v[67:68] offset1:1
	buffer_load_dword v65, off, s[20:23], 0 offset:480 ; 4-byte Folded Reload
	buffer_load_dword v66, off, s[20:23], 0 offset:484 ; 4-byte Folded Reload
	buffer_load_dword v67, off, s[20:23], 0 offset:488 ; 4-byte Folded Reload
	buffer_load_dword v68, off, s[20:23], 0 offset:492 ; 4-byte Folded Reload
	s_waitcnt vmcnt(0)
	ds_write2_b64 v125, v[65:66], v[67:68] offset0:32 offset1:33
	buffer_load_dword v65, off, s[20:23], 0 offset:464 ; 4-byte Folded Reload
	buffer_load_dword v66, off, s[20:23], 0 offset:468 ; 4-byte Folded Reload
	buffer_load_dword v67, off, s[20:23], 0 offset:472 ; 4-byte Folded Reload
	buffer_load_dword v68, off, s[20:23], 0 offset:476 ; 4-byte Folded Reload
	s_waitcnt vmcnt(0)
	ds_write2_b64 v125, v[65:66], v[67:68] offset0:34 offset1:35
	;; [unrolled: 6-line block ×19, first 2 shown]
	ds_write2_b64 v125, v[93:94], v[95:96] offset0:70 offset1:71
	buffer_load_dword v41, off, s[20:23], 0 offset:176 ; 4-byte Folded Reload
	buffer_load_dword v42, off, s[20:23], 0 offset:180 ; 4-byte Folded Reload
	buffer_load_dword v43, off, s[20:23], 0 offset:184 ; 4-byte Folded Reload
	buffer_load_dword v44, off, s[20:23], 0 offset:188 ; 4-byte Folded Reload
	s_waitcnt vmcnt(0)
	ds_write2_b64 v125, v[41:42], v[43:44] offset0:72 offset1:73
	buffer_load_dword v65, off, s[20:23], 0 offset:160 ; 4-byte Folded Reload
	buffer_load_dword v66, off, s[20:23], 0 offset:164 ; 4-byte Folded Reload
	buffer_load_dword v67, off, s[20:23], 0 offset:168 ; 4-byte Folded Reload
	buffer_load_dword v68, off, s[20:23], 0 offset:172 ; 4-byte Folded Reload
	s_waitcnt vmcnt(0)
	;; [unrolled: 6-line block ×11, first 2 shown]
	ds_write2_b64 v125, v[49:50], v[51:52] offset0:92 offset1:93
	buffer_load_dword v45, off, s[20:23], 0 ; 4-byte Folded Reload
	buffer_load_dword v46, off, s[20:23], 0 offset:4 ; 4-byte Folded Reload
	buffer_load_dword v47, off, s[20:23], 0 offset:8 ; 4-byte Folded Reload
	buffer_load_dword v48, off, s[20:23], 0 offset:12 ; 4-byte Folded Reload
	s_waitcnt vmcnt(0)
	ds_write2_b64 v125, v[45:46], v[47:48] offset0:94 offset1:95
	ds_write2_b64 v125, v[113:114], v[115:116] offset0:96 offset1:97
	;; [unrolled: 1-line block ×13, first 2 shown]
	ds_read2_b64 v[97:100], v127 offset1:1
	s_waitcnt lgkmcnt(0)
	v_cmp_neq_f64_e32 vcc, 0, v[97:98]
	v_cmp_neq_f64_e64 s[2:3], 0, v[99:100]
	s_or_b64 s[2:3], vcc, s[2:3]
	s_and_b64 exec, exec, s[2:3]
	s_cbranch_execz .LBB119_143
; %bb.138:
	v_cmp_ngt_f64_e64 s[2:3], |v[97:98]|, |v[99:100]|
                                        ; implicit-def: $vgpr101_vgpr102
	s_and_saveexec_b64 s[6:7], s[2:3]
	s_xor_b64 s[2:3], exec, s[6:7]
                                        ; implicit-def: $vgpr103_vgpr104
	s_cbranch_execz .LBB119_140
; %bb.139:
	v_div_scale_f64 v[101:102], s[6:7], v[99:100], v[99:100], v[97:98]
	v_rcp_f64_e32 v[103:104], v[101:102]
	v_fma_f64 v[105:106], -v[101:102], v[103:104], 1.0
	v_fma_f64 v[103:104], v[103:104], v[105:106], v[103:104]
	v_div_scale_f64 v[105:106], vcc, v[97:98], v[99:100], v[97:98]
	v_fma_f64 v[107:108], -v[101:102], v[103:104], 1.0
	v_fma_f64 v[103:104], v[103:104], v[107:108], v[103:104]
	v_mul_f64 v[107:108], v[105:106], v[103:104]
	v_fma_f64 v[101:102], -v[101:102], v[107:108], v[105:106]
	v_div_fmas_f64 v[101:102], v[101:102], v[103:104], v[107:108]
	v_div_fixup_f64 v[101:102], v[101:102], v[99:100], v[97:98]
	v_fma_f64 v[97:98], v[97:98], v[101:102], v[99:100]
	v_div_scale_f64 v[99:100], s[6:7], v[97:98], v[97:98], 1.0
	v_div_scale_f64 v[107:108], vcc, 1.0, v[97:98], 1.0
	v_rcp_f64_e32 v[103:104], v[99:100]
	v_fma_f64 v[105:106], -v[99:100], v[103:104], 1.0
	v_fma_f64 v[103:104], v[103:104], v[105:106], v[103:104]
	v_fma_f64 v[105:106], -v[99:100], v[103:104], 1.0
	v_fma_f64 v[103:104], v[103:104], v[105:106], v[103:104]
	v_mul_f64 v[105:106], v[107:108], v[103:104]
	v_fma_f64 v[99:100], -v[99:100], v[105:106], v[107:108]
	v_div_fmas_f64 v[99:100], v[99:100], v[103:104], v[105:106]
	v_div_fixup_f64 v[103:104], v[99:100], v[97:98], 1.0
                                        ; implicit-def: $vgpr97_vgpr98
	v_mul_f64 v[101:102], v[101:102], v[103:104]
	v_xor_b32_e32 v104, 0x80000000, v104
.LBB119_140:
	s_andn2_saveexec_b64 s[2:3], s[2:3]
	s_cbranch_execz .LBB119_142
; %bb.141:
	v_div_scale_f64 v[101:102], s[6:7], v[97:98], v[97:98], v[99:100]
	v_rcp_f64_e32 v[103:104], v[101:102]
	v_fma_f64 v[105:106], -v[101:102], v[103:104], 1.0
	v_fma_f64 v[103:104], v[103:104], v[105:106], v[103:104]
	v_div_scale_f64 v[105:106], vcc, v[99:100], v[97:98], v[99:100]
	v_fma_f64 v[107:108], -v[101:102], v[103:104], 1.0
	v_fma_f64 v[103:104], v[103:104], v[107:108], v[103:104]
	v_mul_f64 v[107:108], v[105:106], v[103:104]
	v_fma_f64 v[101:102], -v[101:102], v[107:108], v[105:106]
	v_div_fmas_f64 v[101:102], v[101:102], v[103:104], v[107:108]
	v_div_fixup_f64 v[103:104], v[101:102], v[97:98], v[99:100]
	v_fma_f64 v[97:98], v[99:100], v[103:104], v[97:98]
	v_div_scale_f64 v[99:100], s[6:7], v[97:98], v[97:98], 1.0
	v_div_scale_f64 v[107:108], vcc, 1.0, v[97:98], 1.0
	v_rcp_f64_e32 v[101:102], v[99:100]
	v_fma_f64 v[105:106], -v[99:100], v[101:102], 1.0
	v_fma_f64 v[101:102], v[101:102], v[105:106], v[101:102]
	v_fma_f64 v[105:106], -v[99:100], v[101:102], 1.0
	v_fma_f64 v[101:102], v[101:102], v[105:106], v[101:102]
	v_mul_f64 v[105:106], v[107:108], v[101:102]
	v_fma_f64 v[99:100], -v[99:100], v[105:106], v[107:108]
	v_div_fmas_f64 v[99:100], v[99:100], v[101:102], v[105:106]
	v_div_fixup_f64 v[101:102], v[99:100], v[97:98], 1.0
	v_mul_f64 v[103:104], v[103:104], -v[101:102]
.LBB119_142:
	s_or_b64 exec, exec, s[2:3]
	ds_write2_b64 v127, v[101:102], v[103:104] offset1:1
.LBB119_143:
	s_or_b64 exec, exec, s[4:5]
	s_waitcnt lgkmcnt(0)
	s_barrier
	ds_read2_b64 v[65:68], v127 offset1:1
	v_cmp_lt_u32_e32 vcc, 15, v0
	s_waitcnt lgkmcnt(0)
	buffer_store_dword v65, off, s[20:23], 0 offset:1464 ; 4-byte Folded Spill
	s_nop 0
	buffer_store_dword v66, off, s[20:23], 0 offset:1468 ; 4-byte Folded Spill
	buffer_store_dword v67, off, s[20:23], 0 offset:1472 ; 4-byte Folded Spill
	;; [unrolled: 1-line block ×3, first 2 shown]
	s_and_saveexec_b64 s[2:3], vcc
	s_cbranch_execz .LBB119_145
; %bb.144:
	buffer_load_dword v103, off, s[20:23], 0 offset:496 ; 4-byte Folded Reload
	buffer_load_dword v104, off, s[20:23], 0 offset:500 ; 4-byte Folded Reload
	;; [unrolled: 1-line block ×8, first 2 shown]
	s_waitcnt vmcnt(2)
	v_mul_f64 v[99:100], v[65:66], v[105:106]
	s_waitcnt vmcnt(0)
	v_mul_f64 v[97:98], v[67:68], v[105:106]
	v_fma_f64 v[105:106], v[67:68], v[103:104], v[99:100]
	ds_read2_b64 v[99:102], v125 offset0:32 offset1:33
	v_fma_f64 v[97:98], v[65:66], v[103:104], -v[97:98]
	buffer_load_dword v65, off, s[20:23], 0 offset:480 ; 4-byte Folded Reload
	buffer_load_dword v66, off, s[20:23], 0 offset:484 ; 4-byte Folded Reload
	buffer_load_dword v67, off, s[20:23], 0 offset:488 ; 4-byte Folded Reload
	buffer_load_dword v68, off, s[20:23], 0 offset:492 ; 4-byte Folded Reload
	s_waitcnt lgkmcnt(0)
	v_mul_f64 v[103:104], v[101:102], v[105:106]
	v_fma_f64 v[103:104], v[99:100], v[97:98], -v[103:104]
	v_mul_f64 v[99:100], v[99:100], v[105:106]
	v_fma_f64 v[99:100], v[101:102], v[97:98], v[99:100]
	s_waitcnt vmcnt(2)
	v_add_f64 v[65:66], v[65:66], -v[103:104]
	s_waitcnt vmcnt(0)
	v_add_f64 v[67:68], v[67:68], -v[99:100]
	buffer_store_dword v65, off, s[20:23], 0 offset:480 ; 4-byte Folded Spill
	s_nop 0
	buffer_store_dword v66, off, s[20:23], 0 offset:484 ; 4-byte Folded Spill
	buffer_store_dword v67, off, s[20:23], 0 offset:488 ; 4-byte Folded Spill
	buffer_store_dword v68, off, s[20:23], 0 offset:492 ; 4-byte Folded Spill
	ds_read2_b64 v[99:102], v125 offset0:34 offset1:35
	buffer_load_dword v65, off, s[20:23], 0 offset:464 ; 4-byte Folded Reload
	buffer_load_dword v66, off, s[20:23], 0 offset:468 ; 4-byte Folded Reload
	buffer_load_dword v67, off, s[20:23], 0 offset:472 ; 4-byte Folded Reload
	buffer_load_dword v68, off, s[20:23], 0 offset:476 ; 4-byte Folded Reload
	s_waitcnt lgkmcnt(0)
	v_mul_f64 v[103:104], v[101:102], v[105:106]
	v_fma_f64 v[103:104], v[99:100], v[97:98], -v[103:104]
	v_mul_f64 v[99:100], v[99:100], v[105:106]
	v_fma_f64 v[99:100], v[101:102], v[97:98], v[99:100]
	s_waitcnt vmcnt(2)
	v_add_f64 v[65:66], v[65:66], -v[103:104]
	s_waitcnt vmcnt(0)
	v_add_f64 v[67:68], v[67:68], -v[99:100]
	buffer_store_dword v65, off, s[20:23], 0 offset:464 ; 4-byte Folded Spill
	s_nop 0
	buffer_store_dword v66, off, s[20:23], 0 offset:468 ; 4-byte Folded Spill
	buffer_store_dword v67, off, s[20:23], 0 offset:472 ; 4-byte Folded Spill
	buffer_store_dword v68, off, s[20:23], 0 offset:476 ; 4-byte Folded Spill
	ds_read2_b64 v[99:102], v125 offset0:36 offset1:37
	;; [unrolled: 19-line block ×19, first 2 shown]
	s_waitcnt lgkmcnt(0)
	v_mul_f64 v[103:104], v[101:102], v[105:106]
	v_fma_f64 v[103:104], v[99:100], v[97:98], -v[103:104]
	v_mul_f64 v[99:100], v[99:100], v[105:106]
	v_add_f64 v[93:94], v[93:94], -v[103:104]
	v_fma_f64 v[99:100], v[101:102], v[97:98], v[99:100]
	v_add_f64 v[95:96], v[95:96], -v[99:100]
	ds_read2_b64 v[99:102], v125 offset0:72 offset1:73
	buffer_load_dword v41, off, s[20:23], 0 offset:176 ; 4-byte Folded Reload
	buffer_load_dword v42, off, s[20:23], 0 offset:180 ; 4-byte Folded Reload
	buffer_load_dword v43, off, s[20:23], 0 offset:184 ; 4-byte Folded Reload
	buffer_load_dword v44, off, s[20:23], 0 offset:188 ; 4-byte Folded Reload
	s_waitcnt lgkmcnt(0)
	v_mul_f64 v[103:104], v[101:102], v[105:106]
	v_fma_f64 v[103:104], v[99:100], v[97:98], -v[103:104]
	v_mul_f64 v[99:100], v[99:100], v[105:106]
	v_fma_f64 v[99:100], v[101:102], v[97:98], v[99:100]
	s_waitcnt vmcnt(2)
	v_add_f64 v[41:42], v[41:42], -v[103:104]
	s_waitcnt vmcnt(0)
	v_add_f64 v[43:44], v[43:44], -v[99:100]
	buffer_store_dword v41, off, s[20:23], 0 offset:176 ; 4-byte Folded Spill
	s_nop 0
	buffer_store_dword v42, off, s[20:23], 0 offset:180 ; 4-byte Folded Spill
	buffer_store_dword v43, off, s[20:23], 0 offset:184 ; 4-byte Folded Spill
	buffer_store_dword v44, off, s[20:23], 0 offset:188 ; 4-byte Folded Spill
	ds_read2_b64 v[99:102], v125 offset0:74 offset1:75
	buffer_load_dword v65, off, s[20:23], 0 offset:160 ; 4-byte Folded Reload
	buffer_load_dword v66, off, s[20:23], 0 offset:164 ; 4-byte Folded Reload
	buffer_load_dword v67, off, s[20:23], 0 offset:168 ; 4-byte Folded Reload
	buffer_load_dword v68, off, s[20:23], 0 offset:172 ; 4-byte Folded Reload
	s_waitcnt lgkmcnt(0)
	v_mul_f64 v[103:104], v[101:102], v[105:106]
	v_fma_f64 v[103:104], v[99:100], v[97:98], -v[103:104]
	v_mul_f64 v[99:100], v[99:100], v[105:106]
	v_fma_f64 v[99:100], v[101:102], v[97:98], v[99:100]
	s_waitcnt vmcnt(2)
	v_add_f64 v[65:66], v[65:66], -v[103:104]
	s_waitcnt vmcnt(0)
	v_add_f64 v[67:68], v[67:68], -v[99:100]
	buffer_store_dword v65, off, s[20:23], 0 offset:160 ; 4-byte Folded Spill
	s_nop 0
	buffer_store_dword v66, off, s[20:23], 0 offset:164 ; 4-byte Folded Spill
	buffer_store_dword v67, off, s[20:23], 0 offset:168 ; 4-byte Folded Spill
	buffer_store_dword v68, off, s[20:23], 0 offset:172 ; 4-byte Folded Spill
	;; [unrolled: 19-line block ×11, first 2 shown]
	ds_read2_b64 v[99:102], v125 offset0:94 offset1:95
	buffer_load_dword v45, off, s[20:23], 0 ; 4-byte Folded Reload
	buffer_load_dword v46, off, s[20:23], 0 offset:4 ; 4-byte Folded Reload
	buffer_load_dword v47, off, s[20:23], 0 offset:8 ; 4-byte Folded Reload
	;; [unrolled: 1-line block ×3, first 2 shown]
	s_waitcnt lgkmcnt(0)
	v_mul_f64 v[103:104], v[101:102], v[105:106]
	v_fma_f64 v[103:104], v[99:100], v[97:98], -v[103:104]
	v_mul_f64 v[99:100], v[99:100], v[105:106]
	v_fma_f64 v[99:100], v[101:102], v[97:98], v[99:100]
	s_waitcnt vmcnt(2)
	v_add_f64 v[45:46], v[45:46], -v[103:104]
	s_waitcnt vmcnt(0)
	v_add_f64 v[47:48], v[47:48], -v[99:100]
	buffer_store_dword v45, off, s[20:23], 0 ; 4-byte Folded Spill
	s_nop 0
	buffer_store_dword v46, off, s[20:23], 0 offset:4 ; 4-byte Folded Spill
	buffer_store_dword v47, off, s[20:23], 0 offset:8 ; 4-byte Folded Spill
	;; [unrolled: 1-line block ×3, first 2 shown]
	ds_read2_b64 v[99:102], v125 offset0:96 offset1:97
	s_waitcnt lgkmcnt(0)
	v_mul_f64 v[103:104], v[101:102], v[105:106]
	v_fma_f64 v[103:104], v[99:100], v[97:98], -v[103:104]
	v_mul_f64 v[99:100], v[99:100], v[105:106]
	v_add_f64 v[113:114], v[113:114], -v[103:104]
	v_fma_f64 v[99:100], v[101:102], v[97:98], v[99:100]
	v_add_f64 v[115:116], v[115:116], -v[99:100]
	ds_read2_b64 v[99:102], v125 offset0:98 offset1:99
	s_waitcnt lgkmcnt(0)
	v_mul_f64 v[103:104], v[101:102], v[105:106]
	v_fma_f64 v[103:104], v[99:100], v[97:98], -v[103:104]
	v_mul_f64 v[99:100], v[99:100], v[105:106]
	v_add_f64 v[37:38], v[37:38], -v[103:104]
	v_fma_f64 v[99:100], v[101:102], v[97:98], v[99:100]
	v_add_f64 v[39:40], v[39:40], -v[99:100]
	;; [unrolled: 8-line block ×10, first 2 shown]
	ds_read2_b64 v[99:102], v125 offset0:116 offset1:117
	s_waitcnt lgkmcnt(0)
	v_mul_f64 v[103:104], v[101:102], v[105:106]
	v_fma_f64 v[103:104], v[99:100], v[97:98], -v[103:104]
	v_mul_f64 v[99:100], v[99:100], v[105:106]
	v_add_f64 v[1:2], v[1:2], -v[103:104]
	v_fma_f64 v[99:100], v[101:102], v[97:98], v[99:100]
	ds_read2_b64 v[101:104], v125 offset0:118 offset1:119
	v_add_f64 v[3:4], v[3:4], -v[99:100]
	s_waitcnt lgkmcnt(0)
	v_mul_f64 v[99:100], v[103:104], v[105:106]
	v_fma_f64 v[99:100], v[101:102], v[97:98], -v[99:100]
	v_mul_f64 v[101:102], v[101:102], v[105:106]
	v_add_f64 v[121:122], v[121:122], -v[99:100]
	v_fma_f64 v[101:102], v[103:104], v[97:98], v[101:102]
	v_mov_b32_e32 v104, v98
	v_mov_b32_e32 v103, v97
	buffer_store_dword v103, off, s[20:23], 0 offset:496 ; 4-byte Folded Spill
	s_nop 0
	buffer_store_dword v104, off, s[20:23], 0 offset:500 ; 4-byte Folded Spill
	buffer_store_dword v105, off, s[20:23], 0 offset:504 ; 4-byte Folded Spill
	;; [unrolled: 1-line block ×3, first 2 shown]
	v_add_f64 v[123:124], v[123:124], -v[101:102]
.LBB119_145:
	s_or_b64 exec, exec, s[2:3]
	v_cmp_eq_u32_e32 vcc, 16, v0
	s_waitcnt vmcnt(0)
	s_barrier
	s_and_saveexec_b64 s[4:5], vcc
	s_cbranch_execz .LBB119_152
; %bb.146:
	buffer_load_dword v65, off, s[20:23], 0 offset:480 ; 4-byte Folded Reload
	buffer_load_dword v66, off, s[20:23], 0 offset:484 ; 4-byte Folded Reload
	;; [unrolled: 1-line block ×4, first 2 shown]
	s_waitcnt vmcnt(0)
	ds_write2_b64 v127, v[65:66], v[67:68] offset1:1
	buffer_load_dword v65, off, s[20:23], 0 offset:464 ; 4-byte Folded Reload
	buffer_load_dword v66, off, s[20:23], 0 offset:468 ; 4-byte Folded Reload
	buffer_load_dword v67, off, s[20:23], 0 offset:472 ; 4-byte Folded Reload
	buffer_load_dword v68, off, s[20:23], 0 offset:476 ; 4-byte Folded Reload
	s_waitcnt vmcnt(0)
	ds_write2_b64 v125, v[65:66], v[67:68] offset0:34 offset1:35
	buffer_load_dword v65, off, s[20:23], 0 offset:448 ; 4-byte Folded Reload
	buffer_load_dword v66, off, s[20:23], 0 offset:452 ; 4-byte Folded Reload
	buffer_load_dword v67, off, s[20:23], 0 offset:456 ; 4-byte Folded Reload
	buffer_load_dword v68, off, s[20:23], 0 offset:460 ; 4-byte Folded Reload
	s_waitcnt vmcnt(0)
	ds_write2_b64 v125, v[65:66], v[67:68] offset0:36 offset1:37
	;; [unrolled: 6-line block ×18, first 2 shown]
	ds_write2_b64 v125, v[93:94], v[95:96] offset0:70 offset1:71
	buffer_load_dword v41, off, s[20:23], 0 offset:176 ; 4-byte Folded Reload
	buffer_load_dword v42, off, s[20:23], 0 offset:180 ; 4-byte Folded Reload
	buffer_load_dword v43, off, s[20:23], 0 offset:184 ; 4-byte Folded Reload
	buffer_load_dword v44, off, s[20:23], 0 offset:188 ; 4-byte Folded Reload
	s_waitcnt vmcnt(0)
	ds_write2_b64 v125, v[41:42], v[43:44] offset0:72 offset1:73
	buffer_load_dword v65, off, s[20:23], 0 offset:160 ; 4-byte Folded Reload
	buffer_load_dword v66, off, s[20:23], 0 offset:164 ; 4-byte Folded Reload
	buffer_load_dword v67, off, s[20:23], 0 offset:168 ; 4-byte Folded Reload
	buffer_load_dword v68, off, s[20:23], 0 offset:172 ; 4-byte Folded Reload
	s_waitcnt vmcnt(0)
	;; [unrolled: 6-line block ×11, first 2 shown]
	ds_write2_b64 v125, v[49:50], v[51:52] offset0:92 offset1:93
	buffer_load_dword v45, off, s[20:23], 0 ; 4-byte Folded Reload
	buffer_load_dword v46, off, s[20:23], 0 offset:4 ; 4-byte Folded Reload
	buffer_load_dword v47, off, s[20:23], 0 offset:8 ; 4-byte Folded Reload
	buffer_load_dword v48, off, s[20:23], 0 offset:12 ; 4-byte Folded Reload
	s_waitcnt vmcnt(0)
	ds_write2_b64 v125, v[45:46], v[47:48] offset0:94 offset1:95
	ds_write2_b64 v125, v[113:114], v[115:116] offset0:96 offset1:97
	;; [unrolled: 1-line block ×13, first 2 shown]
	ds_read2_b64 v[97:100], v127 offset1:1
	s_waitcnt lgkmcnt(0)
	v_cmp_neq_f64_e32 vcc, 0, v[97:98]
	v_cmp_neq_f64_e64 s[2:3], 0, v[99:100]
	s_or_b64 s[2:3], vcc, s[2:3]
	s_and_b64 exec, exec, s[2:3]
	s_cbranch_execz .LBB119_152
; %bb.147:
	v_cmp_ngt_f64_e64 s[2:3], |v[97:98]|, |v[99:100]|
                                        ; implicit-def: $vgpr101_vgpr102
	s_and_saveexec_b64 s[6:7], s[2:3]
	s_xor_b64 s[2:3], exec, s[6:7]
                                        ; implicit-def: $vgpr103_vgpr104
	s_cbranch_execz .LBB119_149
; %bb.148:
	v_div_scale_f64 v[101:102], s[6:7], v[99:100], v[99:100], v[97:98]
	v_rcp_f64_e32 v[103:104], v[101:102]
	v_fma_f64 v[105:106], -v[101:102], v[103:104], 1.0
	v_fma_f64 v[103:104], v[103:104], v[105:106], v[103:104]
	v_div_scale_f64 v[105:106], vcc, v[97:98], v[99:100], v[97:98]
	v_fma_f64 v[107:108], -v[101:102], v[103:104], 1.0
	v_fma_f64 v[103:104], v[103:104], v[107:108], v[103:104]
	v_mul_f64 v[107:108], v[105:106], v[103:104]
	v_fma_f64 v[101:102], -v[101:102], v[107:108], v[105:106]
	v_div_fmas_f64 v[101:102], v[101:102], v[103:104], v[107:108]
	v_div_fixup_f64 v[101:102], v[101:102], v[99:100], v[97:98]
	v_fma_f64 v[97:98], v[97:98], v[101:102], v[99:100]
	v_div_scale_f64 v[99:100], s[6:7], v[97:98], v[97:98], 1.0
	v_div_scale_f64 v[107:108], vcc, 1.0, v[97:98], 1.0
	v_rcp_f64_e32 v[103:104], v[99:100]
	v_fma_f64 v[105:106], -v[99:100], v[103:104], 1.0
	v_fma_f64 v[103:104], v[103:104], v[105:106], v[103:104]
	v_fma_f64 v[105:106], -v[99:100], v[103:104], 1.0
	v_fma_f64 v[103:104], v[103:104], v[105:106], v[103:104]
	v_mul_f64 v[105:106], v[107:108], v[103:104]
	v_fma_f64 v[99:100], -v[99:100], v[105:106], v[107:108]
	v_div_fmas_f64 v[99:100], v[99:100], v[103:104], v[105:106]
	v_div_fixup_f64 v[103:104], v[99:100], v[97:98], 1.0
                                        ; implicit-def: $vgpr97_vgpr98
	v_mul_f64 v[101:102], v[101:102], v[103:104]
	v_xor_b32_e32 v104, 0x80000000, v104
.LBB119_149:
	s_andn2_saveexec_b64 s[2:3], s[2:3]
	s_cbranch_execz .LBB119_151
; %bb.150:
	v_div_scale_f64 v[101:102], s[6:7], v[97:98], v[97:98], v[99:100]
	v_rcp_f64_e32 v[103:104], v[101:102]
	v_fma_f64 v[105:106], -v[101:102], v[103:104], 1.0
	v_fma_f64 v[103:104], v[103:104], v[105:106], v[103:104]
	v_div_scale_f64 v[105:106], vcc, v[99:100], v[97:98], v[99:100]
	v_fma_f64 v[107:108], -v[101:102], v[103:104], 1.0
	v_fma_f64 v[103:104], v[103:104], v[107:108], v[103:104]
	v_mul_f64 v[107:108], v[105:106], v[103:104]
	v_fma_f64 v[101:102], -v[101:102], v[107:108], v[105:106]
	v_div_fmas_f64 v[101:102], v[101:102], v[103:104], v[107:108]
	v_div_fixup_f64 v[103:104], v[101:102], v[97:98], v[99:100]
	v_fma_f64 v[97:98], v[99:100], v[103:104], v[97:98]
	v_div_scale_f64 v[99:100], s[6:7], v[97:98], v[97:98], 1.0
	v_div_scale_f64 v[107:108], vcc, 1.0, v[97:98], 1.0
	v_rcp_f64_e32 v[101:102], v[99:100]
	v_fma_f64 v[105:106], -v[99:100], v[101:102], 1.0
	v_fma_f64 v[101:102], v[101:102], v[105:106], v[101:102]
	v_fma_f64 v[105:106], -v[99:100], v[101:102], 1.0
	v_fma_f64 v[101:102], v[101:102], v[105:106], v[101:102]
	v_mul_f64 v[105:106], v[107:108], v[101:102]
	v_fma_f64 v[99:100], -v[99:100], v[105:106], v[107:108]
	v_div_fmas_f64 v[99:100], v[99:100], v[101:102], v[105:106]
	v_div_fixup_f64 v[101:102], v[99:100], v[97:98], 1.0
	v_mul_f64 v[103:104], v[103:104], -v[101:102]
.LBB119_151:
	s_or_b64 exec, exec, s[2:3]
	ds_write2_b64 v127, v[101:102], v[103:104] offset1:1
.LBB119_152:
	s_or_b64 exec, exec, s[4:5]
	s_waitcnt lgkmcnt(0)
	s_barrier
	ds_read2_b64 v[65:68], v127 offset1:1
	v_cmp_lt_u32_e32 vcc, 16, v0
	s_waitcnt lgkmcnt(0)
	buffer_store_dword v65, off, s[20:23], 0 offset:1480 ; 4-byte Folded Spill
	s_nop 0
	buffer_store_dword v66, off, s[20:23], 0 offset:1484 ; 4-byte Folded Spill
	buffer_store_dword v67, off, s[20:23], 0 offset:1488 ; 4-byte Folded Spill
	;; [unrolled: 1-line block ×3, first 2 shown]
	s_and_saveexec_b64 s[2:3], vcc
	s_cbranch_execz .LBB119_154
; %bb.153:
	buffer_load_dword v103, off, s[20:23], 0 offset:480 ; 4-byte Folded Reload
	buffer_load_dword v104, off, s[20:23], 0 offset:484 ; 4-byte Folded Reload
	;; [unrolled: 1-line block ×8, first 2 shown]
	s_waitcnt vmcnt(2)
	v_mul_f64 v[99:100], v[65:66], v[105:106]
	s_waitcnt vmcnt(0)
	v_mul_f64 v[97:98], v[67:68], v[105:106]
	v_fma_f64 v[105:106], v[67:68], v[103:104], v[99:100]
	ds_read2_b64 v[99:102], v125 offset0:34 offset1:35
	v_fma_f64 v[97:98], v[65:66], v[103:104], -v[97:98]
	buffer_load_dword v65, off, s[20:23], 0 offset:464 ; 4-byte Folded Reload
	buffer_load_dword v66, off, s[20:23], 0 offset:468 ; 4-byte Folded Reload
	buffer_load_dword v67, off, s[20:23], 0 offset:472 ; 4-byte Folded Reload
	buffer_load_dword v68, off, s[20:23], 0 offset:476 ; 4-byte Folded Reload
	s_waitcnt lgkmcnt(0)
	v_mul_f64 v[103:104], v[101:102], v[105:106]
	v_fma_f64 v[103:104], v[99:100], v[97:98], -v[103:104]
	v_mul_f64 v[99:100], v[99:100], v[105:106]
	v_fma_f64 v[99:100], v[101:102], v[97:98], v[99:100]
	s_waitcnt vmcnt(2)
	v_add_f64 v[65:66], v[65:66], -v[103:104]
	s_waitcnt vmcnt(0)
	v_add_f64 v[67:68], v[67:68], -v[99:100]
	buffer_store_dword v65, off, s[20:23], 0 offset:464 ; 4-byte Folded Spill
	s_nop 0
	buffer_store_dword v66, off, s[20:23], 0 offset:468 ; 4-byte Folded Spill
	buffer_store_dword v67, off, s[20:23], 0 offset:472 ; 4-byte Folded Spill
	buffer_store_dword v68, off, s[20:23], 0 offset:476 ; 4-byte Folded Spill
	ds_read2_b64 v[99:102], v125 offset0:36 offset1:37
	buffer_load_dword v65, off, s[20:23], 0 offset:448 ; 4-byte Folded Reload
	buffer_load_dword v66, off, s[20:23], 0 offset:452 ; 4-byte Folded Reload
	buffer_load_dword v67, off, s[20:23], 0 offset:456 ; 4-byte Folded Reload
	buffer_load_dword v68, off, s[20:23], 0 offset:460 ; 4-byte Folded Reload
	s_waitcnt lgkmcnt(0)
	v_mul_f64 v[103:104], v[101:102], v[105:106]
	v_fma_f64 v[103:104], v[99:100], v[97:98], -v[103:104]
	v_mul_f64 v[99:100], v[99:100], v[105:106]
	v_fma_f64 v[99:100], v[101:102], v[97:98], v[99:100]
	s_waitcnt vmcnt(2)
	v_add_f64 v[65:66], v[65:66], -v[103:104]
	s_waitcnt vmcnt(0)
	v_add_f64 v[67:68], v[67:68], -v[99:100]
	buffer_store_dword v65, off, s[20:23], 0 offset:448 ; 4-byte Folded Spill
	s_nop 0
	buffer_store_dword v66, off, s[20:23], 0 offset:452 ; 4-byte Folded Spill
	buffer_store_dword v67, off, s[20:23], 0 offset:456 ; 4-byte Folded Spill
	buffer_store_dword v68, off, s[20:23], 0 offset:460 ; 4-byte Folded Spill
	ds_read2_b64 v[99:102], v125 offset0:38 offset1:39
	;; [unrolled: 19-line block ×18, first 2 shown]
	s_waitcnt lgkmcnt(0)
	v_mul_f64 v[103:104], v[101:102], v[105:106]
	v_fma_f64 v[103:104], v[99:100], v[97:98], -v[103:104]
	v_mul_f64 v[99:100], v[99:100], v[105:106]
	v_add_f64 v[93:94], v[93:94], -v[103:104]
	v_fma_f64 v[99:100], v[101:102], v[97:98], v[99:100]
	v_add_f64 v[95:96], v[95:96], -v[99:100]
	ds_read2_b64 v[99:102], v125 offset0:72 offset1:73
	buffer_load_dword v41, off, s[20:23], 0 offset:176 ; 4-byte Folded Reload
	buffer_load_dword v42, off, s[20:23], 0 offset:180 ; 4-byte Folded Reload
	buffer_load_dword v43, off, s[20:23], 0 offset:184 ; 4-byte Folded Reload
	buffer_load_dword v44, off, s[20:23], 0 offset:188 ; 4-byte Folded Reload
	s_waitcnt lgkmcnt(0)
	v_mul_f64 v[103:104], v[101:102], v[105:106]
	v_fma_f64 v[103:104], v[99:100], v[97:98], -v[103:104]
	v_mul_f64 v[99:100], v[99:100], v[105:106]
	v_fma_f64 v[99:100], v[101:102], v[97:98], v[99:100]
	s_waitcnt vmcnt(2)
	v_add_f64 v[41:42], v[41:42], -v[103:104]
	s_waitcnt vmcnt(0)
	v_add_f64 v[43:44], v[43:44], -v[99:100]
	buffer_store_dword v41, off, s[20:23], 0 offset:176 ; 4-byte Folded Spill
	s_nop 0
	buffer_store_dword v42, off, s[20:23], 0 offset:180 ; 4-byte Folded Spill
	buffer_store_dword v43, off, s[20:23], 0 offset:184 ; 4-byte Folded Spill
	buffer_store_dword v44, off, s[20:23], 0 offset:188 ; 4-byte Folded Spill
	ds_read2_b64 v[99:102], v125 offset0:74 offset1:75
	buffer_load_dword v65, off, s[20:23], 0 offset:160 ; 4-byte Folded Reload
	buffer_load_dword v66, off, s[20:23], 0 offset:164 ; 4-byte Folded Reload
	buffer_load_dword v67, off, s[20:23], 0 offset:168 ; 4-byte Folded Reload
	buffer_load_dword v68, off, s[20:23], 0 offset:172 ; 4-byte Folded Reload
	s_waitcnt lgkmcnt(0)
	v_mul_f64 v[103:104], v[101:102], v[105:106]
	v_fma_f64 v[103:104], v[99:100], v[97:98], -v[103:104]
	v_mul_f64 v[99:100], v[99:100], v[105:106]
	v_fma_f64 v[99:100], v[101:102], v[97:98], v[99:100]
	s_waitcnt vmcnt(2)
	v_add_f64 v[65:66], v[65:66], -v[103:104]
	s_waitcnt vmcnt(0)
	v_add_f64 v[67:68], v[67:68], -v[99:100]
	buffer_store_dword v65, off, s[20:23], 0 offset:160 ; 4-byte Folded Spill
	s_nop 0
	buffer_store_dword v66, off, s[20:23], 0 offset:164 ; 4-byte Folded Spill
	buffer_store_dword v67, off, s[20:23], 0 offset:168 ; 4-byte Folded Spill
	buffer_store_dword v68, off, s[20:23], 0 offset:172 ; 4-byte Folded Spill
	;; [unrolled: 19-line block ×11, first 2 shown]
	ds_read2_b64 v[99:102], v125 offset0:94 offset1:95
	buffer_load_dword v45, off, s[20:23], 0 ; 4-byte Folded Reload
	buffer_load_dword v46, off, s[20:23], 0 offset:4 ; 4-byte Folded Reload
	buffer_load_dword v47, off, s[20:23], 0 offset:8 ; 4-byte Folded Reload
	;; [unrolled: 1-line block ×3, first 2 shown]
	s_waitcnt lgkmcnt(0)
	v_mul_f64 v[103:104], v[101:102], v[105:106]
	v_fma_f64 v[103:104], v[99:100], v[97:98], -v[103:104]
	v_mul_f64 v[99:100], v[99:100], v[105:106]
	v_fma_f64 v[99:100], v[101:102], v[97:98], v[99:100]
	s_waitcnt vmcnt(2)
	v_add_f64 v[45:46], v[45:46], -v[103:104]
	s_waitcnt vmcnt(0)
	v_add_f64 v[47:48], v[47:48], -v[99:100]
	buffer_store_dword v45, off, s[20:23], 0 ; 4-byte Folded Spill
	s_nop 0
	buffer_store_dword v46, off, s[20:23], 0 offset:4 ; 4-byte Folded Spill
	buffer_store_dword v47, off, s[20:23], 0 offset:8 ; 4-byte Folded Spill
	;; [unrolled: 1-line block ×3, first 2 shown]
	ds_read2_b64 v[99:102], v125 offset0:96 offset1:97
	s_waitcnt lgkmcnt(0)
	v_mul_f64 v[103:104], v[101:102], v[105:106]
	v_fma_f64 v[103:104], v[99:100], v[97:98], -v[103:104]
	v_mul_f64 v[99:100], v[99:100], v[105:106]
	v_add_f64 v[113:114], v[113:114], -v[103:104]
	v_fma_f64 v[99:100], v[101:102], v[97:98], v[99:100]
	v_add_f64 v[115:116], v[115:116], -v[99:100]
	ds_read2_b64 v[99:102], v125 offset0:98 offset1:99
	s_waitcnt lgkmcnt(0)
	v_mul_f64 v[103:104], v[101:102], v[105:106]
	v_fma_f64 v[103:104], v[99:100], v[97:98], -v[103:104]
	v_mul_f64 v[99:100], v[99:100], v[105:106]
	v_add_f64 v[37:38], v[37:38], -v[103:104]
	v_fma_f64 v[99:100], v[101:102], v[97:98], v[99:100]
	v_add_f64 v[39:40], v[39:40], -v[99:100]
	;; [unrolled: 8-line block ×10, first 2 shown]
	ds_read2_b64 v[99:102], v125 offset0:116 offset1:117
	s_waitcnt lgkmcnt(0)
	v_mul_f64 v[103:104], v[101:102], v[105:106]
	v_fma_f64 v[103:104], v[99:100], v[97:98], -v[103:104]
	v_mul_f64 v[99:100], v[99:100], v[105:106]
	v_add_f64 v[1:2], v[1:2], -v[103:104]
	v_fma_f64 v[99:100], v[101:102], v[97:98], v[99:100]
	ds_read2_b64 v[101:104], v125 offset0:118 offset1:119
	v_add_f64 v[3:4], v[3:4], -v[99:100]
	s_waitcnt lgkmcnt(0)
	v_mul_f64 v[99:100], v[103:104], v[105:106]
	v_fma_f64 v[99:100], v[101:102], v[97:98], -v[99:100]
	v_mul_f64 v[101:102], v[101:102], v[105:106]
	v_add_f64 v[121:122], v[121:122], -v[99:100]
	v_fma_f64 v[101:102], v[103:104], v[97:98], v[101:102]
	v_mov_b32_e32 v104, v98
	v_mov_b32_e32 v103, v97
	buffer_store_dword v103, off, s[20:23], 0 offset:480 ; 4-byte Folded Spill
	s_nop 0
	buffer_store_dword v104, off, s[20:23], 0 offset:484 ; 4-byte Folded Spill
	buffer_store_dword v105, off, s[20:23], 0 offset:488 ; 4-byte Folded Spill
	;; [unrolled: 1-line block ×3, first 2 shown]
	v_add_f64 v[123:124], v[123:124], -v[101:102]
.LBB119_154:
	s_or_b64 exec, exec, s[2:3]
	v_cmp_eq_u32_e32 vcc, 17, v0
	s_waitcnt vmcnt(0)
	s_barrier
	s_and_saveexec_b64 s[4:5], vcc
	s_cbranch_execz .LBB119_161
; %bb.155:
	buffer_load_dword v65, off, s[20:23], 0 offset:464 ; 4-byte Folded Reload
	buffer_load_dword v66, off, s[20:23], 0 offset:468 ; 4-byte Folded Reload
	;; [unrolled: 1-line block ×4, first 2 shown]
	s_waitcnt vmcnt(0)
	ds_write2_b64 v127, v[65:66], v[67:68] offset1:1
	buffer_load_dword v65, off, s[20:23], 0 offset:448 ; 4-byte Folded Reload
	buffer_load_dword v66, off, s[20:23], 0 offset:452 ; 4-byte Folded Reload
	buffer_load_dword v67, off, s[20:23], 0 offset:456 ; 4-byte Folded Reload
	buffer_load_dword v68, off, s[20:23], 0 offset:460 ; 4-byte Folded Reload
	s_waitcnt vmcnt(0)
	ds_write2_b64 v125, v[65:66], v[67:68] offset0:36 offset1:37
	buffer_load_dword v65, off, s[20:23], 0 offset:432 ; 4-byte Folded Reload
	buffer_load_dword v66, off, s[20:23], 0 offset:436 ; 4-byte Folded Reload
	buffer_load_dword v67, off, s[20:23], 0 offset:440 ; 4-byte Folded Reload
	buffer_load_dword v68, off, s[20:23], 0 offset:444 ; 4-byte Folded Reload
	s_waitcnt vmcnt(0)
	ds_write2_b64 v125, v[65:66], v[67:68] offset0:38 offset1:39
	;; [unrolled: 6-line block ×17, first 2 shown]
	ds_write2_b64 v125, v[93:94], v[95:96] offset0:70 offset1:71
	buffer_load_dword v41, off, s[20:23], 0 offset:176 ; 4-byte Folded Reload
	buffer_load_dword v42, off, s[20:23], 0 offset:180 ; 4-byte Folded Reload
	buffer_load_dword v43, off, s[20:23], 0 offset:184 ; 4-byte Folded Reload
	buffer_load_dword v44, off, s[20:23], 0 offset:188 ; 4-byte Folded Reload
	s_waitcnt vmcnt(0)
	ds_write2_b64 v125, v[41:42], v[43:44] offset0:72 offset1:73
	buffer_load_dword v65, off, s[20:23], 0 offset:160 ; 4-byte Folded Reload
	buffer_load_dword v66, off, s[20:23], 0 offset:164 ; 4-byte Folded Reload
	buffer_load_dword v67, off, s[20:23], 0 offset:168 ; 4-byte Folded Reload
	buffer_load_dword v68, off, s[20:23], 0 offset:172 ; 4-byte Folded Reload
	s_waitcnt vmcnt(0)
	;; [unrolled: 6-line block ×11, first 2 shown]
	ds_write2_b64 v125, v[49:50], v[51:52] offset0:92 offset1:93
	buffer_load_dword v45, off, s[20:23], 0 ; 4-byte Folded Reload
	buffer_load_dword v46, off, s[20:23], 0 offset:4 ; 4-byte Folded Reload
	buffer_load_dword v47, off, s[20:23], 0 offset:8 ; 4-byte Folded Reload
	;; [unrolled: 1-line block ×3, first 2 shown]
	s_waitcnt vmcnt(0)
	ds_write2_b64 v125, v[45:46], v[47:48] offset0:94 offset1:95
	ds_write2_b64 v125, v[113:114], v[115:116] offset0:96 offset1:97
	;; [unrolled: 1-line block ×13, first 2 shown]
	ds_read2_b64 v[97:100], v127 offset1:1
	s_waitcnt lgkmcnt(0)
	v_cmp_neq_f64_e32 vcc, 0, v[97:98]
	v_cmp_neq_f64_e64 s[2:3], 0, v[99:100]
	s_or_b64 s[2:3], vcc, s[2:3]
	s_and_b64 exec, exec, s[2:3]
	s_cbranch_execz .LBB119_161
; %bb.156:
	v_cmp_ngt_f64_e64 s[2:3], |v[97:98]|, |v[99:100]|
                                        ; implicit-def: $vgpr101_vgpr102
	s_and_saveexec_b64 s[6:7], s[2:3]
	s_xor_b64 s[2:3], exec, s[6:7]
                                        ; implicit-def: $vgpr103_vgpr104
	s_cbranch_execz .LBB119_158
; %bb.157:
	v_div_scale_f64 v[101:102], s[6:7], v[99:100], v[99:100], v[97:98]
	v_rcp_f64_e32 v[103:104], v[101:102]
	v_fma_f64 v[105:106], -v[101:102], v[103:104], 1.0
	v_fma_f64 v[103:104], v[103:104], v[105:106], v[103:104]
	v_div_scale_f64 v[105:106], vcc, v[97:98], v[99:100], v[97:98]
	v_fma_f64 v[107:108], -v[101:102], v[103:104], 1.0
	v_fma_f64 v[103:104], v[103:104], v[107:108], v[103:104]
	v_mul_f64 v[107:108], v[105:106], v[103:104]
	v_fma_f64 v[101:102], -v[101:102], v[107:108], v[105:106]
	v_div_fmas_f64 v[101:102], v[101:102], v[103:104], v[107:108]
	v_div_fixup_f64 v[101:102], v[101:102], v[99:100], v[97:98]
	v_fma_f64 v[97:98], v[97:98], v[101:102], v[99:100]
	v_div_scale_f64 v[99:100], s[6:7], v[97:98], v[97:98], 1.0
	v_div_scale_f64 v[107:108], vcc, 1.0, v[97:98], 1.0
	v_rcp_f64_e32 v[103:104], v[99:100]
	v_fma_f64 v[105:106], -v[99:100], v[103:104], 1.0
	v_fma_f64 v[103:104], v[103:104], v[105:106], v[103:104]
	v_fma_f64 v[105:106], -v[99:100], v[103:104], 1.0
	v_fma_f64 v[103:104], v[103:104], v[105:106], v[103:104]
	v_mul_f64 v[105:106], v[107:108], v[103:104]
	v_fma_f64 v[99:100], -v[99:100], v[105:106], v[107:108]
	v_div_fmas_f64 v[99:100], v[99:100], v[103:104], v[105:106]
	v_div_fixup_f64 v[103:104], v[99:100], v[97:98], 1.0
                                        ; implicit-def: $vgpr97_vgpr98
	v_mul_f64 v[101:102], v[101:102], v[103:104]
	v_xor_b32_e32 v104, 0x80000000, v104
.LBB119_158:
	s_andn2_saveexec_b64 s[2:3], s[2:3]
	s_cbranch_execz .LBB119_160
; %bb.159:
	v_div_scale_f64 v[101:102], s[6:7], v[97:98], v[97:98], v[99:100]
	v_rcp_f64_e32 v[103:104], v[101:102]
	v_fma_f64 v[105:106], -v[101:102], v[103:104], 1.0
	v_fma_f64 v[103:104], v[103:104], v[105:106], v[103:104]
	v_div_scale_f64 v[105:106], vcc, v[99:100], v[97:98], v[99:100]
	v_fma_f64 v[107:108], -v[101:102], v[103:104], 1.0
	v_fma_f64 v[103:104], v[103:104], v[107:108], v[103:104]
	v_mul_f64 v[107:108], v[105:106], v[103:104]
	v_fma_f64 v[101:102], -v[101:102], v[107:108], v[105:106]
	v_div_fmas_f64 v[101:102], v[101:102], v[103:104], v[107:108]
	v_div_fixup_f64 v[103:104], v[101:102], v[97:98], v[99:100]
	v_fma_f64 v[97:98], v[99:100], v[103:104], v[97:98]
	v_div_scale_f64 v[99:100], s[6:7], v[97:98], v[97:98], 1.0
	v_div_scale_f64 v[107:108], vcc, 1.0, v[97:98], 1.0
	v_rcp_f64_e32 v[101:102], v[99:100]
	v_fma_f64 v[105:106], -v[99:100], v[101:102], 1.0
	v_fma_f64 v[101:102], v[101:102], v[105:106], v[101:102]
	v_fma_f64 v[105:106], -v[99:100], v[101:102], 1.0
	v_fma_f64 v[101:102], v[101:102], v[105:106], v[101:102]
	v_mul_f64 v[105:106], v[107:108], v[101:102]
	v_fma_f64 v[99:100], -v[99:100], v[105:106], v[107:108]
	v_div_fmas_f64 v[99:100], v[99:100], v[101:102], v[105:106]
	v_div_fixup_f64 v[101:102], v[99:100], v[97:98], 1.0
	v_mul_f64 v[103:104], v[103:104], -v[101:102]
.LBB119_160:
	s_or_b64 exec, exec, s[2:3]
	ds_write2_b64 v127, v[101:102], v[103:104] offset1:1
.LBB119_161:
	s_or_b64 exec, exec, s[4:5]
	s_waitcnt lgkmcnt(0)
	s_barrier
	ds_read2_b64 v[65:68], v127 offset1:1
	v_cmp_lt_u32_e32 vcc, 17, v0
	s_waitcnt lgkmcnt(0)
	buffer_store_dword v65, off, s[20:23], 0 offset:1496 ; 4-byte Folded Spill
	s_nop 0
	buffer_store_dword v66, off, s[20:23], 0 offset:1500 ; 4-byte Folded Spill
	buffer_store_dword v67, off, s[20:23], 0 offset:1504 ; 4-byte Folded Spill
	;; [unrolled: 1-line block ×3, first 2 shown]
	s_and_saveexec_b64 s[2:3], vcc
	s_cbranch_execz .LBB119_163
; %bb.162:
	buffer_load_dword v103, off, s[20:23], 0 offset:464 ; 4-byte Folded Reload
	buffer_load_dword v104, off, s[20:23], 0 offset:468 ; 4-byte Folded Reload
	;; [unrolled: 1-line block ×8, first 2 shown]
	s_waitcnt vmcnt(2)
	v_mul_f64 v[99:100], v[65:66], v[105:106]
	s_waitcnt vmcnt(0)
	v_mul_f64 v[97:98], v[67:68], v[105:106]
	v_fma_f64 v[105:106], v[67:68], v[103:104], v[99:100]
	ds_read2_b64 v[99:102], v125 offset0:36 offset1:37
	v_fma_f64 v[97:98], v[65:66], v[103:104], -v[97:98]
	buffer_load_dword v65, off, s[20:23], 0 offset:448 ; 4-byte Folded Reload
	buffer_load_dword v66, off, s[20:23], 0 offset:452 ; 4-byte Folded Reload
	buffer_load_dword v67, off, s[20:23], 0 offset:456 ; 4-byte Folded Reload
	buffer_load_dword v68, off, s[20:23], 0 offset:460 ; 4-byte Folded Reload
	s_waitcnt lgkmcnt(0)
	v_mul_f64 v[103:104], v[101:102], v[105:106]
	v_fma_f64 v[103:104], v[99:100], v[97:98], -v[103:104]
	v_mul_f64 v[99:100], v[99:100], v[105:106]
	v_fma_f64 v[99:100], v[101:102], v[97:98], v[99:100]
	s_waitcnt vmcnt(2)
	v_add_f64 v[65:66], v[65:66], -v[103:104]
	s_waitcnt vmcnt(0)
	v_add_f64 v[67:68], v[67:68], -v[99:100]
	buffer_store_dword v65, off, s[20:23], 0 offset:448 ; 4-byte Folded Spill
	s_nop 0
	buffer_store_dword v66, off, s[20:23], 0 offset:452 ; 4-byte Folded Spill
	buffer_store_dword v67, off, s[20:23], 0 offset:456 ; 4-byte Folded Spill
	buffer_store_dword v68, off, s[20:23], 0 offset:460 ; 4-byte Folded Spill
	ds_read2_b64 v[99:102], v125 offset0:38 offset1:39
	buffer_load_dword v65, off, s[20:23], 0 offset:432 ; 4-byte Folded Reload
	buffer_load_dword v66, off, s[20:23], 0 offset:436 ; 4-byte Folded Reload
	buffer_load_dword v67, off, s[20:23], 0 offset:440 ; 4-byte Folded Reload
	buffer_load_dword v68, off, s[20:23], 0 offset:444 ; 4-byte Folded Reload
	s_waitcnt lgkmcnt(0)
	v_mul_f64 v[103:104], v[101:102], v[105:106]
	v_fma_f64 v[103:104], v[99:100], v[97:98], -v[103:104]
	v_mul_f64 v[99:100], v[99:100], v[105:106]
	v_fma_f64 v[99:100], v[101:102], v[97:98], v[99:100]
	s_waitcnt vmcnt(2)
	v_add_f64 v[65:66], v[65:66], -v[103:104]
	s_waitcnt vmcnt(0)
	v_add_f64 v[67:68], v[67:68], -v[99:100]
	buffer_store_dword v65, off, s[20:23], 0 offset:432 ; 4-byte Folded Spill
	s_nop 0
	buffer_store_dword v66, off, s[20:23], 0 offset:436 ; 4-byte Folded Spill
	buffer_store_dword v67, off, s[20:23], 0 offset:440 ; 4-byte Folded Spill
	buffer_store_dword v68, off, s[20:23], 0 offset:444 ; 4-byte Folded Spill
	ds_read2_b64 v[99:102], v125 offset0:40 offset1:41
	;; [unrolled: 19-line block ×17, first 2 shown]
	s_waitcnt lgkmcnt(0)
	v_mul_f64 v[103:104], v[101:102], v[105:106]
	v_fma_f64 v[103:104], v[99:100], v[97:98], -v[103:104]
	v_mul_f64 v[99:100], v[99:100], v[105:106]
	v_add_f64 v[93:94], v[93:94], -v[103:104]
	v_fma_f64 v[99:100], v[101:102], v[97:98], v[99:100]
	v_add_f64 v[95:96], v[95:96], -v[99:100]
	ds_read2_b64 v[99:102], v125 offset0:72 offset1:73
	buffer_load_dword v41, off, s[20:23], 0 offset:176 ; 4-byte Folded Reload
	buffer_load_dword v42, off, s[20:23], 0 offset:180 ; 4-byte Folded Reload
	buffer_load_dword v43, off, s[20:23], 0 offset:184 ; 4-byte Folded Reload
	buffer_load_dword v44, off, s[20:23], 0 offset:188 ; 4-byte Folded Reload
	s_waitcnt lgkmcnt(0)
	v_mul_f64 v[103:104], v[101:102], v[105:106]
	v_fma_f64 v[103:104], v[99:100], v[97:98], -v[103:104]
	v_mul_f64 v[99:100], v[99:100], v[105:106]
	v_fma_f64 v[99:100], v[101:102], v[97:98], v[99:100]
	s_waitcnt vmcnt(2)
	v_add_f64 v[41:42], v[41:42], -v[103:104]
	s_waitcnt vmcnt(0)
	v_add_f64 v[43:44], v[43:44], -v[99:100]
	buffer_store_dword v41, off, s[20:23], 0 offset:176 ; 4-byte Folded Spill
	s_nop 0
	buffer_store_dword v42, off, s[20:23], 0 offset:180 ; 4-byte Folded Spill
	buffer_store_dword v43, off, s[20:23], 0 offset:184 ; 4-byte Folded Spill
	buffer_store_dword v44, off, s[20:23], 0 offset:188 ; 4-byte Folded Spill
	ds_read2_b64 v[99:102], v125 offset0:74 offset1:75
	buffer_load_dword v65, off, s[20:23], 0 offset:160 ; 4-byte Folded Reload
	buffer_load_dword v66, off, s[20:23], 0 offset:164 ; 4-byte Folded Reload
	buffer_load_dword v67, off, s[20:23], 0 offset:168 ; 4-byte Folded Reload
	buffer_load_dword v68, off, s[20:23], 0 offset:172 ; 4-byte Folded Reload
	s_waitcnt lgkmcnt(0)
	v_mul_f64 v[103:104], v[101:102], v[105:106]
	v_fma_f64 v[103:104], v[99:100], v[97:98], -v[103:104]
	v_mul_f64 v[99:100], v[99:100], v[105:106]
	v_fma_f64 v[99:100], v[101:102], v[97:98], v[99:100]
	s_waitcnt vmcnt(2)
	v_add_f64 v[65:66], v[65:66], -v[103:104]
	s_waitcnt vmcnt(0)
	v_add_f64 v[67:68], v[67:68], -v[99:100]
	buffer_store_dword v65, off, s[20:23], 0 offset:160 ; 4-byte Folded Spill
	s_nop 0
	buffer_store_dword v66, off, s[20:23], 0 offset:164 ; 4-byte Folded Spill
	buffer_store_dword v67, off, s[20:23], 0 offset:168 ; 4-byte Folded Spill
	buffer_store_dword v68, off, s[20:23], 0 offset:172 ; 4-byte Folded Spill
	;; [unrolled: 19-line block ×11, first 2 shown]
	ds_read2_b64 v[99:102], v125 offset0:94 offset1:95
	buffer_load_dword v45, off, s[20:23], 0 ; 4-byte Folded Reload
	buffer_load_dword v46, off, s[20:23], 0 offset:4 ; 4-byte Folded Reload
	buffer_load_dword v47, off, s[20:23], 0 offset:8 ; 4-byte Folded Reload
	;; [unrolled: 1-line block ×3, first 2 shown]
	s_waitcnt lgkmcnt(0)
	v_mul_f64 v[103:104], v[101:102], v[105:106]
	v_fma_f64 v[103:104], v[99:100], v[97:98], -v[103:104]
	v_mul_f64 v[99:100], v[99:100], v[105:106]
	v_fma_f64 v[99:100], v[101:102], v[97:98], v[99:100]
	s_waitcnt vmcnt(2)
	v_add_f64 v[45:46], v[45:46], -v[103:104]
	s_waitcnt vmcnt(0)
	v_add_f64 v[47:48], v[47:48], -v[99:100]
	buffer_store_dword v45, off, s[20:23], 0 ; 4-byte Folded Spill
	s_nop 0
	buffer_store_dword v46, off, s[20:23], 0 offset:4 ; 4-byte Folded Spill
	buffer_store_dword v47, off, s[20:23], 0 offset:8 ; 4-byte Folded Spill
	;; [unrolled: 1-line block ×3, first 2 shown]
	ds_read2_b64 v[99:102], v125 offset0:96 offset1:97
	s_waitcnt lgkmcnt(0)
	v_mul_f64 v[103:104], v[101:102], v[105:106]
	v_fma_f64 v[103:104], v[99:100], v[97:98], -v[103:104]
	v_mul_f64 v[99:100], v[99:100], v[105:106]
	v_add_f64 v[113:114], v[113:114], -v[103:104]
	v_fma_f64 v[99:100], v[101:102], v[97:98], v[99:100]
	v_add_f64 v[115:116], v[115:116], -v[99:100]
	ds_read2_b64 v[99:102], v125 offset0:98 offset1:99
	s_waitcnt lgkmcnt(0)
	v_mul_f64 v[103:104], v[101:102], v[105:106]
	v_fma_f64 v[103:104], v[99:100], v[97:98], -v[103:104]
	v_mul_f64 v[99:100], v[99:100], v[105:106]
	v_add_f64 v[37:38], v[37:38], -v[103:104]
	v_fma_f64 v[99:100], v[101:102], v[97:98], v[99:100]
	v_add_f64 v[39:40], v[39:40], -v[99:100]
	;; [unrolled: 8-line block ×11, first 2 shown]
	ds_read2_b64 v[99:102], v125 offset0:118 offset1:119
	s_waitcnt lgkmcnt(0)
	v_mul_f64 v[103:104], v[101:102], v[105:106]
	v_fma_f64 v[103:104], v[99:100], v[97:98], -v[103:104]
	v_mul_f64 v[99:100], v[99:100], v[105:106]
	v_add_f64 v[121:122], v[121:122], -v[103:104]
	v_fma_f64 v[99:100], v[101:102], v[97:98], v[99:100]
	v_mov_b32_e32 v104, v98
	v_mov_b32_e32 v103, v97
	buffer_store_dword v103, off, s[20:23], 0 offset:464 ; 4-byte Folded Spill
	s_nop 0
	buffer_store_dword v104, off, s[20:23], 0 offset:468 ; 4-byte Folded Spill
	buffer_store_dword v105, off, s[20:23], 0 offset:472 ; 4-byte Folded Spill
	;; [unrolled: 1-line block ×3, first 2 shown]
	v_add_f64 v[123:124], v[123:124], -v[99:100]
.LBB119_163:
	s_or_b64 exec, exec, s[2:3]
	v_cmp_eq_u32_e32 vcc, 18, v0
	s_waitcnt vmcnt(0)
	s_barrier
	s_and_saveexec_b64 s[4:5], vcc
	s_cbranch_execz .LBB119_170
; %bb.164:
	buffer_load_dword v65, off, s[20:23], 0 offset:448 ; 4-byte Folded Reload
	buffer_load_dword v66, off, s[20:23], 0 offset:452 ; 4-byte Folded Reload
	;; [unrolled: 1-line block ×4, first 2 shown]
	s_waitcnt vmcnt(0)
	ds_write2_b64 v127, v[65:66], v[67:68] offset1:1
	buffer_load_dword v65, off, s[20:23], 0 offset:432 ; 4-byte Folded Reload
	buffer_load_dword v66, off, s[20:23], 0 offset:436 ; 4-byte Folded Reload
	buffer_load_dword v67, off, s[20:23], 0 offset:440 ; 4-byte Folded Reload
	buffer_load_dword v68, off, s[20:23], 0 offset:444 ; 4-byte Folded Reload
	s_waitcnt vmcnt(0)
	ds_write2_b64 v125, v[65:66], v[67:68] offset0:38 offset1:39
	buffer_load_dword v65, off, s[20:23], 0 offset:416 ; 4-byte Folded Reload
	buffer_load_dword v66, off, s[20:23], 0 offset:420 ; 4-byte Folded Reload
	buffer_load_dword v67, off, s[20:23], 0 offset:424 ; 4-byte Folded Reload
	buffer_load_dword v68, off, s[20:23], 0 offset:428 ; 4-byte Folded Reload
	s_waitcnt vmcnt(0)
	ds_write2_b64 v125, v[65:66], v[67:68] offset0:40 offset1:41
	;; [unrolled: 6-line block ×16, first 2 shown]
	ds_write2_b64 v125, v[93:94], v[95:96] offset0:70 offset1:71
	buffer_load_dword v41, off, s[20:23], 0 offset:176 ; 4-byte Folded Reload
	buffer_load_dword v42, off, s[20:23], 0 offset:180 ; 4-byte Folded Reload
	buffer_load_dword v43, off, s[20:23], 0 offset:184 ; 4-byte Folded Reload
	buffer_load_dword v44, off, s[20:23], 0 offset:188 ; 4-byte Folded Reload
	s_waitcnt vmcnt(0)
	ds_write2_b64 v125, v[41:42], v[43:44] offset0:72 offset1:73
	buffer_load_dword v65, off, s[20:23], 0 offset:160 ; 4-byte Folded Reload
	buffer_load_dword v66, off, s[20:23], 0 offset:164 ; 4-byte Folded Reload
	buffer_load_dword v67, off, s[20:23], 0 offset:168 ; 4-byte Folded Reload
	buffer_load_dword v68, off, s[20:23], 0 offset:172 ; 4-byte Folded Reload
	s_waitcnt vmcnt(0)
	;; [unrolled: 6-line block ×11, first 2 shown]
	ds_write2_b64 v125, v[49:50], v[51:52] offset0:92 offset1:93
	buffer_load_dword v45, off, s[20:23], 0 ; 4-byte Folded Reload
	buffer_load_dword v46, off, s[20:23], 0 offset:4 ; 4-byte Folded Reload
	buffer_load_dword v47, off, s[20:23], 0 offset:8 ; 4-byte Folded Reload
	buffer_load_dword v48, off, s[20:23], 0 offset:12 ; 4-byte Folded Reload
	s_waitcnt vmcnt(0)
	ds_write2_b64 v125, v[45:46], v[47:48] offset0:94 offset1:95
	ds_write2_b64 v125, v[113:114], v[115:116] offset0:96 offset1:97
	;; [unrolled: 1-line block ×13, first 2 shown]
	ds_read2_b64 v[97:100], v127 offset1:1
	s_waitcnt lgkmcnt(0)
	v_cmp_neq_f64_e32 vcc, 0, v[97:98]
	v_cmp_neq_f64_e64 s[2:3], 0, v[99:100]
	s_or_b64 s[2:3], vcc, s[2:3]
	s_and_b64 exec, exec, s[2:3]
	s_cbranch_execz .LBB119_170
; %bb.165:
	v_cmp_ngt_f64_e64 s[2:3], |v[97:98]|, |v[99:100]|
                                        ; implicit-def: $vgpr101_vgpr102
	s_and_saveexec_b64 s[6:7], s[2:3]
	s_xor_b64 s[2:3], exec, s[6:7]
                                        ; implicit-def: $vgpr103_vgpr104
	s_cbranch_execz .LBB119_167
; %bb.166:
	v_div_scale_f64 v[101:102], s[6:7], v[99:100], v[99:100], v[97:98]
	v_rcp_f64_e32 v[103:104], v[101:102]
	v_fma_f64 v[105:106], -v[101:102], v[103:104], 1.0
	v_fma_f64 v[103:104], v[103:104], v[105:106], v[103:104]
	v_div_scale_f64 v[105:106], vcc, v[97:98], v[99:100], v[97:98]
	v_fma_f64 v[107:108], -v[101:102], v[103:104], 1.0
	v_fma_f64 v[103:104], v[103:104], v[107:108], v[103:104]
	v_mul_f64 v[107:108], v[105:106], v[103:104]
	v_fma_f64 v[101:102], -v[101:102], v[107:108], v[105:106]
	v_div_fmas_f64 v[101:102], v[101:102], v[103:104], v[107:108]
	v_div_fixup_f64 v[101:102], v[101:102], v[99:100], v[97:98]
	v_fma_f64 v[97:98], v[97:98], v[101:102], v[99:100]
	v_div_scale_f64 v[99:100], s[6:7], v[97:98], v[97:98], 1.0
	v_div_scale_f64 v[107:108], vcc, 1.0, v[97:98], 1.0
	v_rcp_f64_e32 v[103:104], v[99:100]
	v_fma_f64 v[105:106], -v[99:100], v[103:104], 1.0
	v_fma_f64 v[103:104], v[103:104], v[105:106], v[103:104]
	v_fma_f64 v[105:106], -v[99:100], v[103:104], 1.0
	v_fma_f64 v[103:104], v[103:104], v[105:106], v[103:104]
	v_mul_f64 v[105:106], v[107:108], v[103:104]
	v_fma_f64 v[99:100], -v[99:100], v[105:106], v[107:108]
	v_div_fmas_f64 v[99:100], v[99:100], v[103:104], v[105:106]
	v_div_fixup_f64 v[103:104], v[99:100], v[97:98], 1.0
                                        ; implicit-def: $vgpr97_vgpr98
	v_mul_f64 v[101:102], v[101:102], v[103:104]
	v_xor_b32_e32 v104, 0x80000000, v104
.LBB119_167:
	s_andn2_saveexec_b64 s[2:3], s[2:3]
	s_cbranch_execz .LBB119_169
; %bb.168:
	v_div_scale_f64 v[101:102], s[6:7], v[97:98], v[97:98], v[99:100]
	v_rcp_f64_e32 v[103:104], v[101:102]
	v_fma_f64 v[105:106], -v[101:102], v[103:104], 1.0
	v_fma_f64 v[103:104], v[103:104], v[105:106], v[103:104]
	v_div_scale_f64 v[105:106], vcc, v[99:100], v[97:98], v[99:100]
	v_fma_f64 v[107:108], -v[101:102], v[103:104], 1.0
	v_fma_f64 v[103:104], v[103:104], v[107:108], v[103:104]
	v_mul_f64 v[107:108], v[105:106], v[103:104]
	v_fma_f64 v[101:102], -v[101:102], v[107:108], v[105:106]
	v_div_fmas_f64 v[101:102], v[101:102], v[103:104], v[107:108]
	v_div_fixup_f64 v[103:104], v[101:102], v[97:98], v[99:100]
	v_fma_f64 v[97:98], v[99:100], v[103:104], v[97:98]
	v_div_scale_f64 v[99:100], s[6:7], v[97:98], v[97:98], 1.0
	v_div_scale_f64 v[107:108], vcc, 1.0, v[97:98], 1.0
	v_rcp_f64_e32 v[101:102], v[99:100]
	v_fma_f64 v[105:106], -v[99:100], v[101:102], 1.0
	v_fma_f64 v[101:102], v[101:102], v[105:106], v[101:102]
	v_fma_f64 v[105:106], -v[99:100], v[101:102], 1.0
	v_fma_f64 v[101:102], v[101:102], v[105:106], v[101:102]
	v_mul_f64 v[105:106], v[107:108], v[101:102]
	v_fma_f64 v[99:100], -v[99:100], v[105:106], v[107:108]
	v_div_fmas_f64 v[99:100], v[99:100], v[101:102], v[105:106]
	v_div_fixup_f64 v[101:102], v[99:100], v[97:98], 1.0
	v_mul_f64 v[103:104], v[103:104], -v[101:102]
.LBB119_169:
	s_or_b64 exec, exec, s[2:3]
	ds_write2_b64 v127, v[101:102], v[103:104] offset1:1
.LBB119_170:
	s_or_b64 exec, exec, s[4:5]
	s_waitcnt lgkmcnt(0)
	s_barrier
	ds_read2_b64 v[65:68], v127 offset1:1
	v_cmp_lt_u32_e32 vcc, 18, v0
	s_waitcnt lgkmcnt(0)
	buffer_store_dword v65, off, s[20:23], 0 offset:1512 ; 4-byte Folded Spill
	s_nop 0
	buffer_store_dword v66, off, s[20:23], 0 offset:1516 ; 4-byte Folded Spill
	buffer_store_dword v67, off, s[20:23], 0 offset:1520 ; 4-byte Folded Spill
	;; [unrolled: 1-line block ×3, first 2 shown]
	s_and_saveexec_b64 s[2:3], vcc
	s_cbranch_execz .LBB119_172
; %bb.171:
	buffer_load_dword v103, off, s[20:23], 0 offset:448 ; 4-byte Folded Reload
	buffer_load_dword v104, off, s[20:23], 0 offset:452 ; 4-byte Folded Reload
	;; [unrolled: 1-line block ×8, first 2 shown]
	s_waitcnt vmcnt(2)
	v_mul_f64 v[99:100], v[65:66], v[105:106]
	s_waitcnt vmcnt(0)
	v_mul_f64 v[97:98], v[67:68], v[105:106]
	v_fma_f64 v[105:106], v[67:68], v[103:104], v[99:100]
	ds_read2_b64 v[99:102], v125 offset0:38 offset1:39
	v_fma_f64 v[97:98], v[65:66], v[103:104], -v[97:98]
	buffer_load_dword v65, off, s[20:23], 0 offset:432 ; 4-byte Folded Reload
	buffer_load_dword v66, off, s[20:23], 0 offset:436 ; 4-byte Folded Reload
	buffer_load_dword v67, off, s[20:23], 0 offset:440 ; 4-byte Folded Reload
	buffer_load_dword v68, off, s[20:23], 0 offset:444 ; 4-byte Folded Reload
	s_waitcnt lgkmcnt(0)
	v_mul_f64 v[103:104], v[101:102], v[105:106]
	v_fma_f64 v[103:104], v[99:100], v[97:98], -v[103:104]
	v_mul_f64 v[99:100], v[99:100], v[105:106]
	v_fma_f64 v[99:100], v[101:102], v[97:98], v[99:100]
	s_waitcnt vmcnt(2)
	v_add_f64 v[65:66], v[65:66], -v[103:104]
	s_waitcnt vmcnt(0)
	v_add_f64 v[67:68], v[67:68], -v[99:100]
	buffer_store_dword v65, off, s[20:23], 0 offset:432 ; 4-byte Folded Spill
	s_nop 0
	buffer_store_dword v66, off, s[20:23], 0 offset:436 ; 4-byte Folded Spill
	buffer_store_dword v67, off, s[20:23], 0 offset:440 ; 4-byte Folded Spill
	buffer_store_dword v68, off, s[20:23], 0 offset:444 ; 4-byte Folded Spill
	ds_read2_b64 v[99:102], v125 offset0:40 offset1:41
	buffer_load_dword v65, off, s[20:23], 0 offset:416 ; 4-byte Folded Reload
	buffer_load_dword v66, off, s[20:23], 0 offset:420 ; 4-byte Folded Reload
	buffer_load_dword v67, off, s[20:23], 0 offset:424 ; 4-byte Folded Reload
	buffer_load_dword v68, off, s[20:23], 0 offset:428 ; 4-byte Folded Reload
	s_waitcnt lgkmcnt(0)
	v_mul_f64 v[103:104], v[101:102], v[105:106]
	v_fma_f64 v[103:104], v[99:100], v[97:98], -v[103:104]
	v_mul_f64 v[99:100], v[99:100], v[105:106]
	v_fma_f64 v[99:100], v[101:102], v[97:98], v[99:100]
	s_waitcnt vmcnt(2)
	v_add_f64 v[65:66], v[65:66], -v[103:104]
	s_waitcnt vmcnt(0)
	v_add_f64 v[67:68], v[67:68], -v[99:100]
	buffer_store_dword v65, off, s[20:23], 0 offset:416 ; 4-byte Folded Spill
	s_nop 0
	buffer_store_dword v66, off, s[20:23], 0 offset:420 ; 4-byte Folded Spill
	buffer_store_dword v67, off, s[20:23], 0 offset:424 ; 4-byte Folded Spill
	buffer_store_dword v68, off, s[20:23], 0 offset:428 ; 4-byte Folded Spill
	ds_read2_b64 v[99:102], v125 offset0:42 offset1:43
	;; [unrolled: 19-line block ×16, first 2 shown]
	s_waitcnt lgkmcnt(0)
	v_mul_f64 v[103:104], v[101:102], v[105:106]
	v_fma_f64 v[103:104], v[99:100], v[97:98], -v[103:104]
	v_mul_f64 v[99:100], v[99:100], v[105:106]
	v_add_f64 v[93:94], v[93:94], -v[103:104]
	v_fma_f64 v[99:100], v[101:102], v[97:98], v[99:100]
	v_add_f64 v[95:96], v[95:96], -v[99:100]
	ds_read2_b64 v[99:102], v125 offset0:72 offset1:73
	buffer_load_dword v41, off, s[20:23], 0 offset:176 ; 4-byte Folded Reload
	buffer_load_dword v42, off, s[20:23], 0 offset:180 ; 4-byte Folded Reload
	buffer_load_dword v43, off, s[20:23], 0 offset:184 ; 4-byte Folded Reload
	buffer_load_dword v44, off, s[20:23], 0 offset:188 ; 4-byte Folded Reload
	s_waitcnt lgkmcnt(0)
	v_mul_f64 v[103:104], v[101:102], v[105:106]
	v_fma_f64 v[103:104], v[99:100], v[97:98], -v[103:104]
	v_mul_f64 v[99:100], v[99:100], v[105:106]
	v_fma_f64 v[99:100], v[101:102], v[97:98], v[99:100]
	s_waitcnt vmcnt(2)
	v_add_f64 v[41:42], v[41:42], -v[103:104]
	s_waitcnt vmcnt(0)
	v_add_f64 v[43:44], v[43:44], -v[99:100]
	buffer_store_dword v41, off, s[20:23], 0 offset:176 ; 4-byte Folded Spill
	s_nop 0
	buffer_store_dword v42, off, s[20:23], 0 offset:180 ; 4-byte Folded Spill
	buffer_store_dword v43, off, s[20:23], 0 offset:184 ; 4-byte Folded Spill
	buffer_store_dword v44, off, s[20:23], 0 offset:188 ; 4-byte Folded Spill
	ds_read2_b64 v[99:102], v125 offset0:74 offset1:75
	buffer_load_dword v65, off, s[20:23], 0 offset:160 ; 4-byte Folded Reload
	buffer_load_dword v66, off, s[20:23], 0 offset:164 ; 4-byte Folded Reload
	buffer_load_dword v67, off, s[20:23], 0 offset:168 ; 4-byte Folded Reload
	buffer_load_dword v68, off, s[20:23], 0 offset:172 ; 4-byte Folded Reload
	s_waitcnt lgkmcnt(0)
	v_mul_f64 v[103:104], v[101:102], v[105:106]
	v_fma_f64 v[103:104], v[99:100], v[97:98], -v[103:104]
	v_mul_f64 v[99:100], v[99:100], v[105:106]
	v_fma_f64 v[99:100], v[101:102], v[97:98], v[99:100]
	s_waitcnt vmcnt(2)
	v_add_f64 v[65:66], v[65:66], -v[103:104]
	s_waitcnt vmcnt(0)
	v_add_f64 v[67:68], v[67:68], -v[99:100]
	buffer_store_dword v65, off, s[20:23], 0 offset:160 ; 4-byte Folded Spill
	s_nop 0
	buffer_store_dword v66, off, s[20:23], 0 offset:164 ; 4-byte Folded Spill
	buffer_store_dword v67, off, s[20:23], 0 offset:168 ; 4-byte Folded Spill
	buffer_store_dword v68, off, s[20:23], 0 offset:172 ; 4-byte Folded Spill
	;; [unrolled: 19-line block ×11, first 2 shown]
	ds_read2_b64 v[99:102], v125 offset0:94 offset1:95
	buffer_load_dword v45, off, s[20:23], 0 ; 4-byte Folded Reload
	buffer_load_dword v46, off, s[20:23], 0 offset:4 ; 4-byte Folded Reload
	buffer_load_dword v47, off, s[20:23], 0 offset:8 ; 4-byte Folded Reload
	;; [unrolled: 1-line block ×3, first 2 shown]
	s_waitcnt lgkmcnt(0)
	v_mul_f64 v[103:104], v[101:102], v[105:106]
	v_fma_f64 v[103:104], v[99:100], v[97:98], -v[103:104]
	v_mul_f64 v[99:100], v[99:100], v[105:106]
	v_fma_f64 v[99:100], v[101:102], v[97:98], v[99:100]
	s_waitcnt vmcnt(2)
	v_add_f64 v[45:46], v[45:46], -v[103:104]
	s_waitcnt vmcnt(0)
	v_add_f64 v[47:48], v[47:48], -v[99:100]
	buffer_store_dword v45, off, s[20:23], 0 ; 4-byte Folded Spill
	s_nop 0
	buffer_store_dword v46, off, s[20:23], 0 offset:4 ; 4-byte Folded Spill
	buffer_store_dword v47, off, s[20:23], 0 offset:8 ; 4-byte Folded Spill
	;; [unrolled: 1-line block ×3, first 2 shown]
	ds_read2_b64 v[99:102], v125 offset0:96 offset1:97
	s_waitcnt lgkmcnt(0)
	v_mul_f64 v[103:104], v[101:102], v[105:106]
	v_fma_f64 v[103:104], v[99:100], v[97:98], -v[103:104]
	v_mul_f64 v[99:100], v[99:100], v[105:106]
	v_add_f64 v[113:114], v[113:114], -v[103:104]
	v_fma_f64 v[99:100], v[101:102], v[97:98], v[99:100]
	v_add_f64 v[115:116], v[115:116], -v[99:100]
	ds_read2_b64 v[99:102], v125 offset0:98 offset1:99
	s_waitcnt lgkmcnt(0)
	v_mul_f64 v[103:104], v[101:102], v[105:106]
	v_fma_f64 v[103:104], v[99:100], v[97:98], -v[103:104]
	v_mul_f64 v[99:100], v[99:100], v[105:106]
	v_add_f64 v[37:38], v[37:38], -v[103:104]
	v_fma_f64 v[99:100], v[101:102], v[97:98], v[99:100]
	v_add_f64 v[39:40], v[39:40], -v[99:100]
	ds_read2_b64 v[99:102], v125 offset0:100 offset1:101
	s_waitcnt lgkmcnt(0)
	v_mul_f64 v[103:104], v[101:102], v[105:106]
	v_fma_f64 v[103:104], v[99:100], v[97:98], -v[103:104]
	v_mul_f64 v[99:100], v[99:100], v[105:106]
	v_add_f64 v[33:34], v[33:34], -v[103:104]
	v_fma_f64 v[99:100], v[101:102], v[97:98], v[99:100]
	v_add_f64 v[35:36], v[35:36], -v[99:100]
	ds_read2_b64 v[99:102], v125 offset0:102 offset1:103
	s_waitcnt lgkmcnt(0)
	v_mul_f64 v[103:104], v[101:102], v[105:106]
	v_fma_f64 v[103:104], v[99:100], v[97:98], -v[103:104]
	v_mul_f64 v[99:100], v[99:100], v[105:106]
	v_add_f64 v[29:30], v[29:30], -v[103:104]
	v_fma_f64 v[99:100], v[101:102], v[97:98], v[99:100]
	v_add_f64 v[31:32], v[31:32], -v[99:100]
	ds_read2_b64 v[99:102], v125 offset0:104 offset1:105
	s_waitcnt lgkmcnt(0)
	v_mul_f64 v[103:104], v[101:102], v[105:106]
	v_fma_f64 v[103:104], v[99:100], v[97:98], -v[103:104]
	v_mul_f64 v[99:100], v[99:100], v[105:106]
	v_add_f64 v[25:26], v[25:26], -v[103:104]
	v_fma_f64 v[99:100], v[101:102], v[97:98], v[99:100]
	v_add_f64 v[27:28], v[27:28], -v[99:100]
	ds_read2_b64 v[99:102], v125 offset0:106 offset1:107
	s_waitcnt lgkmcnt(0)
	v_mul_f64 v[103:104], v[101:102], v[105:106]
	v_fma_f64 v[103:104], v[99:100], v[97:98], -v[103:104]
	v_mul_f64 v[99:100], v[99:100], v[105:106]
	v_add_f64 v[21:22], v[21:22], -v[103:104]
	v_fma_f64 v[99:100], v[101:102], v[97:98], v[99:100]
	v_add_f64 v[23:24], v[23:24], -v[99:100]
	ds_read2_b64 v[99:102], v125 offset0:108 offset1:109
	s_waitcnt lgkmcnt(0)
	v_mul_f64 v[103:104], v[101:102], v[105:106]
	v_fma_f64 v[103:104], v[99:100], v[97:98], -v[103:104]
	v_mul_f64 v[99:100], v[99:100], v[105:106]
	v_add_f64 v[17:18], v[17:18], -v[103:104]
	v_fma_f64 v[99:100], v[101:102], v[97:98], v[99:100]
	v_add_f64 v[19:20], v[19:20], -v[99:100]
	ds_read2_b64 v[99:102], v125 offset0:110 offset1:111
	s_waitcnt lgkmcnt(0)
	v_mul_f64 v[103:104], v[101:102], v[105:106]
	v_fma_f64 v[103:104], v[99:100], v[97:98], -v[103:104]
	v_mul_f64 v[99:100], v[99:100], v[105:106]
	v_add_f64 v[13:14], v[13:14], -v[103:104]
	v_fma_f64 v[99:100], v[101:102], v[97:98], v[99:100]
	v_add_f64 v[15:16], v[15:16], -v[99:100]
	ds_read2_b64 v[99:102], v125 offset0:112 offset1:113
	s_waitcnt lgkmcnt(0)
	v_mul_f64 v[103:104], v[101:102], v[105:106]
	v_fma_f64 v[103:104], v[99:100], v[97:98], -v[103:104]
	v_mul_f64 v[99:100], v[99:100], v[105:106]
	v_add_f64 v[9:10], v[9:10], -v[103:104]
	v_fma_f64 v[99:100], v[101:102], v[97:98], v[99:100]
	v_add_f64 v[11:12], v[11:12], -v[99:100]
	ds_read2_b64 v[99:102], v125 offset0:114 offset1:115
	s_waitcnt lgkmcnt(0)
	v_mul_f64 v[103:104], v[101:102], v[105:106]
	v_fma_f64 v[103:104], v[99:100], v[97:98], -v[103:104]
	v_mul_f64 v[99:100], v[99:100], v[105:106]
	v_add_f64 v[5:6], v[5:6], -v[103:104]
	v_fma_f64 v[99:100], v[101:102], v[97:98], v[99:100]
	v_add_f64 v[7:8], v[7:8], -v[99:100]
	ds_read2_b64 v[99:102], v125 offset0:116 offset1:117
	s_waitcnt lgkmcnt(0)
	v_mul_f64 v[103:104], v[101:102], v[105:106]
	v_fma_f64 v[103:104], v[99:100], v[97:98], -v[103:104]
	v_mul_f64 v[99:100], v[99:100], v[105:106]
	v_add_f64 v[1:2], v[1:2], -v[103:104]
	v_fma_f64 v[99:100], v[101:102], v[97:98], v[99:100]
	v_add_f64 v[3:4], v[3:4], -v[99:100]
	ds_read2_b64 v[99:102], v125 offset0:118 offset1:119
	s_waitcnt lgkmcnt(0)
	v_mul_f64 v[103:104], v[101:102], v[105:106]
	v_fma_f64 v[103:104], v[99:100], v[97:98], -v[103:104]
	v_mul_f64 v[99:100], v[99:100], v[105:106]
	v_add_f64 v[121:122], v[121:122], -v[103:104]
	v_fma_f64 v[99:100], v[101:102], v[97:98], v[99:100]
	v_mov_b32_e32 v104, v98
	v_mov_b32_e32 v103, v97
	buffer_store_dword v103, off, s[20:23], 0 offset:448 ; 4-byte Folded Spill
	s_nop 0
	buffer_store_dword v104, off, s[20:23], 0 offset:452 ; 4-byte Folded Spill
	buffer_store_dword v105, off, s[20:23], 0 offset:456 ; 4-byte Folded Spill
	;; [unrolled: 1-line block ×3, first 2 shown]
	v_add_f64 v[123:124], v[123:124], -v[99:100]
.LBB119_172:
	s_or_b64 exec, exec, s[2:3]
	v_cmp_eq_u32_e32 vcc, 19, v0
	s_waitcnt vmcnt(0)
	s_barrier
	s_and_saveexec_b64 s[4:5], vcc
	s_cbranch_execz .LBB119_179
; %bb.173:
	buffer_load_dword v65, off, s[20:23], 0 offset:432 ; 4-byte Folded Reload
	buffer_load_dword v66, off, s[20:23], 0 offset:436 ; 4-byte Folded Reload
	;; [unrolled: 1-line block ×4, first 2 shown]
	s_waitcnt vmcnt(0)
	ds_write2_b64 v127, v[65:66], v[67:68] offset1:1
	buffer_load_dword v65, off, s[20:23], 0 offset:416 ; 4-byte Folded Reload
	buffer_load_dword v66, off, s[20:23], 0 offset:420 ; 4-byte Folded Reload
	buffer_load_dword v67, off, s[20:23], 0 offset:424 ; 4-byte Folded Reload
	buffer_load_dword v68, off, s[20:23], 0 offset:428 ; 4-byte Folded Reload
	s_waitcnt vmcnt(0)
	ds_write2_b64 v125, v[65:66], v[67:68] offset0:40 offset1:41
	buffer_load_dword v65, off, s[20:23], 0 offset:400 ; 4-byte Folded Reload
	buffer_load_dword v66, off, s[20:23], 0 offset:404 ; 4-byte Folded Reload
	buffer_load_dword v67, off, s[20:23], 0 offset:408 ; 4-byte Folded Reload
	buffer_load_dword v68, off, s[20:23], 0 offset:412 ; 4-byte Folded Reload
	s_waitcnt vmcnt(0)
	ds_write2_b64 v125, v[65:66], v[67:68] offset0:42 offset1:43
	;; [unrolled: 6-line block ×15, first 2 shown]
	ds_write2_b64 v125, v[93:94], v[95:96] offset0:70 offset1:71
	buffer_load_dword v41, off, s[20:23], 0 offset:176 ; 4-byte Folded Reload
	buffer_load_dword v42, off, s[20:23], 0 offset:180 ; 4-byte Folded Reload
	buffer_load_dword v43, off, s[20:23], 0 offset:184 ; 4-byte Folded Reload
	buffer_load_dword v44, off, s[20:23], 0 offset:188 ; 4-byte Folded Reload
	s_waitcnt vmcnt(0)
	ds_write2_b64 v125, v[41:42], v[43:44] offset0:72 offset1:73
	buffer_load_dword v65, off, s[20:23], 0 offset:160 ; 4-byte Folded Reload
	buffer_load_dword v66, off, s[20:23], 0 offset:164 ; 4-byte Folded Reload
	buffer_load_dword v67, off, s[20:23], 0 offset:168 ; 4-byte Folded Reload
	buffer_load_dword v68, off, s[20:23], 0 offset:172 ; 4-byte Folded Reload
	s_waitcnt vmcnt(0)
	ds_write2_b64 v125, v[65:66], v[67:68] offset0:74 offset1:75
	buffer_load_dword v65, off, s[20:23], 0 offset:144 ; 4-byte Folded Reload
	buffer_load_dword v66, off, s[20:23], 0 offset:148 ; 4-byte Folded Reload
	buffer_load_dword v67, off, s[20:23], 0 offset:152 ; 4-byte Folded Reload
	buffer_load_dword v68, off, s[20:23], 0 offset:156 ; 4-byte Folded Reload
	s_waitcnt vmcnt(0)
	ds_write2_b64 v125, v[65:66], v[67:68] offset0:76 offset1:77
	buffer_load_dword v65, off, s[20:23], 0 offset:128 ; 4-byte Folded Reload
	buffer_load_dword v66, off, s[20:23], 0 offset:132 ; 4-byte Folded Reload
	buffer_load_dword v67, off, s[20:23], 0 offset:136 ; 4-byte Folded Reload
	buffer_load_dword v68, off, s[20:23], 0 offset:140 ; 4-byte Folded Reload
	s_waitcnt vmcnt(0)
	ds_write2_b64 v125, v[65:66], v[67:68] offset0:78 offset1:79
	buffer_load_dword v65, off, s[20:23], 0 offset:112 ; 4-byte Folded Reload
	buffer_load_dword v66, off, s[20:23], 0 offset:116 ; 4-byte Folded Reload
	buffer_load_dword v67, off, s[20:23], 0 offset:120 ; 4-byte Folded Reload
	buffer_load_dword v68, off, s[20:23], 0 offset:124 ; 4-byte Folded Reload
	s_waitcnt vmcnt(0)
	ds_write2_b64 v125, v[65:66], v[67:68] offset0:80 offset1:81
	buffer_load_dword v65, off, s[20:23], 0 offset:96 ; 4-byte Folded Reload
	buffer_load_dword v66, off, s[20:23], 0 offset:100 ; 4-byte Folded Reload
	buffer_load_dword v67, off, s[20:23], 0 offset:104 ; 4-byte Folded Reload
	buffer_load_dword v68, off, s[20:23], 0 offset:108 ; 4-byte Folded Reload
	s_waitcnt vmcnt(0)
	ds_write2_b64 v125, v[65:66], v[67:68] offset0:82 offset1:83
	buffer_load_dword v65, off, s[20:23], 0 offset:80 ; 4-byte Folded Reload
	buffer_load_dword v66, off, s[20:23], 0 offset:84 ; 4-byte Folded Reload
	buffer_load_dword v67, off, s[20:23], 0 offset:88 ; 4-byte Folded Reload
	buffer_load_dword v68, off, s[20:23], 0 offset:92 ; 4-byte Folded Reload
	s_waitcnt vmcnt(0)
	ds_write2_b64 v125, v[65:66], v[67:68] offset0:84 offset1:85
	buffer_load_dword v61, off, s[20:23], 0 offset:64 ; 4-byte Folded Reload
	buffer_load_dword v62, off, s[20:23], 0 offset:68 ; 4-byte Folded Reload
	buffer_load_dword v63, off, s[20:23], 0 offset:72 ; 4-byte Folded Reload
	buffer_load_dword v64, off, s[20:23], 0 offset:76 ; 4-byte Folded Reload
	s_waitcnt vmcnt(0)
	ds_write2_b64 v125, v[61:62], v[63:64] offset0:86 offset1:87
	buffer_load_dword v57, off, s[20:23], 0 offset:48 ; 4-byte Folded Reload
	buffer_load_dword v58, off, s[20:23], 0 offset:52 ; 4-byte Folded Reload
	buffer_load_dword v59, off, s[20:23], 0 offset:56 ; 4-byte Folded Reload
	buffer_load_dword v60, off, s[20:23], 0 offset:60 ; 4-byte Folded Reload
	s_waitcnt vmcnt(0)
	ds_write2_b64 v125, v[57:58], v[59:60] offset0:88 offset1:89
	buffer_load_dword v53, off, s[20:23], 0 offset:32 ; 4-byte Folded Reload
	buffer_load_dword v54, off, s[20:23], 0 offset:36 ; 4-byte Folded Reload
	buffer_load_dword v55, off, s[20:23], 0 offset:40 ; 4-byte Folded Reload
	buffer_load_dword v56, off, s[20:23], 0 offset:44 ; 4-byte Folded Reload
	s_waitcnt vmcnt(0)
	ds_write2_b64 v125, v[53:54], v[55:56] offset0:90 offset1:91
	buffer_load_dword v49, off, s[20:23], 0 offset:16 ; 4-byte Folded Reload
	buffer_load_dword v50, off, s[20:23], 0 offset:20 ; 4-byte Folded Reload
	buffer_load_dword v51, off, s[20:23], 0 offset:24 ; 4-byte Folded Reload
	buffer_load_dword v52, off, s[20:23], 0 offset:28 ; 4-byte Folded Reload
	s_waitcnt vmcnt(0)
	ds_write2_b64 v125, v[49:50], v[51:52] offset0:92 offset1:93
	buffer_load_dword v45, off, s[20:23], 0 ; 4-byte Folded Reload
	buffer_load_dword v46, off, s[20:23], 0 offset:4 ; 4-byte Folded Reload
	buffer_load_dword v47, off, s[20:23], 0 offset:8 ; 4-byte Folded Reload
	;; [unrolled: 1-line block ×3, first 2 shown]
	s_waitcnt vmcnt(0)
	ds_write2_b64 v125, v[45:46], v[47:48] offset0:94 offset1:95
	ds_write2_b64 v125, v[113:114], v[115:116] offset0:96 offset1:97
	;; [unrolled: 1-line block ×13, first 2 shown]
	ds_read2_b64 v[97:100], v127 offset1:1
	s_waitcnt lgkmcnt(0)
	v_cmp_neq_f64_e32 vcc, 0, v[97:98]
	v_cmp_neq_f64_e64 s[2:3], 0, v[99:100]
	s_or_b64 s[2:3], vcc, s[2:3]
	s_and_b64 exec, exec, s[2:3]
	s_cbranch_execz .LBB119_179
; %bb.174:
	v_cmp_ngt_f64_e64 s[2:3], |v[97:98]|, |v[99:100]|
                                        ; implicit-def: $vgpr101_vgpr102
	s_and_saveexec_b64 s[6:7], s[2:3]
	s_xor_b64 s[2:3], exec, s[6:7]
                                        ; implicit-def: $vgpr103_vgpr104
	s_cbranch_execz .LBB119_176
; %bb.175:
	v_div_scale_f64 v[101:102], s[6:7], v[99:100], v[99:100], v[97:98]
	v_rcp_f64_e32 v[103:104], v[101:102]
	v_fma_f64 v[105:106], -v[101:102], v[103:104], 1.0
	v_fma_f64 v[103:104], v[103:104], v[105:106], v[103:104]
	v_div_scale_f64 v[105:106], vcc, v[97:98], v[99:100], v[97:98]
	v_fma_f64 v[107:108], -v[101:102], v[103:104], 1.0
	v_fma_f64 v[103:104], v[103:104], v[107:108], v[103:104]
	v_mul_f64 v[107:108], v[105:106], v[103:104]
	v_fma_f64 v[101:102], -v[101:102], v[107:108], v[105:106]
	v_div_fmas_f64 v[101:102], v[101:102], v[103:104], v[107:108]
	v_div_fixup_f64 v[101:102], v[101:102], v[99:100], v[97:98]
	v_fma_f64 v[97:98], v[97:98], v[101:102], v[99:100]
	v_div_scale_f64 v[99:100], s[6:7], v[97:98], v[97:98], 1.0
	v_div_scale_f64 v[107:108], vcc, 1.0, v[97:98], 1.0
	v_rcp_f64_e32 v[103:104], v[99:100]
	v_fma_f64 v[105:106], -v[99:100], v[103:104], 1.0
	v_fma_f64 v[103:104], v[103:104], v[105:106], v[103:104]
	v_fma_f64 v[105:106], -v[99:100], v[103:104], 1.0
	v_fma_f64 v[103:104], v[103:104], v[105:106], v[103:104]
	v_mul_f64 v[105:106], v[107:108], v[103:104]
	v_fma_f64 v[99:100], -v[99:100], v[105:106], v[107:108]
	v_div_fmas_f64 v[99:100], v[99:100], v[103:104], v[105:106]
	v_div_fixup_f64 v[103:104], v[99:100], v[97:98], 1.0
                                        ; implicit-def: $vgpr97_vgpr98
	v_mul_f64 v[101:102], v[101:102], v[103:104]
	v_xor_b32_e32 v104, 0x80000000, v104
.LBB119_176:
	s_andn2_saveexec_b64 s[2:3], s[2:3]
	s_cbranch_execz .LBB119_178
; %bb.177:
	v_div_scale_f64 v[101:102], s[6:7], v[97:98], v[97:98], v[99:100]
	v_rcp_f64_e32 v[103:104], v[101:102]
	v_fma_f64 v[105:106], -v[101:102], v[103:104], 1.0
	v_fma_f64 v[103:104], v[103:104], v[105:106], v[103:104]
	v_div_scale_f64 v[105:106], vcc, v[99:100], v[97:98], v[99:100]
	v_fma_f64 v[107:108], -v[101:102], v[103:104], 1.0
	v_fma_f64 v[103:104], v[103:104], v[107:108], v[103:104]
	v_mul_f64 v[107:108], v[105:106], v[103:104]
	v_fma_f64 v[101:102], -v[101:102], v[107:108], v[105:106]
	v_div_fmas_f64 v[101:102], v[101:102], v[103:104], v[107:108]
	v_div_fixup_f64 v[103:104], v[101:102], v[97:98], v[99:100]
	v_fma_f64 v[97:98], v[99:100], v[103:104], v[97:98]
	v_div_scale_f64 v[99:100], s[6:7], v[97:98], v[97:98], 1.0
	v_div_scale_f64 v[107:108], vcc, 1.0, v[97:98], 1.0
	v_rcp_f64_e32 v[101:102], v[99:100]
	v_fma_f64 v[105:106], -v[99:100], v[101:102], 1.0
	v_fma_f64 v[101:102], v[101:102], v[105:106], v[101:102]
	v_fma_f64 v[105:106], -v[99:100], v[101:102], 1.0
	v_fma_f64 v[101:102], v[101:102], v[105:106], v[101:102]
	v_mul_f64 v[105:106], v[107:108], v[101:102]
	v_fma_f64 v[99:100], -v[99:100], v[105:106], v[107:108]
	v_div_fmas_f64 v[99:100], v[99:100], v[101:102], v[105:106]
	v_div_fixup_f64 v[101:102], v[99:100], v[97:98], 1.0
	v_mul_f64 v[103:104], v[103:104], -v[101:102]
.LBB119_178:
	s_or_b64 exec, exec, s[2:3]
	ds_write2_b64 v127, v[101:102], v[103:104] offset1:1
.LBB119_179:
	s_or_b64 exec, exec, s[4:5]
	s_waitcnt lgkmcnt(0)
	s_barrier
	ds_read2_b64 v[65:68], v127 offset1:1
	v_cmp_lt_u32_e32 vcc, 19, v0
	s_waitcnt lgkmcnt(0)
	buffer_store_dword v65, off, s[20:23], 0 offset:1528 ; 4-byte Folded Spill
	s_nop 0
	buffer_store_dword v66, off, s[20:23], 0 offset:1532 ; 4-byte Folded Spill
	buffer_store_dword v67, off, s[20:23], 0 offset:1536 ; 4-byte Folded Spill
	;; [unrolled: 1-line block ×3, first 2 shown]
	s_and_saveexec_b64 s[2:3], vcc
	s_cbranch_execz .LBB119_181
; %bb.180:
	buffer_load_dword v103, off, s[20:23], 0 offset:432 ; 4-byte Folded Reload
	buffer_load_dword v104, off, s[20:23], 0 offset:436 ; 4-byte Folded Reload
	;; [unrolled: 1-line block ×8, first 2 shown]
	s_waitcnt vmcnt(2)
	v_mul_f64 v[99:100], v[65:66], v[105:106]
	s_waitcnt vmcnt(0)
	v_mul_f64 v[97:98], v[67:68], v[105:106]
	v_fma_f64 v[105:106], v[67:68], v[103:104], v[99:100]
	ds_read2_b64 v[99:102], v125 offset0:40 offset1:41
	v_fma_f64 v[97:98], v[65:66], v[103:104], -v[97:98]
	buffer_load_dword v65, off, s[20:23], 0 offset:416 ; 4-byte Folded Reload
	buffer_load_dword v66, off, s[20:23], 0 offset:420 ; 4-byte Folded Reload
	buffer_load_dword v67, off, s[20:23], 0 offset:424 ; 4-byte Folded Reload
	buffer_load_dword v68, off, s[20:23], 0 offset:428 ; 4-byte Folded Reload
	s_waitcnt lgkmcnt(0)
	v_mul_f64 v[103:104], v[101:102], v[105:106]
	v_fma_f64 v[103:104], v[99:100], v[97:98], -v[103:104]
	v_mul_f64 v[99:100], v[99:100], v[105:106]
	v_fma_f64 v[99:100], v[101:102], v[97:98], v[99:100]
	s_waitcnt vmcnt(2)
	v_add_f64 v[65:66], v[65:66], -v[103:104]
	s_waitcnt vmcnt(0)
	v_add_f64 v[67:68], v[67:68], -v[99:100]
	buffer_store_dword v65, off, s[20:23], 0 offset:416 ; 4-byte Folded Spill
	s_nop 0
	buffer_store_dword v66, off, s[20:23], 0 offset:420 ; 4-byte Folded Spill
	buffer_store_dword v67, off, s[20:23], 0 offset:424 ; 4-byte Folded Spill
	buffer_store_dword v68, off, s[20:23], 0 offset:428 ; 4-byte Folded Spill
	ds_read2_b64 v[99:102], v125 offset0:42 offset1:43
	buffer_load_dword v65, off, s[20:23], 0 offset:400 ; 4-byte Folded Reload
	buffer_load_dword v66, off, s[20:23], 0 offset:404 ; 4-byte Folded Reload
	buffer_load_dword v67, off, s[20:23], 0 offset:408 ; 4-byte Folded Reload
	buffer_load_dword v68, off, s[20:23], 0 offset:412 ; 4-byte Folded Reload
	s_waitcnt lgkmcnt(0)
	v_mul_f64 v[103:104], v[101:102], v[105:106]
	v_fma_f64 v[103:104], v[99:100], v[97:98], -v[103:104]
	v_mul_f64 v[99:100], v[99:100], v[105:106]
	v_fma_f64 v[99:100], v[101:102], v[97:98], v[99:100]
	s_waitcnt vmcnt(2)
	v_add_f64 v[65:66], v[65:66], -v[103:104]
	s_waitcnt vmcnt(0)
	v_add_f64 v[67:68], v[67:68], -v[99:100]
	buffer_store_dword v65, off, s[20:23], 0 offset:400 ; 4-byte Folded Spill
	s_nop 0
	buffer_store_dword v66, off, s[20:23], 0 offset:404 ; 4-byte Folded Spill
	buffer_store_dword v67, off, s[20:23], 0 offset:408 ; 4-byte Folded Spill
	buffer_store_dword v68, off, s[20:23], 0 offset:412 ; 4-byte Folded Spill
	ds_read2_b64 v[99:102], v125 offset0:44 offset1:45
	;; [unrolled: 19-line block ×15, first 2 shown]
	s_waitcnt lgkmcnt(0)
	v_mul_f64 v[103:104], v[101:102], v[105:106]
	v_fma_f64 v[103:104], v[99:100], v[97:98], -v[103:104]
	v_mul_f64 v[99:100], v[99:100], v[105:106]
	v_add_f64 v[93:94], v[93:94], -v[103:104]
	v_fma_f64 v[99:100], v[101:102], v[97:98], v[99:100]
	v_add_f64 v[95:96], v[95:96], -v[99:100]
	ds_read2_b64 v[99:102], v125 offset0:72 offset1:73
	buffer_load_dword v41, off, s[20:23], 0 offset:176 ; 4-byte Folded Reload
	buffer_load_dword v42, off, s[20:23], 0 offset:180 ; 4-byte Folded Reload
	buffer_load_dword v43, off, s[20:23], 0 offset:184 ; 4-byte Folded Reload
	buffer_load_dword v44, off, s[20:23], 0 offset:188 ; 4-byte Folded Reload
	s_waitcnt lgkmcnt(0)
	v_mul_f64 v[103:104], v[101:102], v[105:106]
	v_fma_f64 v[103:104], v[99:100], v[97:98], -v[103:104]
	v_mul_f64 v[99:100], v[99:100], v[105:106]
	v_fma_f64 v[99:100], v[101:102], v[97:98], v[99:100]
	s_waitcnt vmcnt(2)
	v_add_f64 v[41:42], v[41:42], -v[103:104]
	s_waitcnt vmcnt(0)
	v_add_f64 v[43:44], v[43:44], -v[99:100]
	buffer_store_dword v41, off, s[20:23], 0 offset:176 ; 4-byte Folded Spill
	s_nop 0
	buffer_store_dword v42, off, s[20:23], 0 offset:180 ; 4-byte Folded Spill
	buffer_store_dword v43, off, s[20:23], 0 offset:184 ; 4-byte Folded Spill
	buffer_store_dword v44, off, s[20:23], 0 offset:188 ; 4-byte Folded Spill
	ds_read2_b64 v[99:102], v125 offset0:74 offset1:75
	buffer_load_dword v65, off, s[20:23], 0 offset:160 ; 4-byte Folded Reload
	buffer_load_dword v66, off, s[20:23], 0 offset:164 ; 4-byte Folded Reload
	buffer_load_dword v67, off, s[20:23], 0 offset:168 ; 4-byte Folded Reload
	buffer_load_dword v68, off, s[20:23], 0 offset:172 ; 4-byte Folded Reload
	s_waitcnt lgkmcnt(0)
	v_mul_f64 v[103:104], v[101:102], v[105:106]
	v_fma_f64 v[103:104], v[99:100], v[97:98], -v[103:104]
	v_mul_f64 v[99:100], v[99:100], v[105:106]
	v_fma_f64 v[99:100], v[101:102], v[97:98], v[99:100]
	s_waitcnt vmcnt(2)
	v_add_f64 v[65:66], v[65:66], -v[103:104]
	s_waitcnt vmcnt(0)
	v_add_f64 v[67:68], v[67:68], -v[99:100]
	buffer_store_dword v65, off, s[20:23], 0 offset:160 ; 4-byte Folded Spill
	s_nop 0
	buffer_store_dword v66, off, s[20:23], 0 offset:164 ; 4-byte Folded Spill
	buffer_store_dword v67, off, s[20:23], 0 offset:168 ; 4-byte Folded Spill
	buffer_store_dword v68, off, s[20:23], 0 offset:172 ; 4-byte Folded Spill
	;; [unrolled: 19-line block ×11, first 2 shown]
	ds_read2_b64 v[99:102], v125 offset0:94 offset1:95
	buffer_load_dword v45, off, s[20:23], 0 ; 4-byte Folded Reload
	buffer_load_dword v46, off, s[20:23], 0 offset:4 ; 4-byte Folded Reload
	buffer_load_dword v47, off, s[20:23], 0 offset:8 ; 4-byte Folded Reload
	buffer_load_dword v48, off, s[20:23], 0 offset:12 ; 4-byte Folded Reload
	s_waitcnt lgkmcnt(0)
	v_mul_f64 v[103:104], v[101:102], v[105:106]
	v_fma_f64 v[103:104], v[99:100], v[97:98], -v[103:104]
	v_mul_f64 v[99:100], v[99:100], v[105:106]
	v_fma_f64 v[99:100], v[101:102], v[97:98], v[99:100]
	s_waitcnt vmcnt(2)
	v_add_f64 v[45:46], v[45:46], -v[103:104]
	s_waitcnt vmcnt(0)
	v_add_f64 v[47:48], v[47:48], -v[99:100]
	buffer_store_dword v45, off, s[20:23], 0 ; 4-byte Folded Spill
	s_nop 0
	buffer_store_dword v46, off, s[20:23], 0 offset:4 ; 4-byte Folded Spill
	buffer_store_dword v47, off, s[20:23], 0 offset:8 ; 4-byte Folded Spill
	;; [unrolled: 1-line block ×3, first 2 shown]
	ds_read2_b64 v[99:102], v125 offset0:96 offset1:97
	s_waitcnt lgkmcnt(0)
	v_mul_f64 v[103:104], v[101:102], v[105:106]
	v_fma_f64 v[103:104], v[99:100], v[97:98], -v[103:104]
	v_mul_f64 v[99:100], v[99:100], v[105:106]
	v_add_f64 v[113:114], v[113:114], -v[103:104]
	v_fma_f64 v[99:100], v[101:102], v[97:98], v[99:100]
	v_add_f64 v[115:116], v[115:116], -v[99:100]
	ds_read2_b64 v[99:102], v125 offset0:98 offset1:99
	s_waitcnt lgkmcnt(0)
	v_mul_f64 v[103:104], v[101:102], v[105:106]
	v_fma_f64 v[103:104], v[99:100], v[97:98], -v[103:104]
	v_mul_f64 v[99:100], v[99:100], v[105:106]
	v_add_f64 v[37:38], v[37:38], -v[103:104]
	v_fma_f64 v[99:100], v[101:102], v[97:98], v[99:100]
	v_add_f64 v[39:40], v[39:40], -v[99:100]
	;; [unrolled: 8-line block ×11, first 2 shown]
	ds_read2_b64 v[99:102], v125 offset0:118 offset1:119
	s_waitcnt lgkmcnt(0)
	v_mul_f64 v[103:104], v[101:102], v[105:106]
	v_fma_f64 v[103:104], v[99:100], v[97:98], -v[103:104]
	v_mul_f64 v[99:100], v[99:100], v[105:106]
	v_add_f64 v[121:122], v[121:122], -v[103:104]
	v_fma_f64 v[99:100], v[101:102], v[97:98], v[99:100]
	v_mov_b32_e32 v104, v98
	v_mov_b32_e32 v103, v97
	buffer_store_dword v103, off, s[20:23], 0 offset:432 ; 4-byte Folded Spill
	s_nop 0
	buffer_store_dword v104, off, s[20:23], 0 offset:436 ; 4-byte Folded Spill
	buffer_store_dword v105, off, s[20:23], 0 offset:440 ; 4-byte Folded Spill
	;; [unrolled: 1-line block ×3, first 2 shown]
	v_add_f64 v[123:124], v[123:124], -v[99:100]
.LBB119_181:
	s_or_b64 exec, exec, s[2:3]
	v_cmp_eq_u32_e32 vcc, 20, v0
	s_waitcnt vmcnt(0)
	s_barrier
	s_and_saveexec_b64 s[4:5], vcc
	s_cbranch_execz .LBB119_188
; %bb.182:
	buffer_load_dword v65, off, s[20:23], 0 offset:416 ; 4-byte Folded Reload
	buffer_load_dword v66, off, s[20:23], 0 offset:420 ; 4-byte Folded Reload
	;; [unrolled: 1-line block ×4, first 2 shown]
	s_waitcnt vmcnt(0)
	ds_write2_b64 v127, v[65:66], v[67:68] offset1:1
	buffer_load_dword v65, off, s[20:23], 0 offset:400 ; 4-byte Folded Reload
	buffer_load_dword v66, off, s[20:23], 0 offset:404 ; 4-byte Folded Reload
	buffer_load_dword v67, off, s[20:23], 0 offset:408 ; 4-byte Folded Reload
	buffer_load_dword v68, off, s[20:23], 0 offset:412 ; 4-byte Folded Reload
	s_waitcnt vmcnt(0)
	ds_write2_b64 v125, v[65:66], v[67:68] offset0:42 offset1:43
	buffer_load_dword v65, off, s[20:23], 0 offset:384 ; 4-byte Folded Reload
	buffer_load_dword v66, off, s[20:23], 0 offset:388 ; 4-byte Folded Reload
	buffer_load_dword v67, off, s[20:23], 0 offset:392 ; 4-byte Folded Reload
	buffer_load_dword v68, off, s[20:23], 0 offset:396 ; 4-byte Folded Reload
	s_waitcnt vmcnt(0)
	ds_write2_b64 v125, v[65:66], v[67:68] offset0:44 offset1:45
	;; [unrolled: 6-line block ×14, first 2 shown]
	ds_write2_b64 v125, v[93:94], v[95:96] offset0:70 offset1:71
	buffer_load_dword v41, off, s[20:23], 0 offset:176 ; 4-byte Folded Reload
	buffer_load_dword v42, off, s[20:23], 0 offset:180 ; 4-byte Folded Reload
	buffer_load_dword v43, off, s[20:23], 0 offset:184 ; 4-byte Folded Reload
	buffer_load_dword v44, off, s[20:23], 0 offset:188 ; 4-byte Folded Reload
	s_waitcnt vmcnt(0)
	ds_write2_b64 v125, v[41:42], v[43:44] offset0:72 offset1:73
	buffer_load_dword v65, off, s[20:23], 0 offset:160 ; 4-byte Folded Reload
	buffer_load_dword v66, off, s[20:23], 0 offset:164 ; 4-byte Folded Reload
	buffer_load_dword v67, off, s[20:23], 0 offset:168 ; 4-byte Folded Reload
	buffer_load_dword v68, off, s[20:23], 0 offset:172 ; 4-byte Folded Reload
	s_waitcnt vmcnt(0)
	ds_write2_b64 v125, v[65:66], v[67:68] offset0:74 offset1:75
	buffer_load_dword v65, off, s[20:23], 0 offset:144 ; 4-byte Folded Reload
	buffer_load_dword v66, off, s[20:23], 0 offset:148 ; 4-byte Folded Reload
	buffer_load_dword v67, off, s[20:23], 0 offset:152 ; 4-byte Folded Reload
	buffer_load_dword v68, off, s[20:23], 0 offset:156 ; 4-byte Folded Reload
	s_waitcnt vmcnt(0)
	ds_write2_b64 v125, v[65:66], v[67:68] offset0:76 offset1:77
	buffer_load_dword v65, off, s[20:23], 0 offset:128 ; 4-byte Folded Reload
	buffer_load_dword v66, off, s[20:23], 0 offset:132 ; 4-byte Folded Reload
	buffer_load_dword v67, off, s[20:23], 0 offset:136 ; 4-byte Folded Reload
	buffer_load_dword v68, off, s[20:23], 0 offset:140 ; 4-byte Folded Reload
	s_waitcnt vmcnt(0)
	ds_write2_b64 v125, v[65:66], v[67:68] offset0:78 offset1:79
	buffer_load_dword v65, off, s[20:23], 0 offset:112 ; 4-byte Folded Reload
	buffer_load_dword v66, off, s[20:23], 0 offset:116 ; 4-byte Folded Reload
	buffer_load_dword v67, off, s[20:23], 0 offset:120 ; 4-byte Folded Reload
	buffer_load_dword v68, off, s[20:23], 0 offset:124 ; 4-byte Folded Reload
	s_waitcnt vmcnt(0)
	ds_write2_b64 v125, v[65:66], v[67:68] offset0:80 offset1:81
	buffer_load_dword v65, off, s[20:23], 0 offset:96 ; 4-byte Folded Reload
	buffer_load_dword v66, off, s[20:23], 0 offset:100 ; 4-byte Folded Reload
	buffer_load_dword v67, off, s[20:23], 0 offset:104 ; 4-byte Folded Reload
	buffer_load_dword v68, off, s[20:23], 0 offset:108 ; 4-byte Folded Reload
	s_waitcnt vmcnt(0)
	ds_write2_b64 v125, v[65:66], v[67:68] offset0:82 offset1:83
	buffer_load_dword v65, off, s[20:23], 0 offset:80 ; 4-byte Folded Reload
	buffer_load_dword v66, off, s[20:23], 0 offset:84 ; 4-byte Folded Reload
	buffer_load_dword v67, off, s[20:23], 0 offset:88 ; 4-byte Folded Reload
	buffer_load_dword v68, off, s[20:23], 0 offset:92 ; 4-byte Folded Reload
	s_waitcnt vmcnt(0)
	ds_write2_b64 v125, v[65:66], v[67:68] offset0:84 offset1:85
	buffer_load_dword v61, off, s[20:23], 0 offset:64 ; 4-byte Folded Reload
	buffer_load_dword v62, off, s[20:23], 0 offset:68 ; 4-byte Folded Reload
	buffer_load_dword v63, off, s[20:23], 0 offset:72 ; 4-byte Folded Reload
	buffer_load_dword v64, off, s[20:23], 0 offset:76 ; 4-byte Folded Reload
	s_waitcnt vmcnt(0)
	ds_write2_b64 v125, v[61:62], v[63:64] offset0:86 offset1:87
	buffer_load_dword v57, off, s[20:23], 0 offset:48 ; 4-byte Folded Reload
	buffer_load_dword v58, off, s[20:23], 0 offset:52 ; 4-byte Folded Reload
	buffer_load_dword v59, off, s[20:23], 0 offset:56 ; 4-byte Folded Reload
	buffer_load_dword v60, off, s[20:23], 0 offset:60 ; 4-byte Folded Reload
	s_waitcnt vmcnt(0)
	ds_write2_b64 v125, v[57:58], v[59:60] offset0:88 offset1:89
	buffer_load_dword v53, off, s[20:23], 0 offset:32 ; 4-byte Folded Reload
	buffer_load_dword v54, off, s[20:23], 0 offset:36 ; 4-byte Folded Reload
	buffer_load_dword v55, off, s[20:23], 0 offset:40 ; 4-byte Folded Reload
	buffer_load_dword v56, off, s[20:23], 0 offset:44 ; 4-byte Folded Reload
	s_waitcnt vmcnt(0)
	ds_write2_b64 v125, v[53:54], v[55:56] offset0:90 offset1:91
	buffer_load_dword v49, off, s[20:23], 0 offset:16 ; 4-byte Folded Reload
	buffer_load_dword v50, off, s[20:23], 0 offset:20 ; 4-byte Folded Reload
	buffer_load_dword v51, off, s[20:23], 0 offset:24 ; 4-byte Folded Reload
	buffer_load_dword v52, off, s[20:23], 0 offset:28 ; 4-byte Folded Reload
	s_waitcnt vmcnt(0)
	ds_write2_b64 v125, v[49:50], v[51:52] offset0:92 offset1:93
	buffer_load_dword v45, off, s[20:23], 0 ; 4-byte Folded Reload
	buffer_load_dword v46, off, s[20:23], 0 offset:4 ; 4-byte Folded Reload
	buffer_load_dword v47, off, s[20:23], 0 offset:8 ; 4-byte Folded Reload
	;; [unrolled: 1-line block ×3, first 2 shown]
	s_waitcnt vmcnt(0)
	ds_write2_b64 v125, v[45:46], v[47:48] offset0:94 offset1:95
	ds_write2_b64 v125, v[113:114], v[115:116] offset0:96 offset1:97
	;; [unrolled: 1-line block ×13, first 2 shown]
	ds_read2_b64 v[97:100], v127 offset1:1
	s_waitcnt lgkmcnt(0)
	v_cmp_neq_f64_e32 vcc, 0, v[97:98]
	v_cmp_neq_f64_e64 s[2:3], 0, v[99:100]
	s_or_b64 s[2:3], vcc, s[2:3]
	s_and_b64 exec, exec, s[2:3]
	s_cbranch_execz .LBB119_188
; %bb.183:
	v_cmp_ngt_f64_e64 s[2:3], |v[97:98]|, |v[99:100]|
                                        ; implicit-def: $vgpr101_vgpr102
	s_and_saveexec_b64 s[6:7], s[2:3]
	s_xor_b64 s[2:3], exec, s[6:7]
                                        ; implicit-def: $vgpr103_vgpr104
	s_cbranch_execz .LBB119_185
; %bb.184:
	v_div_scale_f64 v[101:102], s[6:7], v[99:100], v[99:100], v[97:98]
	v_rcp_f64_e32 v[103:104], v[101:102]
	v_fma_f64 v[105:106], -v[101:102], v[103:104], 1.0
	v_fma_f64 v[103:104], v[103:104], v[105:106], v[103:104]
	v_div_scale_f64 v[105:106], vcc, v[97:98], v[99:100], v[97:98]
	v_fma_f64 v[107:108], -v[101:102], v[103:104], 1.0
	v_fma_f64 v[103:104], v[103:104], v[107:108], v[103:104]
	v_mul_f64 v[107:108], v[105:106], v[103:104]
	v_fma_f64 v[101:102], -v[101:102], v[107:108], v[105:106]
	v_div_fmas_f64 v[101:102], v[101:102], v[103:104], v[107:108]
	v_div_fixup_f64 v[101:102], v[101:102], v[99:100], v[97:98]
	v_fma_f64 v[97:98], v[97:98], v[101:102], v[99:100]
	v_div_scale_f64 v[99:100], s[6:7], v[97:98], v[97:98], 1.0
	v_div_scale_f64 v[107:108], vcc, 1.0, v[97:98], 1.0
	v_rcp_f64_e32 v[103:104], v[99:100]
	v_fma_f64 v[105:106], -v[99:100], v[103:104], 1.0
	v_fma_f64 v[103:104], v[103:104], v[105:106], v[103:104]
	v_fma_f64 v[105:106], -v[99:100], v[103:104], 1.0
	v_fma_f64 v[103:104], v[103:104], v[105:106], v[103:104]
	v_mul_f64 v[105:106], v[107:108], v[103:104]
	v_fma_f64 v[99:100], -v[99:100], v[105:106], v[107:108]
	v_div_fmas_f64 v[99:100], v[99:100], v[103:104], v[105:106]
	v_div_fixup_f64 v[103:104], v[99:100], v[97:98], 1.0
                                        ; implicit-def: $vgpr97_vgpr98
	v_mul_f64 v[101:102], v[101:102], v[103:104]
	v_xor_b32_e32 v104, 0x80000000, v104
.LBB119_185:
	s_andn2_saveexec_b64 s[2:3], s[2:3]
	s_cbranch_execz .LBB119_187
; %bb.186:
	v_div_scale_f64 v[101:102], s[6:7], v[97:98], v[97:98], v[99:100]
	v_rcp_f64_e32 v[103:104], v[101:102]
	v_fma_f64 v[105:106], -v[101:102], v[103:104], 1.0
	v_fma_f64 v[103:104], v[103:104], v[105:106], v[103:104]
	v_div_scale_f64 v[105:106], vcc, v[99:100], v[97:98], v[99:100]
	v_fma_f64 v[107:108], -v[101:102], v[103:104], 1.0
	v_fma_f64 v[103:104], v[103:104], v[107:108], v[103:104]
	v_mul_f64 v[107:108], v[105:106], v[103:104]
	v_fma_f64 v[101:102], -v[101:102], v[107:108], v[105:106]
	v_div_fmas_f64 v[101:102], v[101:102], v[103:104], v[107:108]
	v_div_fixup_f64 v[103:104], v[101:102], v[97:98], v[99:100]
	v_fma_f64 v[97:98], v[99:100], v[103:104], v[97:98]
	v_div_scale_f64 v[99:100], s[6:7], v[97:98], v[97:98], 1.0
	v_div_scale_f64 v[107:108], vcc, 1.0, v[97:98], 1.0
	v_rcp_f64_e32 v[101:102], v[99:100]
	v_fma_f64 v[105:106], -v[99:100], v[101:102], 1.0
	v_fma_f64 v[101:102], v[101:102], v[105:106], v[101:102]
	v_fma_f64 v[105:106], -v[99:100], v[101:102], 1.0
	v_fma_f64 v[101:102], v[101:102], v[105:106], v[101:102]
	v_mul_f64 v[105:106], v[107:108], v[101:102]
	v_fma_f64 v[99:100], -v[99:100], v[105:106], v[107:108]
	v_div_fmas_f64 v[99:100], v[99:100], v[101:102], v[105:106]
	v_div_fixup_f64 v[101:102], v[99:100], v[97:98], 1.0
	v_mul_f64 v[103:104], v[103:104], -v[101:102]
.LBB119_187:
	s_or_b64 exec, exec, s[2:3]
	ds_write2_b64 v127, v[101:102], v[103:104] offset1:1
.LBB119_188:
	s_or_b64 exec, exec, s[4:5]
	s_waitcnt lgkmcnt(0)
	s_barrier
	ds_read2_b64 v[65:68], v127 offset1:1
	v_cmp_lt_u32_e32 vcc, 20, v0
	s_waitcnt lgkmcnt(0)
	buffer_store_dword v65, off, s[20:23], 0 offset:1544 ; 4-byte Folded Spill
	s_nop 0
	buffer_store_dword v66, off, s[20:23], 0 offset:1548 ; 4-byte Folded Spill
	buffer_store_dword v67, off, s[20:23], 0 offset:1552 ; 4-byte Folded Spill
	;; [unrolled: 1-line block ×3, first 2 shown]
	s_and_saveexec_b64 s[2:3], vcc
	s_cbranch_execz .LBB119_190
; %bb.189:
	buffer_load_dword v103, off, s[20:23], 0 offset:416 ; 4-byte Folded Reload
	buffer_load_dword v104, off, s[20:23], 0 offset:420 ; 4-byte Folded Reload
	;; [unrolled: 1-line block ×8, first 2 shown]
	s_waitcnt vmcnt(2)
	v_mul_f64 v[99:100], v[65:66], v[105:106]
	s_waitcnt vmcnt(0)
	v_mul_f64 v[97:98], v[67:68], v[105:106]
	v_fma_f64 v[105:106], v[67:68], v[103:104], v[99:100]
	ds_read2_b64 v[99:102], v125 offset0:42 offset1:43
	v_fma_f64 v[97:98], v[65:66], v[103:104], -v[97:98]
	buffer_load_dword v65, off, s[20:23], 0 offset:400 ; 4-byte Folded Reload
	buffer_load_dword v66, off, s[20:23], 0 offset:404 ; 4-byte Folded Reload
	buffer_load_dword v67, off, s[20:23], 0 offset:408 ; 4-byte Folded Reload
	buffer_load_dword v68, off, s[20:23], 0 offset:412 ; 4-byte Folded Reload
	s_waitcnt lgkmcnt(0)
	v_mul_f64 v[103:104], v[101:102], v[105:106]
	v_fma_f64 v[103:104], v[99:100], v[97:98], -v[103:104]
	v_mul_f64 v[99:100], v[99:100], v[105:106]
	v_fma_f64 v[99:100], v[101:102], v[97:98], v[99:100]
	s_waitcnt vmcnt(2)
	v_add_f64 v[65:66], v[65:66], -v[103:104]
	s_waitcnt vmcnt(0)
	v_add_f64 v[67:68], v[67:68], -v[99:100]
	buffer_store_dword v65, off, s[20:23], 0 offset:400 ; 4-byte Folded Spill
	s_nop 0
	buffer_store_dword v66, off, s[20:23], 0 offset:404 ; 4-byte Folded Spill
	buffer_store_dword v67, off, s[20:23], 0 offset:408 ; 4-byte Folded Spill
	buffer_store_dword v68, off, s[20:23], 0 offset:412 ; 4-byte Folded Spill
	ds_read2_b64 v[99:102], v125 offset0:44 offset1:45
	buffer_load_dword v65, off, s[20:23], 0 offset:384 ; 4-byte Folded Reload
	buffer_load_dword v66, off, s[20:23], 0 offset:388 ; 4-byte Folded Reload
	buffer_load_dword v67, off, s[20:23], 0 offset:392 ; 4-byte Folded Reload
	buffer_load_dword v68, off, s[20:23], 0 offset:396 ; 4-byte Folded Reload
	s_waitcnt lgkmcnt(0)
	v_mul_f64 v[103:104], v[101:102], v[105:106]
	v_fma_f64 v[103:104], v[99:100], v[97:98], -v[103:104]
	v_mul_f64 v[99:100], v[99:100], v[105:106]
	v_fma_f64 v[99:100], v[101:102], v[97:98], v[99:100]
	s_waitcnt vmcnt(2)
	v_add_f64 v[65:66], v[65:66], -v[103:104]
	s_waitcnt vmcnt(0)
	v_add_f64 v[67:68], v[67:68], -v[99:100]
	buffer_store_dword v65, off, s[20:23], 0 offset:384 ; 4-byte Folded Spill
	s_nop 0
	buffer_store_dword v66, off, s[20:23], 0 offset:388 ; 4-byte Folded Spill
	buffer_store_dword v67, off, s[20:23], 0 offset:392 ; 4-byte Folded Spill
	buffer_store_dword v68, off, s[20:23], 0 offset:396 ; 4-byte Folded Spill
	ds_read2_b64 v[99:102], v125 offset0:46 offset1:47
	;; [unrolled: 19-line block ×14, first 2 shown]
	s_waitcnt lgkmcnt(0)
	v_mul_f64 v[103:104], v[101:102], v[105:106]
	v_fma_f64 v[103:104], v[99:100], v[97:98], -v[103:104]
	v_mul_f64 v[99:100], v[99:100], v[105:106]
	v_add_f64 v[93:94], v[93:94], -v[103:104]
	v_fma_f64 v[99:100], v[101:102], v[97:98], v[99:100]
	v_add_f64 v[95:96], v[95:96], -v[99:100]
	ds_read2_b64 v[99:102], v125 offset0:72 offset1:73
	buffer_load_dword v41, off, s[20:23], 0 offset:176 ; 4-byte Folded Reload
	buffer_load_dword v42, off, s[20:23], 0 offset:180 ; 4-byte Folded Reload
	buffer_load_dword v43, off, s[20:23], 0 offset:184 ; 4-byte Folded Reload
	buffer_load_dword v44, off, s[20:23], 0 offset:188 ; 4-byte Folded Reload
	s_waitcnt lgkmcnt(0)
	v_mul_f64 v[103:104], v[101:102], v[105:106]
	v_fma_f64 v[103:104], v[99:100], v[97:98], -v[103:104]
	v_mul_f64 v[99:100], v[99:100], v[105:106]
	v_fma_f64 v[99:100], v[101:102], v[97:98], v[99:100]
	s_waitcnt vmcnt(2)
	v_add_f64 v[41:42], v[41:42], -v[103:104]
	s_waitcnt vmcnt(0)
	v_add_f64 v[43:44], v[43:44], -v[99:100]
	buffer_store_dword v41, off, s[20:23], 0 offset:176 ; 4-byte Folded Spill
	s_nop 0
	buffer_store_dword v42, off, s[20:23], 0 offset:180 ; 4-byte Folded Spill
	buffer_store_dword v43, off, s[20:23], 0 offset:184 ; 4-byte Folded Spill
	buffer_store_dword v44, off, s[20:23], 0 offset:188 ; 4-byte Folded Spill
	ds_read2_b64 v[99:102], v125 offset0:74 offset1:75
	buffer_load_dword v65, off, s[20:23], 0 offset:160 ; 4-byte Folded Reload
	buffer_load_dword v66, off, s[20:23], 0 offset:164 ; 4-byte Folded Reload
	buffer_load_dword v67, off, s[20:23], 0 offset:168 ; 4-byte Folded Reload
	buffer_load_dword v68, off, s[20:23], 0 offset:172 ; 4-byte Folded Reload
	s_waitcnt lgkmcnt(0)
	v_mul_f64 v[103:104], v[101:102], v[105:106]
	v_fma_f64 v[103:104], v[99:100], v[97:98], -v[103:104]
	v_mul_f64 v[99:100], v[99:100], v[105:106]
	v_fma_f64 v[99:100], v[101:102], v[97:98], v[99:100]
	s_waitcnt vmcnt(2)
	v_add_f64 v[65:66], v[65:66], -v[103:104]
	s_waitcnt vmcnt(0)
	v_add_f64 v[67:68], v[67:68], -v[99:100]
	buffer_store_dword v65, off, s[20:23], 0 offset:160 ; 4-byte Folded Spill
	s_nop 0
	buffer_store_dword v66, off, s[20:23], 0 offset:164 ; 4-byte Folded Spill
	buffer_store_dword v67, off, s[20:23], 0 offset:168 ; 4-byte Folded Spill
	buffer_store_dword v68, off, s[20:23], 0 offset:172 ; 4-byte Folded Spill
	;; [unrolled: 19-line block ×11, first 2 shown]
	ds_read2_b64 v[99:102], v125 offset0:94 offset1:95
	buffer_load_dword v45, off, s[20:23], 0 ; 4-byte Folded Reload
	buffer_load_dword v46, off, s[20:23], 0 offset:4 ; 4-byte Folded Reload
	buffer_load_dword v47, off, s[20:23], 0 offset:8 ; 4-byte Folded Reload
	;; [unrolled: 1-line block ×3, first 2 shown]
	s_waitcnt lgkmcnt(0)
	v_mul_f64 v[103:104], v[101:102], v[105:106]
	v_fma_f64 v[103:104], v[99:100], v[97:98], -v[103:104]
	v_mul_f64 v[99:100], v[99:100], v[105:106]
	v_fma_f64 v[99:100], v[101:102], v[97:98], v[99:100]
	s_waitcnt vmcnt(2)
	v_add_f64 v[45:46], v[45:46], -v[103:104]
	s_waitcnt vmcnt(0)
	v_add_f64 v[47:48], v[47:48], -v[99:100]
	buffer_store_dword v45, off, s[20:23], 0 ; 4-byte Folded Spill
	s_nop 0
	buffer_store_dword v46, off, s[20:23], 0 offset:4 ; 4-byte Folded Spill
	buffer_store_dword v47, off, s[20:23], 0 offset:8 ; 4-byte Folded Spill
	;; [unrolled: 1-line block ×3, first 2 shown]
	ds_read2_b64 v[99:102], v125 offset0:96 offset1:97
	s_waitcnt lgkmcnt(0)
	v_mul_f64 v[103:104], v[101:102], v[105:106]
	v_fma_f64 v[103:104], v[99:100], v[97:98], -v[103:104]
	v_mul_f64 v[99:100], v[99:100], v[105:106]
	v_add_f64 v[113:114], v[113:114], -v[103:104]
	v_fma_f64 v[99:100], v[101:102], v[97:98], v[99:100]
	v_add_f64 v[115:116], v[115:116], -v[99:100]
	ds_read2_b64 v[99:102], v125 offset0:98 offset1:99
	s_waitcnt lgkmcnt(0)
	v_mul_f64 v[103:104], v[101:102], v[105:106]
	v_fma_f64 v[103:104], v[99:100], v[97:98], -v[103:104]
	v_mul_f64 v[99:100], v[99:100], v[105:106]
	v_add_f64 v[37:38], v[37:38], -v[103:104]
	v_fma_f64 v[99:100], v[101:102], v[97:98], v[99:100]
	v_add_f64 v[39:40], v[39:40], -v[99:100]
	;; [unrolled: 8-line block ×11, first 2 shown]
	ds_read2_b64 v[99:102], v125 offset0:118 offset1:119
	s_waitcnt lgkmcnt(0)
	v_mul_f64 v[103:104], v[101:102], v[105:106]
	v_fma_f64 v[103:104], v[99:100], v[97:98], -v[103:104]
	v_mul_f64 v[99:100], v[99:100], v[105:106]
	v_add_f64 v[121:122], v[121:122], -v[103:104]
	v_fma_f64 v[99:100], v[101:102], v[97:98], v[99:100]
	v_mov_b32_e32 v104, v98
	v_mov_b32_e32 v103, v97
	buffer_store_dword v103, off, s[20:23], 0 offset:416 ; 4-byte Folded Spill
	s_nop 0
	buffer_store_dword v104, off, s[20:23], 0 offset:420 ; 4-byte Folded Spill
	buffer_store_dword v105, off, s[20:23], 0 offset:424 ; 4-byte Folded Spill
	;; [unrolled: 1-line block ×3, first 2 shown]
	v_add_f64 v[123:124], v[123:124], -v[99:100]
.LBB119_190:
	s_or_b64 exec, exec, s[2:3]
	v_cmp_eq_u32_e32 vcc, 21, v0
	s_waitcnt vmcnt(0)
	s_barrier
	s_and_saveexec_b64 s[4:5], vcc
	s_cbranch_execz .LBB119_197
; %bb.191:
	buffer_load_dword v65, off, s[20:23], 0 offset:400 ; 4-byte Folded Reload
	buffer_load_dword v66, off, s[20:23], 0 offset:404 ; 4-byte Folded Reload
	;; [unrolled: 1-line block ×4, first 2 shown]
	s_waitcnt vmcnt(0)
	ds_write2_b64 v127, v[65:66], v[67:68] offset1:1
	buffer_load_dword v65, off, s[20:23], 0 offset:384 ; 4-byte Folded Reload
	buffer_load_dword v66, off, s[20:23], 0 offset:388 ; 4-byte Folded Reload
	buffer_load_dword v67, off, s[20:23], 0 offset:392 ; 4-byte Folded Reload
	buffer_load_dword v68, off, s[20:23], 0 offset:396 ; 4-byte Folded Reload
	s_waitcnt vmcnt(0)
	ds_write2_b64 v125, v[65:66], v[67:68] offset0:44 offset1:45
	buffer_load_dword v65, off, s[20:23], 0 offset:368 ; 4-byte Folded Reload
	buffer_load_dword v66, off, s[20:23], 0 offset:372 ; 4-byte Folded Reload
	buffer_load_dword v67, off, s[20:23], 0 offset:376 ; 4-byte Folded Reload
	buffer_load_dword v68, off, s[20:23], 0 offset:380 ; 4-byte Folded Reload
	s_waitcnt vmcnt(0)
	ds_write2_b64 v125, v[65:66], v[67:68] offset0:46 offset1:47
	;; [unrolled: 6-line block ×13, first 2 shown]
	ds_write2_b64 v125, v[93:94], v[95:96] offset0:70 offset1:71
	buffer_load_dword v41, off, s[20:23], 0 offset:176 ; 4-byte Folded Reload
	buffer_load_dword v42, off, s[20:23], 0 offset:180 ; 4-byte Folded Reload
	buffer_load_dword v43, off, s[20:23], 0 offset:184 ; 4-byte Folded Reload
	buffer_load_dword v44, off, s[20:23], 0 offset:188 ; 4-byte Folded Reload
	s_waitcnt vmcnt(0)
	ds_write2_b64 v125, v[41:42], v[43:44] offset0:72 offset1:73
	buffer_load_dword v65, off, s[20:23], 0 offset:160 ; 4-byte Folded Reload
	buffer_load_dword v66, off, s[20:23], 0 offset:164 ; 4-byte Folded Reload
	buffer_load_dword v67, off, s[20:23], 0 offset:168 ; 4-byte Folded Reload
	buffer_load_dword v68, off, s[20:23], 0 offset:172 ; 4-byte Folded Reload
	s_waitcnt vmcnt(0)
	;; [unrolled: 6-line block ×11, first 2 shown]
	ds_write2_b64 v125, v[49:50], v[51:52] offset0:92 offset1:93
	buffer_load_dword v45, off, s[20:23], 0 ; 4-byte Folded Reload
	buffer_load_dword v46, off, s[20:23], 0 offset:4 ; 4-byte Folded Reload
	buffer_load_dword v47, off, s[20:23], 0 offset:8 ; 4-byte Folded Reload
	;; [unrolled: 1-line block ×3, first 2 shown]
	s_waitcnt vmcnt(0)
	ds_write2_b64 v125, v[45:46], v[47:48] offset0:94 offset1:95
	ds_write2_b64 v125, v[113:114], v[115:116] offset0:96 offset1:97
	;; [unrolled: 1-line block ×13, first 2 shown]
	ds_read2_b64 v[97:100], v127 offset1:1
	s_waitcnt lgkmcnt(0)
	v_cmp_neq_f64_e32 vcc, 0, v[97:98]
	v_cmp_neq_f64_e64 s[2:3], 0, v[99:100]
	s_or_b64 s[2:3], vcc, s[2:3]
	s_and_b64 exec, exec, s[2:3]
	s_cbranch_execz .LBB119_197
; %bb.192:
	v_cmp_ngt_f64_e64 s[2:3], |v[97:98]|, |v[99:100]|
                                        ; implicit-def: $vgpr101_vgpr102
	s_and_saveexec_b64 s[6:7], s[2:3]
	s_xor_b64 s[2:3], exec, s[6:7]
                                        ; implicit-def: $vgpr103_vgpr104
	s_cbranch_execz .LBB119_194
; %bb.193:
	v_div_scale_f64 v[101:102], s[6:7], v[99:100], v[99:100], v[97:98]
	v_rcp_f64_e32 v[103:104], v[101:102]
	v_fma_f64 v[105:106], -v[101:102], v[103:104], 1.0
	v_fma_f64 v[103:104], v[103:104], v[105:106], v[103:104]
	v_div_scale_f64 v[105:106], vcc, v[97:98], v[99:100], v[97:98]
	v_fma_f64 v[107:108], -v[101:102], v[103:104], 1.0
	v_fma_f64 v[103:104], v[103:104], v[107:108], v[103:104]
	v_mul_f64 v[107:108], v[105:106], v[103:104]
	v_fma_f64 v[101:102], -v[101:102], v[107:108], v[105:106]
	v_div_fmas_f64 v[101:102], v[101:102], v[103:104], v[107:108]
	v_div_fixup_f64 v[101:102], v[101:102], v[99:100], v[97:98]
	v_fma_f64 v[97:98], v[97:98], v[101:102], v[99:100]
	v_div_scale_f64 v[99:100], s[6:7], v[97:98], v[97:98], 1.0
	v_div_scale_f64 v[107:108], vcc, 1.0, v[97:98], 1.0
	v_rcp_f64_e32 v[103:104], v[99:100]
	v_fma_f64 v[105:106], -v[99:100], v[103:104], 1.0
	v_fma_f64 v[103:104], v[103:104], v[105:106], v[103:104]
	v_fma_f64 v[105:106], -v[99:100], v[103:104], 1.0
	v_fma_f64 v[103:104], v[103:104], v[105:106], v[103:104]
	v_mul_f64 v[105:106], v[107:108], v[103:104]
	v_fma_f64 v[99:100], -v[99:100], v[105:106], v[107:108]
	v_div_fmas_f64 v[99:100], v[99:100], v[103:104], v[105:106]
	v_div_fixup_f64 v[103:104], v[99:100], v[97:98], 1.0
                                        ; implicit-def: $vgpr97_vgpr98
	v_mul_f64 v[101:102], v[101:102], v[103:104]
	v_xor_b32_e32 v104, 0x80000000, v104
.LBB119_194:
	s_andn2_saveexec_b64 s[2:3], s[2:3]
	s_cbranch_execz .LBB119_196
; %bb.195:
	v_div_scale_f64 v[101:102], s[6:7], v[97:98], v[97:98], v[99:100]
	v_rcp_f64_e32 v[103:104], v[101:102]
	v_fma_f64 v[105:106], -v[101:102], v[103:104], 1.0
	v_fma_f64 v[103:104], v[103:104], v[105:106], v[103:104]
	v_div_scale_f64 v[105:106], vcc, v[99:100], v[97:98], v[99:100]
	v_fma_f64 v[107:108], -v[101:102], v[103:104], 1.0
	v_fma_f64 v[103:104], v[103:104], v[107:108], v[103:104]
	v_mul_f64 v[107:108], v[105:106], v[103:104]
	v_fma_f64 v[101:102], -v[101:102], v[107:108], v[105:106]
	v_div_fmas_f64 v[101:102], v[101:102], v[103:104], v[107:108]
	v_div_fixup_f64 v[103:104], v[101:102], v[97:98], v[99:100]
	v_fma_f64 v[97:98], v[99:100], v[103:104], v[97:98]
	v_div_scale_f64 v[99:100], s[6:7], v[97:98], v[97:98], 1.0
	v_div_scale_f64 v[107:108], vcc, 1.0, v[97:98], 1.0
	v_rcp_f64_e32 v[101:102], v[99:100]
	v_fma_f64 v[105:106], -v[99:100], v[101:102], 1.0
	v_fma_f64 v[101:102], v[101:102], v[105:106], v[101:102]
	v_fma_f64 v[105:106], -v[99:100], v[101:102], 1.0
	v_fma_f64 v[101:102], v[101:102], v[105:106], v[101:102]
	v_mul_f64 v[105:106], v[107:108], v[101:102]
	v_fma_f64 v[99:100], -v[99:100], v[105:106], v[107:108]
	v_div_fmas_f64 v[99:100], v[99:100], v[101:102], v[105:106]
	v_div_fixup_f64 v[101:102], v[99:100], v[97:98], 1.0
	v_mul_f64 v[103:104], v[103:104], -v[101:102]
.LBB119_196:
	s_or_b64 exec, exec, s[2:3]
	ds_write2_b64 v127, v[101:102], v[103:104] offset1:1
.LBB119_197:
	s_or_b64 exec, exec, s[4:5]
	s_waitcnt lgkmcnt(0)
	s_barrier
	ds_read2_b64 v[65:68], v127 offset1:1
	v_cmp_lt_u32_e32 vcc, 21, v0
	s_waitcnt lgkmcnt(0)
	buffer_store_dword v65, off, s[20:23], 0 offset:1560 ; 4-byte Folded Spill
	s_nop 0
	buffer_store_dword v66, off, s[20:23], 0 offset:1564 ; 4-byte Folded Spill
	buffer_store_dword v67, off, s[20:23], 0 offset:1568 ; 4-byte Folded Spill
	;; [unrolled: 1-line block ×3, first 2 shown]
	s_and_saveexec_b64 s[2:3], vcc
	s_cbranch_execz .LBB119_199
; %bb.198:
	buffer_load_dword v103, off, s[20:23], 0 offset:400 ; 4-byte Folded Reload
	buffer_load_dword v104, off, s[20:23], 0 offset:404 ; 4-byte Folded Reload
	buffer_load_dword v105, off, s[20:23], 0 offset:408 ; 4-byte Folded Reload
	buffer_load_dword v106, off, s[20:23], 0 offset:412 ; 4-byte Folded Reload
	buffer_load_dword v65, off, s[20:23], 0 offset:1560 ; 4-byte Folded Reload
	buffer_load_dword v66, off, s[20:23], 0 offset:1564 ; 4-byte Folded Reload
	buffer_load_dword v67, off, s[20:23], 0 offset:1568 ; 4-byte Folded Reload
	buffer_load_dword v68, off, s[20:23], 0 offset:1572 ; 4-byte Folded Reload
	s_waitcnt vmcnt(2)
	v_mul_f64 v[99:100], v[65:66], v[105:106]
	s_waitcnt vmcnt(0)
	v_mul_f64 v[97:98], v[67:68], v[105:106]
	v_fma_f64 v[105:106], v[67:68], v[103:104], v[99:100]
	ds_read2_b64 v[99:102], v125 offset0:44 offset1:45
	v_fma_f64 v[97:98], v[65:66], v[103:104], -v[97:98]
	buffer_load_dword v65, off, s[20:23], 0 offset:384 ; 4-byte Folded Reload
	buffer_load_dword v66, off, s[20:23], 0 offset:388 ; 4-byte Folded Reload
	buffer_load_dword v67, off, s[20:23], 0 offset:392 ; 4-byte Folded Reload
	buffer_load_dword v68, off, s[20:23], 0 offset:396 ; 4-byte Folded Reload
	s_waitcnt lgkmcnt(0)
	v_mul_f64 v[103:104], v[101:102], v[105:106]
	v_fma_f64 v[103:104], v[99:100], v[97:98], -v[103:104]
	v_mul_f64 v[99:100], v[99:100], v[105:106]
	v_fma_f64 v[99:100], v[101:102], v[97:98], v[99:100]
	s_waitcnt vmcnt(2)
	v_add_f64 v[65:66], v[65:66], -v[103:104]
	s_waitcnt vmcnt(0)
	v_add_f64 v[67:68], v[67:68], -v[99:100]
	buffer_store_dword v65, off, s[20:23], 0 offset:384 ; 4-byte Folded Spill
	s_nop 0
	buffer_store_dword v66, off, s[20:23], 0 offset:388 ; 4-byte Folded Spill
	buffer_store_dword v67, off, s[20:23], 0 offset:392 ; 4-byte Folded Spill
	buffer_store_dword v68, off, s[20:23], 0 offset:396 ; 4-byte Folded Spill
	ds_read2_b64 v[99:102], v125 offset0:46 offset1:47
	buffer_load_dword v65, off, s[20:23], 0 offset:368 ; 4-byte Folded Reload
	buffer_load_dword v66, off, s[20:23], 0 offset:372 ; 4-byte Folded Reload
	buffer_load_dword v67, off, s[20:23], 0 offset:376 ; 4-byte Folded Reload
	buffer_load_dword v68, off, s[20:23], 0 offset:380 ; 4-byte Folded Reload
	s_waitcnt lgkmcnt(0)
	v_mul_f64 v[103:104], v[101:102], v[105:106]
	v_fma_f64 v[103:104], v[99:100], v[97:98], -v[103:104]
	v_mul_f64 v[99:100], v[99:100], v[105:106]
	v_fma_f64 v[99:100], v[101:102], v[97:98], v[99:100]
	s_waitcnt vmcnt(2)
	v_add_f64 v[65:66], v[65:66], -v[103:104]
	s_waitcnt vmcnt(0)
	v_add_f64 v[67:68], v[67:68], -v[99:100]
	buffer_store_dword v65, off, s[20:23], 0 offset:368 ; 4-byte Folded Spill
	s_nop 0
	buffer_store_dword v66, off, s[20:23], 0 offset:372 ; 4-byte Folded Spill
	buffer_store_dword v67, off, s[20:23], 0 offset:376 ; 4-byte Folded Spill
	buffer_store_dword v68, off, s[20:23], 0 offset:380 ; 4-byte Folded Spill
	ds_read2_b64 v[99:102], v125 offset0:48 offset1:49
	;; [unrolled: 19-line block ×13, first 2 shown]
	s_waitcnt lgkmcnt(0)
	v_mul_f64 v[103:104], v[101:102], v[105:106]
	v_fma_f64 v[103:104], v[99:100], v[97:98], -v[103:104]
	v_mul_f64 v[99:100], v[99:100], v[105:106]
	v_add_f64 v[93:94], v[93:94], -v[103:104]
	v_fma_f64 v[99:100], v[101:102], v[97:98], v[99:100]
	v_add_f64 v[95:96], v[95:96], -v[99:100]
	ds_read2_b64 v[99:102], v125 offset0:72 offset1:73
	buffer_load_dword v41, off, s[20:23], 0 offset:176 ; 4-byte Folded Reload
	buffer_load_dword v42, off, s[20:23], 0 offset:180 ; 4-byte Folded Reload
	buffer_load_dword v43, off, s[20:23], 0 offset:184 ; 4-byte Folded Reload
	buffer_load_dword v44, off, s[20:23], 0 offset:188 ; 4-byte Folded Reload
	s_waitcnt lgkmcnt(0)
	v_mul_f64 v[103:104], v[101:102], v[105:106]
	v_fma_f64 v[103:104], v[99:100], v[97:98], -v[103:104]
	v_mul_f64 v[99:100], v[99:100], v[105:106]
	v_fma_f64 v[99:100], v[101:102], v[97:98], v[99:100]
	s_waitcnt vmcnt(2)
	v_add_f64 v[41:42], v[41:42], -v[103:104]
	s_waitcnt vmcnt(0)
	v_add_f64 v[43:44], v[43:44], -v[99:100]
	buffer_store_dword v41, off, s[20:23], 0 offset:176 ; 4-byte Folded Spill
	s_nop 0
	buffer_store_dword v42, off, s[20:23], 0 offset:180 ; 4-byte Folded Spill
	buffer_store_dword v43, off, s[20:23], 0 offset:184 ; 4-byte Folded Spill
	buffer_store_dword v44, off, s[20:23], 0 offset:188 ; 4-byte Folded Spill
	ds_read2_b64 v[99:102], v125 offset0:74 offset1:75
	buffer_load_dword v65, off, s[20:23], 0 offset:160 ; 4-byte Folded Reload
	buffer_load_dword v66, off, s[20:23], 0 offset:164 ; 4-byte Folded Reload
	buffer_load_dword v67, off, s[20:23], 0 offset:168 ; 4-byte Folded Reload
	buffer_load_dword v68, off, s[20:23], 0 offset:172 ; 4-byte Folded Reload
	s_waitcnt lgkmcnt(0)
	v_mul_f64 v[103:104], v[101:102], v[105:106]
	v_fma_f64 v[103:104], v[99:100], v[97:98], -v[103:104]
	v_mul_f64 v[99:100], v[99:100], v[105:106]
	v_fma_f64 v[99:100], v[101:102], v[97:98], v[99:100]
	s_waitcnt vmcnt(2)
	v_add_f64 v[65:66], v[65:66], -v[103:104]
	s_waitcnt vmcnt(0)
	v_add_f64 v[67:68], v[67:68], -v[99:100]
	buffer_store_dword v65, off, s[20:23], 0 offset:160 ; 4-byte Folded Spill
	s_nop 0
	buffer_store_dword v66, off, s[20:23], 0 offset:164 ; 4-byte Folded Spill
	buffer_store_dword v67, off, s[20:23], 0 offset:168 ; 4-byte Folded Spill
	buffer_store_dword v68, off, s[20:23], 0 offset:172 ; 4-byte Folded Spill
	;; [unrolled: 19-line block ×11, first 2 shown]
	ds_read2_b64 v[99:102], v125 offset0:94 offset1:95
	buffer_load_dword v45, off, s[20:23], 0 ; 4-byte Folded Reload
	buffer_load_dword v46, off, s[20:23], 0 offset:4 ; 4-byte Folded Reload
	buffer_load_dword v47, off, s[20:23], 0 offset:8 ; 4-byte Folded Reload
	;; [unrolled: 1-line block ×3, first 2 shown]
	s_waitcnt lgkmcnt(0)
	v_mul_f64 v[103:104], v[101:102], v[105:106]
	v_fma_f64 v[103:104], v[99:100], v[97:98], -v[103:104]
	v_mul_f64 v[99:100], v[99:100], v[105:106]
	v_fma_f64 v[99:100], v[101:102], v[97:98], v[99:100]
	s_waitcnt vmcnt(2)
	v_add_f64 v[45:46], v[45:46], -v[103:104]
	s_waitcnt vmcnt(0)
	v_add_f64 v[47:48], v[47:48], -v[99:100]
	buffer_store_dword v45, off, s[20:23], 0 ; 4-byte Folded Spill
	s_nop 0
	buffer_store_dword v46, off, s[20:23], 0 offset:4 ; 4-byte Folded Spill
	buffer_store_dword v47, off, s[20:23], 0 offset:8 ; 4-byte Folded Spill
	buffer_store_dword v48, off, s[20:23], 0 offset:12 ; 4-byte Folded Spill
	ds_read2_b64 v[99:102], v125 offset0:96 offset1:97
	s_waitcnt lgkmcnt(0)
	v_mul_f64 v[103:104], v[101:102], v[105:106]
	v_fma_f64 v[103:104], v[99:100], v[97:98], -v[103:104]
	v_mul_f64 v[99:100], v[99:100], v[105:106]
	v_add_f64 v[113:114], v[113:114], -v[103:104]
	v_fma_f64 v[99:100], v[101:102], v[97:98], v[99:100]
	v_add_f64 v[115:116], v[115:116], -v[99:100]
	ds_read2_b64 v[99:102], v125 offset0:98 offset1:99
	s_waitcnt lgkmcnt(0)
	v_mul_f64 v[103:104], v[101:102], v[105:106]
	v_fma_f64 v[103:104], v[99:100], v[97:98], -v[103:104]
	v_mul_f64 v[99:100], v[99:100], v[105:106]
	v_add_f64 v[37:38], v[37:38], -v[103:104]
	v_fma_f64 v[99:100], v[101:102], v[97:98], v[99:100]
	v_add_f64 v[39:40], v[39:40], -v[99:100]
	ds_read2_b64 v[99:102], v125 offset0:100 offset1:101
	s_waitcnt lgkmcnt(0)
	v_mul_f64 v[103:104], v[101:102], v[105:106]
	v_fma_f64 v[103:104], v[99:100], v[97:98], -v[103:104]
	v_mul_f64 v[99:100], v[99:100], v[105:106]
	v_add_f64 v[33:34], v[33:34], -v[103:104]
	v_fma_f64 v[99:100], v[101:102], v[97:98], v[99:100]
	v_add_f64 v[35:36], v[35:36], -v[99:100]
	ds_read2_b64 v[99:102], v125 offset0:102 offset1:103
	s_waitcnt lgkmcnt(0)
	v_mul_f64 v[103:104], v[101:102], v[105:106]
	v_fma_f64 v[103:104], v[99:100], v[97:98], -v[103:104]
	v_mul_f64 v[99:100], v[99:100], v[105:106]
	v_add_f64 v[29:30], v[29:30], -v[103:104]
	v_fma_f64 v[99:100], v[101:102], v[97:98], v[99:100]
	v_add_f64 v[31:32], v[31:32], -v[99:100]
	ds_read2_b64 v[99:102], v125 offset0:104 offset1:105
	s_waitcnt lgkmcnt(0)
	v_mul_f64 v[103:104], v[101:102], v[105:106]
	v_fma_f64 v[103:104], v[99:100], v[97:98], -v[103:104]
	v_mul_f64 v[99:100], v[99:100], v[105:106]
	v_add_f64 v[25:26], v[25:26], -v[103:104]
	v_fma_f64 v[99:100], v[101:102], v[97:98], v[99:100]
	v_add_f64 v[27:28], v[27:28], -v[99:100]
	ds_read2_b64 v[99:102], v125 offset0:106 offset1:107
	s_waitcnt lgkmcnt(0)
	v_mul_f64 v[103:104], v[101:102], v[105:106]
	v_fma_f64 v[103:104], v[99:100], v[97:98], -v[103:104]
	v_mul_f64 v[99:100], v[99:100], v[105:106]
	v_add_f64 v[21:22], v[21:22], -v[103:104]
	v_fma_f64 v[99:100], v[101:102], v[97:98], v[99:100]
	v_add_f64 v[23:24], v[23:24], -v[99:100]
	ds_read2_b64 v[99:102], v125 offset0:108 offset1:109
	s_waitcnt lgkmcnt(0)
	v_mul_f64 v[103:104], v[101:102], v[105:106]
	v_fma_f64 v[103:104], v[99:100], v[97:98], -v[103:104]
	v_mul_f64 v[99:100], v[99:100], v[105:106]
	v_add_f64 v[17:18], v[17:18], -v[103:104]
	v_fma_f64 v[99:100], v[101:102], v[97:98], v[99:100]
	v_add_f64 v[19:20], v[19:20], -v[99:100]
	ds_read2_b64 v[99:102], v125 offset0:110 offset1:111
	s_waitcnt lgkmcnt(0)
	v_mul_f64 v[103:104], v[101:102], v[105:106]
	v_fma_f64 v[103:104], v[99:100], v[97:98], -v[103:104]
	v_mul_f64 v[99:100], v[99:100], v[105:106]
	v_add_f64 v[13:14], v[13:14], -v[103:104]
	v_fma_f64 v[99:100], v[101:102], v[97:98], v[99:100]
	v_add_f64 v[15:16], v[15:16], -v[99:100]
	ds_read2_b64 v[99:102], v125 offset0:112 offset1:113
	s_waitcnt lgkmcnt(0)
	v_mul_f64 v[103:104], v[101:102], v[105:106]
	v_fma_f64 v[103:104], v[99:100], v[97:98], -v[103:104]
	v_mul_f64 v[99:100], v[99:100], v[105:106]
	v_add_f64 v[9:10], v[9:10], -v[103:104]
	v_fma_f64 v[99:100], v[101:102], v[97:98], v[99:100]
	v_add_f64 v[11:12], v[11:12], -v[99:100]
	ds_read2_b64 v[99:102], v125 offset0:114 offset1:115
	s_waitcnt lgkmcnt(0)
	v_mul_f64 v[103:104], v[101:102], v[105:106]
	v_fma_f64 v[103:104], v[99:100], v[97:98], -v[103:104]
	v_mul_f64 v[99:100], v[99:100], v[105:106]
	v_add_f64 v[5:6], v[5:6], -v[103:104]
	v_fma_f64 v[99:100], v[101:102], v[97:98], v[99:100]
	v_add_f64 v[7:8], v[7:8], -v[99:100]
	ds_read2_b64 v[99:102], v125 offset0:116 offset1:117
	s_waitcnt lgkmcnt(0)
	v_mul_f64 v[103:104], v[101:102], v[105:106]
	v_fma_f64 v[103:104], v[99:100], v[97:98], -v[103:104]
	v_mul_f64 v[99:100], v[99:100], v[105:106]
	v_add_f64 v[1:2], v[1:2], -v[103:104]
	v_fma_f64 v[99:100], v[101:102], v[97:98], v[99:100]
	v_add_f64 v[3:4], v[3:4], -v[99:100]
	ds_read2_b64 v[99:102], v125 offset0:118 offset1:119
	s_waitcnt lgkmcnt(0)
	v_mul_f64 v[103:104], v[101:102], v[105:106]
	v_fma_f64 v[103:104], v[99:100], v[97:98], -v[103:104]
	v_mul_f64 v[99:100], v[99:100], v[105:106]
	v_add_f64 v[121:122], v[121:122], -v[103:104]
	v_fma_f64 v[99:100], v[101:102], v[97:98], v[99:100]
	v_mov_b32_e32 v104, v98
	v_mov_b32_e32 v103, v97
	buffer_store_dword v103, off, s[20:23], 0 offset:400 ; 4-byte Folded Spill
	s_nop 0
	buffer_store_dword v104, off, s[20:23], 0 offset:404 ; 4-byte Folded Spill
	buffer_store_dword v105, off, s[20:23], 0 offset:408 ; 4-byte Folded Spill
	;; [unrolled: 1-line block ×3, first 2 shown]
	v_add_f64 v[123:124], v[123:124], -v[99:100]
.LBB119_199:
	s_or_b64 exec, exec, s[2:3]
	v_cmp_eq_u32_e32 vcc, 22, v0
	s_waitcnt vmcnt(0)
	s_barrier
	s_and_saveexec_b64 s[4:5], vcc
	s_cbranch_execz .LBB119_206
; %bb.200:
	buffer_load_dword v65, off, s[20:23], 0 offset:384 ; 4-byte Folded Reload
	buffer_load_dword v66, off, s[20:23], 0 offset:388 ; 4-byte Folded Reload
	;; [unrolled: 1-line block ×4, first 2 shown]
	s_waitcnt vmcnt(0)
	ds_write2_b64 v127, v[65:66], v[67:68] offset1:1
	buffer_load_dword v65, off, s[20:23], 0 offset:368 ; 4-byte Folded Reload
	buffer_load_dword v66, off, s[20:23], 0 offset:372 ; 4-byte Folded Reload
	buffer_load_dword v67, off, s[20:23], 0 offset:376 ; 4-byte Folded Reload
	buffer_load_dword v68, off, s[20:23], 0 offset:380 ; 4-byte Folded Reload
	s_waitcnt vmcnt(0)
	ds_write2_b64 v125, v[65:66], v[67:68] offset0:46 offset1:47
	buffer_load_dword v65, off, s[20:23], 0 offset:352 ; 4-byte Folded Reload
	buffer_load_dword v66, off, s[20:23], 0 offset:356 ; 4-byte Folded Reload
	buffer_load_dword v67, off, s[20:23], 0 offset:360 ; 4-byte Folded Reload
	buffer_load_dword v68, off, s[20:23], 0 offset:364 ; 4-byte Folded Reload
	s_waitcnt vmcnt(0)
	ds_write2_b64 v125, v[65:66], v[67:68] offset0:48 offset1:49
	;; [unrolled: 6-line block ×12, first 2 shown]
	ds_write2_b64 v125, v[93:94], v[95:96] offset0:70 offset1:71
	buffer_load_dword v41, off, s[20:23], 0 offset:176 ; 4-byte Folded Reload
	buffer_load_dword v42, off, s[20:23], 0 offset:180 ; 4-byte Folded Reload
	buffer_load_dword v43, off, s[20:23], 0 offset:184 ; 4-byte Folded Reload
	buffer_load_dword v44, off, s[20:23], 0 offset:188 ; 4-byte Folded Reload
	s_waitcnt vmcnt(0)
	ds_write2_b64 v125, v[41:42], v[43:44] offset0:72 offset1:73
	buffer_load_dword v65, off, s[20:23], 0 offset:160 ; 4-byte Folded Reload
	buffer_load_dword v66, off, s[20:23], 0 offset:164 ; 4-byte Folded Reload
	buffer_load_dword v67, off, s[20:23], 0 offset:168 ; 4-byte Folded Reload
	buffer_load_dword v68, off, s[20:23], 0 offset:172 ; 4-byte Folded Reload
	s_waitcnt vmcnt(0)
	;; [unrolled: 6-line block ×11, first 2 shown]
	ds_write2_b64 v125, v[49:50], v[51:52] offset0:92 offset1:93
	buffer_load_dword v45, off, s[20:23], 0 ; 4-byte Folded Reload
	buffer_load_dword v46, off, s[20:23], 0 offset:4 ; 4-byte Folded Reload
	buffer_load_dword v47, off, s[20:23], 0 offset:8 ; 4-byte Folded Reload
	;; [unrolled: 1-line block ×3, first 2 shown]
	s_waitcnt vmcnt(0)
	ds_write2_b64 v125, v[45:46], v[47:48] offset0:94 offset1:95
	ds_write2_b64 v125, v[113:114], v[115:116] offset0:96 offset1:97
	;; [unrolled: 1-line block ×13, first 2 shown]
	ds_read2_b64 v[97:100], v127 offset1:1
	s_waitcnt lgkmcnt(0)
	v_cmp_neq_f64_e32 vcc, 0, v[97:98]
	v_cmp_neq_f64_e64 s[2:3], 0, v[99:100]
	s_or_b64 s[2:3], vcc, s[2:3]
	s_and_b64 exec, exec, s[2:3]
	s_cbranch_execz .LBB119_206
; %bb.201:
	v_cmp_ngt_f64_e64 s[2:3], |v[97:98]|, |v[99:100]|
                                        ; implicit-def: $vgpr101_vgpr102
	s_and_saveexec_b64 s[6:7], s[2:3]
	s_xor_b64 s[2:3], exec, s[6:7]
                                        ; implicit-def: $vgpr103_vgpr104
	s_cbranch_execz .LBB119_203
; %bb.202:
	v_div_scale_f64 v[101:102], s[6:7], v[99:100], v[99:100], v[97:98]
	v_rcp_f64_e32 v[103:104], v[101:102]
	v_fma_f64 v[105:106], -v[101:102], v[103:104], 1.0
	v_fma_f64 v[103:104], v[103:104], v[105:106], v[103:104]
	v_div_scale_f64 v[105:106], vcc, v[97:98], v[99:100], v[97:98]
	v_fma_f64 v[107:108], -v[101:102], v[103:104], 1.0
	v_fma_f64 v[103:104], v[103:104], v[107:108], v[103:104]
	v_mul_f64 v[107:108], v[105:106], v[103:104]
	v_fma_f64 v[101:102], -v[101:102], v[107:108], v[105:106]
	v_div_fmas_f64 v[101:102], v[101:102], v[103:104], v[107:108]
	v_div_fixup_f64 v[101:102], v[101:102], v[99:100], v[97:98]
	v_fma_f64 v[97:98], v[97:98], v[101:102], v[99:100]
	v_div_scale_f64 v[99:100], s[6:7], v[97:98], v[97:98], 1.0
	v_div_scale_f64 v[107:108], vcc, 1.0, v[97:98], 1.0
	v_rcp_f64_e32 v[103:104], v[99:100]
	v_fma_f64 v[105:106], -v[99:100], v[103:104], 1.0
	v_fma_f64 v[103:104], v[103:104], v[105:106], v[103:104]
	v_fma_f64 v[105:106], -v[99:100], v[103:104], 1.0
	v_fma_f64 v[103:104], v[103:104], v[105:106], v[103:104]
	v_mul_f64 v[105:106], v[107:108], v[103:104]
	v_fma_f64 v[99:100], -v[99:100], v[105:106], v[107:108]
	v_div_fmas_f64 v[99:100], v[99:100], v[103:104], v[105:106]
	v_div_fixup_f64 v[103:104], v[99:100], v[97:98], 1.0
                                        ; implicit-def: $vgpr97_vgpr98
	v_mul_f64 v[101:102], v[101:102], v[103:104]
	v_xor_b32_e32 v104, 0x80000000, v104
.LBB119_203:
	s_andn2_saveexec_b64 s[2:3], s[2:3]
	s_cbranch_execz .LBB119_205
; %bb.204:
	v_div_scale_f64 v[101:102], s[6:7], v[97:98], v[97:98], v[99:100]
	v_rcp_f64_e32 v[103:104], v[101:102]
	v_fma_f64 v[105:106], -v[101:102], v[103:104], 1.0
	v_fma_f64 v[103:104], v[103:104], v[105:106], v[103:104]
	v_div_scale_f64 v[105:106], vcc, v[99:100], v[97:98], v[99:100]
	v_fma_f64 v[107:108], -v[101:102], v[103:104], 1.0
	v_fma_f64 v[103:104], v[103:104], v[107:108], v[103:104]
	v_mul_f64 v[107:108], v[105:106], v[103:104]
	v_fma_f64 v[101:102], -v[101:102], v[107:108], v[105:106]
	v_div_fmas_f64 v[101:102], v[101:102], v[103:104], v[107:108]
	v_div_fixup_f64 v[103:104], v[101:102], v[97:98], v[99:100]
	v_fma_f64 v[97:98], v[99:100], v[103:104], v[97:98]
	v_div_scale_f64 v[99:100], s[6:7], v[97:98], v[97:98], 1.0
	v_div_scale_f64 v[107:108], vcc, 1.0, v[97:98], 1.0
	v_rcp_f64_e32 v[101:102], v[99:100]
	v_fma_f64 v[105:106], -v[99:100], v[101:102], 1.0
	v_fma_f64 v[101:102], v[101:102], v[105:106], v[101:102]
	v_fma_f64 v[105:106], -v[99:100], v[101:102], 1.0
	v_fma_f64 v[101:102], v[101:102], v[105:106], v[101:102]
	v_mul_f64 v[105:106], v[107:108], v[101:102]
	v_fma_f64 v[99:100], -v[99:100], v[105:106], v[107:108]
	v_div_fmas_f64 v[99:100], v[99:100], v[101:102], v[105:106]
	v_div_fixup_f64 v[101:102], v[99:100], v[97:98], 1.0
	v_mul_f64 v[103:104], v[103:104], -v[101:102]
.LBB119_205:
	s_or_b64 exec, exec, s[2:3]
	ds_write2_b64 v127, v[101:102], v[103:104] offset1:1
.LBB119_206:
	s_or_b64 exec, exec, s[4:5]
	s_waitcnt lgkmcnt(0)
	s_barrier
	ds_read2_b64 v[65:68], v127 offset1:1
	v_cmp_lt_u32_e32 vcc, 22, v0
	s_waitcnt lgkmcnt(0)
	buffer_store_dword v65, off, s[20:23], 0 offset:1576 ; 4-byte Folded Spill
	s_nop 0
	buffer_store_dword v66, off, s[20:23], 0 offset:1580 ; 4-byte Folded Spill
	buffer_store_dword v67, off, s[20:23], 0 offset:1584 ; 4-byte Folded Spill
	buffer_store_dword v68, off, s[20:23], 0 offset:1588 ; 4-byte Folded Spill
	s_and_saveexec_b64 s[2:3], vcc
	s_cbranch_execz .LBB119_208
; %bb.207:
	buffer_load_dword v103, off, s[20:23], 0 offset:384 ; 4-byte Folded Reload
	buffer_load_dword v104, off, s[20:23], 0 offset:388 ; 4-byte Folded Reload
	;; [unrolled: 1-line block ×8, first 2 shown]
	s_waitcnt vmcnt(2)
	v_mul_f64 v[99:100], v[65:66], v[105:106]
	s_waitcnt vmcnt(0)
	v_mul_f64 v[97:98], v[67:68], v[105:106]
	v_fma_f64 v[105:106], v[67:68], v[103:104], v[99:100]
	ds_read2_b64 v[99:102], v125 offset0:46 offset1:47
	v_fma_f64 v[97:98], v[65:66], v[103:104], -v[97:98]
	buffer_load_dword v65, off, s[20:23], 0 offset:368 ; 4-byte Folded Reload
	buffer_load_dword v66, off, s[20:23], 0 offset:372 ; 4-byte Folded Reload
	buffer_load_dword v67, off, s[20:23], 0 offset:376 ; 4-byte Folded Reload
	buffer_load_dword v68, off, s[20:23], 0 offset:380 ; 4-byte Folded Reload
	s_waitcnt lgkmcnt(0)
	v_mul_f64 v[103:104], v[101:102], v[105:106]
	v_fma_f64 v[103:104], v[99:100], v[97:98], -v[103:104]
	v_mul_f64 v[99:100], v[99:100], v[105:106]
	v_fma_f64 v[99:100], v[101:102], v[97:98], v[99:100]
	s_waitcnt vmcnt(2)
	v_add_f64 v[65:66], v[65:66], -v[103:104]
	s_waitcnt vmcnt(0)
	v_add_f64 v[67:68], v[67:68], -v[99:100]
	buffer_store_dword v65, off, s[20:23], 0 offset:368 ; 4-byte Folded Spill
	s_nop 0
	buffer_store_dword v66, off, s[20:23], 0 offset:372 ; 4-byte Folded Spill
	buffer_store_dword v67, off, s[20:23], 0 offset:376 ; 4-byte Folded Spill
	buffer_store_dword v68, off, s[20:23], 0 offset:380 ; 4-byte Folded Spill
	ds_read2_b64 v[99:102], v125 offset0:48 offset1:49
	buffer_load_dword v65, off, s[20:23], 0 offset:352 ; 4-byte Folded Reload
	buffer_load_dword v66, off, s[20:23], 0 offset:356 ; 4-byte Folded Reload
	buffer_load_dword v67, off, s[20:23], 0 offset:360 ; 4-byte Folded Reload
	buffer_load_dword v68, off, s[20:23], 0 offset:364 ; 4-byte Folded Reload
	s_waitcnt lgkmcnt(0)
	v_mul_f64 v[103:104], v[101:102], v[105:106]
	v_fma_f64 v[103:104], v[99:100], v[97:98], -v[103:104]
	v_mul_f64 v[99:100], v[99:100], v[105:106]
	v_fma_f64 v[99:100], v[101:102], v[97:98], v[99:100]
	s_waitcnt vmcnt(2)
	v_add_f64 v[65:66], v[65:66], -v[103:104]
	s_waitcnt vmcnt(0)
	v_add_f64 v[67:68], v[67:68], -v[99:100]
	buffer_store_dword v65, off, s[20:23], 0 offset:352 ; 4-byte Folded Spill
	s_nop 0
	buffer_store_dword v66, off, s[20:23], 0 offset:356 ; 4-byte Folded Spill
	buffer_store_dword v67, off, s[20:23], 0 offset:360 ; 4-byte Folded Spill
	buffer_store_dword v68, off, s[20:23], 0 offset:364 ; 4-byte Folded Spill
	ds_read2_b64 v[99:102], v125 offset0:50 offset1:51
	;; [unrolled: 19-line block ×12, first 2 shown]
	s_waitcnt lgkmcnt(0)
	v_mul_f64 v[103:104], v[101:102], v[105:106]
	v_fma_f64 v[103:104], v[99:100], v[97:98], -v[103:104]
	v_mul_f64 v[99:100], v[99:100], v[105:106]
	v_add_f64 v[93:94], v[93:94], -v[103:104]
	v_fma_f64 v[99:100], v[101:102], v[97:98], v[99:100]
	v_add_f64 v[95:96], v[95:96], -v[99:100]
	ds_read2_b64 v[99:102], v125 offset0:72 offset1:73
	buffer_load_dword v41, off, s[20:23], 0 offset:176 ; 4-byte Folded Reload
	buffer_load_dword v42, off, s[20:23], 0 offset:180 ; 4-byte Folded Reload
	buffer_load_dword v43, off, s[20:23], 0 offset:184 ; 4-byte Folded Reload
	buffer_load_dword v44, off, s[20:23], 0 offset:188 ; 4-byte Folded Reload
	s_waitcnt lgkmcnt(0)
	v_mul_f64 v[103:104], v[101:102], v[105:106]
	v_fma_f64 v[103:104], v[99:100], v[97:98], -v[103:104]
	v_mul_f64 v[99:100], v[99:100], v[105:106]
	v_fma_f64 v[99:100], v[101:102], v[97:98], v[99:100]
	s_waitcnt vmcnt(2)
	v_add_f64 v[41:42], v[41:42], -v[103:104]
	s_waitcnt vmcnt(0)
	v_add_f64 v[43:44], v[43:44], -v[99:100]
	buffer_store_dword v41, off, s[20:23], 0 offset:176 ; 4-byte Folded Spill
	s_nop 0
	buffer_store_dword v42, off, s[20:23], 0 offset:180 ; 4-byte Folded Spill
	buffer_store_dword v43, off, s[20:23], 0 offset:184 ; 4-byte Folded Spill
	buffer_store_dword v44, off, s[20:23], 0 offset:188 ; 4-byte Folded Spill
	ds_read2_b64 v[99:102], v125 offset0:74 offset1:75
	buffer_load_dword v65, off, s[20:23], 0 offset:160 ; 4-byte Folded Reload
	buffer_load_dword v66, off, s[20:23], 0 offset:164 ; 4-byte Folded Reload
	buffer_load_dword v67, off, s[20:23], 0 offset:168 ; 4-byte Folded Reload
	buffer_load_dword v68, off, s[20:23], 0 offset:172 ; 4-byte Folded Reload
	s_waitcnt lgkmcnt(0)
	v_mul_f64 v[103:104], v[101:102], v[105:106]
	v_fma_f64 v[103:104], v[99:100], v[97:98], -v[103:104]
	v_mul_f64 v[99:100], v[99:100], v[105:106]
	v_fma_f64 v[99:100], v[101:102], v[97:98], v[99:100]
	s_waitcnt vmcnt(2)
	v_add_f64 v[65:66], v[65:66], -v[103:104]
	s_waitcnt vmcnt(0)
	v_add_f64 v[67:68], v[67:68], -v[99:100]
	buffer_store_dword v65, off, s[20:23], 0 offset:160 ; 4-byte Folded Spill
	s_nop 0
	buffer_store_dword v66, off, s[20:23], 0 offset:164 ; 4-byte Folded Spill
	buffer_store_dword v67, off, s[20:23], 0 offset:168 ; 4-byte Folded Spill
	buffer_store_dword v68, off, s[20:23], 0 offset:172 ; 4-byte Folded Spill
	;; [unrolled: 19-line block ×11, first 2 shown]
	ds_read2_b64 v[99:102], v125 offset0:94 offset1:95
	buffer_load_dword v45, off, s[20:23], 0 ; 4-byte Folded Reload
	buffer_load_dword v46, off, s[20:23], 0 offset:4 ; 4-byte Folded Reload
	buffer_load_dword v47, off, s[20:23], 0 offset:8 ; 4-byte Folded Reload
	;; [unrolled: 1-line block ×3, first 2 shown]
	s_waitcnt lgkmcnt(0)
	v_mul_f64 v[103:104], v[101:102], v[105:106]
	v_fma_f64 v[103:104], v[99:100], v[97:98], -v[103:104]
	v_mul_f64 v[99:100], v[99:100], v[105:106]
	v_fma_f64 v[99:100], v[101:102], v[97:98], v[99:100]
	s_waitcnt vmcnt(2)
	v_add_f64 v[45:46], v[45:46], -v[103:104]
	s_waitcnt vmcnt(0)
	v_add_f64 v[47:48], v[47:48], -v[99:100]
	buffer_store_dword v45, off, s[20:23], 0 ; 4-byte Folded Spill
	s_nop 0
	buffer_store_dword v46, off, s[20:23], 0 offset:4 ; 4-byte Folded Spill
	buffer_store_dword v47, off, s[20:23], 0 offset:8 ; 4-byte Folded Spill
	;; [unrolled: 1-line block ×3, first 2 shown]
	ds_read2_b64 v[99:102], v125 offset0:96 offset1:97
	s_waitcnt lgkmcnt(0)
	v_mul_f64 v[103:104], v[101:102], v[105:106]
	v_fma_f64 v[103:104], v[99:100], v[97:98], -v[103:104]
	v_mul_f64 v[99:100], v[99:100], v[105:106]
	v_add_f64 v[113:114], v[113:114], -v[103:104]
	v_fma_f64 v[99:100], v[101:102], v[97:98], v[99:100]
	v_add_f64 v[115:116], v[115:116], -v[99:100]
	ds_read2_b64 v[99:102], v125 offset0:98 offset1:99
	s_waitcnt lgkmcnt(0)
	v_mul_f64 v[103:104], v[101:102], v[105:106]
	v_fma_f64 v[103:104], v[99:100], v[97:98], -v[103:104]
	v_mul_f64 v[99:100], v[99:100], v[105:106]
	v_add_f64 v[37:38], v[37:38], -v[103:104]
	v_fma_f64 v[99:100], v[101:102], v[97:98], v[99:100]
	v_add_f64 v[39:40], v[39:40], -v[99:100]
	;; [unrolled: 8-line block ×11, first 2 shown]
	ds_read2_b64 v[99:102], v125 offset0:118 offset1:119
	s_waitcnt lgkmcnt(0)
	v_mul_f64 v[103:104], v[101:102], v[105:106]
	v_fma_f64 v[103:104], v[99:100], v[97:98], -v[103:104]
	v_mul_f64 v[99:100], v[99:100], v[105:106]
	v_add_f64 v[121:122], v[121:122], -v[103:104]
	v_fma_f64 v[99:100], v[101:102], v[97:98], v[99:100]
	v_mov_b32_e32 v104, v98
	v_mov_b32_e32 v103, v97
	buffer_store_dword v103, off, s[20:23], 0 offset:384 ; 4-byte Folded Spill
	s_nop 0
	buffer_store_dword v104, off, s[20:23], 0 offset:388 ; 4-byte Folded Spill
	buffer_store_dword v105, off, s[20:23], 0 offset:392 ; 4-byte Folded Spill
	;; [unrolled: 1-line block ×3, first 2 shown]
	v_add_f64 v[123:124], v[123:124], -v[99:100]
.LBB119_208:
	s_or_b64 exec, exec, s[2:3]
	v_cmp_eq_u32_e32 vcc, 23, v0
	s_waitcnt vmcnt(0)
	s_barrier
	s_and_saveexec_b64 s[4:5], vcc
	s_cbranch_execz .LBB119_215
; %bb.209:
	buffer_load_dword v65, off, s[20:23], 0 offset:368 ; 4-byte Folded Reload
	buffer_load_dword v66, off, s[20:23], 0 offset:372 ; 4-byte Folded Reload
	;; [unrolled: 1-line block ×4, first 2 shown]
	s_waitcnt vmcnt(0)
	ds_write2_b64 v127, v[65:66], v[67:68] offset1:1
	buffer_load_dword v65, off, s[20:23], 0 offset:352 ; 4-byte Folded Reload
	buffer_load_dword v66, off, s[20:23], 0 offset:356 ; 4-byte Folded Reload
	buffer_load_dword v67, off, s[20:23], 0 offset:360 ; 4-byte Folded Reload
	buffer_load_dword v68, off, s[20:23], 0 offset:364 ; 4-byte Folded Reload
	s_waitcnt vmcnt(0)
	ds_write2_b64 v125, v[65:66], v[67:68] offset0:48 offset1:49
	buffer_load_dword v65, off, s[20:23], 0 offset:336 ; 4-byte Folded Reload
	buffer_load_dword v66, off, s[20:23], 0 offset:340 ; 4-byte Folded Reload
	buffer_load_dword v67, off, s[20:23], 0 offset:344 ; 4-byte Folded Reload
	buffer_load_dword v68, off, s[20:23], 0 offset:348 ; 4-byte Folded Reload
	s_waitcnt vmcnt(0)
	ds_write2_b64 v125, v[65:66], v[67:68] offset0:50 offset1:51
	;; [unrolled: 6-line block ×11, first 2 shown]
	ds_write2_b64 v125, v[93:94], v[95:96] offset0:70 offset1:71
	buffer_load_dword v41, off, s[20:23], 0 offset:176 ; 4-byte Folded Reload
	buffer_load_dword v42, off, s[20:23], 0 offset:180 ; 4-byte Folded Reload
	buffer_load_dword v43, off, s[20:23], 0 offset:184 ; 4-byte Folded Reload
	buffer_load_dword v44, off, s[20:23], 0 offset:188 ; 4-byte Folded Reload
	s_waitcnt vmcnt(0)
	ds_write2_b64 v125, v[41:42], v[43:44] offset0:72 offset1:73
	buffer_load_dword v65, off, s[20:23], 0 offset:160 ; 4-byte Folded Reload
	buffer_load_dword v66, off, s[20:23], 0 offset:164 ; 4-byte Folded Reload
	buffer_load_dword v67, off, s[20:23], 0 offset:168 ; 4-byte Folded Reload
	buffer_load_dword v68, off, s[20:23], 0 offset:172 ; 4-byte Folded Reload
	s_waitcnt vmcnt(0)
	ds_write2_b64 v125, v[65:66], v[67:68] offset0:74 offset1:75
	buffer_load_dword v65, off, s[20:23], 0 offset:144 ; 4-byte Folded Reload
	buffer_load_dword v66, off, s[20:23], 0 offset:148 ; 4-byte Folded Reload
	buffer_load_dword v67, off, s[20:23], 0 offset:152 ; 4-byte Folded Reload
	buffer_load_dword v68, off, s[20:23], 0 offset:156 ; 4-byte Folded Reload
	s_waitcnt vmcnt(0)
	ds_write2_b64 v125, v[65:66], v[67:68] offset0:76 offset1:77
	buffer_load_dword v65, off, s[20:23], 0 offset:128 ; 4-byte Folded Reload
	buffer_load_dword v66, off, s[20:23], 0 offset:132 ; 4-byte Folded Reload
	buffer_load_dword v67, off, s[20:23], 0 offset:136 ; 4-byte Folded Reload
	buffer_load_dword v68, off, s[20:23], 0 offset:140 ; 4-byte Folded Reload
	s_waitcnt vmcnt(0)
	ds_write2_b64 v125, v[65:66], v[67:68] offset0:78 offset1:79
	buffer_load_dword v65, off, s[20:23], 0 offset:112 ; 4-byte Folded Reload
	buffer_load_dword v66, off, s[20:23], 0 offset:116 ; 4-byte Folded Reload
	buffer_load_dword v67, off, s[20:23], 0 offset:120 ; 4-byte Folded Reload
	buffer_load_dword v68, off, s[20:23], 0 offset:124 ; 4-byte Folded Reload
	s_waitcnt vmcnt(0)
	ds_write2_b64 v125, v[65:66], v[67:68] offset0:80 offset1:81
	buffer_load_dword v65, off, s[20:23], 0 offset:96 ; 4-byte Folded Reload
	buffer_load_dword v66, off, s[20:23], 0 offset:100 ; 4-byte Folded Reload
	buffer_load_dword v67, off, s[20:23], 0 offset:104 ; 4-byte Folded Reload
	buffer_load_dword v68, off, s[20:23], 0 offset:108 ; 4-byte Folded Reload
	s_waitcnt vmcnt(0)
	ds_write2_b64 v125, v[65:66], v[67:68] offset0:82 offset1:83
	buffer_load_dword v65, off, s[20:23], 0 offset:80 ; 4-byte Folded Reload
	buffer_load_dword v66, off, s[20:23], 0 offset:84 ; 4-byte Folded Reload
	buffer_load_dword v67, off, s[20:23], 0 offset:88 ; 4-byte Folded Reload
	buffer_load_dword v68, off, s[20:23], 0 offset:92 ; 4-byte Folded Reload
	s_waitcnt vmcnt(0)
	ds_write2_b64 v125, v[65:66], v[67:68] offset0:84 offset1:85
	buffer_load_dword v61, off, s[20:23], 0 offset:64 ; 4-byte Folded Reload
	buffer_load_dword v62, off, s[20:23], 0 offset:68 ; 4-byte Folded Reload
	buffer_load_dword v63, off, s[20:23], 0 offset:72 ; 4-byte Folded Reload
	buffer_load_dword v64, off, s[20:23], 0 offset:76 ; 4-byte Folded Reload
	s_waitcnt vmcnt(0)
	ds_write2_b64 v125, v[61:62], v[63:64] offset0:86 offset1:87
	buffer_load_dword v57, off, s[20:23], 0 offset:48 ; 4-byte Folded Reload
	buffer_load_dword v58, off, s[20:23], 0 offset:52 ; 4-byte Folded Reload
	buffer_load_dword v59, off, s[20:23], 0 offset:56 ; 4-byte Folded Reload
	buffer_load_dword v60, off, s[20:23], 0 offset:60 ; 4-byte Folded Reload
	s_waitcnt vmcnt(0)
	ds_write2_b64 v125, v[57:58], v[59:60] offset0:88 offset1:89
	buffer_load_dword v53, off, s[20:23], 0 offset:32 ; 4-byte Folded Reload
	buffer_load_dword v54, off, s[20:23], 0 offset:36 ; 4-byte Folded Reload
	buffer_load_dword v55, off, s[20:23], 0 offset:40 ; 4-byte Folded Reload
	buffer_load_dword v56, off, s[20:23], 0 offset:44 ; 4-byte Folded Reload
	s_waitcnt vmcnt(0)
	ds_write2_b64 v125, v[53:54], v[55:56] offset0:90 offset1:91
	buffer_load_dword v49, off, s[20:23], 0 offset:16 ; 4-byte Folded Reload
	buffer_load_dword v50, off, s[20:23], 0 offset:20 ; 4-byte Folded Reload
	buffer_load_dword v51, off, s[20:23], 0 offset:24 ; 4-byte Folded Reload
	buffer_load_dword v52, off, s[20:23], 0 offset:28 ; 4-byte Folded Reload
	s_waitcnt vmcnt(0)
	ds_write2_b64 v125, v[49:50], v[51:52] offset0:92 offset1:93
	buffer_load_dword v45, off, s[20:23], 0 ; 4-byte Folded Reload
	buffer_load_dword v46, off, s[20:23], 0 offset:4 ; 4-byte Folded Reload
	buffer_load_dword v47, off, s[20:23], 0 offset:8 ; 4-byte Folded Reload
	;; [unrolled: 1-line block ×3, first 2 shown]
	s_waitcnt vmcnt(0)
	ds_write2_b64 v125, v[45:46], v[47:48] offset0:94 offset1:95
	ds_write2_b64 v125, v[113:114], v[115:116] offset0:96 offset1:97
	;; [unrolled: 1-line block ×13, first 2 shown]
	ds_read2_b64 v[97:100], v127 offset1:1
	s_waitcnt lgkmcnt(0)
	v_cmp_neq_f64_e32 vcc, 0, v[97:98]
	v_cmp_neq_f64_e64 s[2:3], 0, v[99:100]
	s_or_b64 s[2:3], vcc, s[2:3]
	s_and_b64 exec, exec, s[2:3]
	s_cbranch_execz .LBB119_215
; %bb.210:
	v_cmp_ngt_f64_e64 s[2:3], |v[97:98]|, |v[99:100]|
                                        ; implicit-def: $vgpr101_vgpr102
	s_and_saveexec_b64 s[6:7], s[2:3]
	s_xor_b64 s[2:3], exec, s[6:7]
                                        ; implicit-def: $vgpr103_vgpr104
	s_cbranch_execz .LBB119_212
; %bb.211:
	v_div_scale_f64 v[101:102], s[6:7], v[99:100], v[99:100], v[97:98]
	v_rcp_f64_e32 v[103:104], v[101:102]
	v_fma_f64 v[105:106], -v[101:102], v[103:104], 1.0
	v_fma_f64 v[103:104], v[103:104], v[105:106], v[103:104]
	v_div_scale_f64 v[105:106], vcc, v[97:98], v[99:100], v[97:98]
	v_fma_f64 v[107:108], -v[101:102], v[103:104], 1.0
	v_fma_f64 v[103:104], v[103:104], v[107:108], v[103:104]
	v_mul_f64 v[107:108], v[105:106], v[103:104]
	v_fma_f64 v[101:102], -v[101:102], v[107:108], v[105:106]
	v_div_fmas_f64 v[101:102], v[101:102], v[103:104], v[107:108]
	v_div_fixup_f64 v[101:102], v[101:102], v[99:100], v[97:98]
	v_fma_f64 v[97:98], v[97:98], v[101:102], v[99:100]
	v_div_scale_f64 v[99:100], s[6:7], v[97:98], v[97:98], 1.0
	v_div_scale_f64 v[107:108], vcc, 1.0, v[97:98], 1.0
	v_rcp_f64_e32 v[103:104], v[99:100]
	v_fma_f64 v[105:106], -v[99:100], v[103:104], 1.0
	v_fma_f64 v[103:104], v[103:104], v[105:106], v[103:104]
	v_fma_f64 v[105:106], -v[99:100], v[103:104], 1.0
	v_fma_f64 v[103:104], v[103:104], v[105:106], v[103:104]
	v_mul_f64 v[105:106], v[107:108], v[103:104]
	v_fma_f64 v[99:100], -v[99:100], v[105:106], v[107:108]
	v_div_fmas_f64 v[99:100], v[99:100], v[103:104], v[105:106]
	v_div_fixup_f64 v[103:104], v[99:100], v[97:98], 1.0
                                        ; implicit-def: $vgpr97_vgpr98
	v_mul_f64 v[101:102], v[101:102], v[103:104]
	v_xor_b32_e32 v104, 0x80000000, v104
.LBB119_212:
	s_andn2_saveexec_b64 s[2:3], s[2:3]
	s_cbranch_execz .LBB119_214
; %bb.213:
	v_div_scale_f64 v[101:102], s[6:7], v[97:98], v[97:98], v[99:100]
	v_rcp_f64_e32 v[103:104], v[101:102]
	v_fma_f64 v[105:106], -v[101:102], v[103:104], 1.0
	v_fma_f64 v[103:104], v[103:104], v[105:106], v[103:104]
	v_div_scale_f64 v[105:106], vcc, v[99:100], v[97:98], v[99:100]
	v_fma_f64 v[107:108], -v[101:102], v[103:104], 1.0
	v_fma_f64 v[103:104], v[103:104], v[107:108], v[103:104]
	v_mul_f64 v[107:108], v[105:106], v[103:104]
	v_fma_f64 v[101:102], -v[101:102], v[107:108], v[105:106]
	v_div_fmas_f64 v[101:102], v[101:102], v[103:104], v[107:108]
	v_div_fixup_f64 v[103:104], v[101:102], v[97:98], v[99:100]
	v_fma_f64 v[97:98], v[99:100], v[103:104], v[97:98]
	v_div_scale_f64 v[99:100], s[6:7], v[97:98], v[97:98], 1.0
	v_div_scale_f64 v[107:108], vcc, 1.0, v[97:98], 1.0
	v_rcp_f64_e32 v[101:102], v[99:100]
	v_fma_f64 v[105:106], -v[99:100], v[101:102], 1.0
	v_fma_f64 v[101:102], v[101:102], v[105:106], v[101:102]
	v_fma_f64 v[105:106], -v[99:100], v[101:102], 1.0
	v_fma_f64 v[101:102], v[101:102], v[105:106], v[101:102]
	v_mul_f64 v[105:106], v[107:108], v[101:102]
	v_fma_f64 v[99:100], -v[99:100], v[105:106], v[107:108]
	v_div_fmas_f64 v[99:100], v[99:100], v[101:102], v[105:106]
	v_div_fixup_f64 v[101:102], v[99:100], v[97:98], 1.0
	v_mul_f64 v[103:104], v[103:104], -v[101:102]
.LBB119_214:
	s_or_b64 exec, exec, s[2:3]
	ds_write2_b64 v127, v[101:102], v[103:104] offset1:1
.LBB119_215:
	s_or_b64 exec, exec, s[4:5]
	s_waitcnt lgkmcnt(0)
	s_barrier
	ds_read2_b64 v[65:68], v127 offset1:1
	v_cmp_lt_u32_e32 vcc, 23, v0
	s_waitcnt lgkmcnt(0)
	buffer_store_dword v65, off, s[20:23], 0 offset:1592 ; 4-byte Folded Spill
	s_nop 0
	buffer_store_dword v66, off, s[20:23], 0 offset:1596 ; 4-byte Folded Spill
	buffer_store_dword v67, off, s[20:23], 0 offset:1600 ; 4-byte Folded Spill
	;; [unrolled: 1-line block ×3, first 2 shown]
	s_and_saveexec_b64 s[2:3], vcc
	s_cbranch_execz .LBB119_217
; %bb.216:
	buffer_load_dword v103, off, s[20:23], 0 offset:368 ; 4-byte Folded Reload
	buffer_load_dword v104, off, s[20:23], 0 offset:372 ; 4-byte Folded Reload
	;; [unrolled: 1-line block ×8, first 2 shown]
	s_waitcnt vmcnt(2)
	v_mul_f64 v[99:100], v[65:66], v[105:106]
	s_waitcnt vmcnt(0)
	v_mul_f64 v[97:98], v[67:68], v[105:106]
	v_fma_f64 v[105:106], v[67:68], v[103:104], v[99:100]
	ds_read2_b64 v[99:102], v125 offset0:48 offset1:49
	v_fma_f64 v[97:98], v[65:66], v[103:104], -v[97:98]
	buffer_load_dword v65, off, s[20:23], 0 offset:352 ; 4-byte Folded Reload
	buffer_load_dword v66, off, s[20:23], 0 offset:356 ; 4-byte Folded Reload
	buffer_load_dword v67, off, s[20:23], 0 offset:360 ; 4-byte Folded Reload
	buffer_load_dword v68, off, s[20:23], 0 offset:364 ; 4-byte Folded Reload
	s_waitcnt lgkmcnt(0)
	v_mul_f64 v[103:104], v[101:102], v[105:106]
	v_fma_f64 v[103:104], v[99:100], v[97:98], -v[103:104]
	v_mul_f64 v[99:100], v[99:100], v[105:106]
	v_fma_f64 v[99:100], v[101:102], v[97:98], v[99:100]
	s_waitcnt vmcnt(2)
	v_add_f64 v[65:66], v[65:66], -v[103:104]
	s_waitcnt vmcnt(0)
	v_add_f64 v[67:68], v[67:68], -v[99:100]
	buffer_store_dword v65, off, s[20:23], 0 offset:352 ; 4-byte Folded Spill
	s_nop 0
	buffer_store_dword v66, off, s[20:23], 0 offset:356 ; 4-byte Folded Spill
	buffer_store_dword v67, off, s[20:23], 0 offset:360 ; 4-byte Folded Spill
	buffer_store_dword v68, off, s[20:23], 0 offset:364 ; 4-byte Folded Spill
	ds_read2_b64 v[99:102], v125 offset0:50 offset1:51
	buffer_load_dword v65, off, s[20:23], 0 offset:336 ; 4-byte Folded Reload
	buffer_load_dword v66, off, s[20:23], 0 offset:340 ; 4-byte Folded Reload
	buffer_load_dword v67, off, s[20:23], 0 offset:344 ; 4-byte Folded Reload
	buffer_load_dword v68, off, s[20:23], 0 offset:348 ; 4-byte Folded Reload
	s_waitcnt lgkmcnt(0)
	v_mul_f64 v[103:104], v[101:102], v[105:106]
	v_fma_f64 v[103:104], v[99:100], v[97:98], -v[103:104]
	v_mul_f64 v[99:100], v[99:100], v[105:106]
	v_fma_f64 v[99:100], v[101:102], v[97:98], v[99:100]
	s_waitcnt vmcnt(2)
	v_add_f64 v[65:66], v[65:66], -v[103:104]
	s_waitcnt vmcnt(0)
	v_add_f64 v[67:68], v[67:68], -v[99:100]
	buffer_store_dword v65, off, s[20:23], 0 offset:336 ; 4-byte Folded Spill
	s_nop 0
	buffer_store_dword v66, off, s[20:23], 0 offset:340 ; 4-byte Folded Spill
	buffer_store_dword v67, off, s[20:23], 0 offset:344 ; 4-byte Folded Spill
	buffer_store_dword v68, off, s[20:23], 0 offset:348 ; 4-byte Folded Spill
	ds_read2_b64 v[99:102], v125 offset0:52 offset1:53
	;; [unrolled: 19-line block ×11, first 2 shown]
	s_waitcnt lgkmcnt(0)
	v_mul_f64 v[103:104], v[101:102], v[105:106]
	v_fma_f64 v[103:104], v[99:100], v[97:98], -v[103:104]
	v_mul_f64 v[99:100], v[99:100], v[105:106]
	v_add_f64 v[93:94], v[93:94], -v[103:104]
	v_fma_f64 v[99:100], v[101:102], v[97:98], v[99:100]
	v_add_f64 v[95:96], v[95:96], -v[99:100]
	ds_read2_b64 v[99:102], v125 offset0:72 offset1:73
	buffer_load_dword v41, off, s[20:23], 0 offset:176 ; 4-byte Folded Reload
	buffer_load_dword v42, off, s[20:23], 0 offset:180 ; 4-byte Folded Reload
	buffer_load_dword v43, off, s[20:23], 0 offset:184 ; 4-byte Folded Reload
	buffer_load_dword v44, off, s[20:23], 0 offset:188 ; 4-byte Folded Reload
	s_waitcnt lgkmcnt(0)
	v_mul_f64 v[103:104], v[101:102], v[105:106]
	v_fma_f64 v[103:104], v[99:100], v[97:98], -v[103:104]
	v_mul_f64 v[99:100], v[99:100], v[105:106]
	v_fma_f64 v[99:100], v[101:102], v[97:98], v[99:100]
	s_waitcnt vmcnt(2)
	v_add_f64 v[41:42], v[41:42], -v[103:104]
	s_waitcnt vmcnt(0)
	v_add_f64 v[43:44], v[43:44], -v[99:100]
	buffer_store_dword v41, off, s[20:23], 0 offset:176 ; 4-byte Folded Spill
	s_nop 0
	buffer_store_dword v42, off, s[20:23], 0 offset:180 ; 4-byte Folded Spill
	buffer_store_dword v43, off, s[20:23], 0 offset:184 ; 4-byte Folded Spill
	buffer_store_dword v44, off, s[20:23], 0 offset:188 ; 4-byte Folded Spill
	ds_read2_b64 v[99:102], v125 offset0:74 offset1:75
	buffer_load_dword v65, off, s[20:23], 0 offset:160 ; 4-byte Folded Reload
	buffer_load_dword v66, off, s[20:23], 0 offset:164 ; 4-byte Folded Reload
	buffer_load_dword v67, off, s[20:23], 0 offset:168 ; 4-byte Folded Reload
	buffer_load_dword v68, off, s[20:23], 0 offset:172 ; 4-byte Folded Reload
	s_waitcnt lgkmcnt(0)
	v_mul_f64 v[103:104], v[101:102], v[105:106]
	v_fma_f64 v[103:104], v[99:100], v[97:98], -v[103:104]
	v_mul_f64 v[99:100], v[99:100], v[105:106]
	v_fma_f64 v[99:100], v[101:102], v[97:98], v[99:100]
	s_waitcnt vmcnt(2)
	v_add_f64 v[65:66], v[65:66], -v[103:104]
	s_waitcnt vmcnt(0)
	v_add_f64 v[67:68], v[67:68], -v[99:100]
	buffer_store_dword v65, off, s[20:23], 0 offset:160 ; 4-byte Folded Spill
	s_nop 0
	buffer_store_dword v66, off, s[20:23], 0 offset:164 ; 4-byte Folded Spill
	buffer_store_dword v67, off, s[20:23], 0 offset:168 ; 4-byte Folded Spill
	buffer_store_dword v68, off, s[20:23], 0 offset:172 ; 4-byte Folded Spill
	;; [unrolled: 19-line block ×11, first 2 shown]
	ds_read2_b64 v[99:102], v125 offset0:94 offset1:95
	buffer_load_dword v45, off, s[20:23], 0 ; 4-byte Folded Reload
	buffer_load_dword v46, off, s[20:23], 0 offset:4 ; 4-byte Folded Reload
	buffer_load_dword v47, off, s[20:23], 0 offset:8 ; 4-byte Folded Reload
	;; [unrolled: 1-line block ×3, first 2 shown]
	s_waitcnt lgkmcnt(0)
	v_mul_f64 v[103:104], v[101:102], v[105:106]
	v_fma_f64 v[103:104], v[99:100], v[97:98], -v[103:104]
	v_mul_f64 v[99:100], v[99:100], v[105:106]
	v_fma_f64 v[99:100], v[101:102], v[97:98], v[99:100]
	s_waitcnt vmcnt(2)
	v_add_f64 v[45:46], v[45:46], -v[103:104]
	s_waitcnt vmcnt(0)
	v_add_f64 v[47:48], v[47:48], -v[99:100]
	buffer_store_dword v45, off, s[20:23], 0 ; 4-byte Folded Spill
	s_nop 0
	buffer_store_dword v46, off, s[20:23], 0 offset:4 ; 4-byte Folded Spill
	buffer_store_dword v47, off, s[20:23], 0 offset:8 ; 4-byte Folded Spill
	;; [unrolled: 1-line block ×3, first 2 shown]
	ds_read2_b64 v[99:102], v125 offset0:96 offset1:97
	s_waitcnt lgkmcnt(0)
	v_mul_f64 v[103:104], v[101:102], v[105:106]
	v_fma_f64 v[103:104], v[99:100], v[97:98], -v[103:104]
	v_mul_f64 v[99:100], v[99:100], v[105:106]
	v_add_f64 v[113:114], v[113:114], -v[103:104]
	v_fma_f64 v[99:100], v[101:102], v[97:98], v[99:100]
	v_add_f64 v[115:116], v[115:116], -v[99:100]
	ds_read2_b64 v[99:102], v125 offset0:98 offset1:99
	s_waitcnt lgkmcnt(0)
	v_mul_f64 v[103:104], v[101:102], v[105:106]
	v_fma_f64 v[103:104], v[99:100], v[97:98], -v[103:104]
	v_mul_f64 v[99:100], v[99:100], v[105:106]
	v_add_f64 v[37:38], v[37:38], -v[103:104]
	v_fma_f64 v[99:100], v[101:102], v[97:98], v[99:100]
	v_add_f64 v[39:40], v[39:40], -v[99:100]
	;; [unrolled: 8-line block ×11, first 2 shown]
	ds_read2_b64 v[99:102], v125 offset0:118 offset1:119
	s_waitcnt lgkmcnt(0)
	v_mul_f64 v[103:104], v[101:102], v[105:106]
	v_fma_f64 v[103:104], v[99:100], v[97:98], -v[103:104]
	v_mul_f64 v[99:100], v[99:100], v[105:106]
	v_add_f64 v[121:122], v[121:122], -v[103:104]
	v_fma_f64 v[99:100], v[101:102], v[97:98], v[99:100]
	v_mov_b32_e32 v104, v98
	v_mov_b32_e32 v103, v97
	buffer_store_dword v103, off, s[20:23], 0 offset:368 ; 4-byte Folded Spill
	s_nop 0
	buffer_store_dword v104, off, s[20:23], 0 offset:372 ; 4-byte Folded Spill
	buffer_store_dword v105, off, s[20:23], 0 offset:376 ; 4-byte Folded Spill
	;; [unrolled: 1-line block ×3, first 2 shown]
	v_add_f64 v[123:124], v[123:124], -v[99:100]
.LBB119_217:
	s_or_b64 exec, exec, s[2:3]
	v_cmp_eq_u32_e32 vcc, 24, v0
	s_waitcnt vmcnt(0)
	s_barrier
	s_and_saveexec_b64 s[4:5], vcc
	s_cbranch_execz .LBB119_224
; %bb.218:
	buffer_load_dword v65, off, s[20:23], 0 offset:352 ; 4-byte Folded Reload
	buffer_load_dword v66, off, s[20:23], 0 offset:356 ; 4-byte Folded Reload
	;; [unrolled: 1-line block ×4, first 2 shown]
	s_waitcnt vmcnt(0)
	ds_write2_b64 v127, v[65:66], v[67:68] offset1:1
	buffer_load_dword v65, off, s[20:23], 0 offset:336 ; 4-byte Folded Reload
	buffer_load_dword v66, off, s[20:23], 0 offset:340 ; 4-byte Folded Reload
	buffer_load_dword v67, off, s[20:23], 0 offset:344 ; 4-byte Folded Reload
	buffer_load_dword v68, off, s[20:23], 0 offset:348 ; 4-byte Folded Reload
	s_waitcnt vmcnt(0)
	ds_write2_b64 v125, v[65:66], v[67:68] offset0:50 offset1:51
	buffer_load_dword v65, off, s[20:23], 0 offset:320 ; 4-byte Folded Reload
	buffer_load_dword v66, off, s[20:23], 0 offset:324 ; 4-byte Folded Reload
	buffer_load_dword v67, off, s[20:23], 0 offset:328 ; 4-byte Folded Reload
	buffer_load_dword v68, off, s[20:23], 0 offset:332 ; 4-byte Folded Reload
	s_waitcnt vmcnt(0)
	ds_write2_b64 v125, v[65:66], v[67:68] offset0:52 offset1:53
	;; [unrolled: 6-line block ×10, first 2 shown]
	ds_write2_b64 v125, v[93:94], v[95:96] offset0:70 offset1:71
	buffer_load_dword v41, off, s[20:23], 0 offset:176 ; 4-byte Folded Reload
	buffer_load_dword v42, off, s[20:23], 0 offset:180 ; 4-byte Folded Reload
	buffer_load_dword v43, off, s[20:23], 0 offset:184 ; 4-byte Folded Reload
	buffer_load_dword v44, off, s[20:23], 0 offset:188 ; 4-byte Folded Reload
	s_waitcnt vmcnt(0)
	ds_write2_b64 v125, v[41:42], v[43:44] offset0:72 offset1:73
	buffer_load_dword v65, off, s[20:23], 0 offset:160 ; 4-byte Folded Reload
	buffer_load_dword v66, off, s[20:23], 0 offset:164 ; 4-byte Folded Reload
	buffer_load_dword v67, off, s[20:23], 0 offset:168 ; 4-byte Folded Reload
	buffer_load_dword v68, off, s[20:23], 0 offset:172 ; 4-byte Folded Reload
	s_waitcnt vmcnt(0)
	;; [unrolled: 6-line block ×11, first 2 shown]
	ds_write2_b64 v125, v[49:50], v[51:52] offset0:92 offset1:93
	buffer_load_dword v45, off, s[20:23], 0 ; 4-byte Folded Reload
	buffer_load_dword v46, off, s[20:23], 0 offset:4 ; 4-byte Folded Reload
	buffer_load_dword v47, off, s[20:23], 0 offset:8 ; 4-byte Folded Reload
	;; [unrolled: 1-line block ×3, first 2 shown]
	s_waitcnt vmcnt(0)
	ds_write2_b64 v125, v[45:46], v[47:48] offset0:94 offset1:95
	ds_write2_b64 v125, v[113:114], v[115:116] offset0:96 offset1:97
	;; [unrolled: 1-line block ×13, first 2 shown]
	ds_read2_b64 v[97:100], v127 offset1:1
	s_waitcnt lgkmcnt(0)
	v_cmp_neq_f64_e32 vcc, 0, v[97:98]
	v_cmp_neq_f64_e64 s[2:3], 0, v[99:100]
	s_or_b64 s[2:3], vcc, s[2:3]
	s_and_b64 exec, exec, s[2:3]
	s_cbranch_execz .LBB119_224
; %bb.219:
	v_cmp_ngt_f64_e64 s[2:3], |v[97:98]|, |v[99:100]|
                                        ; implicit-def: $vgpr101_vgpr102
	s_and_saveexec_b64 s[6:7], s[2:3]
	s_xor_b64 s[2:3], exec, s[6:7]
                                        ; implicit-def: $vgpr103_vgpr104
	s_cbranch_execz .LBB119_221
; %bb.220:
	v_div_scale_f64 v[101:102], s[6:7], v[99:100], v[99:100], v[97:98]
	v_rcp_f64_e32 v[103:104], v[101:102]
	v_fma_f64 v[105:106], -v[101:102], v[103:104], 1.0
	v_fma_f64 v[103:104], v[103:104], v[105:106], v[103:104]
	v_div_scale_f64 v[105:106], vcc, v[97:98], v[99:100], v[97:98]
	v_fma_f64 v[107:108], -v[101:102], v[103:104], 1.0
	v_fma_f64 v[103:104], v[103:104], v[107:108], v[103:104]
	v_mul_f64 v[107:108], v[105:106], v[103:104]
	v_fma_f64 v[101:102], -v[101:102], v[107:108], v[105:106]
	v_div_fmas_f64 v[101:102], v[101:102], v[103:104], v[107:108]
	v_div_fixup_f64 v[101:102], v[101:102], v[99:100], v[97:98]
	v_fma_f64 v[97:98], v[97:98], v[101:102], v[99:100]
	v_div_scale_f64 v[99:100], s[6:7], v[97:98], v[97:98], 1.0
	v_div_scale_f64 v[107:108], vcc, 1.0, v[97:98], 1.0
	v_rcp_f64_e32 v[103:104], v[99:100]
	v_fma_f64 v[105:106], -v[99:100], v[103:104], 1.0
	v_fma_f64 v[103:104], v[103:104], v[105:106], v[103:104]
	v_fma_f64 v[105:106], -v[99:100], v[103:104], 1.0
	v_fma_f64 v[103:104], v[103:104], v[105:106], v[103:104]
	v_mul_f64 v[105:106], v[107:108], v[103:104]
	v_fma_f64 v[99:100], -v[99:100], v[105:106], v[107:108]
	v_div_fmas_f64 v[99:100], v[99:100], v[103:104], v[105:106]
	v_div_fixup_f64 v[103:104], v[99:100], v[97:98], 1.0
                                        ; implicit-def: $vgpr97_vgpr98
	v_mul_f64 v[101:102], v[101:102], v[103:104]
	v_xor_b32_e32 v104, 0x80000000, v104
.LBB119_221:
	s_andn2_saveexec_b64 s[2:3], s[2:3]
	s_cbranch_execz .LBB119_223
; %bb.222:
	v_div_scale_f64 v[101:102], s[6:7], v[97:98], v[97:98], v[99:100]
	v_rcp_f64_e32 v[103:104], v[101:102]
	v_fma_f64 v[105:106], -v[101:102], v[103:104], 1.0
	v_fma_f64 v[103:104], v[103:104], v[105:106], v[103:104]
	v_div_scale_f64 v[105:106], vcc, v[99:100], v[97:98], v[99:100]
	v_fma_f64 v[107:108], -v[101:102], v[103:104], 1.0
	v_fma_f64 v[103:104], v[103:104], v[107:108], v[103:104]
	v_mul_f64 v[107:108], v[105:106], v[103:104]
	v_fma_f64 v[101:102], -v[101:102], v[107:108], v[105:106]
	v_div_fmas_f64 v[101:102], v[101:102], v[103:104], v[107:108]
	v_div_fixup_f64 v[103:104], v[101:102], v[97:98], v[99:100]
	v_fma_f64 v[97:98], v[99:100], v[103:104], v[97:98]
	v_div_scale_f64 v[99:100], s[6:7], v[97:98], v[97:98], 1.0
	v_div_scale_f64 v[107:108], vcc, 1.0, v[97:98], 1.0
	v_rcp_f64_e32 v[101:102], v[99:100]
	v_fma_f64 v[105:106], -v[99:100], v[101:102], 1.0
	v_fma_f64 v[101:102], v[101:102], v[105:106], v[101:102]
	v_fma_f64 v[105:106], -v[99:100], v[101:102], 1.0
	v_fma_f64 v[101:102], v[101:102], v[105:106], v[101:102]
	v_mul_f64 v[105:106], v[107:108], v[101:102]
	v_fma_f64 v[99:100], -v[99:100], v[105:106], v[107:108]
	v_div_fmas_f64 v[99:100], v[99:100], v[101:102], v[105:106]
	v_div_fixup_f64 v[101:102], v[99:100], v[97:98], 1.0
	v_mul_f64 v[103:104], v[103:104], -v[101:102]
.LBB119_223:
	s_or_b64 exec, exec, s[2:3]
	ds_write2_b64 v127, v[101:102], v[103:104] offset1:1
.LBB119_224:
	s_or_b64 exec, exec, s[4:5]
	s_waitcnt lgkmcnt(0)
	s_barrier
	ds_read2_b64 v[65:68], v127 offset1:1
	v_cmp_lt_u32_e32 vcc, 24, v0
	s_waitcnt lgkmcnt(0)
	buffer_store_dword v65, off, s[20:23], 0 offset:1608 ; 4-byte Folded Spill
	s_nop 0
	buffer_store_dword v66, off, s[20:23], 0 offset:1612 ; 4-byte Folded Spill
	buffer_store_dword v67, off, s[20:23], 0 offset:1616 ; 4-byte Folded Spill
	;; [unrolled: 1-line block ×3, first 2 shown]
	s_and_saveexec_b64 s[2:3], vcc
	s_cbranch_execz .LBB119_226
; %bb.225:
	buffer_load_dword v103, off, s[20:23], 0 offset:352 ; 4-byte Folded Reload
	buffer_load_dword v104, off, s[20:23], 0 offset:356 ; 4-byte Folded Reload
	;; [unrolled: 1-line block ×8, first 2 shown]
	s_waitcnt vmcnt(2)
	v_mul_f64 v[99:100], v[65:66], v[105:106]
	s_waitcnt vmcnt(0)
	v_mul_f64 v[97:98], v[67:68], v[105:106]
	v_fma_f64 v[105:106], v[67:68], v[103:104], v[99:100]
	ds_read2_b64 v[99:102], v125 offset0:50 offset1:51
	v_fma_f64 v[97:98], v[65:66], v[103:104], -v[97:98]
	buffer_load_dword v65, off, s[20:23], 0 offset:336 ; 4-byte Folded Reload
	buffer_load_dword v66, off, s[20:23], 0 offset:340 ; 4-byte Folded Reload
	buffer_load_dword v67, off, s[20:23], 0 offset:344 ; 4-byte Folded Reload
	buffer_load_dword v68, off, s[20:23], 0 offset:348 ; 4-byte Folded Reload
	s_waitcnt lgkmcnt(0)
	v_mul_f64 v[103:104], v[101:102], v[105:106]
	v_fma_f64 v[103:104], v[99:100], v[97:98], -v[103:104]
	v_mul_f64 v[99:100], v[99:100], v[105:106]
	v_fma_f64 v[99:100], v[101:102], v[97:98], v[99:100]
	s_waitcnt vmcnt(2)
	v_add_f64 v[65:66], v[65:66], -v[103:104]
	s_waitcnt vmcnt(0)
	v_add_f64 v[67:68], v[67:68], -v[99:100]
	buffer_store_dword v65, off, s[20:23], 0 offset:336 ; 4-byte Folded Spill
	s_nop 0
	buffer_store_dword v66, off, s[20:23], 0 offset:340 ; 4-byte Folded Spill
	buffer_store_dword v67, off, s[20:23], 0 offset:344 ; 4-byte Folded Spill
	buffer_store_dword v68, off, s[20:23], 0 offset:348 ; 4-byte Folded Spill
	ds_read2_b64 v[99:102], v125 offset0:52 offset1:53
	buffer_load_dword v65, off, s[20:23], 0 offset:320 ; 4-byte Folded Reload
	buffer_load_dword v66, off, s[20:23], 0 offset:324 ; 4-byte Folded Reload
	buffer_load_dword v67, off, s[20:23], 0 offset:328 ; 4-byte Folded Reload
	buffer_load_dword v68, off, s[20:23], 0 offset:332 ; 4-byte Folded Reload
	s_waitcnt lgkmcnt(0)
	v_mul_f64 v[103:104], v[101:102], v[105:106]
	v_fma_f64 v[103:104], v[99:100], v[97:98], -v[103:104]
	v_mul_f64 v[99:100], v[99:100], v[105:106]
	v_fma_f64 v[99:100], v[101:102], v[97:98], v[99:100]
	s_waitcnt vmcnt(2)
	v_add_f64 v[65:66], v[65:66], -v[103:104]
	s_waitcnt vmcnt(0)
	v_add_f64 v[67:68], v[67:68], -v[99:100]
	buffer_store_dword v65, off, s[20:23], 0 offset:320 ; 4-byte Folded Spill
	s_nop 0
	buffer_store_dword v66, off, s[20:23], 0 offset:324 ; 4-byte Folded Spill
	buffer_store_dword v67, off, s[20:23], 0 offset:328 ; 4-byte Folded Spill
	buffer_store_dword v68, off, s[20:23], 0 offset:332 ; 4-byte Folded Spill
	ds_read2_b64 v[99:102], v125 offset0:54 offset1:55
	;; [unrolled: 19-line block ×10, first 2 shown]
	s_waitcnt lgkmcnt(0)
	v_mul_f64 v[103:104], v[101:102], v[105:106]
	v_fma_f64 v[103:104], v[99:100], v[97:98], -v[103:104]
	v_mul_f64 v[99:100], v[99:100], v[105:106]
	v_add_f64 v[93:94], v[93:94], -v[103:104]
	v_fma_f64 v[99:100], v[101:102], v[97:98], v[99:100]
	v_add_f64 v[95:96], v[95:96], -v[99:100]
	ds_read2_b64 v[99:102], v125 offset0:72 offset1:73
	buffer_load_dword v41, off, s[20:23], 0 offset:176 ; 4-byte Folded Reload
	buffer_load_dword v42, off, s[20:23], 0 offset:180 ; 4-byte Folded Reload
	buffer_load_dword v43, off, s[20:23], 0 offset:184 ; 4-byte Folded Reload
	buffer_load_dword v44, off, s[20:23], 0 offset:188 ; 4-byte Folded Reload
	s_waitcnt lgkmcnt(0)
	v_mul_f64 v[103:104], v[101:102], v[105:106]
	v_fma_f64 v[103:104], v[99:100], v[97:98], -v[103:104]
	v_mul_f64 v[99:100], v[99:100], v[105:106]
	v_fma_f64 v[99:100], v[101:102], v[97:98], v[99:100]
	s_waitcnt vmcnt(2)
	v_add_f64 v[41:42], v[41:42], -v[103:104]
	s_waitcnt vmcnt(0)
	v_add_f64 v[43:44], v[43:44], -v[99:100]
	buffer_store_dword v41, off, s[20:23], 0 offset:176 ; 4-byte Folded Spill
	s_nop 0
	buffer_store_dword v42, off, s[20:23], 0 offset:180 ; 4-byte Folded Spill
	buffer_store_dword v43, off, s[20:23], 0 offset:184 ; 4-byte Folded Spill
	buffer_store_dword v44, off, s[20:23], 0 offset:188 ; 4-byte Folded Spill
	ds_read2_b64 v[99:102], v125 offset0:74 offset1:75
	buffer_load_dword v65, off, s[20:23], 0 offset:160 ; 4-byte Folded Reload
	buffer_load_dword v66, off, s[20:23], 0 offset:164 ; 4-byte Folded Reload
	buffer_load_dword v67, off, s[20:23], 0 offset:168 ; 4-byte Folded Reload
	buffer_load_dword v68, off, s[20:23], 0 offset:172 ; 4-byte Folded Reload
	s_waitcnt lgkmcnt(0)
	v_mul_f64 v[103:104], v[101:102], v[105:106]
	v_fma_f64 v[103:104], v[99:100], v[97:98], -v[103:104]
	v_mul_f64 v[99:100], v[99:100], v[105:106]
	v_fma_f64 v[99:100], v[101:102], v[97:98], v[99:100]
	s_waitcnt vmcnt(2)
	v_add_f64 v[65:66], v[65:66], -v[103:104]
	s_waitcnt vmcnt(0)
	v_add_f64 v[67:68], v[67:68], -v[99:100]
	buffer_store_dword v65, off, s[20:23], 0 offset:160 ; 4-byte Folded Spill
	s_nop 0
	buffer_store_dword v66, off, s[20:23], 0 offset:164 ; 4-byte Folded Spill
	buffer_store_dword v67, off, s[20:23], 0 offset:168 ; 4-byte Folded Spill
	buffer_store_dword v68, off, s[20:23], 0 offset:172 ; 4-byte Folded Spill
	;; [unrolled: 19-line block ×11, first 2 shown]
	ds_read2_b64 v[99:102], v125 offset0:94 offset1:95
	buffer_load_dword v45, off, s[20:23], 0 ; 4-byte Folded Reload
	buffer_load_dword v46, off, s[20:23], 0 offset:4 ; 4-byte Folded Reload
	buffer_load_dword v47, off, s[20:23], 0 offset:8 ; 4-byte Folded Reload
	;; [unrolled: 1-line block ×3, first 2 shown]
	s_waitcnt lgkmcnt(0)
	v_mul_f64 v[103:104], v[101:102], v[105:106]
	v_fma_f64 v[103:104], v[99:100], v[97:98], -v[103:104]
	v_mul_f64 v[99:100], v[99:100], v[105:106]
	v_fma_f64 v[99:100], v[101:102], v[97:98], v[99:100]
	s_waitcnt vmcnt(2)
	v_add_f64 v[45:46], v[45:46], -v[103:104]
	s_waitcnt vmcnt(0)
	v_add_f64 v[47:48], v[47:48], -v[99:100]
	buffer_store_dword v45, off, s[20:23], 0 ; 4-byte Folded Spill
	s_nop 0
	buffer_store_dword v46, off, s[20:23], 0 offset:4 ; 4-byte Folded Spill
	buffer_store_dword v47, off, s[20:23], 0 offset:8 ; 4-byte Folded Spill
	;; [unrolled: 1-line block ×3, first 2 shown]
	ds_read2_b64 v[99:102], v125 offset0:96 offset1:97
	s_waitcnt lgkmcnt(0)
	v_mul_f64 v[103:104], v[101:102], v[105:106]
	v_fma_f64 v[103:104], v[99:100], v[97:98], -v[103:104]
	v_mul_f64 v[99:100], v[99:100], v[105:106]
	v_add_f64 v[113:114], v[113:114], -v[103:104]
	v_fma_f64 v[99:100], v[101:102], v[97:98], v[99:100]
	v_add_f64 v[115:116], v[115:116], -v[99:100]
	ds_read2_b64 v[99:102], v125 offset0:98 offset1:99
	s_waitcnt lgkmcnt(0)
	v_mul_f64 v[103:104], v[101:102], v[105:106]
	v_fma_f64 v[103:104], v[99:100], v[97:98], -v[103:104]
	v_mul_f64 v[99:100], v[99:100], v[105:106]
	v_add_f64 v[37:38], v[37:38], -v[103:104]
	v_fma_f64 v[99:100], v[101:102], v[97:98], v[99:100]
	v_add_f64 v[39:40], v[39:40], -v[99:100]
	;; [unrolled: 8-line block ×11, first 2 shown]
	ds_read2_b64 v[99:102], v125 offset0:118 offset1:119
	s_waitcnt lgkmcnt(0)
	v_mul_f64 v[103:104], v[101:102], v[105:106]
	v_fma_f64 v[103:104], v[99:100], v[97:98], -v[103:104]
	v_mul_f64 v[99:100], v[99:100], v[105:106]
	v_add_f64 v[121:122], v[121:122], -v[103:104]
	v_fma_f64 v[99:100], v[101:102], v[97:98], v[99:100]
	v_mov_b32_e32 v104, v98
	v_mov_b32_e32 v103, v97
	buffer_store_dword v103, off, s[20:23], 0 offset:352 ; 4-byte Folded Spill
	s_nop 0
	buffer_store_dword v104, off, s[20:23], 0 offset:356 ; 4-byte Folded Spill
	buffer_store_dword v105, off, s[20:23], 0 offset:360 ; 4-byte Folded Spill
	;; [unrolled: 1-line block ×3, first 2 shown]
	v_add_f64 v[123:124], v[123:124], -v[99:100]
.LBB119_226:
	s_or_b64 exec, exec, s[2:3]
	v_cmp_eq_u32_e32 vcc, 25, v0
	s_waitcnt vmcnt(0)
	s_barrier
	s_and_saveexec_b64 s[4:5], vcc
	s_cbranch_execz .LBB119_233
; %bb.227:
	buffer_load_dword v65, off, s[20:23], 0 offset:336 ; 4-byte Folded Reload
	buffer_load_dword v66, off, s[20:23], 0 offset:340 ; 4-byte Folded Reload
	;; [unrolled: 1-line block ×4, first 2 shown]
	s_waitcnt vmcnt(0)
	ds_write2_b64 v127, v[65:66], v[67:68] offset1:1
	buffer_load_dword v65, off, s[20:23], 0 offset:320 ; 4-byte Folded Reload
	buffer_load_dword v66, off, s[20:23], 0 offset:324 ; 4-byte Folded Reload
	buffer_load_dword v67, off, s[20:23], 0 offset:328 ; 4-byte Folded Reload
	buffer_load_dword v68, off, s[20:23], 0 offset:332 ; 4-byte Folded Reload
	s_waitcnt vmcnt(0)
	ds_write2_b64 v125, v[65:66], v[67:68] offset0:52 offset1:53
	buffer_load_dword v65, off, s[20:23], 0 offset:304 ; 4-byte Folded Reload
	buffer_load_dword v66, off, s[20:23], 0 offset:308 ; 4-byte Folded Reload
	buffer_load_dword v67, off, s[20:23], 0 offset:312 ; 4-byte Folded Reload
	buffer_load_dword v68, off, s[20:23], 0 offset:316 ; 4-byte Folded Reload
	s_waitcnt vmcnt(0)
	ds_write2_b64 v125, v[65:66], v[67:68] offset0:54 offset1:55
	;; [unrolled: 6-line block ×9, first 2 shown]
	ds_write2_b64 v125, v[93:94], v[95:96] offset0:70 offset1:71
	buffer_load_dword v41, off, s[20:23], 0 offset:176 ; 4-byte Folded Reload
	buffer_load_dword v42, off, s[20:23], 0 offset:180 ; 4-byte Folded Reload
	buffer_load_dword v43, off, s[20:23], 0 offset:184 ; 4-byte Folded Reload
	buffer_load_dword v44, off, s[20:23], 0 offset:188 ; 4-byte Folded Reload
	s_waitcnt vmcnt(0)
	ds_write2_b64 v125, v[41:42], v[43:44] offset0:72 offset1:73
	buffer_load_dword v65, off, s[20:23], 0 offset:160 ; 4-byte Folded Reload
	buffer_load_dword v66, off, s[20:23], 0 offset:164 ; 4-byte Folded Reload
	buffer_load_dword v67, off, s[20:23], 0 offset:168 ; 4-byte Folded Reload
	buffer_load_dword v68, off, s[20:23], 0 offset:172 ; 4-byte Folded Reload
	s_waitcnt vmcnt(0)
	;; [unrolled: 6-line block ×11, first 2 shown]
	ds_write2_b64 v125, v[49:50], v[51:52] offset0:92 offset1:93
	buffer_load_dword v45, off, s[20:23], 0 ; 4-byte Folded Reload
	buffer_load_dword v46, off, s[20:23], 0 offset:4 ; 4-byte Folded Reload
	buffer_load_dword v47, off, s[20:23], 0 offset:8 ; 4-byte Folded Reload
	buffer_load_dword v48, off, s[20:23], 0 offset:12 ; 4-byte Folded Reload
	s_waitcnt vmcnt(0)
	ds_write2_b64 v125, v[45:46], v[47:48] offset0:94 offset1:95
	ds_write2_b64 v125, v[113:114], v[115:116] offset0:96 offset1:97
	;; [unrolled: 1-line block ×13, first 2 shown]
	ds_read2_b64 v[97:100], v127 offset1:1
	s_waitcnt lgkmcnt(0)
	v_cmp_neq_f64_e32 vcc, 0, v[97:98]
	v_cmp_neq_f64_e64 s[2:3], 0, v[99:100]
	s_or_b64 s[2:3], vcc, s[2:3]
	s_and_b64 exec, exec, s[2:3]
	s_cbranch_execz .LBB119_233
; %bb.228:
	v_cmp_ngt_f64_e64 s[2:3], |v[97:98]|, |v[99:100]|
                                        ; implicit-def: $vgpr101_vgpr102
	s_and_saveexec_b64 s[6:7], s[2:3]
	s_xor_b64 s[2:3], exec, s[6:7]
                                        ; implicit-def: $vgpr103_vgpr104
	s_cbranch_execz .LBB119_230
; %bb.229:
	v_div_scale_f64 v[101:102], s[6:7], v[99:100], v[99:100], v[97:98]
	v_rcp_f64_e32 v[103:104], v[101:102]
	v_fma_f64 v[105:106], -v[101:102], v[103:104], 1.0
	v_fma_f64 v[103:104], v[103:104], v[105:106], v[103:104]
	v_div_scale_f64 v[105:106], vcc, v[97:98], v[99:100], v[97:98]
	v_fma_f64 v[107:108], -v[101:102], v[103:104], 1.0
	v_fma_f64 v[103:104], v[103:104], v[107:108], v[103:104]
	v_mul_f64 v[107:108], v[105:106], v[103:104]
	v_fma_f64 v[101:102], -v[101:102], v[107:108], v[105:106]
	v_div_fmas_f64 v[101:102], v[101:102], v[103:104], v[107:108]
	v_div_fixup_f64 v[101:102], v[101:102], v[99:100], v[97:98]
	v_fma_f64 v[97:98], v[97:98], v[101:102], v[99:100]
	v_div_scale_f64 v[99:100], s[6:7], v[97:98], v[97:98], 1.0
	v_div_scale_f64 v[107:108], vcc, 1.0, v[97:98], 1.0
	v_rcp_f64_e32 v[103:104], v[99:100]
	v_fma_f64 v[105:106], -v[99:100], v[103:104], 1.0
	v_fma_f64 v[103:104], v[103:104], v[105:106], v[103:104]
	v_fma_f64 v[105:106], -v[99:100], v[103:104], 1.0
	v_fma_f64 v[103:104], v[103:104], v[105:106], v[103:104]
	v_mul_f64 v[105:106], v[107:108], v[103:104]
	v_fma_f64 v[99:100], -v[99:100], v[105:106], v[107:108]
	v_div_fmas_f64 v[99:100], v[99:100], v[103:104], v[105:106]
	v_div_fixup_f64 v[103:104], v[99:100], v[97:98], 1.0
                                        ; implicit-def: $vgpr97_vgpr98
	v_mul_f64 v[101:102], v[101:102], v[103:104]
	v_xor_b32_e32 v104, 0x80000000, v104
.LBB119_230:
	s_andn2_saveexec_b64 s[2:3], s[2:3]
	s_cbranch_execz .LBB119_232
; %bb.231:
	v_div_scale_f64 v[101:102], s[6:7], v[97:98], v[97:98], v[99:100]
	v_rcp_f64_e32 v[103:104], v[101:102]
	v_fma_f64 v[105:106], -v[101:102], v[103:104], 1.0
	v_fma_f64 v[103:104], v[103:104], v[105:106], v[103:104]
	v_div_scale_f64 v[105:106], vcc, v[99:100], v[97:98], v[99:100]
	v_fma_f64 v[107:108], -v[101:102], v[103:104], 1.0
	v_fma_f64 v[103:104], v[103:104], v[107:108], v[103:104]
	v_mul_f64 v[107:108], v[105:106], v[103:104]
	v_fma_f64 v[101:102], -v[101:102], v[107:108], v[105:106]
	v_div_fmas_f64 v[101:102], v[101:102], v[103:104], v[107:108]
	v_div_fixup_f64 v[103:104], v[101:102], v[97:98], v[99:100]
	v_fma_f64 v[97:98], v[99:100], v[103:104], v[97:98]
	v_div_scale_f64 v[99:100], s[6:7], v[97:98], v[97:98], 1.0
	v_div_scale_f64 v[107:108], vcc, 1.0, v[97:98], 1.0
	v_rcp_f64_e32 v[101:102], v[99:100]
	v_fma_f64 v[105:106], -v[99:100], v[101:102], 1.0
	v_fma_f64 v[101:102], v[101:102], v[105:106], v[101:102]
	v_fma_f64 v[105:106], -v[99:100], v[101:102], 1.0
	v_fma_f64 v[101:102], v[101:102], v[105:106], v[101:102]
	v_mul_f64 v[105:106], v[107:108], v[101:102]
	v_fma_f64 v[99:100], -v[99:100], v[105:106], v[107:108]
	v_div_fmas_f64 v[99:100], v[99:100], v[101:102], v[105:106]
	v_div_fixup_f64 v[101:102], v[99:100], v[97:98], 1.0
	v_mul_f64 v[103:104], v[103:104], -v[101:102]
.LBB119_232:
	s_or_b64 exec, exec, s[2:3]
	ds_write2_b64 v127, v[101:102], v[103:104] offset1:1
.LBB119_233:
	s_or_b64 exec, exec, s[4:5]
	s_waitcnt lgkmcnt(0)
	s_barrier
	ds_read2_b64 v[65:68], v127 offset1:1
	v_cmp_lt_u32_e32 vcc, 25, v0
	s_waitcnt lgkmcnt(0)
	buffer_store_dword v65, off, s[20:23], 0 offset:1624 ; 4-byte Folded Spill
	s_nop 0
	buffer_store_dword v66, off, s[20:23], 0 offset:1628 ; 4-byte Folded Spill
	buffer_store_dword v67, off, s[20:23], 0 offset:1632 ; 4-byte Folded Spill
	;; [unrolled: 1-line block ×3, first 2 shown]
	s_and_saveexec_b64 s[2:3], vcc
	s_cbranch_execz .LBB119_235
; %bb.234:
	buffer_load_dword v103, off, s[20:23], 0 offset:336 ; 4-byte Folded Reload
	buffer_load_dword v104, off, s[20:23], 0 offset:340 ; 4-byte Folded Reload
	buffer_load_dword v105, off, s[20:23], 0 offset:344 ; 4-byte Folded Reload
	buffer_load_dword v106, off, s[20:23], 0 offset:348 ; 4-byte Folded Reload
	buffer_load_dword v65, off, s[20:23], 0 offset:1624 ; 4-byte Folded Reload
	buffer_load_dword v66, off, s[20:23], 0 offset:1628 ; 4-byte Folded Reload
	buffer_load_dword v67, off, s[20:23], 0 offset:1632 ; 4-byte Folded Reload
	buffer_load_dword v68, off, s[20:23], 0 offset:1636 ; 4-byte Folded Reload
	s_waitcnt vmcnt(2)
	v_mul_f64 v[99:100], v[65:66], v[105:106]
	s_waitcnt vmcnt(0)
	v_mul_f64 v[97:98], v[67:68], v[105:106]
	v_fma_f64 v[105:106], v[67:68], v[103:104], v[99:100]
	ds_read2_b64 v[99:102], v125 offset0:52 offset1:53
	v_fma_f64 v[97:98], v[65:66], v[103:104], -v[97:98]
	buffer_load_dword v65, off, s[20:23], 0 offset:320 ; 4-byte Folded Reload
	buffer_load_dword v66, off, s[20:23], 0 offset:324 ; 4-byte Folded Reload
	buffer_load_dword v67, off, s[20:23], 0 offset:328 ; 4-byte Folded Reload
	buffer_load_dword v68, off, s[20:23], 0 offset:332 ; 4-byte Folded Reload
	s_waitcnt lgkmcnt(0)
	v_mul_f64 v[103:104], v[101:102], v[105:106]
	v_fma_f64 v[103:104], v[99:100], v[97:98], -v[103:104]
	v_mul_f64 v[99:100], v[99:100], v[105:106]
	v_fma_f64 v[99:100], v[101:102], v[97:98], v[99:100]
	s_waitcnt vmcnt(2)
	v_add_f64 v[65:66], v[65:66], -v[103:104]
	s_waitcnt vmcnt(0)
	v_add_f64 v[67:68], v[67:68], -v[99:100]
	buffer_store_dword v65, off, s[20:23], 0 offset:320 ; 4-byte Folded Spill
	s_nop 0
	buffer_store_dword v66, off, s[20:23], 0 offset:324 ; 4-byte Folded Spill
	buffer_store_dword v67, off, s[20:23], 0 offset:328 ; 4-byte Folded Spill
	buffer_store_dword v68, off, s[20:23], 0 offset:332 ; 4-byte Folded Spill
	ds_read2_b64 v[99:102], v125 offset0:54 offset1:55
	buffer_load_dword v65, off, s[20:23], 0 offset:304 ; 4-byte Folded Reload
	buffer_load_dword v66, off, s[20:23], 0 offset:308 ; 4-byte Folded Reload
	buffer_load_dword v67, off, s[20:23], 0 offset:312 ; 4-byte Folded Reload
	buffer_load_dword v68, off, s[20:23], 0 offset:316 ; 4-byte Folded Reload
	s_waitcnt lgkmcnt(0)
	v_mul_f64 v[103:104], v[101:102], v[105:106]
	v_fma_f64 v[103:104], v[99:100], v[97:98], -v[103:104]
	v_mul_f64 v[99:100], v[99:100], v[105:106]
	v_fma_f64 v[99:100], v[101:102], v[97:98], v[99:100]
	s_waitcnt vmcnt(2)
	v_add_f64 v[65:66], v[65:66], -v[103:104]
	s_waitcnt vmcnt(0)
	v_add_f64 v[67:68], v[67:68], -v[99:100]
	buffer_store_dword v65, off, s[20:23], 0 offset:304 ; 4-byte Folded Spill
	s_nop 0
	buffer_store_dword v66, off, s[20:23], 0 offset:308 ; 4-byte Folded Spill
	buffer_store_dword v67, off, s[20:23], 0 offset:312 ; 4-byte Folded Spill
	buffer_store_dword v68, off, s[20:23], 0 offset:316 ; 4-byte Folded Spill
	ds_read2_b64 v[99:102], v125 offset0:56 offset1:57
	buffer_load_dword v65, off, s[20:23], 0 offset:288 ; 4-byte Folded Reload
	buffer_load_dword v66, off, s[20:23], 0 offset:292 ; 4-byte Folded Reload
	buffer_load_dword v67, off, s[20:23], 0 offset:296 ; 4-byte Folded Reload
	buffer_load_dword v68, off, s[20:23], 0 offset:300 ; 4-byte Folded Reload
	s_waitcnt lgkmcnt(0)
	v_mul_f64 v[103:104], v[101:102], v[105:106]
	v_fma_f64 v[103:104], v[99:100], v[97:98], -v[103:104]
	v_mul_f64 v[99:100], v[99:100], v[105:106]
	v_fma_f64 v[99:100], v[101:102], v[97:98], v[99:100]
	s_waitcnt vmcnt(2)
	v_add_f64 v[65:66], v[65:66], -v[103:104]
	s_waitcnt vmcnt(0)
	v_add_f64 v[67:68], v[67:68], -v[99:100]
	buffer_store_dword v65, off, s[20:23], 0 offset:288 ; 4-byte Folded Spill
	s_nop 0
	buffer_store_dword v66, off, s[20:23], 0 offset:292 ; 4-byte Folded Spill
	buffer_store_dword v67, off, s[20:23], 0 offset:296 ; 4-byte Folded Spill
	buffer_store_dword v68, off, s[20:23], 0 offset:300 ; 4-byte Folded Spill
	ds_read2_b64 v[99:102], v125 offset0:58 offset1:59
	buffer_load_dword v65, off, s[20:23], 0 offset:272 ; 4-byte Folded Reload
	buffer_load_dword v66, off, s[20:23], 0 offset:276 ; 4-byte Folded Reload
	buffer_load_dword v67, off, s[20:23], 0 offset:280 ; 4-byte Folded Reload
	buffer_load_dword v68, off, s[20:23], 0 offset:284 ; 4-byte Folded Reload
	s_waitcnt lgkmcnt(0)
	v_mul_f64 v[103:104], v[101:102], v[105:106]
	v_fma_f64 v[103:104], v[99:100], v[97:98], -v[103:104]
	v_mul_f64 v[99:100], v[99:100], v[105:106]
	v_fma_f64 v[99:100], v[101:102], v[97:98], v[99:100]
	s_waitcnt vmcnt(2)
	v_add_f64 v[65:66], v[65:66], -v[103:104]
	s_waitcnt vmcnt(0)
	v_add_f64 v[67:68], v[67:68], -v[99:100]
	buffer_store_dword v65, off, s[20:23], 0 offset:272 ; 4-byte Folded Spill
	s_nop 0
	buffer_store_dword v66, off, s[20:23], 0 offset:276 ; 4-byte Folded Spill
	buffer_store_dword v67, off, s[20:23], 0 offset:280 ; 4-byte Folded Spill
	buffer_store_dword v68, off, s[20:23], 0 offset:284 ; 4-byte Folded Spill
	ds_read2_b64 v[99:102], v125 offset0:60 offset1:61
	buffer_load_dword v65, off, s[20:23], 0 offset:256 ; 4-byte Folded Reload
	buffer_load_dword v66, off, s[20:23], 0 offset:260 ; 4-byte Folded Reload
	buffer_load_dword v67, off, s[20:23], 0 offset:264 ; 4-byte Folded Reload
	buffer_load_dword v68, off, s[20:23], 0 offset:268 ; 4-byte Folded Reload
	s_waitcnt lgkmcnt(0)
	v_mul_f64 v[103:104], v[101:102], v[105:106]
	v_fma_f64 v[103:104], v[99:100], v[97:98], -v[103:104]
	v_mul_f64 v[99:100], v[99:100], v[105:106]
	v_fma_f64 v[99:100], v[101:102], v[97:98], v[99:100]
	s_waitcnt vmcnt(2)
	v_add_f64 v[65:66], v[65:66], -v[103:104]
	s_waitcnt vmcnt(0)
	v_add_f64 v[67:68], v[67:68], -v[99:100]
	buffer_store_dword v65, off, s[20:23], 0 offset:256 ; 4-byte Folded Spill
	s_nop 0
	buffer_store_dword v66, off, s[20:23], 0 offset:260 ; 4-byte Folded Spill
	buffer_store_dword v67, off, s[20:23], 0 offset:264 ; 4-byte Folded Spill
	buffer_store_dword v68, off, s[20:23], 0 offset:268 ; 4-byte Folded Spill
	ds_read2_b64 v[99:102], v125 offset0:62 offset1:63
	buffer_load_dword v65, off, s[20:23], 0 offset:240 ; 4-byte Folded Reload
	buffer_load_dword v66, off, s[20:23], 0 offset:244 ; 4-byte Folded Reload
	buffer_load_dword v67, off, s[20:23], 0 offset:248 ; 4-byte Folded Reload
	buffer_load_dword v68, off, s[20:23], 0 offset:252 ; 4-byte Folded Reload
	s_waitcnt lgkmcnt(0)
	v_mul_f64 v[103:104], v[101:102], v[105:106]
	v_fma_f64 v[103:104], v[99:100], v[97:98], -v[103:104]
	v_mul_f64 v[99:100], v[99:100], v[105:106]
	v_fma_f64 v[99:100], v[101:102], v[97:98], v[99:100]
	s_waitcnt vmcnt(2)
	v_add_f64 v[65:66], v[65:66], -v[103:104]
	s_waitcnt vmcnt(0)
	v_add_f64 v[67:68], v[67:68], -v[99:100]
	buffer_store_dword v65, off, s[20:23], 0 offset:240 ; 4-byte Folded Spill
	s_nop 0
	buffer_store_dword v66, off, s[20:23], 0 offset:244 ; 4-byte Folded Spill
	buffer_store_dword v67, off, s[20:23], 0 offset:248 ; 4-byte Folded Spill
	buffer_store_dword v68, off, s[20:23], 0 offset:252 ; 4-byte Folded Spill
	ds_read2_b64 v[99:102], v125 offset0:64 offset1:65
	buffer_load_dword v65, off, s[20:23], 0 offset:224 ; 4-byte Folded Reload
	buffer_load_dword v66, off, s[20:23], 0 offset:228 ; 4-byte Folded Reload
	buffer_load_dword v67, off, s[20:23], 0 offset:232 ; 4-byte Folded Reload
	buffer_load_dword v68, off, s[20:23], 0 offset:236 ; 4-byte Folded Reload
	s_waitcnt lgkmcnt(0)
	v_mul_f64 v[103:104], v[101:102], v[105:106]
	v_fma_f64 v[103:104], v[99:100], v[97:98], -v[103:104]
	v_mul_f64 v[99:100], v[99:100], v[105:106]
	v_fma_f64 v[99:100], v[101:102], v[97:98], v[99:100]
	s_waitcnt vmcnt(2)
	v_add_f64 v[65:66], v[65:66], -v[103:104]
	s_waitcnt vmcnt(0)
	v_add_f64 v[67:68], v[67:68], -v[99:100]
	buffer_store_dword v65, off, s[20:23], 0 offset:224 ; 4-byte Folded Spill
	s_nop 0
	buffer_store_dword v66, off, s[20:23], 0 offset:228 ; 4-byte Folded Spill
	buffer_store_dword v67, off, s[20:23], 0 offset:232 ; 4-byte Folded Spill
	buffer_store_dword v68, off, s[20:23], 0 offset:236 ; 4-byte Folded Spill
	ds_read2_b64 v[99:102], v125 offset0:66 offset1:67
	buffer_load_dword v65, off, s[20:23], 0 offset:208 ; 4-byte Folded Reload
	buffer_load_dword v66, off, s[20:23], 0 offset:212 ; 4-byte Folded Reload
	buffer_load_dword v67, off, s[20:23], 0 offset:216 ; 4-byte Folded Reload
	buffer_load_dword v68, off, s[20:23], 0 offset:220 ; 4-byte Folded Reload
	s_waitcnt lgkmcnt(0)
	v_mul_f64 v[103:104], v[101:102], v[105:106]
	v_fma_f64 v[103:104], v[99:100], v[97:98], -v[103:104]
	v_mul_f64 v[99:100], v[99:100], v[105:106]
	v_fma_f64 v[99:100], v[101:102], v[97:98], v[99:100]
	s_waitcnt vmcnt(2)
	v_add_f64 v[65:66], v[65:66], -v[103:104]
	s_waitcnt vmcnt(0)
	v_add_f64 v[67:68], v[67:68], -v[99:100]
	buffer_store_dword v65, off, s[20:23], 0 offset:208 ; 4-byte Folded Spill
	s_nop 0
	buffer_store_dword v66, off, s[20:23], 0 offset:212 ; 4-byte Folded Spill
	buffer_store_dword v67, off, s[20:23], 0 offset:216 ; 4-byte Folded Spill
	buffer_store_dword v68, off, s[20:23], 0 offset:220 ; 4-byte Folded Spill
	ds_read2_b64 v[99:102], v125 offset0:68 offset1:69
	buffer_load_dword v65, off, s[20:23], 0 offset:192 ; 4-byte Folded Reload
	buffer_load_dword v66, off, s[20:23], 0 offset:196 ; 4-byte Folded Reload
	buffer_load_dword v67, off, s[20:23], 0 offset:200 ; 4-byte Folded Reload
	buffer_load_dword v68, off, s[20:23], 0 offset:204 ; 4-byte Folded Reload
	s_waitcnt lgkmcnt(0)
	v_mul_f64 v[103:104], v[101:102], v[105:106]
	v_fma_f64 v[103:104], v[99:100], v[97:98], -v[103:104]
	v_mul_f64 v[99:100], v[99:100], v[105:106]
	v_fma_f64 v[99:100], v[101:102], v[97:98], v[99:100]
	s_waitcnt vmcnt(2)
	v_add_f64 v[65:66], v[65:66], -v[103:104]
	s_waitcnt vmcnt(0)
	v_add_f64 v[67:68], v[67:68], -v[99:100]
	buffer_store_dword v65, off, s[20:23], 0 offset:192 ; 4-byte Folded Spill
	s_nop 0
	buffer_store_dword v66, off, s[20:23], 0 offset:196 ; 4-byte Folded Spill
	buffer_store_dword v67, off, s[20:23], 0 offset:200 ; 4-byte Folded Spill
	buffer_store_dword v68, off, s[20:23], 0 offset:204 ; 4-byte Folded Spill
	ds_read2_b64 v[99:102], v125 offset0:70 offset1:71
	s_waitcnt lgkmcnt(0)
	v_mul_f64 v[103:104], v[101:102], v[105:106]
	v_fma_f64 v[103:104], v[99:100], v[97:98], -v[103:104]
	v_mul_f64 v[99:100], v[99:100], v[105:106]
	v_add_f64 v[93:94], v[93:94], -v[103:104]
	v_fma_f64 v[99:100], v[101:102], v[97:98], v[99:100]
	v_add_f64 v[95:96], v[95:96], -v[99:100]
	ds_read2_b64 v[99:102], v125 offset0:72 offset1:73
	buffer_load_dword v41, off, s[20:23], 0 offset:176 ; 4-byte Folded Reload
	buffer_load_dword v42, off, s[20:23], 0 offset:180 ; 4-byte Folded Reload
	buffer_load_dword v43, off, s[20:23], 0 offset:184 ; 4-byte Folded Reload
	buffer_load_dword v44, off, s[20:23], 0 offset:188 ; 4-byte Folded Reload
	s_waitcnt lgkmcnt(0)
	v_mul_f64 v[103:104], v[101:102], v[105:106]
	v_fma_f64 v[103:104], v[99:100], v[97:98], -v[103:104]
	v_mul_f64 v[99:100], v[99:100], v[105:106]
	v_fma_f64 v[99:100], v[101:102], v[97:98], v[99:100]
	s_waitcnt vmcnt(2)
	v_add_f64 v[41:42], v[41:42], -v[103:104]
	s_waitcnt vmcnt(0)
	v_add_f64 v[43:44], v[43:44], -v[99:100]
	buffer_store_dword v41, off, s[20:23], 0 offset:176 ; 4-byte Folded Spill
	s_nop 0
	buffer_store_dword v42, off, s[20:23], 0 offset:180 ; 4-byte Folded Spill
	buffer_store_dword v43, off, s[20:23], 0 offset:184 ; 4-byte Folded Spill
	buffer_store_dword v44, off, s[20:23], 0 offset:188 ; 4-byte Folded Spill
	ds_read2_b64 v[99:102], v125 offset0:74 offset1:75
	buffer_load_dword v65, off, s[20:23], 0 offset:160 ; 4-byte Folded Reload
	buffer_load_dword v66, off, s[20:23], 0 offset:164 ; 4-byte Folded Reload
	buffer_load_dword v67, off, s[20:23], 0 offset:168 ; 4-byte Folded Reload
	buffer_load_dword v68, off, s[20:23], 0 offset:172 ; 4-byte Folded Reload
	s_waitcnt lgkmcnt(0)
	v_mul_f64 v[103:104], v[101:102], v[105:106]
	v_fma_f64 v[103:104], v[99:100], v[97:98], -v[103:104]
	v_mul_f64 v[99:100], v[99:100], v[105:106]
	v_fma_f64 v[99:100], v[101:102], v[97:98], v[99:100]
	s_waitcnt vmcnt(2)
	v_add_f64 v[65:66], v[65:66], -v[103:104]
	s_waitcnt vmcnt(0)
	v_add_f64 v[67:68], v[67:68], -v[99:100]
	buffer_store_dword v65, off, s[20:23], 0 offset:160 ; 4-byte Folded Spill
	s_nop 0
	buffer_store_dword v66, off, s[20:23], 0 offset:164 ; 4-byte Folded Spill
	buffer_store_dword v67, off, s[20:23], 0 offset:168 ; 4-byte Folded Spill
	buffer_store_dword v68, off, s[20:23], 0 offset:172 ; 4-byte Folded Spill
	;; [unrolled: 19-line block ×11, first 2 shown]
	ds_read2_b64 v[99:102], v125 offset0:94 offset1:95
	buffer_load_dword v45, off, s[20:23], 0 ; 4-byte Folded Reload
	buffer_load_dword v46, off, s[20:23], 0 offset:4 ; 4-byte Folded Reload
	buffer_load_dword v47, off, s[20:23], 0 offset:8 ; 4-byte Folded Reload
	;; [unrolled: 1-line block ×3, first 2 shown]
	s_waitcnt lgkmcnt(0)
	v_mul_f64 v[103:104], v[101:102], v[105:106]
	v_fma_f64 v[103:104], v[99:100], v[97:98], -v[103:104]
	v_mul_f64 v[99:100], v[99:100], v[105:106]
	v_fma_f64 v[99:100], v[101:102], v[97:98], v[99:100]
	s_waitcnt vmcnt(2)
	v_add_f64 v[45:46], v[45:46], -v[103:104]
	s_waitcnt vmcnt(0)
	v_add_f64 v[47:48], v[47:48], -v[99:100]
	buffer_store_dword v45, off, s[20:23], 0 ; 4-byte Folded Spill
	s_nop 0
	buffer_store_dword v46, off, s[20:23], 0 offset:4 ; 4-byte Folded Spill
	buffer_store_dword v47, off, s[20:23], 0 offset:8 ; 4-byte Folded Spill
	;; [unrolled: 1-line block ×3, first 2 shown]
	ds_read2_b64 v[99:102], v125 offset0:96 offset1:97
	s_waitcnt lgkmcnt(0)
	v_mul_f64 v[103:104], v[101:102], v[105:106]
	v_fma_f64 v[103:104], v[99:100], v[97:98], -v[103:104]
	v_mul_f64 v[99:100], v[99:100], v[105:106]
	v_add_f64 v[113:114], v[113:114], -v[103:104]
	v_fma_f64 v[99:100], v[101:102], v[97:98], v[99:100]
	v_add_f64 v[115:116], v[115:116], -v[99:100]
	ds_read2_b64 v[99:102], v125 offset0:98 offset1:99
	s_waitcnt lgkmcnt(0)
	v_mul_f64 v[103:104], v[101:102], v[105:106]
	v_fma_f64 v[103:104], v[99:100], v[97:98], -v[103:104]
	v_mul_f64 v[99:100], v[99:100], v[105:106]
	v_add_f64 v[37:38], v[37:38], -v[103:104]
	v_fma_f64 v[99:100], v[101:102], v[97:98], v[99:100]
	v_add_f64 v[39:40], v[39:40], -v[99:100]
	;; [unrolled: 8-line block ×11, first 2 shown]
	ds_read2_b64 v[99:102], v125 offset0:118 offset1:119
	s_waitcnt lgkmcnt(0)
	v_mul_f64 v[103:104], v[101:102], v[105:106]
	v_fma_f64 v[103:104], v[99:100], v[97:98], -v[103:104]
	v_mul_f64 v[99:100], v[99:100], v[105:106]
	v_add_f64 v[121:122], v[121:122], -v[103:104]
	v_fma_f64 v[99:100], v[101:102], v[97:98], v[99:100]
	v_mov_b32_e32 v104, v98
	v_mov_b32_e32 v103, v97
	buffer_store_dword v103, off, s[20:23], 0 offset:336 ; 4-byte Folded Spill
	s_nop 0
	buffer_store_dword v104, off, s[20:23], 0 offset:340 ; 4-byte Folded Spill
	buffer_store_dword v105, off, s[20:23], 0 offset:344 ; 4-byte Folded Spill
	;; [unrolled: 1-line block ×3, first 2 shown]
	v_add_f64 v[123:124], v[123:124], -v[99:100]
.LBB119_235:
	s_or_b64 exec, exec, s[2:3]
	v_cmp_eq_u32_e32 vcc, 26, v0
	s_waitcnt vmcnt(0)
	s_barrier
	s_and_saveexec_b64 s[4:5], vcc
	s_cbranch_execz .LBB119_242
; %bb.236:
	buffer_load_dword v65, off, s[20:23], 0 offset:320 ; 4-byte Folded Reload
	buffer_load_dword v66, off, s[20:23], 0 offset:324 ; 4-byte Folded Reload
	;; [unrolled: 1-line block ×4, first 2 shown]
	s_waitcnt vmcnt(0)
	ds_write2_b64 v127, v[65:66], v[67:68] offset1:1
	buffer_load_dword v65, off, s[20:23], 0 offset:304 ; 4-byte Folded Reload
	buffer_load_dword v66, off, s[20:23], 0 offset:308 ; 4-byte Folded Reload
	buffer_load_dword v67, off, s[20:23], 0 offset:312 ; 4-byte Folded Reload
	buffer_load_dword v68, off, s[20:23], 0 offset:316 ; 4-byte Folded Reload
	s_waitcnt vmcnt(0)
	ds_write2_b64 v125, v[65:66], v[67:68] offset0:54 offset1:55
	buffer_load_dword v65, off, s[20:23], 0 offset:288 ; 4-byte Folded Reload
	buffer_load_dword v66, off, s[20:23], 0 offset:292 ; 4-byte Folded Reload
	buffer_load_dword v67, off, s[20:23], 0 offset:296 ; 4-byte Folded Reload
	buffer_load_dword v68, off, s[20:23], 0 offset:300 ; 4-byte Folded Reload
	s_waitcnt vmcnt(0)
	ds_write2_b64 v125, v[65:66], v[67:68] offset0:56 offset1:57
	;; [unrolled: 6-line block ×8, first 2 shown]
	ds_write2_b64 v125, v[93:94], v[95:96] offset0:70 offset1:71
	buffer_load_dword v41, off, s[20:23], 0 offset:176 ; 4-byte Folded Reload
	buffer_load_dword v42, off, s[20:23], 0 offset:180 ; 4-byte Folded Reload
	buffer_load_dword v43, off, s[20:23], 0 offset:184 ; 4-byte Folded Reload
	buffer_load_dword v44, off, s[20:23], 0 offset:188 ; 4-byte Folded Reload
	s_waitcnt vmcnt(0)
	ds_write2_b64 v125, v[41:42], v[43:44] offset0:72 offset1:73
	buffer_load_dword v65, off, s[20:23], 0 offset:160 ; 4-byte Folded Reload
	buffer_load_dword v66, off, s[20:23], 0 offset:164 ; 4-byte Folded Reload
	buffer_load_dword v67, off, s[20:23], 0 offset:168 ; 4-byte Folded Reload
	buffer_load_dword v68, off, s[20:23], 0 offset:172 ; 4-byte Folded Reload
	s_waitcnt vmcnt(0)
	;; [unrolled: 6-line block ×11, first 2 shown]
	ds_write2_b64 v125, v[49:50], v[51:52] offset0:92 offset1:93
	buffer_load_dword v45, off, s[20:23], 0 ; 4-byte Folded Reload
	buffer_load_dword v46, off, s[20:23], 0 offset:4 ; 4-byte Folded Reload
	buffer_load_dword v47, off, s[20:23], 0 offset:8 ; 4-byte Folded Reload
	;; [unrolled: 1-line block ×3, first 2 shown]
	s_waitcnt vmcnt(0)
	ds_write2_b64 v125, v[45:46], v[47:48] offset0:94 offset1:95
	ds_write2_b64 v125, v[113:114], v[115:116] offset0:96 offset1:97
	;; [unrolled: 1-line block ×13, first 2 shown]
	ds_read2_b64 v[97:100], v127 offset1:1
	s_waitcnt lgkmcnt(0)
	v_cmp_neq_f64_e32 vcc, 0, v[97:98]
	v_cmp_neq_f64_e64 s[2:3], 0, v[99:100]
	s_or_b64 s[2:3], vcc, s[2:3]
	s_and_b64 exec, exec, s[2:3]
	s_cbranch_execz .LBB119_242
; %bb.237:
	v_cmp_ngt_f64_e64 s[2:3], |v[97:98]|, |v[99:100]|
                                        ; implicit-def: $vgpr101_vgpr102
	s_and_saveexec_b64 s[6:7], s[2:3]
	s_xor_b64 s[2:3], exec, s[6:7]
                                        ; implicit-def: $vgpr103_vgpr104
	s_cbranch_execz .LBB119_239
; %bb.238:
	v_div_scale_f64 v[101:102], s[6:7], v[99:100], v[99:100], v[97:98]
	v_rcp_f64_e32 v[103:104], v[101:102]
	v_fma_f64 v[105:106], -v[101:102], v[103:104], 1.0
	v_fma_f64 v[103:104], v[103:104], v[105:106], v[103:104]
	v_div_scale_f64 v[105:106], vcc, v[97:98], v[99:100], v[97:98]
	v_fma_f64 v[107:108], -v[101:102], v[103:104], 1.0
	v_fma_f64 v[103:104], v[103:104], v[107:108], v[103:104]
	v_mul_f64 v[107:108], v[105:106], v[103:104]
	v_fma_f64 v[101:102], -v[101:102], v[107:108], v[105:106]
	v_div_fmas_f64 v[101:102], v[101:102], v[103:104], v[107:108]
	v_div_fixup_f64 v[101:102], v[101:102], v[99:100], v[97:98]
	v_fma_f64 v[97:98], v[97:98], v[101:102], v[99:100]
	v_div_scale_f64 v[99:100], s[6:7], v[97:98], v[97:98], 1.0
	v_div_scale_f64 v[107:108], vcc, 1.0, v[97:98], 1.0
	v_rcp_f64_e32 v[103:104], v[99:100]
	v_fma_f64 v[105:106], -v[99:100], v[103:104], 1.0
	v_fma_f64 v[103:104], v[103:104], v[105:106], v[103:104]
	v_fma_f64 v[105:106], -v[99:100], v[103:104], 1.0
	v_fma_f64 v[103:104], v[103:104], v[105:106], v[103:104]
	v_mul_f64 v[105:106], v[107:108], v[103:104]
	v_fma_f64 v[99:100], -v[99:100], v[105:106], v[107:108]
	v_div_fmas_f64 v[99:100], v[99:100], v[103:104], v[105:106]
	v_div_fixup_f64 v[103:104], v[99:100], v[97:98], 1.0
                                        ; implicit-def: $vgpr97_vgpr98
	v_mul_f64 v[101:102], v[101:102], v[103:104]
	v_xor_b32_e32 v104, 0x80000000, v104
.LBB119_239:
	s_andn2_saveexec_b64 s[2:3], s[2:3]
	s_cbranch_execz .LBB119_241
; %bb.240:
	v_div_scale_f64 v[101:102], s[6:7], v[97:98], v[97:98], v[99:100]
	v_rcp_f64_e32 v[103:104], v[101:102]
	v_fma_f64 v[105:106], -v[101:102], v[103:104], 1.0
	v_fma_f64 v[103:104], v[103:104], v[105:106], v[103:104]
	v_div_scale_f64 v[105:106], vcc, v[99:100], v[97:98], v[99:100]
	v_fma_f64 v[107:108], -v[101:102], v[103:104], 1.0
	v_fma_f64 v[103:104], v[103:104], v[107:108], v[103:104]
	v_mul_f64 v[107:108], v[105:106], v[103:104]
	v_fma_f64 v[101:102], -v[101:102], v[107:108], v[105:106]
	v_div_fmas_f64 v[101:102], v[101:102], v[103:104], v[107:108]
	v_div_fixup_f64 v[103:104], v[101:102], v[97:98], v[99:100]
	v_fma_f64 v[97:98], v[99:100], v[103:104], v[97:98]
	v_div_scale_f64 v[99:100], s[6:7], v[97:98], v[97:98], 1.0
	v_div_scale_f64 v[107:108], vcc, 1.0, v[97:98], 1.0
	v_rcp_f64_e32 v[101:102], v[99:100]
	v_fma_f64 v[105:106], -v[99:100], v[101:102], 1.0
	v_fma_f64 v[101:102], v[101:102], v[105:106], v[101:102]
	v_fma_f64 v[105:106], -v[99:100], v[101:102], 1.0
	v_fma_f64 v[101:102], v[101:102], v[105:106], v[101:102]
	v_mul_f64 v[105:106], v[107:108], v[101:102]
	v_fma_f64 v[99:100], -v[99:100], v[105:106], v[107:108]
	v_div_fmas_f64 v[99:100], v[99:100], v[101:102], v[105:106]
	v_div_fixup_f64 v[101:102], v[99:100], v[97:98], 1.0
	v_mul_f64 v[103:104], v[103:104], -v[101:102]
.LBB119_241:
	s_or_b64 exec, exec, s[2:3]
	ds_write2_b64 v127, v[101:102], v[103:104] offset1:1
.LBB119_242:
	s_or_b64 exec, exec, s[4:5]
	s_waitcnt lgkmcnt(0)
	s_barrier
	ds_read2_b64 v[65:68], v127 offset1:1
	v_cmp_lt_u32_e32 vcc, 26, v0
	s_waitcnt lgkmcnt(0)
	buffer_store_dword v65, off, s[20:23], 0 offset:1640 ; 4-byte Folded Spill
	s_nop 0
	buffer_store_dword v66, off, s[20:23], 0 offset:1644 ; 4-byte Folded Spill
	buffer_store_dword v67, off, s[20:23], 0 offset:1648 ; 4-byte Folded Spill
	;; [unrolled: 1-line block ×3, first 2 shown]
	s_and_saveexec_b64 s[2:3], vcc
	s_cbranch_execz .LBB119_244
; %bb.243:
	buffer_load_dword v103, off, s[20:23], 0 offset:320 ; 4-byte Folded Reload
	buffer_load_dword v104, off, s[20:23], 0 offset:324 ; 4-byte Folded Reload
	;; [unrolled: 1-line block ×8, first 2 shown]
	s_waitcnt vmcnt(2)
	v_mul_f64 v[99:100], v[65:66], v[105:106]
	s_waitcnt vmcnt(0)
	v_mul_f64 v[97:98], v[67:68], v[105:106]
	v_fma_f64 v[105:106], v[67:68], v[103:104], v[99:100]
	ds_read2_b64 v[99:102], v125 offset0:54 offset1:55
	v_fma_f64 v[97:98], v[65:66], v[103:104], -v[97:98]
	buffer_load_dword v65, off, s[20:23], 0 offset:304 ; 4-byte Folded Reload
	buffer_load_dword v66, off, s[20:23], 0 offset:308 ; 4-byte Folded Reload
	buffer_load_dword v67, off, s[20:23], 0 offset:312 ; 4-byte Folded Reload
	buffer_load_dword v68, off, s[20:23], 0 offset:316 ; 4-byte Folded Reload
	s_waitcnt lgkmcnt(0)
	v_mul_f64 v[103:104], v[101:102], v[105:106]
	v_fma_f64 v[103:104], v[99:100], v[97:98], -v[103:104]
	v_mul_f64 v[99:100], v[99:100], v[105:106]
	v_fma_f64 v[99:100], v[101:102], v[97:98], v[99:100]
	s_waitcnt vmcnt(2)
	v_add_f64 v[65:66], v[65:66], -v[103:104]
	s_waitcnt vmcnt(0)
	v_add_f64 v[67:68], v[67:68], -v[99:100]
	buffer_store_dword v65, off, s[20:23], 0 offset:304 ; 4-byte Folded Spill
	s_nop 0
	buffer_store_dword v66, off, s[20:23], 0 offset:308 ; 4-byte Folded Spill
	buffer_store_dword v67, off, s[20:23], 0 offset:312 ; 4-byte Folded Spill
	buffer_store_dword v68, off, s[20:23], 0 offset:316 ; 4-byte Folded Spill
	ds_read2_b64 v[99:102], v125 offset0:56 offset1:57
	buffer_load_dword v65, off, s[20:23], 0 offset:288 ; 4-byte Folded Reload
	buffer_load_dword v66, off, s[20:23], 0 offset:292 ; 4-byte Folded Reload
	buffer_load_dword v67, off, s[20:23], 0 offset:296 ; 4-byte Folded Reload
	buffer_load_dword v68, off, s[20:23], 0 offset:300 ; 4-byte Folded Reload
	s_waitcnt lgkmcnt(0)
	v_mul_f64 v[103:104], v[101:102], v[105:106]
	v_fma_f64 v[103:104], v[99:100], v[97:98], -v[103:104]
	v_mul_f64 v[99:100], v[99:100], v[105:106]
	v_fma_f64 v[99:100], v[101:102], v[97:98], v[99:100]
	s_waitcnt vmcnt(2)
	v_add_f64 v[65:66], v[65:66], -v[103:104]
	s_waitcnt vmcnt(0)
	v_add_f64 v[67:68], v[67:68], -v[99:100]
	buffer_store_dword v65, off, s[20:23], 0 offset:288 ; 4-byte Folded Spill
	s_nop 0
	buffer_store_dword v66, off, s[20:23], 0 offset:292 ; 4-byte Folded Spill
	buffer_store_dword v67, off, s[20:23], 0 offset:296 ; 4-byte Folded Spill
	buffer_store_dword v68, off, s[20:23], 0 offset:300 ; 4-byte Folded Spill
	ds_read2_b64 v[99:102], v125 offset0:58 offset1:59
	;; [unrolled: 19-line block ×8, first 2 shown]
	s_waitcnt lgkmcnt(0)
	v_mul_f64 v[103:104], v[101:102], v[105:106]
	v_fma_f64 v[103:104], v[99:100], v[97:98], -v[103:104]
	v_mul_f64 v[99:100], v[99:100], v[105:106]
	v_add_f64 v[93:94], v[93:94], -v[103:104]
	v_fma_f64 v[99:100], v[101:102], v[97:98], v[99:100]
	v_add_f64 v[95:96], v[95:96], -v[99:100]
	ds_read2_b64 v[99:102], v125 offset0:72 offset1:73
	buffer_load_dword v41, off, s[20:23], 0 offset:176 ; 4-byte Folded Reload
	buffer_load_dword v42, off, s[20:23], 0 offset:180 ; 4-byte Folded Reload
	buffer_load_dword v43, off, s[20:23], 0 offset:184 ; 4-byte Folded Reload
	buffer_load_dword v44, off, s[20:23], 0 offset:188 ; 4-byte Folded Reload
	s_waitcnt lgkmcnt(0)
	v_mul_f64 v[103:104], v[101:102], v[105:106]
	v_fma_f64 v[103:104], v[99:100], v[97:98], -v[103:104]
	v_mul_f64 v[99:100], v[99:100], v[105:106]
	v_fma_f64 v[99:100], v[101:102], v[97:98], v[99:100]
	s_waitcnt vmcnt(2)
	v_add_f64 v[41:42], v[41:42], -v[103:104]
	s_waitcnt vmcnt(0)
	v_add_f64 v[43:44], v[43:44], -v[99:100]
	buffer_store_dword v41, off, s[20:23], 0 offset:176 ; 4-byte Folded Spill
	s_nop 0
	buffer_store_dword v42, off, s[20:23], 0 offset:180 ; 4-byte Folded Spill
	buffer_store_dword v43, off, s[20:23], 0 offset:184 ; 4-byte Folded Spill
	buffer_store_dword v44, off, s[20:23], 0 offset:188 ; 4-byte Folded Spill
	ds_read2_b64 v[99:102], v125 offset0:74 offset1:75
	buffer_load_dword v65, off, s[20:23], 0 offset:160 ; 4-byte Folded Reload
	buffer_load_dword v66, off, s[20:23], 0 offset:164 ; 4-byte Folded Reload
	buffer_load_dword v67, off, s[20:23], 0 offset:168 ; 4-byte Folded Reload
	buffer_load_dword v68, off, s[20:23], 0 offset:172 ; 4-byte Folded Reload
	s_waitcnt lgkmcnt(0)
	v_mul_f64 v[103:104], v[101:102], v[105:106]
	v_fma_f64 v[103:104], v[99:100], v[97:98], -v[103:104]
	v_mul_f64 v[99:100], v[99:100], v[105:106]
	v_fma_f64 v[99:100], v[101:102], v[97:98], v[99:100]
	s_waitcnt vmcnt(2)
	v_add_f64 v[65:66], v[65:66], -v[103:104]
	s_waitcnt vmcnt(0)
	v_add_f64 v[67:68], v[67:68], -v[99:100]
	buffer_store_dword v65, off, s[20:23], 0 offset:160 ; 4-byte Folded Spill
	s_nop 0
	buffer_store_dword v66, off, s[20:23], 0 offset:164 ; 4-byte Folded Spill
	buffer_store_dword v67, off, s[20:23], 0 offset:168 ; 4-byte Folded Spill
	buffer_store_dword v68, off, s[20:23], 0 offset:172 ; 4-byte Folded Spill
	;; [unrolled: 19-line block ×11, first 2 shown]
	ds_read2_b64 v[99:102], v125 offset0:94 offset1:95
	buffer_load_dword v45, off, s[20:23], 0 ; 4-byte Folded Reload
	buffer_load_dword v46, off, s[20:23], 0 offset:4 ; 4-byte Folded Reload
	buffer_load_dword v47, off, s[20:23], 0 offset:8 ; 4-byte Folded Reload
	buffer_load_dword v48, off, s[20:23], 0 offset:12 ; 4-byte Folded Reload
	s_waitcnt lgkmcnt(0)
	v_mul_f64 v[103:104], v[101:102], v[105:106]
	v_fma_f64 v[103:104], v[99:100], v[97:98], -v[103:104]
	v_mul_f64 v[99:100], v[99:100], v[105:106]
	v_fma_f64 v[99:100], v[101:102], v[97:98], v[99:100]
	s_waitcnt vmcnt(2)
	v_add_f64 v[45:46], v[45:46], -v[103:104]
	s_waitcnt vmcnt(0)
	v_add_f64 v[47:48], v[47:48], -v[99:100]
	buffer_store_dword v45, off, s[20:23], 0 ; 4-byte Folded Spill
	s_nop 0
	buffer_store_dword v46, off, s[20:23], 0 offset:4 ; 4-byte Folded Spill
	buffer_store_dword v47, off, s[20:23], 0 offset:8 ; 4-byte Folded Spill
	;; [unrolled: 1-line block ×3, first 2 shown]
	ds_read2_b64 v[99:102], v125 offset0:96 offset1:97
	s_waitcnt lgkmcnt(0)
	v_mul_f64 v[103:104], v[101:102], v[105:106]
	v_fma_f64 v[103:104], v[99:100], v[97:98], -v[103:104]
	v_mul_f64 v[99:100], v[99:100], v[105:106]
	v_add_f64 v[113:114], v[113:114], -v[103:104]
	v_fma_f64 v[99:100], v[101:102], v[97:98], v[99:100]
	v_add_f64 v[115:116], v[115:116], -v[99:100]
	ds_read2_b64 v[99:102], v125 offset0:98 offset1:99
	s_waitcnt lgkmcnt(0)
	v_mul_f64 v[103:104], v[101:102], v[105:106]
	v_fma_f64 v[103:104], v[99:100], v[97:98], -v[103:104]
	v_mul_f64 v[99:100], v[99:100], v[105:106]
	v_add_f64 v[37:38], v[37:38], -v[103:104]
	v_fma_f64 v[99:100], v[101:102], v[97:98], v[99:100]
	v_add_f64 v[39:40], v[39:40], -v[99:100]
	;; [unrolled: 8-line block ×11, first 2 shown]
	ds_read2_b64 v[99:102], v125 offset0:118 offset1:119
	s_waitcnt lgkmcnt(0)
	v_mul_f64 v[103:104], v[101:102], v[105:106]
	v_fma_f64 v[103:104], v[99:100], v[97:98], -v[103:104]
	v_mul_f64 v[99:100], v[99:100], v[105:106]
	v_add_f64 v[121:122], v[121:122], -v[103:104]
	v_fma_f64 v[99:100], v[101:102], v[97:98], v[99:100]
	v_mov_b32_e32 v104, v98
	v_mov_b32_e32 v103, v97
	buffer_store_dword v103, off, s[20:23], 0 offset:320 ; 4-byte Folded Spill
	s_nop 0
	buffer_store_dword v104, off, s[20:23], 0 offset:324 ; 4-byte Folded Spill
	buffer_store_dword v105, off, s[20:23], 0 offset:328 ; 4-byte Folded Spill
	;; [unrolled: 1-line block ×3, first 2 shown]
	v_add_f64 v[123:124], v[123:124], -v[99:100]
.LBB119_244:
	s_or_b64 exec, exec, s[2:3]
	v_cmp_eq_u32_e32 vcc, 27, v0
	s_waitcnt vmcnt(0)
	s_barrier
	s_and_saveexec_b64 s[4:5], vcc
	s_cbranch_execz .LBB119_251
; %bb.245:
	buffer_load_dword v65, off, s[20:23], 0 offset:304 ; 4-byte Folded Reload
	buffer_load_dword v66, off, s[20:23], 0 offset:308 ; 4-byte Folded Reload
	buffer_load_dword v67, off, s[20:23], 0 offset:312 ; 4-byte Folded Reload
	buffer_load_dword v68, off, s[20:23], 0 offset:316 ; 4-byte Folded Reload
	s_waitcnt vmcnt(0)
	ds_write2_b64 v127, v[65:66], v[67:68] offset1:1
	buffer_load_dword v65, off, s[20:23], 0 offset:288 ; 4-byte Folded Reload
	buffer_load_dword v66, off, s[20:23], 0 offset:292 ; 4-byte Folded Reload
	buffer_load_dword v67, off, s[20:23], 0 offset:296 ; 4-byte Folded Reload
	buffer_load_dword v68, off, s[20:23], 0 offset:300 ; 4-byte Folded Reload
	s_waitcnt vmcnt(0)
	ds_write2_b64 v125, v[65:66], v[67:68] offset0:56 offset1:57
	buffer_load_dword v65, off, s[20:23], 0 offset:272 ; 4-byte Folded Reload
	buffer_load_dword v66, off, s[20:23], 0 offset:276 ; 4-byte Folded Reload
	buffer_load_dword v67, off, s[20:23], 0 offset:280 ; 4-byte Folded Reload
	buffer_load_dword v68, off, s[20:23], 0 offset:284 ; 4-byte Folded Reload
	s_waitcnt vmcnt(0)
	ds_write2_b64 v125, v[65:66], v[67:68] offset0:58 offset1:59
	buffer_load_dword v65, off, s[20:23], 0 offset:256 ; 4-byte Folded Reload
	buffer_load_dword v66, off, s[20:23], 0 offset:260 ; 4-byte Folded Reload
	buffer_load_dword v67, off, s[20:23], 0 offset:264 ; 4-byte Folded Reload
	buffer_load_dword v68, off, s[20:23], 0 offset:268 ; 4-byte Folded Reload
	s_waitcnt vmcnt(0)
	ds_write2_b64 v125, v[65:66], v[67:68] offset0:60 offset1:61
	buffer_load_dword v65, off, s[20:23], 0 offset:240 ; 4-byte Folded Reload
	buffer_load_dword v66, off, s[20:23], 0 offset:244 ; 4-byte Folded Reload
	buffer_load_dword v67, off, s[20:23], 0 offset:248 ; 4-byte Folded Reload
	buffer_load_dword v68, off, s[20:23], 0 offset:252 ; 4-byte Folded Reload
	s_waitcnt vmcnt(0)
	ds_write2_b64 v125, v[65:66], v[67:68] offset0:62 offset1:63
	buffer_load_dword v65, off, s[20:23], 0 offset:224 ; 4-byte Folded Reload
	buffer_load_dword v66, off, s[20:23], 0 offset:228 ; 4-byte Folded Reload
	buffer_load_dword v67, off, s[20:23], 0 offset:232 ; 4-byte Folded Reload
	buffer_load_dword v68, off, s[20:23], 0 offset:236 ; 4-byte Folded Reload
	s_waitcnt vmcnt(0)
	ds_write2_b64 v125, v[65:66], v[67:68] offset0:64 offset1:65
	buffer_load_dword v65, off, s[20:23], 0 offset:208 ; 4-byte Folded Reload
	buffer_load_dword v66, off, s[20:23], 0 offset:212 ; 4-byte Folded Reload
	buffer_load_dword v67, off, s[20:23], 0 offset:216 ; 4-byte Folded Reload
	buffer_load_dword v68, off, s[20:23], 0 offset:220 ; 4-byte Folded Reload
	s_waitcnt vmcnt(0)
	ds_write2_b64 v125, v[65:66], v[67:68] offset0:66 offset1:67
	buffer_load_dword v65, off, s[20:23], 0 offset:192 ; 4-byte Folded Reload
	buffer_load_dword v66, off, s[20:23], 0 offset:196 ; 4-byte Folded Reload
	buffer_load_dword v67, off, s[20:23], 0 offset:200 ; 4-byte Folded Reload
	buffer_load_dword v68, off, s[20:23], 0 offset:204 ; 4-byte Folded Reload
	s_waitcnt vmcnt(0)
	ds_write2_b64 v125, v[65:66], v[67:68] offset0:68 offset1:69
	ds_write2_b64 v125, v[93:94], v[95:96] offset0:70 offset1:71
	buffer_load_dword v41, off, s[20:23], 0 offset:176 ; 4-byte Folded Reload
	buffer_load_dword v42, off, s[20:23], 0 offset:180 ; 4-byte Folded Reload
	buffer_load_dword v43, off, s[20:23], 0 offset:184 ; 4-byte Folded Reload
	buffer_load_dword v44, off, s[20:23], 0 offset:188 ; 4-byte Folded Reload
	s_waitcnt vmcnt(0)
	ds_write2_b64 v125, v[41:42], v[43:44] offset0:72 offset1:73
	buffer_load_dword v65, off, s[20:23], 0 offset:160 ; 4-byte Folded Reload
	buffer_load_dword v66, off, s[20:23], 0 offset:164 ; 4-byte Folded Reload
	buffer_load_dword v67, off, s[20:23], 0 offset:168 ; 4-byte Folded Reload
	buffer_load_dword v68, off, s[20:23], 0 offset:172 ; 4-byte Folded Reload
	s_waitcnt vmcnt(0)
	;; [unrolled: 6-line block ×11, first 2 shown]
	ds_write2_b64 v125, v[49:50], v[51:52] offset0:92 offset1:93
	buffer_load_dword v45, off, s[20:23], 0 ; 4-byte Folded Reload
	buffer_load_dword v46, off, s[20:23], 0 offset:4 ; 4-byte Folded Reload
	buffer_load_dword v47, off, s[20:23], 0 offset:8 ; 4-byte Folded Reload
	;; [unrolled: 1-line block ×3, first 2 shown]
	s_waitcnt vmcnt(0)
	ds_write2_b64 v125, v[45:46], v[47:48] offset0:94 offset1:95
	ds_write2_b64 v125, v[113:114], v[115:116] offset0:96 offset1:97
	;; [unrolled: 1-line block ×13, first 2 shown]
	ds_read2_b64 v[97:100], v127 offset1:1
	s_waitcnt lgkmcnt(0)
	v_cmp_neq_f64_e32 vcc, 0, v[97:98]
	v_cmp_neq_f64_e64 s[2:3], 0, v[99:100]
	s_or_b64 s[2:3], vcc, s[2:3]
	s_and_b64 exec, exec, s[2:3]
	s_cbranch_execz .LBB119_251
; %bb.246:
	v_cmp_ngt_f64_e64 s[2:3], |v[97:98]|, |v[99:100]|
                                        ; implicit-def: $vgpr101_vgpr102
	s_and_saveexec_b64 s[6:7], s[2:3]
	s_xor_b64 s[2:3], exec, s[6:7]
                                        ; implicit-def: $vgpr103_vgpr104
	s_cbranch_execz .LBB119_248
; %bb.247:
	v_div_scale_f64 v[101:102], s[6:7], v[99:100], v[99:100], v[97:98]
	v_rcp_f64_e32 v[103:104], v[101:102]
	v_fma_f64 v[105:106], -v[101:102], v[103:104], 1.0
	v_fma_f64 v[103:104], v[103:104], v[105:106], v[103:104]
	v_div_scale_f64 v[105:106], vcc, v[97:98], v[99:100], v[97:98]
	v_fma_f64 v[107:108], -v[101:102], v[103:104], 1.0
	v_fma_f64 v[103:104], v[103:104], v[107:108], v[103:104]
	v_mul_f64 v[107:108], v[105:106], v[103:104]
	v_fma_f64 v[101:102], -v[101:102], v[107:108], v[105:106]
	v_div_fmas_f64 v[101:102], v[101:102], v[103:104], v[107:108]
	v_div_fixup_f64 v[101:102], v[101:102], v[99:100], v[97:98]
	v_fma_f64 v[97:98], v[97:98], v[101:102], v[99:100]
	v_div_scale_f64 v[99:100], s[6:7], v[97:98], v[97:98], 1.0
	v_div_scale_f64 v[107:108], vcc, 1.0, v[97:98], 1.0
	v_rcp_f64_e32 v[103:104], v[99:100]
	v_fma_f64 v[105:106], -v[99:100], v[103:104], 1.0
	v_fma_f64 v[103:104], v[103:104], v[105:106], v[103:104]
	v_fma_f64 v[105:106], -v[99:100], v[103:104], 1.0
	v_fma_f64 v[103:104], v[103:104], v[105:106], v[103:104]
	v_mul_f64 v[105:106], v[107:108], v[103:104]
	v_fma_f64 v[99:100], -v[99:100], v[105:106], v[107:108]
	v_div_fmas_f64 v[99:100], v[99:100], v[103:104], v[105:106]
	v_div_fixup_f64 v[103:104], v[99:100], v[97:98], 1.0
                                        ; implicit-def: $vgpr97_vgpr98
	v_mul_f64 v[101:102], v[101:102], v[103:104]
	v_xor_b32_e32 v104, 0x80000000, v104
.LBB119_248:
	s_andn2_saveexec_b64 s[2:3], s[2:3]
	s_cbranch_execz .LBB119_250
; %bb.249:
	v_div_scale_f64 v[101:102], s[6:7], v[97:98], v[97:98], v[99:100]
	v_rcp_f64_e32 v[103:104], v[101:102]
	v_fma_f64 v[105:106], -v[101:102], v[103:104], 1.0
	v_fma_f64 v[103:104], v[103:104], v[105:106], v[103:104]
	v_div_scale_f64 v[105:106], vcc, v[99:100], v[97:98], v[99:100]
	v_fma_f64 v[107:108], -v[101:102], v[103:104], 1.0
	v_fma_f64 v[103:104], v[103:104], v[107:108], v[103:104]
	v_mul_f64 v[107:108], v[105:106], v[103:104]
	v_fma_f64 v[101:102], -v[101:102], v[107:108], v[105:106]
	v_div_fmas_f64 v[101:102], v[101:102], v[103:104], v[107:108]
	v_div_fixup_f64 v[103:104], v[101:102], v[97:98], v[99:100]
	v_fma_f64 v[97:98], v[99:100], v[103:104], v[97:98]
	v_div_scale_f64 v[99:100], s[6:7], v[97:98], v[97:98], 1.0
	v_div_scale_f64 v[107:108], vcc, 1.0, v[97:98], 1.0
	v_rcp_f64_e32 v[101:102], v[99:100]
	v_fma_f64 v[105:106], -v[99:100], v[101:102], 1.0
	v_fma_f64 v[101:102], v[101:102], v[105:106], v[101:102]
	v_fma_f64 v[105:106], -v[99:100], v[101:102], 1.0
	v_fma_f64 v[101:102], v[101:102], v[105:106], v[101:102]
	v_mul_f64 v[105:106], v[107:108], v[101:102]
	v_fma_f64 v[99:100], -v[99:100], v[105:106], v[107:108]
	v_div_fmas_f64 v[99:100], v[99:100], v[101:102], v[105:106]
	v_div_fixup_f64 v[101:102], v[99:100], v[97:98], 1.0
	v_mul_f64 v[103:104], v[103:104], -v[101:102]
.LBB119_250:
	s_or_b64 exec, exec, s[2:3]
	ds_write2_b64 v127, v[101:102], v[103:104] offset1:1
.LBB119_251:
	s_or_b64 exec, exec, s[4:5]
	s_waitcnt lgkmcnt(0)
	s_barrier
	ds_read2_b64 v[65:68], v127 offset1:1
	v_cmp_lt_u32_e32 vcc, 27, v0
	s_waitcnt lgkmcnt(0)
	buffer_store_dword v65, off, s[20:23], 0 offset:1656 ; 4-byte Folded Spill
	s_nop 0
	buffer_store_dword v66, off, s[20:23], 0 offset:1660 ; 4-byte Folded Spill
	buffer_store_dword v67, off, s[20:23], 0 offset:1664 ; 4-byte Folded Spill
	;; [unrolled: 1-line block ×3, first 2 shown]
	s_and_saveexec_b64 s[2:3], vcc
	s_cbranch_execz .LBB119_253
; %bb.252:
	buffer_load_dword v103, off, s[20:23], 0 offset:304 ; 4-byte Folded Reload
	buffer_load_dword v104, off, s[20:23], 0 offset:308 ; 4-byte Folded Reload
	buffer_load_dword v105, off, s[20:23], 0 offset:312 ; 4-byte Folded Reload
	buffer_load_dword v106, off, s[20:23], 0 offset:316 ; 4-byte Folded Reload
	buffer_load_dword v65, off, s[20:23], 0 offset:1656 ; 4-byte Folded Reload
	buffer_load_dword v66, off, s[20:23], 0 offset:1660 ; 4-byte Folded Reload
	buffer_load_dword v67, off, s[20:23], 0 offset:1664 ; 4-byte Folded Reload
	buffer_load_dword v68, off, s[20:23], 0 offset:1668 ; 4-byte Folded Reload
	s_waitcnt vmcnt(2)
	v_mul_f64 v[99:100], v[65:66], v[105:106]
	s_waitcnt vmcnt(0)
	v_mul_f64 v[97:98], v[67:68], v[105:106]
	v_fma_f64 v[105:106], v[67:68], v[103:104], v[99:100]
	ds_read2_b64 v[99:102], v125 offset0:56 offset1:57
	v_fma_f64 v[97:98], v[65:66], v[103:104], -v[97:98]
	buffer_load_dword v65, off, s[20:23], 0 offset:288 ; 4-byte Folded Reload
	buffer_load_dword v66, off, s[20:23], 0 offset:292 ; 4-byte Folded Reload
	buffer_load_dword v67, off, s[20:23], 0 offset:296 ; 4-byte Folded Reload
	buffer_load_dword v68, off, s[20:23], 0 offset:300 ; 4-byte Folded Reload
	s_waitcnt lgkmcnt(0)
	v_mul_f64 v[103:104], v[101:102], v[105:106]
	v_fma_f64 v[103:104], v[99:100], v[97:98], -v[103:104]
	v_mul_f64 v[99:100], v[99:100], v[105:106]
	v_fma_f64 v[99:100], v[101:102], v[97:98], v[99:100]
	s_waitcnt vmcnt(2)
	v_add_f64 v[65:66], v[65:66], -v[103:104]
	s_waitcnt vmcnt(0)
	v_add_f64 v[67:68], v[67:68], -v[99:100]
	buffer_store_dword v65, off, s[20:23], 0 offset:288 ; 4-byte Folded Spill
	s_nop 0
	buffer_store_dword v66, off, s[20:23], 0 offset:292 ; 4-byte Folded Spill
	buffer_store_dword v67, off, s[20:23], 0 offset:296 ; 4-byte Folded Spill
	buffer_store_dword v68, off, s[20:23], 0 offset:300 ; 4-byte Folded Spill
	ds_read2_b64 v[99:102], v125 offset0:58 offset1:59
	buffer_load_dword v65, off, s[20:23], 0 offset:272 ; 4-byte Folded Reload
	buffer_load_dword v66, off, s[20:23], 0 offset:276 ; 4-byte Folded Reload
	buffer_load_dword v67, off, s[20:23], 0 offset:280 ; 4-byte Folded Reload
	buffer_load_dword v68, off, s[20:23], 0 offset:284 ; 4-byte Folded Reload
	s_waitcnt lgkmcnt(0)
	v_mul_f64 v[103:104], v[101:102], v[105:106]
	v_fma_f64 v[103:104], v[99:100], v[97:98], -v[103:104]
	v_mul_f64 v[99:100], v[99:100], v[105:106]
	v_fma_f64 v[99:100], v[101:102], v[97:98], v[99:100]
	s_waitcnt vmcnt(2)
	v_add_f64 v[65:66], v[65:66], -v[103:104]
	s_waitcnt vmcnt(0)
	v_add_f64 v[67:68], v[67:68], -v[99:100]
	buffer_store_dword v65, off, s[20:23], 0 offset:272 ; 4-byte Folded Spill
	s_nop 0
	buffer_store_dword v66, off, s[20:23], 0 offset:276 ; 4-byte Folded Spill
	buffer_store_dword v67, off, s[20:23], 0 offset:280 ; 4-byte Folded Spill
	buffer_store_dword v68, off, s[20:23], 0 offset:284 ; 4-byte Folded Spill
	ds_read2_b64 v[99:102], v125 offset0:60 offset1:61
	;; [unrolled: 19-line block ×7, first 2 shown]
	s_waitcnt lgkmcnt(0)
	v_mul_f64 v[103:104], v[101:102], v[105:106]
	v_fma_f64 v[103:104], v[99:100], v[97:98], -v[103:104]
	v_mul_f64 v[99:100], v[99:100], v[105:106]
	v_add_f64 v[93:94], v[93:94], -v[103:104]
	v_fma_f64 v[99:100], v[101:102], v[97:98], v[99:100]
	v_add_f64 v[95:96], v[95:96], -v[99:100]
	ds_read2_b64 v[99:102], v125 offset0:72 offset1:73
	buffer_load_dword v41, off, s[20:23], 0 offset:176 ; 4-byte Folded Reload
	buffer_load_dword v42, off, s[20:23], 0 offset:180 ; 4-byte Folded Reload
	buffer_load_dword v43, off, s[20:23], 0 offset:184 ; 4-byte Folded Reload
	buffer_load_dword v44, off, s[20:23], 0 offset:188 ; 4-byte Folded Reload
	s_waitcnt lgkmcnt(0)
	v_mul_f64 v[103:104], v[101:102], v[105:106]
	v_fma_f64 v[103:104], v[99:100], v[97:98], -v[103:104]
	v_mul_f64 v[99:100], v[99:100], v[105:106]
	v_fma_f64 v[99:100], v[101:102], v[97:98], v[99:100]
	s_waitcnt vmcnt(2)
	v_add_f64 v[41:42], v[41:42], -v[103:104]
	s_waitcnt vmcnt(0)
	v_add_f64 v[43:44], v[43:44], -v[99:100]
	buffer_store_dword v41, off, s[20:23], 0 offset:176 ; 4-byte Folded Spill
	s_nop 0
	buffer_store_dword v42, off, s[20:23], 0 offset:180 ; 4-byte Folded Spill
	buffer_store_dword v43, off, s[20:23], 0 offset:184 ; 4-byte Folded Spill
	buffer_store_dword v44, off, s[20:23], 0 offset:188 ; 4-byte Folded Spill
	ds_read2_b64 v[99:102], v125 offset0:74 offset1:75
	buffer_load_dword v65, off, s[20:23], 0 offset:160 ; 4-byte Folded Reload
	buffer_load_dword v66, off, s[20:23], 0 offset:164 ; 4-byte Folded Reload
	buffer_load_dword v67, off, s[20:23], 0 offset:168 ; 4-byte Folded Reload
	buffer_load_dword v68, off, s[20:23], 0 offset:172 ; 4-byte Folded Reload
	s_waitcnt lgkmcnt(0)
	v_mul_f64 v[103:104], v[101:102], v[105:106]
	v_fma_f64 v[103:104], v[99:100], v[97:98], -v[103:104]
	v_mul_f64 v[99:100], v[99:100], v[105:106]
	v_fma_f64 v[99:100], v[101:102], v[97:98], v[99:100]
	s_waitcnt vmcnt(2)
	v_add_f64 v[65:66], v[65:66], -v[103:104]
	s_waitcnt vmcnt(0)
	v_add_f64 v[67:68], v[67:68], -v[99:100]
	buffer_store_dword v65, off, s[20:23], 0 offset:160 ; 4-byte Folded Spill
	s_nop 0
	buffer_store_dword v66, off, s[20:23], 0 offset:164 ; 4-byte Folded Spill
	buffer_store_dword v67, off, s[20:23], 0 offset:168 ; 4-byte Folded Spill
	buffer_store_dword v68, off, s[20:23], 0 offset:172 ; 4-byte Folded Spill
	;; [unrolled: 19-line block ×11, first 2 shown]
	ds_read2_b64 v[99:102], v125 offset0:94 offset1:95
	buffer_load_dword v45, off, s[20:23], 0 ; 4-byte Folded Reload
	buffer_load_dword v46, off, s[20:23], 0 offset:4 ; 4-byte Folded Reload
	buffer_load_dword v47, off, s[20:23], 0 offset:8 ; 4-byte Folded Reload
	;; [unrolled: 1-line block ×3, first 2 shown]
	s_waitcnt lgkmcnt(0)
	v_mul_f64 v[103:104], v[101:102], v[105:106]
	v_fma_f64 v[103:104], v[99:100], v[97:98], -v[103:104]
	v_mul_f64 v[99:100], v[99:100], v[105:106]
	v_fma_f64 v[99:100], v[101:102], v[97:98], v[99:100]
	s_waitcnt vmcnt(2)
	v_add_f64 v[45:46], v[45:46], -v[103:104]
	s_waitcnt vmcnt(0)
	v_add_f64 v[47:48], v[47:48], -v[99:100]
	buffer_store_dword v45, off, s[20:23], 0 ; 4-byte Folded Spill
	s_nop 0
	buffer_store_dword v46, off, s[20:23], 0 offset:4 ; 4-byte Folded Spill
	buffer_store_dword v47, off, s[20:23], 0 offset:8 ; 4-byte Folded Spill
	;; [unrolled: 1-line block ×3, first 2 shown]
	ds_read2_b64 v[99:102], v125 offset0:96 offset1:97
	s_waitcnt lgkmcnt(0)
	v_mul_f64 v[103:104], v[101:102], v[105:106]
	v_fma_f64 v[103:104], v[99:100], v[97:98], -v[103:104]
	v_mul_f64 v[99:100], v[99:100], v[105:106]
	v_add_f64 v[113:114], v[113:114], -v[103:104]
	v_fma_f64 v[99:100], v[101:102], v[97:98], v[99:100]
	v_add_f64 v[115:116], v[115:116], -v[99:100]
	ds_read2_b64 v[99:102], v125 offset0:98 offset1:99
	s_waitcnt lgkmcnt(0)
	v_mul_f64 v[103:104], v[101:102], v[105:106]
	v_fma_f64 v[103:104], v[99:100], v[97:98], -v[103:104]
	v_mul_f64 v[99:100], v[99:100], v[105:106]
	v_add_f64 v[37:38], v[37:38], -v[103:104]
	v_fma_f64 v[99:100], v[101:102], v[97:98], v[99:100]
	v_add_f64 v[39:40], v[39:40], -v[99:100]
	;; [unrolled: 8-line block ×11, first 2 shown]
	ds_read2_b64 v[99:102], v125 offset0:118 offset1:119
	s_waitcnt lgkmcnt(0)
	v_mul_f64 v[103:104], v[101:102], v[105:106]
	v_fma_f64 v[103:104], v[99:100], v[97:98], -v[103:104]
	v_mul_f64 v[99:100], v[99:100], v[105:106]
	v_add_f64 v[121:122], v[121:122], -v[103:104]
	v_fma_f64 v[99:100], v[101:102], v[97:98], v[99:100]
	v_mov_b32_e32 v104, v98
	v_mov_b32_e32 v103, v97
	buffer_store_dword v103, off, s[20:23], 0 offset:304 ; 4-byte Folded Spill
	s_nop 0
	buffer_store_dword v104, off, s[20:23], 0 offset:308 ; 4-byte Folded Spill
	buffer_store_dword v105, off, s[20:23], 0 offset:312 ; 4-byte Folded Spill
	;; [unrolled: 1-line block ×3, first 2 shown]
	v_add_f64 v[123:124], v[123:124], -v[99:100]
.LBB119_253:
	s_or_b64 exec, exec, s[2:3]
	v_cmp_eq_u32_e32 vcc, 28, v0
	s_waitcnt vmcnt(0)
	s_barrier
	s_and_saveexec_b64 s[4:5], vcc
	s_cbranch_execz .LBB119_260
; %bb.254:
	buffer_load_dword v65, off, s[20:23], 0 offset:288 ; 4-byte Folded Reload
	buffer_load_dword v66, off, s[20:23], 0 offset:292 ; 4-byte Folded Reload
	;; [unrolled: 1-line block ×4, first 2 shown]
	s_waitcnt vmcnt(0)
	ds_write2_b64 v127, v[65:66], v[67:68] offset1:1
	buffer_load_dword v65, off, s[20:23], 0 offset:272 ; 4-byte Folded Reload
	buffer_load_dword v66, off, s[20:23], 0 offset:276 ; 4-byte Folded Reload
	buffer_load_dword v67, off, s[20:23], 0 offset:280 ; 4-byte Folded Reload
	buffer_load_dword v68, off, s[20:23], 0 offset:284 ; 4-byte Folded Reload
	s_waitcnt vmcnt(0)
	ds_write2_b64 v125, v[65:66], v[67:68] offset0:58 offset1:59
	buffer_load_dword v65, off, s[20:23], 0 offset:256 ; 4-byte Folded Reload
	buffer_load_dword v66, off, s[20:23], 0 offset:260 ; 4-byte Folded Reload
	buffer_load_dword v67, off, s[20:23], 0 offset:264 ; 4-byte Folded Reload
	buffer_load_dword v68, off, s[20:23], 0 offset:268 ; 4-byte Folded Reload
	s_waitcnt vmcnt(0)
	ds_write2_b64 v125, v[65:66], v[67:68] offset0:60 offset1:61
	;; [unrolled: 6-line block ×6, first 2 shown]
	ds_write2_b64 v125, v[93:94], v[95:96] offset0:70 offset1:71
	buffer_load_dword v41, off, s[20:23], 0 offset:176 ; 4-byte Folded Reload
	buffer_load_dword v42, off, s[20:23], 0 offset:180 ; 4-byte Folded Reload
	buffer_load_dword v43, off, s[20:23], 0 offset:184 ; 4-byte Folded Reload
	buffer_load_dword v44, off, s[20:23], 0 offset:188 ; 4-byte Folded Reload
	s_waitcnt vmcnt(0)
	ds_write2_b64 v125, v[41:42], v[43:44] offset0:72 offset1:73
	buffer_load_dword v65, off, s[20:23], 0 offset:160 ; 4-byte Folded Reload
	buffer_load_dword v66, off, s[20:23], 0 offset:164 ; 4-byte Folded Reload
	buffer_load_dword v67, off, s[20:23], 0 offset:168 ; 4-byte Folded Reload
	buffer_load_dword v68, off, s[20:23], 0 offset:172 ; 4-byte Folded Reload
	s_waitcnt vmcnt(0)
	;; [unrolled: 6-line block ×11, first 2 shown]
	ds_write2_b64 v125, v[49:50], v[51:52] offset0:92 offset1:93
	buffer_load_dword v45, off, s[20:23], 0 ; 4-byte Folded Reload
	buffer_load_dword v46, off, s[20:23], 0 offset:4 ; 4-byte Folded Reload
	buffer_load_dword v47, off, s[20:23], 0 offset:8 ; 4-byte Folded Reload
	;; [unrolled: 1-line block ×3, first 2 shown]
	s_waitcnt vmcnt(0)
	ds_write2_b64 v125, v[45:46], v[47:48] offset0:94 offset1:95
	ds_write2_b64 v125, v[113:114], v[115:116] offset0:96 offset1:97
	;; [unrolled: 1-line block ×13, first 2 shown]
	ds_read2_b64 v[97:100], v127 offset1:1
	s_waitcnt lgkmcnt(0)
	v_cmp_neq_f64_e32 vcc, 0, v[97:98]
	v_cmp_neq_f64_e64 s[2:3], 0, v[99:100]
	s_or_b64 s[2:3], vcc, s[2:3]
	s_and_b64 exec, exec, s[2:3]
	s_cbranch_execz .LBB119_260
; %bb.255:
	v_cmp_ngt_f64_e64 s[2:3], |v[97:98]|, |v[99:100]|
                                        ; implicit-def: $vgpr101_vgpr102
	s_and_saveexec_b64 s[6:7], s[2:3]
	s_xor_b64 s[2:3], exec, s[6:7]
                                        ; implicit-def: $vgpr103_vgpr104
	s_cbranch_execz .LBB119_257
; %bb.256:
	v_div_scale_f64 v[101:102], s[6:7], v[99:100], v[99:100], v[97:98]
	v_rcp_f64_e32 v[103:104], v[101:102]
	v_fma_f64 v[105:106], -v[101:102], v[103:104], 1.0
	v_fma_f64 v[103:104], v[103:104], v[105:106], v[103:104]
	v_div_scale_f64 v[105:106], vcc, v[97:98], v[99:100], v[97:98]
	v_fma_f64 v[107:108], -v[101:102], v[103:104], 1.0
	v_fma_f64 v[103:104], v[103:104], v[107:108], v[103:104]
	v_mul_f64 v[107:108], v[105:106], v[103:104]
	v_fma_f64 v[101:102], -v[101:102], v[107:108], v[105:106]
	v_div_fmas_f64 v[101:102], v[101:102], v[103:104], v[107:108]
	v_div_fixup_f64 v[101:102], v[101:102], v[99:100], v[97:98]
	v_fma_f64 v[97:98], v[97:98], v[101:102], v[99:100]
	v_div_scale_f64 v[99:100], s[6:7], v[97:98], v[97:98], 1.0
	v_div_scale_f64 v[107:108], vcc, 1.0, v[97:98], 1.0
	v_rcp_f64_e32 v[103:104], v[99:100]
	v_fma_f64 v[105:106], -v[99:100], v[103:104], 1.0
	v_fma_f64 v[103:104], v[103:104], v[105:106], v[103:104]
	v_fma_f64 v[105:106], -v[99:100], v[103:104], 1.0
	v_fma_f64 v[103:104], v[103:104], v[105:106], v[103:104]
	v_mul_f64 v[105:106], v[107:108], v[103:104]
	v_fma_f64 v[99:100], -v[99:100], v[105:106], v[107:108]
	v_div_fmas_f64 v[99:100], v[99:100], v[103:104], v[105:106]
	v_div_fixup_f64 v[103:104], v[99:100], v[97:98], 1.0
                                        ; implicit-def: $vgpr97_vgpr98
	v_mul_f64 v[101:102], v[101:102], v[103:104]
	v_xor_b32_e32 v104, 0x80000000, v104
.LBB119_257:
	s_andn2_saveexec_b64 s[2:3], s[2:3]
	s_cbranch_execz .LBB119_259
; %bb.258:
	v_div_scale_f64 v[101:102], s[6:7], v[97:98], v[97:98], v[99:100]
	v_rcp_f64_e32 v[103:104], v[101:102]
	v_fma_f64 v[105:106], -v[101:102], v[103:104], 1.0
	v_fma_f64 v[103:104], v[103:104], v[105:106], v[103:104]
	v_div_scale_f64 v[105:106], vcc, v[99:100], v[97:98], v[99:100]
	v_fma_f64 v[107:108], -v[101:102], v[103:104], 1.0
	v_fma_f64 v[103:104], v[103:104], v[107:108], v[103:104]
	v_mul_f64 v[107:108], v[105:106], v[103:104]
	v_fma_f64 v[101:102], -v[101:102], v[107:108], v[105:106]
	v_div_fmas_f64 v[101:102], v[101:102], v[103:104], v[107:108]
	v_div_fixup_f64 v[103:104], v[101:102], v[97:98], v[99:100]
	v_fma_f64 v[97:98], v[99:100], v[103:104], v[97:98]
	v_div_scale_f64 v[99:100], s[6:7], v[97:98], v[97:98], 1.0
	v_div_scale_f64 v[107:108], vcc, 1.0, v[97:98], 1.0
	v_rcp_f64_e32 v[101:102], v[99:100]
	v_fma_f64 v[105:106], -v[99:100], v[101:102], 1.0
	v_fma_f64 v[101:102], v[101:102], v[105:106], v[101:102]
	v_fma_f64 v[105:106], -v[99:100], v[101:102], 1.0
	v_fma_f64 v[101:102], v[101:102], v[105:106], v[101:102]
	v_mul_f64 v[105:106], v[107:108], v[101:102]
	v_fma_f64 v[99:100], -v[99:100], v[105:106], v[107:108]
	v_div_fmas_f64 v[99:100], v[99:100], v[101:102], v[105:106]
	v_div_fixup_f64 v[101:102], v[99:100], v[97:98], 1.0
	v_mul_f64 v[103:104], v[103:104], -v[101:102]
.LBB119_259:
	s_or_b64 exec, exec, s[2:3]
	ds_write2_b64 v127, v[101:102], v[103:104] offset1:1
.LBB119_260:
	s_or_b64 exec, exec, s[4:5]
	s_waitcnt lgkmcnt(0)
	s_barrier
	ds_read2_b64 v[65:68], v127 offset1:1
	v_cmp_lt_u32_e32 vcc, 28, v0
	s_waitcnt lgkmcnt(0)
	buffer_store_dword v65, off, s[20:23], 0 offset:1672 ; 4-byte Folded Spill
	s_nop 0
	buffer_store_dword v66, off, s[20:23], 0 offset:1676 ; 4-byte Folded Spill
	buffer_store_dword v67, off, s[20:23], 0 offset:1680 ; 4-byte Folded Spill
	buffer_store_dword v68, off, s[20:23], 0 offset:1684 ; 4-byte Folded Spill
	s_and_saveexec_b64 s[2:3], vcc
	s_cbranch_execz .LBB119_262
; %bb.261:
	buffer_load_dword v103, off, s[20:23], 0 offset:288 ; 4-byte Folded Reload
	buffer_load_dword v104, off, s[20:23], 0 offset:292 ; 4-byte Folded Reload
	;; [unrolled: 1-line block ×8, first 2 shown]
	s_waitcnt vmcnt(2)
	v_mul_f64 v[99:100], v[65:66], v[105:106]
	s_waitcnt vmcnt(0)
	v_mul_f64 v[97:98], v[67:68], v[105:106]
	v_fma_f64 v[105:106], v[67:68], v[103:104], v[99:100]
	ds_read2_b64 v[99:102], v125 offset0:58 offset1:59
	v_fma_f64 v[97:98], v[65:66], v[103:104], -v[97:98]
	buffer_load_dword v65, off, s[20:23], 0 offset:272 ; 4-byte Folded Reload
	buffer_load_dword v66, off, s[20:23], 0 offset:276 ; 4-byte Folded Reload
	buffer_load_dword v67, off, s[20:23], 0 offset:280 ; 4-byte Folded Reload
	buffer_load_dword v68, off, s[20:23], 0 offset:284 ; 4-byte Folded Reload
	s_waitcnt lgkmcnt(0)
	v_mul_f64 v[103:104], v[101:102], v[105:106]
	v_fma_f64 v[103:104], v[99:100], v[97:98], -v[103:104]
	v_mul_f64 v[99:100], v[99:100], v[105:106]
	v_fma_f64 v[99:100], v[101:102], v[97:98], v[99:100]
	s_waitcnt vmcnt(2)
	v_add_f64 v[65:66], v[65:66], -v[103:104]
	s_waitcnt vmcnt(0)
	v_add_f64 v[67:68], v[67:68], -v[99:100]
	buffer_store_dword v65, off, s[20:23], 0 offset:272 ; 4-byte Folded Spill
	s_nop 0
	buffer_store_dword v66, off, s[20:23], 0 offset:276 ; 4-byte Folded Spill
	buffer_store_dword v67, off, s[20:23], 0 offset:280 ; 4-byte Folded Spill
	buffer_store_dword v68, off, s[20:23], 0 offset:284 ; 4-byte Folded Spill
	ds_read2_b64 v[99:102], v125 offset0:60 offset1:61
	buffer_load_dword v65, off, s[20:23], 0 offset:256 ; 4-byte Folded Reload
	buffer_load_dword v66, off, s[20:23], 0 offset:260 ; 4-byte Folded Reload
	buffer_load_dword v67, off, s[20:23], 0 offset:264 ; 4-byte Folded Reload
	buffer_load_dword v68, off, s[20:23], 0 offset:268 ; 4-byte Folded Reload
	s_waitcnt lgkmcnt(0)
	v_mul_f64 v[103:104], v[101:102], v[105:106]
	v_fma_f64 v[103:104], v[99:100], v[97:98], -v[103:104]
	v_mul_f64 v[99:100], v[99:100], v[105:106]
	v_fma_f64 v[99:100], v[101:102], v[97:98], v[99:100]
	s_waitcnt vmcnt(2)
	v_add_f64 v[65:66], v[65:66], -v[103:104]
	s_waitcnt vmcnt(0)
	v_add_f64 v[67:68], v[67:68], -v[99:100]
	buffer_store_dword v65, off, s[20:23], 0 offset:256 ; 4-byte Folded Spill
	s_nop 0
	buffer_store_dword v66, off, s[20:23], 0 offset:260 ; 4-byte Folded Spill
	buffer_store_dword v67, off, s[20:23], 0 offset:264 ; 4-byte Folded Spill
	buffer_store_dword v68, off, s[20:23], 0 offset:268 ; 4-byte Folded Spill
	ds_read2_b64 v[99:102], v125 offset0:62 offset1:63
	;; [unrolled: 19-line block ×6, first 2 shown]
	s_waitcnt lgkmcnt(0)
	v_mul_f64 v[103:104], v[101:102], v[105:106]
	v_fma_f64 v[103:104], v[99:100], v[97:98], -v[103:104]
	v_mul_f64 v[99:100], v[99:100], v[105:106]
	v_add_f64 v[93:94], v[93:94], -v[103:104]
	v_fma_f64 v[99:100], v[101:102], v[97:98], v[99:100]
	v_add_f64 v[95:96], v[95:96], -v[99:100]
	ds_read2_b64 v[99:102], v125 offset0:72 offset1:73
	buffer_load_dword v41, off, s[20:23], 0 offset:176 ; 4-byte Folded Reload
	buffer_load_dword v42, off, s[20:23], 0 offset:180 ; 4-byte Folded Reload
	buffer_load_dword v43, off, s[20:23], 0 offset:184 ; 4-byte Folded Reload
	buffer_load_dword v44, off, s[20:23], 0 offset:188 ; 4-byte Folded Reload
	s_waitcnt lgkmcnt(0)
	v_mul_f64 v[103:104], v[101:102], v[105:106]
	v_fma_f64 v[103:104], v[99:100], v[97:98], -v[103:104]
	v_mul_f64 v[99:100], v[99:100], v[105:106]
	v_fma_f64 v[99:100], v[101:102], v[97:98], v[99:100]
	s_waitcnt vmcnt(2)
	v_add_f64 v[41:42], v[41:42], -v[103:104]
	s_waitcnt vmcnt(0)
	v_add_f64 v[43:44], v[43:44], -v[99:100]
	buffer_store_dword v41, off, s[20:23], 0 offset:176 ; 4-byte Folded Spill
	s_nop 0
	buffer_store_dword v42, off, s[20:23], 0 offset:180 ; 4-byte Folded Spill
	buffer_store_dword v43, off, s[20:23], 0 offset:184 ; 4-byte Folded Spill
	buffer_store_dword v44, off, s[20:23], 0 offset:188 ; 4-byte Folded Spill
	ds_read2_b64 v[99:102], v125 offset0:74 offset1:75
	buffer_load_dword v65, off, s[20:23], 0 offset:160 ; 4-byte Folded Reload
	buffer_load_dword v66, off, s[20:23], 0 offset:164 ; 4-byte Folded Reload
	buffer_load_dword v67, off, s[20:23], 0 offset:168 ; 4-byte Folded Reload
	buffer_load_dword v68, off, s[20:23], 0 offset:172 ; 4-byte Folded Reload
	s_waitcnt lgkmcnt(0)
	v_mul_f64 v[103:104], v[101:102], v[105:106]
	v_fma_f64 v[103:104], v[99:100], v[97:98], -v[103:104]
	v_mul_f64 v[99:100], v[99:100], v[105:106]
	v_fma_f64 v[99:100], v[101:102], v[97:98], v[99:100]
	s_waitcnt vmcnt(2)
	v_add_f64 v[65:66], v[65:66], -v[103:104]
	s_waitcnt vmcnt(0)
	v_add_f64 v[67:68], v[67:68], -v[99:100]
	buffer_store_dword v65, off, s[20:23], 0 offset:160 ; 4-byte Folded Spill
	s_nop 0
	buffer_store_dword v66, off, s[20:23], 0 offset:164 ; 4-byte Folded Spill
	buffer_store_dword v67, off, s[20:23], 0 offset:168 ; 4-byte Folded Spill
	buffer_store_dword v68, off, s[20:23], 0 offset:172 ; 4-byte Folded Spill
	;; [unrolled: 19-line block ×11, first 2 shown]
	ds_read2_b64 v[99:102], v125 offset0:94 offset1:95
	buffer_load_dword v45, off, s[20:23], 0 ; 4-byte Folded Reload
	buffer_load_dword v46, off, s[20:23], 0 offset:4 ; 4-byte Folded Reload
	buffer_load_dword v47, off, s[20:23], 0 offset:8 ; 4-byte Folded Reload
	;; [unrolled: 1-line block ×3, first 2 shown]
	s_waitcnt lgkmcnt(0)
	v_mul_f64 v[103:104], v[101:102], v[105:106]
	v_fma_f64 v[103:104], v[99:100], v[97:98], -v[103:104]
	v_mul_f64 v[99:100], v[99:100], v[105:106]
	v_fma_f64 v[99:100], v[101:102], v[97:98], v[99:100]
	s_waitcnt vmcnt(2)
	v_add_f64 v[45:46], v[45:46], -v[103:104]
	s_waitcnt vmcnt(0)
	v_add_f64 v[47:48], v[47:48], -v[99:100]
	buffer_store_dword v45, off, s[20:23], 0 ; 4-byte Folded Spill
	s_nop 0
	buffer_store_dword v46, off, s[20:23], 0 offset:4 ; 4-byte Folded Spill
	buffer_store_dword v47, off, s[20:23], 0 offset:8 ; 4-byte Folded Spill
	;; [unrolled: 1-line block ×3, first 2 shown]
	ds_read2_b64 v[99:102], v125 offset0:96 offset1:97
	s_waitcnt lgkmcnt(0)
	v_mul_f64 v[103:104], v[101:102], v[105:106]
	v_fma_f64 v[103:104], v[99:100], v[97:98], -v[103:104]
	v_mul_f64 v[99:100], v[99:100], v[105:106]
	v_add_f64 v[113:114], v[113:114], -v[103:104]
	v_fma_f64 v[99:100], v[101:102], v[97:98], v[99:100]
	v_add_f64 v[115:116], v[115:116], -v[99:100]
	ds_read2_b64 v[99:102], v125 offset0:98 offset1:99
	s_waitcnt lgkmcnt(0)
	v_mul_f64 v[103:104], v[101:102], v[105:106]
	v_fma_f64 v[103:104], v[99:100], v[97:98], -v[103:104]
	v_mul_f64 v[99:100], v[99:100], v[105:106]
	v_add_f64 v[37:38], v[37:38], -v[103:104]
	v_fma_f64 v[99:100], v[101:102], v[97:98], v[99:100]
	v_add_f64 v[39:40], v[39:40], -v[99:100]
	;; [unrolled: 8-line block ×11, first 2 shown]
	ds_read2_b64 v[99:102], v125 offset0:118 offset1:119
	s_waitcnt lgkmcnt(0)
	v_mul_f64 v[103:104], v[101:102], v[105:106]
	v_fma_f64 v[103:104], v[99:100], v[97:98], -v[103:104]
	v_mul_f64 v[99:100], v[99:100], v[105:106]
	v_add_f64 v[121:122], v[121:122], -v[103:104]
	v_fma_f64 v[99:100], v[101:102], v[97:98], v[99:100]
	v_mov_b32_e32 v104, v98
	v_mov_b32_e32 v103, v97
	buffer_store_dword v103, off, s[20:23], 0 offset:288 ; 4-byte Folded Spill
	s_nop 0
	buffer_store_dword v104, off, s[20:23], 0 offset:292 ; 4-byte Folded Spill
	buffer_store_dword v105, off, s[20:23], 0 offset:296 ; 4-byte Folded Spill
	;; [unrolled: 1-line block ×3, first 2 shown]
	v_add_f64 v[123:124], v[123:124], -v[99:100]
.LBB119_262:
	s_or_b64 exec, exec, s[2:3]
	v_cmp_eq_u32_e32 vcc, 29, v0
	s_waitcnt vmcnt(0)
	s_barrier
	s_and_saveexec_b64 s[4:5], vcc
	s_cbranch_execz .LBB119_269
; %bb.263:
	buffer_load_dword v65, off, s[20:23], 0 offset:272 ; 4-byte Folded Reload
	buffer_load_dword v66, off, s[20:23], 0 offset:276 ; 4-byte Folded Reload
	;; [unrolled: 1-line block ×4, first 2 shown]
	s_waitcnt vmcnt(0)
	ds_write2_b64 v127, v[65:66], v[67:68] offset1:1
	buffer_load_dword v65, off, s[20:23], 0 offset:256 ; 4-byte Folded Reload
	buffer_load_dword v66, off, s[20:23], 0 offset:260 ; 4-byte Folded Reload
	buffer_load_dword v67, off, s[20:23], 0 offset:264 ; 4-byte Folded Reload
	buffer_load_dword v68, off, s[20:23], 0 offset:268 ; 4-byte Folded Reload
	s_waitcnt vmcnt(0)
	ds_write2_b64 v125, v[65:66], v[67:68] offset0:60 offset1:61
	buffer_load_dword v65, off, s[20:23], 0 offset:240 ; 4-byte Folded Reload
	buffer_load_dword v66, off, s[20:23], 0 offset:244 ; 4-byte Folded Reload
	buffer_load_dword v67, off, s[20:23], 0 offset:248 ; 4-byte Folded Reload
	buffer_load_dword v68, off, s[20:23], 0 offset:252 ; 4-byte Folded Reload
	s_waitcnt vmcnt(0)
	ds_write2_b64 v125, v[65:66], v[67:68] offset0:62 offset1:63
	;; [unrolled: 6-line block ×5, first 2 shown]
	ds_write2_b64 v125, v[93:94], v[95:96] offset0:70 offset1:71
	buffer_load_dword v41, off, s[20:23], 0 offset:176 ; 4-byte Folded Reload
	buffer_load_dword v42, off, s[20:23], 0 offset:180 ; 4-byte Folded Reload
	buffer_load_dword v43, off, s[20:23], 0 offset:184 ; 4-byte Folded Reload
	buffer_load_dword v44, off, s[20:23], 0 offset:188 ; 4-byte Folded Reload
	s_waitcnt vmcnt(0)
	ds_write2_b64 v125, v[41:42], v[43:44] offset0:72 offset1:73
	buffer_load_dword v65, off, s[20:23], 0 offset:160 ; 4-byte Folded Reload
	buffer_load_dword v66, off, s[20:23], 0 offset:164 ; 4-byte Folded Reload
	buffer_load_dword v67, off, s[20:23], 0 offset:168 ; 4-byte Folded Reload
	buffer_load_dword v68, off, s[20:23], 0 offset:172 ; 4-byte Folded Reload
	s_waitcnt vmcnt(0)
	;; [unrolled: 6-line block ×11, first 2 shown]
	ds_write2_b64 v125, v[49:50], v[51:52] offset0:92 offset1:93
	buffer_load_dword v45, off, s[20:23], 0 ; 4-byte Folded Reload
	buffer_load_dword v46, off, s[20:23], 0 offset:4 ; 4-byte Folded Reload
	buffer_load_dword v47, off, s[20:23], 0 offset:8 ; 4-byte Folded Reload
	;; [unrolled: 1-line block ×3, first 2 shown]
	s_waitcnt vmcnt(0)
	ds_write2_b64 v125, v[45:46], v[47:48] offset0:94 offset1:95
	ds_write2_b64 v125, v[113:114], v[115:116] offset0:96 offset1:97
	;; [unrolled: 1-line block ×13, first 2 shown]
	ds_read2_b64 v[97:100], v127 offset1:1
	s_waitcnt lgkmcnt(0)
	v_cmp_neq_f64_e32 vcc, 0, v[97:98]
	v_cmp_neq_f64_e64 s[2:3], 0, v[99:100]
	s_or_b64 s[2:3], vcc, s[2:3]
	s_and_b64 exec, exec, s[2:3]
	s_cbranch_execz .LBB119_269
; %bb.264:
	v_cmp_ngt_f64_e64 s[2:3], |v[97:98]|, |v[99:100]|
                                        ; implicit-def: $vgpr101_vgpr102
	s_and_saveexec_b64 s[6:7], s[2:3]
	s_xor_b64 s[2:3], exec, s[6:7]
                                        ; implicit-def: $vgpr103_vgpr104
	s_cbranch_execz .LBB119_266
; %bb.265:
	v_div_scale_f64 v[101:102], s[6:7], v[99:100], v[99:100], v[97:98]
	v_rcp_f64_e32 v[103:104], v[101:102]
	v_fma_f64 v[105:106], -v[101:102], v[103:104], 1.0
	v_fma_f64 v[103:104], v[103:104], v[105:106], v[103:104]
	v_div_scale_f64 v[105:106], vcc, v[97:98], v[99:100], v[97:98]
	v_fma_f64 v[107:108], -v[101:102], v[103:104], 1.0
	v_fma_f64 v[103:104], v[103:104], v[107:108], v[103:104]
	v_mul_f64 v[107:108], v[105:106], v[103:104]
	v_fma_f64 v[101:102], -v[101:102], v[107:108], v[105:106]
	v_div_fmas_f64 v[101:102], v[101:102], v[103:104], v[107:108]
	v_div_fixup_f64 v[101:102], v[101:102], v[99:100], v[97:98]
	v_fma_f64 v[97:98], v[97:98], v[101:102], v[99:100]
	v_div_scale_f64 v[99:100], s[6:7], v[97:98], v[97:98], 1.0
	v_div_scale_f64 v[107:108], vcc, 1.0, v[97:98], 1.0
	v_rcp_f64_e32 v[103:104], v[99:100]
	v_fma_f64 v[105:106], -v[99:100], v[103:104], 1.0
	v_fma_f64 v[103:104], v[103:104], v[105:106], v[103:104]
	v_fma_f64 v[105:106], -v[99:100], v[103:104], 1.0
	v_fma_f64 v[103:104], v[103:104], v[105:106], v[103:104]
	v_mul_f64 v[105:106], v[107:108], v[103:104]
	v_fma_f64 v[99:100], -v[99:100], v[105:106], v[107:108]
	v_div_fmas_f64 v[99:100], v[99:100], v[103:104], v[105:106]
	v_div_fixup_f64 v[103:104], v[99:100], v[97:98], 1.0
                                        ; implicit-def: $vgpr97_vgpr98
	v_mul_f64 v[101:102], v[101:102], v[103:104]
	v_xor_b32_e32 v104, 0x80000000, v104
.LBB119_266:
	s_andn2_saveexec_b64 s[2:3], s[2:3]
	s_cbranch_execz .LBB119_268
; %bb.267:
	v_div_scale_f64 v[101:102], s[6:7], v[97:98], v[97:98], v[99:100]
	v_rcp_f64_e32 v[103:104], v[101:102]
	v_fma_f64 v[105:106], -v[101:102], v[103:104], 1.0
	v_fma_f64 v[103:104], v[103:104], v[105:106], v[103:104]
	v_div_scale_f64 v[105:106], vcc, v[99:100], v[97:98], v[99:100]
	v_fma_f64 v[107:108], -v[101:102], v[103:104], 1.0
	v_fma_f64 v[103:104], v[103:104], v[107:108], v[103:104]
	v_mul_f64 v[107:108], v[105:106], v[103:104]
	v_fma_f64 v[101:102], -v[101:102], v[107:108], v[105:106]
	v_div_fmas_f64 v[101:102], v[101:102], v[103:104], v[107:108]
	v_div_fixup_f64 v[103:104], v[101:102], v[97:98], v[99:100]
	v_fma_f64 v[97:98], v[99:100], v[103:104], v[97:98]
	v_div_scale_f64 v[99:100], s[6:7], v[97:98], v[97:98], 1.0
	v_div_scale_f64 v[107:108], vcc, 1.0, v[97:98], 1.0
	v_rcp_f64_e32 v[101:102], v[99:100]
	v_fma_f64 v[105:106], -v[99:100], v[101:102], 1.0
	v_fma_f64 v[101:102], v[101:102], v[105:106], v[101:102]
	v_fma_f64 v[105:106], -v[99:100], v[101:102], 1.0
	v_fma_f64 v[101:102], v[101:102], v[105:106], v[101:102]
	v_mul_f64 v[105:106], v[107:108], v[101:102]
	v_fma_f64 v[99:100], -v[99:100], v[105:106], v[107:108]
	v_div_fmas_f64 v[99:100], v[99:100], v[101:102], v[105:106]
	v_div_fixup_f64 v[101:102], v[99:100], v[97:98], 1.0
	v_mul_f64 v[103:104], v[103:104], -v[101:102]
.LBB119_268:
	s_or_b64 exec, exec, s[2:3]
	ds_write2_b64 v127, v[101:102], v[103:104] offset1:1
.LBB119_269:
	s_or_b64 exec, exec, s[4:5]
	s_waitcnt lgkmcnt(0)
	s_barrier
	ds_read2_b64 v[65:68], v127 offset1:1
	v_cmp_lt_u32_e32 vcc, 29, v0
	s_waitcnt lgkmcnt(0)
	buffer_store_dword v65, off, s[20:23], 0 offset:1688 ; 4-byte Folded Spill
	s_nop 0
	buffer_store_dword v66, off, s[20:23], 0 offset:1692 ; 4-byte Folded Spill
	buffer_store_dword v67, off, s[20:23], 0 offset:1696 ; 4-byte Folded Spill
	buffer_store_dword v68, off, s[20:23], 0 offset:1700 ; 4-byte Folded Spill
	s_and_saveexec_b64 s[2:3], vcc
	s_cbranch_execz .LBB119_271
; %bb.270:
	buffer_load_dword v103, off, s[20:23], 0 offset:272 ; 4-byte Folded Reload
	buffer_load_dword v104, off, s[20:23], 0 offset:276 ; 4-byte Folded Reload
	;; [unrolled: 1-line block ×8, first 2 shown]
	s_waitcnt vmcnt(2)
	v_mul_f64 v[99:100], v[65:66], v[105:106]
	s_waitcnt vmcnt(0)
	v_mul_f64 v[97:98], v[67:68], v[105:106]
	v_fma_f64 v[105:106], v[67:68], v[103:104], v[99:100]
	ds_read2_b64 v[99:102], v125 offset0:60 offset1:61
	v_fma_f64 v[97:98], v[65:66], v[103:104], -v[97:98]
	buffer_load_dword v65, off, s[20:23], 0 offset:256 ; 4-byte Folded Reload
	buffer_load_dword v66, off, s[20:23], 0 offset:260 ; 4-byte Folded Reload
	buffer_load_dword v67, off, s[20:23], 0 offset:264 ; 4-byte Folded Reload
	buffer_load_dword v68, off, s[20:23], 0 offset:268 ; 4-byte Folded Reload
	s_waitcnt lgkmcnt(0)
	v_mul_f64 v[103:104], v[101:102], v[105:106]
	v_fma_f64 v[103:104], v[99:100], v[97:98], -v[103:104]
	v_mul_f64 v[99:100], v[99:100], v[105:106]
	v_fma_f64 v[99:100], v[101:102], v[97:98], v[99:100]
	s_waitcnt vmcnt(2)
	v_add_f64 v[65:66], v[65:66], -v[103:104]
	s_waitcnt vmcnt(0)
	v_add_f64 v[67:68], v[67:68], -v[99:100]
	buffer_store_dword v65, off, s[20:23], 0 offset:256 ; 4-byte Folded Spill
	s_nop 0
	buffer_store_dword v66, off, s[20:23], 0 offset:260 ; 4-byte Folded Spill
	buffer_store_dword v67, off, s[20:23], 0 offset:264 ; 4-byte Folded Spill
	buffer_store_dword v68, off, s[20:23], 0 offset:268 ; 4-byte Folded Spill
	ds_read2_b64 v[99:102], v125 offset0:62 offset1:63
	buffer_load_dword v65, off, s[20:23], 0 offset:240 ; 4-byte Folded Reload
	buffer_load_dword v66, off, s[20:23], 0 offset:244 ; 4-byte Folded Reload
	buffer_load_dword v67, off, s[20:23], 0 offset:248 ; 4-byte Folded Reload
	buffer_load_dword v68, off, s[20:23], 0 offset:252 ; 4-byte Folded Reload
	s_waitcnt lgkmcnt(0)
	v_mul_f64 v[103:104], v[101:102], v[105:106]
	v_fma_f64 v[103:104], v[99:100], v[97:98], -v[103:104]
	v_mul_f64 v[99:100], v[99:100], v[105:106]
	v_fma_f64 v[99:100], v[101:102], v[97:98], v[99:100]
	s_waitcnt vmcnt(2)
	v_add_f64 v[65:66], v[65:66], -v[103:104]
	s_waitcnt vmcnt(0)
	v_add_f64 v[67:68], v[67:68], -v[99:100]
	buffer_store_dword v65, off, s[20:23], 0 offset:240 ; 4-byte Folded Spill
	s_nop 0
	buffer_store_dword v66, off, s[20:23], 0 offset:244 ; 4-byte Folded Spill
	buffer_store_dword v67, off, s[20:23], 0 offset:248 ; 4-byte Folded Spill
	buffer_store_dword v68, off, s[20:23], 0 offset:252 ; 4-byte Folded Spill
	ds_read2_b64 v[99:102], v125 offset0:64 offset1:65
	;; [unrolled: 19-line block ×5, first 2 shown]
	s_waitcnt lgkmcnt(0)
	v_mul_f64 v[103:104], v[101:102], v[105:106]
	v_fma_f64 v[103:104], v[99:100], v[97:98], -v[103:104]
	v_mul_f64 v[99:100], v[99:100], v[105:106]
	v_add_f64 v[93:94], v[93:94], -v[103:104]
	v_fma_f64 v[99:100], v[101:102], v[97:98], v[99:100]
	v_add_f64 v[95:96], v[95:96], -v[99:100]
	ds_read2_b64 v[99:102], v125 offset0:72 offset1:73
	buffer_load_dword v41, off, s[20:23], 0 offset:176 ; 4-byte Folded Reload
	buffer_load_dword v42, off, s[20:23], 0 offset:180 ; 4-byte Folded Reload
	buffer_load_dword v43, off, s[20:23], 0 offset:184 ; 4-byte Folded Reload
	buffer_load_dword v44, off, s[20:23], 0 offset:188 ; 4-byte Folded Reload
	s_waitcnt lgkmcnt(0)
	v_mul_f64 v[103:104], v[101:102], v[105:106]
	v_fma_f64 v[103:104], v[99:100], v[97:98], -v[103:104]
	v_mul_f64 v[99:100], v[99:100], v[105:106]
	v_fma_f64 v[99:100], v[101:102], v[97:98], v[99:100]
	s_waitcnt vmcnt(2)
	v_add_f64 v[41:42], v[41:42], -v[103:104]
	s_waitcnt vmcnt(0)
	v_add_f64 v[43:44], v[43:44], -v[99:100]
	buffer_store_dword v41, off, s[20:23], 0 offset:176 ; 4-byte Folded Spill
	s_nop 0
	buffer_store_dword v42, off, s[20:23], 0 offset:180 ; 4-byte Folded Spill
	buffer_store_dword v43, off, s[20:23], 0 offset:184 ; 4-byte Folded Spill
	buffer_store_dword v44, off, s[20:23], 0 offset:188 ; 4-byte Folded Spill
	ds_read2_b64 v[99:102], v125 offset0:74 offset1:75
	buffer_load_dword v65, off, s[20:23], 0 offset:160 ; 4-byte Folded Reload
	buffer_load_dword v66, off, s[20:23], 0 offset:164 ; 4-byte Folded Reload
	buffer_load_dword v67, off, s[20:23], 0 offset:168 ; 4-byte Folded Reload
	buffer_load_dword v68, off, s[20:23], 0 offset:172 ; 4-byte Folded Reload
	s_waitcnt lgkmcnt(0)
	v_mul_f64 v[103:104], v[101:102], v[105:106]
	v_fma_f64 v[103:104], v[99:100], v[97:98], -v[103:104]
	v_mul_f64 v[99:100], v[99:100], v[105:106]
	v_fma_f64 v[99:100], v[101:102], v[97:98], v[99:100]
	s_waitcnt vmcnt(2)
	v_add_f64 v[65:66], v[65:66], -v[103:104]
	s_waitcnt vmcnt(0)
	v_add_f64 v[67:68], v[67:68], -v[99:100]
	buffer_store_dword v65, off, s[20:23], 0 offset:160 ; 4-byte Folded Spill
	s_nop 0
	buffer_store_dword v66, off, s[20:23], 0 offset:164 ; 4-byte Folded Spill
	buffer_store_dword v67, off, s[20:23], 0 offset:168 ; 4-byte Folded Spill
	buffer_store_dword v68, off, s[20:23], 0 offset:172 ; 4-byte Folded Spill
	;; [unrolled: 19-line block ×11, first 2 shown]
	ds_read2_b64 v[99:102], v125 offset0:94 offset1:95
	buffer_load_dword v45, off, s[20:23], 0 ; 4-byte Folded Reload
	buffer_load_dword v46, off, s[20:23], 0 offset:4 ; 4-byte Folded Reload
	buffer_load_dword v47, off, s[20:23], 0 offset:8 ; 4-byte Folded Reload
	;; [unrolled: 1-line block ×3, first 2 shown]
	s_waitcnt lgkmcnt(0)
	v_mul_f64 v[103:104], v[101:102], v[105:106]
	v_fma_f64 v[103:104], v[99:100], v[97:98], -v[103:104]
	v_mul_f64 v[99:100], v[99:100], v[105:106]
	v_fma_f64 v[99:100], v[101:102], v[97:98], v[99:100]
	s_waitcnt vmcnt(2)
	v_add_f64 v[45:46], v[45:46], -v[103:104]
	s_waitcnt vmcnt(0)
	v_add_f64 v[47:48], v[47:48], -v[99:100]
	buffer_store_dword v45, off, s[20:23], 0 ; 4-byte Folded Spill
	s_nop 0
	buffer_store_dword v46, off, s[20:23], 0 offset:4 ; 4-byte Folded Spill
	buffer_store_dword v47, off, s[20:23], 0 offset:8 ; 4-byte Folded Spill
	;; [unrolled: 1-line block ×3, first 2 shown]
	ds_read2_b64 v[99:102], v125 offset0:96 offset1:97
	s_waitcnt lgkmcnt(0)
	v_mul_f64 v[103:104], v[101:102], v[105:106]
	v_fma_f64 v[103:104], v[99:100], v[97:98], -v[103:104]
	v_mul_f64 v[99:100], v[99:100], v[105:106]
	v_add_f64 v[113:114], v[113:114], -v[103:104]
	v_fma_f64 v[99:100], v[101:102], v[97:98], v[99:100]
	v_add_f64 v[115:116], v[115:116], -v[99:100]
	ds_read2_b64 v[99:102], v125 offset0:98 offset1:99
	s_waitcnt lgkmcnt(0)
	v_mul_f64 v[103:104], v[101:102], v[105:106]
	v_fma_f64 v[103:104], v[99:100], v[97:98], -v[103:104]
	v_mul_f64 v[99:100], v[99:100], v[105:106]
	v_add_f64 v[37:38], v[37:38], -v[103:104]
	v_fma_f64 v[99:100], v[101:102], v[97:98], v[99:100]
	v_add_f64 v[39:40], v[39:40], -v[99:100]
	;; [unrolled: 8-line block ×11, first 2 shown]
	ds_read2_b64 v[99:102], v125 offset0:118 offset1:119
	s_waitcnt lgkmcnt(0)
	v_mul_f64 v[103:104], v[101:102], v[105:106]
	v_fma_f64 v[103:104], v[99:100], v[97:98], -v[103:104]
	v_mul_f64 v[99:100], v[99:100], v[105:106]
	v_add_f64 v[121:122], v[121:122], -v[103:104]
	v_fma_f64 v[99:100], v[101:102], v[97:98], v[99:100]
	v_mov_b32_e32 v104, v98
	v_mov_b32_e32 v103, v97
	buffer_store_dword v103, off, s[20:23], 0 offset:272 ; 4-byte Folded Spill
	s_nop 0
	buffer_store_dword v104, off, s[20:23], 0 offset:276 ; 4-byte Folded Spill
	buffer_store_dword v105, off, s[20:23], 0 offset:280 ; 4-byte Folded Spill
	;; [unrolled: 1-line block ×3, first 2 shown]
	v_add_f64 v[123:124], v[123:124], -v[99:100]
.LBB119_271:
	s_or_b64 exec, exec, s[2:3]
	v_cmp_eq_u32_e32 vcc, 30, v0
	s_waitcnt vmcnt(0)
	s_barrier
	s_and_saveexec_b64 s[4:5], vcc
	s_cbranch_execz .LBB119_278
; %bb.272:
	buffer_load_dword v65, off, s[20:23], 0 offset:256 ; 4-byte Folded Reload
	buffer_load_dword v66, off, s[20:23], 0 offset:260 ; 4-byte Folded Reload
	;; [unrolled: 1-line block ×4, first 2 shown]
	s_waitcnt vmcnt(0)
	ds_write2_b64 v127, v[65:66], v[67:68] offset1:1
	buffer_load_dword v65, off, s[20:23], 0 offset:240 ; 4-byte Folded Reload
	buffer_load_dword v66, off, s[20:23], 0 offset:244 ; 4-byte Folded Reload
	buffer_load_dword v67, off, s[20:23], 0 offset:248 ; 4-byte Folded Reload
	buffer_load_dword v68, off, s[20:23], 0 offset:252 ; 4-byte Folded Reload
	s_waitcnt vmcnt(0)
	ds_write2_b64 v125, v[65:66], v[67:68] offset0:62 offset1:63
	buffer_load_dword v65, off, s[20:23], 0 offset:224 ; 4-byte Folded Reload
	buffer_load_dword v66, off, s[20:23], 0 offset:228 ; 4-byte Folded Reload
	buffer_load_dword v67, off, s[20:23], 0 offset:232 ; 4-byte Folded Reload
	buffer_load_dword v68, off, s[20:23], 0 offset:236 ; 4-byte Folded Reload
	s_waitcnt vmcnt(0)
	ds_write2_b64 v125, v[65:66], v[67:68] offset0:64 offset1:65
	;; [unrolled: 6-line block ×4, first 2 shown]
	ds_write2_b64 v125, v[93:94], v[95:96] offset0:70 offset1:71
	buffer_load_dword v41, off, s[20:23], 0 offset:176 ; 4-byte Folded Reload
	buffer_load_dword v42, off, s[20:23], 0 offset:180 ; 4-byte Folded Reload
	buffer_load_dword v43, off, s[20:23], 0 offset:184 ; 4-byte Folded Reload
	buffer_load_dword v44, off, s[20:23], 0 offset:188 ; 4-byte Folded Reload
	s_waitcnt vmcnt(0)
	ds_write2_b64 v125, v[41:42], v[43:44] offset0:72 offset1:73
	buffer_load_dword v65, off, s[20:23], 0 offset:160 ; 4-byte Folded Reload
	buffer_load_dword v66, off, s[20:23], 0 offset:164 ; 4-byte Folded Reload
	buffer_load_dword v67, off, s[20:23], 0 offset:168 ; 4-byte Folded Reload
	buffer_load_dword v68, off, s[20:23], 0 offset:172 ; 4-byte Folded Reload
	s_waitcnt vmcnt(0)
	;; [unrolled: 6-line block ×11, first 2 shown]
	ds_write2_b64 v125, v[49:50], v[51:52] offset0:92 offset1:93
	buffer_load_dword v45, off, s[20:23], 0 ; 4-byte Folded Reload
	buffer_load_dword v46, off, s[20:23], 0 offset:4 ; 4-byte Folded Reload
	buffer_load_dword v47, off, s[20:23], 0 offset:8 ; 4-byte Folded Reload
	;; [unrolled: 1-line block ×3, first 2 shown]
	s_waitcnt vmcnt(0)
	ds_write2_b64 v125, v[45:46], v[47:48] offset0:94 offset1:95
	ds_write2_b64 v125, v[113:114], v[115:116] offset0:96 offset1:97
	;; [unrolled: 1-line block ×13, first 2 shown]
	ds_read2_b64 v[97:100], v127 offset1:1
	s_waitcnt lgkmcnt(0)
	v_cmp_neq_f64_e32 vcc, 0, v[97:98]
	v_cmp_neq_f64_e64 s[2:3], 0, v[99:100]
	s_or_b64 s[2:3], vcc, s[2:3]
	s_and_b64 exec, exec, s[2:3]
	s_cbranch_execz .LBB119_278
; %bb.273:
	v_cmp_ngt_f64_e64 s[2:3], |v[97:98]|, |v[99:100]|
                                        ; implicit-def: $vgpr101_vgpr102
	s_and_saveexec_b64 s[6:7], s[2:3]
	s_xor_b64 s[2:3], exec, s[6:7]
                                        ; implicit-def: $vgpr103_vgpr104
	s_cbranch_execz .LBB119_275
; %bb.274:
	v_div_scale_f64 v[101:102], s[6:7], v[99:100], v[99:100], v[97:98]
	v_rcp_f64_e32 v[103:104], v[101:102]
	v_fma_f64 v[105:106], -v[101:102], v[103:104], 1.0
	v_fma_f64 v[103:104], v[103:104], v[105:106], v[103:104]
	v_div_scale_f64 v[105:106], vcc, v[97:98], v[99:100], v[97:98]
	v_fma_f64 v[107:108], -v[101:102], v[103:104], 1.0
	v_fma_f64 v[103:104], v[103:104], v[107:108], v[103:104]
	v_mul_f64 v[107:108], v[105:106], v[103:104]
	v_fma_f64 v[101:102], -v[101:102], v[107:108], v[105:106]
	v_div_fmas_f64 v[101:102], v[101:102], v[103:104], v[107:108]
	v_div_fixup_f64 v[101:102], v[101:102], v[99:100], v[97:98]
	v_fma_f64 v[97:98], v[97:98], v[101:102], v[99:100]
	v_div_scale_f64 v[99:100], s[6:7], v[97:98], v[97:98], 1.0
	v_div_scale_f64 v[107:108], vcc, 1.0, v[97:98], 1.0
	v_rcp_f64_e32 v[103:104], v[99:100]
	v_fma_f64 v[105:106], -v[99:100], v[103:104], 1.0
	v_fma_f64 v[103:104], v[103:104], v[105:106], v[103:104]
	v_fma_f64 v[105:106], -v[99:100], v[103:104], 1.0
	v_fma_f64 v[103:104], v[103:104], v[105:106], v[103:104]
	v_mul_f64 v[105:106], v[107:108], v[103:104]
	v_fma_f64 v[99:100], -v[99:100], v[105:106], v[107:108]
	v_div_fmas_f64 v[99:100], v[99:100], v[103:104], v[105:106]
	v_div_fixup_f64 v[103:104], v[99:100], v[97:98], 1.0
                                        ; implicit-def: $vgpr97_vgpr98
	v_mul_f64 v[101:102], v[101:102], v[103:104]
	v_xor_b32_e32 v104, 0x80000000, v104
.LBB119_275:
	s_andn2_saveexec_b64 s[2:3], s[2:3]
	s_cbranch_execz .LBB119_277
; %bb.276:
	v_div_scale_f64 v[101:102], s[6:7], v[97:98], v[97:98], v[99:100]
	v_rcp_f64_e32 v[103:104], v[101:102]
	v_fma_f64 v[105:106], -v[101:102], v[103:104], 1.0
	v_fma_f64 v[103:104], v[103:104], v[105:106], v[103:104]
	v_div_scale_f64 v[105:106], vcc, v[99:100], v[97:98], v[99:100]
	v_fma_f64 v[107:108], -v[101:102], v[103:104], 1.0
	v_fma_f64 v[103:104], v[103:104], v[107:108], v[103:104]
	v_mul_f64 v[107:108], v[105:106], v[103:104]
	v_fma_f64 v[101:102], -v[101:102], v[107:108], v[105:106]
	v_div_fmas_f64 v[101:102], v[101:102], v[103:104], v[107:108]
	v_div_fixup_f64 v[103:104], v[101:102], v[97:98], v[99:100]
	v_fma_f64 v[97:98], v[99:100], v[103:104], v[97:98]
	v_div_scale_f64 v[99:100], s[6:7], v[97:98], v[97:98], 1.0
	v_div_scale_f64 v[107:108], vcc, 1.0, v[97:98], 1.0
	v_rcp_f64_e32 v[101:102], v[99:100]
	v_fma_f64 v[105:106], -v[99:100], v[101:102], 1.0
	v_fma_f64 v[101:102], v[101:102], v[105:106], v[101:102]
	v_fma_f64 v[105:106], -v[99:100], v[101:102], 1.0
	v_fma_f64 v[101:102], v[101:102], v[105:106], v[101:102]
	v_mul_f64 v[105:106], v[107:108], v[101:102]
	v_fma_f64 v[99:100], -v[99:100], v[105:106], v[107:108]
	v_div_fmas_f64 v[99:100], v[99:100], v[101:102], v[105:106]
	v_div_fixup_f64 v[101:102], v[99:100], v[97:98], 1.0
	v_mul_f64 v[103:104], v[103:104], -v[101:102]
.LBB119_277:
	s_or_b64 exec, exec, s[2:3]
	ds_write2_b64 v127, v[101:102], v[103:104] offset1:1
.LBB119_278:
	s_or_b64 exec, exec, s[4:5]
	s_waitcnt lgkmcnt(0)
	s_barrier
	ds_read2_b64 v[65:68], v127 offset1:1
	v_cmp_lt_u32_e32 vcc, 30, v0
	s_waitcnt lgkmcnt(0)
	buffer_store_dword v65, off, s[20:23], 0 offset:1704 ; 4-byte Folded Spill
	s_nop 0
	buffer_store_dword v66, off, s[20:23], 0 offset:1708 ; 4-byte Folded Spill
	buffer_store_dword v67, off, s[20:23], 0 offset:1712 ; 4-byte Folded Spill
	;; [unrolled: 1-line block ×3, first 2 shown]
	s_and_saveexec_b64 s[2:3], vcc
	s_cbranch_execz .LBB119_280
; %bb.279:
	buffer_load_dword v103, off, s[20:23], 0 offset:256 ; 4-byte Folded Reload
	buffer_load_dword v104, off, s[20:23], 0 offset:260 ; 4-byte Folded Reload
	buffer_load_dword v105, off, s[20:23], 0 offset:264 ; 4-byte Folded Reload
	buffer_load_dword v106, off, s[20:23], 0 offset:268 ; 4-byte Folded Reload
	buffer_load_dword v65, off, s[20:23], 0 offset:1704 ; 4-byte Folded Reload
	buffer_load_dword v66, off, s[20:23], 0 offset:1708 ; 4-byte Folded Reload
	buffer_load_dword v67, off, s[20:23], 0 offset:1712 ; 4-byte Folded Reload
	buffer_load_dword v68, off, s[20:23], 0 offset:1716 ; 4-byte Folded Reload
	s_waitcnt vmcnt(2)
	v_mul_f64 v[99:100], v[65:66], v[105:106]
	s_waitcnt vmcnt(0)
	v_mul_f64 v[97:98], v[67:68], v[105:106]
	v_fma_f64 v[105:106], v[67:68], v[103:104], v[99:100]
	ds_read2_b64 v[99:102], v125 offset0:62 offset1:63
	v_fma_f64 v[97:98], v[65:66], v[103:104], -v[97:98]
	buffer_load_dword v65, off, s[20:23], 0 offset:240 ; 4-byte Folded Reload
	buffer_load_dword v66, off, s[20:23], 0 offset:244 ; 4-byte Folded Reload
	buffer_load_dword v67, off, s[20:23], 0 offset:248 ; 4-byte Folded Reload
	buffer_load_dword v68, off, s[20:23], 0 offset:252 ; 4-byte Folded Reload
	s_waitcnt lgkmcnt(0)
	v_mul_f64 v[103:104], v[101:102], v[105:106]
	v_fma_f64 v[103:104], v[99:100], v[97:98], -v[103:104]
	v_mul_f64 v[99:100], v[99:100], v[105:106]
	v_fma_f64 v[99:100], v[101:102], v[97:98], v[99:100]
	s_waitcnt vmcnt(2)
	v_add_f64 v[65:66], v[65:66], -v[103:104]
	s_waitcnt vmcnt(0)
	v_add_f64 v[67:68], v[67:68], -v[99:100]
	buffer_store_dword v65, off, s[20:23], 0 offset:240 ; 4-byte Folded Spill
	s_nop 0
	buffer_store_dword v66, off, s[20:23], 0 offset:244 ; 4-byte Folded Spill
	buffer_store_dword v67, off, s[20:23], 0 offset:248 ; 4-byte Folded Spill
	buffer_store_dword v68, off, s[20:23], 0 offset:252 ; 4-byte Folded Spill
	ds_read2_b64 v[99:102], v125 offset0:64 offset1:65
	buffer_load_dword v65, off, s[20:23], 0 offset:224 ; 4-byte Folded Reload
	buffer_load_dword v66, off, s[20:23], 0 offset:228 ; 4-byte Folded Reload
	buffer_load_dword v67, off, s[20:23], 0 offset:232 ; 4-byte Folded Reload
	buffer_load_dword v68, off, s[20:23], 0 offset:236 ; 4-byte Folded Reload
	s_waitcnt lgkmcnt(0)
	v_mul_f64 v[103:104], v[101:102], v[105:106]
	v_fma_f64 v[103:104], v[99:100], v[97:98], -v[103:104]
	v_mul_f64 v[99:100], v[99:100], v[105:106]
	v_fma_f64 v[99:100], v[101:102], v[97:98], v[99:100]
	s_waitcnt vmcnt(2)
	v_add_f64 v[65:66], v[65:66], -v[103:104]
	s_waitcnt vmcnt(0)
	v_add_f64 v[67:68], v[67:68], -v[99:100]
	buffer_store_dword v65, off, s[20:23], 0 offset:224 ; 4-byte Folded Spill
	s_nop 0
	buffer_store_dword v66, off, s[20:23], 0 offset:228 ; 4-byte Folded Spill
	buffer_store_dword v67, off, s[20:23], 0 offset:232 ; 4-byte Folded Spill
	buffer_store_dword v68, off, s[20:23], 0 offset:236 ; 4-byte Folded Spill
	ds_read2_b64 v[99:102], v125 offset0:66 offset1:67
	;; [unrolled: 19-line block ×4, first 2 shown]
	s_waitcnt lgkmcnt(0)
	v_mul_f64 v[103:104], v[101:102], v[105:106]
	v_fma_f64 v[103:104], v[99:100], v[97:98], -v[103:104]
	v_mul_f64 v[99:100], v[99:100], v[105:106]
	v_add_f64 v[93:94], v[93:94], -v[103:104]
	v_fma_f64 v[99:100], v[101:102], v[97:98], v[99:100]
	v_add_f64 v[95:96], v[95:96], -v[99:100]
	ds_read2_b64 v[99:102], v125 offset0:72 offset1:73
	buffer_load_dword v41, off, s[20:23], 0 offset:176 ; 4-byte Folded Reload
	buffer_load_dword v42, off, s[20:23], 0 offset:180 ; 4-byte Folded Reload
	buffer_load_dword v43, off, s[20:23], 0 offset:184 ; 4-byte Folded Reload
	buffer_load_dword v44, off, s[20:23], 0 offset:188 ; 4-byte Folded Reload
	s_waitcnt lgkmcnt(0)
	v_mul_f64 v[103:104], v[101:102], v[105:106]
	v_fma_f64 v[103:104], v[99:100], v[97:98], -v[103:104]
	v_mul_f64 v[99:100], v[99:100], v[105:106]
	v_fma_f64 v[99:100], v[101:102], v[97:98], v[99:100]
	s_waitcnt vmcnt(2)
	v_add_f64 v[41:42], v[41:42], -v[103:104]
	s_waitcnt vmcnt(0)
	v_add_f64 v[43:44], v[43:44], -v[99:100]
	buffer_store_dword v41, off, s[20:23], 0 offset:176 ; 4-byte Folded Spill
	s_nop 0
	buffer_store_dword v42, off, s[20:23], 0 offset:180 ; 4-byte Folded Spill
	buffer_store_dword v43, off, s[20:23], 0 offset:184 ; 4-byte Folded Spill
	buffer_store_dword v44, off, s[20:23], 0 offset:188 ; 4-byte Folded Spill
	ds_read2_b64 v[99:102], v125 offset0:74 offset1:75
	buffer_load_dword v65, off, s[20:23], 0 offset:160 ; 4-byte Folded Reload
	buffer_load_dword v66, off, s[20:23], 0 offset:164 ; 4-byte Folded Reload
	buffer_load_dword v67, off, s[20:23], 0 offset:168 ; 4-byte Folded Reload
	buffer_load_dword v68, off, s[20:23], 0 offset:172 ; 4-byte Folded Reload
	s_waitcnt lgkmcnt(0)
	v_mul_f64 v[103:104], v[101:102], v[105:106]
	v_fma_f64 v[103:104], v[99:100], v[97:98], -v[103:104]
	v_mul_f64 v[99:100], v[99:100], v[105:106]
	v_fma_f64 v[99:100], v[101:102], v[97:98], v[99:100]
	s_waitcnt vmcnt(2)
	v_add_f64 v[65:66], v[65:66], -v[103:104]
	s_waitcnt vmcnt(0)
	v_add_f64 v[67:68], v[67:68], -v[99:100]
	buffer_store_dword v65, off, s[20:23], 0 offset:160 ; 4-byte Folded Spill
	s_nop 0
	buffer_store_dword v66, off, s[20:23], 0 offset:164 ; 4-byte Folded Spill
	buffer_store_dword v67, off, s[20:23], 0 offset:168 ; 4-byte Folded Spill
	buffer_store_dword v68, off, s[20:23], 0 offset:172 ; 4-byte Folded Spill
	;; [unrolled: 19-line block ×11, first 2 shown]
	ds_read2_b64 v[99:102], v125 offset0:94 offset1:95
	buffer_load_dword v45, off, s[20:23], 0 ; 4-byte Folded Reload
	buffer_load_dword v46, off, s[20:23], 0 offset:4 ; 4-byte Folded Reload
	buffer_load_dword v47, off, s[20:23], 0 offset:8 ; 4-byte Folded Reload
	;; [unrolled: 1-line block ×3, first 2 shown]
	s_waitcnt lgkmcnt(0)
	v_mul_f64 v[103:104], v[101:102], v[105:106]
	v_fma_f64 v[103:104], v[99:100], v[97:98], -v[103:104]
	v_mul_f64 v[99:100], v[99:100], v[105:106]
	v_fma_f64 v[99:100], v[101:102], v[97:98], v[99:100]
	s_waitcnt vmcnt(2)
	v_add_f64 v[45:46], v[45:46], -v[103:104]
	s_waitcnt vmcnt(0)
	v_add_f64 v[47:48], v[47:48], -v[99:100]
	buffer_store_dword v45, off, s[20:23], 0 ; 4-byte Folded Spill
	s_nop 0
	buffer_store_dword v46, off, s[20:23], 0 offset:4 ; 4-byte Folded Spill
	buffer_store_dword v47, off, s[20:23], 0 offset:8 ; 4-byte Folded Spill
	buffer_store_dword v48, off, s[20:23], 0 offset:12 ; 4-byte Folded Spill
	ds_read2_b64 v[99:102], v125 offset0:96 offset1:97
	s_waitcnt lgkmcnt(0)
	v_mul_f64 v[103:104], v[101:102], v[105:106]
	v_fma_f64 v[103:104], v[99:100], v[97:98], -v[103:104]
	v_mul_f64 v[99:100], v[99:100], v[105:106]
	v_add_f64 v[113:114], v[113:114], -v[103:104]
	v_fma_f64 v[99:100], v[101:102], v[97:98], v[99:100]
	v_add_f64 v[115:116], v[115:116], -v[99:100]
	ds_read2_b64 v[99:102], v125 offset0:98 offset1:99
	s_waitcnt lgkmcnt(0)
	v_mul_f64 v[103:104], v[101:102], v[105:106]
	v_fma_f64 v[103:104], v[99:100], v[97:98], -v[103:104]
	v_mul_f64 v[99:100], v[99:100], v[105:106]
	v_add_f64 v[37:38], v[37:38], -v[103:104]
	v_fma_f64 v[99:100], v[101:102], v[97:98], v[99:100]
	v_add_f64 v[39:40], v[39:40], -v[99:100]
	;; [unrolled: 8-line block ×11, first 2 shown]
	ds_read2_b64 v[99:102], v125 offset0:118 offset1:119
	s_waitcnt lgkmcnt(0)
	v_mul_f64 v[103:104], v[101:102], v[105:106]
	v_fma_f64 v[103:104], v[99:100], v[97:98], -v[103:104]
	v_mul_f64 v[99:100], v[99:100], v[105:106]
	v_add_f64 v[121:122], v[121:122], -v[103:104]
	v_fma_f64 v[99:100], v[101:102], v[97:98], v[99:100]
	v_mov_b32_e32 v104, v98
	v_mov_b32_e32 v103, v97
	buffer_store_dword v103, off, s[20:23], 0 offset:256 ; 4-byte Folded Spill
	s_nop 0
	buffer_store_dword v104, off, s[20:23], 0 offset:260 ; 4-byte Folded Spill
	buffer_store_dword v105, off, s[20:23], 0 offset:264 ; 4-byte Folded Spill
	;; [unrolled: 1-line block ×3, first 2 shown]
	v_add_f64 v[123:124], v[123:124], -v[99:100]
.LBB119_280:
	s_or_b64 exec, exec, s[2:3]
	v_cmp_eq_u32_e32 vcc, 31, v0
	s_waitcnt vmcnt(0)
	s_barrier
	s_and_saveexec_b64 s[4:5], vcc
	s_cbranch_execz .LBB119_287
; %bb.281:
	buffer_load_dword v65, off, s[20:23], 0 offset:240 ; 4-byte Folded Reload
	buffer_load_dword v66, off, s[20:23], 0 offset:244 ; 4-byte Folded Reload
	;; [unrolled: 1-line block ×4, first 2 shown]
	s_waitcnt vmcnt(0)
	ds_write2_b64 v127, v[65:66], v[67:68] offset1:1
	buffer_load_dword v65, off, s[20:23], 0 offset:224 ; 4-byte Folded Reload
	buffer_load_dword v66, off, s[20:23], 0 offset:228 ; 4-byte Folded Reload
	buffer_load_dword v67, off, s[20:23], 0 offset:232 ; 4-byte Folded Reload
	buffer_load_dword v68, off, s[20:23], 0 offset:236 ; 4-byte Folded Reload
	s_waitcnt vmcnt(0)
	ds_write2_b64 v125, v[65:66], v[67:68] offset0:64 offset1:65
	buffer_load_dword v65, off, s[20:23], 0 offset:208 ; 4-byte Folded Reload
	buffer_load_dword v66, off, s[20:23], 0 offset:212 ; 4-byte Folded Reload
	buffer_load_dword v67, off, s[20:23], 0 offset:216 ; 4-byte Folded Reload
	buffer_load_dword v68, off, s[20:23], 0 offset:220 ; 4-byte Folded Reload
	s_waitcnt vmcnt(0)
	ds_write2_b64 v125, v[65:66], v[67:68] offset0:66 offset1:67
	;; [unrolled: 6-line block ×3, first 2 shown]
	ds_write2_b64 v125, v[93:94], v[95:96] offset0:70 offset1:71
	buffer_load_dword v41, off, s[20:23], 0 offset:176 ; 4-byte Folded Reload
	buffer_load_dword v42, off, s[20:23], 0 offset:180 ; 4-byte Folded Reload
	buffer_load_dword v43, off, s[20:23], 0 offset:184 ; 4-byte Folded Reload
	buffer_load_dword v44, off, s[20:23], 0 offset:188 ; 4-byte Folded Reload
	s_waitcnt vmcnt(0)
	ds_write2_b64 v125, v[41:42], v[43:44] offset0:72 offset1:73
	buffer_load_dword v65, off, s[20:23], 0 offset:160 ; 4-byte Folded Reload
	buffer_load_dword v66, off, s[20:23], 0 offset:164 ; 4-byte Folded Reload
	buffer_load_dword v67, off, s[20:23], 0 offset:168 ; 4-byte Folded Reload
	buffer_load_dword v68, off, s[20:23], 0 offset:172 ; 4-byte Folded Reload
	s_waitcnt vmcnt(0)
	;; [unrolled: 6-line block ×11, first 2 shown]
	ds_write2_b64 v125, v[49:50], v[51:52] offset0:92 offset1:93
	buffer_load_dword v45, off, s[20:23], 0 ; 4-byte Folded Reload
	buffer_load_dword v46, off, s[20:23], 0 offset:4 ; 4-byte Folded Reload
	buffer_load_dword v47, off, s[20:23], 0 offset:8 ; 4-byte Folded Reload
	;; [unrolled: 1-line block ×3, first 2 shown]
	s_waitcnt vmcnt(0)
	ds_write2_b64 v125, v[45:46], v[47:48] offset0:94 offset1:95
	ds_write2_b64 v125, v[113:114], v[115:116] offset0:96 offset1:97
	;; [unrolled: 1-line block ×13, first 2 shown]
	ds_read2_b64 v[97:100], v127 offset1:1
	s_waitcnt lgkmcnt(0)
	v_cmp_neq_f64_e32 vcc, 0, v[97:98]
	v_cmp_neq_f64_e64 s[2:3], 0, v[99:100]
	s_or_b64 s[2:3], vcc, s[2:3]
	s_and_b64 exec, exec, s[2:3]
	s_cbranch_execz .LBB119_287
; %bb.282:
	v_cmp_ngt_f64_e64 s[2:3], |v[97:98]|, |v[99:100]|
                                        ; implicit-def: $vgpr101_vgpr102
	s_and_saveexec_b64 s[6:7], s[2:3]
	s_xor_b64 s[2:3], exec, s[6:7]
                                        ; implicit-def: $vgpr103_vgpr104
	s_cbranch_execz .LBB119_284
; %bb.283:
	v_div_scale_f64 v[101:102], s[6:7], v[99:100], v[99:100], v[97:98]
	v_rcp_f64_e32 v[103:104], v[101:102]
	v_fma_f64 v[105:106], -v[101:102], v[103:104], 1.0
	v_fma_f64 v[103:104], v[103:104], v[105:106], v[103:104]
	v_div_scale_f64 v[105:106], vcc, v[97:98], v[99:100], v[97:98]
	v_fma_f64 v[107:108], -v[101:102], v[103:104], 1.0
	v_fma_f64 v[103:104], v[103:104], v[107:108], v[103:104]
	v_mul_f64 v[107:108], v[105:106], v[103:104]
	v_fma_f64 v[101:102], -v[101:102], v[107:108], v[105:106]
	v_div_fmas_f64 v[101:102], v[101:102], v[103:104], v[107:108]
	v_div_fixup_f64 v[101:102], v[101:102], v[99:100], v[97:98]
	v_fma_f64 v[97:98], v[97:98], v[101:102], v[99:100]
	v_div_scale_f64 v[99:100], s[6:7], v[97:98], v[97:98], 1.0
	v_div_scale_f64 v[107:108], vcc, 1.0, v[97:98], 1.0
	v_rcp_f64_e32 v[103:104], v[99:100]
	v_fma_f64 v[105:106], -v[99:100], v[103:104], 1.0
	v_fma_f64 v[103:104], v[103:104], v[105:106], v[103:104]
	v_fma_f64 v[105:106], -v[99:100], v[103:104], 1.0
	v_fma_f64 v[103:104], v[103:104], v[105:106], v[103:104]
	v_mul_f64 v[105:106], v[107:108], v[103:104]
	v_fma_f64 v[99:100], -v[99:100], v[105:106], v[107:108]
	v_div_fmas_f64 v[99:100], v[99:100], v[103:104], v[105:106]
	v_div_fixup_f64 v[103:104], v[99:100], v[97:98], 1.0
                                        ; implicit-def: $vgpr97_vgpr98
	v_mul_f64 v[101:102], v[101:102], v[103:104]
	v_xor_b32_e32 v104, 0x80000000, v104
.LBB119_284:
	s_andn2_saveexec_b64 s[2:3], s[2:3]
	s_cbranch_execz .LBB119_286
; %bb.285:
	v_div_scale_f64 v[101:102], s[6:7], v[97:98], v[97:98], v[99:100]
	v_rcp_f64_e32 v[103:104], v[101:102]
	v_fma_f64 v[105:106], -v[101:102], v[103:104], 1.0
	v_fma_f64 v[103:104], v[103:104], v[105:106], v[103:104]
	v_div_scale_f64 v[105:106], vcc, v[99:100], v[97:98], v[99:100]
	v_fma_f64 v[107:108], -v[101:102], v[103:104], 1.0
	v_fma_f64 v[103:104], v[103:104], v[107:108], v[103:104]
	v_mul_f64 v[107:108], v[105:106], v[103:104]
	v_fma_f64 v[101:102], -v[101:102], v[107:108], v[105:106]
	v_div_fmas_f64 v[101:102], v[101:102], v[103:104], v[107:108]
	v_div_fixup_f64 v[103:104], v[101:102], v[97:98], v[99:100]
	v_fma_f64 v[97:98], v[99:100], v[103:104], v[97:98]
	v_div_scale_f64 v[99:100], s[6:7], v[97:98], v[97:98], 1.0
	v_div_scale_f64 v[107:108], vcc, 1.0, v[97:98], 1.0
	v_rcp_f64_e32 v[101:102], v[99:100]
	v_fma_f64 v[105:106], -v[99:100], v[101:102], 1.0
	v_fma_f64 v[101:102], v[101:102], v[105:106], v[101:102]
	v_fma_f64 v[105:106], -v[99:100], v[101:102], 1.0
	v_fma_f64 v[101:102], v[101:102], v[105:106], v[101:102]
	v_mul_f64 v[105:106], v[107:108], v[101:102]
	v_fma_f64 v[99:100], -v[99:100], v[105:106], v[107:108]
	v_div_fmas_f64 v[99:100], v[99:100], v[101:102], v[105:106]
	v_div_fixup_f64 v[101:102], v[99:100], v[97:98], 1.0
	v_mul_f64 v[103:104], v[103:104], -v[101:102]
.LBB119_286:
	s_or_b64 exec, exec, s[2:3]
	ds_write2_b64 v127, v[101:102], v[103:104] offset1:1
.LBB119_287:
	s_or_b64 exec, exec, s[4:5]
	s_waitcnt lgkmcnt(0)
	s_barrier
	ds_read2_b64 v[65:68], v127 offset1:1
	v_cmp_lt_u32_e32 vcc, 31, v0
	s_waitcnt lgkmcnt(0)
	buffer_store_dword v65, off, s[20:23], 0 offset:1720 ; 4-byte Folded Spill
	s_nop 0
	buffer_store_dword v66, off, s[20:23], 0 offset:1724 ; 4-byte Folded Spill
	buffer_store_dword v67, off, s[20:23], 0 offset:1728 ; 4-byte Folded Spill
	;; [unrolled: 1-line block ×3, first 2 shown]
	s_and_saveexec_b64 s[2:3], vcc
	s_cbranch_execz .LBB119_289
; %bb.288:
	buffer_load_dword v103, off, s[20:23], 0 offset:240 ; 4-byte Folded Reload
	buffer_load_dword v104, off, s[20:23], 0 offset:244 ; 4-byte Folded Reload
	;; [unrolled: 1-line block ×8, first 2 shown]
	s_waitcnt vmcnt(2)
	v_mul_f64 v[99:100], v[65:66], v[105:106]
	s_waitcnt vmcnt(0)
	v_mul_f64 v[97:98], v[67:68], v[105:106]
	v_fma_f64 v[105:106], v[67:68], v[103:104], v[99:100]
	ds_read2_b64 v[99:102], v125 offset0:64 offset1:65
	v_fma_f64 v[97:98], v[65:66], v[103:104], -v[97:98]
	buffer_load_dword v65, off, s[20:23], 0 offset:224 ; 4-byte Folded Reload
	buffer_load_dword v66, off, s[20:23], 0 offset:228 ; 4-byte Folded Reload
	buffer_load_dword v67, off, s[20:23], 0 offset:232 ; 4-byte Folded Reload
	buffer_load_dword v68, off, s[20:23], 0 offset:236 ; 4-byte Folded Reload
	s_waitcnt lgkmcnt(0)
	v_mul_f64 v[103:104], v[101:102], v[105:106]
	v_fma_f64 v[103:104], v[99:100], v[97:98], -v[103:104]
	v_mul_f64 v[99:100], v[99:100], v[105:106]
	v_fma_f64 v[99:100], v[101:102], v[97:98], v[99:100]
	s_waitcnt vmcnt(2)
	v_add_f64 v[65:66], v[65:66], -v[103:104]
	s_waitcnt vmcnt(0)
	v_add_f64 v[67:68], v[67:68], -v[99:100]
	buffer_store_dword v65, off, s[20:23], 0 offset:224 ; 4-byte Folded Spill
	s_nop 0
	buffer_store_dword v66, off, s[20:23], 0 offset:228 ; 4-byte Folded Spill
	buffer_store_dword v67, off, s[20:23], 0 offset:232 ; 4-byte Folded Spill
	buffer_store_dword v68, off, s[20:23], 0 offset:236 ; 4-byte Folded Spill
	ds_read2_b64 v[99:102], v125 offset0:66 offset1:67
	buffer_load_dword v65, off, s[20:23], 0 offset:208 ; 4-byte Folded Reload
	buffer_load_dword v66, off, s[20:23], 0 offset:212 ; 4-byte Folded Reload
	buffer_load_dword v67, off, s[20:23], 0 offset:216 ; 4-byte Folded Reload
	buffer_load_dword v68, off, s[20:23], 0 offset:220 ; 4-byte Folded Reload
	s_waitcnt lgkmcnt(0)
	v_mul_f64 v[103:104], v[101:102], v[105:106]
	v_fma_f64 v[103:104], v[99:100], v[97:98], -v[103:104]
	v_mul_f64 v[99:100], v[99:100], v[105:106]
	v_fma_f64 v[99:100], v[101:102], v[97:98], v[99:100]
	s_waitcnt vmcnt(2)
	v_add_f64 v[65:66], v[65:66], -v[103:104]
	s_waitcnt vmcnt(0)
	v_add_f64 v[67:68], v[67:68], -v[99:100]
	buffer_store_dword v65, off, s[20:23], 0 offset:208 ; 4-byte Folded Spill
	s_nop 0
	buffer_store_dword v66, off, s[20:23], 0 offset:212 ; 4-byte Folded Spill
	buffer_store_dword v67, off, s[20:23], 0 offset:216 ; 4-byte Folded Spill
	buffer_store_dword v68, off, s[20:23], 0 offset:220 ; 4-byte Folded Spill
	ds_read2_b64 v[99:102], v125 offset0:68 offset1:69
	;; [unrolled: 19-line block ×3, first 2 shown]
	s_waitcnt lgkmcnt(0)
	v_mul_f64 v[103:104], v[101:102], v[105:106]
	v_fma_f64 v[103:104], v[99:100], v[97:98], -v[103:104]
	v_mul_f64 v[99:100], v[99:100], v[105:106]
	v_add_f64 v[93:94], v[93:94], -v[103:104]
	v_fma_f64 v[99:100], v[101:102], v[97:98], v[99:100]
	v_add_f64 v[95:96], v[95:96], -v[99:100]
	ds_read2_b64 v[99:102], v125 offset0:72 offset1:73
	buffer_load_dword v41, off, s[20:23], 0 offset:176 ; 4-byte Folded Reload
	buffer_load_dword v42, off, s[20:23], 0 offset:180 ; 4-byte Folded Reload
	buffer_load_dword v43, off, s[20:23], 0 offset:184 ; 4-byte Folded Reload
	buffer_load_dword v44, off, s[20:23], 0 offset:188 ; 4-byte Folded Reload
	s_waitcnt lgkmcnt(0)
	v_mul_f64 v[103:104], v[101:102], v[105:106]
	v_fma_f64 v[103:104], v[99:100], v[97:98], -v[103:104]
	v_mul_f64 v[99:100], v[99:100], v[105:106]
	v_fma_f64 v[99:100], v[101:102], v[97:98], v[99:100]
	s_waitcnt vmcnt(2)
	v_add_f64 v[41:42], v[41:42], -v[103:104]
	s_waitcnt vmcnt(0)
	v_add_f64 v[43:44], v[43:44], -v[99:100]
	buffer_store_dword v41, off, s[20:23], 0 offset:176 ; 4-byte Folded Spill
	s_nop 0
	buffer_store_dword v42, off, s[20:23], 0 offset:180 ; 4-byte Folded Spill
	buffer_store_dword v43, off, s[20:23], 0 offset:184 ; 4-byte Folded Spill
	buffer_store_dword v44, off, s[20:23], 0 offset:188 ; 4-byte Folded Spill
	ds_read2_b64 v[99:102], v125 offset0:74 offset1:75
	buffer_load_dword v65, off, s[20:23], 0 offset:160 ; 4-byte Folded Reload
	buffer_load_dword v66, off, s[20:23], 0 offset:164 ; 4-byte Folded Reload
	buffer_load_dword v67, off, s[20:23], 0 offset:168 ; 4-byte Folded Reload
	buffer_load_dword v68, off, s[20:23], 0 offset:172 ; 4-byte Folded Reload
	s_waitcnt lgkmcnt(0)
	v_mul_f64 v[103:104], v[101:102], v[105:106]
	v_fma_f64 v[103:104], v[99:100], v[97:98], -v[103:104]
	v_mul_f64 v[99:100], v[99:100], v[105:106]
	v_fma_f64 v[99:100], v[101:102], v[97:98], v[99:100]
	s_waitcnt vmcnt(2)
	v_add_f64 v[65:66], v[65:66], -v[103:104]
	s_waitcnt vmcnt(0)
	v_add_f64 v[67:68], v[67:68], -v[99:100]
	buffer_store_dword v65, off, s[20:23], 0 offset:160 ; 4-byte Folded Spill
	s_nop 0
	buffer_store_dword v66, off, s[20:23], 0 offset:164 ; 4-byte Folded Spill
	buffer_store_dword v67, off, s[20:23], 0 offset:168 ; 4-byte Folded Spill
	buffer_store_dword v68, off, s[20:23], 0 offset:172 ; 4-byte Folded Spill
	;; [unrolled: 19-line block ×11, first 2 shown]
	ds_read2_b64 v[99:102], v125 offset0:94 offset1:95
	buffer_load_dword v45, off, s[20:23], 0 ; 4-byte Folded Reload
	buffer_load_dword v46, off, s[20:23], 0 offset:4 ; 4-byte Folded Reload
	buffer_load_dword v47, off, s[20:23], 0 offset:8 ; 4-byte Folded Reload
	;; [unrolled: 1-line block ×3, first 2 shown]
	s_waitcnt lgkmcnt(0)
	v_mul_f64 v[103:104], v[101:102], v[105:106]
	v_fma_f64 v[103:104], v[99:100], v[97:98], -v[103:104]
	v_mul_f64 v[99:100], v[99:100], v[105:106]
	v_fma_f64 v[99:100], v[101:102], v[97:98], v[99:100]
	s_waitcnt vmcnt(2)
	v_add_f64 v[45:46], v[45:46], -v[103:104]
	s_waitcnt vmcnt(0)
	v_add_f64 v[47:48], v[47:48], -v[99:100]
	buffer_store_dword v45, off, s[20:23], 0 ; 4-byte Folded Spill
	s_nop 0
	buffer_store_dword v46, off, s[20:23], 0 offset:4 ; 4-byte Folded Spill
	buffer_store_dword v47, off, s[20:23], 0 offset:8 ; 4-byte Folded Spill
	;; [unrolled: 1-line block ×3, first 2 shown]
	ds_read2_b64 v[99:102], v125 offset0:96 offset1:97
	s_waitcnt lgkmcnt(0)
	v_mul_f64 v[103:104], v[101:102], v[105:106]
	v_fma_f64 v[103:104], v[99:100], v[97:98], -v[103:104]
	v_mul_f64 v[99:100], v[99:100], v[105:106]
	v_add_f64 v[113:114], v[113:114], -v[103:104]
	v_fma_f64 v[99:100], v[101:102], v[97:98], v[99:100]
	v_add_f64 v[115:116], v[115:116], -v[99:100]
	ds_read2_b64 v[99:102], v125 offset0:98 offset1:99
	s_waitcnt lgkmcnt(0)
	v_mul_f64 v[103:104], v[101:102], v[105:106]
	v_fma_f64 v[103:104], v[99:100], v[97:98], -v[103:104]
	v_mul_f64 v[99:100], v[99:100], v[105:106]
	v_add_f64 v[37:38], v[37:38], -v[103:104]
	v_fma_f64 v[99:100], v[101:102], v[97:98], v[99:100]
	v_add_f64 v[39:40], v[39:40], -v[99:100]
	;; [unrolled: 8-line block ×11, first 2 shown]
	ds_read2_b64 v[99:102], v125 offset0:118 offset1:119
	s_waitcnt lgkmcnt(0)
	v_mul_f64 v[103:104], v[101:102], v[105:106]
	v_fma_f64 v[103:104], v[99:100], v[97:98], -v[103:104]
	v_mul_f64 v[99:100], v[99:100], v[105:106]
	v_add_f64 v[121:122], v[121:122], -v[103:104]
	v_fma_f64 v[99:100], v[101:102], v[97:98], v[99:100]
	v_mov_b32_e32 v104, v98
	v_mov_b32_e32 v103, v97
	buffer_store_dword v103, off, s[20:23], 0 offset:240 ; 4-byte Folded Spill
	s_nop 0
	buffer_store_dword v104, off, s[20:23], 0 offset:244 ; 4-byte Folded Spill
	buffer_store_dword v105, off, s[20:23], 0 offset:248 ; 4-byte Folded Spill
	;; [unrolled: 1-line block ×3, first 2 shown]
	v_add_f64 v[123:124], v[123:124], -v[99:100]
.LBB119_289:
	s_or_b64 exec, exec, s[2:3]
	v_cmp_eq_u32_e32 vcc, 32, v0
	s_waitcnt vmcnt(0)
	s_barrier
	s_and_saveexec_b64 s[4:5], vcc
	s_cbranch_execz .LBB119_296
; %bb.290:
	buffer_load_dword v65, off, s[20:23], 0 offset:224 ; 4-byte Folded Reload
	buffer_load_dword v66, off, s[20:23], 0 offset:228 ; 4-byte Folded Reload
	;; [unrolled: 1-line block ×4, first 2 shown]
	s_waitcnt vmcnt(0)
	ds_write2_b64 v127, v[65:66], v[67:68] offset1:1
	buffer_load_dword v65, off, s[20:23], 0 offset:208 ; 4-byte Folded Reload
	buffer_load_dword v66, off, s[20:23], 0 offset:212 ; 4-byte Folded Reload
	;; [unrolled: 1-line block ×4, first 2 shown]
	s_waitcnt vmcnt(0)
	ds_write2_b64 v125, v[65:66], v[67:68] offset0:66 offset1:67
	buffer_load_dword v65, off, s[20:23], 0 offset:192 ; 4-byte Folded Reload
	buffer_load_dword v66, off, s[20:23], 0 offset:196 ; 4-byte Folded Reload
	;; [unrolled: 1-line block ×4, first 2 shown]
	s_waitcnt vmcnt(0)
	ds_write2_b64 v125, v[65:66], v[67:68] offset0:68 offset1:69
	ds_write2_b64 v125, v[93:94], v[95:96] offset0:70 offset1:71
	buffer_load_dword v41, off, s[20:23], 0 offset:176 ; 4-byte Folded Reload
	buffer_load_dword v42, off, s[20:23], 0 offset:180 ; 4-byte Folded Reload
	buffer_load_dword v43, off, s[20:23], 0 offset:184 ; 4-byte Folded Reload
	buffer_load_dword v44, off, s[20:23], 0 offset:188 ; 4-byte Folded Reload
	s_waitcnt vmcnt(0)
	ds_write2_b64 v125, v[41:42], v[43:44] offset0:72 offset1:73
	buffer_load_dword v65, off, s[20:23], 0 offset:160 ; 4-byte Folded Reload
	buffer_load_dword v66, off, s[20:23], 0 offset:164 ; 4-byte Folded Reload
	buffer_load_dword v67, off, s[20:23], 0 offset:168 ; 4-byte Folded Reload
	buffer_load_dword v68, off, s[20:23], 0 offset:172 ; 4-byte Folded Reload
	s_waitcnt vmcnt(0)
	;; [unrolled: 6-line block ×11, first 2 shown]
	ds_write2_b64 v125, v[49:50], v[51:52] offset0:92 offset1:93
	buffer_load_dword v45, off, s[20:23], 0 ; 4-byte Folded Reload
	buffer_load_dword v46, off, s[20:23], 0 offset:4 ; 4-byte Folded Reload
	buffer_load_dword v47, off, s[20:23], 0 offset:8 ; 4-byte Folded Reload
	;; [unrolled: 1-line block ×3, first 2 shown]
	s_waitcnt vmcnt(0)
	ds_write2_b64 v125, v[45:46], v[47:48] offset0:94 offset1:95
	ds_write2_b64 v125, v[113:114], v[115:116] offset0:96 offset1:97
	;; [unrolled: 1-line block ×13, first 2 shown]
	ds_read2_b64 v[97:100], v127 offset1:1
	s_waitcnt lgkmcnt(0)
	v_cmp_neq_f64_e32 vcc, 0, v[97:98]
	v_cmp_neq_f64_e64 s[2:3], 0, v[99:100]
	s_or_b64 s[2:3], vcc, s[2:3]
	s_and_b64 exec, exec, s[2:3]
	s_cbranch_execz .LBB119_296
; %bb.291:
	v_cmp_ngt_f64_e64 s[2:3], |v[97:98]|, |v[99:100]|
                                        ; implicit-def: $vgpr101_vgpr102
	s_and_saveexec_b64 s[6:7], s[2:3]
	s_xor_b64 s[2:3], exec, s[6:7]
                                        ; implicit-def: $vgpr103_vgpr104
	s_cbranch_execz .LBB119_293
; %bb.292:
	v_div_scale_f64 v[101:102], s[6:7], v[99:100], v[99:100], v[97:98]
	v_rcp_f64_e32 v[103:104], v[101:102]
	v_fma_f64 v[105:106], -v[101:102], v[103:104], 1.0
	v_fma_f64 v[103:104], v[103:104], v[105:106], v[103:104]
	v_div_scale_f64 v[105:106], vcc, v[97:98], v[99:100], v[97:98]
	v_fma_f64 v[107:108], -v[101:102], v[103:104], 1.0
	v_fma_f64 v[103:104], v[103:104], v[107:108], v[103:104]
	v_mul_f64 v[107:108], v[105:106], v[103:104]
	v_fma_f64 v[101:102], -v[101:102], v[107:108], v[105:106]
	v_div_fmas_f64 v[101:102], v[101:102], v[103:104], v[107:108]
	v_div_fixup_f64 v[101:102], v[101:102], v[99:100], v[97:98]
	v_fma_f64 v[97:98], v[97:98], v[101:102], v[99:100]
	v_div_scale_f64 v[99:100], s[6:7], v[97:98], v[97:98], 1.0
	v_div_scale_f64 v[107:108], vcc, 1.0, v[97:98], 1.0
	v_rcp_f64_e32 v[103:104], v[99:100]
	v_fma_f64 v[105:106], -v[99:100], v[103:104], 1.0
	v_fma_f64 v[103:104], v[103:104], v[105:106], v[103:104]
	v_fma_f64 v[105:106], -v[99:100], v[103:104], 1.0
	v_fma_f64 v[103:104], v[103:104], v[105:106], v[103:104]
	v_mul_f64 v[105:106], v[107:108], v[103:104]
	v_fma_f64 v[99:100], -v[99:100], v[105:106], v[107:108]
	v_div_fmas_f64 v[99:100], v[99:100], v[103:104], v[105:106]
	v_div_fixup_f64 v[103:104], v[99:100], v[97:98], 1.0
                                        ; implicit-def: $vgpr97_vgpr98
	v_mul_f64 v[101:102], v[101:102], v[103:104]
	v_xor_b32_e32 v104, 0x80000000, v104
.LBB119_293:
	s_andn2_saveexec_b64 s[2:3], s[2:3]
	s_cbranch_execz .LBB119_295
; %bb.294:
	v_div_scale_f64 v[101:102], s[6:7], v[97:98], v[97:98], v[99:100]
	v_rcp_f64_e32 v[103:104], v[101:102]
	v_fma_f64 v[105:106], -v[101:102], v[103:104], 1.0
	v_fma_f64 v[103:104], v[103:104], v[105:106], v[103:104]
	v_div_scale_f64 v[105:106], vcc, v[99:100], v[97:98], v[99:100]
	v_fma_f64 v[107:108], -v[101:102], v[103:104], 1.0
	v_fma_f64 v[103:104], v[103:104], v[107:108], v[103:104]
	v_mul_f64 v[107:108], v[105:106], v[103:104]
	v_fma_f64 v[101:102], -v[101:102], v[107:108], v[105:106]
	v_div_fmas_f64 v[101:102], v[101:102], v[103:104], v[107:108]
	v_div_fixup_f64 v[103:104], v[101:102], v[97:98], v[99:100]
	v_fma_f64 v[97:98], v[99:100], v[103:104], v[97:98]
	v_div_scale_f64 v[99:100], s[6:7], v[97:98], v[97:98], 1.0
	v_div_scale_f64 v[107:108], vcc, 1.0, v[97:98], 1.0
	v_rcp_f64_e32 v[101:102], v[99:100]
	v_fma_f64 v[105:106], -v[99:100], v[101:102], 1.0
	v_fma_f64 v[101:102], v[101:102], v[105:106], v[101:102]
	v_fma_f64 v[105:106], -v[99:100], v[101:102], 1.0
	v_fma_f64 v[101:102], v[101:102], v[105:106], v[101:102]
	v_mul_f64 v[105:106], v[107:108], v[101:102]
	v_fma_f64 v[99:100], -v[99:100], v[105:106], v[107:108]
	v_div_fmas_f64 v[99:100], v[99:100], v[101:102], v[105:106]
	v_div_fixup_f64 v[101:102], v[99:100], v[97:98], 1.0
	v_mul_f64 v[103:104], v[103:104], -v[101:102]
.LBB119_295:
	s_or_b64 exec, exec, s[2:3]
	ds_write2_b64 v127, v[101:102], v[103:104] offset1:1
.LBB119_296:
	s_or_b64 exec, exec, s[4:5]
	s_waitcnt lgkmcnt(0)
	s_barrier
	ds_read2_b64 v[65:68], v127 offset1:1
	v_cmp_lt_u32_e32 vcc, 32, v0
	s_waitcnt lgkmcnt(0)
	buffer_store_dword v65, off, s[20:23], 0 offset:1736 ; 4-byte Folded Spill
	s_nop 0
	buffer_store_dword v66, off, s[20:23], 0 offset:1740 ; 4-byte Folded Spill
	buffer_store_dword v67, off, s[20:23], 0 offset:1744 ; 4-byte Folded Spill
	;; [unrolled: 1-line block ×3, first 2 shown]
	s_and_saveexec_b64 s[2:3], vcc
	s_cbranch_execz .LBB119_298
; %bb.297:
	buffer_load_dword v103, off, s[20:23], 0 offset:224 ; 4-byte Folded Reload
	buffer_load_dword v104, off, s[20:23], 0 offset:228 ; 4-byte Folded Reload
	;; [unrolled: 1-line block ×8, first 2 shown]
	s_waitcnt vmcnt(2)
	v_mul_f64 v[99:100], v[65:66], v[105:106]
	s_waitcnt vmcnt(0)
	v_mul_f64 v[97:98], v[67:68], v[105:106]
	v_fma_f64 v[105:106], v[67:68], v[103:104], v[99:100]
	ds_read2_b64 v[99:102], v125 offset0:66 offset1:67
	v_fma_f64 v[97:98], v[65:66], v[103:104], -v[97:98]
	buffer_load_dword v65, off, s[20:23], 0 offset:208 ; 4-byte Folded Reload
	buffer_load_dword v66, off, s[20:23], 0 offset:212 ; 4-byte Folded Reload
	;; [unrolled: 1-line block ×4, first 2 shown]
	s_waitcnt lgkmcnt(0)
	v_mul_f64 v[103:104], v[101:102], v[105:106]
	v_fma_f64 v[103:104], v[99:100], v[97:98], -v[103:104]
	v_mul_f64 v[99:100], v[99:100], v[105:106]
	v_fma_f64 v[99:100], v[101:102], v[97:98], v[99:100]
	s_waitcnt vmcnt(2)
	v_add_f64 v[65:66], v[65:66], -v[103:104]
	s_waitcnt vmcnt(0)
	v_add_f64 v[67:68], v[67:68], -v[99:100]
	buffer_store_dword v65, off, s[20:23], 0 offset:208 ; 4-byte Folded Spill
	s_nop 0
	buffer_store_dword v66, off, s[20:23], 0 offset:212 ; 4-byte Folded Spill
	buffer_store_dword v67, off, s[20:23], 0 offset:216 ; 4-byte Folded Spill
	;; [unrolled: 1-line block ×3, first 2 shown]
	ds_read2_b64 v[99:102], v125 offset0:68 offset1:69
	buffer_load_dword v65, off, s[20:23], 0 offset:192 ; 4-byte Folded Reload
	buffer_load_dword v66, off, s[20:23], 0 offset:196 ; 4-byte Folded Reload
	;; [unrolled: 1-line block ×4, first 2 shown]
	s_waitcnt lgkmcnt(0)
	v_mul_f64 v[103:104], v[101:102], v[105:106]
	v_fma_f64 v[103:104], v[99:100], v[97:98], -v[103:104]
	v_mul_f64 v[99:100], v[99:100], v[105:106]
	v_fma_f64 v[99:100], v[101:102], v[97:98], v[99:100]
	s_waitcnt vmcnt(2)
	v_add_f64 v[65:66], v[65:66], -v[103:104]
	s_waitcnt vmcnt(0)
	v_add_f64 v[67:68], v[67:68], -v[99:100]
	buffer_store_dword v65, off, s[20:23], 0 offset:192 ; 4-byte Folded Spill
	s_nop 0
	buffer_store_dword v66, off, s[20:23], 0 offset:196 ; 4-byte Folded Spill
	buffer_store_dword v67, off, s[20:23], 0 offset:200 ; 4-byte Folded Spill
	buffer_store_dword v68, off, s[20:23], 0 offset:204 ; 4-byte Folded Spill
	ds_read2_b64 v[99:102], v125 offset0:70 offset1:71
	s_waitcnt lgkmcnt(0)
	v_mul_f64 v[103:104], v[101:102], v[105:106]
	v_fma_f64 v[103:104], v[99:100], v[97:98], -v[103:104]
	v_mul_f64 v[99:100], v[99:100], v[105:106]
	v_add_f64 v[93:94], v[93:94], -v[103:104]
	v_fma_f64 v[99:100], v[101:102], v[97:98], v[99:100]
	v_add_f64 v[95:96], v[95:96], -v[99:100]
	ds_read2_b64 v[99:102], v125 offset0:72 offset1:73
	buffer_load_dword v41, off, s[20:23], 0 offset:176 ; 4-byte Folded Reload
	buffer_load_dword v42, off, s[20:23], 0 offset:180 ; 4-byte Folded Reload
	buffer_load_dword v43, off, s[20:23], 0 offset:184 ; 4-byte Folded Reload
	buffer_load_dword v44, off, s[20:23], 0 offset:188 ; 4-byte Folded Reload
	s_waitcnt lgkmcnt(0)
	v_mul_f64 v[103:104], v[101:102], v[105:106]
	v_fma_f64 v[103:104], v[99:100], v[97:98], -v[103:104]
	v_mul_f64 v[99:100], v[99:100], v[105:106]
	v_fma_f64 v[99:100], v[101:102], v[97:98], v[99:100]
	s_waitcnt vmcnt(2)
	v_add_f64 v[41:42], v[41:42], -v[103:104]
	s_waitcnt vmcnt(0)
	v_add_f64 v[43:44], v[43:44], -v[99:100]
	buffer_store_dword v41, off, s[20:23], 0 offset:176 ; 4-byte Folded Spill
	s_nop 0
	buffer_store_dword v42, off, s[20:23], 0 offset:180 ; 4-byte Folded Spill
	buffer_store_dword v43, off, s[20:23], 0 offset:184 ; 4-byte Folded Spill
	buffer_store_dword v44, off, s[20:23], 0 offset:188 ; 4-byte Folded Spill
	ds_read2_b64 v[99:102], v125 offset0:74 offset1:75
	buffer_load_dword v65, off, s[20:23], 0 offset:160 ; 4-byte Folded Reload
	buffer_load_dword v66, off, s[20:23], 0 offset:164 ; 4-byte Folded Reload
	buffer_load_dword v67, off, s[20:23], 0 offset:168 ; 4-byte Folded Reload
	buffer_load_dword v68, off, s[20:23], 0 offset:172 ; 4-byte Folded Reload
	s_waitcnt lgkmcnt(0)
	v_mul_f64 v[103:104], v[101:102], v[105:106]
	v_fma_f64 v[103:104], v[99:100], v[97:98], -v[103:104]
	v_mul_f64 v[99:100], v[99:100], v[105:106]
	v_fma_f64 v[99:100], v[101:102], v[97:98], v[99:100]
	s_waitcnt vmcnt(2)
	v_add_f64 v[65:66], v[65:66], -v[103:104]
	s_waitcnt vmcnt(0)
	v_add_f64 v[67:68], v[67:68], -v[99:100]
	buffer_store_dword v65, off, s[20:23], 0 offset:160 ; 4-byte Folded Spill
	s_nop 0
	buffer_store_dword v66, off, s[20:23], 0 offset:164 ; 4-byte Folded Spill
	buffer_store_dword v67, off, s[20:23], 0 offset:168 ; 4-byte Folded Spill
	buffer_store_dword v68, off, s[20:23], 0 offset:172 ; 4-byte Folded Spill
	;; [unrolled: 19-line block ×11, first 2 shown]
	ds_read2_b64 v[99:102], v125 offset0:94 offset1:95
	buffer_load_dword v45, off, s[20:23], 0 ; 4-byte Folded Reload
	buffer_load_dword v46, off, s[20:23], 0 offset:4 ; 4-byte Folded Reload
	buffer_load_dword v47, off, s[20:23], 0 offset:8 ; 4-byte Folded Reload
	;; [unrolled: 1-line block ×3, first 2 shown]
	s_waitcnt lgkmcnt(0)
	v_mul_f64 v[103:104], v[101:102], v[105:106]
	v_fma_f64 v[103:104], v[99:100], v[97:98], -v[103:104]
	v_mul_f64 v[99:100], v[99:100], v[105:106]
	v_fma_f64 v[99:100], v[101:102], v[97:98], v[99:100]
	s_waitcnt vmcnt(2)
	v_add_f64 v[45:46], v[45:46], -v[103:104]
	s_waitcnt vmcnt(0)
	v_add_f64 v[47:48], v[47:48], -v[99:100]
	buffer_store_dword v45, off, s[20:23], 0 ; 4-byte Folded Spill
	s_nop 0
	buffer_store_dword v46, off, s[20:23], 0 offset:4 ; 4-byte Folded Spill
	buffer_store_dword v47, off, s[20:23], 0 offset:8 ; 4-byte Folded Spill
	;; [unrolled: 1-line block ×3, first 2 shown]
	ds_read2_b64 v[99:102], v125 offset0:96 offset1:97
	s_waitcnt lgkmcnt(0)
	v_mul_f64 v[103:104], v[101:102], v[105:106]
	v_fma_f64 v[103:104], v[99:100], v[97:98], -v[103:104]
	v_mul_f64 v[99:100], v[99:100], v[105:106]
	v_add_f64 v[113:114], v[113:114], -v[103:104]
	v_fma_f64 v[99:100], v[101:102], v[97:98], v[99:100]
	v_add_f64 v[115:116], v[115:116], -v[99:100]
	ds_read2_b64 v[99:102], v125 offset0:98 offset1:99
	s_waitcnt lgkmcnt(0)
	v_mul_f64 v[103:104], v[101:102], v[105:106]
	v_fma_f64 v[103:104], v[99:100], v[97:98], -v[103:104]
	v_mul_f64 v[99:100], v[99:100], v[105:106]
	v_add_f64 v[37:38], v[37:38], -v[103:104]
	v_fma_f64 v[99:100], v[101:102], v[97:98], v[99:100]
	v_add_f64 v[39:40], v[39:40], -v[99:100]
	;; [unrolled: 8-line block ×11, first 2 shown]
	ds_read2_b64 v[99:102], v125 offset0:118 offset1:119
	s_waitcnt lgkmcnt(0)
	v_mul_f64 v[103:104], v[101:102], v[105:106]
	v_fma_f64 v[103:104], v[99:100], v[97:98], -v[103:104]
	v_mul_f64 v[99:100], v[99:100], v[105:106]
	v_add_f64 v[121:122], v[121:122], -v[103:104]
	v_fma_f64 v[99:100], v[101:102], v[97:98], v[99:100]
	v_mov_b32_e32 v104, v98
	v_mov_b32_e32 v103, v97
	buffer_store_dword v103, off, s[20:23], 0 offset:224 ; 4-byte Folded Spill
	s_nop 0
	buffer_store_dword v104, off, s[20:23], 0 offset:228 ; 4-byte Folded Spill
	buffer_store_dword v105, off, s[20:23], 0 offset:232 ; 4-byte Folded Spill
	;; [unrolled: 1-line block ×3, first 2 shown]
	v_add_f64 v[123:124], v[123:124], -v[99:100]
.LBB119_298:
	s_or_b64 exec, exec, s[2:3]
	v_cmp_eq_u32_e32 vcc, 33, v0
	s_waitcnt vmcnt(0)
	s_barrier
	s_and_saveexec_b64 s[4:5], vcc
	s_cbranch_execz .LBB119_305
; %bb.299:
	buffer_load_dword v65, off, s[20:23], 0 offset:208 ; 4-byte Folded Reload
	buffer_load_dword v66, off, s[20:23], 0 offset:212 ; 4-byte Folded Reload
	;; [unrolled: 1-line block ×4, first 2 shown]
	s_waitcnt vmcnt(0)
	ds_write2_b64 v127, v[65:66], v[67:68] offset1:1
	buffer_load_dword v65, off, s[20:23], 0 offset:192 ; 4-byte Folded Reload
	buffer_load_dword v66, off, s[20:23], 0 offset:196 ; 4-byte Folded Reload
	;; [unrolled: 1-line block ×4, first 2 shown]
	s_waitcnt vmcnt(0)
	ds_write2_b64 v125, v[65:66], v[67:68] offset0:68 offset1:69
	ds_write2_b64 v125, v[93:94], v[95:96] offset0:70 offset1:71
	buffer_load_dword v41, off, s[20:23], 0 offset:176 ; 4-byte Folded Reload
	buffer_load_dword v42, off, s[20:23], 0 offset:180 ; 4-byte Folded Reload
	buffer_load_dword v43, off, s[20:23], 0 offset:184 ; 4-byte Folded Reload
	buffer_load_dword v44, off, s[20:23], 0 offset:188 ; 4-byte Folded Reload
	s_waitcnt vmcnt(0)
	ds_write2_b64 v125, v[41:42], v[43:44] offset0:72 offset1:73
	buffer_load_dword v65, off, s[20:23], 0 offset:160 ; 4-byte Folded Reload
	buffer_load_dword v66, off, s[20:23], 0 offset:164 ; 4-byte Folded Reload
	buffer_load_dword v67, off, s[20:23], 0 offset:168 ; 4-byte Folded Reload
	buffer_load_dword v68, off, s[20:23], 0 offset:172 ; 4-byte Folded Reload
	s_waitcnt vmcnt(0)
	;; [unrolled: 6-line block ×11, first 2 shown]
	ds_write2_b64 v125, v[49:50], v[51:52] offset0:92 offset1:93
	buffer_load_dword v45, off, s[20:23], 0 ; 4-byte Folded Reload
	buffer_load_dword v46, off, s[20:23], 0 offset:4 ; 4-byte Folded Reload
	buffer_load_dword v47, off, s[20:23], 0 offset:8 ; 4-byte Folded Reload
	;; [unrolled: 1-line block ×3, first 2 shown]
	s_waitcnt vmcnt(0)
	ds_write2_b64 v125, v[45:46], v[47:48] offset0:94 offset1:95
	ds_write2_b64 v125, v[113:114], v[115:116] offset0:96 offset1:97
	;; [unrolled: 1-line block ×13, first 2 shown]
	ds_read2_b64 v[97:100], v127 offset1:1
	s_waitcnt lgkmcnt(0)
	v_cmp_neq_f64_e32 vcc, 0, v[97:98]
	v_cmp_neq_f64_e64 s[2:3], 0, v[99:100]
	s_or_b64 s[2:3], vcc, s[2:3]
	s_and_b64 exec, exec, s[2:3]
	s_cbranch_execz .LBB119_305
; %bb.300:
	v_cmp_ngt_f64_e64 s[2:3], |v[97:98]|, |v[99:100]|
                                        ; implicit-def: $vgpr101_vgpr102
	s_and_saveexec_b64 s[6:7], s[2:3]
	s_xor_b64 s[2:3], exec, s[6:7]
                                        ; implicit-def: $vgpr103_vgpr104
	s_cbranch_execz .LBB119_302
; %bb.301:
	v_div_scale_f64 v[101:102], s[6:7], v[99:100], v[99:100], v[97:98]
	v_rcp_f64_e32 v[103:104], v[101:102]
	v_fma_f64 v[105:106], -v[101:102], v[103:104], 1.0
	v_fma_f64 v[103:104], v[103:104], v[105:106], v[103:104]
	v_div_scale_f64 v[105:106], vcc, v[97:98], v[99:100], v[97:98]
	v_fma_f64 v[107:108], -v[101:102], v[103:104], 1.0
	v_fma_f64 v[103:104], v[103:104], v[107:108], v[103:104]
	v_mul_f64 v[107:108], v[105:106], v[103:104]
	v_fma_f64 v[101:102], -v[101:102], v[107:108], v[105:106]
	v_div_fmas_f64 v[101:102], v[101:102], v[103:104], v[107:108]
	v_div_fixup_f64 v[101:102], v[101:102], v[99:100], v[97:98]
	v_fma_f64 v[97:98], v[97:98], v[101:102], v[99:100]
	v_div_scale_f64 v[99:100], s[6:7], v[97:98], v[97:98], 1.0
	v_div_scale_f64 v[107:108], vcc, 1.0, v[97:98], 1.0
	v_rcp_f64_e32 v[103:104], v[99:100]
	v_fma_f64 v[105:106], -v[99:100], v[103:104], 1.0
	v_fma_f64 v[103:104], v[103:104], v[105:106], v[103:104]
	v_fma_f64 v[105:106], -v[99:100], v[103:104], 1.0
	v_fma_f64 v[103:104], v[103:104], v[105:106], v[103:104]
	v_mul_f64 v[105:106], v[107:108], v[103:104]
	v_fma_f64 v[99:100], -v[99:100], v[105:106], v[107:108]
	v_div_fmas_f64 v[99:100], v[99:100], v[103:104], v[105:106]
	v_div_fixup_f64 v[103:104], v[99:100], v[97:98], 1.0
                                        ; implicit-def: $vgpr97_vgpr98
	v_mul_f64 v[101:102], v[101:102], v[103:104]
	v_xor_b32_e32 v104, 0x80000000, v104
.LBB119_302:
	s_andn2_saveexec_b64 s[2:3], s[2:3]
	s_cbranch_execz .LBB119_304
; %bb.303:
	v_div_scale_f64 v[101:102], s[6:7], v[97:98], v[97:98], v[99:100]
	v_rcp_f64_e32 v[103:104], v[101:102]
	v_fma_f64 v[105:106], -v[101:102], v[103:104], 1.0
	v_fma_f64 v[103:104], v[103:104], v[105:106], v[103:104]
	v_div_scale_f64 v[105:106], vcc, v[99:100], v[97:98], v[99:100]
	v_fma_f64 v[107:108], -v[101:102], v[103:104], 1.0
	v_fma_f64 v[103:104], v[103:104], v[107:108], v[103:104]
	v_mul_f64 v[107:108], v[105:106], v[103:104]
	v_fma_f64 v[101:102], -v[101:102], v[107:108], v[105:106]
	v_div_fmas_f64 v[101:102], v[101:102], v[103:104], v[107:108]
	v_div_fixup_f64 v[103:104], v[101:102], v[97:98], v[99:100]
	v_fma_f64 v[97:98], v[99:100], v[103:104], v[97:98]
	v_div_scale_f64 v[99:100], s[6:7], v[97:98], v[97:98], 1.0
	v_div_scale_f64 v[107:108], vcc, 1.0, v[97:98], 1.0
	v_rcp_f64_e32 v[101:102], v[99:100]
	v_fma_f64 v[105:106], -v[99:100], v[101:102], 1.0
	v_fma_f64 v[101:102], v[101:102], v[105:106], v[101:102]
	v_fma_f64 v[105:106], -v[99:100], v[101:102], 1.0
	v_fma_f64 v[101:102], v[101:102], v[105:106], v[101:102]
	v_mul_f64 v[105:106], v[107:108], v[101:102]
	v_fma_f64 v[99:100], -v[99:100], v[105:106], v[107:108]
	v_div_fmas_f64 v[99:100], v[99:100], v[101:102], v[105:106]
	v_div_fixup_f64 v[101:102], v[99:100], v[97:98], 1.0
	v_mul_f64 v[103:104], v[103:104], -v[101:102]
.LBB119_304:
	s_or_b64 exec, exec, s[2:3]
	ds_write2_b64 v127, v[101:102], v[103:104] offset1:1
.LBB119_305:
	s_or_b64 exec, exec, s[4:5]
	s_waitcnt lgkmcnt(0)
	s_barrier
	ds_read2_b64 v[65:68], v127 offset1:1
	v_cmp_lt_u32_e32 vcc, 33, v0
	s_waitcnt lgkmcnt(0)
	buffer_store_dword v65, off, s[20:23], 0 offset:1752 ; 4-byte Folded Spill
	s_nop 0
	buffer_store_dword v66, off, s[20:23], 0 offset:1756 ; 4-byte Folded Spill
	buffer_store_dword v67, off, s[20:23], 0 offset:1760 ; 4-byte Folded Spill
	;; [unrolled: 1-line block ×3, first 2 shown]
	s_and_saveexec_b64 s[2:3], vcc
	s_cbranch_execz .LBB119_307
; %bb.306:
	buffer_load_dword v103, off, s[20:23], 0 offset:208 ; 4-byte Folded Reload
	buffer_load_dword v104, off, s[20:23], 0 offset:212 ; 4-byte Folded Reload
	;; [unrolled: 1-line block ×8, first 2 shown]
	s_waitcnt vmcnt(2)
	v_mul_f64 v[99:100], v[65:66], v[105:106]
	s_waitcnt vmcnt(0)
	v_mul_f64 v[97:98], v[67:68], v[105:106]
	v_fma_f64 v[105:106], v[67:68], v[103:104], v[99:100]
	ds_read2_b64 v[99:102], v125 offset0:68 offset1:69
	v_fma_f64 v[97:98], v[65:66], v[103:104], -v[97:98]
	buffer_load_dword v65, off, s[20:23], 0 offset:192 ; 4-byte Folded Reload
	buffer_load_dword v66, off, s[20:23], 0 offset:196 ; 4-byte Folded Reload
	;; [unrolled: 1-line block ×4, first 2 shown]
	s_waitcnt lgkmcnt(0)
	v_mul_f64 v[103:104], v[101:102], v[105:106]
	v_fma_f64 v[103:104], v[99:100], v[97:98], -v[103:104]
	v_mul_f64 v[99:100], v[99:100], v[105:106]
	v_fma_f64 v[99:100], v[101:102], v[97:98], v[99:100]
	s_waitcnt vmcnt(2)
	v_add_f64 v[65:66], v[65:66], -v[103:104]
	s_waitcnt vmcnt(0)
	v_add_f64 v[67:68], v[67:68], -v[99:100]
	buffer_store_dword v65, off, s[20:23], 0 offset:192 ; 4-byte Folded Spill
	s_nop 0
	buffer_store_dword v66, off, s[20:23], 0 offset:196 ; 4-byte Folded Spill
	buffer_store_dword v67, off, s[20:23], 0 offset:200 ; 4-byte Folded Spill
	;; [unrolled: 1-line block ×3, first 2 shown]
	ds_read2_b64 v[99:102], v125 offset0:70 offset1:71
	s_waitcnt lgkmcnt(0)
	v_mul_f64 v[103:104], v[101:102], v[105:106]
	v_fma_f64 v[103:104], v[99:100], v[97:98], -v[103:104]
	v_mul_f64 v[99:100], v[99:100], v[105:106]
	v_add_f64 v[93:94], v[93:94], -v[103:104]
	v_fma_f64 v[99:100], v[101:102], v[97:98], v[99:100]
	v_add_f64 v[95:96], v[95:96], -v[99:100]
	ds_read2_b64 v[99:102], v125 offset0:72 offset1:73
	buffer_load_dword v41, off, s[20:23], 0 offset:176 ; 4-byte Folded Reload
	buffer_load_dword v42, off, s[20:23], 0 offset:180 ; 4-byte Folded Reload
	buffer_load_dword v43, off, s[20:23], 0 offset:184 ; 4-byte Folded Reload
	buffer_load_dword v44, off, s[20:23], 0 offset:188 ; 4-byte Folded Reload
	s_waitcnt lgkmcnt(0)
	v_mul_f64 v[103:104], v[101:102], v[105:106]
	v_fma_f64 v[103:104], v[99:100], v[97:98], -v[103:104]
	v_mul_f64 v[99:100], v[99:100], v[105:106]
	v_fma_f64 v[99:100], v[101:102], v[97:98], v[99:100]
	s_waitcnt vmcnt(2)
	v_add_f64 v[41:42], v[41:42], -v[103:104]
	s_waitcnt vmcnt(0)
	v_add_f64 v[43:44], v[43:44], -v[99:100]
	buffer_store_dword v41, off, s[20:23], 0 offset:176 ; 4-byte Folded Spill
	s_nop 0
	buffer_store_dword v42, off, s[20:23], 0 offset:180 ; 4-byte Folded Spill
	buffer_store_dword v43, off, s[20:23], 0 offset:184 ; 4-byte Folded Spill
	buffer_store_dword v44, off, s[20:23], 0 offset:188 ; 4-byte Folded Spill
	ds_read2_b64 v[99:102], v125 offset0:74 offset1:75
	buffer_load_dword v65, off, s[20:23], 0 offset:160 ; 4-byte Folded Reload
	buffer_load_dword v66, off, s[20:23], 0 offset:164 ; 4-byte Folded Reload
	buffer_load_dword v67, off, s[20:23], 0 offset:168 ; 4-byte Folded Reload
	buffer_load_dword v68, off, s[20:23], 0 offset:172 ; 4-byte Folded Reload
	s_waitcnt lgkmcnt(0)
	v_mul_f64 v[103:104], v[101:102], v[105:106]
	v_fma_f64 v[103:104], v[99:100], v[97:98], -v[103:104]
	v_mul_f64 v[99:100], v[99:100], v[105:106]
	v_fma_f64 v[99:100], v[101:102], v[97:98], v[99:100]
	s_waitcnt vmcnt(2)
	v_add_f64 v[65:66], v[65:66], -v[103:104]
	s_waitcnt vmcnt(0)
	v_add_f64 v[67:68], v[67:68], -v[99:100]
	buffer_store_dword v65, off, s[20:23], 0 offset:160 ; 4-byte Folded Spill
	s_nop 0
	buffer_store_dword v66, off, s[20:23], 0 offset:164 ; 4-byte Folded Spill
	buffer_store_dword v67, off, s[20:23], 0 offset:168 ; 4-byte Folded Spill
	buffer_store_dword v68, off, s[20:23], 0 offset:172 ; 4-byte Folded Spill
	;; [unrolled: 19-line block ×11, first 2 shown]
	ds_read2_b64 v[99:102], v125 offset0:94 offset1:95
	buffer_load_dword v45, off, s[20:23], 0 ; 4-byte Folded Reload
	buffer_load_dword v46, off, s[20:23], 0 offset:4 ; 4-byte Folded Reload
	buffer_load_dword v47, off, s[20:23], 0 offset:8 ; 4-byte Folded Reload
	;; [unrolled: 1-line block ×3, first 2 shown]
	s_waitcnt lgkmcnt(0)
	v_mul_f64 v[103:104], v[101:102], v[105:106]
	v_fma_f64 v[103:104], v[99:100], v[97:98], -v[103:104]
	v_mul_f64 v[99:100], v[99:100], v[105:106]
	v_fma_f64 v[99:100], v[101:102], v[97:98], v[99:100]
	s_waitcnt vmcnt(2)
	v_add_f64 v[45:46], v[45:46], -v[103:104]
	s_waitcnt vmcnt(0)
	v_add_f64 v[47:48], v[47:48], -v[99:100]
	buffer_store_dword v45, off, s[20:23], 0 ; 4-byte Folded Spill
	s_nop 0
	buffer_store_dword v46, off, s[20:23], 0 offset:4 ; 4-byte Folded Spill
	buffer_store_dword v47, off, s[20:23], 0 offset:8 ; 4-byte Folded Spill
	;; [unrolled: 1-line block ×3, first 2 shown]
	ds_read2_b64 v[99:102], v125 offset0:96 offset1:97
	s_waitcnt lgkmcnt(0)
	v_mul_f64 v[103:104], v[101:102], v[105:106]
	v_fma_f64 v[103:104], v[99:100], v[97:98], -v[103:104]
	v_mul_f64 v[99:100], v[99:100], v[105:106]
	v_add_f64 v[113:114], v[113:114], -v[103:104]
	v_fma_f64 v[99:100], v[101:102], v[97:98], v[99:100]
	v_add_f64 v[115:116], v[115:116], -v[99:100]
	ds_read2_b64 v[99:102], v125 offset0:98 offset1:99
	s_waitcnt lgkmcnt(0)
	v_mul_f64 v[103:104], v[101:102], v[105:106]
	v_fma_f64 v[103:104], v[99:100], v[97:98], -v[103:104]
	v_mul_f64 v[99:100], v[99:100], v[105:106]
	v_add_f64 v[37:38], v[37:38], -v[103:104]
	v_fma_f64 v[99:100], v[101:102], v[97:98], v[99:100]
	v_add_f64 v[39:40], v[39:40], -v[99:100]
	;; [unrolled: 8-line block ×11, first 2 shown]
	ds_read2_b64 v[99:102], v125 offset0:118 offset1:119
	s_waitcnt lgkmcnt(0)
	v_mul_f64 v[103:104], v[101:102], v[105:106]
	v_fma_f64 v[103:104], v[99:100], v[97:98], -v[103:104]
	v_mul_f64 v[99:100], v[99:100], v[105:106]
	v_add_f64 v[121:122], v[121:122], -v[103:104]
	v_fma_f64 v[99:100], v[101:102], v[97:98], v[99:100]
	v_mov_b32_e32 v104, v98
	v_mov_b32_e32 v103, v97
	buffer_store_dword v103, off, s[20:23], 0 offset:208 ; 4-byte Folded Spill
	s_nop 0
	buffer_store_dword v104, off, s[20:23], 0 offset:212 ; 4-byte Folded Spill
	buffer_store_dword v105, off, s[20:23], 0 offset:216 ; 4-byte Folded Spill
	;; [unrolled: 1-line block ×3, first 2 shown]
	v_add_f64 v[123:124], v[123:124], -v[99:100]
.LBB119_307:
	s_or_b64 exec, exec, s[2:3]
	v_cmp_eq_u32_e32 vcc, 34, v0
	s_waitcnt vmcnt(0)
	s_barrier
	s_and_saveexec_b64 s[4:5], vcc
	s_cbranch_execz .LBB119_314
; %bb.308:
	buffer_load_dword v65, off, s[20:23], 0 offset:192 ; 4-byte Folded Reload
	buffer_load_dword v66, off, s[20:23], 0 offset:196 ; 4-byte Folded Reload
	;; [unrolled: 1-line block ×4, first 2 shown]
	s_waitcnt vmcnt(0)
	ds_write2_b64 v127, v[65:66], v[67:68] offset1:1
	ds_write2_b64 v125, v[93:94], v[95:96] offset0:70 offset1:71
	buffer_load_dword v41, off, s[20:23], 0 offset:176 ; 4-byte Folded Reload
	buffer_load_dword v42, off, s[20:23], 0 offset:180 ; 4-byte Folded Reload
	buffer_load_dword v43, off, s[20:23], 0 offset:184 ; 4-byte Folded Reload
	buffer_load_dword v44, off, s[20:23], 0 offset:188 ; 4-byte Folded Reload
	s_waitcnt vmcnt(0)
	ds_write2_b64 v125, v[41:42], v[43:44] offset0:72 offset1:73
	buffer_load_dword v65, off, s[20:23], 0 offset:160 ; 4-byte Folded Reload
	buffer_load_dword v66, off, s[20:23], 0 offset:164 ; 4-byte Folded Reload
	buffer_load_dword v67, off, s[20:23], 0 offset:168 ; 4-byte Folded Reload
	buffer_load_dword v68, off, s[20:23], 0 offset:172 ; 4-byte Folded Reload
	s_waitcnt vmcnt(0)
	;; [unrolled: 6-line block ×11, first 2 shown]
	ds_write2_b64 v125, v[49:50], v[51:52] offset0:92 offset1:93
	buffer_load_dword v45, off, s[20:23], 0 ; 4-byte Folded Reload
	buffer_load_dword v46, off, s[20:23], 0 offset:4 ; 4-byte Folded Reload
	buffer_load_dword v47, off, s[20:23], 0 offset:8 ; 4-byte Folded Reload
	;; [unrolled: 1-line block ×3, first 2 shown]
	s_waitcnt vmcnt(0)
	ds_write2_b64 v125, v[45:46], v[47:48] offset0:94 offset1:95
	ds_write2_b64 v125, v[113:114], v[115:116] offset0:96 offset1:97
	;; [unrolled: 1-line block ×13, first 2 shown]
	ds_read2_b64 v[97:100], v127 offset1:1
	s_waitcnt lgkmcnt(0)
	v_cmp_neq_f64_e32 vcc, 0, v[97:98]
	v_cmp_neq_f64_e64 s[2:3], 0, v[99:100]
	s_or_b64 s[2:3], vcc, s[2:3]
	s_and_b64 exec, exec, s[2:3]
	s_cbranch_execz .LBB119_314
; %bb.309:
	v_cmp_ngt_f64_e64 s[2:3], |v[97:98]|, |v[99:100]|
                                        ; implicit-def: $vgpr101_vgpr102
	s_and_saveexec_b64 s[6:7], s[2:3]
	s_xor_b64 s[2:3], exec, s[6:7]
                                        ; implicit-def: $vgpr103_vgpr104
	s_cbranch_execz .LBB119_311
; %bb.310:
	v_div_scale_f64 v[101:102], s[6:7], v[99:100], v[99:100], v[97:98]
	v_rcp_f64_e32 v[103:104], v[101:102]
	v_fma_f64 v[105:106], -v[101:102], v[103:104], 1.0
	v_fma_f64 v[103:104], v[103:104], v[105:106], v[103:104]
	v_div_scale_f64 v[105:106], vcc, v[97:98], v[99:100], v[97:98]
	v_fma_f64 v[107:108], -v[101:102], v[103:104], 1.0
	v_fma_f64 v[103:104], v[103:104], v[107:108], v[103:104]
	v_mul_f64 v[107:108], v[105:106], v[103:104]
	v_fma_f64 v[101:102], -v[101:102], v[107:108], v[105:106]
	v_div_fmas_f64 v[101:102], v[101:102], v[103:104], v[107:108]
	v_div_fixup_f64 v[101:102], v[101:102], v[99:100], v[97:98]
	v_fma_f64 v[97:98], v[97:98], v[101:102], v[99:100]
	v_div_scale_f64 v[99:100], s[6:7], v[97:98], v[97:98], 1.0
	v_div_scale_f64 v[107:108], vcc, 1.0, v[97:98], 1.0
	v_rcp_f64_e32 v[103:104], v[99:100]
	v_fma_f64 v[105:106], -v[99:100], v[103:104], 1.0
	v_fma_f64 v[103:104], v[103:104], v[105:106], v[103:104]
	v_fma_f64 v[105:106], -v[99:100], v[103:104], 1.0
	v_fma_f64 v[103:104], v[103:104], v[105:106], v[103:104]
	v_mul_f64 v[105:106], v[107:108], v[103:104]
	v_fma_f64 v[99:100], -v[99:100], v[105:106], v[107:108]
	v_div_fmas_f64 v[99:100], v[99:100], v[103:104], v[105:106]
	v_div_fixup_f64 v[103:104], v[99:100], v[97:98], 1.0
                                        ; implicit-def: $vgpr97_vgpr98
	v_mul_f64 v[101:102], v[101:102], v[103:104]
	v_xor_b32_e32 v104, 0x80000000, v104
.LBB119_311:
	s_andn2_saveexec_b64 s[2:3], s[2:3]
	s_cbranch_execz .LBB119_313
; %bb.312:
	v_div_scale_f64 v[101:102], s[6:7], v[97:98], v[97:98], v[99:100]
	v_rcp_f64_e32 v[103:104], v[101:102]
	v_fma_f64 v[105:106], -v[101:102], v[103:104], 1.0
	v_fma_f64 v[103:104], v[103:104], v[105:106], v[103:104]
	v_div_scale_f64 v[105:106], vcc, v[99:100], v[97:98], v[99:100]
	v_fma_f64 v[107:108], -v[101:102], v[103:104], 1.0
	v_fma_f64 v[103:104], v[103:104], v[107:108], v[103:104]
	v_mul_f64 v[107:108], v[105:106], v[103:104]
	v_fma_f64 v[101:102], -v[101:102], v[107:108], v[105:106]
	v_div_fmas_f64 v[101:102], v[101:102], v[103:104], v[107:108]
	v_div_fixup_f64 v[103:104], v[101:102], v[97:98], v[99:100]
	v_fma_f64 v[97:98], v[99:100], v[103:104], v[97:98]
	v_div_scale_f64 v[99:100], s[6:7], v[97:98], v[97:98], 1.0
	v_div_scale_f64 v[107:108], vcc, 1.0, v[97:98], 1.0
	v_rcp_f64_e32 v[101:102], v[99:100]
	v_fma_f64 v[105:106], -v[99:100], v[101:102], 1.0
	v_fma_f64 v[101:102], v[101:102], v[105:106], v[101:102]
	v_fma_f64 v[105:106], -v[99:100], v[101:102], 1.0
	v_fma_f64 v[101:102], v[101:102], v[105:106], v[101:102]
	v_mul_f64 v[105:106], v[107:108], v[101:102]
	v_fma_f64 v[99:100], -v[99:100], v[105:106], v[107:108]
	v_div_fmas_f64 v[99:100], v[99:100], v[101:102], v[105:106]
	v_div_fixup_f64 v[101:102], v[99:100], v[97:98], 1.0
	v_mul_f64 v[103:104], v[103:104], -v[101:102]
.LBB119_313:
	s_or_b64 exec, exec, s[2:3]
	ds_write2_b64 v127, v[101:102], v[103:104] offset1:1
.LBB119_314:
	s_or_b64 exec, exec, s[4:5]
	s_waitcnt lgkmcnt(0)
	s_barrier
	ds_read2_b64 v[65:68], v127 offset1:1
	v_cmp_lt_u32_e32 vcc, 34, v0
	s_waitcnt lgkmcnt(0)
	buffer_store_dword v65, off, s[20:23], 0 offset:1768 ; 4-byte Folded Spill
	s_nop 0
	buffer_store_dword v66, off, s[20:23], 0 offset:1772 ; 4-byte Folded Spill
	buffer_store_dword v67, off, s[20:23], 0 offset:1776 ; 4-byte Folded Spill
	;; [unrolled: 1-line block ×3, first 2 shown]
	s_and_saveexec_b64 s[2:3], vcc
	s_cbranch_execz .LBB119_316
; %bb.315:
	buffer_load_dword v103, off, s[20:23], 0 offset:192 ; 4-byte Folded Reload
	buffer_load_dword v104, off, s[20:23], 0 offset:196 ; 4-byte Folded Reload
	;; [unrolled: 1-line block ×8, first 2 shown]
	s_waitcnt vmcnt(2)
	v_mul_f64 v[99:100], v[65:66], v[105:106]
	s_waitcnt vmcnt(0)
	v_mul_f64 v[97:98], v[67:68], v[105:106]
	v_fma_f64 v[105:106], v[67:68], v[103:104], v[99:100]
	ds_read2_b64 v[99:102], v125 offset0:70 offset1:71
	v_fma_f64 v[97:98], v[65:66], v[103:104], -v[97:98]
	s_waitcnt lgkmcnt(0)
	v_mul_f64 v[103:104], v[101:102], v[105:106]
	v_fma_f64 v[103:104], v[99:100], v[97:98], -v[103:104]
	v_mul_f64 v[99:100], v[99:100], v[105:106]
	v_add_f64 v[93:94], v[93:94], -v[103:104]
	v_fma_f64 v[99:100], v[101:102], v[97:98], v[99:100]
	v_add_f64 v[95:96], v[95:96], -v[99:100]
	ds_read2_b64 v[99:102], v125 offset0:72 offset1:73
	buffer_load_dword v41, off, s[20:23], 0 offset:176 ; 4-byte Folded Reload
	buffer_load_dword v42, off, s[20:23], 0 offset:180 ; 4-byte Folded Reload
	buffer_load_dword v43, off, s[20:23], 0 offset:184 ; 4-byte Folded Reload
	buffer_load_dword v44, off, s[20:23], 0 offset:188 ; 4-byte Folded Reload
	s_waitcnt lgkmcnt(0)
	v_mul_f64 v[103:104], v[101:102], v[105:106]
	v_fma_f64 v[103:104], v[99:100], v[97:98], -v[103:104]
	v_mul_f64 v[99:100], v[99:100], v[105:106]
	v_fma_f64 v[99:100], v[101:102], v[97:98], v[99:100]
	s_waitcnt vmcnt(2)
	v_add_f64 v[41:42], v[41:42], -v[103:104]
	s_waitcnt vmcnt(0)
	v_add_f64 v[43:44], v[43:44], -v[99:100]
	buffer_store_dword v41, off, s[20:23], 0 offset:176 ; 4-byte Folded Spill
	s_nop 0
	buffer_store_dword v42, off, s[20:23], 0 offset:180 ; 4-byte Folded Spill
	buffer_store_dword v43, off, s[20:23], 0 offset:184 ; 4-byte Folded Spill
	buffer_store_dword v44, off, s[20:23], 0 offset:188 ; 4-byte Folded Spill
	ds_read2_b64 v[99:102], v125 offset0:74 offset1:75
	buffer_load_dword v65, off, s[20:23], 0 offset:160 ; 4-byte Folded Reload
	buffer_load_dword v66, off, s[20:23], 0 offset:164 ; 4-byte Folded Reload
	buffer_load_dword v67, off, s[20:23], 0 offset:168 ; 4-byte Folded Reload
	buffer_load_dword v68, off, s[20:23], 0 offset:172 ; 4-byte Folded Reload
	s_waitcnt lgkmcnt(0)
	v_mul_f64 v[103:104], v[101:102], v[105:106]
	v_fma_f64 v[103:104], v[99:100], v[97:98], -v[103:104]
	v_mul_f64 v[99:100], v[99:100], v[105:106]
	v_fma_f64 v[99:100], v[101:102], v[97:98], v[99:100]
	s_waitcnt vmcnt(2)
	v_add_f64 v[65:66], v[65:66], -v[103:104]
	s_waitcnt vmcnt(0)
	v_add_f64 v[67:68], v[67:68], -v[99:100]
	buffer_store_dword v65, off, s[20:23], 0 offset:160 ; 4-byte Folded Spill
	s_nop 0
	buffer_store_dword v66, off, s[20:23], 0 offset:164 ; 4-byte Folded Spill
	buffer_store_dword v67, off, s[20:23], 0 offset:168 ; 4-byte Folded Spill
	buffer_store_dword v68, off, s[20:23], 0 offset:172 ; 4-byte Folded Spill
	;; [unrolled: 19-line block ×11, first 2 shown]
	ds_read2_b64 v[99:102], v125 offset0:94 offset1:95
	buffer_load_dword v45, off, s[20:23], 0 ; 4-byte Folded Reload
	buffer_load_dword v46, off, s[20:23], 0 offset:4 ; 4-byte Folded Reload
	buffer_load_dword v47, off, s[20:23], 0 offset:8 ; 4-byte Folded Reload
	;; [unrolled: 1-line block ×3, first 2 shown]
	s_waitcnt lgkmcnt(0)
	v_mul_f64 v[103:104], v[101:102], v[105:106]
	v_fma_f64 v[103:104], v[99:100], v[97:98], -v[103:104]
	v_mul_f64 v[99:100], v[99:100], v[105:106]
	v_fma_f64 v[99:100], v[101:102], v[97:98], v[99:100]
	s_waitcnt vmcnt(2)
	v_add_f64 v[45:46], v[45:46], -v[103:104]
	s_waitcnt vmcnt(0)
	v_add_f64 v[47:48], v[47:48], -v[99:100]
	buffer_store_dword v45, off, s[20:23], 0 ; 4-byte Folded Spill
	s_nop 0
	buffer_store_dword v46, off, s[20:23], 0 offset:4 ; 4-byte Folded Spill
	buffer_store_dword v47, off, s[20:23], 0 offset:8 ; 4-byte Folded Spill
	;; [unrolled: 1-line block ×3, first 2 shown]
	ds_read2_b64 v[99:102], v125 offset0:96 offset1:97
	s_waitcnt lgkmcnt(0)
	v_mul_f64 v[103:104], v[101:102], v[105:106]
	v_fma_f64 v[103:104], v[99:100], v[97:98], -v[103:104]
	v_mul_f64 v[99:100], v[99:100], v[105:106]
	v_add_f64 v[113:114], v[113:114], -v[103:104]
	v_fma_f64 v[99:100], v[101:102], v[97:98], v[99:100]
	v_add_f64 v[115:116], v[115:116], -v[99:100]
	ds_read2_b64 v[99:102], v125 offset0:98 offset1:99
	s_waitcnt lgkmcnt(0)
	v_mul_f64 v[103:104], v[101:102], v[105:106]
	v_fma_f64 v[103:104], v[99:100], v[97:98], -v[103:104]
	v_mul_f64 v[99:100], v[99:100], v[105:106]
	v_add_f64 v[37:38], v[37:38], -v[103:104]
	v_fma_f64 v[99:100], v[101:102], v[97:98], v[99:100]
	v_add_f64 v[39:40], v[39:40], -v[99:100]
	;; [unrolled: 8-line block ×11, first 2 shown]
	ds_read2_b64 v[99:102], v125 offset0:118 offset1:119
	s_waitcnt lgkmcnt(0)
	v_mul_f64 v[103:104], v[101:102], v[105:106]
	v_fma_f64 v[103:104], v[99:100], v[97:98], -v[103:104]
	v_mul_f64 v[99:100], v[99:100], v[105:106]
	v_add_f64 v[121:122], v[121:122], -v[103:104]
	v_fma_f64 v[99:100], v[101:102], v[97:98], v[99:100]
	v_mov_b32_e32 v104, v98
	v_mov_b32_e32 v103, v97
	buffer_store_dword v103, off, s[20:23], 0 offset:192 ; 4-byte Folded Spill
	s_nop 0
	buffer_store_dword v104, off, s[20:23], 0 offset:196 ; 4-byte Folded Spill
	buffer_store_dword v105, off, s[20:23], 0 offset:200 ; 4-byte Folded Spill
	;; [unrolled: 1-line block ×3, first 2 shown]
	v_add_f64 v[123:124], v[123:124], -v[99:100]
.LBB119_316:
	s_or_b64 exec, exec, s[2:3]
	v_cmp_eq_u32_e32 vcc, 35, v0
	s_waitcnt vmcnt(0)
	s_barrier
	s_and_saveexec_b64 s[4:5], vcc
	s_cbranch_execz .LBB119_323
; %bb.317:
	ds_write2_b64 v127, v[93:94], v[95:96] offset1:1
	buffer_load_dword v41, off, s[20:23], 0 offset:176 ; 4-byte Folded Reload
	buffer_load_dword v42, off, s[20:23], 0 offset:180 ; 4-byte Folded Reload
	buffer_load_dword v43, off, s[20:23], 0 offset:184 ; 4-byte Folded Reload
	buffer_load_dword v44, off, s[20:23], 0 offset:188 ; 4-byte Folded Reload
	s_waitcnt vmcnt(0)
	ds_write2_b64 v125, v[41:42], v[43:44] offset0:72 offset1:73
	buffer_load_dword v65, off, s[20:23], 0 offset:160 ; 4-byte Folded Reload
	buffer_load_dword v66, off, s[20:23], 0 offset:164 ; 4-byte Folded Reload
	buffer_load_dword v67, off, s[20:23], 0 offset:168 ; 4-byte Folded Reload
	buffer_load_dword v68, off, s[20:23], 0 offset:172 ; 4-byte Folded Reload
	s_waitcnt vmcnt(0)
	ds_write2_b64 v125, v[65:66], v[67:68] offset0:74 offset1:75
	;; [unrolled: 6-line block ×11, first 2 shown]
	buffer_load_dword v45, off, s[20:23], 0 ; 4-byte Folded Reload
	buffer_load_dword v46, off, s[20:23], 0 offset:4 ; 4-byte Folded Reload
	buffer_load_dword v47, off, s[20:23], 0 offset:8 ; 4-byte Folded Reload
	;; [unrolled: 1-line block ×3, first 2 shown]
	s_waitcnt vmcnt(0)
	ds_write2_b64 v125, v[45:46], v[47:48] offset0:94 offset1:95
	ds_write2_b64 v125, v[113:114], v[115:116] offset0:96 offset1:97
	;; [unrolled: 1-line block ×13, first 2 shown]
	ds_read2_b64 v[97:100], v127 offset1:1
	s_waitcnt lgkmcnt(0)
	v_cmp_neq_f64_e32 vcc, 0, v[97:98]
	v_cmp_neq_f64_e64 s[2:3], 0, v[99:100]
	s_or_b64 s[2:3], vcc, s[2:3]
	s_and_b64 exec, exec, s[2:3]
	s_cbranch_execz .LBB119_323
; %bb.318:
	v_cmp_ngt_f64_e64 s[2:3], |v[97:98]|, |v[99:100]|
                                        ; implicit-def: $vgpr101_vgpr102
	s_and_saveexec_b64 s[6:7], s[2:3]
	s_xor_b64 s[2:3], exec, s[6:7]
                                        ; implicit-def: $vgpr103_vgpr104
	s_cbranch_execz .LBB119_320
; %bb.319:
	v_div_scale_f64 v[101:102], s[6:7], v[99:100], v[99:100], v[97:98]
	v_rcp_f64_e32 v[103:104], v[101:102]
	v_fma_f64 v[105:106], -v[101:102], v[103:104], 1.0
	v_fma_f64 v[103:104], v[103:104], v[105:106], v[103:104]
	v_div_scale_f64 v[105:106], vcc, v[97:98], v[99:100], v[97:98]
	v_fma_f64 v[107:108], -v[101:102], v[103:104], 1.0
	v_fma_f64 v[103:104], v[103:104], v[107:108], v[103:104]
	v_mul_f64 v[107:108], v[105:106], v[103:104]
	v_fma_f64 v[101:102], -v[101:102], v[107:108], v[105:106]
	v_div_fmas_f64 v[101:102], v[101:102], v[103:104], v[107:108]
	v_div_fixup_f64 v[101:102], v[101:102], v[99:100], v[97:98]
	v_fma_f64 v[97:98], v[97:98], v[101:102], v[99:100]
	v_div_scale_f64 v[99:100], s[6:7], v[97:98], v[97:98], 1.0
	v_div_scale_f64 v[107:108], vcc, 1.0, v[97:98], 1.0
	v_rcp_f64_e32 v[103:104], v[99:100]
	v_fma_f64 v[105:106], -v[99:100], v[103:104], 1.0
	v_fma_f64 v[103:104], v[103:104], v[105:106], v[103:104]
	v_fma_f64 v[105:106], -v[99:100], v[103:104], 1.0
	v_fma_f64 v[103:104], v[103:104], v[105:106], v[103:104]
	v_mul_f64 v[105:106], v[107:108], v[103:104]
	v_fma_f64 v[99:100], -v[99:100], v[105:106], v[107:108]
	v_div_fmas_f64 v[99:100], v[99:100], v[103:104], v[105:106]
	v_div_fixup_f64 v[103:104], v[99:100], v[97:98], 1.0
                                        ; implicit-def: $vgpr97_vgpr98
	v_mul_f64 v[101:102], v[101:102], v[103:104]
	v_xor_b32_e32 v104, 0x80000000, v104
.LBB119_320:
	s_andn2_saveexec_b64 s[2:3], s[2:3]
	s_cbranch_execz .LBB119_322
; %bb.321:
	v_div_scale_f64 v[101:102], s[6:7], v[97:98], v[97:98], v[99:100]
	v_rcp_f64_e32 v[103:104], v[101:102]
	v_fma_f64 v[105:106], -v[101:102], v[103:104], 1.0
	v_fma_f64 v[103:104], v[103:104], v[105:106], v[103:104]
	v_div_scale_f64 v[105:106], vcc, v[99:100], v[97:98], v[99:100]
	v_fma_f64 v[107:108], -v[101:102], v[103:104], 1.0
	v_fma_f64 v[103:104], v[103:104], v[107:108], v[103:104]
	v_mul_f64 v[107:108], v[105:106], v[103:104]
	v_fma_f64 v[101:102], -v[101:102], v[107:108], v[105:106]
	v_div_fmas_f64 v[101:102], v[101:102], v[103:104], v[107:108]
	v_div_fixup_f64 v[103:104], v[101:102], v[97:98], v[99:100]
	v_fma_f64 v[97:98], v[99:100], v[103:104], v[97:98]
	v_div_scale_f64 v[99:100], s[6:7], v[97:98], v[97:98], 1.0
	v_div_scale_f64 v[107:108], vcc, 1.0, v[97:98], 1.0
	v_rcp_f64_e32 v[101:102], v[99:100]
	v_fma_f64 v[105:106], -v[99:100], v[101:102], 1.0
	v_fma_f64 v[101:102], v[101:102], v[105:106], v[101:102]
	v_fma_f64 v[105:106], -v[99:100], v[101:102], 1.0
	v_fma_f64 v[101:102], v[101:102], v[105:106], v[101:102]
	v_mul_f64 v[105:106], v[107:108], v[101:102]
	v_fma_f64 v[99:100], -v[99:100], v[105:106], v[107:108]
	v_div_fmas_f64 v[99:100], v[99:100], v[101:102], v[105:106]
	v_div_fixup_f64 v[101:102], v[99:100], v[97:98], 1.0
	v_mul_f64 v[103:104], v[103:104], -v[101:102]
.LBB119_322:
	s_or_b64 exec, exec, s[2:3]
	ds_write2_b64 v127, v[101:102], v[103:104] offset1:1
.LBB119_323:
	s_or_b64 exec, exec, s[4:5]
	s_waitcnt lgkmcnt(0)
	s_barrier
	ds_read2_b64 v[65:68], v127 offset1:1
	v_cmp_lt_u32_e32 vcc, 35, v0
	s_waitcnt lgkmcnt(0)
	buffer_store_dword v65, off, s[20:23], 0 offset:1784 ; 4-byte Folded Spill
	s_nop 0
	buffer_store_dword v66, off, s[20:23], 0 offset:1788 ; 4-byte Folded Spill
	buffer_store_dword v67, off, s[20:23], 0 offset:1792 ; 4-byte Folded Spill
	;; [unrolled: 1-line block ×3, first 2 shown]
	s_and_saveexec_b64 s[2:3], vcc
	s_cbranch_execz .LBB119_325
; %bb.324:
	buffer_load_dword v65, off, s[20:23], 0 offset:1784 ; 4-byte Folded Reload
	buffer_load_dword v66, off, s[20:23], 0 offset:1788 ; 4-byte Folded Reload
	;; [unrolled: 1-line block ×4, first 2 shown]
	ds_read2_b64 v[99:102], v125 offset0:72 offset1:73
	buffer_load_dword v41, off, s[20:23], 0 offset:176 ; 4-byte Folded Reload
	buffer_load_dword v42, off, s[20:23], 0 offset:180 ; 4-byte Folded Reload
	;; [unrolled: 1-line block ×4, first 2 shown]
	s_waitcnt vmcnt(4)
	v_mul_f64 v[97:98], v[67:68], v[95:96]
	v_mul_f64 v[95:96], v[65:66], v[95:96]
	v_fma_f64 v[97:98], v[65:66], v[93:94], -v[97:98]
	v_fma_f64 v[95:96], v[67:68], v[93:94], v[95:96]
	s_waitcnt lgkmcnt(0)
	v_mul_f64 v[93:94], v[101:102], v[95:96]
	v_fma_f64 v[93:94], v[99:100], v[97:98], -v[93:94]
	v_mul_f64 v[99:100], v[99:100], v[95:96]
	s_waitcnt vmcnt(2)
	v_add_f64 v[41:42], v[41:42], -v[93:94]
	v_fma_f64 v[99:100], v[101:102], v[97:98], v[99:100]
	s_waitcnt vmcnt(0)
	v_add_f64 v[43:44], v[43:44], -v[99:100]
	buffer_store_dword v41, off, s[20:23], 0 offset:176 ; 4-byte Folded Spill
	s_nop 0
	buffer_store_dword v42, off, s[20:23], 0 offset:180 ; 4-byte Folded Spill
	buffer_store_dword v43, off, s[20:23], 0 offset:184 ; 4-byte Folded Spill
	buffer_store_dword v44, off, s[20:23], 0 offset:188 ; 4-byte Folded Spill
	ds_read2_b64 v[99:102], v125 offset0:74 offset1:75
	buffer_load_dword v65, off, s[20:23], 0 offset:160 ; 4-byte Folded Reload
	buffer_load_dword v66, off, s[20:23], 0 offset:164 ; 4-byte Folded Reload
	buffer_load_dword v67, off, s[20:23], 0 offset:168 ; 4-byte Folded Reload
	buffer_load_dword v68, off, s[20:23], 0 offset:172 ; 4-byte Folded Reload
	s_waitcnt lgkmcnt(0)
	v_mul_f64 v[93:94], v[101:102], v[95:96]
	v_fma_f64 v[93:94], v[99:100], v[97:98], -v[93:94]
	v_mul_f64 v[99:100], v[99:100], v[95:96]
	v_fma_f64 v[99:100], v[101:102], v[97:98], v[99:100]
	s_waitcnt vmcnt(2)
	v_add_f64 v[65:66], v[65:66], -v[93:94]
	s_waitcnt vmcnt(0)
	v_add_f64 v[67:68], v[67:68], -v[99:100]
	buffer_store_dword v65, off, s[20:23], 0 offset:160 ; 4-byte Folded Spill
	s_nop 0
	buffer_store_dword v66, off, s[20:23], 0 offset:164 ; 4-byte Folded Spill
	buffer_store_dword v67, off, s[20:23], 0 offset:168 ; 4-byte Folded Spill
	buffer_store_dword v68, off, s[20:23], 0 offset:172 ; 4-byte Folded Spill
	ds_read2_b64 v[99:102], v125 offset0:76 offset1:77
	buffer_load_dword v65, off, s[20:23], 0 offset:144 ; 4-byte Folded Reload
	buffer_load_dword v66, off, s[20:23], 0 offset:148 ; 4-byte Folded Reload
	buffer_load_dword v67, off, s[20:23], 0 offset:152 ; 4-byte Folded Reload
	buffer_load_dword v68, off, s[20:23], 0 offset:156 ; 4-byte Folded Reload
	s_waitcnt lgkmcnt(0)
	v_mul_f64 v[93:94], v[101:102], v[95:96]
	v_fma_f64 v[93:94], v[99:100], v[97:98], -v[93:94]
	v_mul_f64 v[99:100], v[99:100], v[95:96]
	v_fma_f64 v[99:100], v[101:102], v[97:98], v[99:100]
	s_waitcnt vmcnt(2)
	v_add_f64 v[65:66], v[65:66], -v[93:94]
	s_waitcnt vmcnt(0)
	v_add_f64 v[67:68], v[67:68], -v[99:100]
	buffer_store_dword v65, off, s[20:23], 0 offset:144 ; 4-byte Folded Spill
	s_nop 0
	buffer_store_dword v66, off, s[20:23], 0 offset:148 ; 4-byte Folded Spill
	buffer_store_dword v67, off, s[20:23], 0 offset:152 ; 4-byte Folded Spill
	buffer_store_dword v68, off, s[20:23], 0 offset:156 ; 4-byte Folded Spill
	ds_read2_b64 v[99:102], v125 offset0:78 offset1:79
	buffer_load_dword v65, off, s[20:23], 0 offset:128 ; 4-byte Folded Reload
	buffer_load_dword v66, off, s[20:23], 0 offset:132 ; 4-byte Folded Reload
	buffer_load_dword v67, off, s[20:23], 0 offset:136 ; 4-byte Folded Reload
	buffer_load_dword v68, off, s[20:23], 0 offset:140 ; 4-byte Folded Reload
	s_waitcnt lgkmcnt(0)
	v_mul_f64 v[93:94], v[101:102], v[95:96]
	v_fma_f64 v[93:94], v[99:100], v[97:98], -v[93:94]
	v_mul_f64 v[99:100], v[99:100], v[95:96]
	v_fma_f64 v[99:100], v[101:102], v[97:98], v[99:100]
	s_waitcnt vmcnt(2)
	v_add_f64 v[65:66], v[65:66], -v[93:94]
	s_waitcnt vmcnt(0)
	v_add_f64 v[67:68], v[67:68], -v[99:100]
	buffer_store_dword v65, off, s[20:23], 0 offset:128 ; 4-byte Folded Spill
	s_nop 0
	buffer_store_dword v66, off, s[20:23], 0 offset:132 ; 4-byte Folded Spill
	buffer_store_dword v67, off, s[20:23], 0 offset:136 ; 4-byte Folded Spill
	buffer_store_dword v68, off, s[20:23], 0 offset:140 ; 4-byte Folded Spill
	ds_read2_b64 v[99:102], v125 offset0:80 offset1:81
	buffer_load_dword v65, off, s[20:23], 0 offset:112 ; 4-byte Folded Reload
	buffer_load_dword v66, off, s[20:23], 0 offset:116 ; 4-byte Folded Reload
	buffer_load_dword v67, off, s[20:23], 0 offset:120 ; 4-byte Folded Reload
	buffer_load_dword v68, off, s[20:23], 0 offset:124 ; 4-byte Folded Reload
	s_waitcnt lgkmcnt(0)
	v_mul_f64 v[93:94], v[101:102], v[95:96]
	v_fma_f64 v[93:94], v[99:100], v[97:98], -v[93:94]
	v_mul_f64 v[99:100], v[99:100], v[95:96]
	v_fma_f64 v[99:100], v[101:102], v[97:98], v[99:100]
	s_waitcnt vmcnt(2)
	v_add_f64 v[65:66], v[65:66], -v[93:94]
	s_waitcnt vmcnt(0)
	v_add_f64 v[67:68], v[67:68], -v[99:100]
	buffer_store_dword v65, off, s[20:23], 0 offset:112 ; 4-byte Folded Spill
	s_nop 0
	buffer_store_dword v66, off, s[20:23], 0 offset:116 ; 4-byte Folded Spill
	buffer_store_dword v67, off, s[20:23], 0 offset:120 ; 4-byte Folded Spill
	buffer_store_dword v68, off, s[20:23], 0 offset:124 ; 4-byte Folded Spill
	ds_read2_b64 v[99:102], v125 offset0:82 offset1:83
	buffer_load_dword v65, off, s[20:23], 0 offset:96 ; 4-byte Folded Reload
	buffer_load_dword v66, off, s[20:23], 0 offset:100 ; 4-byte Folded Reload
	buffer_load_dword v67, off, s[20:23], 0 offset:104 ; 4-byte Folded Reload
	buffer_load_dword v68, off, s[20:23], 0 offset:108 ; 4-byte Folded Reload
	s_waitcnt lgkmcnt(0)
	v_mul_f64 v[93:94], v[101:102], v[95:96]
	v_fma_f64 v[93:94], v[99:100], v[97:98], -v[93:94]
	v_mul_f64 v[99:100], v[99:100], v[95:96]
	v_fma_f64 v[99:100], v[101:102], v[97:98], v[99:100]
	s_waitcnt vmcnt(2)
	v_add_f64 v[65:66], v[65:66], -v[93:94]
	s_waitcnt vmcnt(0)
	v_add_f64 v[67:68], v[67:68], -v[99:100]
	buffer_store_dword v65, off, s[20:23], 0 offset:96 ; 4-byte Folded Spill
	s_nop 0
	buffer_store_dword v66, off, s[20:23], 0 offset:100 ; 4-byte Folded Spill
	buffer_store_dword v67, off, s[20:23], 0 offset:104 ; 4-byte Folded Spill
	buffer_store_dword v68, off, s[20:23], 0 offset:108 ; 4-byte Folded Spill
	ds_read2_b64 v[99:102], v125 offset0:84 offset1:85
	buffer_load_dword v65, off, s[20:23], 0 offset:80 ; 4-byte Folded Reload
	buffer_load_dword v66, off, s[20:23], 0 offset:84 ; 4-byte Folded Reload
	buffer_load_dword v67, off, s[20:23], 0 offset:88 ; 4-byte Folded Reload
	buffer_load_dword v68, off, s[20:23], 0 offset:92 ; 4-byte Folded Reload
	s_waitcnt lgkmcnt(0)
	v_mul_f64 v[93:94], v[101:102], v[95:96]
	v_fma_f64 v[93:94], v[99:100], v[97:98], -v[93:94]
	v_mul_f64 v[99:100], v[99:100], v[95:96]
	v_fma_f64 v[99:100], v[101:102], v[97:98], v[99:100]
	s_waitcnt vmcnt(2)
	v_add_f64 v[65:66], v[65:66], -v[93:94]
	s_waitcnt vmcnt(0)
	v_add_f64 v[67:68], v[67:68], -v[99:100]
	buffer_store_dword v65, off, s[20:23], 0 offset:80 ; 4-byte Folded Spill
	s_nop 0
	buffer_store_dword v66, off, s[20:23], 0 offset:84 ; 4-byte Folded Spill
	buffer_store_dword v67, off, s[20:23], 0 offset:88 ; 4-byte Folded Spill
	buffer_store_dword v68, off, s[20:23], 0 offset:92 ; 4-byte Folded Spill
	ds_read2_b64 v[99:102], v125 offset0:86 offset1:87
	buffer_load_dword v61, off, s[20:23], 0 offset:64 ; 4-byte Folded Reload
	buffer_load_dword v62, off, s[20:23], 0 offset:68 ; 4-byte Folded Reload
	buffer_load_dword v63, off, s[20:23], 0 offset:72 ; 4-byte Folded Reload
	buffer_load_dword v64, off, s[20:23], 0 offset:76 ; 4-byte Folded Reload
	s_waitcnt lgkmcnt(0)
	v_mul_f64 v[93:94], v[101:102], v[95:96]
	v_fma_f64 v[93:94], v[99:100], v[97:98], -v[93:94]
	v_mul_f64 v[99:100], v[99:100], v[95:96]
	v_fma_f64 v[99:100], v[101:102], v[97:98], v[99:100]
	s_waitcnt vmcnt(2)
	v_add_f64 v[61:62], v[61:62], -v[93:94]
	s_waitcnt vmcnt(0)
	v_add_f64 v[63:64], v[63:64], -v[99:100]
	buffer_store_dword v61, off, s[20:23], 0 offset:64 ; 4-byte Folded Spill
	s_nop 0
	buffer_store_dword v62, off, s[20:23], 0 offset:68 ; 4-byte Folded Spill
	buffer_store_dword v63, off, s[20:23], 0 offset:72 ; 4-byte Folded Spill
	buffer_store_dword v64, off, s[20:23], 0 offset:76 ; 4-byte Folded Spill
	ds_read2_b64 v[99:102], v125 offset0:88 offset1:89
	buffer_load_dword v57, off, s[20:23], 0 offset:48 ; 4-byte Folded Reload
	buffer_load_dword v58, off, s[20:23], 0 offset:52 ; 4-byte Folded Reload
	buffer_load_dword v59, off, s[20:23], 0 offset:56 ; 4-byte Folded Reload
	buffer_load_dword v60, off, s[20:23], 0 offset:60 ; 4-byte Folded Reload
	s_waitcnt lgkmcnt(0)
	v_mul_f64 v[93:94], v[101:102], v[95:96]
	v_fma_f64 v[93:94], v[99:100], v[97:98], -v[93:94]
	v_mul_f64 v[99:100], v[99:100], v[95:96]
	v_fma_f64 v[99:100], v[101:102], v[97:98], v[99:100]
	s_waitcnt vmcnt(2)
	v_add_f64 v[57:58], v[57:58], -v[93:94]
	s_waitcnt vmcnt(0)
	v_add_f64 v[59:60], v[59:60], -v[99:100]
	buffer_store_dword v57, off, s[20:23], 0 offset:48 ; 4-byte Folded Spill
	s_nop 0
	buffer_store_dword v58, off, s[20:23], 0 offset:52 ; 4-byte Folded Spill
	buffer_store_dword v59, off, s[20:23], 0 offset:56 ; 4-byte Folded Spill
	buffer_store_dword v60, off, s[20:23], 0 offset:60 ; 4-byte Folded Spill
	ds_read2_b64 v[99:102], v125 offset0:90 offset1:91
	buffer_load_dword v53, off, s[20:23], 0 offset:32 ; 4-byte Folded Reload
	buffer_load_dword v54, off, s[20:23], 0 offset:36 ; 4-byte Folded Reload
	buffer_load_dword v55, off, s[20:23], 0 offset:40 ; 4-byte Folded Reload
	buffer_load_dword v56, off, s[20:23], 0 offset:44 ; 4-byte Folded Reload
	s_waitcnt lgkmcnt(0)
	v_mul_f64 v[93:94], v[101:102], v[95:96]
	v_fma_f64 v[93:94], v[99:100], v[97:98], -v[93:94]
	v_mul_f64 v[99:100], v[99:100], v[95:96]
	v_fma_f64 v[99:100], v[101:102], v[97:98], v[99:100]
	s_waitcnt vmcnt(2)
	v_add_f64 v[53:54], v[53:54], -v[93:94]
	s_waitcnt vmcnt(0)
	v_add_f64 v[55:56], v[55:56], -v[99:100]
	buffer_store_dword v53, off, s[20:23], 0 offset:32 ; 4-byte Folded Spill
	s_nop 0
	buffer_store_dword v54, off, s[20:23], 0 offset:36 ; 4-byte Folded Spill
	buffer_store_dword v55, off, s[20:23], 0 offset:40 ; 4-byte Folded Spill
	buffer_store_dword v56, off, s[20:23], 0 offset:44 ; 4-byte Folded Spill
	ds_read2_b64 v[99:102], v125 offset0:92 offset1:93
	buffer_load_dword v49, off, s[20:23], 0 offset:16 ; 4-byte Folded Reload
	buffer_load_dword v50, off, s[20:23], 0 offset:20 ; 4-byte Folded Reload
	buffer_load_dword v51, off, s[20:23], 0 offset:24 ; 4-byte Folded Reload
	buffer_load_dword v52, off, s[20:23], 0 offset:28 ; 4-byte Folded Reload
	s_waitcnt lgkmcnt(0)
	v_mul_f64 v[93:94], v[101:102], v[95:96]
	v_fma_f64 v[93:94], v[99:100], v[97:98], -v[93:94]
	v_mul_f64 v[99:100], v[99:100], v[95:96]
	v_fma_f64 v[99:100], v[101:102], v[97:98], v[99:100]
	s_waitcnt vmcnt(2)
	v_add_f64 v[49:50], v[49:50], -v[93:94]
	s_waitcnt vmcnt(0)
	v_add_f64 v[51:52], v[51:52], -v[99:100]
	buffer_store_dword v49, off, s[20:23], 0 offset:16 ; 4-byte Folded Spill
	s_nop 0
	buffer_store_dword v50, off, s[20:23], 0 offset:20 ; 4-byte Folded Spill
	buffer_store_dword v51, off, s[20:23], 0 offset:24 ; 4-byte Folded Spill
	;; [unrolled: 1-line block ×3, first 2 shown]
	ds_read2_b64 v[99:102], v125 offset0:94 offset1:95
	buffer_load_dword v45, off, s[20:23], 0 ; 4-byte Folded Reload
	buffer_load_dword v46, off, s[20:23], 0 offset:4 ; 4-byte Folded Reload
	buffer_load_dword v47, off, s[20:23], 0 offset:8 ; 4-byte Folded Reload
	;; [unrolled: 1-line block ×3, first 2 shown]
	s_waitcnt lgkmcnt(0)
	v_mul_f64 v[93:94], v[101:102], v[95:96]
	v_fma_f64 v[93:94], v[99:100], v[97:98], -v[93:94]
	v_mul_f64 v[99:100], v[99:100], v[95:96]
	v_fma_f64 v[99:100], v[101:102], v[97:98], v[99:100]
	s_waitcnt vmcnt(2)
	v_add_f64 v[45:46], v[45:46], -v[93:94]
	s_waitcnt vmcnt(0)
	v_add_f64 v[47:48], v[47:48], -v[99:100]
	buffer_store_dword v45, off, s[20:23], 0 ; 4-byte Folded Spill
	s_nop 0
	buffer_store_dword v46, off, s[20:23], 0 offset:4 ; 4-byte Folded Spill
	buffer_store_dword v47, off, s[20:23], 0 offset:8 ; 4-byte Folded Spill
	;; [unrolled: 1-line block ×3, first 2 shown]
	ds_read2_b64 v[99:102], v125 offset0:96 offset1:97
	s_waitcnt lgkmcnt(0)
	v_mul_f64 v[93:94], v[101:102], v[95:96]
	v_fma_f64 v[93:94], v[99:100], v[97:98], -v[93:94]
	v_mul_f64 v[99:100], v[99:100], v[95:96]
	v_add_f64 v[113:114], v[113:114], -v[93:94]
	v_fma_f64 v[99:100], v[101:102], v[97:98], v[99:100]
	v_add_f64 v[115:116], v[115:116], -v[99:100]
	ds_read2_b64 v[99:102], v125 offset0:98 offset1:99
	s_waitcnt lgkmcnt(0)
	v_mul_f64 v[93:94], v[101:102], v[95:96]
	v_fma_f64 v[93:94], v[99:100], v[97:98], -v[93:94]
	v_mul_f64 v[99:100], v[99:100], v[95:96]
	v_add_f64 v[37:38], v[37:38], -v[93:94]
	v_fma_f64 v[99:100], v[101:102], v[97:98], v[99:100]
	v_add_f64 v[39:40], v[39:40], -v[99:100]
	;; [unrolled: 8-line block ×11, first 2 shown]
	ds_read2_b64 v[99:102], v125 offset0:118 offset1:119
	s_waitcnt lgkmcnt(0)
	v_mul_f64 v[93:94], v[101:102], v[95:96]
	v_fma_f64 v[93:94], v[99:100], v[97:98], -v[93:94]
	v_mul_f64 v[99:100], v[99:100], v[95:96]
	v_add_f64 v[121:122], v[121:122], -v[93:94]
	v_fma_f64 v[99:100], v[101:102], v[97:98], v[99:100]
	v_mov_b32_e32 v93, v97
	v_mov_b32_e32 v94, v98
	v_add_f64 v[123:124], v[123:124], -v[99:100]
.LBB119_325:
	s_or_b64 exec, exec, s[2:3]
	v_cmp_eq_u32_e32 vcc, 36, v0
	s_waitcnt vmcnt(0)
	s_barrier
	s_and_saveexec_b64 s[4:5], vcc
	s_cbranch_execz .LBB119_332
; %bb.326:
	buffer_load_dword v41, off, s[20:23], 0 offset:176 ; 4-byte Folded Reload
	buffer_load_dword v42, off, s[20:23], 0 offset:180 ; 4-byte Folded Reload
	;; [unrolled: 1-line block ×4, first 2 shown]
	s_waitcnt vmcnt(0)
	ds_write2_b64 v127, v[41:42], v[43:44] offset1:1
	buffer_load_dword v65, off, s[20:23], 0 offset:160 ; 4-byte Folded Reload
	buffer_load_dword v66, off, s[20:23], 0 offset:164 ; 4-byte Folded Reload
	buffer_load_dword v67, off, s[20:23], 0 offset:168 ; 4-byte Folded Reload
	buffer_load_dword v68, off, s[20:23], 0 offset:172 ; 4-byte Folded Reload
	s_waitcnt vmcnt(0)
	ds_write2_b64 v125, v[65:66], v[67:68] offset0:74 offset1:75
	buffer_load_dword v65, off, s[20:23], 0 offset:144 ; 4-byte Folded Reload
	buffer_load_dword v66, off, s[20:23], 0 offset:148 ; 4-byte Folded Reload
	buffer_load_dword v67, off, s[20:23], 0 offset:152 ; 4-byte Folded Reload
	buffer_load_dword v68, off, s[20:23], 0 offset:156 ; 4-byte Folded Reload
	s_waitcnt vmcnt(0)
	ds_write2_b64 v125, v[65:66], v[67:68] offset0:76 offset1:77
	;; [unrolled: 6-line block ×10, first 2 shown]
	buffer_load_dword v45, off, s[20:23], 0 ; 4-byte Folded Reload
	buffer_load_dword v46, off, s[20:23], 0 offset:4 ; 4-byte Folded Reload
	buffer_load_dword v47, off, s[20:23], 0 offset:8 ; 4-byte Folded Reload
	;; [unrolled: 1-line block ×3, first 2 shown]
	s_waitcnt vmcnt(0)
	ds_write2_b64 v125, v[45:46], v[47:48] offset0:94 offset1:95
	ds_write2_b64 v125, v[113:114], v[115:116] offset0:96 offset1:97
	;; [unrolled: 1-line block ×13, first 2 shown]
	ds_read2_b64 v[97:100], v127 offset1:1
	s_waitcnt lgkmcnt(0)
	v_cmp_neq_f64_e32 vcc, 0, v[97:98]
	v_cmp_neq_f64_e64 s[2:3], 0, v[99:100]
	s_or_b64 s[2:3], vcc, s[2:3]
	s_and_b64 exec, exec, s[2:3]
	s_cbranch_execz .LBB119_332
; %bb.327:
	v_cmp_ngt_f64_e64 s[2:3], |v[97:98]|, |v[99:100]|
                                        ; implicit-def: $vgpr101_vgpr102
	s_and_saveexec_b64 s[6:7], s[2:3]
	s_xor_b64 s[2:3], exec, s[6:7]
                                        ; implicit-def: $vgpr103_vgpr104
	s_cbranch_execz .LBB119_329
; %bb.328:
	v_div_scale_f64 v[101:102], s[6:7], v[99:100], v[99:100], v[97:98]
	v_rcp_f64_e32 v[103:104], v[101:102]
	v_fma_f64 v[105:106], -v[101:102], v[103:104], 1.0
	v_fma_f64 v[103:104], v[103:104], v[105:106], v[103:104]
	v_div_scale_f64 v[105:106], vcc, v[97:98], v[99:100], v[97:98]
	v_fma_f64 v[107:108], -v[101:102], v[103:104], 1.0
	v_fma_f64 v[103:104], v[103:104], v[107:108], v[103:104]
	v_mul_f64 v[107:108], v[105:106], v[103:104]
	v_fma_f64 v[101:102], -v[101:102], v[107:108], v[105:106]
	v_div_fmas_f64 v[101:102], v[101:102], v[103:104], v[107:108]
	v_div_fixup_f64 v[101:102], v[101:102], v[99:100], v[97:98]
	v_fma_f64 v[97:98], v[97:98], v[101:102], v[99:100]
	v_div_scale_f64 v[99:100], s[6:7], v[97:98], v[97:98], 1.0
	v_div_scale_f64 v[107:108], vcc, 1.0, v[97:98], 1.0
	v_rcp_f64_e32 v[103:104], v[99:100]
	v_fma_f64 v[105:106], -v[99:100], v[103:104], 1.0
	v_fma_f64 v[103:104], v[103:104], v[105:106], v[103:104]
	v_fma_f64 v[105:106], -v[99:100], v[103:104], 1.0
	v_fma_f64 v[103:104], v[103:104], v[105:106], v[103:104]
	v_mul_f64 v[105:106], v[107:108], v[103:104]
	v_fma_f64 v[99:100], -v[99:100], v[105:106], v[107:108]
	v_div_fmas_f64 v[99:100], v[99:100], v[103:104], v[105:106]
	v_div_fixup_f64 v[103:104], v[99:100], v[97:98], 1.0
                                        ; implicit-def: $vgpr97_vgpr98
	v_mul_f64 v[101:102], v[101:102], v[103:104]
	v_xor_b32_e32 v104, 0x80000000, v104
.LBB119_329:
	s_andn2_saveexec_b64 s[2:3], s[2:3]
	s_cbranch_execz .LBB119_331
; %bb.330:
	v_div_scale_f64 v[101:102], s[6:7], v[97:98], v[97:98], v[99:100]
	v_rcp_f64_e32 v[103:104], v[101:102]
	v_fma_f64 v[105:106], -v[101:102], v[103:104], 1.0
	v_fma_f64 v[103:104], v[103:104], v[105:106], v[103:104]
	v_div_scale_f64 v[105:106], vcc, v[99:100], v[97:98], v[99:100]
	v_fma_f64 v[107:108], -v[101:102], v[103:104], 1.0
	v_fma_f64 v[103:104], v[103:104], v[107:108], v[103:104]
	v_mul_f64 v[107:108], v[105:106], v[103:104]
	v_fma_f64 v[101:102], -v[101:102], v[107:108], v[105:106]
	v_div_fmas_f64 v[101:102], v[101:102], v[103:104], v[107:108]
	v_div_fixup_f64 v[103:104], v[101:102], v[97:98], v[99:100]
	v_fma_f64 v[97:98], v[99:100], v[103:104], v[97:98]
	v_div_scale_f64 v[99:100], s[6:7], v[97:98], v[97:98], 1.0
	v_div_scale_f64 v[107:108], vcc, 1.0, v[97:98], 1.0
	v_rcp_f64_e32 v[101:102], v[99:100]
	v_fma_f64 v[105:106], -v[99:100], v[101:102], 1.0
	v_fma_f64 v[101:102], v[101:102], v[105:106], v[101:102]
	v_fma_f64 v[105:106], -v[99:100], v[101:102], 1.0
	v_fma_f64 v[101:102], v[101:102], v[105:106], v[101:102]
	v_mul_f64 v[105:106], v[107:108], v[101:102]
	v_fma_f64 v[99:100], -v[99:100], v[105:106], v[107:108]
	v_div_fmas_f64 v[99:100], v[99:100], v[101:102], v[105:106]
	v_div_fixup_f64 v[101:102], v[99:100], v[97:98], 1.0
	v_mul_f64 v[103:104], v[103:104], -v[101:102]
.LBB119_331:
	s_or_b64 exec, exec, s[2:3]
	ds_write2_b64 v127, v[101:102], v[103:104] offset1:1
.LBB119_332:
	s_or_b64 exec, exec, s[4:5]
	s_waitcnt lgkmcnt(0)
	s_barrier
	ds_read2_b64 v[65:68], v127 offset1:1
	v_cmp_lt_u32_e32 vcc, 36, v0
	s_waitcnt lgkmcnt(0)
	buffer_store_dword v65, off, s[20:23], 0 offset:1800 ; 4-byte Folded Spill
	s_nop 0
	buffer_store_dword v66, off, s[20:23], 0 offset:1804 ; 4-byte Folded Spill
	buffer_store_dword v67, off, s[20:23], 0 offset:1808 ; 4-byte Folded Spill
	;; [unrolled: 1-line block ×3, first 2 shown]
	s_mov_b64 s[2:3], exec
	s_and_b64 s[4:5], s[2:3], vcc
	buffer_store_dword v93, off, s[20:23], 0 offset:1192 ; 4-byte Folded Spill
	s_nop 0
	buffer_store_dword v94, off, s[20:23], 0 offset:1196 ; 4-byte Folded Spill
	buffer_store_dword v95, off, s[20:23], 0 offset:1200 ; 4-byte Folded Spill
	;; [unrolled: 1-line block ×3, first 2 shown]
	s_mov_b64 exec, s[4:5]
	s_cbranch_execz .LBB119_334
; %bb.333:
	buffer_load_dword v65, off, s[20:23], 0 offset:1800 ; 4-byte Folded Reload
	buffer_load_dword v66, off, s[20:23], 0 offset:1804 ; 4-byte Folded Reload
	;; [unrolled: 1-line block ×12, first 2 shown]
	ds_read2_b64 v[99:102], v125 offset0:74 offset1:75
	s_waitcnt vmcnt(4)
	v_mul_f64 v[91:92], v[65:66], v[43:44]
	v_mul_f64 v[97:98], v[67:68], v[43:44]
	v_fma_f64 v[43:44], v[67:68], v[41:42], v[91:92]
	v_fma_f64 v[97:98], v[65:66], v[41:42], -v[97:98]
	s_waitcnt lgkmcnt(0)
	v_mul_f64 v[89:90], v[101:102], v[43:44]
	v_mov_b32_e32 v41, v97
	v_mov_b32_e32 v42, v98
	v_fma_f64 v[89:90], v[99:100], v[97:98], -v[89:90]
	v_mul_f64 v[99:100], v[99:100], v[43:44]
	s_waitcnt vmcnt(2)
	v_add_f64 v[85:86], v[85:86], -v[89:90]
	v_fma_f64 v[99:100], v[101:102], v[97:98], v[99:100]
	s_waitcnt vmcnt(0)
	v_add_f64 v[87:88], v[87:88], -v[99:100]
	buffer_store_dword v85, off, s[20:23], 0 offset:160 ; 4-byte Folded Spill
	s_nop 0
	buffer_store_dword v86, off, s[20:23], 0 offset:164 ; 4-byte Folded Spill
	buffer_store_dword v87, off, s[20:23], 0 offset:168 ; 4-byte Folded Spill
	buffer_store_dword v88, off, s[20:23], 0 offset:172 ; 4-byte Folded Spill
	ds_read2_b64 v[99:102], v125 offset0:76 offset1:77
	buffer_load_dword v65, off, s[20:23], 0 offset:144 ; 4-byte Folded Reload
	buffer_load_dword v66, off, s[20:23], 0 offset:148 ; 4-byte Folded Reload
	buffer_load_dword v67, off, s[20:23], 0 offset:152 ; 4-byte Folded Reload
	buffer_load_dword v68, off, s[20:23], 0 offset:156 ; 4-byte Folded Reload
	s_waitcnt lgkmcnt(0)
	v_mul_f64 v[89:90], v[101:102], v[43:44]
	v_fma_f64 v[89:90], v[99:100], v[97:98], -v[89:90]
	v_mul_f64 v[99:100], v[99:100], v[43:44]
	v_fma_f64 v[99:100], v[101:102], v[97:98], v[99:100]
	s_waitcnt vmcnt(2)
	v_add_f64 v[65:66], v[65:66], -v[89:90]
	s_waitcnt vmcnt(0)
	v_add_f64 v[67:68], v[67:68], -v[99:100]
	buffer_store_dword v65, off, s[20:23], 0 offset:144 ; 4-byte Folded Spill
	s_nop 0
	buffer_store_dword v66, off, s[20:23], 0 offset:148 ; 4-byte Folded Spill
	buffer_store_dword v67, off, s[20:23], 0 offset:152 ; 4-byte Folded Spill
	buffer_store_dword v68, off, s[20:23], 0 offset:156 ; 4-byte Folded Spill
	ds_read2_b64 v[99:102], v125 offset0:78 offset1:79
	buffer_load_dword v65, off, s[20:23], 0 offset:128 ; 4-byte Folded Reload
	buffer_load_dword v66, off, s[20:23], 0 offset:132 ; 4-byte Folded Reload
	buffer_load_dword v67, off, s[20:23], 0 offset:136 ; 4-byte Folded Reload
	buffer_load_dword v68, off, s[20:23], 0 offset:140 ; 4-byte Folded Reload
	s_waitcnt lgkmcnt(0)
	v_mul_f64 v[89:90], v[101:102], v[43:44]
	v_fma_f64 v[89:90], v[99:100], v[97:98], -v[89:90]
	v_mul_f64 v[99:100], v[99:100], v[43:44]
	v_fma_f64 v[99:100], v[101:102], v[97:98], v[99:100]
	s_waitcnt vmcnt(2)
	v_add_f64 v[65:66], v[65:66], -v[89:90]
	;; [unrolled: 19-line block ×9, first 2 shown]
	s_waitcnt vmcnt(0)
	v_add_f64 v[51:52], v[51:52], -v[99:100]
	buffer_store_dword v49, off, s[20:23], 0 offset:16 ; 4-byte Folded Spill
	s_nop 0
	buffer_store_dword v50, off, s[20:23], 0 offset:20 ; 4-byte Folded Spill
	buffer_store_dword v51, off, s[20:23], 0 offset:24 ; 4-byte Folded Spill
	;; [unrolled: 1-line block ×3, first 2 shown]
	ds_read2_b64 v[99:102], v125 offset0:94 offset1:95
	buffer_load_dword v45, off, s[20:23], 0 ; 4-byte Folded Reload
	buffer_load_dword v46, off, s[20:23], 0 offset:4 ; 4-byte Folded Reload
	buffer_load_dword v47, off, s[20:23], 0 offset:8 ; 4-byte Folded Reload
	;; [unrolled: 1-line block ×3, first 2 shown]
	s_waitcnt lgkmcnt(0)
	v_mul_f64 v[89:90], v[101:102], v[43:44]
	v_fma_f64 v[89:90], v[99:100], v[97:98], -v[89:90]
	v_mul_f64 v[99:100], v[99:100], v[43:44]
	v_fma_f64 v[99:100], v[101:102], v[97:98], v[99:100]
	s_waitcnt vmcnt(2)
	v_add_f64 v[45:46], v[45:46], -v[89:90]
	s_waitcnt vmcnt(0)
	v_add_f64 v[47:48], v[47:48], -v[99:100]
	buffer_store_dword v45, off, s[20:23], 0 ; 4-byte Folded Spill
	s_nop 0
	buffer_store_dword v46, off, s[20:23], 0 offset:4 ; 4-byte Folded Spill
	buffer_store_dword v47, off, s[20:23], 0 offset:8 ; 4-byte Folded Spill
	;; [unrolled: 1-line block ×3, first 2 shown]
	ds_read2_b64 v[99:102], v125 offset0:96 offset1:97
	s_waitcnt lgkmcnt(0)
	v_mul_f64 v[89:90], v[101:102], v[43:44]
	v_fma_f64 v[89:90], v[99:100], v[97:98], -v[89:90]
	v_mul_f64 v[99:100], v[99:100], v[43:44]
	v_add_f64 v[113:114], v[113:114], -v[89:90]
	v_fma_f64 v[99:100], v[101:102], v[97:98], v[99:100]
	v_add_f64 v[115:116], v[115:116], -v[99:100]
	ds_read2_b64 v[99:102], v125 offset0:98 offset1:99
	s_waitcnt lgkmcnt(0)
	v_mul_f64 v[89:90], v[101:102], v[43:44]
	v_fma_f64 v[89:90], v[99:100], v[97:98], -v[89:90]
	v_mul_f64 v[99:100], v[99:100], v[43:44]
	v_add_f64 v[37:38], v[37:38], -v[89:90]
	v_fma_f64 v[99:100], v[101:102], v[97:98], v[99:100]
	v_add_f64 v[39:40], v[39:40], -v[99:100]
	;; [unrolled: 8-line block ×11, first 2 shown]
	ds_read2_b64 v[99:102], v125 offset0:118 offset1:119
	s_waitcnt lgkmcnt(0)
	v_mul_f64 v[89:90], v[101:102], v[43:44]
	v_fma_f64 v[89:90], v[99:100], v[97:98], -v[89:90]
	v_mul_f64 v[99:100], v[99:100], v[43:44]
	buffer_store_dword v41, off, s[20:23], 0 offset:176 ; 4-byte Folded Spill
	s_nop 0
	buffer_store_dword v42, off, s[20:23], 0 offset:180 ; 4-byte Folded Spill
	buffer_store_dword v43, off, s[20:23], 0 offset:184 ; 4-byte Folded Spill
	;; [unrolled: 1-line block ×3, first 2 shown]
	v_add_f64 v[121:122], v[121:122], -v[89:90]
	v_fma_f64 v[99:100], v[101:102], v[97:98], v[99:100]
	v_add_f64 v[123:124], v[123:124], -v[99:100]
.LBB119_334:
	s_or_b64 exec, exec, s[2:3]
	v_cmp_eq_u32_e32 vcc, 37, v0
	s_waitcnt vmcnt(0)
	s_barrier
	s_and_saveexec_b64 s[4:5], vcc
	s_cbranch_execz .LBB119_341
; %bb.335:
	buffer_load_dword v65, off, s[20:23], 0 offset:160 ; 4-byte Folded Reload
	buffer_load_dword v66, off, s[20:23], 0 offset:164 ; 4-byte Folded Reload
	;; [unrolled: 1-line block ×4, first 2 shown]
	s_waitcnt vmcnt(0)
	ds_write2_b64 v127, v[65:66], v[67:68] offset1:1
	buffer_load_dword v65, off, s[20:23], 0 offset:144 ; 4-byte Folded Reload
	buffer_load_dword v66, off, s[20:23], 0 offset:148 ; 4-byte Folded Reload
	buffer_load_dword v67, off, s[20:23], 0 offset:152 ; 4-byte Folded Reload
	buffer_load_dword v68, off, s[20:23], 0 offset:156 ; 4-byte Folded Reload
	s_waitcnt vmcnt(0)
	ds_write2_b64 v125, v[65:66], v[67:68] offset0:76 offset1:77
	buffer_load_dword v65, off, s[20:23], 0 offset:128 ; 4-byte Folded Reload
	buffer_load_dword v66, off, s[20:23], 0 offset:132 ; 4-byte Folded Reload
	buffer_load_dword v67, off, s[20:23], 0 offset:136 ; 4-byte Folded Reload
	buffer_load_dword v68, off, s[20:23], 0 offset:140 ; 4-byte Folded Reload
	s_waitcnt vmcnt(0)
	ds_write2_b64 v125, v[65:66], v[67:68] offset0:78 offset1:79
	;; [unrolled: 6-line block ×9, first 2 shown]
	buffer_load_dword v45, off, s[20:23], 0 ; 4-byte Folded Reload
	buffer_load_dword v46, off, s[20:23], 0 offset:4 ; 4-byte Folded Reload
	buffer_load_dword v47, off, s[20:23], 0 offset:8 ; 4-byte Folded Reload
	;; [unrolled: 1-line block ×3, first 2 shown]
	s_waitcnt vmcnt(0)
	ds_write2_b64 v125, v[45:46], v[47:48] offset0:94 offset1:95
	ds_write2_b64 v125, v[113:114], v[115:116] offset0:96 offset1:97
	;; [unrolled: 1-line block ×13, first 2 shown]
	ds_read2_b64 v[97:100], v127 offset1:1
	s_waitcnt lgkmcnt(0)
	v_cmp_neq_f64_e32 vcc, 0, v[97:98]
	v_cmp_neq_f64_e64 s[2:3], 0, v[99:100]
	s_or_b64 s[2:3], vcc, s[2:3]
	s_and_b64 exec, exec, s[2:3]
	s_cbranch_execz .LBB119_341
; %bb.336:
	v_cmp_ngt_f64_e64 s[2:3], |v[97:98]|, |v[99:100]|
                                        ; implicit-def: $vgpr101_vgpr102
	s_and_saveexec_b64 s[6:7], s[2:3]
	s_xor_b64 s[2:3], exec, s[6:7]
                                        ; implicit-def: $vgpr103_vgpr104
	s_cbranch_execz .LBB119_338
; %bb.337:
	v_div_scale_f64 v[101:102], s[6:7], v[99:100], v[99:100], v[97:98]
	v_rcp_f64_e32 v[103:104], v[101:102]
	v_fma_f64 v[105:106], -v[101:102], v[103:104], 1.0
	v_fma_f64 v[103:104], v[103:104], v[105:106], v[103:104]
	v_div_scale_f64 v[105:106], vcc, v[97:98], v[99:100], v[97:98]
	v_fma_f64 v[107:108], -v[101:102], v[103:104], 1.0
	v_fma_f64 v[103:104], v[103:104], v[107:108], v[103:104]
	v_mul_f64 v[107:108], v[105:106], v[103:104]
	v_fma_f64 v[101:102], -v[101:102], v[107:108], v[105:106]
	v_div_fmas_f64 v[101:102], v[101:102], v[103:104], v[107:108]
	v_div_fixup_f64 v[101:102], v[101:102], v[99:100], v[97:98]
	v_fma_f64 v[97:98], v[97:98], v[101:102], v[99:100]
	v_div_scale_f64 v[99:100], s[6:7], v[97:98], v[97:98], 1.0
	v_div_scale_f64 v[107:108], vcc, 1.0, v[97:98], 1.0
	v_rcp_f64_e32 v[103:104], v[99:100]
	v_fma_f64 v[105:106], -v[99:100], v[103:104], 1.0
	v_fma_f64 v[103:104], v[103:104], v[105:106], v[103:104]
	v_fma_f64 v[105:106], -v[99:100], v[103:104], 1.0
	v_fma_f64 v[103:104], v[103:104], v[105:106], v[103:104]
	v_mul_f64 v[105:106], v[107:108], v[103:104]
	v_fma_f64 v[99:100], -v[99:100], v[105:106], v[107:108]
	v_div_fmas_f64 v[99:100], v[99:100], v[103:104], v[105:106]
	v_div_fixup_f64 v[103:104], v[99:100], v[97:98], 1.0
                                        ; implicit-def: $vgpr97_vgpr98
	v_mul_f64 v[101:102], v[101:102], v[103:104]
	v_xor_b32_e32 v104, 0x80000000, v104
.LBB119_338:
	s_andn2_saveexec_b64 s[2:3], s[2:3]
	s_cbranch_execz .LBB119_340
; %bb.339:
	v_div_scale_f64 v[101:102], s[6:7], v[97:98], v[97:98], v[99:100]
	v_rcp_f64_e32 v[103:104], v[101:102]
	v_fma_f64 v[105:106], -v[101:102], v[103:104], 1.0
	v_fma_f64 v[103:104], v[103:104], v[105:106], v[103:104]
	v_div_scale_f64 v[105:106], vcc, v[99:100], v[97:98], v[99:100]
	v_fma_f64 v[107:108], -v[101:102], v[103:104], 1.0
	v_fma_f64 v[103:104], v[103:104], v[107:108], v[103:104]
	v_mul_f64 v[107:108], v[105:106], v[103:104]
	v_fma_f64 v[101:102], -v[101:102], v[107:108], v[105:106]
	v_div_fmas_f64 v[101:102], v[101:102], v[103:104], v[107:108]
	v_div_fixup_f64 v[103:104], v[101:102], v[97:98], v[99:100]
	v_fma_f64 v[97:98], v[99:100], v[103:104], v[97:98]
	v_div_scale_f64 v[99:100], s[6:7], v[97:98], v[97:98], 1.0
	v_div_scale_f64 v[107:108], vcc, 1.0, v[97:98], 1.0
	v_rcp_f64_e32 v[101:102], v[99:100]
	v_fma_f64 v[105:106], -v[99:100], v[101:102], 1.0
	v_fma_f64 v[101:102], v[101:102], v[105:106], v[101:102]
	v_fma_f64 v[105:106], -v[99:100], v[101:102], 1.0
	v_fma_f64 v[101:102], v[101:102], v[105:106], v[101:102]
	v_mul_f64 v[105:106], v[107:108], v[101:102]
	v_fma_f64 v[99:100], -v[99:100], v[105:106], v[107:108]
	v_div_fmas_f64 v[99:100], v[99:100], v[101:102], v[105:106]
	v_div_fixup_f64 v[101:102], v[99:100], v[97:98], 1.0
	v_mul_f64 v[103:104], v[103:104], -v[101:102]
.LBB119_340:
	s_or_b64 exec, exec, s[2:3]
	ds_write2_b64 v127, v[101:102], v[103:104] offset1:1
.LBB119_341:
	s_or_b64 exec, exec, s[4:5]
	s_waitcnt lgkmcnt(0)
	s_barrier
	ds_read2_b64 v[65:68], v127 offset1:1
	v_cmp_lt_u32_e32 vcc, 37, v0
	s_waitcnt lgkmcnt(0)
	buffer_store_dword v65, off, s[20:23], 0 offset:1816 ; 4-byte Folded Spill
	s_nop 0
	buffer_store_dword v66, off, s[20:23], 0 offset:1820 ; 4-byte Folded Spill
	buffer_store_dword v67, off, s[20:23], 0 offset:1824 ; 4-byte Folded Spill
	;; [unrolled: 1-line block ×3, first 2 shown]
	s_and_saveexec_b64 s[2:3], vcc
	s_cbranch_execz .LBB119_343
; %bb.342:
	buffer_load_dword v65, off, s[20:23], 0 offset:1816 ; 4-byte Folded Reload
	buffer_load_dword v66, off, s[20:23], 0 offset:1820 ; 4-byte Folded Reload
	;; [unrolled: 1-line block ×8, first 2 shown]
	ds_read2_b64 v[99:102], v125 offset0:76 offset1:77
	s_waitcnt vmcnt(0)
	v_mul_f64 v[97:98], v[67:68], v[87:88]
	v_mul_f64 v[87:88], v[65:66], v[87:88]
	v_fma_f64 v[97:98], v[65:66], v[85:86], -v[97:98]
	v_fma_f64 v[87:88], v[67:68], v[85:86], v[87:88]
	buffer_load_dword v65, off, s[20:23], 0 offset:144 ; 4-byte Folded Reload
	buffer_load_dword v66, off, s[20:23], 0 offset:148 ; 4-byte Folded Reload
	buffer_load_dword v67, off, s[20:23], 0 offset:152 ; 4-byte Folded Reload
	buffer_load_dword v68, off, s[20:23], 0 offset:156 ; 4-byte Folded Reload
	s_waitcnt lgkmcnt(0)
	v_mul_f64 v[85:86], v[101:102], v[87:88]
	v_fma_f64 v[85:86], v[99:100], v[97:98], -v[85:86]
	v_mul_f64 v[99:100], v[99:100], v[87:88]
	v_fma_f64 v[99:100], v[101:102], v[97:98], v[99:100]
	s_waitcnt vmcnt(2)
	v_add_f64 v[65:66], v[65:66], -v[85:86]
	s_waitcnt vmcnt(0)
	v_add_f64 v[67:68], v[67:68], -v[99:100]
	buffer_store_dword v65, off, s[20:23], 0 offset:144 ; 4-byte Folded Spill
	s_nop 0
	buffer_store_dword v66, off, s[20:23], 0 offset:148 ; 4-byte Folded Spill
	buffer_store_dword v67, off, s[20:23], 0 offset:152 ; 4-byte Folded Spill
	buffer_store_dword v68, off, s[20:23], 0 offset:156 ; 4-byte Folded Spill
	ds_read2_b64 v[99:102], v125 offset0:78 offset1:79
	buffer_load_dword v65, off, s[20:23], 0 offset:128 ; 4-byte Folded Reload
	buffer_load_dword v66, off, s[20:23], 0 offset:132 ; 4-byte Folded Reload
	buffer_load_dword v67, off, s[20:23], 0 offset:136 ; 4-byte Folded Reload
	buffer_load_dword v68, off, s[20:23], 0 offset:140 ; 4-byte Folded Reload
	s_waitcnt lgkmcnt(0)
	v_mul_f64 v[85:86], v[101:102], v[87:88]
	v_fma_f64 v[85:86], v[99:100], v[97:98], -v[85:86]
	v_mul_f64 v[99:100], v[99:100], v[87:88]
	v_fma_f64 v[99:100], v[101:102], v[97:98], v[99:100]
	s_waitcnt vmcnt(2)
	v_add_f64 v[65:66], v[65:66], -v[85:86]
	s_waitcnt vmcnt(0)
	v_add_f64 v[67:68], v[67:68], -v[99:100]
	buffer_store_dword v65, off, s[20:23], 0 offset:128 ; 4-byte Folded Spill
	s_nop 0
	buffer_store_dword v66, off, s[20:23], 0 offset:132 ; 4-byte Folded Spill
	buffer_store_dword v67, off, s[20:23], 0 offset:136 ; 4-byte Folded Spill
	buffer_store_dword v68, off, s[20:23], 0 offset:140 ; 4-byte Folded Spill
	ds_read2_b64 v[99:102], v125 offset0:80 offset1:81
	;; [unrolled: 19-line block ×9, first 2 shown]
	buffer_load_dword v45, off, s[20:23], 0 ; 4-byte Folded Reload
	buffer_load_dword v46, off, s[20:23], 0 offset:4 ; 4-byte Folded Reload
	buffer_load_dword v47, off, s[20:23], 0 offset:8 ; 4-byte Folded Reload
	;; [unrolled: 1-line block ×3, first 2 shown]
	s_waitcnt lgkmcnt(0)
	v_mul_f64 v[85:86], v[101:102], v[87:88]
	v_fma_f64 v[85:86], v[99:100], v[97:98], -v[85:86]
	v_mul_f64 v[99:100], v[99:100], v[87:88]
	v_fma_f64 v[99:100], v[101:102], v[97:98], v[99:100]
	s_waitcnt vmcnt(2)
	v_add_f64 v[45:46], v[45:46], -v[85:86]
	s_waitcnt vmcnt(0)
	v_add_f64 v[47:48], v[47:48], -v[99:100]
	buffer_store_dword v45, off, s[20:23], 0 ; 4-byte Folded Spill
	s_nop 0
	buffer_store_dword v46, off, s[20:23], 0 offset:4 ; 4-byte Folded Spill
	buffer_store_dword v47, off, s[20:23], 0 offset:8 ; 4-byte Folded Spill
	;; [unrolled: 1-line block ×3, first 2 shown]
	ds_read2_b64 v[99:102], v125 offset0:96 offset1:97
	s_waitcnt lgkmcnt(0)
	v_mul_f64 v[85:86], v[101:102], v[87:88]
	v_fma_f64 v[85:86], v[99:100], v[97:98], -v[85:86]
	v_mul_f64 v[99:100], v[99:100], v[87:88]
	v_add_f64 v[113:114], v[113:114], -v[85:86]
	v_fma_f64 v[99:100], v[101:102], v[97:98], v[99:100]
	v_add_f64 v[115:116], v[115:116], -v[99:100]
	ds_read2_b64 v[99:102], v125 offset0:98 offset1:99
	s_waitcnt lgkmcnt(0)
	v_mul_f64 v[85:86], v[101:102], v[87:88]
	v_fma_f64 v[85:86], v[99:100], v[97:98], -v[85:86]
	v_mul_f64 v[99:100], v[99:100], v[87:88]
	v_add_f64 v[37:38], v[37:38], -v[85:86]
	v_fma_f64 v[99:100], v[101:102], v[97:98], v[99:100]
	v_add_f64 v[39:40], v[39:40], -v[99:100]
	;; [unrolled: 8-line block ×11, first 2 shown]
	ds_read2_b64 v[99:102], v125 offset0:118 offset1:119
	s_waitcnt lgkmcnt(0)
	v_mul_f64 v[85:86], v[101:102], v[87:88]
	v_fma_f64 v[85:86], v[99:100], v[97:98], -v[85:86]
	v_mul_f64 v[99:100], v[99:100], v[87:88]
	v_add_f64 v[121:122], v[121:122], -v[85:86]
	v_fma_f64 v[99:100], v[101:102], v[97:98], v[99:100]
	v_mov_b32_e32 v85, v97
	v_mov_b32_e32 v86, v98
	buffer_store_dword v85, off, s[20:23], 0 offset:160 ; 4-byte Folded Spill
	s_nop 0
	buffer_store_dword v86, off, s[20:23], 0 offset:164 ; 4-byte Folded Spill
	buffer_store_dword v87, off, s[20:23], 0 offset:168 ; 4-byte Folded Spill
	;; [unrolled: 1-line block ×3, first 2 shown]
	v_add_f64 v[123:124], v[123:124], -v[99:100]
.LBB119_343:
	s_or_b64 exec, exec, s[2:3]
	v_cmp_eq_u32_e32 vcc, 38, v0
	s_waitcnt vmcnt(0)
	s_barrier
	s_and_saveexec_b64 s[4:5], vcc
	s_cbranch_execz .LBB119_350
; %bb.344:
	buffer_load_dword v65, off, s[20:23], 0 offset:144 ; 4-byte Folded Reload
	buffer_load_dword v66, off, s[20:23], 0 offset:148 ; 4-byte Folded Reload
	;; [unrolled: 1-line block ×4, first 2 shown]
	s_waitcnt vmcnt(0)
	ds_write2_b64 v127, v[65:66], v[67:68] offset1:1
	buffer_load_dword v65, off, s[20:23], 0 offset:128 ; 4-byte Folded Reload
	buffer_load_dword v66, off, s[20:23], 0 offset:132 ; 4-byte Folded Reload
	buffer_load_dword v67, off, s[20:23], 0 offset:136 ; 4-byte Folded Reload
	buffer_load_dword v68, off, s[20:23], 0 offset:140 ; 4-byte Folded Reload
	s_waitcnt vmcnt(0)
	ds_write2_b64 v125, v[65:66], v[67:68] offset0:78 offset1:79
	buffer_load_dword v65, off, s[20:23], 0 offset:112 ; 4-byte Folded Reload
	buffer_load_dword v66, off, s[20:23], 0 offset:116 ; 4-byte Folded Reload
	buffer_load_dword v67, off, s[20:23], 0 offset:120 ; 4-byte Folded Reload
	buffer_load_dword v68, off, s[20:23], 0 offset:124 ; 4-byte Folded Reload
	s_waitcnt vmcnt(0)
	ds_write2_b64 v125, v[65:66], v[67:68] offset0:80 offset1:81
	;; [unrolled: 6-line block ×8, first 2 shown]
	buffer_load_dword v45, off, s[20:23], 0 ; 4-byte Folded Reload
	buffer_load_dword v46, off, s[20:23], 0 offset:4 ; 4-byte Folded Reload
	buffer_load_dword v47, off, s[20:23], 0 offset:8 ; 4-byte Folded Reload
	;; [unrolled: 1-line block ×3, first 2 shown]
	s_waitcnt vmcnt(0)
	ds_write2_b64 v125, v[45:46], v[47:48] offset0:94 offset1:95
	ds_write2_b64 v125, v[113:114], v[115:116] offset0:96 offset1:97
	;; [unrolled: 1-line block ×13, first 2 shown]
	ds_read2_b64 v[97:100], v127 offset1:1
	s_waitcnt lgkmcnt(0)
	v_cmp_neq_f64_e32 vcc, 0, v[97:98]
	v_cmp_neq_f64_e64 s[2:3], 0, v[99:100]
	s_or_b64 s[2:3], vcc, s[2:3]
	s_and_b64 exec, exec, s[2:3]
	s_cbranch_execz .LBB119_350
; %bb.345:
	v_cmp_ngt_f64_e64 s[2:3], |v[97:98]|, |v[99:100]|
                                        ; implicit-def: $vgpr101_vgpr102
	s_and_saveexec_b64 s[6:7], s[2:3]
	s_xor_b64 s[2:3], exec, s[6:7]
                                        ; implicit-def: $vgpr103_vgpr104
	s_cbranch_execz .LBB119_347
; %bb.346:
	v_div_scale_f64 v[101:102], s[6:7], v[99:100], v[99:100], v[97:98]
	v_rcp_f64_e32 v[103:104], v[101:102]
	v_fma_f64 v[105:106], -v[101:102], v[103:104], 1.0
	v_fma_f64 v[103:104], v[103:104], v[105:106], v[103:104]
	v_div_scale_f64 v[105:106], vcc, v[97:98], v[99:100], v[97:98]
	v_fma_f64 v[107:108], -v[101:102], v[103:104], 1.0
	v_fma_f64 v[103:104], v[103:104], v[107:108], v[103:104]
	v_mul_f64 v[107:108], v[105:106], v[103:104]
	v_fma_f64 v[101:102], -v[101:102], v[107:108], v[105:106]
	v_div_fmas_f64 v[101:102], v[101:102], v[103:104], v[107:108]
	v_div_fixup_f64 v[101:102], v[101:102], v[99:100], v[97:98]
	v_fma_f64 v[97:98], v[97:98], v[101:102], v[99:100]
	v_div_scale_f64 v[99:100], s[6:7], v[97:98], v[97:98], 1.0
	v_div_scale_f64 v[107:108], vcc, 1.0, v[97:98], 1.0
	v_rcp_f64_e32 v[103:104], v[99:100]
	v_fma_f64 v[105:106], -v[99:100], v[103:104], 1.0
	v_fma_f64 v[103:104], v[103:104], v[105:106], v[103:104]
	v_fma_f64 v[105:106], -v[99:100], v[103:104], 1.0
	v_fma_f64 v[103:104], v[103:104], v[105:106], v[103:104]
	v_mul_f64 v[105:106], v[107:108], v[103:104]
	v_fma_f64 v[99:100], -v[99:100], v[105:106], v[107:108]
	v_div_fmas_f64 v[99:100], v[99:100], v[103:104], v[105:106]
	v_div_fixup_f64 v[103:104], v[99:100], v[97:98], 1.0
                                        ; implicit-def: $vgpr97_vgpr98
	v_mul_f64 v[101:102], v[101:102], v[103:104]
	v_xor_b32_e32 v104, 0x80000000, v104
.LBB119_347:
	s_andn2_saveexec_b64 s[2:3], s[2:3]
	s_cbranch_execz .LBB119_349
; %bb.348:
	v_div_scale_f64 v[101:102], s[6:7], v[97:98], v[97:98], v[99:100]
	v_rcp_f64_e32 v[103:104], v[101:102]
	v_fma_f64 v[105:106], -v[101:102], v[103:104], 1.0
	v_fma_f64 v[103:104], v[103:104], v[105:106], v[103:104]
	v_div_scale_f64 v[105:106], vcc, v[99:100], v[97:98], v[99:100]
	v_fma_f64 v[107:108], -v[101:102], v[103:104], 1.0
	v_fma_f64 v[103:104], v[103:104], v[107:108], v[103:104]
	v_mul_f64 v[107:108], v[105:106], v[103:104]
	v_fma_f64 v[101:102], -v[101:102], v[107:108], v[105:106]
	v_div_fmas_f64 v[101:102], v[101:102], v[103:104], v[107:108]
	v_div_fixup_f64 v[103:104], v[101:102], v[97:98], v[99:100]
	v_fma_f64 v[97:98], v[99:100], v[103:104], v[97:98]
	v_div_scale_f64 v[99:100], s[6:7], v[97:98], v[97:98], 1.0
	v_div_scale_f64 v[107:108], vcc, 1.0, v[97:98], 1.0
	v_rcp_f64_e32 v[101:102], v[99:100]
	v_fma_f64 v[105:106], -v[99:100], v[101:102], 1.0
	v_fma_f64 v[101:102], v[101:102], v[105:106], v[101:102]
	v_fma_f64 v[105:106], -v[99:100], v[101:102], 1.0
	v_fma_f64 v[101:102], v[101:102], v[105:106], v[101:102]
	v_mul_f64 v[105:106], v[107:108], v[101:102]
	v_fma_f64 v[99:100], -v[99:100], v[105:106], v[107:108]
	v_div_fmas_f64 v[99:100], v[99:100], v[101:102], v[105:106]
	v_div_fixup_f64 v[101:102], v[99:100], v[97:98], 1.0
	v_mul_f64 v[103:104], v[103:104], -v[101:102]
.LBB119_349:
	s_or_b64 exec, exec, s[2:3]
	ds_write2_b64 v127, v[101:102], v[103:104] offset1:1
.LBB119_350:
	s_or_b64 exec, exec, s[4:5]
	s_waitcnt lgkmcnt(0)
	s_barrier
	ds_read2_b64 v[65:68], v127 offset1:1
	v_cmp_lt_u32_e32 vcc, 38, v0
	s_waitcnt lgkmcnt(0)
	buffer_store_dword v65, off, s[20:23], 0 offset:1832 ; 4-byte Folded Spill
	s_nop 0
	buffer_store_dword v66, off, s[20:23], 0 offset:1836 ; 4-byte Folded Spill
	buffer_store_dword v67, off, s[20:23], 0 offset:1840 ; 4-byte Folded Spill
	;; [unrolled: 1-line block ×3, first 2 shown]
	s_and_saveexec_b64 s[2:3], vcc
	s_cbranch_execz .LBB119_352
; %bb.351:
	buffer_load_dword v65, off, s[20:23], 0 offset:1832 ; 4-byte Folded Reload
	buffer_load_dword v66, off, s[20:23], 0 offset:1836 ; 4-byte Folded Reload
	;; [unrolled: 1-line block ×8, first 2 shown]
	ds_read2_b64 v[99:102], v125 offset0:78 offset1:79
	s_waitcnt vmcnt(0)
	v_mul_f64 v[97:98], v[67:68], v[83:84]
	v_mul_f64 v[83:84], v[65:66], v[83:84]
	v_fma_f64 v[97:98], v[65:66], v[81:82], -v[97:98]
	v_fma_f64 v[83:84], v[67:68], v[81:82], v[83:84]
	buffer_load_dword v65, off, s[20:23], 0 offset:128 ; 4-byte Folded Reload
	buffer_load_dword v66, off, s[20:23], 0 offset:132 ; 4-byte Folded Reload
	buffer_load_dword v67, off, s[20:23], 0 offset:136 ; 4-byte Folded Reload
	buffer_load_dword v68, off, s[20:23], 0 offset:140 ; 4-byte Folded Reload
	s_waitcnt lgkmcnt(0)
	v_mul_f64 v[81:82], v[101:102], v[83:84]
	v_fma_f64 v[81:82], v[99:100], v[97:98], -v[81:82]
	v_mul_f64 v[99:100], v[99:100], v[83:84]
	v_fma_f64 v[99:100], v[101:102], v[97:98], v[99:100]
	s_waitcnt vmcnt(2)
	v_add_f64 v[65:66], v[65:66], -v[81:82]
	s_waitcnt vmcnt(0)
	v_add_f64 v[67:68], v[67:68], -v[99:100]
	buffer_store_dword v65, off, s[20:23], 0 offset:128 ; 4-byte Folded Spill
	s_nop 0
	buffer_store_dword v66, off, s[20:23], 0 offset:132 ; 4-byte Folded Spill
	buffer_store_dword v67, off, s[20:23], 0 offset:136 ; 4-byte Folded Spill
	buffer_store_dword v68, off, s[20:23], 0 offset:140 ; 4-byte Folded Spill
	ds_read2_b64 v[99:102], v125 offset0:80 offset1:81
	buffer_load_dword v65, off, s[20:23], 0 offset:112 ; 4-byte Folded Reload
	buffer_load_dword v66, off, s[20:23], 0 offset:116 ; 4-byte Folded Reload
	buffer_load_dword v67, off, s[20:23], 0 offset:120 ; 4-byte Folded Reload
	buffer_load_dword v68, off, s[20:23], 0 offset:124 ; 4-byte Folded Reload
	s_waitcnt lgkmcnt(0)
	v_mul_f64 v[81:82], v[101:102], v[83:84]
	v_fma_f64 v[81:82], v[99:100], v[97:98], -v[81:82]
	v_mul_f64 v[99:100], v[99:100], v[83:84]
	v_fma_f64 v[99:100], v[101:102], v[97:98], v[99:100]
	s_waitcnt vmcnt(2)
	v_add_f64 v[65:66], v[65:66], -v[81:82]
	s_waitcnt vmcnt(0)
	v_add_f64 v[67:68], v[67:68], -v[99:100]
	buffer_store_dword v65, off, s[20:23], 0 offset:112 ; 4-byte Folded Spill
	s_nop 0
	buffer_store_dword v66, off, s[20:23], 0 offset:116 ; 4-byte Folded Spill
	buffer_store_dword v67, off, s[20:23], 0 offset:120 ; 4-byte Folded Spill
	buffer_store_dword v68, off, s[20:23], 0 offset:124 ; 4-byte Folded Spill
	ds_read2_b64 v[99:102], v125 offset0:82 offset1:83
	;; [unrolled: 19-line block ×8, first 2 shown]
	buffer_load_dword v45, off, s[20:23], 0 ; 4-byte Folded Reload
	buffer_load_dword v46, off, s[20:23], 0 offset:4 ; 4-byte Folded Reload
	buffer_load_dword v47, off, s[20:23], 0 offset:8 ; 4-byte Folded Reload
	buffer_load_dword v48, off, s[20:23], 0 offset:12 ; 4-byte Folded Reload
	s_waitcnt lgkmcnt(0)
	v_mul_f64 v[81:82], v[101:102], v[83:84]
	v_fma_f64 v[81:82], v[99:100], v[97:98], -v[81:82]
	v_mul_f64 v[99:100], v[99:100], v[83:84]
	v_fma_f64 v[99:100], v[101:102], v[97:98], v[99:100]
	s_waitcnt vmcnt(2)
	v_add_f64 v[45:46], v[45:46], -v[81:82]
	s_waitcnt vmcnt(0)
	v_add_f64 v[47:48], v[47:48], -v[99:100]
	buffer_store_dword v45, off, s[20:23], 0 ; 4-byte Folded Spill
	s_nop 0
	buffer_store_dword v46, off, s[20:23], 0 offset:4 ; 4-byte Folded Spill
	buffer_store_dword v47, off, s[20:23], 0 offset:8 ; 4-byte Folded Spill
	;; [unrolled: 1-line block ×3, first 2 shown]
	ds_read2_b64 v[99:102], v125 offset0:96 offset1:97
	s_waitcnt lgkmcnt(0)
	v_mul_f64 v[81:82], v[101:102], v[83:84]
	v_fma_f64 v[81:82], v[99:100], v[97:98], -v[81:82]
	v_mul_f64 v[99:100], v[99:100], v[83:84]
	v_add_f64 v[113:114], v[113:114], -v[81:82]
	v_fma_f64 v[99:100], v[101:102], v[97:98], v[99:100]
	v_add_f64 v[115:116], v[115:116], -v[99:100]
	ds_read2_b64 v[99:102], v125 offset0:98 offset1:99
	s_waitcnt lgkmcnt(0)
	v_mul_f64 v[81:82], v[101:102], v[83:84]
	v_fma_f64 v[81:82], v[99:100], v[97:98], -v[81:82]
	v_mul_f64 v[99:100], v[99:100], v[83:84]
	v_add_f64 v[37:38], v[37:38], -v[81:82]
	v_fma_f64 v[99:100], v[101:102], v[97:98], v[99:100]
	v_add_f64 v[39:40], v[39:40], -v[99:100]
	;; [unrolled: 8-line block ×11, first 2 shown]
	ds_read2_b64 v[99:102], v125 offset0:118 offset1:119
	s_waitcnt lgkmcnt(0)
	v_mul_f64 v[81:82], v[101:102], v[83:84]
	v_fma_f64 v[81:82], v[99:100], v[97:98], -v[81:82]
	v_mul_f64 v[99:100], v[99:100], v[83:84]
	v_add_f64 v[121:122], v[121:122], -v[81:82]
	v_fma_f64 v[99:100], v[101:102], v[97:98], v[99:100]
	v_mov_b32_e32 v81, v97
	v_mov_b32_e32 v82, v98
	buffer_store_dword v81, off, s[20:23], 0 offset:144 ; 4-byte Folded Spill
	s_nop 0
	buffer_store_dword v82, off, s[20:23], 0 offset:148 ; 4-byte Folded Spill
	buffer_store_dword v83, off, s[20:23], 0 offset:152 ; 4-byte Folded Spill
	;; [unrolled: 1-line block ×3, first 2 shown]
	v_add_f64 v[123:124], v[123:124], -v[99:100]
.LBB119_352:
	s_or_b64 exec, exec, s[2:3]
	v_cmp_eq_u32_e32 vcc, 39, v0
	s_waitcnt vmcnt(0)
	s_barrier
	s_and_saveexec_b64 s[4:5], vcc
	s_cbranch_execz .LBB119_359
; %bb.353:
	buffer_load_dword v65, off, s[20:23], 0 offset:128 ; 4-byte Folded Reload
	buffer_load_dword v66, off, s[20:23], 0 offset:132 ; 4-byte Folded Reload
	buffer_load_dword v67, off, s[20:23], 0 offset:136 ; 4-byte Folded Reload
	buffer_load_dword v68, off, s[20:23], 0 offset:140 ; 4-byte Folded Reload
	s_waitcnt vmcnt(0)
	ds_write2_b64 v127, v[65:66], v[67:68] offset1:1
	buffer_load_dword v65, off, s[20:23], 0 offset:112 ; 4-byte Folded Reload
	buffer_load_dword v66, off, s[20:23], 0 offset:116 ; 4-byte Folded Reload
	buffer_load_dword v67, off, s[20:23], 0 offset:120 ; 4-byte Folded Reload
	buffer_load_dword v68, off, s[20:23], 0 offset:124 ; 4-byte Folded Reload
	s_waitcnt vmcnt(0)
	ds_write2_b64 v125, v[65:66], v[67:68] offset0:80 offset1:81
	buffer_load_dword v65, off, s[20:23], 0 offset:96 ; 4-byte Folded Reload
	buffer_load_dword v66, off, s[20:23], 0 offset:100 ; 4-byte Folded Reload
	buffer_load_dword v67, off, s[20:23], 0 offset:104 ; 4-byte Folded Reload
	buffer_load_dword v68, off, s[20:23], 0 offset:108 ; 4-byte Folded Reload
	s_waitcnt vmcnt(0)
	ds_write2_b64 v125, v[65:66], v[67:68] offset0:82 offset1:83
	;; [unrolled: 6-line block ×7, first 2 shown]
	buffer_load_dword v45, off, s[20:23], 0 ; 4-byte Folded Reload
	buffer_load_dword v46, off, s[20:23], 0 offset:4 ; 4-byte Folded Reload
	buffer_load_dword v47, off, s[20:23], 0 offset:8 ; 4-byte Folded Reload
	;; [unrolled: 1-line block ×3, first 2 shown]
	s_waitcnt vmcnt(0)
	ds_write2_b64 v125, v[45:46], v[47:48] offset0:94 offset1:95
	ds_write2_b64 v125, v[113:114], v[115:116] offset0:96 offset1:97
	;; [unrolled: 1-line block ×13, first 2 shown]
	ds_read2_b64 v[97:100], v127 offset1:1
	s_waitcnt lgkmcnt(0)
	v_cmp_neq_f64_e32 vcc, 0, v[97:98]
	v_cmp_neq_f64_e64 s[2:3], 0, v[99:100]
	s_or_b64 s[2:3], vcc, s[2:3]
	s_and_b64 exec, exec, s[2:3]
	s_cbranch_execz .LBB119_359
; %bb.354:
	v_cmp_ngt_f64_e64 s[2:3], |v[97:98]|, |v[99:100]|
                                        ; implicit-def: $vgpr101_vgpr102
	s_and_saveexec_b64 s[6:7], s[2:3]
	s_xor_b64 s[2:3], exec, s[6:7]
                                        ; implicit-def: $vgpr103_vgpr104
	s_cbranch_execz .LBB119_356
; %bb.355:
	v_div_scale_f64 v[101:102], s[6:7], v[99:100], v[99:100], v[97:98]
	v_rcp_f64_e32 v[103:104], v[101:102]
	v_fma_f64 v[105:106], -v[101:102], v[103:104], 1.0
	v_fma_f64 v[103:104], v[103:104], v[105:106], v[103:104]
	v_div_scale_f64 v[105:106], vcc, v[97:98], v[99:100], v[97:98]
	v_fma_f64 v[107:108], -v[101:102], v[103:104], 1.0
	v_fma_f64 v[103:104], v[103:104], v[107:108], v[103:104]
	v_mul_f64 v[107:108], v[105:106], v[103:104]
	v_fma_f64 v[101:102], -v[101:102], v[107:108], v[105:106]
	v_div_fmas_f64 v[101:102], v[101:102], v[103:104], v[107:108]
	v_div_fixup_f64 v[101:102], v[101:102], v[99:100], v[97:98]
	v_fma_f64 v[97:98], v[97:98], v[101:102], v[99:100]
	v_div_scale_f64 v[99:100], s[6:7], v[97:98], v[97:98], 1.0
	v_div_scale_f64 v[107:108], vcc, 1.0, v[97:98], 1.0
	v_rcp_f64_e32 v[103:104], v[99:100]
	v_fma_f64 v[105:106], -v[99:100], v[103:104], 1.0
	v_fma_f64 v[103:104], v[103:104], v[105:106], v[103:104]
	v_fma_f64 v[105:106], -v[99:100], v[103:104], 1.0
	v_fma_f64 v[103:104], v[103:104], v[105:106], v[103:104]
	v_mul_f64 v[105:106], v[107:108], v[103:104]
	v_fma_f64 v[99:100], -v[99:100], v[105:106], v[107:108]
	v_div_fmas_f64 v[99:100], v[99:100], v[103:104], v[105:106]
	v_div_fixup_f64 v[103:104], v[99:100], v[97:98], 1.0
                                        ; implicit-def: $vgpr97_vgpr98
	v_mul_f64 v[101:102], v[101:102], v[103:104]
	v_xor_b32_e32 v104, 0x80000000, v104
.LBB119_356:
	s_andn2_saveexec_b64 s[2:3], s[2:3]
	s_cbranch_execz .LBB119_358
; %bb.357:
	v_div_scale_f64 v[101:102], s[6:7], v[97:98], v[97:98], v[99:100]
	v_rcp_f64_e32 v[103:104], v[101:102]
	v_fma_f64 v[105:106], -v[101:102], v[103:104], 1.0
	v_fma_f64 v[103:104], v[103:104], v[105:106], v[103:104]
	v_div_scale_f64 v[105:106], vcc, v[99:100], v[97:98], v[99:100]
	v_fma_f64 v[107:108], -v[101:102], v[103:104], 1.0
	v_fma_f64 v[103:104], v[103:104], v[107:108], v[103:104]
	v_mul_f64 v[107:108], v[105:106], v[103:104]
	v_fma_f64 v[101:102], -v[101:102], v[107:108], v[105:106]
	v_div_fmas_f64 v[101:102], v[101:102], v[103:104], v[107:108]
	v_div_fixup_f64 v[103:104], v[101:102], v[97:98], v[99:100]
	v_fma_f64 v[97:98], v[99:100], v[103:104], v[97:98]
	v_div_scale_f64 v[99:100], s[6:7], v[97:98], v[97:98], 1.0
	v_div_scale_f64 v[107:108], vcc, 1.0, v[97:98], 1.0
	v_rcp_f64_e32 v[101:102], v[99:100]
	v_fma_f64 v[105:106], -v[99:100], v[101:102], 1.0
	v_fma_f64 v[101:102], v[101:102], v[105:106], v[101:102]
	v_fma_f64 v[105:106], -v[99:100], v[101:102], 1.0
	v_fma_f64 v[101:102], v[101:102], v[105:106], v[101:102]
	v_mul_f64 v[105:106], v[107:108], v[101:102]
	v_fma_f64 v[99:100], -v[99:100], v[105:106], v[107:108]
	v_div_fmas_f64 v[99:100], v[99:100], v[101:102], v[105:106]
	v_div_fixup_f64 v[101:102], v[99:100], v[97:98], 1.0
	v_mul_f64 v[103:104], v[103:104], -v[101:102]
.LBB119_358:
	s_or_b64 exec, exec, s[2:3]
	ds_write2_b64 v127, v[101:102], v[103:104] offset1:1
.LBB119_359:
	s_or_b64 exec, exec, s[4:5]
	s_waitcnt lgkmcnt(0)
	s_barrier
	ds_read2_b64 v[65:68], v127 offset1:1
	v_cmp_lt_u32_e32 vcc, 39, v0
	s_waitcnt lgkmcnt(0)
	buffer_store_dword v65, off, s[20:23], 0 offset:1848 ; 4-byte Folded Spill
	s_nop 0
	buffer_store_dword v66, off, s[20:23], 0 offset:1852 ; 4-byte Folded Spill
	buffer_store_dword v67, off, s[20:23], 0 offset:1856 ; 4-byte Folded Spill
	buffer_store_dword v68, off, s[20:23], 0 offset:1860 ; 4-byte Folded Spill
	s_and_saveexec_b64 s[2:3], vcc
	s_cbranch_execz .LBB119_361
; %bb.360:
	buffer_load_dword v65, off, s[20:23], 0 offset:1848 ; 4-byte Folded Reload
	buffer_load_dword v66, off, s[20:23], 0 offset:1852 ; 4-byte Folded Reload
	;; [unrolled: 1-line block ×8, first 2 shown]
	ds_read2_b64 v[99:102], v125 offset0:80 offset1:81
	s_waitcnt vmcnt(0)
	v_mul_f64 v[97:98], v[67:68], v[79:80]
	v_mul_f64 v[79:80], v[65:66], v[79:80]
	v_fma_f64 v[97:98], v[65:66], v[77:78], -v[97:98]
	v_fma_f64 v[79:80], v[67:68], v[77:78], v[79:80]
	buffer_load_dword v65, off, s[20:23], 0 offset:112 ; 4-byte Folded Reload
	buffer_load_dword v66, off, s[20:23], 0 offset:116 ; 4-byte Folded Reload
	buffer_load_dword v67, off, s[20:23], 0 offset:120 ; 4-byte Folded Reload
	buffer_load_dword v68, off, s[20:23], 0 offset:124 ; 4-byte Folded Reload
	s_waitcnt lgkmcnt(0)
	v_mul_f64 v[77:78], v[101:102], v[79:80]
	v_fma_f64 v[77:78], v[99:100], v[97:98], -v[77:78]
	v_mul_f64 v[99:100], v[99:100], v[79:80]
	v_fma_f64 v[99:100], v[101:102], v[97:98], v[99:100]
	s_waitcnt vmcnt(2)
	v_add_f64 v[65:66], v[65:66], -v[77:78]
	s_waitcnt vmcnt(0)
	v_add_f64 v[67:68], v[67:68], -v[99:100]
	buffer_store_dword v65, off, s[20:23], 0 offset:112 ; 4-byte Folded Spill
	s_nop 0
	buffer_store_dword v66, off, s[20:23], 0 offset:116 ; 4-byte Folded Spill
	buffer_store_dword v67, off, s[20:23], 0 offset:120 ; 4-byte Folded Spill
	buffer_store_dword v68, off, s[20:23], 0 offset:124 ; 4-byte Folded Spill
	ds_read2_b64 v[99:102], v125 offset0:82 offset1:83
	buffer_load_dword v65, off, s[20:23], 0 offset:96 ; 4-byte Folded Reload
	buffer_load_dword v66, off, s[20:23], 0 offset:100 ; 4-byte Folded Reload
	buffer_load_dword v67, off, s[20:23], 0 offset:104 ; 4-byte Folded Reload
	buffer_load_dword v68, off, s[20:23], 0 offset:108 ; 4-byte Folded Reload
	s_waitcnt lgkmcnt(0)
	v_mul_f64 v[77:78], v[101:102], v[79:80]
	v_fma_f64 v[77:78], v[99:100], v[97:98], -v[77:78]
	v_mul_f64 v[99:100], v[99:100], v[79:80]
	v_fma_f64 v[99:100], v[101:102], v[97:98], v[99:100]
	s_waitcnt vmcnt(2)
	v_add_f64 v[65:66], v[65:66], -v[77:78]
	s_waitcnt vmcnt(0)
	v_add_f64 v[67:68], v[67:68], -v[99:100]
	buffer_store_dword v65, off, s[20:23], 0 offset:96 ; 4-byte Folded Spill
	s_nop 0
	buffer_store_dword v66, off, s[20:23], 0 offset:100 ; 4-byte Folded Spill
	buffer_store_dword v67, off, s[20:23], 0 offset:104 ; 4-byte Folded Spill
	buffer_store_dword v68, off, s[20:23], 0 offset:108 ; 4-byte Folded Spill
	ds_read2_b64 v[99:102], v125 offset0:84 offset1:85
	;; [unrolled: 19-line block ×7, first 2 shown]
	buffer_load_dword v45, off, s[20:23], 0 ; 4-byte Folded Reload
	buffer_load_dword v46, off, s[20:23], 0 offset:4 ; 4-byte Folded Reload
	buffer_load_dword v47, off, s[20:23], 0 offset:8 ; 4-byte Folded Reload
	;; [unrolled: 1-line block ×3, first 2 shown]
	s_waitcnt lgkmcnt(0)
	v_mul_f64 v[77:78], v[101:102], v[79:80]
	v_fma_f64 v[77:78], v[99:100], v[97:98], -v[77:78]
	v_mul_f64 v[99:100], v[99:100], v[79:80]
	v_fma_f64 v[99:100], v[101:102], v[97:98], v[99:100]
	s_waitcnt vmcnt(2)
	v_add_f64 v[45:46], v[45:46], -v[77:78]
	s_waitcnt vmcnt(0)
	v_add_f64 v[47:48], v[47:48], -v[99:100]
	buffer_store_dword v45, off, s[20:23], 0 ; 4-byte Folded Spill
	s_nop 0
	buffer_store_dword v46, off, s[20:23], 0 offset:4 ; 4-byte Folded Spill
	buffer_store_dword v47, off, s[20:23], 0 offset:8 ; 4-byte Folded Spill
	;; [unrolled: 1-line block ×3, first 2 shown]
	ds_read2_b64 v[99:102], v125 offset0:96 offset1:97
	s_waitcnt lgkmcnt(0)
	v_mul_f64 v[77:78], v[101:102], v[79:80]
	v_fma_f64 v[77:78], v[99:100], v[97:98], -v[77:78]
	v_mul_f64 v[99:100], v[99:100], v[79:80]
	v_add_f64 v[113:114], v[113:114], -v[77:78]
	v_fma_f64 v[99:100], v[101:102], v[97:98], v[99:100]
	v_add_f64 v[115:116], v[115:116], -v[99:100]
	ds_read2_b64 v[99:102], v125 offset0:98 offset1:99
	s_waitcnt lgkmcnt(0)
	v_mul_f64 v[77:78], v[101:102], v[79:80]
	v_fma_f64 v[77:78], v[99:100], v[97:98], -v[77:78]
	v_mul_f64 v[99:100], v[99:100], v[79:80]
	v_add_f64 v[37:38], v[37:38], -v[77:78]
	v_fma_f64 v[99:100], v[101:102], v[97:98], v[99:100]
	v_add_f64 v[39:40], v[39:40], -v[99:100]
	;; [unrolled: 8-line block ×11, first 2 shown]
	ds_read2_b64 v[99:102], v125 offset0:118 offset1:119
	s_waitcnt lgkmcnt(0)
	v_mul_f64 v[77:78], v[101:102], v[79:80]
	v_fma_f64 v[77:78], v[99:100], v[97:98], -v[77:78]
	v_mul_f64 v[99:100], v[99:100], v[79:80]
	v_add_f64 v[121:122], v[121:122], -v[77:78]
	v_fma_f64 v[99:100], v[101:102], v[97:98], v[99:100]
	v_mov_b32_e32 v77, v97
	v_mov_b32_e32 v78, v98
	buffer_store_dword v77, off, s[20:23], 0 offset:128 ; 4-byte Folded Spill
	s_nop 0
	buffer_store_dword v78, off, s[20:23], 0 offset:132 ; 4-byte Folded Spill
	buffer_store_dword v79, off, s[20:23], 0 offset:136 ; 4-byte Folded Spill
	;; [unrolled: 1-line block ×3, first 2 shown]
	v_add_f64 v[123:124], v[123:124], -v[99:100]
.LBB119_361:
	s_or_b64 exec, exec, s[2:3]
	v_cmp_eq_u32_e32 vcc, 40, v0
	s_waitcnt vmcnt(0)
	s_barrier
	s_and_saveexec_b64 s[4:5], vcc
	s_cbranch_execz .LBB119_368
; %bb.362:
	buffer_load_dword v65, off, s[20:23], 0 offset:112 ; 4-byte Folded Reload
	buffer_load_dword v66, off, s[20:23], 0 offset:116 ; 4-byte Folded Reload
	;; [unrolled: 1-line block ×4, first 2 shown]
	s_waitcnt vmcnt(0)
	ds_write2_b64 v127, v[65:66], v[67:68] offset1:1
	buffer_load_dword v65, off, s[20:23], 0 offset:96 ; 4-byte Folded Reload
	buffer_load_dword v66, off, s[20:23], 0 offset:100 ; 4-byte Folded Reload
	buffer_load_dword v67, off, s[20:23], 0 offset:104 ; 4-byte Folded Reload
	buffer_load_dword v68, off, s[20:23], 0 offset:108 ; 4-byte Folded Reload
	s_waitcnt vmcnt(0)
	ds_write2_b64 v125, v[65:66], v[67:68] offset0:82 offset1:83
	buffer_load_dword v65, off, s[20:23], 0 offset:80 ; 4-byte Folded Reload
	buffer_load_dword v66, off, s[20:23], 0 offset:84 ; 4-byte Folded Reload
	buffer_load_dword v67, off, s[20:23], 0 offset:88 ; 4-byte Folded Reload
	buffer_load_dword v68, off, s[20:23], 0 offset:92 ; 4-byte Folded Reload
	s_waitcnt vmcnt(0)
	ds_write2_b64 v125, v[65:66], v[67:68] offset0:84 offset1:85
	;; [unrolled: 6-line block ×6, first 2 shown]
	buffer_load_dword v45, off, s[20:23], 0 ; 4-byte Folded Reload
	buffer_load_dword v46, off, s[20:23], 0 offset:4 ; 4-byte Folded Reload
	buffer_load_dword v47, off, s[20:23], 0 offset:8 ; 4-byte Folded Reload
	;; [unrolled: 1-line block ×3, first 2 shown]
	s_waitcnt vmcnt(0)
	ds_write2_b64 v125, v[45:46], v[47:48] offset0:94 offset1:95
	ds_write2_b64 v125, v[113:114], v[115:116] offset0:96 offset1:97
	;; [unrolled: 1-line block ×13, first 2 shown]
	ds_read2_b64 v[97:100], v127 offset1:1
	s_waitcnt lgkmcnt(0)
	v_cmp_neq_f64_e32 vcc, 0, v[97:98]
	v_cmp_neq_f64_e64 s[2:3], 0, v[99:100]
	s_or_b64 s[2:3], vcc, s[2:3]
	s_and_b64 exec, exec, s[2:3]
	s_cbranch_execz .LBB119_368
; %bb.363:
	v_cmp_ngt_f64_e64 s[2:3], |v[97:98]|, |v[99:100]|
                                        ; implicit-def: $vgpr101_vgpr102
	s_and_saveexec_b64 s[6:7], s[2:3]
	s_xor_b64 s[2:3], exec, s[6:7]
                                        ; implicit-def: $vgpr103_vgpr104
	s_cbranch_execz .LBB119_365
; %bb.364:
	v_div_scale_f64 v[101:102], s[6:7], v[99:100], v[99:100], v[97:98]
	v_rcp_f64_e32 v[103:104], v[101:102]
	v_fma_f64 v[105:106], -v[101:102], v[103:104], 1.0
	v_fma_f64 v[103:104], v[103:104], v[105:106], v[103:104]
	v_div_scale_f64 v[105:106], vcc, v[97:98], v[99:100], v[97:98]
	v_fma_f64 v[107:108], -v[101:102], v[103:104], 1.0
	v_fma_f64 v[103:104], v[103:104], v[107:108], v[103:104]
	v_mul_f64 v[107:108], v[105:106], v[103:104]
	v_fma_f64 v[101:102], -v[101:102], v[107:108], v[105:106]
	v_div_fmas_f64 v[101:102], v[101:102], v[103:104], v[107:108]
	v_div_fixup_f64 v[101:102], v[101:102], v[99:100], v[97:98]
	v_fma_f64 v[97:98], v[97:98], v[101:102], v[99:100]
	v_div_scale_f64 v[99:100], s[6:7], v[97:98], v[97:98], 1.0
	v_div_scale_f64 v[107:108], vcc, 1.0, v[97:98], 1.0
	v_rcp_f64_e32 v[103:104], v[99:100]
	v_fma_f64 v[105:106], -v[99:100], v[103:104], 1.0
	v_fma_f64 v[103:104], v[103:104], v[105:106], v[103:104]
	v_fma_f64 v[105:106], -v[99:100], v[103:104], 1.0
	v_fma_f64 v[103:104], v[103:104], v[105:106], v[103:104]
	v_mul_f64 v[105:106], v[107:108], v[103:104]
	v_fma_f64 v[99:100], -v[99:100], v[105:106], v[107:108]
	v_div_fmas_f64 v[99:100], v[99:100], v[103:104], v[105:106]
	v_div_fixup_f64 v[103:104], v[99:100], v[97:98], 1.0
                                        ; implicit-def: $vgpr97_vgpr98
	v_mul_f64 v[101:102], v[101:102], v[103:104]
	v_xor_b32_e32 v104, 0x80000000, v104
.LBB119_365:
	s_andn2_saveexec_b64 s[2:3], s[2:3]
	s_cbranch_execz .LBB119_367
; %bb.366:
	v_div_scale_f64 v[101:102], s[6:7], v[97:98], v[97:98], v[99:100]
	v_rcp_f64_e32 v[103:104], v[101:102]
	v_fma_f64 v[105:106], -v[101:102], v[103:104], 1.0
	v_fma_f64 v[103:104], v[103:104], v[105:106], v[103:104]
	v_div_scale_f64 v[105:106], vcc, v[99:100], v[97:98], v[99:100]
	v_fma_f64 v[107:108], -v[101:102], v[103:104], 1.0
	v_fma_f64 v[103:104], v[103:104], v[107:108], v[103:104]
	v_mul_f64 v[107:108], v[105:106], v[103:104]
	v_fma_f64 v[101:102], -v[101:102], v[107:108], v[105:106]
	v_div_fmas_f64 v[101:102], v[101:102], v[103:104], v[107:108]
	v_div_fixup_f64 v[103:104], v[101:102], v[97:98], v[99:100]
	v_fma_f64 v[97:98], v[99:100], v[103:104], v[97:98]
	v_div_scale_f64 v[99:100], s[6:7], v[97:98], v[97:98], 1.0
	v_div_scale_f64 v[107:108], vcc, 1.0, v[97:98], 1.0
	v_rcp_f64_e32 v[101:102], v[99:100]
	v_fma_f64 v[105:106], -v[99:100], v[101:102], 1.0
	v_fma_f64 v[101:102], v[101:102], v[105:106], v[101:102]
	v_fma_f64 v[105:106], -v[99:100], v[101:102], 1.0
	v_fma_f64 v[101:102], v[101:102], v[105:106], v[101:102]
	v_mul_f64 v[105:106], v[107:108], v[101:102]
	v_fma_f64 v[99:100], -v[99:100], v[105:106], v[107:108]
	v_div_fmas_f64 v[99:100], v[99:100], v[101:102], v[105:106]
	v_div_fixup_f64 v[101:102], v[99:100], v[97:98], 1.0
	v_mul_f64 v[103:104], v[103:104], -v[101:102]
.LBB119_367:
	s_or_b64 exec, exec, s[2:3]
	ds_write2_b64 v127, v[101:102], v[103:104] offset1:1
.LBB119_368:
	s_or_b64 exec, exec, s[4:5]
	s_waitcnt lgkmcnt(0)
	s_barrier
	ds_read2_b64 v[65:68], v127 offset1:1
	v_cmp_lt_u32_e32 vcc, 40, v0
	s_waitcnt lgkmcnt(0)
	buffer_store_dword v65, off, s[20:23], 0 offset:1864 ; 4-byte Folded Spill
	s_nop 0
	buffer_store_dword v66, off, s[20:23], 0 offset:1868 ; 4-byte Folded Spill
	buffer_store_dword v67, off, s[20:23], 0 offset:1872 ; 4-byte Folded Spill
	;; [unrolled: 1-line block ×3, first 2 shown]
	s_and_saveexec_b64 s[2:3], vcc
	s_cbranch_execz .LBB119_370
; %bb.369:
	buffer_load_dword v65, off, s[20:23], 0 offset:1864 ; 4-byte Folded Reload
	buffer_load_dword v66, off, s[20:23], 0 offset:1868 ; 4-byte Folded Reload
	;; [unrolled: 1-line block ×8, first 2 shown]
	ds_read2_b64 v[99:102], v125 offset0:82 offset1:83
	s_waitcnt vmcnt(0)
	v_mul_f64 v[97:98], v[67:68], v[75:76]
	v_mul_f64 v[75:76], v[65:66], v[75:76]
	v_fma_f64 v[97:98], v[65:66], v[73:74], -v[97:98]
	v_fma_f64 v[75:76], v[67:68], v[73:74], v[75:76]
	buffer_load_dword v65, off, s[20:23], 0 offset:96 ; 4-byte Folded Reload
	buffer_load_dword v66, off, s[20:23], 0 offset:100 ; 4-byte Folded Reload
	buffer_load_dword v67, off, s[20:23], 0 offset:104 ; 4-byte Folded Reload
	buffer_load_dword v68, off, s[20:23], 0 offset:108 ; 4-byte Folded Reload
	s_waitcnt lgkmcnt(0)
	v_mul_f64 v[73:74], v[101:102], v[75:76]
	v_fma_f64 v[73:74], v[99:100], v[97:98], -v[73:74]
	v_mul_f64 v[99:100], v[99:100], v[75:76]
	v_fma_f64 v[99:100], v[101:102], v[97:98], v[99:100]
	s_waitcnt vmcnt(2)
	v_add_f64 v[65:66], v[65:66], -v[73:74]
	s_waitcnt vmcnt(0)
	v_add_f64 v[67:68], v[67:68], -v[99:100]
	buffer_store_dword v65, off, s[20:23], 0 offset:96 ; 4-byte Folded Spill
	s_nop 0
	buffer_store_dword v66, off, s[20:23], 0 offset:100 ; 4-byte Folded Spill
	buffer_store_dword v67, off, s[20:23], 0 offset:104 ; 4-byte Folded Spill
	buffer_store_dword v68, off, s[20:23], 0 offset:108 ; 4-byte Folded Spill
	ds_read2_b64 v[99:102], v125 offset0:84 offset1:85
	buffer_load_dword v65, off, s[20:23], 0 offset:80 ; 4-byte Folded Reload
	buffer_load_dword v66, off, s[20:23], 0 offset:84 ; 4-byte Folded Reload
	buffer_load_dword v67, off, s[20:23], 0 offset:88 ; 4-byte Folded Reload
	buffer_load_dword v68, off, s[20:23], 0 offset:92 ; 4-byte Folded Reload
	s_waitcnt lgkmcnt(0)
	v_mul_f64 v[73:74], v[101:102], v[75:76]
	v_fma_f64 v[73:74], v[99:100], v[97:98], -v[73:74]
	v_mul_f64 v[99:100], v[99:100], v[75:76]
	v_fma_f64 v[99:100], v[101:102], v[97:98], v[99:100]
	s_waitcnt vmcnt(2)
	v_add_f64 v[65:66], v[65:66], -v[73:74]
	s_waitcnt vmcnt(0)
	v_add_f64 v[67:68], v[67:68], -v[99:100]
	buffer_store_dword v65, off, s[20:23], 0 offset:80 ; 4-byte Folded Spill
	s_nop 0
	buffer_store_dword v66, off, s[20:23], 0 offset:84 ; 4-byte Folded Spill
	buffer_store_dword v67, off, s[20:23], 0 offset:88 ; 4-byte Folded Spill
	buffer_store_dword v68, off, s[20:23], 0 offset:92 ; 4-byte Folded Spill
	ds_read2_b64 v[99:102], v125 offset0:86 offset1:87
	;; [unrolled: 19-line block ×6, first 2 shown]
	buffer_load_dword v45, off, s[20:23], 0 ; 4-byte Folded Reload
	buffer_load_dword v46, off, s[20:23], 0 offset:4 ; 4-byte Folded Reload
	buffer_load_dword v47, off, s[20:23], 0 offset:8 ; 4-byte Folded Reload
	;; [unrolled: 1-line block ×3, first 2 shown]
	s_waitcnt lgkmcnt(0)
	v_mul_f64 v[73:74], v[101:102], v[75:76]
	v_fma_f64 v[73:74], v[99:100], v[97:98], -v[73:74]
	v_mul_f64 v[99:100], v[99:100], v[75:76]
	v_fma_f64 v[99:100], v[101:102], v[97:98], v[99:100]
	s_waitcnt vmcnt(2)
	v_add_f64 v[45:46], v[45:46], -v[73:74]
	s_waitcnt vmcnt(0)
	v_add_f64 v[47:48], v[47:48], -v[99:100]
	buffer_store_dword v45, off, s[20:23], 0 ; 4-byte Folded Spill
	s_nop 0
	buffer_store_dword v46, off, s[20:23], 0 offset:4 ; 4-byte Folded Spill
	buffer_store_dword v47, off, s[20:23], 0 offset:8 ; 4-byte Folded Spill
	;; [unrolled: 1-line block ×3, first 2 shown]
	ds_read2_b64 v[99:102], v125 offset0:96 offset1:97
	s_waitcnt lgkmcnt(0)
	v_mul_f64 v[73:74], v[101:102], v[75:76]
	v_fma_f64 v[73:74], v[99:100], v[97:98], -v[73:74]
	v_mul_f64 v[99:100], v[99:100], v[75:76]
	v_add_f64 v[113:114], v[113:114], -v[73:74]
	v_fma_f64 v[99:100], v[101:102], v[97:98], v[99:100]
	v_add_f64 v[115:116], v[115:116], -v[99:100]
	ds_read2_b64 v[99:102], v125 offset0:98 offset1:99
	s_waitcnt lgkmcnt(0)
	v_mul_f64 v[73:74], v[101:102], v[75:76]
	v_fma_f64 v[73:74], v[99:100], v[97:98], -v[73:74]
	v_mul_f64 v[99:100], v[99:100], v[75:76]
	v_add_f64 v[37:38], v[37:38], -v[73:74]
	v_fma_f64 v[99:100], v[101:102], v[97:98], v[99:100]
	v_add_f64 v[39:40], v[39:40], -v[99:100]
	;; [unrolled: 8-line block ×11, first 2 shown]
	ds_read2_b64 v[99:102], v125 offset0:118 offset1:119
	s_waitcnt lgkmcnt(0)
	v_mul_f64 v[73:74], v[101:102], v[75:76]
	v_fma_f64 v[73:74], v[99:100], v[97:98], -v[73:74]
	v_mul_f64 v[99:100], v[99:100], v[75:76]
	v_add_f64 v[121:122], v[121:122], -v[73:74]
	v_fma_f64 v[99:100], v[101:102], v[97:98], v[99:100]
	v_mov_b32_e32 v73, v97
	v_mov_b32_e32 v74, v98
	buffer_store_dword v73, off, s[20:23], 0 offset:112 ; 4-byte Folded Spill
	s_nop 0
	buffer_store_dword v74, off, s[20:23], 0 offset:116 ; 4-byte Folded Spill
	buffer_store_dword v75, off, s[20:23], 0 offset:120 ; 4-byte Folded Spill
	;; [unrolled: 1-line block ×3, first 2 shown]
	v_add_f64 v[123:124], v[123:124], -v[99:100]
.LBB119_370:
	s_or_b64 exec, exec, s[2:3]
	v_cmp_eq_u32_e32 vcc, 41, v0
	s_waitcnt vmcnt(0)
	s_barrier
	s_and_saveexec_b64 s[4:5], vcc
	s_cbranch_execz .LBB119_377
; %bb.371:
	buffer_load_dword v65, off, s[20:23], 0 offset:96 ; 4-byte Folded Reload
	buffer_load_dword v66, off, s[20:23], 0 offset:100 ; 4-byte Folded Reload
	buffer_load_dword v67, off, s[20:23], 0 offset:104 ; 4-byte Folded Reload
	buffer_load_dword v68, off, s[20:23], 0 offset:108 ; 4-byte Folded Reload
	s_waitcnt vmcnt(0)
	ds_write2_b64 v127, v[65:66], v[67:68] offset1:1
	buffer_load_dword v65, off, s[20:23], 0 offset:80 ; 4-byte Folded Reload
	buffer_load_dword v66, off, s[20:23], 0 offset:84 ; 4-byte Folded Reload
	buffer_load_dword v67, off, s[20:23], 0 offset:88 ; 4-byte Folded Reload
	buffer_load_dword v68, off, s[20:23], 0 offset:92 ; 4-byte Folded Reload
	s_waitcnt vmcnt(0)
	ds_write2_b64 v125, v[65:66], v[67:68] offset0:84 offset1:85
	buffer_load_dword v61, off, s[20:23], 0 offset:64 ; 4-byte Folded Reload
	buffer_load_dword v62, off, s[20:23], 0 offset:68 ; 4-byte Folded Reload
	buffer_load_dword v63, off, s[20:23], 0 offset:72 ; 4-byte Folded Reload
	buffer_load_dword v64, off, s[20:23], 0 offset:76 ; 4-byte Folded Reload
	s_waitcnt vmcnt(0)
	ds_write2_b64 v125, v[61:62], v[63:64] offset0:86 offset1:87
	;; [unrolled: 6-line block ×5, first 2 shown]
	buffer_load_dword v45, off, s[20:23], 0 ; 4-byte Folded Reload
	buffer_load_dword v46, off, s[20:23], 0 offset:4 ; 4-byte Folded Reload
	buffer_load_dword v47, off, s[20:23], 0 offset:8 ; 4-byte Folded Reload
	;; [unrolled: 1-line block ×3, first 2 shown]
	s_waitcnt vmcnt(0)
	ds_write2_b64 v125, v[45:46], v[47:48] offset0:94 offset1:95
	ds_write2_b64 v125, v[113:114], v[115:116] offset0:96 offset1:97
	;; [unrolled: 1-line block ×13, first 2 shown]
	ds_read2_b64 v[97:100], v127 offset1:1
	s_waitcnt lgkmcnt(0)
	v_cmp_neq_f64_e32 vcc, 0, v[97:98]
	v_cmp_neq_f64_e64 s[2:3], 0, v[99:100]
	s_or_b64 s[2:3], vcc, s[2:3]
	s_and_b64 exec, exec, s[2:3]
	s_cbranch_execz .LBB119_377
; %bb.372:
	v_cmp_ngt_f64_e64 s[2:3], |v[97:98]|, |v[99:100]|
                                        ; implicit-def: $vgpr101_vgpr102
	s_and_saveexec_b64 s[6:7], s[2:3]
	s_xor_b64 s[2:3], exec, s[6:7]
                                        ; implicit-def: $vgpr103_vgpr104
	s_cbranch_execz .LBB119_374
; %bb.373:
	v_div_scale_f64 v[101:102], s[6:7], v[99:100], v[99:100], v[97:98]
	v_rcp_f64_e32 v[103:104], v[101:102]
	v_fma_f64 v[105:106], -v[101:102], v[103:104], 1.0
	v_fma_f64 v[103:104], v[103:104], v[105:106], v[103:104]
	v_div_scale_f64 v[105:106], vcc, v[97:98], v[99:100], v[97:98]
	v_fma_f64 v[107:108], -v[101:102], v[103:104], 1.0
	v_fma_f64 v[103:104], v[103:104], v[107:108], v[103:104]
	v_mul_f64 v[107:108], v[105:106], v[103:104]
	v_fma_f64 v[101:102], -v[101:102], v[107:108], v[105:106]
	v_div_fmas_f64 v[101:102], v[101:102], v[103:104], v[107:108]
	v_div_fixup_f64 v[101:102], v[101:102], v[99:100], v[97:98]
	v_fma_f64 v[97:98], v[97:98], v[101:102], v[99:100]
	v_div_scale_f64 v[99:100], s[6:7], v[97:98], v[97:98], 1.0
	v_div_scale_f64 v[107:108], vcc, 1.0, v[97:98], 1.0
	v_rcp_f64_e32 v[103:104], v[99:100]
	v_fma_f64 v[105:106], -v[99:100], v[103:104], 1.0
	v_fma_f64 v[103:104], v[103:104], v[105:106], v[103:104]
	v_fma_f64 v[105:106], -v[99:100], v[103:104], 1.0
	v_fma_f64 v[103:104], v[103:104], v[105:106], v[103:104]
	v_mul_f64 v[105:106], v[107:108], v[103:104]
	v_fma_f64 v[99:100], -v[99:100], v[105:106], v[107:108]
	v_div_fmas_f64 v[99:100], v[99:100], v[103:104], v[105:106]
	v_div_fixup_f64 v[103:104], v[99:100], v[97:98], 1.0
                                        ; implicit-def: $vgpr97_vgpr98
	v_mul_f64 v[101:102], v[101:102], v[103:104]
	v_xor_b32_e32 v104, 0x80000000, v104
.LBB119_374:
	s_andn2_saveexec_b64 s[2:3], s[2:3]
	s_cbranch_execz .LBB119_376
; %bb.375:
	v_div_scale_f64 v[101:102], s[6:7], v[97:98], v[97:98], v[99:100]
	v_rcp_f64_e32 v[103:104], v[101:102]
	v_fma_f64 v[105:106], -v[101:102], v[103:104], 1.0
	v_fma_f64 v[103:104], v[103:104], v[105:106], v[103:104]
	v_div_scale_f64 v[105:106], vcc, v[99:100], v[97:98], v[99:100]
	v_fma_f64 v[107:108], -v[101:102], v[103:104], 1.0
	v_fma_f64 v[103:104], v[103:104], v[107:108], v[103:104]
	v_mul_f64 v[107:108], v[105:106], v[103:104]
	v_fma_f64 v[101:102], -v[101:102], v[107:108], v[105:106]
	v_div_fmas_f64 v[101:102], v[101:102], v[103:104], v[107:108]
	v_div_fixup_f64 v[103:104], v[101:102], v[97:98], v[99:100]
	v_fma_f64 v[97:98], v[99:100], v[103:104], v[97:98]
	v_div_scale_f64 v[99:100], s[6:7], v[97:98], v[97:98], 1.0
	v_div_scale_f64 v[107:108], vcc, 1.0, v[97:98], 1.0
	v_rcp_f64_e32 v[101:102], v[99:100]
	v_fma_f64 v[105:106], -v[99:100], v[101:102], 1.0
	v_fma_f64 v[101:102], v[101:102], v[105:106], v[101:102]
	v_fma_f64 v[105:106], -v[99:100], v[101:102], 1.0
	v_fma_f64 v[101:102], v[101:102], v[105:106], v[101:102]
	v_mul_f64 v[105:106], v[107:108], v[101:102]
	v_fma_f64 v[99:100], -v[99:100], v[105:106], v[107:108]
	v_div_fmas_f64 v[99:100], v[99:100], v[101:102], v[105:106]
	v_div_fixup_f64 v[101:102], v[99:100], v[97:98], 1.0
	v_mul_f64 v[103:104], v[103:104], -v[101:102]
.LBB119_376:
	s_or_b64 exec, exec, s[2:3]
	ds_write2_b64 v127, v[101:102], v[103:104] offset1:1
.LBB119_377:
	s_or_b64 exec, exec, s[4:5]
	s_waitcnt lgkmcnt(0)
	s_barrier
	ds_read2_b64 v[65:68], v127 offset1:1
	v_cmp_lt_u32_e32 vcc, 41, v0
	s_waitcnt lgkmcnt(0)
	buffer_store_dword v65, off, s[20:23], 0 offset:1880 ; 4-byte Folded Spill
	s_nop 0
	buffer_store_dword v66, off, s[20:23], 0 offset:1884 ; 4-byte Folded Spill
	buffer_store_dword v67, off, s[20:23], 0 offset:1888 ; 4-byte Folded Spill
	;; [unrolled: 1-line block ×3, first 2 shown]
	s_and_saveexec_b64 s[2:3], vcc
	s_cbranch_execz .LBB119_379
; %bb.378:
	buffer_load_dword v65, off, s[20:23], 0 offset:1880 ; 4-byte Folded Reload
	buffer_load_dword v66, off, s[20:23], 0 offset:1884 ; 4-byte Folded Reload
	;; [unrolled: 1-line block ×8, first 2 shown]
	ds_read2_b64 v[99:102], v125 offset0:84 offset1:85
	s_waitcnt vmcnt(0)
	v_mul_f64 v[97:98], v[67:68], v[71:72]
	v_mul_f64 v[71:72], v[65:66], v[71:72]
	v_fma_f64 v[97:98], v[65:66], v[69:70], -v[97:98]
	v_fma_f64 v[71:72], v[67:68], v[69:70], v[71:72]
	buffer_load_dword v65, off, s[20:23], 0 offset:80 ; 4-byte Folded Reload
	buffer_load_dword v66, off, s[20:23], 0 offset:84 ; 4-byte Folded Reload
	buffer_load_dword v67, off, s[20:23], 0 offset:88 ; 4-byte Folded Reload
	buffer_load_dword v68, off, s[20:23], 0 offset:92 ; 4-byte Folded Reload
	s_waitcnt lgkmcnt(0)
	v_mul_f64 v[69:70], v[101:102], v[71:72]
	v_fma_f64 v[69:70], v[99:100], v[97:98], -v[69:70]
	v_mul_f64 v[99:100], v[99:100], v[71:72]
	v_fma_f64 v[99:100], v[101:102], v[97:98], v[99:100]
	s_waitcnt vmcnt(2)
	v_add_f64 v[65:66], v[65:66], -v[69:70]
	s_waitcnt vmcnt(0)
	v_add_f64 v[67:68], v[67:68], -v[99:100]
	buffer_store_dword v65, off, s[20:23], 0 offset:80 ; 4-byte Folded Spill
	s_nop 0
	buffer_store_dword v66, off, s[20:23], 0 offset:84 ; 4-byte Folded Spill
	buffer_store_dword v67, off, s[20:23], 0 offset:88 ; 4-byte Folded Spill
	buffer_store_dword v68, off, s[20:23], 0 offset:92 ; 4-byte Folded Spill
	ds_read2_b64 v[99:102], v125 offset0:86 offset1:87
	buffer_load_dword v61, off, s[20:23], 0 offset:64 ; 4-byte Folded Reload
	buffer_load_dword v62, off, s[20:23], 0 offset:68 ; 4-byte Folded Reload
	buffer_load_dword v63, off, s[20:23], 0 offset:72 ; 4-byte Folded Reload
	buffer_load_dword v64, off, s[20:23], 0 offset:76 ; 4-byte Folded Reload
	s_waitcnt lgkmcnt(0)
	v_mul_f64 v[69:70], v[101:102], v[71:72]
	v_fma_f64 v[69:70], v[99:100], v[97:98], -v[69:70]
	v_mul_f64 v[99:100], v[99:100], v[71:72]
	v_fma_f64 v[99:100], v[101:102], v[97:98], v[99:100]
	s_waitcnt vmcnt(2)
	v_add_f64 v[61:62], v[61:62], -v[69:70]
	s_waitcnt vmcnt(0)
	v_add_f64 v[63:64], v[63:64], -v[99:100]
	buffer_store_dword v61, off, s[20:23], 0 offset:64 ; 4-byte Folded Spill
	s_nop 0
	buffer_store_dword v62, off, s[20:23], 0 offset:68 ; 4-byte Folded Spill
	buffer_store_dword v63, off, s[20:23], 0 offset:72 ; 4-byte Folded Spill
	buffer_store_dword v64, off, s[20:23], 0 offset:76 ; 4-byte Folded Spill
	ds_read2_b64 v[99:102], v125 offset0:88 offset1:89
	;; [unrolled: 19-line block ×5, first 2 shown]
	buffer_load_dword v45, off, s[20:23], 0 ; 4-byte Folded Reload
	buffer_load_dword v46, off, s[20:23], 0 offset:4 ; 4-byte Folded Reload
	buffer_load_dword v47, off, s[20:23], 0 offset:8 ; 4-byte Folded Reload
	;; [unrolled: 1-line block ×3, first 2 shown]
	s_waitcnt lgkmcnt(0)
	v_mul_f64 v[69:70], v[101:102], v[71:72]
	v_fma_f64 v[69:70], v[99:100], v[97:98], -v[69:70]
	v_mul_f64 v[99:100], v[99:100], v[71:72]
	v_fma_f64 v[99:100], v[101:102], v[97:98], v[99:100]
	s_waitcnt vmcnt(2)
	v_add_f64 v[45:46], v[45:46], -v[69:70]
	s_waitcnt vmcnt(0)
	v_add_f64 v[47:48], v[47:48], -v[99:100]
	buffer_store_dword v45, off, s[20:23], 0 ; 4-byte Folded Spill
	s_nop 0
	buffer_store_dword v46, off, s[20:23], 0 offset:4 ; 4-byte Folded Spill
	buffer_store_dword v47, off, s[20:23], 0 offset:8 ; 4-byte Folded Spill
	;; [unrolled: 1-line block ×3, first 2 shown]
	ds_read2_b64 v[99:102], v125 offset0:96 offset1:97
	s_waitcnt lgkmcnt(0)
	v_mul_f64 v[69:70], v[101:102], v[71:72]
	v_fma_f64 v[69:70], v[99:100], v[97:98], -v[69:70]
	v_mul_f64 v[99:100], v[99:100], v[71:72]
	v_add_f64 v[113:114], v[113:114], -v[69:70]
	v_fma_f64 v[99:100], v[101:102], v[97:98], v[99:100]
	v_add_f64 v[115:116], v[115:116], -v[99:100]
	ds_read2_b64 v[99:102], v125 offset0:98 offset1:99
	s_waitcnt lgkmcnt(0)
	v_mul_f64 v[69:70], v[101:102], v[71:72]
	v_fma_f64 v[69:70], v[99:100], v[97:98], -v[69:70]
	v_mul_f64 v[99:100], v[99:100], v[71:72]
	v_add_f64 v[37:38], v[37:38], -v[69:70]
	v_fma_f64 v[99:100], v[101:102], v[97:98], v[99:100]
	v_add_f64 v[39:40], v[39:40], -v[99:100]
	;; [unrolled: 8-line block ×11, first 2 shown]
	ds_read2_b64 v[99:102], v125 offset0:118 offset1:119
	s_waitcnt lgkmcnt(0)
	v_mul_f64 v[69:70], v[101:102], v[71:72]
	v_fma_f64 v[69:70], v[99:100], v[97:98], -v[69:70]
	v_mul_f64 v[99:100], v[99:100], v[71:72]
	v_add_f64 v[121:122], v[121:122], -v[69:70]
	v_fma_f64 v[99:100], v[101:102], v[97:98], v[99:100]
	v_mov_b32_e32 v69, v97
	v_mov_b32_e32 v70, v98
	buffer_store_dword v69, off, s[20:23], 0 offset:96 ; 4-byte Folded Spill
	s_nop 0
	buffer_store_dword v70, off, s[20:23], 0 offset:100 ; 4-byte Folded Spill
	buffer_store_dword v71, off, s[20:23], 0 offset:104 ; 4-byte Folded Spill
	;; [unrolled: 1-line block ×3, first 2 shown]
	v_add_f64 v[123:124], v[123:124], -v[99:100]
.LBB119_379:
	s_or_b64 exec, exec, s[2:3]
	v_cmp_eq_u32_e32 vcc, 42, v0
	s_waitcnt vmcnt(0)
	s_barrier
	s_and_saveexec_b64 s[4:5], vcc
	s_cbranch_execz .LBB119_386
; %bb.380:
	buffer_load_dword v65, off, s[20:23], 0 offset:80 ; 4-byte Folded Reload
	buffer_load_dword v66, off, s[20:23], 0 offset:84 ; 4-byte Folded Reload
	;; [unrolled: 1-line block ×4, first 2 shown]
	s_waitcnt vmcnt(0)
	ds_write2_b64 v127, v[65:66], v[67:68] offset1:1
	buffer_load_dword v61, off, s[20:23], 0 offset:64 ; 4-byte Folded Reload
	buffer_load_dword v62, off, s[20:23], 0 offset:68 ; 4-byte Folded Reload
	buffer_load_dword v63, off, s[20:23], 0 offset:72 ; 4-byte Folded Reload
	buffer_load_dword v64, off, s[20:23], 0 offset:76 ; 4-byte Folded Reload
	s_waitcnt vmcnt(0)
	ds_write2_b64 v125, v[61:62], v[63:64] offset0:86 offset1:87
	buffer_load_dword v57, off, s[20:23], 0 offset:48 ; 4-byte Folded Reload
	buffer_load_dword v58, off, s[20:23], 0 offset:52 ; 4-byte Folded Reload
	buffer_load_dword v59, off, s[20:23], 0 offset:56 ; 4-byte Folded Reload
	buffer_load_dword v60, off, s[20:23], 0 offset:60 ; 4-byte Folded Reload
	s_waitcnt vmcnt(0)
	ds_write2_b64 v125, v[57:58], v[59:60] offset0:88 offset1:89
	;; [unrolled: 6-line block ×4, first 2 shown]
	buffer_load_dword v45, off, s[20:23], 0 ; 4-byte Folded Reload
	buffer_load_dword v46, off, s[20:23], 0 offset:4 ; 4-byte Folded Reload
	buffer_load_dword v47, off, s[20:23], 0 offset:8 ; 4-byte Folded Reload
	;; [unrolled: 1-line block ×3, first 2 shown]
	s_waitcnt vmcnt(0)
	ds_write2_b64 v125, v[45:46], v[47:48] offset0:94 offset1:95
	ds_write2_b64 v125, v[113:114], v[115:116] offset0:96 offset1:97
	;; [unrolled: 1-line block ×13, first 2 shown]
	ds_read2_b64 v[97:100], v127 offset1:1
	s_waitcnt lgkmcnt(0)
	v_cmp_neq_f64_e32 vcc, 0, v[97:98]
	v_cmp_neq_f64_e64 s[2:3], 0, v[99:100]
	s_or_b64 s[2:3], vcc, s[2:3]
	s_and_b64 exec, exec, s[2:3]
	s_cbranch_execz .LBB119_386
; %bb.381:
	v_cmp_ngt_f64_e64 s[2:3], |v[97:98]|, |v[99:100]|
                                        ; implicit-def: $vgpr101_vgpr102
	s_and_saveexec_b64 s[6:7], s[2:3]
	s_xor_b64 s[2:3], exec, s[6:7]
                                        ; implicit-def: $vgpr103_vgpr104
	s_cbranch_execz .LBB119_383
; %bb.382:
	v_div_scale_f64 v[101:102], s[6:7], v[99:100], v[99:100], v[97:98]
	v_rcp_f64_e32 v[103:104], v[101:102]
	v_fma_f64 v[105:106], -v[101:102], v[103:104], 1.0
	v_fma_f64 v[103:104], v[103:104], v[105:106], v[103:104]
	v_div_scale_f64 v[105:106], vcc, v[97:98], v[99:100], v[97:98]
	v_fma_f64 v[107:108], -v[101:102], v[103:104], 1.0
	v_fma_f64 v[103:104], v[103:104], v[107:108], v[103:104]
	v_mul_f64 v[107:108], v[105:106], v[103:104]
	v_fma_f64 v[101:102], -v[101:102], v[107:108], v[105:106]
	v_div_fmas_f64 v[101:102], v[101:102], v[103:104], v[107:108]
	v_div_fixup_f64 v[101:102], v[101:102], v[99:100], v[97:98]
	v_fma_f64 v[97:98], v[97:98], v[101:102], v[99:100]
	v_div_scale_f64 v[99:100], s[6:7], v[97:98], v[97:98], 1.0
	v_div_scale_f64 v[107:108], vcc, 1.0, v[97:98], 1.0
	v_rcp_f64_e32 v[103:104], v[99:100]
	v_fma_f64 v[105:106], -v[99:100], v[103:104], 1.0
	v_fma_f64 v[103:104], v[103:104], v[105:106], v[103:104]
	v_fma_f64 v[105:106], -v[99:100], v[103:104], 1.0
	v_fma_f64 v[103:104], v[103:104], v[105:106], v[103:104]
	v_mul_f64 v[105:106], v[107:108], v[103:104]
	v_fma_f64 v[99:100], -v[99:100], v[105:106], v[107:108]
	v_div_fmas_f64 v[99:100], v[99:100], v[103:104], v[105:106]
	v_div_fixup_f64 v[103:104], v[99:100], v[97:98], 1.0
                                        ; implicit-def: $vgpr97_vgpr98
	v_mul_f64 v[101:102], v[101:102], v[103:104]
	v_xor_b32_e32 v104, 0x80000000, v104
.LBB119_383:
	s_andn2_saveexec_b64 s[2:3], s[2:3]
	s_cbranch_execz .LBB119_385
; %bb.384:
	v_div_scale_f64 v[101:102], s[6:7], v[97:98], v[97:98], v[99:100]
	v_rcp_f64_e32 v[103:104], v[101:102]
	v_fma_f64 v[105:106], -v[101:102], v[103:104], 1.0
	v_fma_f64 v[103:104], v[103:104], v[105:106], v[103:104]
	v_div_scale_f64 v[105:106], vcc, v[99:100], v[97:98], v[99:100]
	v_fma_f64 v[107:108], -v[101:102], v[103:104], 1.0
	v_fma_f64 v[103:104], v[103:104], v[107:108], v[103:104]
	v_mul_f64 v[107:108], v[105:106], v[103:104]
	v_fma_f64 v[101:102], -v[101:102], v[107:108], v[105:106]
	v_div_fmas_f64 v[101:102], v[101:102], v[103:104], v[107:108]
	v_div_fixup_f64 v[103:104], v[101:102], v[97:98], v[99:100]
	v_fma_f64 v[97:98], v[99:100], v[103:104], v[97:98]
	v_div_scale_f64 v[99:100], s[6:7], v[97:98], v[97:98], 1.0
	v_div_scale_f64 v[107:108], vcc, 1.0, v[97:98], 1.0
	v_rcp_f64_e32 v[101:102], v[99:100]
	v_fma_f64 v[105:106], -v[99:100], v[101:102], 1.0
	v_fma_f64 v[101:102], v[101:102], v[105:106], v[101:102]
	v_fma_f64 v[105:106], -v[99:100], v[101:102], 1.0
	v_fma_f64 v[101:102], v[101:102], v[105:106], v[101:102]
	v_mul_f64 v[105:106], v[107:108], v[101:102]
	v_fma_f64 v[99:100], -v[99:100], v[105:106], v[107:108]
	v_div_fmas_f64 v[99:100], v[99:100], v[101:102], v[105:106]
	v_div_fixup_f64 v[101:102], v[99:100], v[97:98], 1.0
	v_mul_f64 v[103:104], v[103:104], -v[101:102]
.LBB119_385:
	s_or_b64 exec, exec, s[2:3]
	ds_write2_b64 v127, v[101:102], v[103:104] offset1:1
.LBB119_386:
	s_or_b64 exec, exec, s[4:5]
	s_waitcnt lgkmcnt(0)
	s_barrier
	ds_read2_b64 v[65:68], v127 offset1:1
	v_cmp_lt_u32_e32 vcc, 42, v0
	s_waitcnt lgkmcnt(0)
	buffer_store_dword v65, off, s[20:23], 0 offset:1896 ; 4-byte Folded Spill
	s_nop 0
	buffer_store_dword v66, off, s[20:23], 0 offset:1900 ; 4-byte Folded Spill
	buffer_store_dword v67, off, s[20:23], 0 offset:1904 ; 4-byte Folded Spill
	;; [unrolled: 1-line block ×3, first 2 shown]
	s_and_saveexec_b64 s[2:3], vcc
	s_cbranch_execz .LBB119_388
; %bb.387:
	buffer_load_dword v65, off, s[20:23], 0 offset:80 ; 4-byte Folded Reload
	buffer_load_dword v66, off, s[20:23], 0 offset:84 ; 4-byte Folded Reload
	buffer_load_dword v67, off, s[20:23], 0 offset:88 ; 4-byte Folded Reload
	buffer_load_dword v68, off, s[20:23], 0 offset:92 ; 4-byte Folded Reload
	buffer_load_dword v93, off, s[20:23], 0 offset:1896 ; 4-byte Folded Reload
	buffer_load_dword v94, off, s[20:23], 0 offset:1900 ; 4-byte Folded Reload
	buffer_load_dword v95, off, s[20:23], 0 offset:1904 ; 4-byte Folded Reload
	buffer_load_dword v96, off, s[20:23], 0 offset:1908 ; 4-byte Folded Reload
	ds_read2_b64 v[99:102], v125 offset0:86 offset1:87
	buffer_load_dword v61, off, s[20:23], 0 offset:64 ; 4-byte Folded Reload
	buffer_load_dword v62, off, s[20:23], 0 offset:68 ; 4-byte Folded Reload
	;; [unrolled: 1-line block ×4, first 2 shown]
	s_waitcnt vmcnt(4)
	v_mul_f64 v[97:98], v[95:96], v[67:68]
	v_mul_f64 v[67:68], v[93:94], v[67:68]
	v_fma_f64 v[97:98], v[93:94], v[65:66], -v[97:98]
	v_fma_f64 v[67:68], v[95:96], v[65:66], v[67:68]
	s_waitcnt lgkmcnt(0)
	v_mul_f64 v[65:66], v[101:102], v[67:68]
	v_fma_f64 v[65:66], v[99:100], v[97:98], -v[65:66]
	v_mul_f64 v[99:100], v[99:100], v[67:68]
	s_waitcnt vmcnt(2)
	v_add_f64 v[61:62], v[61:62], -v[65:66]
	v_fma_f64 v[99:100], v[101:102], v[97:98], v[99:100]
	s_waitcnt vmcnt(0)
	v_add_f64 v[63:64], v[63:64], -v[99:100]
	buffer_store_dword v61, off, s[20:23], 0 offset:64 ; 4-byte Folded Spill
	s_nop 0
	buffer_store_dword v62, off, s[20:23], 0 offset:68 ; 4-byte Folded Spill
	buffer_store_dword v63, off, s[20:23], 0 offset:72 ; 4-byte Folded Spill
	buffer_store_dword v64, off, s[20:23], 0 offset:76 ; 4-byte Folded Spill
	ds_read2_b64 v[99:102], v125 offset0:88 offset1:89
	buffer_load_dword v57, off, s[20:23], 0 offset:48 ; 4-byte Folded Reload
	buffer_load_dword v58, off, s[20:23], 0 offset:52 ; 4-byte Folded Reload
	buffer_load_dword v59, off, s[20:23], 0 offset:56 ; 4-byte Folded Reload
	buffer_load_dword v60, off, s[20:23], 0 offset:60 ; 4-byte Folded Reload
	s_waitcnt lgkmcnt(0)
	v_mul_f64 v[65:66], v[101:102], v[67:68]
	v_fma_f64 v[65:66], v[99:100], v[97:98], -v[65:66]
	v_mul_f64 v[99:100], v[99:100], v[67:68]
	v_fma_f64 v[99:100], v[101:102], v[97:98], v[99:100]
	s_waitcnt vmcnt(2)
	v_add_f64 v[57:58], v[57:58], -v[65:66]
	s_waitcnt vmcnt(0)
	v_add_f64 v[59:60], v[59:60], -v[99:100]
	buffer_store_dword v57, off, s[20:23], 0 offset:48 ; 4-byte Folded Spill
	s_nop 0
	buffer_store_dword v58, off, s[20:23], 0 offset:52 ; 4-byte Folded Spill
	buffer_store_dword v59, off, s[20:23], 0 offset:56 ; 4-byte Folded Spill
	buffer_store_dword v60, off, s[20:23], 0 offset:60 ; 4-byte Folded Spill
	ds_read2_b64 v[99:102], v125 offset0:90 offset1:91
	buffer_load_dword v53, off, s[20:23], 0 offset:32 ; 4-byte Folded Reload
	buffer_load_dword v54, off, s[20:23], 0 offset:36 ; 4-byte Folded Reload
	buffer_load_dword v55, off, s[20:23], 0 offset:40 ; 4-byte Folded Reload
	buffer_load_dword v56, off, s[20:23], 0 offset:44 ; 4-byte Folded Reload
	s_waitcnt lgkmcnt(0)
	v_mul_f64 v[65:66], v[101:102], v[67:68]
	v_fma_f64 v[65:66], v[99:100], v[97:98], -v[65:66]
	v_mul_f64 v[99:100], v[99:100], v[67:68]
	v_fma_f64 v[99:100], v[101:102], v[97:98], v[99:100]
	s_waitcnt vmcnt(2)
	v_add_f64 v[53:54], v[53:54], -v[65:66]
	;; [unrolled: 19-line block ×3, first 2 shown]
	s_waitcnt vmcnt(0)
	v_add_f64 v[51:52], v[51:52], -v[99:100]
	buffer_store_dword v49, off, s[20:23], 0 offset:16 ; 4-byte Folded Spill
	s_nop 0
	buffer_store_dword v50, off, s[20:23], 0 offset:20 ; 4-byte Folded Spill
	buffer_store_dword v51, off, s[20:23], 0 offset:24 ; 4-byte Folded Spill
	;; [unrolled: 1-line block ×3, first 2 shown]
	ds_read2_b64 v[99:102], v125 offset0:94 offset1:95
	buffer_load_dword v45, off, s[20:23], 0 ; 4-byte Folded Reload
	buffer_load_dword v46, off, s[20:23], 0 offset:4 ; 4-byte Folded Reload
	buffer_load_dword v47, off, s[20:23], 0 offset:8 ; 4-byte Folded Reload
	;; [unrolled: 1-line block ×3, first 2 shown]
	s_waitcnt lgkmcnt(0)
	v_mul_f64 v[65:66], v[101:102], v[67:68]
	v_fma_f64 v[65:66], v[99:100], v[97:98], -v[65:66]
	v_mul_f64 v[99:100], v[99:100], v[67:68]
	v_fma_f64 v[99:100], v[101:102], v[97:98], v[99:100]
	s_waitcnt vmcnt(2)
	v_add_f64 v[45:46], v[45:46], -v[65:66]
	s_waitcnt vmcnt(0)
	v_add_f64 v[47:48], v[47:48], -v[99:100]
	buffer_store_dword v45, off, s[20:23], 0 ; 4-byte Folded Spill
	s_nop 0
	buffer_store_dword v46, off, s[20:23], 0 offset:4 ; 4-byte Folded Spill
	buffer_store_dword v47, off, s[20:23], 0 offset:8 ; 4-byte Folded Spill
	;; [unrolled: 1-line block ×3, first 2 shown]
	ds_read2_b64 v[99:102], v125 offset0:96 offset1:97
	s_waitcnt lgkmcnt(0)
	v_mul_f64 v[65:66], v[101:102], v[67:68]
	v_fma_f64 v[65:66], v[99:100], v[97:98], -v[65:66]
	v_mul_f64 v[99:100], v[99:100], v[67:68]
	v_add_f64 v[113:114], v[113:114], -v[65:66]
	v_fma_f64 v[99:100], v[101:102], v[97:98], v[99:100]
	v_add_f64 v[115:116], v[115:116], -v[99:100]
	ds_read2_b64 v[99:102], v125 offset0:98 offset1:99
	s_waitcnt lgkmcnt(0)
	v_mul_f64 v[65:66], v[101:102], v[67:68]
	v_fma_f64 v[65:66], v[99:100], v[97:98], -v[65:66]
	v_mul_f64 v[99:100], v[99:100], v[67:68]
	v_add_f64 v[37:38], v[37:38], -v[65:66]
	v_fma_f64 v[99:100], v[101:102], v[97:98], v[99:100]
	v_add_f64 v[39:40], v[39:40], -v[99:100]
	;; [unrolled: 8-line block ×11, first 2 shown]
	ds_read2_b64 v[99:102], v125 offset0:118 offset1:119
	s_waitcnt lgkmcnt(0)
	v_mul_f64 v[65:66], v[101:102], v[67:68]
	v_fma_f64 v[65:66], v[99:100], v[97:98], -v[65:66]
	v_mul_f64 v[99:100], v[99:100], v[67:68]
	v_add_f64 v[121:122], v[121:122], -v[65:66]
	v_fma_f64 v[99:100], v[101:102], v[97:98], v[99:100]
	v_mov_b32_e32 v65, v97
	v_mov_b32_e32 v66, v98
	buffer_store_dword v65, off, s[20:23], 0 offset:80 ; 4-byte Folded Spill
	s_nop 0
	buffer_store_dword v66, off, s[20:23], 0 offset:84 ; 4-byte Folded Spill
	buffer_store_dword v67, off, s[20:23], 0 offset:88 ; 4-byte Folded Spill
	;; [unrolled: 1-line block ×3, first 2 shown]
	v_add_f64 v[123:124], v[123:124], -v[99:100]
.LBB119_388:
	s_or_b64 exec, exec, s[2:3]
	v_cmp_eq_u32_e32 vcc, 43, v0
	s_waitcnt vmcnt(0)
	s_barrier
	s_and_saveexec_b64 s[4:5], vcc
	s_cbranch_execz .LBB119_395
; %bb.389:
	buffer_load_dword v61, off, s[20:23], 0 offset:64 ; 4-byte Folded Reload
	buffer_load_dword v62, off, s[20:23], 0 offset:68 ; 4-byte Folded Reload
	;; [unrolled: 1-line block ×4, first 2 shown]
	s_waitcnt vmcnt(0)
	ds_write2_b64 v127, v[61:62], v[63:64] offset1:1
	buffer_load_dword v57, off, s[20:23], 0 offset:48 ; 4-byte Folded Reload
	buffer_load_dword v58, off, s[20:23], 0 offset:52 ; 4-byte Folded Reload
	buffer_load_dword v59, off, s[20:23], 0 offset:56 ; 4-byte Folded Reload
	buffer_load_dword v60, off, s[20:23], 0 offset:60 ; 4-byte Folded Reload
	s_waitcnt vmcnt(0)
	ds_write2_b64 v125, v[57:58], v[59:60] offset0:88 offset1:89
	buffer_load_dword v53, off, s[20:23], 0 offset:32 ; 4-byte Folded Reload
	buffer_load_dword v54, off, s[20:23], 0 offset:36 ; 4-byte Folded Reload
	buffer_load_dword v55, off, s[20:23], 0 offset:40 ; 4-byte Folded Reload
	buffer_load_dword v56, off, s[20:23], 0 offset:44 ; 4-byte Folded Reload
	s_waitcnt vmcnt(0)
	ds_write2_b64 v125, v[53:54], v[55:56] offset0:90 offset1:91
	;; [unrolled: 6-line block ×3, first 2 shown]
	buffer_load_dword v45, off, s[20:23], 0 ; 4-byte Folded Reload
	buffer_load_dword v46, off, s[20:23], 0 offset:4 ; 4-byte Folded Reload
	buffer_load_dword v47, off, s[20:23], 0 offset:8 ; 4-byte Folded Reload
	;; [unrolled: 1-line block ×3, first 2 shown]
	s_waitcnt vmcnt(0)
	ds_write2_b64 v125, v[45:46], v[47:48] offset0:94 offset1:95
	ds_write2_b64 v125, v[113:114], v[115:116] offset0:96 offset1:97
	;; [unrolled: 1-line block ×13, first 2 shown]
	ds_read2_b64 v[97:100], v127 offset1:1
	s_waitcnt lgkmcnt(0)
	v_cmp_neq_f64_e32 vcc, 0, v[97:98]
	v_cmp_neq_f64_e64 s[2:3], 0, v[99:100]
	s_or_b64 s[2:3], vcc, s[2:3]
	s_and_b64 exec, exec, s[2:3]
	s_cbranch_execz .LBB119_395
; %bb.390:
	v_cmp_ngt_f64_e64 s[2:3], |v[97:98]|, |v[99:100]|
                                        ; implicit-def: $vgpr101_vgpr102
	s_and_saveexec_b64 s[6:7], s[2:3]
	s_xor_b64 s[2:3], exec, s[6:7]
                                        ; implicit-def: $vgpr103_vgpr104
	s_cbranch_execz .LBB119_392
; %bb.391:
	v_div_scale_f64 v[101:102], s[6:7], v[99:100], v[99:100], v[97:98]
	v_rcp_f64_e32 v[103:104], v[101:102]
	v_fma_f64 v[105:106], -v[101:102], v[103:104], 1.0
	v_fma_f64 v[103:104], v[103:104], v[105:106], v[103:104]
	v_div_scale_f64 v[105:106], vcc, v[97:98], v[99:100], v[97:98]
	v_fma_f64 v[107:108], -v[101:102], v[103:104], 1.0
	v_fma_f64 v[103:104], v[103:104], v[107:108], v[103:104]
	v_mul_f64 v[107:108], v[105:106], v[103:104]
	v_fma_f64 v[101:102], -v[101:102], v[107:108], v[105:106]
	v_div_fmas_f64 v[101:102], v[101:102], v[103:104], v[107:108]
	v_div_fixup_f64 v[101:102], v[101:102], v[99:100], v[97:98]
	v_fma_f64 v[97:98], v[97:98], v[101:102], v[99:100]
	v_div_scale_f64 v[99:100], s[6:7], v[97:98], v[97:98], 1.0
	v_div_scale_f64 v[107:108], vcc, 1.0, v[97:98], 1.0
	v_rcp_f64_e32 v[103:104], v[99:100]
	v_fma_f64 v[105:106], -v[99:100], v[103:104], 1.0
	v_fma_f64 v[103:104], v[103:104], v[105:106], v[103:104]
	v_fma_f64 v[105:106], -v[99:100], v[103:104], 1.0
	v_fma_f64 v[103:104], v[103:104], v[105:106], v[103:104]
	v_mul_f64 v[105:106], v[107:108], v[103:104]
	v_fma_f64 v[99:100], -v[99:100], v[105:106], v[107:108]
	v_div_fmas_f64 v[99:100], v[99:100], v[103:104], v[105:106]
	v_div_fixup_f64 v[103:104], v[99:100], v[97:98], 1.0
                                        ; implicit-def: $vgpr97_vgpr98
	v_mul_f64 v[101:102], v[101:102], v[103:104]
	v_xor_b32_e32 v104, 0x80000000, v104
.LBB119_392:
	s_andn2_saveexec_b64 s[2:3], s[2:3]
	s_cbranch_execz .LBB119_394
; %bb.393:
	v_div_scale_f64 v[101:102], s[6:7], v[97:98], v[97:98], v[99:100]
	v_rcp_f64_e32 v[103:104], v[101:102]
	v_fma_f64 v[105:106], -v[101:102], v[103:104], 1.0
	v_fma_f64 v[103:104], v[103:104], v[105:106], v[103:104]
	v_div_scale_f64 v[105:106], vcc, v[99:100], v[97:98], v[99:100]
	v_fma_f64 v[107:108], -v[101:102], v[103:104], 1.0
	v_fma_f64 v[103:104], v[103:104], v[107:108], v[103:104]
	v_mul_f64 v[107:108], v[105:106], v[103:104]
	v_fma_f64 v[101:102], -v[101:102], v[107:108], v[105:106]
	v_div_fmas_f64 v[101:102], v[101:102], v[103:104], v[107:108]
	v_div_fixup_f64 v[103:104], v[101:102], v[97:98], v[99:100]
	v_fma_f64 v[97:98], v[99:100], v[103:104], v[97:98]
	v_div_scale_f64 v[99:100], s[6:7], v[97:98], v[97:98], 1.0
	v_div_scale_f64 v[107:108], vcc, 1.0, v[97:98], 1.0
	v_rcp_f64_e32 v[101:102], v[99:100]
	v_fma_f64 v[105:106], -v[99:100], v[101:102], 1.0
	v_fma_f64 v[101:102], v[101:102], v[105:106], v[101:102]
	v_fma_f64 v[105:106], -v[99:100], v[101:102], 1.0
	v_fma_f64 v[101:102], v[101:102], v[105:106], v[101:102]
	v_mul_f64 v[105:106], v[107:108], v[101:102]
	v_fma_f64 v[99:100], -v[99:100], v[105:106], v[107:108]
	v_div_fmas_f64 v[99:100], v[99:100], v[101:102], v[105:106]
	v_div_fixup_f64 v[101:102], v[99:100], v[97:98], 1.0
	v_mul_f64 v[103:104], v[103:104], -v[101:102]
.LBB119_394:
	s_or_b64 exec, exec, s[2:3]
	ds_write2_b64 v127, v[101:102], v[103:104] offset1:1
.LBB119_395:
	s_or_b64 exec, exec, s[4:5]
	s_waitcnt lgkmcnt(0)
	s_barrier
	ds_read2_b64 v[41:44], v127 offset1:1
	v_cmp_lt_u32_e32 vcc, 43, v0
	s_waitcnt lgkmcnt(0)
	buffer_store_dword v41, off, s[20:23], 0 offset:1936 ; 4-byte Folded Spill
	s_nop 0
	buffer_store_dword v42, off, s[20:23], 0 offset:1940 ; 4-byte Folded Spill
	buffer_store_dword v43, off, s[20:23], 0 offset:1944 ; 4-byte Folded Spill
	;; [unrolled: 1-line block ×3, first 2 shown]
	s_and_saveexec_b64 s[2:3], vcc
	s_cbranch_execz .LBB119_397
; %bb.396:
	buffer_load_dword v61, off, s[20:23], 0 offset:64 ; 4-byte Folded Reload
	buffer_load_dword v62, off, s[20:23], 0 offset:68 ; 4-byte Folded Reload
	;; [unrolled: 1-line block ×8, first 2 shown]
	ds_read2_b64 v[99:102], v125 offset0:88 offset1:89
	buffer_load_dword v57, off, s[20:23], 0 offset:48 ; 4-byte Folded Reload
	buffer_load_dword v58, off, s[20:23], 0 offset:52 ; 4-byte Folded Reload
	;; [unrolled: 1-line block ×4, first 2 shown]
	s_waitcnt vmcnt(6)
	v_mul_f64 v[97:98], v[41:42], v[63:64]
	s_waitcnt vmcnt(4)
	v_mul_f64 v[63:64], v[43:44], v[63:64]
	v_fma_f64 v[97:98], v[43:44], v[61:62], v[97:98]
	v_fma_f64 v[61:62], v[41:42], v[61:62], -v[63:64]
	s_waitcnt lgkmcnt(0)
	v_mul_f64 v[63:64], v[101:102], v[97:98]
	v_fma_f64 v[63:64], v[99:100], v[61:62], -v[63:64]
	v_mul_f64 v[99:100], v[99:100], v[97:98]
	s_waitcnt vmcnt(2)
	v_add_f64 v[57:58], v[57:58], -v[63:64]
	v_fma_f64 v[99:100], v[101:102], v[61:62], v[99:100]
	s_waitcnt vmcnt(0)
	v_add_f64 v[59:60], v[59:60], -v[99:100]
	buffer_store_dword v57, off, s[20:23], 0 offset:48 ; 4-byte Folded Spill
	s_nop 0
	buffer_store_dword v58, off, s[20:23], 0 offset:52 ; 4-byte Folded Spill
	buffer_store_dword v59, off, s[20:23], 0 offset:56 ; 4-byte Folded Spill
	;; [unrolled: 1-line block ×3, first 2 shown]
	ds_read2_b64 v[99:102], v125 offset0:90 offset1:91
	buffer_load_dword v53, off, s[20:23], 0 offset:32 ; 4-byte Folded Reload
	buffer_load_dword v54, off, s[20:23], 0 offset:36 ; 4-byte Folded Reload
	;; [unrolled: 1-line block ×4, first 2 shown]
	s_waitcnt lgkmcnt(0)
	v_mul_f64 v[63:64], v[101:102], v[97:98]
	v_fma_f64 v[63:64], v[99:100], v[61:62], -v[63:64]
	v_mul_f64 v[99:100], v[99:100], v[97:98]
	v_fma_f64 v[99:100], v[101:102], v[61:62], v[99:100]
	s_waitcnt vmcnt(2)
	v_add_f64 v[53:54], v[53:54], -v[63:64]
	s_waitcnt vmcnt(0)
	v_add_f64 v[55:56], v[55:56], -v[99:100]
	buffer_store_dword v53, off, s[20:23], 0 offset:32 ; 4-byte Folded Spill
	s_nop 0
	buffer_store_dword v54, off, s[20:23], 0 offset:36 ; 4-byte Folded Spill
	buffer_store_dword v55, off, s[20:23], 0 offset:40 ; 4-byte Folded Spill
	;; [unrolled: 1-line block ×3, first 2 shown]
	ds_read2_b64 v[99:102], v125 offset0:92 offset1:93
	buffer_load_dword v49, off, s[20:23], 0 offset:16 ; 4-byte Folded Reload
	buffer_load_dword v50, off, s[20:23], 0 offset:20 ; 4-byte Folded Reload
	;; [unrolled: 1-line block ×4, first 2 shown]
	s_waitcnt lgkmcnt(0)
	v_mul_f64 v[63:64], v[101:102], v[97:98]
	v_fma_f64 v[63:64], v[99:100], v[61:62], -v[63:64]
	v_mul_f64 v[99:100], v[99:100], v[97:98]
	v_fma_f64 v[99:100], v[101:102], v[61:62], v[99:100]
	s_waitcnt vmcnt(2)
	v_add_f64 v[49:50], v[49:50], -v[63:64]
	s_waitcnt vmcnt(0)
	v_add_f64 v[51:52], v[51:52], -v[99:100]
	buffer_store_dword v49, off, s[20:23], 0 offset:16 ; 4-byte Folded Spill
	s_nop 0
	buffer_store_dword v50, off, s[20:23], 0 offset:20 ; 4-byte Folded Spill
	buffer_store_dword v51, off, s[20:23], 0 offset:24 ; 4-byte Folded Spill
	;; [unrolled: 1-line block ×3, first 2 shown]
	ds_read2_b64 v[99:102], v125 offset0:94 offset1:95
	buffer_load_dword v45, off, s[20:23], 0 ; 4-byte Folded Reload
	buffer_load_dword v46, off, s[20:23], 0 offset:4 ; 4-byte Folded Reload
	buffer_load_dword v47, off, s[20:23], 0 offset:8 ; 4-byte Folded Reload
	;; [unrolled: 1-line block ×3, first 2 shown]
	s_waitcnt lgkmcnt(0)
	v_mul_f64 v[63:64], v[101:102], v[97:98]
	v_fma_f64 v[63:64], v[99:100], v[61:62], -v[63:64]
	v_mul_f64 v[99:100], v[99:100], v[97:98]
	v_fma_f64 v[99:100], v[101:102], v[61:62], v[99:100]
	s_waitcnt vmcnt(2)
	v_add_f64 v[45:46], v[45:46], -v[63:64]
	s_waitcnt vmcnt(0)
	v_add_f64 v[47:48], v[47:48], -v[99:100]
	buffer_store_dword v45, off, s[20:23], 0 ; 4-byte Folded Spill
	s_nop 0
	buffer_store_dword v46, off, s[20:23], 0 offset:4 ; 4-byte Folded Spill
	buffer_store_dword v47, off, s[20:23], 0 offset:8 ; 4-byte Folded Spill
	;; [unrolled: 1-line block ×3, first 2 shown]
	ds_read2_b64 v[99:102], v125 offset0:96 offset1:97
	s_waitcnt lgkmcnt(0)
	v_mul_f64 v[63:64], v[101:102], v[97:98]
	v_fma_f64 v[63:64], v[99:100], v[61:62], -v[63:64]
	v_mul_f64 v[99:100], v[99:100], v[97:98]
	v_add_f64 v[113:114], v[113:114], -v[63:64]
	v_fma_f64 v[99:100], v[101:102], v[61:62], v[99:100]
	v_add_f64 v[115:116], v[115:116], -v[99:100]
	ds_read2_b64 v[99:102], v125 offset0:98 offset1:99
	s_waitcnt lgkmcnt(0)
	v_mul_f64 v[63:64], v[101:102], v[97:98]
	v_fma_f64 v[63:64], v[99:100], v[61:62], -v[63:64]
	v_mul_f64 v[99:100], v[99:100], v[97:98]
	v_add_f64 v[37:38], v[37:38], -v[63:64]
	v_fma_f64 v[99:100], v[101:102], v[61:62], v[99:100]
	v_add_f64 v[39:40], v[39:40], -v[99:100]
	;; [unrolled: 8-line block ×11, first 2 shown]
	ds_read2_b64 v[99:102], v125 offset0:118 offset1:119
	s_waitcnt lgkmcnt(0)
	v_mul_f64 v[63:64], v[101:102], v[97:98]
	v_fma_f64 v[63:64], v[99:100], v[61:62], -v[63:64]
	v_mul_f64 v[99:100], v[99:100], v[97:98]
	v_add_f64 v[121:122], v[121:122], -v[63:64]
	v_fma_f64 v[99:100], v[101:102], v[61:62], v[99:100]
	v_mov_b32_e32 v63, v97
	v_mov_b32_e32 v64, v98
	buffer_store_dword v61, off, s[20:23], 0 offset:64 ; 4-byte Folded Spill
	s_nop 0
	buffer_store_dword v62, off, s[20:23], 0 offset:68 ; 4-byte Folded Spill
	buffer_store_dword v63, off, s[20:23], 0 offset:72 ; 4-byte Folded Spill
	;; [unrolled: 1-line block ×3, first 2 shown]
	v_add_f64 v[123:124], v[123:124], -v[99:100]
.LBB119_397:
	s_or_b64 exec, exec, s[2:3]
	v_cmp_eq_u32_e32 vcc, 44, v0
	s_waitcnt vmcnt(0)
	s_barrier
	s_and_saveexec_b64 s[4:5], vcc
	s_cbranch_execz .LBB119_404
; %bb.398:
	buffer_load_dword v57, off, s[20:23], 0 offset:48 ; 4-byte Folded Reload
	buffer_load_dword v58, off, s[20:23], 0 offset:52 ; 4-byte Folded Reload
	buffer_load_dword v59, off, s[20:23], 0 offset:56 ; 4-byte Folded Reload
	buffer_load_dword v60, off, s[20:23], 0 offset:60 ; 4-byte Folded Reload
	s_waitcnt vmcnt(0)
	ds_write2_b64 v127, v[57:58], v[59:60] offset1:1
	buffer_load_dword v53, off, s[20:23], 0 offset:32 ; 4-byte Folded Reload
	buffer_load_dword v54, off, s[20:23], 0 offset:36 ; 4-byte Folded Reload
	;; [unrolled: 1-line block ×4, first 2 shown]
	s_waitcnt vmcnt(0)
	ds_write2_b64 v125, v[53:54], v[55:56] offset0:90 offset1:91
	buffer_load_dword v49, off, s[20:23], 0 offset:16 ; 4-byte Folded Reload
	buffer_load_dword v50, off, s[20:23], 0 offset:20 ; 4-byte Folded Reload
	;; [unrolled: 1-line block ×4, first 2 shown]
	s_waitcnt vmcnt(0)
	ds_write2_b64 v125, v[49:50], v[51:52] offset0:92 offset1:93
	buffer_load_dword v45, off, s[20:23], 0 ; 4-byte Folded Reload
	buffer_load_dword v46, off, s[20:23], 0 offset:4 ; 4-byte Folded Reload
	buffer_load_dword v47, off, s[20:23], 0 offset:8 ; 4-byte Folded Reload
	;; [unrolled: 1-line block ×3, first 2 shown]
	s_waitcnt vmcnt(0)
	ds_write2_b64 v125, v[45:46], v[47:48] offset0:94 offset1:95
	ds_write2_b64 v125, v[113:114], v[115:116] offset0:96 offset1:97
	;; [unrolled: 1-line block ×13, first 2 shown]
	ds_read2_b64 v[97:100], v127 offset1:1
	s_waitcnt lgkmcnt(0)
	v_cmp_neq_f64_e32 vcc, 0, v[97:98]
	v_cmp_neq_f64_e64 s[2:3], 0, v[99:100]
	s_or_b64 s[2:3], vcc, s[2:3]
	s_and_b64 exec, exec, s[2:3]
	s_cbranch_execz .LBB119_404
; %bb.399:
	v_cmp_ngt_f64_e64 s[2:3], |v[97:98]|, |v[99:100]|
                                        ; implicit-def: $vgpr101_vgpr102
	s_and_saveexec_b64 s[6:7], s[2:3]
	s_xor_b64 s[2:3], exec, s[6:7]
                                        ; implicit-def: $vgpr103_vgpr104
	s_cbranch_execz .LBB119_401
; %bb.400:
	v_div_scale_f64 v[101:102], s[6:7], v[99:100], v[99:100], v[97:98]
	v_rcp_f64_e32 v[103:104], v[101:102]
	v_fma_f64 v[105:106], -v[101:102], v[103:104], 1.0
	v_fma_f64 v[103:104], v[103:104], v[105:106], v[103:104]
	v_div_scale_f64 v[105:106], vcc, v[97:98], v[99:100], v[97:98]
	v_fma_f64 v[107:108], -v[101:102], v[103:104], 1.0
	v_fma_f64 v[103:104], v[103:104], v[107:108], v[103:104]
	v_mul_f64 v[107:108], v[105:106], v[103:104]
	v_fma_f64 v[101:102], -v[101:102], v[107:108], v[105:106]
	v_div_fmas_f64 v[101:102], v[101:102], v[103:104], v[107:108]
	v_div_fixup_f64 v[101:102], v[101:102], v[99:100], v[97:98]
	v_fma_f64 v[97:98], v[97:98], v[101:102], v[99:100]
	v_div_scale_f64 v[99:100], s[6:7], v[97:98], v[97:98], 1.0
	v_div_scale_f64 v[107:108], vcc, 1.0, v[97:98], 1.0
	v_rcp_f64_e32 v[103:104], v[99:100]
	v_fma_f64 v[105:106], -v[99:100], v[103:104], 1.0
	v_fma_f64 v[103:104], v[103:104], v[105:106], v[103:104]
	v_fma_f64 v[105:106], -v[99:100], v[103:104], 1.0
	v_fma_f64 v[103:104], v[103:104], v[105:106], v[103:104]
	v_mul_f64 v[105:106], v[107:108], v[103:104]
	v_fma_f64 v[99:100], -v[99:100], v[105:106], v[107:108]
	v_div_fmas_f64 v[99:100], v[99:100], v[103:104], v[105:106]
	v_div_fixup_f64 v[103:104], v[99:100], v[97:98], 1.0
                                        ; implicit-def: $vgpr97_vgpr98
	v_mul_f64 v[101:102], v[101:102], v[103:104]
	v_xor_b32_e32 v104, 0x80000000, v104
.LBB119_401:
	s_andn2_saveexec_b64 s[2:3], s[2:3]
	s_cbranch_execz .LBB119_403
; %bb.402:
	v_div_scale_f64 v[101:102], s[6:7], v[97:98], v[97:98], v[99:100]
	v_rcp_f64_e32 v[103:104], v[101:102]
	v_fma_f64 v[105:106], -v[101:102], v[103:104], 1.0
	v_fma_f64 v[103:104], v[103:104], v[105:106], v[103:104]
	v_div_scale_f64 v[105:106], vcc, v[99:100], v[97:98], v[99:100]
	v_fma_f64 v[107:108], -v[101:102], v[103:104], 1.0
	v_fma_f64 v[103:104], v[103:104], v[107:108], v[103:104]
	v_mul_f64 v[107:108], v[105:106], v[103:104]
	v_fma_f64 v[101:102], -v[101:102], v[107:108], v[105:106]
	v_div_fmas_f64 v[101:102], v[101:102], v[103:104], v[107:108]
	v_div_fixup_f64 v[103:104], v[101:102], v[97:98], v[99:100]
	v_fma_f64 v[97:98], v[99:100], v[103:104], v[97:98]
	v_div_scale_f64 v[99:100], s[6:7], v[97:98], v[97:98], 1.0
	v_div_scale_f64 v[107:108], vcc, 1.0, v[97:98], 1.0
	v_rcp_f64_e32 v[101:102], v[99:100]
	v_fma_f64 v[105:106], -v[99:100], v[101:102], 1.0
	v_fma_f64 v[101:102], v[101:102], v[105:106], v[101:102]
	v_fma_f64 v[105:106], -v[99:100], v[101:102], 1.0
	v_fma_f64 v[101:102], v[101:102], v[105:106], v[101:102]
	v_mul_f64 v[105:106], v[107:108], v[101:102]
	v_fma_f64 v[99:100], -v[99:100], v[105:106], v[107:108]
	v_div_fmas_f64 v[99:100], v[99:100], v[101:102], v[105:106]
	v_div_fixup_f64 v[101:102], v[99:100], v[97:98], 1.0
	v_mul_f64 v[103:104], v[103:104], -v[101:102]
.LBB119_403:
	s_or_b64 exec, exec, s[2:3]
	ds_write2_b64 v127, v[101:102], v[103:104] offset1:1
.LBB119_404:
	s_or_b64 exec, exec, s[4:5]
	s_waitcnt lgkmcnt(0)
	s_barrier
	ds_read2_b64 v[85:88], v127 offset1:1
	v_cmp_lt_u32_e32 vcc, 44, v0
	s_and_saveexec_b64 s[2:3], vcc
	s_cbranch_execz .LBB119_406
; %bb.405:
	buffer_load_dword v57, off, s[20:23], 0 offset:48 ; 4-byte Folded Reload
	buffer_load_dword v58, off, s[20:23], 0 offset:52 ; 4-byte Folded Reload
	buffer_load_dword v59, off, s[20:23], 0 offset:56 ; 4-byte Folded Reload
	buffer_load_dword v60, off, s[20:23], 0 offset:60 ; 4-byte Folded Reload
	ds_read2_b64 v[99:102], v125 offset0:90 offset1:91
	buffer_load_dword v53, off, s[20:23], 0 offset:32 ; 4-byte Folded Reload
	buffer_load_dword v54, off, s[20:23], 0 offset:36 ; 4-byte Folded Reload
	;; [unrolled: 1-line block ×4, first 2 shown]
	s_waitcnt vmcnt(4) lgkmcnt(1)
	v_mul_f64 v[97:98], v[85:86], v[59:60]
	v_mul_f64 v[59:60], v[87:88], v[59:60]
	v_fma_f64 v[97:98], v[87:88], v[57:58], v[97:98]
	v_fma_f64 v[57:58], v[85:86], v[57:58], -v[59:60]
	s_waitcnt lgkmcnt(0)
	v_mul_f64 v[59:60], v[101:102], v[97:98]
	v_fma_f64 v[59:60], v[99:100], v[57:58], -v[59:60]
	v_mul_f64 v[99:100], v[99:100], v[97:98]
	s_waitcnt vmcnt(2)
	v_add_f64 v[53:54], v[53:54], -v[59:60]
	v_fma_f64 v[99:100], v[101:102], v[57:58], v[99:100]
	s_waitcnt vmcnt(0)
	v_add_f64 v[55:56], v[55:56], -v[99:100]
	buffer_store_dword v53, off, s[20:23], 0 offset:32 ; 4-byte Folded Spill
	s_nop 0
	buffer_store_dword v54, off, s[20:23], 0 offset:36 ; 4-byte Folded Spill
	buffer_store_dword v55, off, s[20:23], 0 offset:40 ; 4-byte Folded Spill
	;; [unrolled: 1-line block ×3, first 2 shown]
	ds_read2_b64 v[99:102], v125 offset0:92 offset1:93
	buffer_load_dword v49, off, s[20:23], 0 offset:16 ; 4-byte Folded Reload
	buffer_load_dword v50, off, s[20:23], 0 offset:20 ; 4-byte Folded Reload
	buffer_load_dword v51, off, s[20:23], 0 offset:24 ; 4-byte Folded Reload
	buffer_load_dword v52, off, s[20:23], 0 offset:28 ; 4-byte Folded Reload
	s_waitcnt lgkmcnt(0)
	v_mul_f64 v[59:60], v[101:102], v[97:98]
	v_fma_f64 v[59:60], v[99:100], v[57:58], -v[59:60]
	v_mul_f64 v[99:100], v[99:100], v[97:98]
	v_fma_f64 v[99:100], v[101:102], v[57:58], v[99:100]
	s_waitcnt vmcnt(2)
	v_add_f64 v[49:50], v[49:50], -v[59:60]
	s_waitcnt vmcnt(0)
	v_add_f64 v[51:52], v[51:52], -v[99:100]
	buffer_store_dword v49, off, s[20:23], 0 offset:16 ; 4-byte Folded Spill
	s_nop 0
	buffer_store_dword v50, off, s[20:23], 0 offset:20 ; 4-byte Folded Spill
	buffer_store_dword v51, off, s[20:23], 0 offset:24 ; 4-byte Folded Spill
	buffer_store_dword v52, off, s[20:23], 0 offset:28 ; 4-byte Folded Spill
	ds_read2_b64 v[99:102], v125 offset0:94 offset1:95
	buffer_load_dword v45, off, s[20:23], 0 ; 4-byte Folded Reload
	buffer_load_dword v46, off, s[20:23], 0 offset:4 ; 4-byte Folded Reload
	buffer_load_dword v47, off, s[20:23], 0 offset:8 ; 4-byte Folded Reload
	;; [unrolled: 1-line block ×3, first 2 shown]
	s_waitcnt lgkmcnt(0)
	v_mul_f64 v[59:60], v[101:102], v[97:98]
	v_fma_f64 v[59:60], v[99:100], v[57:58], -v[59:60]
	v_mul_f64 v[99:100], v[99:100], v[97:98]
	v_fma_f64 v[99:100], v[101:102], v[57:58], v[99:100]
	s_waitcnt vmcnt(2)
	v_add_f64 v[45:46], v[45:46], -v[59:60]
	s_waitcnt vmcnt(0)
	v_add_f64 v[47:48], v[47:48], -v[99:100]
	buffer_store_dword v45, off, s[20:23], 0 ; 4-byte Folded Spill
	s_nop 0
	buffer_store_dword v46, off, s[20:23], 0 offset:4 ; 4-byte Folded Spill
	buffer_store_dword v47, off, s[20:23], 0 offset:8 ; 4-byte Folded Spill
	;; [unrolled: 1-line block ×3, first 2 shown]
	ds_read2_b64 v[99:102], v125 offset0:96 offset1:97
	s_waitcnt lgkmcnt(0)
	v_mul_f64 v[59:60], v[101:102], v[97:98]
	v_fma_f64 v[59:60], v[99:100], v[57:58], -v[59:60]
	v_mul_f64 v[99:100], v[99:100], v[97:98]
	v_add_f64 v[113:114], v[113:114], -v[59:60]
	v_fma_f64 v[99:100], v[101:102], v[57:58], v[99:100]
	v_add_f64 v[115:116], v[115:116], -v[99:100]
	ds_read2_b64 v[99:102], v125 offset0:98 offset1:99
	s_waitcnt lgkmcnt(0)
	v_mul_f64 v[59:60], v[101:102], v[97:98]
	v_fma_f64 v[59:60], v[99:100], v[57:58], -v[59:60]
	v_mul_f64 v[99:100], v[99:100], v[97:98]
	v_add_f64 v[37:38], v[37:38], -v[59:60]
	v_fma_f64 v[99:100], v[101:102], v[57:58], v[99:100]
	v_add_f64 v[39:40], v[39:40], -v[99:100]
	;; [unrolled: 8-line block ×11, first 2 shown]
	ds_read2_b64 v[99:102], v125 offset0:118 offset1:119
	s_waitcnt lgkmcnt(0)
	v_mul_f64 v[59:60], v[101:102], v[97:98]
	v_fma_f64 v[59:60], v[99:100], v[57:58], -v[59:60]
	v_mul_f64 v[99:100], v[99:100], v[97:98]
	v_add_f64 v[121:122], v[121:122], -v[59:60]
	v_fma_f64 v[99:100], v[101:102], v[57:58], v[99:100]
	v_mov_b32_e32 v59, v97
	v_mov_b32_e32 v60, v98
	buffer_store_dword v57, off, s[20:23], 0 offset:48 ; 4-byte Folded Spill
	s_nop 0
	buffer_store_dword v58, off, s[20:23], 0 offset:52 ; 4-byte Folded Spill
	buffer_store_dword v59, off, s[20:23], 0 offset:56 ; 4-byte Folded Spill
	;; [unrolled: 1-line block ×3, first 2 shown]
	v_add_f64 v[123:124], v[123:124], -v[99:100]
.LBB119_406:
	s_or_b64 exec, exec, s[2:3]
	v_cmp_eq_u32_e32 vcc, 45, v0
	s_waitcnt vmcnt(0) lgkmcnt(0)
	s_barrier
	s_and_saveexec_b64 s[4:5], vcc
	s_cbranch_execz .LBB119_413
; %bb.407:
	buffer_load_dword v53, off, s[20:23], 0 offset:32 ; 4-byte Folded Reload
	buffer_load_dword v54, off, s[20:23], 0 offset:36 ; 4-byte Folded Reload
	;; [unrolled: 1-line block ×4, first 2 shown]
	s_waitcnt vmcnt(0)
	ds_write2_b64 v127, v[53:54], v[55:56] offset1:1
	buffer_load_dword v49, off, s[20:23], 0 offset:16 ; 4-byte Folded Reload
	buffer_load_dword v50, off, s[20:23], 0 offset:20 ; 4-byte Folded Reload
	;; [unrolled: 1-line block ×4, first 2 shown]
	s_waitcnt vmcnt(0)
	ds_write2_b64 v125, v[49:50], v[51:52] offset0:92 offset1:93
	buffer_load_dword v45, off, s[20:23], 0 ; 4-byte Folded Reload
	buffer_load_dword v46, off, s[20:23], 0 offset:4 ; 4-byte Folded Reload
	buffer_load_dword v47, off, s[20:23], 0 offset:8 ; 4-byte Folded Reload
	;; [unrolled: 1-line block ×3, first 2 shown]
	s_waitcnt vmcnt(0)
	ds_write2_b64 v125, v[45:46], v[47:48] offset0:94 offset1:95
	ds_write2_b64 v125, v[113:114], v[115:116] offset0:96 offset1:97
	;; [unrolled: 1-line block ×13, first 2 shown]
	ds_read2_b64 v[97:100], v127 offset1:1
	s_waitcnt lgkmcnt(0)
	v_cmp_neq_f64_e32 vcc, 0, v[97:98]
	v_cmp_neq_f64_e64 s[2:3], 0, v[99:100]
	s_or_b64 s[2:3], vcc, s[2:3]
	s_and_b64 exec, exec, s[2:3]
	s_cbranch_execz .LBB119_413
; %bb.408:
	v_cmp_ngt_f64_e64 s[2:3], |v[97:98]|, |v[99:100]|
                                        ; implicit-def: $vgpr101_vgpr102
	s_and_saveexec_b64 s[6:7], s[2:3]
	s_xor_b64 s[2:3], exec, s[6:7]
                                        ; implicit-def: $vgpr103_vgpr104
	s_cbranch_execz .LBB119_410
; %bb.409:
	v_div_scale_f64 v[101:102], s[6:7], v[99:100], v[99:100], v[97:98]
	v_rcp_f64_e32 v[103:104], v[101:102]
	v_fma_f64 v[105:106], -v[101:102], v[103:104], 1.0
	v_fma_f64 v[103:104], v[103:104], v[105:106], v[103:104]
	v_div_scale_f64 v[105:106], vcc, v[97:98], v[99:100], v[97:98]
	v_fma_f64 v[107:108], -v[101:102], v[103:104], 1.0
	v_fma_f64 v[103:104], v[103:104], v[107:108], v[103:104]
	v_mul_f64 v[107:108], v[105:106], v[103:104]
	v_fma_f64 v[101:102], -v[101:102], v[107:108], v[105:106]
	v_div_fmas_f64 v[101:102], v[101:102], v[103:104], v[107:108]
	v_div_fixup_f64 v[101:102], v[101:102], v[99:100], v[97:98]
	v_fma_f64 v[97:98], v[97:98], v[101:102], v[99:100]
	v_div_scale_f64 v[99:100], s[6:7], v[97:98], v[97:98], 1.0
	v_div_scale_f64 v[107:108], vcc, 1.0, v[97:98], 1.0
	v_rcp_f64_e32 v[103:104], v[99:100]
	v_fma_f64 v[105:106], -v[99:100], v[103:104], 1.0
	v_fma_f64 v[103:104], v[103:104], v[105:106], v[103:104]
	v_fma_f64 v[105:106], -v[99:100], v[103:104], 1.0
	v_fma_f64 v[103:104], v[103:104], v[105:106], v[103:104]
	v_mul_f64 v[105:106], v[107:108], v[103:104]
	v_fma_f64 v[99:100], -v[99:100], v[105:106], v[107:108]
	v_div_fmas_f64 v[99:100], v[99:100], v[103:104], v[105:106]
	v_div_fixup_f64 v[103:104], v[99:100], v[97:98], 1.0
                                        ; implicit-def: $vgpr97_vgpr98
	v_mul_f64 v[101:102], v[101:102], v[103:104]
	v_xor_b32_e32 v104, 0x80000000, v104
.LBB119_410:
	s_andn2_saveexec_b64 s[2:3], s[2:3]
	s_cbranch_execz .LBB119_412
; %bb.411:
	v_div_scale_f64 v[101:102], s[6:7], v[97:98], v[97:98], v[99:100]
	v_rcp_f64_e32 v[103:104], v[101:102]
	v_fma_f64 v[105:106], -v[101:102], v[103:104], 1.0
	v_fma_f64 v[103:104], v[103:104], v[105:106], v[103:104]
	v_div_scale_f64 v[105:106], vcc, v[99:100], v[97:98], v[99:100]
	v_fma_f64 v[107:108], -v[101:102], v[103:104], 1.0
	v_fma_f64 v[103:104], v[103:104], v[107:108], v[103:104]
	v_mul_f64 v[107:108], v[105:106], v[103:104]
	v_fma_f64 v[101:102], -v[101:102], v[107:108], v[105:106]
	v_div_fmas_f64 v[101:102], v[101:102], v[103:104], v[107:108]
	v_div_fixup_f64 v[103:104], v[101:102], v[97:98], v[99:100]
	v_fma_f64 v[97:98], v[99:100], v[103:104], v[97:98]
	v_div_scale_f64 v[99:100], s[6:7], v[97:98], v[97:98], 1.0
	v_div_scale_f64 v[107:108], vcc, 1.0, v[97:98], 1.0
	v_rcp_f64_e32 v[101:102], v[99:100]
	v_fma_f64 v[105:106], -v[99:100], v[101:102], 1.0
	v_fma_f64 v[101:102], v[101:102], v[105:106], v[101:102]
	v_fma_f64 v[105:106], -v[99:100], v[101:102], 1.0
	v_fma_f64 v[101:102], v[101:102], v[105:106], v[101:102]
	v_mul_f64 v[105:106], v[107:108], v[101:102]
	v_fma_f64 v[99:100], -v[99:100], v[105:106], v[107:108]
	v_div_fmas_f64 v[99:100], v[99:100], v[101:102], v[105:106]
	v_div_fixup_f64 v[101:102], v[99:100], v[97:98], 1.0
	v_mul_f64 v[103:104], v[103:104], -v[101:102]
.LBB119_412:
	s_or_b64 exec, exec, s[2:3]
	ds_write2_b64 v127, v[101:102], v[103:104] offset1:1
.LBB119_413:
	s_or_b64 exec, exec, s[4:5]
	s_waitcnt lgkmcnt(0)
	s_barrier
	ds_read2_b64 v[89:92], v127 offset1:1
	v_cmp_lt_u32_e32 vcc, 45, v0
	s_and_saveexec_b64 s[2:3], vcc
	s_cbranch_execz .LBB119_415
; %bb.414:
	buffer_load_dword v53, off, s[20:23], 0 offset:32 ; 4-byte Folded Reload
	buffer_load_dword v54, off, s[20:23], 0 offset:36 ; 4-byte Folded Reload
	;; [unrolled: 1-line block ×4, first 2 shown]
	ds_read2_b64 v[99:102], v125 offset0:92 offset1:93
	buffer_load_dword v49, off, s[20:23], 0 offset:16 ; 4-byte Folded Reload
	buffer_load_dword v50, off, s[20:23], 0 offset:20 ; 4-byte Folded Reload
	;; [unrolled: 1-line block ×4, first 2 shown]
	s_waitcnt vmcnt(4) lgkmcnt(1)
	v_mul_f64 v[97:98], v[89:90], v[55:56]
	v_mul_f64 v[55:56], v[91:92], v[55:56]
	v_fma_f64 v[97:98], v[91:92], v[53:54], v[97:98]
	v_fma_f64 v[53:54], v[89:90], v[53:54], -v[55:56]
	s_waitcnt lgkmcnt(0)
	v_mul_f64 v[55:56], v[101:102], v[97:98]
	v_fma_f64 v[55:56], v[99:100], v[53:54], -v[55:56]
	v_mul_f64 v[99:100], v[99:100], v[97:98]
	s_waitcnt vmcnt(2)
	v_add_f64 v[49:50], v[49:50], -v[55:56]
	v_fma_f64 v[99:100], v[101:102], v[53:54], v[99:100]
	s_waitcnt vmcnt(0)
	v_add_f64 v[51:52], v[51:52], -v[99:100]
	buffer_store_dword v49, off, s[20:23], 0 offset:16 ; 4-byte Folded Spill
	s_nop 0
	buffer_store_dword v50, off, s[20:23], 0 offset:20 ; 4-byte Folded Spill
	buffer_store_dword v51, off, s[20:23], 0 offset:24 ; 4-byte Folded Spill
	;; [unrolled: 1-line block ×3, first 2 shown]
	ds_read2_b64 v[99:102], v125 offset0:94 offset1:95
	buffer_load_dword v45, off, s[20:23], 0 ; 4-byte Folded Reload
	buffer_load_dword v46, off, s[20:23], 0 offset:4 ; 4-byte Folded Reload
	buffer_load_dword v47, off, s[20:23], 0 offset:8 ; 4-byte Folded Reload
	;; [unrolled: 1-line block ×3, first 2 shown]
	s_waitcnt lgkmcnt(0)
	v_mul_f64 v[55:56], v[101:102], v[97:98]
	v_fma_f64 v[55:56], v[99:100], v[53:54], -v[55:56]
	v_mul_f64 v[99:100], v[99:100], v[97:98]
	v_fma_f64 v[99:100], v[101:102], v[53:54], v[99:100]
	s_waitcnt vmcnt(2)
	v_add_f64 v[45:46], v[45:46], -v[55:56]
	s_waitcnt vmcnt(0)
	v_add_f64 v[47:48], v[47:48], -v[99:100]
	buffer_store_dword v45, off, s[20:23], 0 ; 4-byte Folded Spill
	s_nop 0
	buffer_store_dword v46, off, s[20:23], 0 offset:4 ; 4-byte Folded Spill
	buffer_store_dword v47, off, s[20:23], 0 offset:8 ; 4-byte Folded Spill
	;; [unrolled: 1-line block ×3, first 2 shown]
	ds_read2_b64 v[99:102], v125 offset0:96 offset1:97
	s_waitcnt lgkmcnt(0)
	v_mul_f64 v[55:56], v[101:102], v[97:98]
	v_fma_f64 v[55:56], v[99:100], v[53:54], -v[55:56]
	v_mul_f64 v[99:100], v[99:100], v[97:98]
	v_add_f64 v[113:114], v[113:114], -v[55:56]
	v_fma_f64 v[99:100], v[101:102], v[53:54], v[99:100]
	v_add_f64 v[115:116], v[115:116], -v[99:100]
	ds_read2_b64 v[99:102], v125 offset0:98 offset1:99
	s_waitcnt lgkmcnt(0)
	v_mul_f64 v[55:56], v[101:102], v[97:98]
	v_fma_f64 v[55:56], v[99:100], v[53:54], -v[55:56]
	v_mul_f64 v[99:100], v[99:100], v[97:98]
	v_add_f64 v[37:38], v[37:38], -v[55:56]
	v_fma_f64 v[99:100], v[101:102], v[53:54], v[99:100]
	v_add_f64 v[39:40], v[39:40], -v[99:100]
	;; [unrolled: 8-line block ×11, first 2 shown]
	ds_read2_b64 v[99:102], v125 offset0:118 offset1:119
	s_waitcnt lgkmcnt(0)
	v_mul_f64 v[55:56], v[101:102], v[97:98]
	v_fma_f64 v[55:56], v[99:100], v[53:54], -v[55:56]
	v_mul_f64 v[99:100], v[99:100], v[97:98]
	v_add_f64 v[121:122], v[121:122], -v[55:56]
	v_fma_f64 v[99:100], v[101:102], v[53:54], v[99:100]
	v_mov_b32_e32 v55, v97
	v_mov_b32_e32 v56, v98
	buffer_store_dword v53, off, s[20:23], 0 offset:32 ; 4-byte Folded Spill
	s_nop 0
	buffer_store_dword v54, off, s[20:23], 0 offset:36 ; 4-byte Folded Spill
	buffer_store_dword v55, off, s[20:23], 0 offset:40 ; 4-byte Folded Spill
	;; [unrolled: 1-line block ×3, first 2 shown]
	v_add_f64 v[123:124], v[123:124], -v[99:100]
.LBB119_415:
	s_or_b64 exec, exec, s[2:3]
	v_cmp_eq_u32_e32 vcc, 46, v0
	s_waitcnt vmcnt(0) lgkmcnt(0)
	s_barrier
	s_and_saveexec_b64 s[4:5], vcc
	s_cbranch_execz .LBB119_422
; %bb.416:
	buffer_load_dword v49, off, s[20:23], 0 offset:16 ; 4-byte Folded Reload
	buffer_load_dword v50, off, s[20:23], 0 offset:20 ; 4-byte Folded Reload
	;; [unrolled: 1-line block ×4, first 2 shown]
	s_waitcnt vmcnt(0)
	ds_write2_b64 v127, v[49:50], v[51:52] offset1:1
	buffer_load_dword v45, off, s[20:23], 0 ; 4-byte Folded Reload
	buffer_load_dword v46, off, s[20:23], 0 offset:4 ; 4-byte Folded Reload
	buffer_load_dword v47, off, s[20:23], 0 offset:8 ; 4-byte Folded Reload
	;; [unrolled: 1-line block ×3, first 2 shown]
	s_waitcnt vmcnt(0)
	ds_write2_b64 v125, v[45:46], v[47:48] offset0:94 offset1:95
	ds_write2_b64 v125, v[113:114], v[115:116] offset0:96 offset1:97
	;; [unrolled: 1-line block ×13, first 2 shown]
	ds_read2_b64 v[97:100], v127 offset1:1
	s_waitcnt lgkmcnt(0)
	v_cmp_neq_f64_e32 vcc, 0, v[97:98]
	v_cmp_neq_f64_e64 s[2:3], 0, v[99:100]
	s_or_b64 s[2:3], vcc, s[2:3]
	s_and_b64 exec, exec, s[2:3]
	s_cbranch_execz .LBB119_422
; %bb.417:
	v_cmp_ngt_f64_e64 s[2:3], |v[97:98]|, |v[99:100]|
                                        ; implicit-def: $vgpr101_vgpr102
	s_and_saveexec_b64 s[6:7], s[2:3]
	s_xor_b64 s[2:3], exec, s[6:7]
                                        ; implicit-def: $vgpr103_vgpr104
	s_cbranch_execz .LBB119_419
; %bb.418:
	v_div_scale_f64 v[101:102], s[6:7], v[99:100], v[99:100], v[97:98]
	v_rcp_f64_e32 v[103:104], v[101:102]
	v_fma_f64 v[105:106], -v[101:102], v[103:104], 1.0
	v_fma_f64 v[103:104], v[103:104], v[105:106], v[103:104]
	v_div_scale_f64 v[105:106], vcc, v[97:98], v[99:100], v[97:98]
	v_fma_f64 v[107:108], -v[101:102], v[103:104], 1.0
	v_fma_f64 v[103:104], v[103:104], v[107:108], v[103:104]
	v_mul_f64 v[107:108], v[105:106], v[103:104]
	v_fma_f64 v[101:102], -v[101:102], v[107:108], v[105:106]
	v_div_fmas_f64 v[101:102], v[101:102], v[103:104], v[107:108]
	v_div_fixup_f64 v[101:102], v[101:102], v[99:100], v[97:98]
	v_fma_f64 v[97:98], v[97:98], v[101:102], v[99:100]
	v_div_scale_f64 v[99:100], s[6:7], v[97:98], v[97:98], 1.0
	v_div_scale_f64 v[107:108], vcc, 1.0, v[97:98], 1.0
	v_rcp_f64_e32 v[103:104], v[99:100]
	v_fma_f64 v[105:106], -v[99:100], v[103:104], 1.0
	v_fma_f64 v[103:104], v[103:104], v[105:106], v[103:104]
	v_fma_f64 v[105:106], -v[99:100], v[103:104], 1.0
	v_fma_f64 v[103:104], v[103:104], v[105:106], v[103:104]
	v_mul_f64 v[105:106], v[107:108], v[103:104]
	v_fma_f64 v[99:100], -v[99:100], v[105:106], v[107:108]
	v_div_fmas_f64 v[99:100], v[99:100], v[103:104], v[105:106]
	v_div_fixup_f64 v[103:104], v[99:100], v[97:98], 1.0
                                        ; implicit-def: $vgpr97_vgpr98
	v_mul_f64 v[101:102], v[101:102], v[103:104]
	v_xor_b32_e32 v104, 0x80000000, v104
.LBB119_419:
	s_andn2_saveexec_b64 s[2:3], s[2:3]
	s_cbranch_execz .LBB119_421
; %bb.420:
	v_div_scale_f64 v[101:102], s[6:7], v[97:98], v[97:98], v[99:100]
	v_rcp_f64_e32 v[103:104], v[101:102]
	v_fma_f64 v[105:106], -v[101:102], v[103:104], 1.0
	v_fma_f64 v[103:104], v[103:104], v[105:106], v[103:104]
	v_div_scale_f64 v[105:106], vcc, v[99:100], v[97:98], v[99:100]
	v_fma_f64 v[107:108], -v[101:102], v[103:104], 1.0
	v_fma_f64 v[103:104], v[103:104], v[107:108], v[103:104]
	v_mul_f64 v[107:108], v[105:106], v[103:104]
	v_fma_f64 v[101:102], -v[101:102], v[107:108], v[105:106]
	v_div_fmas_f64 v[101:102], v[101:102], v[103:104], v[107:108]
	v_div_fixup_f64 v[103:104], v[101:102], v[97:98], v[99:100]
	v_fma_f64 v[97:98], v[99:100], v[103:104], v[97:98]
	v_div_scale_f64 v[99:100], s[6:7], v[97:98], v[97:98], 1.0
	v_div_scale_f64 v[107:108], vcc, 1.0, v[97:98], 1.0
	v_rcp_f64_e32 v[101:102], v[99:100]
	v_fma_f64 v[105:106], -v[99:100], v[101:102], 1.0
	v_fma_f64 v[101:102], v[101:102], v[105:106], v[101:102]
	v_fma_f64 v[105:106], -v[99:100], v[101:102], 1.0
	v_fma_f64 v[101:102], v[101:102], v[105:106], v[101:102]
	v_mul_f64 v[105:106], v[107:108], v[101:102]
	v_fma_f64 v[99:100], -v[99:100], v[105:106], v[107:108]
	v_div_fmas_f64 v[99:100], v[99:100], v[101:102], v[105:106]
	v_div_fixup_f64 v[101:102], v[99:100], v[97:98], 1.0
	v_mul_f64 v[103:104], v[103:104], -v[101:102]
.LBB119_421:
	s_or_b64 exec, exec, s[2:3]
	ds_write2_b64 v127, v[101:102], v[103:104] offset1:1
.LBB119_422:
	s_or_b64 exec, exec, s[4:5]
	s_waitcnt lgkmcnt(0)
	s_barrier
	ds_read2_b64 v[109:112], v127 offset1:1
	v_cmp_lt_u32_e32 vcc, 46, v0
	s_and_saveexec_b64 s[2:3], vcc
	s_cbranch_execz .LBB119_424
; %bb.423:
	buffer_load_dword v49, off, s[20:23], 0 offset:16 ; 4-byte Folded Reload
	buffer_load_dword v50, off, s[20:23], 0 offset:20 ; 4-byte Folded Reload
	;; [unrolled: 1-line block ×4, first 2 shown]
	ds_read2_b64 v[99:102], v125 offset0:94 offset1:95
	buffer_load_dword v45, off, s[20:23], 0 ; 4-byte Folded Reload
	buffer_load_dword v46, off, s[20:23], 0 offset:4 ; 4-byte Folded Reload
	buffer_load_dword v47, off, s[20:23], 0 offset:8 ; 4-byte Folded Reload
	;; [unrolled: 1-line block ×3, first 2 shown]
	s_waitcnt vmcnt(4) lgkmcnt(1)
	v_mul_f64 v[97:98], v[109:110], v[51:52]
	v_mul_f64 v[51:52], v[111:112], v[51:52]
	v_fma_f64 v[97:98], v[111:112], v[49:50], v[97:98]
	v_fma_f64 v[49:50], v[109:110], v[49:50], -v[51:52]
	s_waitcnt lgkmcnt(0)
	v_mul_f64 v[51:52], v[101:102], v[97:98]
	v_fma_f64 v[51:52], v[99:100], v[49:50], -v[51:52]
	v_mul_f64 v[99:100], v[99:100], v[97:98]
	s_waitcnt vmcnt(2)
	v_add_f64 v[45:46], v[45:46], -v[51:52]
	v_fma_f64 v[99:100], v[101:102], v[49:50], v[99:100]
	s_waitcnt vmcnt(0)
	v_add_f64 v[47:48], v[47:48], -v[99:100]
	buffer_store_dword v45, off, s[20:23], 0 ; 4-byte Folded Spill
	s_nop 0
	buffer_store_dword v46, off, s[20:23], 0 offset:4 ; 4-byte Folded Spill
	buffer_store_dword v47, off, s[20:23], 0 offset:8 ; 4-byte Folded Spill
	;; [unrolled: 1-line block ×3, first 2 shown]
	ds_read2_b64 v[99:102], v125 offset0:96 offset1:97
	s_waitcnt lgkmcnt(0)
	v_mul_f64 v[51:52], v[101:102], v[97:98]
	v_fma_f64 v[51:52], v[99:100], v[49:50], -v[51:52]
	v_mul_f64 v[99:100], v[99:100], v[97:98]
	v_add_f64 v[113:114], v[113:114], -v[51:52]
	v_fma_f64 v[99:100], v[101:102], v[49:50], v[99:100]
	v_add_f64 v[115:116], v[115:116], -v[99:100]
	ds_read2_b64 v[99:102], v125 offset0:98 offset1:99
	s_waitcnt lgkmcnt(0)
	v_mul_f64 v[51:52], v[101:102], v[97:98]
	v_fma_f64 v[51:52], v[99:100], v[49:50], -v[51:52]
	v_mul_f64 v[99:100], v[99:100], v[97:98]
	v_add_f64 v[37:38], v[37:38], -v[51:52]
	v_fma_f64 v[99:100], v[101:102], v[49:50], v[99:100]
	v_add_f64 v[39:40], v[39:40], -v[99:100]
	;; [unrolled: 8-line block ×11, first 2 shown]
	ds_read2_b64 v[99:102], v125 offset0:118 offset1:119
	s_waitcnt lgkmcnt(0)
	v_mul_f64 v[51:52], v[101:102], v[97:98]
	v_fma_f64 v[51:52], v[99:100], v[49:50], -v[51:52]
	v_mul_f64 v[99:100], v[99:100], v[97:98]
	v_add_f64 v[121:122], v[121:122], -v[51:52]
	v_fma_f64 v[99:100], v[101:102], v[49:50], v[99:100]
	v_mov_b32_e32 v51, v97
	v_mov_b32_e32 v52, v98
	buffer_store_dword v49, off, s[20:23], 0 offset:16 ; 4-byte Folded Spill
	s_nop 0
	buffer_store_dword v50, off, s[20:23], 0 offset:20 ; 4-byte Folded Spill
	buffer_store_dword v51, off, s[20:23], 0 offset:24 ; 4-byte Folded Spill
	;; [unrolled: 1-line block ×3, first 2 shown]
	v_add_f64 v[123:124], v[123:124], -v[99:100]
.LBB119_424:
	s_or_b64 exec, exec, s[2:3]
	v_cmp_eq_u32_e32 vcc, 47, v0
	s_waitcnt vmcnt(0) lgkmcnt(0)
	s_barrier
	s_and_saveexec_b64 s[4:5], vcc
	s_cbranch_execz .LBB119_431
; %bb.425:
	buffer_load_dword v45, off, s[20:23], 0 ; 4-byte Folded Reload
	buffer_load_dword v46, off, s[20:23], 0 offset:4 ; 4-byte Folded Reload
	buffer_load_dword v47, off, s[20:23], 0 offset:8 ; 4-byte Folded Reload
	buffer_load_dword v48, off, s[20:23], 0 offset:12 ; 4-byte Folded Reload
	s_waitcnt vmcnt(0)
	ds_write2_b64 v127, v[45:46], v[47:48] offset1:1
	ds_write2_b64 v125, v[113:114], v[115:116] offset0:96 offset1:97
	ds_write2_b64 v125, v[37:38], v[39:40] offset0:98 offset1:99
	;; [unrolled: 1-line block ×12, first 2 shown]
	ds_read2_b64 v[97:100], v127 offset1:1
	s_waitcnt lgkmcnt(0)
	v_cmp_neq_f64_e32 vcc, 0, v[97:98]
	v_cmp_neq_f64_e64 s[2:3], 0, v[99:100]
	s_or_b64 s[2:3], vcc, s[2:3]
	s_and_b64 exec, exec, s[2:3]
	s_cbranch_execz .LBB119_431
; %bb.426:
	v_cmp_ngt_f64_e64 s[2:3], |v[97:98]|, |v[99:100]|
                                        ; implicit-def: $vgpr101_vgpr102
	s_and_saveexec_b64 s[6:7], s[2:3]
	s_xor_b64 s[2:3], exec, s[6:7]
                                        ; implicit-def: $vgpr103_vgpr104
	s_cbranch_execz .LBB119_428
; %bb.427:
	v_div_scale_f64 v[101:102], s[6:7], v[99:100], v[99:100], v[97:98]
	v_rcp_f64_e32 v[103:104], v[101:102]
	v_fma_f64 v[105:106], -v[101:102], v[103:104], 1.0
	v_fma_f64 v[103:104], v[103:104], v[105:106], v[103:104]
	v_div_scale_f64 v[105:106], vcc, v[97:98], v[99:100], v[97:98]
	v_fma_f64 v[107:108], -v[101:102], v[103:104], 1.0
	v_fma_f64 v[103:104], v[103:104], v[107:108], v[103:104]
	v_mul_f64 v[107:108], v[105:106], v[103:104]
	v_fma_f64 v[101:102], -v[101:102], v[107:108], v[105:106]
	v_div_fmas_f64 v[101:102], v[101:102], v[103:104], v[107:108]
	v_div_fixup_f64 v[101:102], v[101:102], v[99:100], v[97:98]
	v_fma_f64 v[97:98], v[97:98], v[101:102], v[99:100]
	v_div_scale_f64 v[99:100], s[6:7], v[97:98], v[97:98], 1.0
	v_div_scale_f64 v[107:108], vcc, 1.0, v[97:98], 1.0
	v_rcp_f64_e32 v[103:104], v[99:100]
	v_fma_f64 v[105:106], -v[99:100], v[103:104], 1.0
	v_fma_f64 v[103:104], v[103:104], v[105:106], v[103:104]
	v_fma_f64 v[105:106], -v[99:100], v[103:104], 1.0
	v_fma_f64 v[103:104], v[103:104], v[105:106], v[103:104]
	v_mul_f64 v[105:106], v[107:108], v[103:104]
	v_fma_f64 v[99:100], -v[99:100], v[105:106], v[107:108]
	v_div_fmas_f64 v[99:100], v[99:100], v[103:104], v[105:106]
	v_div_fixup_f64 v[103:104], v[99:100], v[97:98], 1.0
                                        ; implicit-def: $vgpr97_vgpr98
	v_mul_f64 v[101:102], v[101:102], v[103:104]
	v_xor_b32_e32 v104, 0x80000000, v104
.LBB119_428:
	s_andn2_saveexec_b64 s[2:3], s[2:3]
	s_cbranch_execz .LBB119_430
; %bb.429:
	v_div_scale_f64 v[101:102], s[6:7], v[97:98], v[97:98], v[99:100]
	v_rcp_f64_e32 v[103:104], v[101:102]
	v_fma_f64 v[105:106], -v[101:102], v[103:104], 1.0
	v_fma_f64 v[103:104], v[103:104], v[105:106], v[103:104]
	v_div_scale_f64 v[105:106], vcc, v[99:100], v[97:98], v[99:100]
	v_fma_f64 v[107:108], -v[101:102], v[103:104], 1.0
	v_fma_f64 v[103:104], v[103:104], v[107:108], v[103:104]
	v_mul_f64 v[107:108], v[105:106], v[103:104]
	v_fma_f64 v[101:102], -v[101:102], v[107:108], v[105:106]
	v_div_fmas_f64 v[101:102], v[101:102], v[103:104], v[107:108]
	v_div_fixup_f64 v[103:104], v[101:102], v[97:98], v[99:100]
	v_fma_f64 v[97:98], v[99:100], v[103:104], v[97:98]
	v_div_scale_f64 v[99:100], s[6:7], v[97:98], v[97:98], 1.0
	v_div_scale_f64 v[107:108], vcc, 1.0, v[97:98], 1.0
	v_rcp_f64_e32 v[101:102], v[99:100]
	v_fma_f64 v[105:106], -v[99:100], v[101:102], 1.0
	v_fma_f64 v[101:102], v[101:102], v[105:106], v[101:102]
	v_fma_f64 v[105:106], -v[99:100], v[101:102], 1.0
	v_fma_f64 v[101:102], v[101:102], v[105:106], v[101:102]
	v_mul_f64 v[105:106], v[107:108], v[101:102]
	v_fma_f64 v[99:100], -v[99:100], v[105:106], v[107:108]
	v_div_fmas_f64 v[99:100], v[99:100], v[101:102], v[105:106]
	v_div_fixup_f64 v[101:102], v[99:100], v[97:98], 1.0
	v_mul_f64 v[103:104], v[103:104], -v[101:102]
.LBB119_430:
	s_or_b64 exec, exec, s[2:3]
	ds_write2_b64 v127, v[101:102], v[103:104] offset1:1
.LBB119_431:
	s_or_b64 exec, exec, s[4:5]
	s_waitcnt lgkmcnt(0)
	s_barrier
	ds_read2_b64 v[81:84], v127 offset1:1
	v_cmp_lt_u32_e32 vcc, 47, v0
	s_and_saveexec_b64 s[2:3], vcc
	s_cbranch_execz .LBB119_433
; %bb.432:
	buffer_load_dword v45, off, s[20:23], 0 ; 4-byte Folded Reload
	buffer_load_dword v46, off, s[20:23], 0 offset:4 ; 4-byte Folded Reload
	buffer_load_dword v47, off, s[20:23], 0 offset:8 ; 4-byte Folded Reload
	;; [unrolled: 1-line block ×3, first 2 shown]
	ds_read2_b64 v[99:102], v125 offset0:96 offset1:97
	s_waitcnt vmcnt(0) lgkmcnt(1)
	v_mul_f64 v[97:98], v[81:82], v[47:48]
	v_mul_f64 v[47:48], v[83:84], v[47:48]
	v_fma_f64 v[97:98], v[83:84], v[45:46], v[97:98]
	v_fma_f64 v[45:46], v[81:82], v[45:46], -v[47:48]
	s_waitcnt lgkmcnt(0)
	v_mul_f64 v[47:48], v[101:102], v[97:98]
	v_fma_f64 v[47:48], v[99:100], v[45:46], -v[47:48]
	v_mul_f64 v[99:100], v[99:100], v[97:98]
	v_add_f64 v[113:114], v[113:114], -v[47:48]
	v_fma_f64 v[99:100], v[101:102], v[45:46], v[99:100]
	v_add_f64 v[115:116], v[115:116], -v[99:100]
	ds_read2_b64 v[99:102], v125 offset0:98 offset1:99
	s_waitcnt lgkmcnt(0)
	v_mul_f64 v[47:48], v[101:102], v[97:98]
	v_fma_f64 v[47:48], v[99:100], v[45:46], -v[47:48]
	v_mul_f64 v[99:100], v[99:100], v[97:98]
	v_add_f64 v[37:38], v[37:38], -v[47:48]
	v_fma_f64 v[99:100], v[101:102], v[45:46], v[99:100]
	v_add_f64 v[39:40], v[39:40], -v[99:100]
	ds_read2_b64 v[99:102], v125 offset0:100 offset1:101
	;; [unrolled: 8-line block ×11, first 2 shown]
	s_waitcnt lgkmcnt(0)
	v_mul_f64 v[47:48], v[101:102], v[97:98]
	v_fma_f64 v[47:48], v[99:100], v[45:46], -v[47:48]
	v_mul_f64 v[99:100], v[99:100], v[97:98]
	v_add_f64 v[121:122], v[121:122], -v[47:48]
	v_fma_f64 v[99:100], v[101:102], v[45:46], v[99:100]
	v_mov_b32_e32 v47, v97
	v_mov_b32_e32 v48, v98
	buffer_store_dword v45, off, s[20:23], 0 ; 4-byte Folded Spill
	s_nop 0
	buffer_store_dword v46, off, s[20:23], 0 offset:4 ; 4-byte Folded Spill
	buffer_store_dword v47, off, s[20:23], 0 offset:8 ; 4-byte Folded Spill
	;; [unrolled: 1-line block ×3, first 2 shown]
	v_add_f64 v[123:124], v[123:124], -v[99:100]
.LBB119_433:
	s_or_b64 exec, exec, s[2:3]
	v_cmp_eq_u32_e32 vcc, 48, v0
	s_waitcnt vmcnt(0) lgkmcnt(0)
	s_barrier
	s_and_saveexec_b64 s[4:5], vcc
	s_cbranch_execz .LBB119_440
; %bb.434:
	ds_write2_b64 v127, v[113:114], v[115:116] offset1:1
	ds_write2_b64 v125, v[37:38], v[39:40] offset0:98 offset1:99
	ds_write2_b64 v125, v[33:34], v[35:36] offset0:100 offset1:101
	;; [unrolled: 1-line block ×11, first 2 shown]
	ds_read2_b64 v[97:100], v127 offset1:1
	s_waitcnt lgkmcnt(0)
	v_cmp_neq_f64_e32 vcc, 0, v[97:98]
	v_cmp_neq_f64_e64 s[2:3], 0, v[99:100]
	s_or_b64 s[2:3], vcc, s[2:3]
	s_and_b64 exec, exec, s[2:3]
	s_cbranch_execz .LBB119_440
; %bb.435:
	v_cmp_ngt_f64_e64 s[2:3], |v[97:98]|, |v[99:100]|
                                        ; implicit-def: $vgpr101_vgpr102
	s_and_saveexec_b64 s[6:7], s[2:3]
	s_xor_b64 s[2:3], exec, s[6:7]
                                        ; implicit-def: $vgpr103_vgpr104
	s_cbranch_execz .LBB119_437
; %bb.436:
	v_div_scale_f64 v[101:102], s[6:7], v[99:100], v[99:100], v[97:98]
	v_rcp_f64_e32 v[103:104], v[101:102]
	v_fma_f64 v[105:106], -v[101:102], v[103:104], 1.0
	v_fma_f64 v[103:104], v[103:104], v[105:106], v[103:104]
	v_div_scale_f64 v[105:106], vcc, v[97:98], v[99:100], v[97:98]
	v_fma_f64 v[107:108], -v[101:102], v[103:104], 1.0
	v_fma_f64 v[103:104], v[103:104], v[107:108], v[103:104]
	v_mul_f64 v[107:108], v[105:106], v[103:104]
	v_fma_f64 v[101:102], -v[101:102], v[107:108], v[105:106]
	v_div_fmas_f64 v[101:102], v[101:102], v[103:104], v[107:108]
	v_div_fixup_f64 v[101:102], v[101:102], v[99:100], v[97:98]
	v_fma_f64 v[97:98], v[97:98], v[101:102], v[99:100]
	v_div_scale_f64 v[99:100], s[6:7], v[97:98], v[97:98], 1.0
	v_div_scale_f64 v[107:108], vcc, 1.0, v[97:98], 1.0
	v_rcp_f64_e32 v[103:104], v[99:100]
	v_fma_f64 v[105:106], -v[99:100], v[103:104], 1.0
	v_fma_f64 v[103:104], v[103:104], v[105:106], v[103:104]
	v_fma_f64 v[105:106], -v[99:100], v[103:104], 1.0
	v_fma_f64 v[103:104], v[103:104], v[105:106], v[103:104]
	v_mul_f64 v[105:106], v[107:108], v[103:104]
	v_fma_f64 v[99:100], -v[99:100], v[105:106], v[107:108]
	v_div_fmas_f64 v[99:100], v[99:100], v[103:104], v[105:106]
	v_div_fixup_f64 v[103:104], v[99:100], v[97:98], 1.0
                                        ; implicit-def: $vgpr97_vgpr98
	v_mul_f64 v[101:102], v[101:102], v[103:104]
	v_xor_b32_e32 v104, 0x80000000, v104
.LBB119_437:
	s_andn2_saveexec_b64 s[2:3], s[2:3]
	s_cbranch_execz .LBB119_439
; %bb.438:
	v_div_scale_f64 v[101:102], s[6:7], v[97:98], v[97:98], v[99:100]
	v_rcp_f64_e32 v[103:104], v[101:102]
	v_fma_f64 v[105:106], -v[101:102], v[103:104], 1.0
	v_fma_f64 v[103:104], v[103:104], v[105:106], v[103:104]
	v_div_scale_f64 v[105:106], vcc, v[99:100], v[97:98], v[99:100]
	v_fma_f64 v[107:108], -v[101:102], v[103:104], 1.0
	v_fma_f64 v[103:104], v[103:104], v[107:108], v[103:104]
	v_mul_f64 v[107:108], v[105:106], v[103:104]
	v_fma_f64 v[101:102], -v[101:102], v[107:108], v[105:106]
	v_div_fmas_f64 v[101:102], v[101:102], v[103:104], v[107:108]
	v_div_fixup_f64 v[103:104], v[101:102], v[97:98], v[99:100]
	v_fma_f64 v[97:98], v[99:100], v[103:104], v[97:98]
	v_div_scale_f64 v[99:100], s[6:7], v[97:98], v[97:98], 1.0
	v_div_scale_f64 v[107:108], vcc, 1.0, v[97:98], 1.0
	v_rcp_f64_e32 v[101:102], v[99:100]
	v_fma_f64 v[105:106], -v[99:100], v[101:102], 1.0
	v_fma_f64 v[101:102], v[101:102], v[105:106], v[101:102]
	v_fma_f64 v[105:106], -v[99:100], v[101:102], 1.0
	v_fma_f64 v[101:102], v[101:102], v[105:106], v[101:102]
	v_mul_f64 v[105:106], v[107:108], v[101:102]
	v_fma_f64 v[99:100], -v[99:100], v[105:106], v[107:108]
	v_div_fmas_f64 v[99:100], v[99:100], v[101:102], v[105:106]
	v_div_fixup_f64 v[101:102], v[99:100], v[97:98], 1.0
	v_mul_f64 v[103:104], v[103:104], -v[101:102]
.LBB119_439:
	s_or_b64 exec, exec, s[2:3]
	ds_write2_b64 v127, v[101:102], v[103:104] offset1:1
.LBB119_440:
	s_or_b64 exec, exec, s[4:5]
	s_waitcnt lgkmcnt(0)
	s_barrier
	ds_read2_b64 v[77:80], v127 offset1:1
	v_cmp_lt_u32_e32 vcc, 48, v0
	s_and_saveexec_b64 s[2:3], vcc
	s_cbranch_execz .LBB119_442
; %bb.441:
	s_waitcnt lgkmcnt(0)
	v_mul_f64 v[97:98], v[77:78], v[115:116]
	v_mul_f64 v[43:44], v[79:80], v[115:116]
	ds_read2_b64 v[99:102], v125 offset0:98 offset1:99
	v_fma_f64 v[97:98], v[79:80], v[113:114], v[97:98]
	v_fma_f64 v[113:114], v[77:78], v[113:114], -v[43:44]
	s_waitcnt lgkmcnt(0)
	v_mul_f64 v[43:44], v[101:102], v[97:98]
	v_mov_b32_e32 v116, v98
	v_mov_b32_e32 v115, v97
	v_fma_f64 v[43:44], v[99:100], v[113:114], -v[43:44]
	v_mul_f64 v[99:100], v[99:100], v[97:98]
	v_add_f64 v[37:38], v[37:38], -v[43:44]
	v_fma_f64 v[99:100], v[101:102], v[113:114], v[99:100]
	v_add_f64 v[39:40], v[39:40], -v[99:100]
	ds_read2_b64 v[99:102], v125 offset0:100 offset1:101
	s_waitcnt lgkmcnt(0)
	v_mul_f64 v[43:44], v[101:102], v[97:98]
	v_fma_f64 v[43:44], v[99:100], v[113:114], -v[43:44]
	v_mul_f64 v[99:100], v[99:100], v[97:98]
	v_add_f64 v[33:34], v[33:34], -v[43:44]
	v_fma_f64 v[99:100], v[101:102], v[113:114], v[99:100]
	v_add_f64 v[35:36], v[35:36], -v[99:100]
	ds_read2_b64 v[99:102], v125 offset0:102 offset1:103
	s_waitcnt lgkmcnt(0)
	v_mul_f64 v[43:44], v[101:102], v[97:98]
	;; [unrolled: 8-line block ×10, first 2 shown]
	v_fma_f64 v[43:44], v[99:100], v[113:114], -v[43:44]
	v_mul_f64 v[99:100], v[99:100], v[97:98]
	v_add_f64 v[121:122], v[121:122], -v[43:44]
	v_fma_f64 v[99:100], v[101:102], v[113:114], v[99:100]
	v_add_f64 v[123:124], v[123:124], -v[99:100]
.LBB119_442:
	s_or_b64 exec, exec, s[2:3]
	v_cmp_eq_u32_e32 vcc, 49, v0
	s_waitcnt lgkmcnt(0)
	s_barrier
	s_and_saveexec_b64 s[4:5], vcc
	s_cbranch_execz .LBB119_449
; %bb.443:
	ds_write2_b64 v127, v[37:38], v[39:40] offset1:1
	ds_write2_b64 v125, v[33:34], v[35:36] offset0:100 offset1:101
	ds_write2_b64 v125, v[29:30], v[31:32] offset0:102 offset1:103
	ds_write2_b64 v125, v[25:26], v[27:28] offset0:104 offset1:105
	ds_write2_b64 v125, v[21:22], v[23:24] offset0:106 offset1:107
	ds_write2_b64 v125, v[17:18], v[19:20] offset0:108 offset1:109
	ds_write2_b64 v125, v[13:14], v[15:16] offset0:110 offset1:111
	ds_write2_b64 v125, v[9:10], v[11:12] offset0:112 offset1:113
	ds_write2_b64 v125, v[5:6], v[7:8] offset0:114 offset1:115
	ds_write2_b64 v125, v[1:2], v[3:4] offset0:116 offset1:117
	ds_write2_b64 v125, v[121:122], v[123:124] offset0:118 offset1:119
	ds_read2_b64 v[97:100], v127 offset1:1
	s_waitcnt lgkmcnt(0)
	v_cmp_neq_f64_e32 vcc, 0, v[97:98]
	v_cmp_neq_f64_e64 s[2:3], 0, v[99:100]
	s_or_b64 s[2:3], vcc, s[2:3]
	s_and_b64 exec, exec, s[2:3]
	s_cbranch_execz .LBB119_449
; %bb.444:
	v_cmp_ngt_f64_e64 s[2:3], |v[97:98]|, |v[99:100]|
                                        ; implicit-def: $vgpr101_vgpr102
	s_and_saveexec_b64 s[6:7], s[2:3]
	s_xor_b64 s[2:3], exec, s[6:7]
                                        ; implicit-def: $vgpr103_vgpr104
	s_cbranch_execz .LBB119_446
; %bb.445:
	v_div_scale_f64 v[101:102], s[6:7], v[99:100], v[99:100], v[97:98]
	v_rcp_f64_e32 v[103:104], v[101:102]
	v_fma_f64 v[105:106], -v[101:102], v[103:104], 1.0
	v_fma_f64 v[103:104], v[103:104], v[105:106], v[103:104]
	v_div_scale_f64 v[105:106], vcc, v[97:98], v[99:100], v[97:98]
	v_fma_f64 v[107:108], -v[101:102], v[103:104], 1.0
	v_fma_f64 v[103:104], v[103:104], v[107:108], v[103:104]
	v_mul_f64 v[107:108], v[105:106], v[103:104]
	v_fma_f64 v[101:102], -v[101:102], v[107:108], v[105:106]
	v_div_fmas_f64 v[101:102], v[101:102], v[103:104], v[107:108]
	v_div_fixup_f64 v[101:102], v[101:102], v[99:100], v[97:98]
	v_fma_f64 v[97:98], v[97:98], v[101:102], v[99:100]
	v_div_scale_f64 v[99:100], s[6:7], v[97:98], v[97:98], 1.0
	v_div_scale_f64 v[107:108], vcc, 1.0, v[97:98], 1.0
	v_rcp_f64_e32 v[103:104], v[99:100]
	v_fma_f64 v[105:106], -v[99:100], v[103:104], 1.0
	v_fma_f64 v[103:104], v[103:104], v[105:106], v[103:104]
	v_fma_f64 v[105:106], -v[99:100], v[103:104], 1.0
	v_fma_f64 v[103:104], v[103:104], v[105:106], v[103:104]
	v_mul_f64 v[105:106], v[107:108], v[103:104]
	v_fma_f64 v[99:100], -v[99:100], v[105:106], v[107:108]
	v_div_fmas_f64 v[99:100], v[99:100], v[103:104], v[105:106]
	v_div_fixup_f64 v[103:104], v[99:100], v[97:98], 1.0
                                        ; implicit-def: $vgpr97_vgpr98
	v_mul_f64 v[101:102], v[101:102], v[103:104]
	v_xor_b32_e32 v104, 0x80000000, v104
.LBB119_446:
	s_andn2_saveexec_b64 s[2:3], s[2:3]
	s_cbranch_execz .LBB119_448
; %bb.447:
	v_div_scale_f64 v[101:102], s[6:7], v[97:98], v[97:98], v[99:100]
	v_rcp_f64_e32 v[103:104], v[101:102]
	v_fma_f64 v[105:106], -v[101:102], v[103:104], 1.0
	v_fma_f64 v[103:104], v[103:104], v[105:106], v[103:104]
	v_div_scale_f64 v[105:106], vcc, v[99:100], v[97:98], v[99:100]
	v_fma_f64 v[107:108], -v[101:102], v[103:104], 1.0
	v_fma_f64 v[103:104], v[103:104], v[107:108], v[103:104]
	v_mul_f64 v[107:108], v[105:106], v[103:104]
	v_fma_f64 v[101:102], -v[101:102], v[107:108], v[105:106]
	v_div_fmas_f64 v[101:102], v[101:102], v[103:104], v[107:108]
	v_div_fixup_f64 v[103:104], v[101:102], v[97:98], v[99:100]
	v_fma_f64 v[97:98], v[99:100], v[103:104], v[97:98]
	v_div_scale_f64 v[99:100], s[6:7], v[97:98], v[97:98], 1.0
	v_div_scale_f64 v[107:108], vcc, 1.0, v[97:98], 1.0
	v_rcp_f64_e32 v[101:102], v[99:100]
	v_fma_f64 v[105:106], -v[99:100], v[101:102], 1.0
	v_fma_f64 v[101:102], v[101:102], v[105:106], v[101:102]
	v_fma_f64 v[105:106], -v[99:100], v[101:102], 1.0
	v_fma_f64 v[101:102], v[101:102], v[105:106], v[101:102]
	v_mul_f64 v[105:106], v[107:108], v[101:102]
	v_fma_f64 v[99:100], -v[99:100], v[105:106], v[107:108]
	v_div_fmas_f64 v[99:100], v[99:100], v[101:102], v[105:106]
	v_div_fixup_f64 v[101:102], v[99:100], v[97:98], 1.0
	v_mul_f64 v[103:104], v[103:104], -v[101:102]
.LBB119_448:
	s_or_b64 exec, exec, s[2:3]
	ds_write2_b64 v127, v[101:102], v[103:104] offset1:1
.LBB119_449:
	s_or_b64 exec, exec, s[4:5]
	s_waitcnt lgkmcnt(0)
	s_barrier
	ds_read2_b64 v[73:76], v127 offset1:1
	v_cmp_lt_u32_e32 vcc, 49, v0
	s_and_saveexec_b64 s[2:3], vcc
	s_cbranch_execz .LBB119_451
; %bb.450:
	s_waitcnt lgkmcnt(0)
	v_mul_f64 v[97:98], v[73:74], v[39:40]
	v_mul_f64 v[39:40], v[75:76], v[39:40]
	ds_read2_b64 v[99:102], v125 offset0:100 offset1:101
	v_fma_f64 v[97:98], v[75:76], v[37:38], v[97:98]
	v_fma_f64 v[37:38], v[73:74], v[37:38], -v[39:40]
	s_waitcnt lgkmcnt(0)
	v_mul_f64 v[39:40], v[101:102], v[97:98]
	v_fma_f64 v[39:40], v[99:100], v[37:38], -v[39:40]
	v_mul_f64 v[99:100], v[99:100], v[97:98]
	v_add_f64 v[33:34], v[33:34], -v[39:40]
	v_fma_f64 v[99:100], v[101:102], v[37:38], v[99:100]
	v_add_f64 v[35:36], v[35:36], -v[99:100]
	ds_read2_b64 v[99:102], v125 offset0:102 offset1:103
	s_waitcnt lgkmcnt(0)
	v_mul_f64 v[39:40], v[101:102], v[97:98]
	v_fma_f64 v[39:40], v[99:100], v[37:38], -v[39:40]
	v_mul_f64 v[99:100], v[99:100], v[97:98]
	v_add_f64 v[29:30], v[29:30], -v[39:40]
	v_fma_f64 v[99:100], v[101:102], v[37:38], v[99:100]
	v_add_f64 v[31:32], v[31:32], -v[99:100]
	ds_read2_b64 v[99:102], v125 offset0:104 offset1:105
	;; [unrolled: 8-line block ×9, first 2 shown]
	s_waitcnt lgkmcnt(0)
	v_mul_f64 v[39:40], v[101:102], v[97:98]
	v_fma_f64 v[39:40], v[99:100], v[37:38], -v[39:40]
	v_mul_f64 v[99:100], v[99:100], v[97:98]
	v_add_f64 v[121:122], v[121:122], -v[39:40]
	v_fma_f64 v[99:100], v[101:102], v[37:38], v[99:100]
	v_mov_b32_e32 v39, v97
	v_mov_b32_e32 v40, v98
	v_add_f64 v[123:124], v[123:124], -v[99:100]
.LBB119_451:
	s_or_b64 exec, exec, s[2:3]
	v_cmp_eq_u32_e32 vcc, 50, v0
	s_waitcnt lgkmcnt(0)
	s_barrier
	s_and_saveexec_b64 s[4:5], vcc
	s_cbranch_execz .LBB119_458
; %bb.452:
	ds_write2_b64 v127, v[33:34], v[35:36] offset1:1
	ds_write2_b64 v125, v[29:30], v[31:32] offset0:102 offset1:103
	ds_write2_b64 v125, v[25:26], v[27:28] offset0:104 offset1:105
	;; [unrolled: 1-line block ×9, first 2 shown]
	ds_read2_b64 v[97:100], v127 offset1:1
	s_waitcnt lgkmcnt(0)
	v_cmp_neq_f64_e32 vcc, 0, v[97:98]
	v_cmp_neq_f64_e64 s[2:3], 0, v[99:100]
	s_or_b64 s[2:3], vcc, s[2:3]
	s_and_b64 exec, exec, s[2:3]
	s_cbranch_execz .LBB119_458
; %bb.453:
	v_cmp_ngt_f64_e64 s[2:3], |v[97:98]|, |v[99:100]|
                                        ; implicit-def: $vgpr101_vgpr102
	s_and_saveexec_b64 s[6:7], s[2:3]
	s_xor_b64 s[2:3], exec, s[6:7]
                                        ; implicit-def: $vgpr103_vgpr104
	s_cbranch_execz .LBB119_455
; %bb.454:
	v_div_scale_f64 v[101:102], s[6:7], v[99:100], v[99:100], v[97:98]
	v_rcp_f64_e32 v[103:104], v[101:102]
	v_fma_f64 v[105:106], -v[101:102], v[103:104], 1.0
	v_fma_f64 v[103:104], v[103:104], v[105:106], v[103:104]
	v_div_scale_f64 v[105:106], vcc, v[97:98], v[99:100], v[97:98]
	v_fma_f64 v[107:108], -v[101:102], v[103:104], 1.0
	v_fma_f64 v[103:104], v[103:104], v[107:108], v[103:104]
	v_mul_f64 v[107:108], v[105:106], v[103:104]
	v_fma_f64 v[101:102], -v[101:102], v[107:108], v[105:106]
	v_div_fmas_f64 v[101:102], v[101:102], v[103:104], v[107:108]
	v_div_fixup_f64 v[101:102], v[101:102], v[99:100], v[97:98]
	v_fma_f64 v[97:98], v[97:98], v[101:102], v[99:100]
	v_div_scale_f64 v[99:100], s[6:7], v[97:98], v[97:98], 1.0
	v_div_scale_f64 v[107:108], vcc, 1.0, v[97:98], 1.0
	v_rcp_f64_e32 v[103:104], v[99:100]
	v_fma_f64 v[105:106], -v[99:100], v[103:104], 1.0
	v_fma_f64 v[103:104], v[103:104], v[105:106], v[103:104]
	v_fma_f64 v[105:106], -v[99:100], v[103:104], 1.0
	v_fma_f64 v[103:104], v[103:104], v[105:106], v[103:104]
	v_mul_f64 v[105:106], v[107:108], v[103:104]
	v_fma_f64 v[99:100], -v[99:100], v[105:106], v[107:108]
	v_div_fmas_f64 v[99:100], v[99:100], v[103:104], v[105:106]
	v_div_fixup_f64 v[103:104], v[99:100], v[97:98], 1.0
                                        ; implicit-def: $vgpr97_vgpr98
	v_mul_f64 v[101:102], v[101:102], v[103:104]
	v_xor_b32_e32 v104, 0x80000000, v104
.LBB119_455:
	s_andn2_saveexec_b64 s[2:3], s[2:3]
	s_cbranch_execz .LBB119_457
; %bb.456:
	v_div_scale_f64 v[101:102], s[6:7], v[97:98], v[97:98], v[99:100]
	v_rcp_f64_e32 v[103:104], v[101:102]
	v_fma_f64 v[105:106], -v[101:102], v[103:104], 1.0
	v_fma_f64 v[103:104], v[103:104], v[105:106], v[103:104]
	v_div_scale_f64 v[105:106], vcc, v[99:100], v[97:98], v[99:100]
	v_fma_f64 v[107:108], -v[101:102], v[103:104], 1.0
	v_fma_f64 v[103:104], v[103:104], v[107:108], v[103:104]
	v_mul_f64 v[107:108], v[105:106], v[103:104]
	v_fma_f64 v[101:102], -v[101:102], v[107:108], v[105:106]
	v_div_fmas_f64 v[101:102], v[101:102], v[103:104], v[107:108]
	v_div_fixup_f64 v[103:104], v[101:102], v[97:98], v[99:100]
	v_fma_f64 v[97:98], v[99:100], v[103:104], v[97:98]
	v_div_scale_f64 v[99:100], s[6:7], v[97:98], v[97:98], 1.0
	v_div_scale_f64 v[107:108], vcc, 1.0, v[97:98], 1.0
	v_rcp_f64_e32 v[101:102], v[99:100]
	v_fma_f64 v[105:106], -v[99:100], v[101:102], 1.0
	v_fma_f64 v[101:102], v[101:102], v[105:106], v[101:102]
	v_fma_f64 v[105:106], -v[99:100], v[101:102], 1.0
	v_fma_f64 v[101:102], v[101:102], v[105:106], v[101:102]
	v_mul_f64 v[105:106], v[107:108], v[101:102]
	v_fma_f64 v[99:100], -v[99:100], v[105:106], v[107:108]
	v_div_fmas_f64 v[99:100], v[99:100], v[101:102], v[105:106]
	v_div_fixup_f64 v[101:102], v[99:100], v[97:98], 1.0
	v_mul_f64 v[103:104], v[103:104], -v[101:102]
.LBB119_457:
	s_or_b64 exec, exec, s[2:3]
	ds_write2_b64 v127, v[101:102], v[103:104] offset1:1
.LBB119_458:
	s_or_b64 exec, exec, s[4:5]
	s_waitcnt lgkmcnt(0)
	s_barrier
	ds_read2_b64 v[69:72], v127 offset1:1
	v_cmp_lt_u32_e32 vcc, 50, v0
	s_and_saveexec_b64 s[2:3], vcc
	s_cbranch_execz .LBB119_460
; %bb.459:
	s_waitcnt lgkmcnt(0)
	v_mul_f64 v[97:98], v[69:70], v[35:36]
	v_mul_f64 v[35:36], v[71:72], v[35:36]
	ds_read2_b64 v[99:102], v125 offset0:102 offset1:103
	v_fma_f64 v[97:98], v[71:72], v[33:34], v[97:98]
	v_fma_f64 v[33:34], v[69:70], v[33:34], -v[35:36]
	s_waitcnt lgkmcnt(0)
	v_mul_f64 v[35:36], v[101:102], v[97:98]
	v_fma_f64 v[35:36], v[99:100], v[33:34], -v[35:36]
	v_mul_f64 v[99:100], v[99:100], v[97:98]
	v_add_f64 v[29:30], v[29:30], -v[35:36]
	v_fma_f64 v[99:100], v[101:102], v[33:34], v[99:100]
	v_add_f64 v[31:32], v[31:32], -v[99:100]
	ds_read2_b64 v[99:102], v125 offset0:104 offset1:105
	s_waitcnt lgkmcnt(0)
	v_mul_f64 v[35:36], v[101:102], v[97:98]
	v_fma_f64 v[35:36], v[99:100], v[33:34], -v[35:36]
	v_mul_f64 v[99:100], v[99:100], v[97:98]
	v_add_f64 v[25:26], v[25:26], -v[35:36]
	v_fma_f64 v[99:100], v[101:102], v[33:34], v[99:100]
	v_add_f64 v[27:28], v[27:28], -v[99:100]
	ds_read2_b64 v[99:102], v125 offset0:106 offset1:107
	;; [unrolled: 8-line block ×8, first 2 shown]
	s_waitcnt lgkmcnt(0)
	v_mul_f64 v[35:36], v[101:102], v[97:98]
	v_fma_f64 v[35:36], v[99:100], v[33:34], -v[35:36]
	v_mul_f64 v[99:100], v[99:100], v[97:98]
	v_add_f64 v[121:122], v[121:122], -v[35:36]
	v_fma_f64 v[99:100], v[101:102], v[33:34], v[99:100]
	v_mov_b32_e32 v35, v97
	v_mov_b32_e32 v36, v98
	v_add_f64 v[123:124], v[123:124], -v[99:100]
.LBB119_460:
	s_or_b64 exec, exec, s[2:3]
	v_cmp_eq_u32_e32 vcc, 51, v0
	s_waitcnt lgkmcnt(0)
	s_barrier
	s_and_saveexec_b64 s[4:5], vcc
	s_cbranch_execz .LBB119_467
; %bb.461:
	ds_write2_b64 v127, v[29:30], v[31:32] offset1:1
	ds_write2_b64 v125, v[25:26], v[27:28] offset0:104 offset1:105
	ds_write2_b64 v125, v[21:22], v[23:24] offset0:106 offset1:107
	ds_write2_b64 v125, v[17:18], v[19:20] offset0:108 offset1:109
	ds_write2_b64 v125, v[13:14], v[15:16] offset0:110 offset1:111
	ds_write2_b64 v125, v[9:10], v[11:12] offset0:112 offset1:113
	ds_write2_b64 v125, v[5:6], v[7:8] offset0:114 offset1:115
	ds_write2_b64 v125, v[1:2], v[3:4] offset0:116 offset1:117
	ds_write2_b64 v125, v[121:122], v[123:124] offset0:118 offset1:119
	ds_read2_b64 v[97:100], v127 offset1:1
	s_waitcnt lgkmcnt(0)
	v_cmp_neq_f64_e32 vcc, 0, v[97:98]
	v_cmp_neq_f64_e64 s[2:3], 0, v[99:100]
	s_or_b64 s[2:3], vcc, s[2:3]
	s_and_b64 exec, exec, s[2:3]
	s_cbranch_execz .LBB119_467
; %bb.462:
	v_cmp_ngt_f64_e64 s[2:3], |v[97:98]|, |v[99:100]|
                                        ; implicit-def: $vgpr101_vgpr102
	s_and_saveexec_b64 s[6:7], s[2:3]
	s_xor_b64 s[2:3], exec, s[6:7]
                                        ; implicit-def: $vgpr103_vgpr104
	s_cbranch_execz .LBB119_464
; %bb.463:
	v_div_scale_f64 v[101:102], s[6:7], v[99:100], v[99:100], v[97:98]
	v_rcp_f64_e32 v[103:104], v[101:102]
	v_fma_f64 v[105:106], -v[101:102], v[103:104], 1.0
	v_fma_f64 v[103:104], v[103:104], v[105:106], v[103:104]
	v_div_scale_f64 v[105:106], vcc, v[97:98], v[99:100], v[97:98]
	v_fma_f64 v[107:108], -v[101:102], v[103:104], 1.0
	v_fma_f64 v[103:104], v[103:104], v[107:108], v[103:104]
	v_mul_f64 v[107:108], v[105:106], v[103:104]
	v_fma_f64 v[101:102], -v[101:102], v[107:108], v[105:106]
	v_div_fmas_f64 v[101:102], v[101:102], v[103:104], v[107:108]
	v_div_fixup_f64 v[101:102], v[101:102], v[99:100], v[97:98]
	v_fma_f64 v[97:98], v[97:98], v[101:102], v[99:100]
	v_div_scale_f64 v[99:100], s[6:7], v[97:98], v[97:98], 1.0
	v_div_scale_f64 v[107:108], vcc, 1.0, v[97:98], 1.0
	v_rcp_f64_e32 v[103:104], v[99:100]
	v_fma_f64 v[105:106], -v[99:100], v[103:104], 1.0
	v_fma_f64 v[103:104], v[103:104], v[105:106], v[103:104]
	v_fma_f64 v[105:106], -v[99:100], v[103:104], 1.0
	v_fma_f64 v[103:104], v[103:104], v[105:106], v[103:104]
	v_mul_f64 v[105:106], v[107:108], v[103:104]
	v_fma_f64 v[99:100], -v[99:100], v[105:106], v[107:108]
	v_div_fmas_f64 v[99:100], v[99:100], v[103:104], v[105:106]
	v_div_fixup_f64 v[103:104], v[99:100], v[97:98], 1.0
                                        ; implicit-def: $vgpr97_vgpr98
	v_mul_f64 v[101:102], v[101:102], v[103:104]
	v_xor_b32_e32 v104, 0x80000000, v104
.LBB119_464:
	s_andn2_saveexec_b64 s[2:3], s[2:3]
	s_cbranch_execz .LBB119_466
; %bb.465:
	v_div_scale_f64 v[101:102], s[6:7], v[97:98], v[97:98], v[99:100]
	v_rcp_f64_e32 v[103:104], v[101:102]
	v_fma_f64 v[105:106], -v[101:102], v[103:104], 1.0
	v_fma_f64 v[103:104], v[103:104], v[105:106], v[103:104]
	v_div_scale_f64 v[105:106], vcc, v[99:100], v[97:98], v[99:100]
	v_fma_f64 v[107:108], -v[101:102], v[103:104], 1.0
	v_fma_f64 v[103:104], v[103:104], v[107:108], v[103:104]
	v_mul_f64 v[107:108], v[105:106], v[103:104]
	v_fma_f64 v[101:102], -v[101:102], v[107:108], v[105:106]
	v_div_fmas_f64 v[101:102], v[101:102], v[103:104], v[107:108]
	v_div_fixup_f64 v[103:104], v[101:102], v[97:98], v[99:100]
	v_fma_f64 v[97:98], v[99:100], v[103:104], v[97:98]
	v_div_scale_f64 v[99:100], s[6:7], v[97:98], v[97:98], 1.0
	v_div_scale_f64 v[107:108], vcc, 1.0, v[97:98], 1.0
	v_rcp_f64_e32 v[101:102], v[99:100]
	v_fma_f64 v[105:106], -v[99:100], v[101:102], 1.0
	v_fma_f64 v[101:102], v[101:102], v[105:106], v[101:102]
	v_fma_f64 v[105:106], -v[99:100], v[101:102], 1.0
	v_fma_f64 v[101:102], v[101:102], v[105:106], v[101:102]
	v_mul_f64 v[105:106], v[107:108], v[101:102]
	v_fma_f64 v[99:100], -v[99:100], v[105:106], v[107:108]
	v_div_fmas_f64 v[99:100], v[99:100], v[101:102], v[105:106]
	v_div_fixup_f64 v[101:102], v[99:100], v[97:98], 1.0
	v_mul_f64 v[103:104], v[103:104], -v[101:102]
.LBB119_466:
	s_or_b64 exec, exec, s[2:3]
	ds_write2_b64 v127, v[101:102], v[103:104] offset1:1
.LBB119_467:
	s_or_b64 exec, exec, s[4:5]
	s_waitcnt lgkmcnt(0)
	s_barrier
	ds_read2_b64 v[61:64], v127 offset1:1
	v_cmp_lt_u32_e32 vcc, 51, v0
	s_and_saveexec_b64 s[2:3], vcc
	s_cbranch_execz .LBB119_469
; %bb.468:
	s_waitcnt lgkmcnt(0)
	v_mul_f64 v[97:98], v[61:62], v[31:32]
	v_mul_f64 v[31:32], v[63:64], v[31:32]
	ds_read2_b64 v[99:102], v125 offset0:104 offset1:105
	v_fma_f64 v[97:98], v[63:64], v[29:30], v[97:98]
	v_fma_f64 v[29:30], v[61:62], v[29:30], -v[31:32]
	s_waitcnt lgkmcnt(0)
	v_mul_f64 v[31:32], v[101:102], v[97:98]
	v_fma_f64 v[31:32], v[99:100], v[29:30], -v[31:32]
	v_mul_f64 v[99:100], v[99:100], v[97:98]
	v_add_f64 v[25:26], v[25:26], -v[31:32]
	v_fma_f64 v[99:100], v[101:102], v[29:30], v[99:100]
	v_add_f64 v[27:28], v[27:28], -v[99:100]
	ds_read2_b64 v[99:102], v125 offset0:106 offset1:107
	s_waitcnt lgkmcnt(0)
	v_mul_f64 v[31:32], v[101:102], v[97:98]
	v_fma_f64 v[31:32], v[99:100], v[29:30], -v[31:32]
	v_mul_f64 v[99:100], v[99:100], v[97:98]
	v_add_f64 v[21:22], v[21:22], -v[31:32]
	v_fma_f64 v[99:100], v[101:102], v[29:30], v[99:100]
	v_add_f64 v[23:24], v[23:24], -v[99:100]
	ds_read2_b64 v[99:102], v125 offset0:108 offset1:109
	;; [unrolled: 8-line block ×7, first 2 shown]
	s_waitcnt lgkmcnt(0)
	v_mul_f64 v[31:32], v[101:102], v[97:98]
	v_fma_f64 v[31:32], v[99:100], v[29:30], -v[31:32]
	v_mul_f64 v[99:100], v[99:100], v[97:98]
	v_add_f64 v[121:122], v[121:122], -v[31:32]
	v_fma_f64 v[99:100], v[101:102], v[29:30], v[99:100]
	v_mov_b32_e32 v31, v97
	v_mov_b32_e32 v32, v98
	v_add_f64 v[123:124], v[123:124], -v[99:100]
.LBB119_469:
	s_or_b64 exec, exec, s[2:3]
	v_cmp_eq_u32_e32 vcc, 52, v0
	s_waitcnt lgkmcnt(0)
	s_barrier
	s_and_saveexec_b64 s[4:5], vcc
	s_cbranch_execz .LBB119_476
; %bb.470:
	ds_write2_b64 v127, v[25:26], v[27:28] offset1:1
	ds_write2_b64 v125, v[21:22], v[23:24] offset0:106 offset1:107
	ds_write2_b64 v125, v[17:18], v[19:20] offset0:108 offset1:109
	;; [unrolled: 1-line block ×7, first 2 shown]
	ds_read2_b64 v[97:100], v127 offset1:1
	s_waitcnt lgkmcnt(0)
	v_cmp_neq_f64_e32 vcc, 0, v[97:98]
	v_cmp_neq_f64_e64 s[2:3], 0, v[99:100]
	s_or_b64 s[2:3], vcc, s[2:3]
	s_and_b64 exec, exec, s[2:3]
	s_cbranch_execz .LBB119_476
; %bb.471:
	v_cmp_ngt_f64_e64 s[2:3], |v[97:98]|, |v[99:100]|
                                        ; implicit-def: $vgpr101_vgpr102
	s_and_saveexec_b64 s[6:7], s[2:3]
	s_xor_b64 s[2:3], exec, s[6:7]
                                        ; implicit-def: $vgpr103_vgpr104
	s_cbranch_execz .LBB119_473
; %bb.472:
	v_div_scale_f64 v[101:102], s[6:7], v[99:100], v[99:100], v[97:98]
	v_rcp_f64_e32 v[103:104], v[101:102]
	v_fma_f64 v[105:106], -v[101:102], v[103:104], 1.0
	v_fma_f64 v[103:104], v[103:104], v[105:106], v[103:104]
	v_div_scale_f64 v[105:106], vcc, v[97:98], v[99:100], v[97:98]
	v_fma_f64 v[107:108], -v[101:102], v[103:104], 1.0
	v_fma_f64 v[103:104], v[103:104], v[107:108], v[103:104]
	v_mul_f64 v[107:108], v[105:106], v[103:104]
	v_fma_f64 v[101:102], -v[101:102], v[107:108], v[105:106]
	v_div_fmas_f64 v[101:102], v[101:102], v[103:104], v[107:108]
	v_div_fixup_f64 v[101:102], v[101:102], v[99:100], v[97:98]
	v_fma_f64 v[97:98], v[97:98], v[101:102], v[99:100]
	v_div_scale_f64 v[99:100], s[6:7], v[97:98], v[97:98], 1.0
	v_div_scale_f64 v[107:108], vcc, 1.0, v[97:98], 1.0
	v_rcp_f64_e32 v[103:104], v[99:100]
	v_fma_f64 v[105:106], -v[99:100], v[103:104], 1.0
	v_fma_f64 v[103:104], v[103:104], v[105:106], v[103:104]
	v_fma_f64 v[105:106], -v[99:100], v[103:104], 1.0
	v_fma_f64 v[103:104], v[103:104], v[105:106], v[103:104]
	v_mul_f64 v[105:106], v[107:108], v[103:104]
	v_fma_f64 v[99:100], -v[99:100], v[105:106], v[107:108]
	v_div_fmas_f64 v[99:100], v[99:100], v[103:104], v[105:106]
	v_div_fixup_f64 v[103:104], v[99:100], v[97:98], 1.0
                                        ; implicit-def: $vgpr97_vgpr98
	v_mul_f64 v[101:102], v[101:102], v[103:104]
	v_xor_b32_e32 v104, 0x80000000, v104
.LBB119_473:
	s_andn2_saveexec_b64 s[2:3], s[2:3]
	s_cbranch_execz .LBB119_475
; %bb.474:
	v_div_scale_f64 v[101:102], s[6:7], v[97:98], v[97:98], v[99:100]
	v_rcp_f64_e32 v[103:104], v[101:102]
	v_fma_f64 v[105:106], -v[101:102], v[103:104], 1.0
	v_fma_f64 v[103:104], v[103:104], v[105:106], v[103:104]
	v_div_scale_f64 v[105:106], vcc, v[99:100], v[97:98], v[99:100]
	v_fma_f64 v[107:108], -v[101:102], v[103:104], 1.0
	v_fma_f64 v[103:104], v[103:104], v[107:108], v[103:104]
	v_mul_f64 v[107:108], v[105:106], v[103:104]
	v_fma_f64 v[101:102], -v[101:102], v[107:108], v[105:106]
	v_div_fmas_f64 v[101:102], v[101:102], v[103:104], v[107:108]
	v_div_fixup_f64 v[103:104], v[101:102], v[97:98], v[99:100]
	v_fma_f64 v[97:98], v[99:100], v[103:104], v[97:98]
	v_div_scale_f64 v[99:100], s[6:7], v[97:98], v[97:98], 1.0
	v_div_scale_f64 v[107:108], vcc, 1.0, v[97:98], 1.0
	v_rcp_f64_e32 v[101:102], v[99:100]
	v_fma_f64 v[105:106], -v[99:100], v[101:102], 1.0
	v_fma_f64 v[101:102], v[101:102], v[105:106], v[101:102]
	v_fma_f64 v[105:106], -v[99:100], v[101:102], 1.0
	v_fma_f64 v[101:102], v[101:102], v[105:106], v[101:102]
	v_mul_f64 v[105:106], v[107:108], v[101:102]
	v_fma_f64 v[99:100], -v[99:100], v[105:106], v[107:108]
	v_div_fmas_f64 v[99:100], v[99:100], v[101:102], v[105:106]
	v_div_fixup_f64 v[101:102], v[99:100], v[97:98], 1.0
	v_mul_f64 v[103:104], v[103:104], -v[101:102]
.LBB119_475:
	s_or_b64 exec, exec, s[2:3]
	ds_write2_b64 v127, v[101:102], v[103:104] offset1:1
.LBB119_476:
	s_or_b64 exec, exec, s[4:5]
	s_waitcnt lgkmcnt(0)
	s_barrier
	ds_read2_b64 v[57:60], v127 offset1:1
	v_cmp_lt_u32_e32 vcc, 52, v0
	s_and_saveexec_b64 s[2:3], vcc
	s_cbranch_execz .LBB119_478
; %bb.477:
	s_waitcnt lgkmcnt(0)
	v_mul_f64 v[97:98], v[57:58], v[27:28]
	v_mul_f64 v[27:28], v[59:60], v[27:28]
	ds_read2_b64 v[99:102], v125 offset0:106 offset1:107
	v_fma_f64 v[97:98], v[59:60], v[25:26], v[97:98]
	v_fma_f64 v[25:26], v[57:58], v[25:26], -v[27:28]
	s_waitcnt lgkmcnt(0)
	v_mul_f64 v[27:28], v[101:102], v[97:98]
	v_fma_f64 v[27:28], v[99:100], v[25:26], -v[27:28]
	v_mul_f64 v[99:100], v[99:100], v[97:98]
	v_add_f64 v[21:22], v[21:22], -v[27:28]
	v_fma_f64 v[99:100], v[101:102], v[25:26], v[99:100]
	v_add_f64 v[23:24], v[23:24], -v[99:100]
	ds_read2_b64 v[99:102], v125 offset0:108 offset1:109
	s_waitcnt lgkmcnt(0)
	v_mul_f64 v[27:28], v[101:102], v[97:98]
	v_fma_f64 v[27:28], v[99:100], v[25:26], -v[27:28]
	v_mul_f64 v[99:100], v[99:100], v[97:98]
	v_add_f64 v[17:18], v[17:18], -v[27:28]
	v_fma_f64 v[99:100], v[101:102], v[25:26], v[99:100]
	v_add_f64 v[19:20], v[19:20], -v[99:100]
	ds_read2_b64 v[99:102], v125 offset0:110 offset1:111
	;; [unrolled: 8-line block ×6, first 2 shown]
	s_waitcnt lgkmcnt(0)
	v_mul_f64 v[27:28], v[101:102], v[97:98]
	v_fma_f64 v[27:28], v[99:100], v[25:26], -v[27:28]
	v_mul_f64 v[99:100], v[99:100], v[97:98]
	v_add_f64 v[121:122], v[121:122], -v[27:28]
	v_fma_f64 v[99:100], v[101:102], v[25:26], v[99:100]
	v_mov_b32_e32 v27, v97
	v_mov_b32_e32 v28, v98
	v_add_f64 v[123:124], v[123:124], -v[99:100]
.LBB119_478:
	s_or_b64 exec, exec, s[2:3]
	v_cmp_eq_u32_e32 vcc, 53, v0
	s_waitcnt lgkmcnt(0)
	s_barrier
	s_and_saveexec_b64 s[4:5], vcc
	s_cbranch_execz .LBB119_485
; %bb.479:
	ds_write2_b64 v127, v[21:22], v[23:24] offset1:1
	ds_write2_b64 v125, v[17:18], v[19:20] offset0:108 offset1:109
	ds_write2_b64 v125, v[13:14], v[15:16] offset0:110 offset1:111
	ds_write2_b64 v125, v[9:10], v[11:12] offset0:112 offset1:113
	ds_write2_b64 v125, v[5:6], v[7:8] offset0:114 offset1:115
	ds_write2_b64 v125, v[1:2], v[3:4] offset0:116 offset1:117
	ds_write2_b64 v125, v[121:122], v[123:124] offset0:118 offset1:119
	ds_read2_b64 v[97:100], v127 offset1:1
	s_waitcnt lgkmcnt(0)
	v_cmp_neq_f64_e32 vcc, 0, v[97:98]
	v_cmp_neq_f64_e64 s[2:3], 0, v[99:100]
	s_or_b64 s[2:3], vcc, s[2:3]
	s_and_b64 exec, exec, s[2:3]
	s_cbranch_execz .LBB119_485
; %bb.480:
	v_cmp_ngt_f64_e64 s[2:3], |v[97:98]|, |v[99:100]|
                                        ; implicit-def: $vgpr101_vgpr102
	s_and_saveexec_b64 s[6:7], s[2:3]
	s_xor_b64 s[2:3], exec, s[6:7]
                                        ; implicit-def: $vgpr103_vgpr104
	s_cbranch_execz .LBB119_482
; %bb.481:
	v_div_scale_f64 v[101:102], s[6:7], v[99:100], v[99:100], v[97:98]
	v_rcp_f64_e32 v[103:104], v[101:102]
	v_fma_f64 v[105:106], -v[101:102], v[103:104], 1.0
	v_fma_f64 v[103:104], v[103:104], v[105:106], v[103:104]
	v_div_scale_f64 v[105:106], vcc, v[97:98], v[99:100], v[97:98]
	v_fma_f64 v[107:108], -v[101:102], v[103:104], 1.0
	v_fma_f64 v[103:104], v[103:104], v[107:108], v[103:104]
	v_mul_f64 v[107:108], v[105:106], v[103:104]
	v_fma_f64 v[101:102], -v[101:102], v[107:108], v[105:106]
	v_div_fmas_f64 v[101:102], v[101:102], v[103:104], v[107:108]
	v_div_fixup_f64 v[101:102], v[101:102], v[99:100], v[97:98]
	v_fma_f64 v[97:98], v[97:98], v[101:102], v[99:100]
	v_div_scale_f64 v[99:100], s[6:7], v[97:98], v[97:98], 1.0
	v_div_scale_f64 v[107:108], vcc, 1.0, v[97:98], 1.0
	v_rcp_f64_e32 v[103:104], v[99:100]
	v_fma_f64 v[105:106], -v[99:100], v[103:104], 1.0
	v_fma_f64 v[103:104], v[103:104], v[105:106], v[103:104]
	v_fma_f64 v[105:106], -v[99:100], v[103:104], 1.0
	v_fma_f64 v[103:104], v[103:104], v[105:106], v[103:104]
	v_mul_f64 v[105:106], v[107:108], v[103:104]
	v_fma_f64 v[99:100], -v[99:100], v[105:106], v[107:108]
	v_div_fmas_f64 v[99:100], v[99:100], v[103:104], v[105:106]
	v_div_fixup_f64 v[103:104], v[99:100], v[97:98], 1.0
                                        ; implicit-def: $vgpr97_vgpr98
	v_mul_f64 v[101:102], v[101:102], v[103:104]
	v_xor_b32_e32 v104, 0x80000000, v104
.LBB119_482:
	s_andn2_saveexec_b64 s[2:3], s[2:3]
	s_cbranch_execz .LBB119_484
; %bb.483:
	v_div_scale_f64 v[101:102], s[6:7], v[97:98], v[97:98], v[99:100]
	v_rcp_f64_e32 v[103:104], v[101:102]
	v_fma_f64 v[105:106], -v[101:102], v[103:104], 1.0
	v_fma_f64 v[103:104], v[103:104], v[105:106], v[103:104]
	v_div_scale_f64 v[105:106], vcc, v[99:100], v[97:98], v[99:100]
	v_fma_f64 v[107:108], -v[101:102], v[103:104], 1.0
	v_fma_f64 v[103:104], v[103:104], v[107:108], v[103:104]
	v_mul_f64 v[107:108], v[105:106], v[103:104]
	v_fma_f64 v[101:102], -v[101:102], v[107:108], v[105:106]
	v_div_fmas_f64 v[101:102], v[101:102], v[103:104], v[107:108]
	v_div_fixup_f64 v[103:104], v[101:102], v[97:98], v[99:100]
	v_fma_f64 v[97:98], v[99:100], v[103:104], v[97:98]
	v_div_scale_f64 v[99:100], s[6:7], v[97:98], v[97:98], 1.0
	v_div_scale_f64 v[107:108], vcc, 1.0, v[97:98], 1.0
	v_rcp_f64_e32 v[101:102], v[99:100]
	v_fma_f64 v[105:106], -v[99:100], v[101:102], 1.0
	v_fma_f64 v[101:102], v[101:102], v[105:106], v[101:102]
	v_fma_f64 v[105:106], -v[99:100], v[101:102], 1.0
	v_fma_f64 v[101:102], v[101:102], v[105:106], v[101:102]
	v_mul_f64 v[105:106], v[107:108], v[101:102]
	v_fma_f64 v[99:100], -v[99:100], v[105:106], v[107:108]
	v_div_fmas_f64 v[99:100], v[99:100], v[101:102], v[105:106]
	v_div_fixup_f64 v[101:102], v[99:100], v[97:98], 1.0
	v_mul_f64 v[103:104], v[103:104], -v[101:102]
.LBB119_484:
	s_or_b64 exec, exec, s[2:3]
	ds_write2_b64 v127, v[101:102], v[103:104] offset1:1
.LBB119_485:
	s_or_b64 exec, exec, s[4:5]
	s_waitcnt lgkmcnt(0)
	s_barrier
	ds_read2_b64 v[53:56], v127 offset1:1
	v_cmp_lt_u32_e32 vcc, 53, v0
	s_and_saveexec_b64 s[2:3], vcc
	s_cbranch_execz .LBB119_487
; %bb.486:
	s_waitcnt lgkmcnt(0)
	v_mul_f64 v[97:98], v[53:54], v[23:24]
	v_mul_f64 v[23:24], v[55:56], v[23:24]
	ds_read2_b64 v[99:102], v125 offset0:108 offset1:109
	v_fma_f64 v[97:98], v[55:56], v[21:22], v[97:98]
	v_fma_f64 v[21:22], v[53:54], v[21:22], -v[23:24]
	s_waitcnt lgkmcnt(0)
	v_mul_f64 v[23:24], v[101:102], v[97:98]
	v_fma_f64 v[23:24], v[99:100], v[21:22], -v[23:24]
	v_mul_f64 v[99:100], v[99:100], v[97:98]
	v_add_f64 v[17:18], v[17:18], -v[23:24]
	v_fma_f64 v[99:100], v[101:102], v[21:22], v[99:100]
	v_add_f64 v[19:20], v[19:20], -v[99:100]
	ds_read2_b64 v[99:102], v125 offset0:110 offset1:111
	s_waitcnt lgkmcnt(0)
	v_mul_f64 v[23:24], v[101:102], v[97:98]
	v_fma_f64 v[23:24], v[99:100], v[21:22], -v[23:24]
	v_mul_f64 v[99:100], v[99:100], v[97:98]
	v_add_f64 v[13:14], v[13:14], -v[23:24]
	v_fma_f64 v[99:100], v[101:102], v[21:22], v[99:100]
	v_add_f64 v[15:16], v[15:16], -v[99:100]
	ds_read2_b64 v[99:102], v125 offset0:112 offset1:113
	;; [unrolled: 8-line block ×5, first 2 shown]
	s_waitcnt lgkmcnt(0)
	v_mul_f64 v[23:24], v[101:102], v[97:98]
	v_fma_f64 v[23:24], v[99:100], v[21:22], -v[23:24]
	v_mul_f64 v[99:100], v[99:100], v[97:98]
	v_add_f64 v[121:122], v[121:122], -v[23:24]
	v_fma_f64 v[99:100], v[101:102], v[21:22], v[99:100]
	v_mov_b32_e32 v23, v97
	v_mov_b32_e32 v24, v98
	v_add_f64 v[123:124], v[123:124], -v[99:100]
.LBB119_487:
	s_or_b64 exec, exec, s[2:3]
	v_cmp_eq_u32_e32 vcc, 54, v0
	s_waitcnt lgkmcnt(0)
	s_barrier
	s_and_saveexec_b64 s[4:5], vcc
	s_cbranch_execz .LBB119_494
; %bb.488:
	ds_write2_b64 v127, v[17:18], v[19:20] offset1:1
	ds_write2_b64 v125, v[13:14], v[15:16] offset0:110 offset1:111
	ds_write2_b64 v125, v[9:10], v[11:12] offset0:112 offset1:113
	;; [unrolled: 1-line block ×5, first 2 shown]
	ds_read2_b64 v[97:100], v127 offset1:1
	s_waitcnt lgkmcnt(0)
	v_cmp_neq_f64_e32 vcc, 0, v[97:98]
	v_cmp_neq_f64_e64 s[2:3], 0, v[99:100]
	s_or_b64 s[2:3], vcc, s[2:3]
	s_and_b64 exec, exec, s[2:3]
	s_cbranch_execz .LBB119_494
; %bb.489:
	v_cmp_ngt_f64_e64 s[2:3], |v[97:98]|, |v[99:100]|
                                        ; implicit-def: $vgpr101_vgpr102
	s_and_saveexec_b64 s[6:7], s[2:3]
	s_xor_b64 s[2:3], exec, s[6:7]
                                        ; implicit-def: $vgpr103_vgpr104
	s_cbranch_execz .LBB119_491
; %bb.490:
	v_div_scale_f64 v[101:102], s[6:7], v[99:100], v[99:100], v[97:98]
	v_rcp_f64_e32 v[103:104], v[101:102]
	v_fma_f64 v[105:106], -v[101:102], v[103:104], 1.0
	v_fma_f64 v[103:104], v[103:104], v[105:106], v[103:104]
	v_div_scale_f64 v[105:106], vcc, v[97:98], v[99:100], v[97:98]
	v_fma_f64 v[107:108], -v[101:102], v[103:104], 1.0
	v_fma_f64 v[103:104], v[103:104], v[107:108], v[103:104]
	v_mul_f64 v[107:108], v[105:106], v[103:104]
	v_fma_f64 v[101:102], -v[101:102], v[107:108], v[105:106]
	v_div_fmas_f64 v[101:102], v[101:102], v[103:104], v[107:108]
	v_div_fixup_f64 v[101:102], v[101:102], v[99:100], v[97:98]
	v_fma_f64 v[97:98], v[97:98], v[101:102], v[99:100]
	v_div_scale_f64 v[99:100], s[6:7], v[97:98], v[97:98], 1.0
	v_div_scale_f64 v[107:108], vcc, 1.0, v[97:98], 1.0
	v_rcp_f64_e32 v[103:104], v[99:100]
	v_fma_f64 v[105:106], -v[99:100], v[103:104], 1.0
	v_fma_f64 v[103:104], v[103:104], v[105:106], v[103:104]
	v_fma_f64 v[105:106], -v[99:100], v[103:104], 1.0
	v_fma_f64 v[103:104], v[103:104], v[105:106], v[103:104]
	v_mul_f64 v[105:106], v[107:108], v[103:104]
	v_fma_f64 v[99:100], -v[99:100], v[105:106], v[107:108]
	v_div_fmas_f64 v[99:100], v[99:100], v[103:104], v[105:106]
	v_div_fixup_f64 v[103:104], v[99:100], v[97:98], 1.0
                                        ; implicit-def: $vgpr97_vgpr98
	v_mul_f64 v[101:102], v[101:102], v[103:104]
	v_xor_b32_e32 v104, 0x80000000, v104
.LBB119_491:
	s_andn2_saveexec_b64 s[2:3], s[2:3]
	s_cbranch_execz .LBB119_493
; %bb.492:
	v_div_scale_f64 v[101:102], s[6:7], v[97:98], v[97:98], v[99:100]
	v_rcp_f64_e32 v[103:104], v[101:102]
	v_fma_f64 v[105:106], -v[101:102], v[103:104], 1.0
	v_fma_f64 v[103:104], v[103:104], v[105:106], v[103:104]
	v_div_scale_f64 v[105:106], vcc, v[99:100], v[97:98], v[99:100]
	v_fma_f64 v[107:108], -v[101:102], v[103:104], 1.0
	v_fma_f64 v[103:104], v[103:104], v[107:108], v[103:104]
	v_mul_f64 v[107:108], v[105:106], v[103:104]
	v_fma_f64 v[101:102], -v[101:102], v[107:108], v[105:106]
	v_div_fmas_f64 v[101:102], v[101:102], v[103:104], v[107:108]
	v_div_fixup_f64 v[103:104], v[101:102], v[97:98], v[99:100]
	v_fma_f64 v[97:98], v[99:100], v[103:104], v[97:98]
	v_div_scale_f64 v[99:100], s[6:7], v[97:98], v[97:98], 1.0
	v_div_scale_f64 v[107:108], vcc, 1.0, v[97:98], 1.0
	v_rcp_f64_e32 v[101:102], v[99:100]
	v_fma_f64 v[105:106], -v[99:100], v[101:102], 1.0
	v_fma_f64 v[101:102], v[101:102], v[105:106], v[101:102]
	v_fma_f64 v[105:106], -v[99:100], v[101:102], 1.0
	v_fma_f64 v[101:102], v[101:102], v[105:106], v[101:102]
	v_mul_f64 v[105:106], v[107:108], v[101:102]
	v_fma_f64 v[99:100], -v[99:100], v[105:106], v[107:108]
	v_div_fmas_f64 v[99:100], v[99:100], v[101:102], v[105:106]
	v_div_fixup_f64 v[101:102], v[99:100], v[97:98], 1.0
	v_mul_f64 v[103:104], v[103:104], -v[101:102]
.LBB119_493:
	s_or_b64 exec, exec, s[2:3]
	ds_write2_b64 v127, v[101:102], v[103:104] offset1:1
.LBB119_494:
	s_or_b64 exec, exec, s[4:5]
	s_waitcnt lgkmcnt(0)
	s_barrier
	ds_read2_b64 v[49:52], v127 offset1:1
	v_cmp_lt_u32_e32 vcc, 54, v0
	s_and_saveexec_b64 s[2:3], vcc
	s_cbranch_execz .LBB119_496
; %bb.495:
	s_waitcnt lgkmcnt(0)
	v_mul_f64 v[97:98], v[49:50], v[19:20]
	v_mul_f64 v[19:20], v[51:52], v[19:20]
	v_fma_f64 v[101:102], v[51:52], v[17:18], v[97:98]
	ds_read2_b64 v[97:100], v125 offset0:110 offset1:111
	v_fma_f64 v[17:18], v[49:50], v[17:18], -v[19:20]
	s_waitcnt lgkmcnt(0)
	v_mul_f64 v[19:20], v[99:100], v[101:102]
	v_fma_f64 v[19:20], v[97:98], v[17:18], -v[19:20]
	v_mul_f64 v[97:98], v[97:98], v[101:102]
	v_add_f64 v[13:14], v[13:14], -v[19:20]
	v_fma_f64 v[97:98], v[99:100], v[17:18], v[97:98]
	v_add_f64 v[15:16], v[15:16], -v[97:98]
	ds_read2_b64 v[97:100], v125 offset0:112 offset1:113
	s_waitcnt lgkmcnt(0)
	v_mul_f64 v[19:20], v[99:100], v[101:102]
	v_fma_f64 v[19:20], v[97:98], v[17:18], -v[19:20]
	v_mul_f64 v[97:98], v[97:98], v[101:102]
	v_add_f64 v[9:10], v[9:10], -v[19:20]
	v_fma_f64 v[97:98], v[99:100], v[17:18], v[97:98]
	v_add_f64 v[11:12], v[11:12], -v[97:98]
	ds_read2_b64 v[97:100], v125 offset0:114 offset1:115
	;; [unrolled: 8-line block ×4, first 2 shown]
	s_waitcnt lgkmcnt(0)
	v_mul_f64 v[19:20], v[99:100], v[101:102]
	v_fma_f64 v[19:20], v[97:98], v[17:18], -v[19:20]
	v_mul_f64 v[97:98], v[97:98], v[101:102]
	v_add_f64 v[121:122], v[121:122], -v[19:20]
	v_fma_f64 v[97:98], v[99:100], v[17:18], v[97:98]
	v_mov_b32_e32 v19, v101
	v_mov_b32_e32 v20, v102
	v_add_f64 v[123:124], v[123:124], -v[97:98]
.LBB119_496:
	s_or_b64 exec, exec, s[2:3]
	v_cmp_eq_u32_e32 vcc, 55, v0
	s_waitcnt lgkmcnt(0)
	s_barrier
	s_and_saveexec_b64 s[4:5], vcc
	s_cbranch_execz .LBB119_503
; %bb.497:
	ds_write2_b64 v127, v[13:14], v[15:16] offset1:1
	ds_write2_b64 v125, v[9:10], v[11:12] offset0:112 offset1:113
	ds_write2_b64 v125, v[5:6], v[7:8] offset0:114 offset1:115
	;; [unrolled: 1-line block ×4, first 2 shown]
	ds_read2_b64 v[97:100], v127 offset1:1
	s_waitcnt lgkmcnt(0)
	v_cmp_neq_f64_e32 vcc, 0, v[97:98]
	v_cmp_neq_f64_e64 s[2:3], 0, v[99:100]
	s_or_b64 s[2:3], vcc, s[2:3]
	s_and_b64 exec, exec, s[2:3]
	s_cbranch_execz .LBB119_503
; %bb.498:
	v_cmp_ngt_f64_e64 s[2:3], |v[97:98]|, |v[99:100]|
                                        ; implicit-def: $vgpr101_vgpr102
	s_and_saveexec_b64 s[6:7], s[2:3]
	s_xor_b64 s[2:3], exec, s[6:7]
                                        ; implicit-def: $vgpr103_vgpr104
	s_cbranch_execz .LBB119_500
; %bb.499:
	v_div_scale_f64 v[101:102], s[6:7], v[99:100], v[99:100], v[97:98]
	v_rcp_f64_e32 v[103:104], v[101:102]
	v_fma_f64 v[105:106], -v[101:102], v[103:104], 1.0
	v_fma_f64 v[103:104], v[103:104], v[105:106], v[103:104]
	v_div_scale_f64 v[105:106], vcc, v[97:98], v[99:100], v[97:98]
	v_fma_f64 v[107:108], -v[101:102], v[103:104], 1.0
	v_fma_f64 v[103:104], v[103:104], v[107:108], v[103:104]
	v_mul_f64 v[107:108], v[105:106], v[103:104]
	v_fma_f64 v[101:102], -v[101:102], v[107:108], v[105:106]
	v_div_fmas_f64 v[101:102], v[101:102], v[103:104], v[107:108]
	v_div_fixup_f64 v[101:102], v[101:102], v[99:100], v[97:98]
	v_fma_f64 v[97:98], v[97:98], v[101:102], v[99:100]
	v_div_scale_f64 v[99:100], s[6:7], v[97:98], v[97:98], 1.0
	v_div_scale_f64 v[107:108], vcc, 1.0, v[97:98], 1.0
	v_rcp_f64_e32 v[103:104], v[99:100]
	v_fma_f64 v[105:106], -v[99:100], v[103:104], 1.0
	v_fma_f64 v[103:104], v[103:104], v[105:106], v[103:104]
	v_fma_f64 v[105:106], -v[99:100], v[103:104], 1.0
	v_fma_f64 v[103:104], v[103:104], v[105:106], v[103:104]
	v_mul_f64 v[105:106], v[107:108], v[103:104]
	v_fma_f64 v[99:100], -v[99:100], v[105:106], v[107:108]
	v_div_fmas_f64 v[99:100], v[99:100], v[103:104], v[105:106]
	v_div_fixup_f64 v[103:104], v[99:100], v[97:98], 1.0
                                        ; implicit-def: $vgpr97_vgpr98
	v_mul_f64 v[101:102], v[101:102], v[103:104]
	v_xor_b32_e32 v104, 0x80000000, v104
.LBB119_500:
	s_andn2_saveexec_b64 s[2:3], s[2:3]
	s_cbranch_execz .LBB119_502
; %bb.501:
	v_div_scale_f64 v[101:102], s[6:7], v[97:98], v[97:98], v[99:100]
	v_rcp_f64_e32 v[103:104], v[101:102]
	v_fma_f64 v[105:106], -v[101:102], v[103:104], 1.0
	v_fma_f64 v[103:104], v[103:104], v[105:106], v[103:104]
	v_div_scale_f64 v[105:106], vcc, v[99:100], v[97:98], v[99:100]
	v_fma_f64 v[107:108], -v[101:102], v[103:104], 1.0
	v_fma_f64 v[103:104], v[103:104], v[107:108], v[103:104]
	v_mul_f64 v[107:108], v[105:106], v[103:104]
	v_fma_f64 v[101:102], -v[101:102], v[107:108], v[105:106]
	v_div_fmas_f64 v[101:102], v[101:102], v[103:104], v[107:108]
	v_div_fixup_f64 v[103:104], v[101:102], v[97:98], v[99:100]
	v_fma_f64 v[97:98], v[99:100], v[103:104], v[97:98]
	v_div_scale_f64 v[99:100], s[6:7], v[97:98], v[97:98], 1.0
	v_div_scale_f64 v[107:108], vcc, 1.0, v[97:98], 1.0
	v_rcp_f64_e32 v[101:102], v[99:100]
	v_fma_f64 v[105:106], -v[99:100], v[101:102], 1.0
	v_fma_f64 v[101:102], v[101:102], v[105:106], v[101:102]
	v_fma_f64 v[105:106], -v[99:100], v[101:102], 1.0
	v_fma_f64 v[101:102], v[101:102], v[105:106], v[101:102]
	v_mul_f64 v[105:106], v[107:108], v[101:102]
	v_fma_f64 v[99:100], -v[99:100], v[105:106], v[107:108]
	v_div_fmas_f64 v[99:100], v[99:100], v[101:102], v[105:106]
	v_div_fixup_f64 v[101:102], v[99:100], v[97:98], 1.0
	v_mul_f64 v[103:104], v[103:104], -v[101:102]
.LBB119_502:
	s_or_b64 exec, exec, s[2:3]
	ds_write2_b64 v127, v[101:102], v[103:104] offset1:1
.LBB119_503:
	s_or_b64 exec, exec, s[4:5]
	s_waitcnt lgkmcnt(0)
	s_barrier
	ds_read2_b64 v[45:48], v127 offset1:1
	v_cmp_lt_u32_e32 vcc, 55, v0
	s_and_saveexec_b64 s[2:3], vcc
	s_cbranch_execz .LBB119_505
; %bb.504:
	s_waitcnt lgkmcnt(0)
	v_mul_f64 v[97:98], v[45:46], v[15:16]
	v_mul_f64 v[15:16], v[47:48], v[15:16]
	v_fma_f64 v[101:102], v[47:48], v[13:14], v[97:98]
	ds_read2_b64 v[97:100], v125 offset0:112 offset1:113
	v_fma_f64 v[13:14], v[45:46], v[13:14], -v[15:16]
	s_waitcnt lgkmcnt(0)
	v_mul_f64 v[15:16], v[99:100], v[101:102]
	v_fma_f64 v[15:16], v[97:98], v[13:14], -v[15:16]
	v_mul_f64 v[97:98], v[97:98], v[101:102]
	v_add_f64 v[9:10], v[9:10], -v[15:16]
	v_fma_f64 v[97:98], v[99:100], v[13:14], v[97:98]
	v_add_f64 v[11:12], v[11:12], -v[97:98]
	ds_read2_b64 v[97:100], v125 offset0:114 offset1:115
	s_waitcnt lgkmcnt(0)
	v_mul_f64 v[15:16], v[99:100], v[101:102]
	v_fma_f64 v[15:16], v[97:98], v[13:14], -v[15:16]
	v_mul_f64 v[97:98], v[97:98], v[101:102]
	v_add_f64 v[5:6], v[5:6], -v[15:16]
	v_fma_f64 v[97:98], v[99:100], v[13:14], v[97:98]
	v_add_f64 v[7:8], v[7:8], -v[97:98]
	ds_read2_b64 v[97:100], v125 offset0:116 offset1:117
	;; [unrolled: 8-line block ×3, first 2 shown]
	s_waitcnt lgkmcnt(0)
	v_mul_f64 v[15:16], v[99:100], v[101:102]
	v_fma_f64 v[15:16], v[97:98], v[13:14], -v[15:16]
	v_mul_f64 v[97:98], v[97:98], v[101:102]
	v_add_f64 v[121:122], v[121:122], -v[15:16]
	v_fma_f64 v[97:98], v[99:100], v[13:14], v[97:98]
	v_mov_b32_e32 v15, v101
	v_mov_b32_e32 v16, v102
	v_add_f64 v[123:124], v[123:124], -v[97:98]
.LBB119_505:
	s_or_b64 exec, exec, s[2:3]
	v_cmp_eq_u32_e32 vcc, 56, v0
	s_waitcnt lgkmcnt(0)
	s_barrier
	s_and_saveexec_b64 s[4:5], vcc
	s_cbranch_execz .LBB119_512
; %bb.506:
	ds_write2_b64 v127, v[9:10], v[11:12] offset1:1
	ds_write2_b64 v125, v[5:6], v[7:8] offset0:114 offset1:115
	ds_write2_b64 v125, v[1:2], v[3:4] offset0:116 offset1:117
	ds_write2_b64 v125, v[121:122], v[123:124] offset0:118 offset1:119
	ds_read2_b64 v[97:100], v127 offset1:1
	s_waitcnt lgkmcnt(0)
	v_cmp_neq_f64_e32 vcc, 0, v[97:98]
	v_cmp_neq_f64_e64 s[2:3], 0, v[99:100]
	s_or_b64 s[2:3], vcc, s[2:3]
	s_and_b64 exec, exec, s[2:3]
	s_cbranch_execz .LBB119_512
; %bb.507:
	v_cmp_ngt_f64_e64 s[2:3], |v[97:98]|, |v[99:100]|
                                        ; implicit-def: $vgpr101_vgpr102
	s_and_saveexec_b64 s[6:7], s[2:3]
	s_xor_b64 s[2:3], exec, s[6:7]
                                        ; implicit-def: $vgpr103_vgpr104
	s_cbranch_execz .LBB119_509
; %bb.508:
	v_div_scale_f64 v[101:102], s[6:7], v[99:100], v[99:100], v[97:98]
	v_rcp_f64_e32 v[103:104], v[101:102]
	v_fma_f64 v[105:106], -v[101:102], v[103:104], 1.0
	v_fma_f64 v[103:104], v[103:104], v[105:106], v[103:104]
	v_div_scale_f64 v[105:106], vcc, v[97:98], v[99:100], v[97:98]
	v_fma_f64 v[107:108], -v[101:102], v[103:104], 1.0
	v_fma_f64 v[103:104], v[103:104], v[107:108], v[103:104]
	v_mul_f64 v[107:108], v[105:106], v[103:104]
	v_fma_f64 v[101:102], -v[101:102], v[107:108], v[105:106]
	v_div_fmas_f64 v[101:102], v[101:102], v[103:104], v[107:108]
	v_div_fixup_f64 v[101:102], v[101:102], v[99:100], v[97:98]
	v_fma_f64 v[97:98], v[97:98], v[101:102], v[99:100]
	v_div_scale_f64 v[99:100], s[6:7], v[97:98], v[97:98], 1.0
	v_div_scale_f64 v[107:108], vcc, 1.0, v[97:98], 1.0
	v_rcp_f64_e32 v[103:104], v[99:100]
	v_fma_f64 v[105:106], -v[99:100], v[103:104], 1.0
	v_fma_f64 v[103:104], v[103:104], v[105:106], v[103:104]
	v_fma_f64 v[105:106], -v[99:100], v[103:104], 1.0
	v_fma_f64 v[103:104], v[103:104], v[105:106], v[103:104]
	v_mul_f64 v[105:106], v[107:108], v[103:104]
	v_fma_f64 v[99:100], -v[99:100], v[105:106], v[107:108]
	v_div_fmas_f64 v[99:100], v[99:100], v[103:104], v[105:106]
	v_div_fixup_f64 v[103:104], v[99:100], v[97:98], 1.0
                                        ; implicit-def: $vgpr97_vgpr98
	v_mul_f64 v[101:102], v[101:102], v[103:104]
	v_xor_b32_e32 v104, 0x80000000, v104
.LBB119_509:
	s_andn2_saveexec_b64 s[2:3], s[2:3]
	s_cbranch_execz .LBB119_511
; %bb.510:
	v_div_scale_f64 v[101:102], s[6:7], v[97:98], v[97:98], v[99:100]
	v_rcp_f64_e32 v[103:104], v[101:102]
	v_fma_f64 v[105:106], -v[101:102], v[103:104], 1.0
	v_fma_f64 v[103:104], v[103:104], v[105:106], v[103:104]
	v_div_scale_f64 v[105:106], vcc, v[99:100], v[97:98], v[99:100]
	v_fma_f64 v[107:108], -v[101:102], v[103:104], 1.0
	v_fma_f64 v[103:104], v[103:104], v[107:108], v[103:104]
	v_mul_f64 v[107:108], v[105:106], v[103:104]
	v_fma_f64 v[101:102], -v[101:102], v[107:108], v[105:106]
	v_div_fmas_f64 v[101:102], v[101:102], v[103:104], v[107:108]
	v_div_fixup_f64 v[103:104], v[101:102], v[97:98], v[99:100]
	v_fma_f64 v[97:98], v[99:100], v[103:104], v[97:98]
	v_div_scale_f64 v[99:100], s[6:7], v[97:98], v[97:98], 1.0
	v_div_scale_f64 v[107:108], vcc, 1.0, v[97:98], 1.0
	v_rcp_f64_e32 v[101:102], v[99:100]
	v_fma_f64 v[105:106], -v[99:100], v[101:102], 1.0
	v_fma_f64 v[101:102], v[101:102], v[105:106], v[101:102]
	v_fma_f64 v[105:106], -v[99:100], v[101:102], 1.0
	v_fma_f64 v[101:102], v[101:102], v[105:106], v[101:102]
	v_mul_f64 v[105:106], v[107:108], v[101:102]
	v_fma_f64 v[99:100], -v[99:100], v[105:106], v[107:108]
	v_div_fmas_f64 v[99:100], v[99:100], v[101:102], v[105:106]
	v_div_fixup_f64 v[101:102], v[99:100], v[97:98], 1.0
	v_mul_f64 v[103:104], v[103:104], -v[101:102]
.LBB119_511:
	s_or_b64 exec, exec, s[2:3]
	ds_write2_b64 v127, v[101:102], v[103:104] offset1:1
.LBB119_512:
	s_or_b64 exec, exec, s[4:5]
	s_waitcnt lgkmcnt(0)
	s_barrier
	ds_read2_b64 v[41:44], v127 offset1:1
	v_cmp_lt_u32_e32 vcc, 56, v0
	s_and_saveexec_b64 s[2:3], vcc
	s_cbranch_execz .LBB119_514
; %bb.513:
	s_waitcnt lgkmcnt(0)
	v_mul_f64 v[97:98], v[41:42], v[11:12]
	v_mul_f64 v[11:12], v[43:44], v[11:12]
	v_fma_f64 v[101:102], v[43:44], v[9:10], v[97:98]
	ds_read2_b64 v[97:100], v125 offset0:114 offset1:115
	v_fma_f64 v[9:10], v[41:42], v[9:10], -v[11:12]
	s_waitcnt lgkmcnt(0)
	v_mul_f64 v[11:12], v[99:100], v[101:102]
	v_fma_f64 v[11:12], v[97:98], v[9:10], -v[11:12]
	v_mul_f64 v[97:98], v[97:98], v[101:102]
	v_add_f64 v[5:6], v[5:6], -v[11:12]
	v_fma_f64 v[97:98], v[99:100], v[9:10], v[97:98]
	v_add_f64 v[7:8], v[7:8], -v[97:98]
	ds_read2_b64 v[97:100], v125 offset0:116 offset1:117
	s_waitcnt lgkmcnt(0)
	v_mul_f64 v[11:12], v[99:100], v[101:102]
	v_fma_f64 v[11:12], v[97:98], v[9:10], -v[11:12]
	v_mul_f64 v[97:98], v[97:98], v[101:102]
	v_add_f64 v[1:2], v[1:2], -v[11:12]
	v_fma_f64 v[97:98], v[99:100], v[9:10], v[97:98]
	v_add_f64 v[3:4], v[3:4], -v[97:98]
	ds_read2_b64 v[97:100], v125 offset0:118 offset1:119
	s_waitcnt lgkmcnt(0)
	v_mul_f64 v[11:12], v[99:100], v[101:102]
	v_fma_f64 v[11:12], v[97:98], v[9:10], -v[11:12]
	v_mul_f64 v[97:98], v[97:98], v[101:102]
	v_add_f64 v[121:122], v[121:122], -v[11:12]
	v_fma_f64 v[97:98], v[99:100], v[9:10], v[97:98]
	v_mov_b32_e32 v11, v101
	v_mov_b32_e32 v12, v102
	v_add_f64 v[123:124], v[123:124], -v[97:98]
.LBB119_514:
	s_or_b64 exec, exec, s[2:3]
	v_cmp_eq_u32_e32 vcc, 57, v0
	s_waitcnt lgkmcnt(0)
	s_barrier
	s_and_saveexec_b64 s[4:5], vcc
	s_cbranch_execz .LBB119_521
; %bb.515:
	ds_write2_b64 v127, v[5:6], v[7:8] offset1:1
	ds_write2_b64 v125, v[1:2], v[3:4] offset0:116 offset1:117
	ds_write2_b64 v125, v[121:122], v[123:124] offset0:118 offset1:119
	ds_read2_b64 v[97:100], v127 offset1:1
	s_waitcnt lgkmcnt(0)
	v_cmp_neq_f64_e32 vcc, 0, v[97:98]
	v_cmp_neq_f64_e64 s[2:3], 0, v[99:100]
	s_or_b64 s[2:3], vcc, s[2:3]
	s_and_b64 exec, exec, s[2:3]
	s_cbranch_execz .LBB119_521
; %bb.516:
	v_cmp_ngt_f64_e64 s[2:3], |v[97:98]|, |v[99:100]|
                                        ; implicit-def: $vgpr101_vgpr102
	s_and_saveexec_b64 s[6:7], s[2:3]
	s_xor_b64 s[2:3], exec, s[6:7]
                                        ; implicit-def: $vgpr103_vgpr104
	s_cbranch_execz .LBB119_518
; %bb.517:
	v_div_scale_f64 v[101:102], s[6:7], v[99:100], v[99:100], v[97:98]
	v_rcp_f64_e32 v[103:104], v[101:102]
	v_fma_f64 v[105:106], -v[101:102], v[103:104], 1.0
	v_fma_f64 v[103:104], v[103:104], v[105:106], v[103:104]
	v_div_scale_f64 v[105:106], vcc, v[97:98], v[99:100], v[97:98]
	v_fma_f64 v[107:108], -v[101:102], v[103:104], 1.0
	v_fma_f64 v[103:104], v[103:104], v[107:108], v[103:104]
	v_mul_f64 v[107:108], v[105:106], v[103:104]
	v_fma_f64 v[101:102], -v[101:102], v[107:108], v[105:106]
	v_div_fmas_f64 v[101:102], v[101:102], v[103:104], v[107:108]
	v_div_fixup_f64 v[101:102], v[101:102], v[99:100], v[97:98]
	v_fma_f64 v[97:98], v[97:98], v[101:102], v[99:100]
	v_div_scale_f64 v[99:100], s[6:7], v[97:98], v[97:98], 1.0
	v_div_scale_f64 v[107:108], vcc, 1.0, v[97:98], 1.0
	v_rcp_f64_e32 v[103:104], v[99:100]
	v_fma_f64 v[105:106], -v[99:100], v[103:104], 1.0
	v_fma_f64 v[103:104], v[103:104], v[105:106], v[103:104]
	v_fma_f64 v[105:106], -v[99:100], v[103:104], 1.0
	v_fma_f64 v[103:104], v[103:104], v[105:106], v[103:104]
	v_mul_f64 v[105:106], v[107:108], v[103:104]
	v_fma_f64 v[99:100], -v[99:100], v[105:106], v[107:108]
	v_div_fmas_f64 v[99:100], v[99:100], v[103:104], v[105:106]
	v_div_fixup_f64 v[103:104], v[99:100], v[97:98], 1.0
                                        ; implicit-def: $vgpr97_vgpr98
	v_mul_f64 v[101:102], v[101:102], v[103:104]
	v_xor_b32_e32 v104, 0x80000000, v104
.LBB119_518:
	s_andn2_saveexec_b64 s[2:3], s[2:3]
	s_cbranch_execz .LBB119_520
; %bb.519:
	v_div_scale_f64 v[101:102], s[6:7], v[97:98], v[97:98], v[99:100]
	v_rcp_f64_e32 v[103:104], v[101:102]
	v_fma_f64 v[105:106], -v[101:102], v[103:104], 1.0
	v_fma_f64 v[103:104], v[103:104], v[105:106], v[103:104]
	v_div_scale_f64 v[105:106], vcc, v[99:100], v[97:98], v[99:100]
	v_fma_f64 v[107:108], -v[101:102], v[103:104], 1.0
	v_fma_f64 v[103:104], v[103:104], v[107:108], v[103:104]
	v_mul_f64 v[107:108], v[105:106], v[103:104]
	v_fma_f64 v[101:102], -v[101:102], v[107:108], v[105:106]
	v_div_fmas_f64 v[101:102], v[101:102], v[103:104], v[107:108]
	v_div_fixup_f64 v[103:104], v[101:102], v[97:98], v[99:100]
	v_fma_f64 v[97:98], v[99:100], v[103:104], v[97:98]
	v_div_scale_f64 v[99:100], s[6:7], v[97:98], v[97:98], 1.0
	v_div_scale_f64 v[107:108], vcc, 1.0, v[97:98], 1.0
	v_rcp_f64_e32 v[101:102], v[99:100]
	v_fma_f64 v[105:106], -v[99:100], v[101:102], 1.0
	v_fma_f64 v[101:102], v[101:102], v[105:106], v[101:102]
	v_fma_f64 v[105:106], -v[99:100], v[101:102], 1.0
	v_fma_f64 v[101:102], v[101:102], v[105:106], v[101:102]
	v_mul_f64 v[105:106], v[107:108], v[101:102]
	v_fma_f64 v[99:100], -v[99:100], v[105:106], v[107:108]
	v_div_fmas_f64 v[99:100], v[99:100], v[101:102], v[105:106]
	v_div_fixup_f64 v[101:102], v[99:100], v[97:98], 1.0
	v_mul_f64 v[103:104], v[103:104], -v[101:102]
.LBB119_520:
	s_or_b64 exec, exec, s[2:3]
	ds_write2_b64 v127, v[101:102], v[103:104] offset1:1
.LBB119_521:
	s_or_b64 exec, exec, s[4:5]
	s_waitcnt lgkmcnt(0)
	s_barrier
	ds_read2_b64 v[101:104], v127 offset1:1
	v_cmp_lt_u32_e32 vcc, 57, v0
	s_and_saveexec_b64 s[2:3], vcc
	s_cbranch_execz .LBB119_523
; %bb.522:
	s_waitcnt lgkmcnt(0)
	v_mul_f64 v[97:98], v[101:102], v[7:8]
	v_mul_f64 v[7:8], v[103:104], v[7:8]
	v_fma_f64 v[105:106], v[103:104], v[5:6], v[97:98]
	ds_read2_b64 v[97:100], v125 offset0:116 offset1:117
	v_fma_f64 v[5:6], v[101:102], v[5:6], -v[7:8]
	s_waitcnt lgkmcnt(0)
	v_mul_f64 v[7:8], v[99:100], v[105:106]
	v_fma_f64 v[7:8], v[97:98], v[5:6], -v[7:8]
	v_mul_f64 v[97:98], v[97:98], v[105:106]
	v_add_f64 v[1:2], v[1:2], -v[7:8]
	v_fma_f64 v[97:98], v[99:100], v[5:6], v[97:98]
	v_add_f64 v[3:4], v[3:4], -v[97:98]
	ds_read2_b64 v[97:100], v125 offset0:118 offset1:119
	s_waitcnt lgkmcnt(0)
	v_mul_f64 v[7:8], v[99:100], v[105:106]
	v_fma_f64 v[7:8], v[97:98], v[5:6], -v[7:8]
	v_mul_f64 v[97:98], v[97:98], v[105:106]
	v_add_f64 v[121:122], v[121:122], -v[7:8]
	v_fma_f64 v[97:98], v[99:100], v[5:6], v[97:98]
	v_mov_b32_e32 v7, v105
	v_mov_b32_e32 v8, v106
	v_add_f64 v[123:124], v[123:124], -v[97:98]
.LBB119_523:
	s_or_b64 exec, exec, s[2:3]
	v_cmp_eq_u32_e32 vcc, 58, v0
	s_waitcnt lgkmcnt(0)
	s_barrier
	s_and_saveexec_b64 s[4:5], vcc
	s_cbranch_execz .LBB119_530
; %bb.524:
	ds_write2_b64 v127, v[1:2], v[3:4] offset1:1
	ds_write2_b64 v125, v[121:122], v[123:124] offset0:118 offset1:119
	ds_read2_b64 v[97:100], v127 offset1:1
	s_waitcnt lgkmcnt(0)
	v_cmp_neq_f64_e32 vcc, 0, v[97:98]
	v_cmp_neq_f64_e64 s[2:3], 0, v[99:100]
	s_or_b64 s[2:3], vcc, s[2:3]
	s_and_b64 exec, exec, s[2:3]
	s_cbranch_execz .LBB119_530
; %bb.525:
	v_cmp_ngt_f64_e64 s[2:3], |v[97:98]|, |v[99:100]|
                                        ; implicit-def: $vgpr105_vgpr106
	s_and_saveexec_b64 s[6:7], s[2:3]
	s_xor_b64 s[2:3], exec, s[6:7]
                                        ; implicit-def: $vgpr107_vgpr108
	s_cbranch_execz .LBB119_527
; %bb.526:
	v_div_scale_f64 v[105:106], s[6:7], v[99:100], v[99:100], v[97:98]
	v_div_scale_f64 v[95:96], vcc, v[97:98], v[99:100], v[97:98]
	v_rcp_f64_e32 v[107:108], v[105:106]
	v_fma_f64 v[93:94], -v[105:106], v[107:108], 1.0
	v_fma_f64 v[93:94], v[107:108], v[93:94], v[107:108]
	v_fma_f64 v[107:108], -v[105:106], v[93:94], 1.0
	v_fma_f64 v[93:94], v[93:94], v[107:108], v[93:94]
	v_mul_f64 v[107:108], v[95:96], v[93:94]
	v_fma_f64 v[95:96], -v[105:106], v[107:108], v[95:96]
	v_div_fmas_f64 v[93:94], v[95:96], v[93:94], v[107:108]
	v_div_fixup_f64 v[93:94], v[93:94], v[99:100], v[97:98]
	v_fma_f64 v[95:96], v[97:98], v[93:94], v[99:100]
	v_div_scale_f64 v[97:98], s[6:7], v[95:96], v[95:96], 1.0
	v_div_scale_f64 v[107:108], vcc, 1.0, v[95:96], 1.0
	v_rcp_f64_e32 v[99:100], v[97:98]
	v_fma_f64 v[105:106], -v[97:98], v[99:100], 1.0
	v_fma_f64 v[99:100], v[99:100], v[105:106], v[99:100]
	v_fma_f64 v[105:106], -v[97:98], v[99:100], 1.0
	v_fma_f64 v[99:100], v[99:100], v[105:106], v[99:100]
	v_mul_f64 v[105:106], v[107:108], v[99:100]
	v_fma_f64 v[97:98], -v[97:98], v[105:106], v[107:108]
	v_div_fmas_f64 v[97:98], v[97:98], v[99:100], v[105:106]
	v_div_fixup_f64 v[107:108], v[97:98], v[95:96], 1.0
                                        ; implicit-def: $vgpr97_vgpr98
	v_mul_f64 v[105:106], v[93:94], v[107:108]
	v_xor_b32_e32 v108, 0x80000000, v108
.LBB119_527:
	s_andn2_saveexec_b64 s[2:3], s[2:3]
	s_cbranch_execz .LBB119_529
; %bb.528:
	v_div_scale_f64 v[93:94], s[6:7], v[97:98], v[97:98], v[99:100]
	v_rcp_f64_e32 v[95:96], v[93:94]
	v_fma_f64 v[105:106], -v[93:94], v[95:96], 1.0
	v_fma_f64 v[95:96], v[95:96], v[105:106], v[95:96]
	v_div_scale_f64 v[105:106], vcc, v[99:100], v[97:98], v[99:100]
	v_fma_f64 v[107:108], -v[93:94], v[95:96], 1.0
	v_fma_f64 v[95:96], v[95:96], v[107:108], v[95:96]
	v_mul_f64 v[107:108], v[105:106], v[95:96]
	v_fma_f64 v[93:94], -v[93:94], v[107:108], v[105:106]
	v_div_fmas_f64 v[93:94], v[93:94], v[95:96], v[107:108]
	v_div_fixup_f64 v[93:94], v[93:94], v[97:98], v[99:100]
	v_fma_f64 v[95:96], v[99:100], v[93:94], v[97:98]
	v_div_scale_f64 v[97:98], s[6:7], v[95:96], v[95:96], 1.0
	v_div_scale_f64 v[107:108], vcc, 1.0, v[95:96], 1.0
	v_rcp_f64_e32 v[99:100], v[97:98]
	v_fma_f64 v[105:106], -v[97:98], v[99:100], 1.0
	v_fma_f64 v[99:100], v[99:100], v[105:106], v[99:100]
	v_fma_f64 v[105:106], -v[97:98], v[99:100], 1.0
	v_fma_f64 v[99:100], v[99:100], v[105:106], v[99:100]
	v_mul_f64 v[105:106], v[107:108], v[99:100]
	v_fma_f64 v[97:98], -v[97:98], v[105:106], v[107:108]
	v_div_fmas_f64 v[97:98], v[97:98], v[99:100], v[105:106]
	v_div_fixup_f64 v[105:106], v[97:98], v[95:96], 1.0
	v_mul_f64 v[107:108], v[93:94], -v[105:106]
.LBB119_529:
	s_or_b64 exec, exec, s[2:3]
	ds_write2_b64 v127, v[105:106], v[107:108] offset1:1
.LBB119_530:
	s_or_b64 exec, exec, s[4:5]
	s_waitcnt lgkmcnt(0)
	s_barrier
	ds_read2_b64 v[97:100], v127 offset1:1
	v_cmp_lt_u32_e32 vcc, 58, v0
	s_and_saveexec_b64 s[2:3], vcc
	s_cbranch_execz .LBB119_532
; %bb.531:
	s_waitcnt lgkmcnt(0)
	v_mul_f64 v[93:94], v[97:98], v[3:4]
	v_mul_f64 v[3:4], v[99:100], v[3:4]
	ds_read2_b64 v[105:108], v125 offset0:118 offset1:119
	v_fma_f64 v[93:94], v[99:100], v[1:2], v[93:94]
	v_fma_f64 v[1:2], v[97:98], v[1:2], -v[3:4]
	s_waitcnt lgkmcnt(0)
	v_mul_f64 v[3:4], v[107:108], v[93:94]
	v_mul_f64 v[95:96], v[105:106], v[93:94]
	v_fma_f64 v[3:4], v[105:106], v[1:2], -v[3:4]
	v_fma_f64 v[95:96], v[107:108], v[1:2], v[95:96]
	v_add_f64 v[121:122], v[121:122], -v[3:4]
	v_add_f64 v[123:124], v[123:124], -v[95:96]
	v_mov_b32_e32 v3, v93
	v_mov_b32_e32 v4, v94
.LBB119_532:
	s_or_b64 exec, exec, s[2:3]
	v_cmp_eq_u32_e32 vcc, 59, v0
	s_waitcnt lgkmcnt(0)
	s_barrier
	s_and_saveexec_b64 s[4:5], vcc
	s_cbranch_execz .LBB119_539
; %bb.533:
	v_cmp_neq_f64_e32 vcc, 0, v[121:122]
	v_cmp_neq_f64_e64 s[2:3], 0, v[123:124]
	ds_write2_b64 v127, v[121:122], v[123:124] offset1:1
	s_or_b64 s[2:3], vcc, s[2:3]
	s_and_b64 exec, exec, s[2:3]
	s_cbranch_execz .LBB119_539
; %bb.534:
	v_cmp_ngt_f64_e64 s[2:3], |v[121:122]|, |v[123:124]|
                                        ; implicit-def: $vgpr105_vgpr106
	s_and_saveexec_b64 s[6:7], s[2:3]
	s_xor_b64 s[2:3], exec, s[6:7]
                                        ; implicit-def: $vgpr107_vgpr108
	s_cbranch_execz .LBB119_536
; %bb.535:
	v_div_scale_f64 v[93:94], s[6:7], v[123:124], v[123:124], v[121:122]
	v_mov_b32_e32 v68, v48
	v_mov_b32_e32 v67, v47
	;; [unrolled: 1-line block ×14, first 2 shown]
	v_rcp_f64_e32 v[95:96], v[93:94]
	v_mov_b32_e32 v55, v59
	v_mov_b32_e32 v56, v60
	;; [unrolled: 1-line block ×15, first 2 shown]
	v_fma_f64 v[105:106], -v[93:94], v[95:96], 1.0
	v_mov_b32_e32 v74, v78
	v_mov_b32_e32 v75, v79
	;; [unrolled: 1-line block ×7, first 2 shown]
	v_fma_f64 v[95:96], v[95:96], v[105:106], v[95:96]
	v_div_scale_f64 v[105:106], vcc, v[121:122], v[123:124], v[121:122]
	v_mov_b32_e32 v81, v109
	v_mov_b32_e32 v82, v110
	;; [unrolled: 1-line block ×5, first 2 shown]
	v_fma_f64 v[107:108], -v[93:94], v[95:96], 1.0
	v_mov_b32_e32 v110, v122
	v_mov_b32_e32 v111, v123
	;; [unrolled: 1-line block ×3, first 2 shown]
	v_fma_f64 v[95:96], v[95:96], v[107:108], v[95:96]
	v_mul_f64 v[107:108], v[105:106], v[95:96]
	v_fma_f64 v[93:94], -v[93:94], v[107:108], v[105:106]
	v_div_fmas_f64 v[93:94], v[93:94], v[95:96], v[107:108]
	v_div_fixup_f64 v[93:94], v[93:94], v[123:124], v[121:122]
	v_fma_f64 v[95:96], v[121:122], v[93:94], v[123:124]
	v_mov_b32_e32 v124, v4
	v_mov_b32_e32 v123, v3
	;; [unrolled: 1-line block ×7, first 2 shown]
	v_div_scale_f64 v[105:106], s[6:7], v[95:96], v[95:96], 1.0
	v_div_scale_f64 v[117:118], vcc, 1.0, v[95:96], 1.0
	v_mov_b32_e32 v4, v8
	v_mov_b32_e32 v5, v9
	;; [unrolled: 1-line block ×12, first 2 shown]
	v_rcp_f64_e32 v[107:108], v[105:106]
	v_mov_b32_e32 v16, v20
	v_mov_b32_e32 v17, v21
	;; [unrolled: 1-line block ×15, first 2 shown]
	v_fma_f64 v[125:126], -v[105:106], v[107:108], 1.0
	v_mov_b32_e32 v30, v90
	v_mov_b32_e32 v31, v91
	;; [unrolled: 1-line block ×7, first 2 shown]
	v_fma_f64 v[107:108], v[107:108], v[125:126], v[107:108]
	v_mov_b32_e32 v31, v27
	v_mov_b32_e32 v30, v26
	;; [unrolled: 1-line block ×7, first 2 shown]
	v_fma_f64 v[125:126], -v[105:106], v[107:108], 1.0
	v_mov_b32_e32 v24, v20
	v_mov_b32_e32 v23, v19
	;; [unrolled: 1-line block ×7, first 2 shown]
	v_fma_f64 v[107:108], v[107:108], v[125:126], v[107:108]
	v_mov_b32_e32 v17, v13
	v_mov_b32_e32 v16, v12
	;; [unrolled: 1-line block ×7, first 2 shown]
	v_mul_f64 v[119:120], v[117:118], v[107:108]
	v_mov_b32_e32 v10, v6
	v_mov_b32_e32 v9, v5
	;; [unrolled: 1-line block ×7, first 2 shown]
	v_fma_f64 v[105:106], -v[105:106], v[119:120], v[117:118]
	v_mov_b32_e32 v2, v122
	v_mov_b32_e32 v3, v123
	;; [unrolled: 1-line block ×7, first 2 shown]
	v_div_fmas_f64 v[105:106], v[105:106], v[107:108], v[119:120]
	v_mov_b32_e32 v112, v84
	v_mov_b32_e32 v111, v83
	;; [unrolled: 1-line block ×15, first 2 shown]
	v_div_fixup_f64 v[107:108], v[105:106], v[95:96], 1.0
	v_mov_b32_e32 v73, v69
	v_mov_b32_e32 v72, v64
	;; [unrolled: 1-line block ×7, first 2 shown]
	v_mul_f64 v[105:106], v[93:94], v[107:108]
	v_mov_b32_e32 v62, v58
	v_mov_b32_e32 v61, v57
	;; [unrolled: 1-line block ×18, first 2 shown]
	v_xor_b32_e32 v108, 0x80000000, v108
.LBB119_536:
	s_andn2_saveexec_b64 s[2:3], s[2:3]
	s_cbranch_execz .LBB119_538
; %bb.537:
	v_div_scale_f64 v[93:94], s[6:7], v[121:122], v[121:122], v[123:124]
	v_mov_b32_e32 v68, v48
	v_mov_b32_e32 v67, v47
	;; [unrolled: 1-line block ×14, first 2 shown]
	v_rcp_f64_e32 v[95:96], v[93:94]
	v_mov_b32_e32 v55, v59
	v_mov_b32_e32 v56, v60
	;; [unrolled: 1-line block ×15, first 2 shown]
	v_fma_f64 v[105:106], -v[93:94], v[95:96], 1.0
	v_mov_b32_e32 v74, v78
	v_mov_b32_e32 v75, v79
	;; [unrolled: 1-line block ×7, first 2 shown]
	v_fma_f64 v[95:96], v[95:96], v[105:106], v[95:96]
	v_div_scale_f64 v[105:106], vcc, v[123:124], v[121:122], v[123:124]
	v_mov_b32_e32 v81, v109
	v_mov_b32_e32 v82, v110
	;; [unrolled: 1-line block ×5, first 2 shown]
	v_fma_f64 v[107:108], -v[93:94], v[95:96], 1.0
	v_mov_b32_e32 v110, v122
	v_mov_b32_e32 v111, v123
	;; [unrolled: 1-line block ×3, first 2 shown]
	v_fma_f64 v[95:96], v[95:96], v[107:108], v[95:96]
	v_mul_f64 v[107:108], v[105:106], v[95:96]
	v_fma_f64 v[93:94], -v[93:94], v[107:108], v[105:106]
	v_div_fmas_f64 v[93:94], v[93:94], v[95:96], v[107:108]
	v_div_fixup_f64 v[93:94], v[93:94], v[121:122], v[123:124]
	v_fma_f64 v[95:96], v[123:124], v[93:94], v[121:122]
	v_mov_b32_e32 v124, v4
	v_mov_b32_e32 v123, v3
	;; [unrolled: 1-line block ×7, first 2 shown]
	v_div_scale_f64 v[105:106], s[6:7], v[95:96], v[95:96], 1.0
	v_div_scale_f64 v[119:120], vcc, 1.0, v[95:96], 1.0
	v_mov_b32_e32 v4, v8
	v_mov_b32_e32 v5, v9
	;; [unrolled: 1-line block ×12, first 2 shown]
	v_rcp_f64_e32 v[107:108], v[105:106]
	v_mov_b32_e32 v16, v20
	v_mov_b32_e32 v17, v21
	;; [unrolled: 1-line block ×15, first 2 shown]
	v_fma_f64 v[117:118], -v[105:106], v[107:108], 1.0
	v_mov_b32_e32 v30, v90
	v_mov_b32_e32 v31, v91
	;; [unrolled: 1-line block ×7, first 2 shown]
	v_fma_f64 v[107:108], v[107:108], v[117:118], v[107:108]
	v_mov_b32_e32 v31, v27
	v_mov_b32_e32 v30, v26
	;; [unrolled: 1-line block ×7, first 2 shown]
	v_fma_f64 v[117:118], -v[105:106], v[107:108], 1.0
	v_mov_b32_e32 v24, v20
	v_mov_b32_e32 v23, v19
	;; [unrolled: 1-line block ×7, first 2 shown]
	v_fma_f64 v[107:108], v[107:108], v[117:118], v[107:108]
	v_mov_b32_e32 v17, v13
	v_mov_b32_e32 v16, v12
	;; [unrolled: 1-line block ×7, first 2 shown]
	v_mul_f64 v[117:118], v[119:120], v[107:108]
	v_mov_b32_e32 v10, v6
	v_mov_b32_e32 v9, v5
	;; [unrolled: 1-line block ×7, first 2 shown]
	v_fma_f64 v[105:106], -v[105:106], v[117:118], v[119:120]
	v_mov_b32_e32 v2, v122
	v_mov_b32_e32 v3, v123
	;; [unrolled: 1-line block ×7, first 2 shown]
	v_div_fmas_f64 v[105:106], v[105:106], v[107:108], v[117:118]
	v_mov_b32_e32 v112, v84
	v_mov_b32_e32 v111, v83
	;; [unrolled: 1-line block ×15, first 2 shown]
	v_div_fixup_f64 v[105:106], v[105:106], v[95:96], 1.0
	v_mov_b32_e32 v73, v69
	v_mov_b32_e32 v72, v64
	;; [unrolled: 1-line block ×7, first 2 shown]
	v_mul_f64 v[107:108], v[93:94], -v[105:106]
	v_mov_b32_e32 v62, v58
	v_mov_b32_e32 v61, v57
	v_mov_b32_e32 v60, v56
	v_mov_b32_e32 v59, v55
	v_mov_b32_e32 v58, v54
	v_mov_b32_e32 v57, v53
	v_mov_b32_e32 v56, v52
	v_mov_b32_e32 v55, v51
	v_mov_b32_e32 v54, v50
	v_mov_b32_e32 v53, v49
	v_mov_b32_e32 v52, v48
	v_mov_b32_e32 v51, v47
	v_mov_b32_e32 v50, v46
	v_mov_b32_e32 v49, v45
	v_mov_b32_e32 v45, v65
	v_mov_b32_e32 v46, v66
	v_mov_b32_e32 v47, v67
	v_mov_b32_e32 v48, v68
.LBB119_538:
	s_or_b64 exec, exec, s[2:3]
	ds_write2_b64 v127, v[105:106], v[107:108] offset1:1
.LBB119_539:
	s_or_b64 exec, exec, s[4:5]
	s_waitcnt lgkmcnt(0)
	s_barrier
	ds_read2_b64 v[105:108], v127 offset1:1
	s_waitcnt lgkmcnt(0)
	s_barrier
	s_and_saveexec_b64 s[2:3], s[0:1]
	s_cbranch_execz .LBB119_542
; %bb.540:
	v_mov_b32_e32 v120, v88
	v_mov_b32_e32 v119, v87
	;; [unrolled: 1-line block ×4, first 2 shown]
	buffer_load_dword v85, off, s[20:23], 0 offset:1936 ; 4-byte Folded Reload
	buffer_load_dword v86, off, s[20:23], 0 offset:1940 ; 4-byte Folded Reload
	;; [unrolled: 1-line block ×8, first 2 shown]
	s_waitcnt vmcnt(2)
	v_cmp_eq_f64_e32 vcc, 0, v[65:66]
	s_waitcnt vmcnt(0)
	v_cmp_eq_f64_e64 s[0:1], 0, v[67:68]
	buffer_load_dword v65, off, s[20:23], 0 offset:1240 ; 4-byte Folded Reload
	buffer_load_dword v66, off, s[20:23], 0 offset:1244 ; 4-byte Folded Reload
	;; [unrolled: 1-line block ×4, first 2 shown]
	s_and_b64 s[4:5], vcc, s[0:1]
	v_cndmask_b32_e64 v93, 0, 1, s[4:5]
	s_waitcnt vmcnt(2)
	v_cmp_neq_f64_e32 vcc, 0, v[65:66]
	s_waitcnt vmcnt(0)
	v_cmp_neq_f64_e64 s[0:1], 0, v[67:68]
	buffer_load_dword v65, off, s[20:23], 0 offset:1256 ; 4-byte Folded Reload
	buffer_load_dword v66, off, s[20:23], 0 offset:1260 ; 4-byte Folded Reload
	;; [unrolled: 1-line block ×4, first 2 shown]
	s_or_b64 s[0:1], vcc, s[0:1]
	s_or_b64 vcc, s[0:1], s[4:5]
	v_cndmask_b32_e32 v93, 2, v93, vcc
	s_waitcnt vmcnt(2)
	v_cmp_eq_f64_e32 vcc, 0, v[65:66]
	s_waitcnt vmcnt(0)
	v_cmp_eq_f64_e64 s[0:1], 0, v[67:68]
	buffer_load_dword v65, off, s[20:23], 0 offset:1272 ; 4-byte Folded Reload
	buffer_load_dword v66, off, s[20:23], 0 offset:1276 ; 4-byte Folded Reload
	buffer_load_dword v67, off, s[20:23], 0 offset:1280 ; 4-byte Folded Reload
	buffer_load_dword v68, off, s[20:23], 0 offset:1284 ; 4-byte Folded Reload
	s_and_b64 s[0:1], vcc, s[0:1]
	v_cmp_eq_u32_e32 vcc, 0, v93
	s_and_b64 s[0:1], s[0:1], vcc
	v_cndmask_b32_e64 v93, v93, 3, s[0:1]
	s_waitcnt vmcnt(2)
	v_cmp_eq_f64_e32 vcc, 0, v[65:66]
	s_waitcnt vmcnt(0)
	v_cmp_eq_f64_e64 s[0:1], 0, v[67:68]
	buffer_load_dword v65, off, s[20:23], 0 offset:1288 ; 4-byte Folded Reload
	buffer_load_dword v66, off, s[20:23], 0 offset:1292 ; 4-byte Folded Reload
	buffer_load_dword v67, off, s[20:23], 0 offset:1296 ; 4-byte Folded Reload
	buffer_load_dword v68, off, s[20:23], 0 offset:1300 ; 4-byte Folded Reload
	s_and_b64 s[0:1], vcc, s[0:1]
	v_cmp_eq_u32_e32 vcc, 0, v93
	s_and_b64 s[0:1], s[0:1], vcc
	v_cndmask_b32_e64 v93, v93, 4, s[0:1]
	;; [unrolled: 12-line block ×40, first 2 shown]
	s_waitcnt vmcnt(2)
	v_cmp_eq_f64_e32 vcc, 0, v[65:66]
	s_waitcnt vmcnt(0)
	v_cmp_eq_f64_e64 s[0:1], 0, v[67:68]
	s_and_b64 s[0:1], vcc, s[0:1]
	v_cmp_eq_u32_e32 vcc, 0, v93
	s_and_b64 s[0:1], s[0:1], vcc
	v_cndmask_b32_e64 v93, v93, 43, s[0:1]
	v_cmp_eq_f64_e32 vcc, 0, v[85:86]
	v_cmp_eq_f64_e64 s[0:1], 0, v[87:88]
	buffer_load_dword v87, off, s[20:23], 0 offset:1952 ; 4-byte Folded Reload
	buffer_load_dword v88, off, s[20:23], 0 offset:1956 ; 4-byte Folded Reload
	s_and_b64 s[0:1], vcc, s[0:1]
	v_cmp_eq_u32_e32 vcc, 0, v93
	s_and_b64 s[0:1], s[0:1], vcc
	v_cndmask_b32_e64 v93, v93, 44, s[0:1]
	v_cmp_eq_f64_e32 vcc, 0, v[117:118]
	v_cmp_eq_f64_e64 s[0:1], 0, v[119:120]
	s_and_b64 s[0:1], vcc, s[0:1]
	v_cmp_eq_u32_e32 vcc, 0, v93
	s_and_b64 s[0:1], s[0:1], vcc
	v_cndmask_b32_e64 v93, v93, 45, s[0:1]
	v_cmp_eq_f64_e32 vcc, 0, v[89:90]
	v_cmp_eq_f64_e64 s[0:1], 0, v[91:92]
	;; [unrolled: 6-line block ×16, first 2 shown]
	s_and_b64 s[0:1], vcc, s[0:1]
	v_cmp_eq_u32_e32 vcc, 0, v93
	s_and_b64 s[0:1], s[0:1], vcc
	v_cndmask_b32_e64 v99, v93, 60, s[0:1]
	s_waitcnt vmcnt(0)
	v_lshlrev_b64 v[93:94], 2, v[87:88]
	v_cmp_ne_u32_e64 s[0:1], 0, v99
	v_add_co_u32_e32 v97, vcc, s10, v93
	v_mov_b32_e32 v93, s11
	v_addc_co_u32_e32 v98, vcc, v93, v94, vcc
	global_load_dword v93, v[97:98], off
	s_waitcnt vmcnt(0)
	v_cmp_eq_u32_e32 vcc, 0, v93
	s_and_b64 s[0:1], vcc, s[0:1]
	s_and_b64 exec, exec, s[0:1]
	s_cbranch_execz .LBB119_542
; %bb.541:
	v_add_u32_e32 v93, s13, v99
	global_store_dword v[97:98], v93, off
.LBB119_542:
	s_or_b64 exec, exec, s[2:3]
	buffer_load_dword v65, off, s[20:23], 0 offset:1208 ; 4-byte Folded Reload
	buffer_load_dword v66, off, s[20:23], 0 offset:1212 ; 4-byte Folded Reload
	;; [unrolled: 1-line block ×6, first 2 shown]
	v_cmp_lt_u32_e32 vcc, 59, v0
	s_waitcnt vmcnt(0)
	global_store_dwordx4 v[65:66], v[93:96], off
	buffer_load_dword v65, off, s[20:23], 0 offset:1216 ; 4-byte Folded Reload
	s_nop 0
	buffer_load_dword v66, off, s[20:23], 0 offset:1220 ; 4-byte Folded Reload
	buffer_load_dword v93, off, s[20:23], 0 offset:720 ; 4-byte Folded Reload
	;; [unrolled: 1-line block ×5, first 2 shown]
	s_waitcnt vmcnt(0)
	global_store_dwordx4 v[65:66], v[93:96], off
	buffer_load_dword v87, off, s[20:23], 0 offset:1152 ; 4-byte Folded Reload
	buffer_load_dword v88, off, s[20:23], 0 offset:1156 ; 4-byte Folded Reload
	s_nop 0
	buffer_load_dword v65, off, s[20:23], 0 offset:704 ; 4-byte Folded Reload
	buffer_load_dword v66, off, s[20:23], 0 offset:708 ; 4-byte Folded Reload
	;; [unrolled: 1-line block ×4, first 2 shown]
	v_mul_f64 v[93:94], v[105:106], v[123:124]
	v_mul_f64 v[95:96], v[107:108], v[123:124]
	v_fma_f64 v[93:94], v[107:108], v[121:122], v[93:94]
	v_fma_f64 v[95:96], v[105:106], v[121:122], -v[95:96]
	v_cndmask_b32_e32 v100, v124, v94, vcc
	v_cndmask_b32_e32 v99, v123, v93, vcc
	;; [unrolled: 1-line block ×4, first 2 shown]
	s_waitcnt vmcnt(0)
	global_store_dwordx4 v[87:88], v[65:68], off
	buffer_load_dword v87, off, s[20:23], 0 offset:1160 ; 4-byte Folded Reload
	s_nop 0
	buffer_load_dword v88, off, s[20:23], 0 offset:1164 ; 4-byte Folded Reload
	buffer_load_dword v65, off, s[20:23], 0 offset:688 ; 4-byte Folded Reload
	buffer_load_dword v66, off, s[20:23], 0 offset:692 ; 4-byte Folded Reload
	buffer_load_dword v67, off, s[20:23], 0 offset:696 ; 4-byte Folded Reload
	buffer_load_dword v68, off, s[20:23], 0 offset:700 ; 4-byte Folded Reload
	s_waitcnt vmcnt(0)
	global_store_dwordx4 v[87:88], v[65:68], off
	buffer_load_dword v87, off, s[20:23], 0 offset:1168 ; 4-byte Folded Reload
	s_nop 0
	buffer_load_dword v88, off, s[20:23], 0 offset:1172 ; 4-byte Folded Reload
	buffer_load_dword v65, off, s[20:23], 0 offset:672 ; 4-byte Folded Reload
	buffer_load_dword v66, off, s[20:23], 0 offset:676 ; 4-byte Folded Reload
	buffer_load_dword v67, off, s[20:23], 0 offset:680 ; 4-byte Folded Reload
	buffer_load_dword v68, off, s[20:23], 0 offset:684 ; 4-byte Folded Reload
	;; [unrolled: 9-line block ×36, first 2 shown]
	s_waitcnt vmcnt(0)
	global_store_dwordx4 v[85:86], v[65:68], off
	buffer_load_dword v81, off, s[20:23], 0 offset:1008 ; 4-byte Folded Reload
	buffer_load_dword v82, off, s[20:23], 0 offset:1012 ; 4-byte Folded Reload
	s_nop 0
	buffer_load_dword v65, off, s[20:23], 0 offset:128 ; 4-byte Folded Reload
	buffer_load_dword v66, off, s[20:23], 0 offset:132 ; 4-byte Folded Reload
	buffer_load_dword v67, off, s[20:23], 0 offset:136 ; 4-byte Folded Reload
	buffer_load_dword v68, off, s[20:23], 0 offset:140 ; 4-byte Folded Reload
	s_waitcnt vmcnt(0)
	global_store_dwordx4 v[81:82], v[65:68], off
	buffer_load_dword v77, off, s[20:23], 0 offset:1016 ; 4-byte Folded Reload
	buffer_load_dword v78, off, s[20:23], 0 offset:1020 ; 4-byte Folded Reload
	s_nop 0
	buffer_load_dword v65, off, s[20:23], 0 offset:112 ; 4-byte Folded Reload
	buffer_load_dword v66, off, s[20:23], 0 offset:116 ; 4-byte Folded Reload
	buffer_load_dword v67, off, s[20:23], 0 offset:120 ; 4-byte Folded Reload
	buffer_load_dword v68, off, s[20:23], 0 offset:124 ; 4-byte Folded Reload
	;; [unrolled: 9-line block ×4, first 2 shown]
	s_waitcnt vmcnt(0)
	global_store_dwordx4 v[69:70], v[65:68], off
	buffer_load_dword v65, off, s[20:23], 0 offset:1040 ; 4-byte Folded Reload
	s_nop 0
	buffer_load_dword v66, off, s[20:23], 0 offset:1044 ; 4-byte Folded Reload
	buffer_load_dword v61, off, s[20:23], 0 offset:64 ; 4-byte Folded Reload
	buffer_load_dword v62, off, s[20:23], 0 offset:68 ; 4-byte Folded Reload
	buffer_load_dword v63, off, s[20:23], 0 offset:72 ; 4-byte Folded Reload
	buffer_load_dword v64, off, s[20:23], 0 offset:76 ; 4-byte Folded Reload
	s_waitcnt vmcnt(0)
	global_store_dwordx4 v[65:66], v[61:64], off
	buffer_load_dword v61, off, s[20:23], 0 offset:1048 ; 4-byte Folded Reload
	s_nop 0
	buffer_load_dword v62, off, s[20:23], 0 offset:1052 ; 4-byte Folded Reload
	buffer_load_dword v57, off, s[20:23], 0 offset:48 ; 4-byte Folded Reload
	buffer_load_dword v58, off, s[20:23], 0 offset:52 ; 4-byte Folded Reload
	buffer_load_dword v59, off, s[20:23], 0 offset:56 ; 4-byte Folded Reload
	buffer_load_dword v60, off, s[20:23], 0 offset:60 ; 4-byte Folded Reload
	;; [unrolled: 9-line block ×4, first 2 shown]
	s_waitcnt vmcnt(0)
	global_store_dwordx4 v[53:54], v[49:52], off
	buffer_load_dword v49, off, s[20:23], 0 offset:1072 ; 4-byte Folded Reload
	s_nop 0
	buffer_load_dword v50, off, s[20:23], 0 offset:1076 ; 4-byte Folded Reload
	buffer_load_dword v45, off, s[20:23], 0 ; 4-byte Folded Reload
	buffer_load_dword v46, off, s[20:23], 0 offset:4 ; 4-byte Folded Reload
	buffer_load_dword v47, off, s[20:23], 0 offset:8 ; 4-byte Folded Reload
	;; [unrolled: 1-line block ×3, first 2 shown]
	s_waitcnt vmcnt(0)
	global_store_dwordx4 v[49:50], v[45:48], off
	buffer_load_dword v45, off, s[20:23], 0 offset:1080 ; 4-byte Folded Reload
	s_nop 0
	buffer_load_dword v46, off, s[20:23], 0 offset:1084 ; 4-byte Folded Reload
	s_waitcnt vmcnt(0)
	global_store_dwordx4 v[45:46], v[113:116], off
	buffer_load_dword v41, off, s[20:23], 0 offset:1088 ; 4-byte Folded Reload
	buffer_load_dword v42, off, s[20:23], 0 offset:1092 ; 4-byte Folded Reload
	s_waitcnt vmcnt(0)
	global_store_dwordx4 v[41:42], v[37:40], off
	buffer_load_dword v37, off, s[20:23], 0 offset:1096 ; 4-byte Folded Reload
	s_nop 0
	buffer_load_dword v38, off, s[20:23], 0 offset:1100 ; 4-byte Folded Reload
	s_waitcnt vmcnt(0)
	global_store_dwordx4 v[37:38], v[33:36], off
	buffer_load_dword v33, off, s[20:23], 0 offset:1104 ; 4-byte Folded Reload
	s_nop 0
	;; [unrolled: 5-line block ×10, first 2 shown]
	buffer_load_dword v1, off, s[20:23], 0 offset:1180 ; 4-byte Folded Reload
	s_waitcnt vmcnt(0)
	global_store_dwordx4 v[0:1], v[97:100], off
.LBB119_543:
	s_endpgm
	.section	.rodata,"a",@progbits
	.p2align	6, 0x0
	.amdhsa_kernel _ZN9rocsolver6v33100L23getf2_npvt_small_kernelILi60E19rocblas_complex_numIdEiiPS3_EEvT1_T3_lS5_lPT2_S5_S5_
		.amdhsa_group_segment_fixed_size 0
		.amdhsa_private_segment_fixed_size 1964
		.amdhsa_kernarg_size 312
		.amdhsa_user_sgpr_count 6
		.amdhsa_user_sgpr_private_segment_buffer 1
		.amdhsa_user_sgpr_dispatch_ptr 0
		.amdhsa_user_sgpr_queue_ptr 0
		.amdhsa_user_sgpr_kernarg_segment_ptr 1
		.amdhsa_user_sgpr_dispatch_id 0
		.amdhsa_user_sgpr_flat_scratch_init 0
		.amdhsa_user_sgpr_private_segment_size 0
		.amdhsa_uses_dynamic_stack 0
		.amdhsa_system_sgpr_private_segment_wavefront_offset 1
		.amdhsa_system_sgpr_workgroup_id_x 1
		.amdhsa_system_sgpr_workgroup_id_y 1
		.amdhsa_system_sgpr_workgroup_id_z 0
		.amdhsa_system_sgpr_workgroup_info 0
		.amdhsa_system_vgpr_workitem_id 1
		.amdhsa_next_free_vgpr 128
		.amdhsa_next_free_sgpr 24
		.amdhsa_reserve_vcc 1
		.amdhsa_reserve_flat_scratch 0
		.amdhsa_float_round_mode_32 0
		.amdhsa_float_round_mode_16_64 0
		.amdhsa_float_denorm_mode_32 3
		.amdhsa_float_denorm_mode_16_64 3
		.amdhsa_dx10_clamp 1
		.amdhsa_ieee_mode 1
		.amdhsa_fp16_overflow 0
		.amdhsa_exception_fp_ieee_invalid_op 0
		.amdhsa_exception_fp_denorm_src 0
		.amdhsa_exception_fp_ieee_div_zero 0
		.amdhsa_exception_fp_ieee_overflow 0
		.amdhsa_exception_fp_ieee_underflow 0
		.amdhsa_exception_fp_ieee_inexact 0
		.amdhsa_exception_int_div_zero 0
	.end_amdhsa_kernel
	.section	.text._ZN9rocsolver6v33100L23getf2_npvt_small_kernelILi60E19rocblas_complex_numIdEiiPS3_EEvT1_T3_lS5_lPT2_S5_S5_,"axG",@progbits,_ZN9rocsolver6v33100L23getf2_npvt_small_kernelILi60E19rocblas_complex_numIdEiiPS3_EEvT1_T3_lS5_lPT2_S5_S5_,comdat
.Lfunc_end119:
	.size	_ZN9rocsolver6v33100L23getf2_npvt_small_kernelILi60E19rocblas_complex_numIdEiiPS3_EEvT1_T3_lS5_lPT2_S5_S5_, .Lfunc_end119-_ZN9rocsolver6v33100L23getf2_npvt_small_kernelILi60E19rocblas_complex_numIdEiiPS3_EEvT1_T3_lS5_lPT2_S5_S5_
                                        ; -- End function
	.set _ZN9rocsolver6v33100L23getf2_npvt_small_kernelILi60E19rocblas_complex_numIdEiiPS3_EEvT1_T3_lS5_lPT2_S5_S5_.num_vgpr, 128
	.set _ZN9rocsolver6v33100L23getf2_npvt_small_kernelILi60E19rocblas_complex_numIdEiiPS3_EEvT1_T3_lS5_lPT2_S5_S5_.num_agpr, 0
	.set _ZN9rocsolver6v33100L23getf2_npvt_small_kernelILi60E19rocblas_complex_numIdEiiPS3_EEvT1_T3_lS5_lPT2_S5_S5_.numbered_sgpr, 24
	.set _ZN9rocsolver6v33100L23getf2_npvt_small_kernelILi60E19rocblas_complex_numIdEiiPS3_EEvT1_T3_lS5_lPT2_S5_S5_.num_named_barrier, 0
	.set _ZN9rocsolver6v33100L23getf2_npvt_small_kernelILi60E19rocblas_complex_numIdEiiPS3_EEvT1_T3_lS5_lPT2_S5_S5_.private_seg_size, 1964
	.set _ZN9rocsolver6v33100L23getf2_npvt_small_kernelILi60E19rocblas_complex_numIdEiiPS3_EEvT1_T3_lS5_lPT2_S5_S5_.uses_vcc, 1
	.set _ZN9rocsolver6v33100L23getf2_npvt_small_kernelILi60E19rocblas_complex_numIdEiiPS3_EEvT1_T3_lS5_lPT2_S5_S5_.uses_flat_scratch, 0
	.set _ZN9rocsolver6v33100L23getf2_npvt_small_kernelILi60E19rocblas_complex_numIdEiiPS3_EEvT1_T3_lS5_lPT2_S5_S5_.has_dyn_sized_stack, 0
	.set _ZN9rocsolver6v33100L23getf2_npvt_small_kernelILi60E19rocblas_complex_numIdEiiPS3_EEvT1_T3_lS5_lPT2_S5_S5_.has_recursion, 0
	.set _ZN9rocsolver6v33100L23getf2_npvt_small_kernelILi60E19rocblas_complex_numIdEiiPS3_EEvT1_T3_lS5_lPT2_S5_S5_.has_indirect_call, 0
	.section	.AMDGPU.csdata,"",@progbits
; Kernel info:
; codeLenInByte = 298440
; TotalNumSgprs: 28
; NumVgprs: 128
; ScratchSize: 1964
; MemoryBound: 1
; FloatMode: 240
; IeeeMode: 1
; LDSByteSize: 0 bytes/workgroup (compile time only)
; SGPRBlocks: 3
; VGPRBlocks: 31
; NumSGPRsForWavesPerEU: 28
; NumVGPRsForWavesPerEU: 128
; Occupancy: 2
; WaveLimiterHint : 0
; COMPUTE_PGM_RSRC2:SCRATCH_EN: 1
; COMPUTE_PGM_RSRC2:USER_SGPR: 6
; COMPUTE_PGM_RSRC2:TRAP_HANDLER: 0
; COMPUTE_PGM_RSRC2:TGID_X_EN: 1
; COMPUTE_PGM_RSRC2:TGID_Y_EN: 1
; COMPUTE_PGM_RSRC2:TGID_Z_EN: 0
; COMPUTE_PGM_RSRC2:TIDIG_COMP_CNT: 1
	.section	.text._ZN9rocsolver6v33100L18getf2_small_kernelILi61E19rocblas_complex_numIdEiiPS3_EEvT1_T3_lS5_lPS5_llPT2_S5_S5_S7_l,"axG",@progbits,_ZN9rocsolver6v33100L18getf2_small_kernelILi61E19rocblas_complex_numIdEiiPS3_EEvT1_T3_lS5_lPS5_llPT2_S5_S5_S7_l,comdat
	.globl	_ZN9rocsolver6v33100L18getf2_small_kernelILi61E19rocblas_complex_numIdEiiPS3_EEvT1_T3_lS5_lPS5_llPT2_S5_S5_S7_l ; -- Begin function _ZN9rocsolver6v33100L18getf2_small_kernelILi61E19rocblas_complex_numIdEiiPS3_EEvT1_T3_lS5_lPS5_llPT2_S5_S5_S7_l
	.p2align	8
	.type	_ZN9rocsolver6v33100L18getf2_small_kernelILi61E19rocblas_complex_numIdEiiPS3_EEvT1_T3_lS5_lPS5_llPT2_S5_S5_S7_l,@function
_ZN9rocsolver6v33100L18getf2_small_kernelILi61E19rocblas_complex_numIdEiiPS3_EEvT1_T3_lS5_lPS5_llPT2_S5_S5_S7_l: ; @_ZN9rocsolver6v33100L18getf2_small_kernelILi61E19rocblas_complex_numIdEiiPS3_EEvT1_T3_lS5_lPS5_llPT2_S5_S5_S7_l
; %bb.0:
	s_load_dword s6, s[4:5], 0x6c
	s_load_dwordx2 s[12:13], s[4:5], 0x48
	s_add_u32 s0, s0, s8
	s_addc_u32 s1, s1, 0
	s_waitcnt lgkmcnt(0)
	s_lshr_b32 s6, s6, 16
	s_mul_i32 s7, s7, s6
	v_add_u32_e32 v6, s7, v1
	v_cmp_gt_i32_e32 vcc, s12, v6
	s_and_saveexec_b64 s[6:7], vcc
	s_cbranch_execnz .LBB120_1
; %bb.1390:
	s_getpc_b64 s[98:99]
.Lpost_getpc34:
	s_add_u32 s98, s98, (.LBB120_1389-.Lpost_getpc34)&4294967295
	s_addc_u32 s99, s99, (.LBB120_1389-.Lpost_getpc34)>>32
	s_setpc_b64 s[98:99]
.LBB120_1:
	s_load_dwordx4 s[8:11], s[4:5], 0x50
	v_mov_b32_e32 v8, 0
	v_ashrrev_i32_e32 v7, 31, v6
	v_mov_b32_e32 v9, 0
	s_waitcnt lgkmcnt(0)
	s_cmp_eq_u64 s[8:9], 0
	s_cselect_b64 s[22:23], -1, 0
	s_and_b64 vcc, exec, s[22:23]
	s_cbranch_vccnz .LBB120_3
; %bb.2:
	v_mul_lo_u32 v4, s11, v6
	v_mul_lo_u32 v5, s10, v7
	v_mad_u64_u32 v[2:3], s[6:7], s10, v6, 0
	v_add3_u32 v3, v3, v5, v4
	v_lshlrev_b64 v[2:3], 2, v[2:3]
	v_mov_b32_e32 v4, s9
	v_add_co_u32_e32 v8, vcc, s8, v2
	v_addc_co_u32_e32 v9, vcc, v4, v3, vcc
.LBB120_3:
	s_load_dwordx8 s[24:31], s[4:5], 0x20
	s_load_dwordx4 s[16:19], s[4:5], 0x8
                                        ; implicit-def: $vgpr63 : SGPR spill to VGPR lane
	v_lshlrev_b32_e32 v11, 4, v0
	s_movk_i32 s20, 0x80
	s_movk_i32 s33, 0x110
	s_waitcnt lgkmcnt(0)
	s_mov_b64 s[8:9], s[28:29]
	s_mov_b64 s[10:11], s[30:31]
	;; [unrolled: 1-line block ×3, first 2 shown]
	v_writelane_b32 v63, s4, 0
	v_writelane_b32 v63, s5, 1
	;; [unrolled: 1-line block ×7, first 2 shown]
	v_mul_lo_u32 v4, s25, v6
	v_mul_lo_u32 v5, s24, v7
	v_writelane_b32 v63, s11, 7
	v_mad_u64_u32 v[2:3], s[6:7], s24, v6, 0
	s_load_dword s6, s[4:5], 0x18
	s_load_dword s64, s[4:5], 0x0
	v_mov_b32_e32 v10, s17
	v_add3_u32 v3, v3, v5, v4
	v_lshlrev_b64 v[2:3], 4, v[2:3]
	s_lshl_b64 s[8:9], s[18:19], 4
	v_add_co_u32_e32 v2, vcc, s16, v2
	v_addc_co_u32_e32 v3, vcc, v10, v3, vcc
	v_mov_b32_e32 v4, s9
	v_add_co_u32_e32 v38, vcc, s8, v2
	s_waitcnt lgkmcnt(0)
	s_add_i32 s7, s6, s6
	v_addc_co_u32_e32 v39, vcc, v3, v4, vcc
	v_add_u32_e32 v2, s7, v0
	v_add_co_u32_e32 v24, vcc, v38, v11
	v_add_u32_e32 v4, s6, v2
	v_addc_co_u32_e32 v25, vcc, 0, v39, vcc
	v_ashrrev_i32_e32 v5, 31, v4
	global_load_dwordx4 v[12:15], v[24:25], off
	v_lshlrev_b64 v[16:17], 4, v[4:5]
	v_add_u32_e32 v4, s6, v4
	v_add_co_u32_e32 v16, vcc, v38, v16
	v_addc_co_u32_e32 v17, vcc, v39, v17, vcc
	global_load_dwordx4 v[16:19], v[16:17], off
	v_ashrrev_i32_e32 v5, 31, v4
	v_add_u32_e32 v20, s6, v4
	v_lshlrev_b64 v[4:5], 4, v[4:5]
	v_ashrrev_i32_e32 v21, 31, v20
	v_add_co_u32_e32 v4, vcc, v38, v4
	v_addc_co_u32_e32 v5, vcc, v39, v5, vcc
	v_add_u32_e32 v26, s6, v20
	v_lshlrev_b64 v[28:29], 4, v[20:21]
	global_load_dwordx4 v[20:23], v[4:5], off
	v_ashrrev_i32_e32 v3, 31, v2
	v_lshlrev_b64 v[2:3], 4, v[2:3]
	v_ashrrev_i32_e32 v27, 31, v26
	v_add_co_u32_e32 v44, vcc, v38, v2
	v_addc_co_u32_e32 v45, vcc, v39, v3, vcc
	v_add_u32_e32 v4, s6, v26
	v_lshlrev_b64 v[26:27], 4, v[26:27]
	v_add_co_u32_e32 v34, vcc, v38, v28
	v_addc_co_u32_e32 v35, vcc, v39, v29, vcc
	v_writelane_b32 v63, s7, 8
	s_ashr_i32 s7, s6, 31
	v_add_co_u32_e32 v40, vcc, v38, v26
	s_lshl_b64 s[8:9], s[6:7], 4
	v_ashrrev_i32_e32 v5, 31, v4
	v_addc_co_u32_e32 v41, vcc, v39, v27, vcc
	v_mov_b32_e32 v10, s9
	v_add_u32_e32 v36, s6, v4
	v_lshlrev_b64 v[32:33], 4, v[4:5]
	v_writelane_b32 v63, s8, 9
	v_add_co_u32_e32 v48, vcc, s8, v24
	v_ashrrev_i32_e32 v37, 31, v36
	v_addc_co_u32_e32 v49, vcc, v25, v10, vcc
	v_lshlrev_b64 v[46:47], 4, v[36:37]
	v_add_co_u32_e32 v50, vcc, v38, v32
	v_addc_co_u32_e32 v51, vcc, v39, v33, vcc
	global_load_dwordx4 v[2:5], v[24:25], off
	s_nop 0
	global_load_dwordx4 v[24:27], v[34:35], off
	global_load_dwordx4 v[28:31], v[40:41], off
	s_nop 0
	global_load_dwordx4 v[32:35], v[48:49], off
	global_load_dwordx4 v[40:43], v[44:45], off
	v_add_co_u32_e32 v44, vcc, v38, v46
	v_add_u32_e32 v36, s6, v36
	v_addc_co_u32_e32 v45, vcc, v39, v47, vcc
	v_ashrrev_i32_e32 v37, 31, v36
	s_max_i32 s7, s64, 61
	s_load_dwordx2 s[4:5], s[4:5], 0x40
	s_waitcnt vmcnt(7)
	buffer_store_dword v15, off, s[0:3], 0 offset:12
	buffer_store_dword v14, off, s[0:3], 0 offset:8
	;; [unrolled: 1-line block ×3, first 2 shown]
	buffer_store_dword v12, off, s[0:3], 0
	s_waitcnt vmcnt(10)
	buffer_store_dword v19, off, s[0:3], 0 offset:60
	buffer_store_dword v18, off, s[0:3], 0 offset:56
	;; [unrolled: 1-line block ×4, first 2 shown]
	global_load_dwordx4 v[12:15], v[50:51], off
	s_nop 0
	global_load_dwordx4 v[16:19], v[44:45], off
	v_lshlrev_b64 v[44:45], 4, v[36:37]
	v_add_u32_e32 v36, s6, v36
	v_add_co_u32_e32 v52, vcc, v38, v44
	v_ashrrev_i32_e32 v37, 31, v36
	v_addc_co_u32_e32 v53, vcc, v39, v45, vcc
	v_lshlrev_b64 v[44:45], 4, v[36:37]
	v_add_u32_e32 v36, s6, v36
	v_add_co_u32_e32 v54, vcc, v38, v44
	v_addc_co_u32_e32 v55, vcc, v39, v45, vcc
	global_load_dwordx4 v[44:47], v[52:53], off
	global_load_dwordx4 v[48:51], v[54:55], off
	v_ashrrev_i32_e32 v37, 31, v36
	v_lshlrev_b64 v[52:53], 4, v[36:37]
	v_add_u32_e32 v36, s6, v36
	v_ashrrev_i32_e32 v37, 31, v36
	v_add_co_u32_e32 v52, vcc, v38, v52
	v_lshlrev_b64 v[56:57], 4, v[36:37]
	v_addc_co_u32_e32 v53, vcc, v39, v53, vcc
	v_add_co_u32_e32 v56, vcc, v38, v56
	v_add_u32_e32 v36, s6, v36
	v_addc_co_u32_e32 v57, vcc, v39, v57, vcc
	v_ashrrev_i32_e32 v37, 31, v36
	global_load_dwordx4 v[52:55], v[52:53], off
	v_writelane_b32 v63, s9, 10
	global_load_dwordx4 v[56:59], v[56:57], off
	s_waitcnt vmcnt(19)
	buffer_store_dword v23, off, s[0:3], 0 offset:76
	buffer_store_dword v22, off, s[0:3], 0 offset:72
	;; [unrolled: 1-line block ×4, first 2 shown]
	v_lshlrev_b64 v[20:21], 4, v[36:37]
	s_waitcnt lgkmcnt(0)
	v_writelane_b32 v63, s4, 11
	v_add_co_u32_e32 v20, vcc, v38, v20
	v_addc_co_u32_e32 v21, vcc, v39, v21, vcc
	global_load_dwordx4 v[20:23], v[20:21], off
	v_mov_b32_e32 v10, 0
	s_movk_i32 s18, 0x60
	s_movk_i32 s19, 0x70
	;; [unrolled: 1-line block ×26, first 2 shown]
	s_waitcnt vmcnt(20)
	buffer_store_dword v35, off, s[0:3], 0 offset:28
	buffer_store_dword v34, off, s[0:3], 0 offset:24
	;; [unrolled: 1-line block ×4, first 2 shown]
	s_waitcnt vmcnt(23)
	buffer_store_dword v43, off, s[0:3], 0 offset:44
	buffer_store_dword v42, off, s[0:3], 0 offset:40
	;; [unrolled: 1-line block ×12, first 2 shown]
	s_waitcnt vmcnt(26)
	buffer_store_dword v15, off, s[0:3], 0 offset:124
	buffer_store_dword v14, off, s[0:3], 0 offset:120
	buffer_store_dword v13, off, s[0:3], 0 offset:116
	buffer_store_dword v12, off, s[0:3], 0 offset:112
	s_waitcnt vmcnt(29)
	buffer_store_dword v19, off, s[0:3], 0 offset:140
	buffer_store_dword v18, off, s[0:3], 0 offset:136
	buffer_store_dword v17, off, s[0:3], 0 offset:132
	buffer_store_dword v16, off, s[0:3], 0 offset:128
	;; [unrolled: 5-line block ×6, first 2 shown]
	v_add_u32_e32 v16, s6, v36
	v_ashrrev_i32_e32 v17, 31, v16
	v_lshlrev_b64 v[12:13], 4, v[16:17]
	v_add_u32_e32 v16, s6, v16
	v_add_co_u32_e32 v12, vcc, v38, v12
	v_addc_co_u32_e32 v13, vcc, v39, v13, vcc
	global_load_dwordx4 v[12:15], v[12:13], off
	v_ashrrev_i32_e32 v17, 31, v16
	v_lshlrev_b64 v[17:18], 4, v[16:17]
	v_add_u32_e32 v26, s6, v16
	v_ashrrev_i32_e32 v27, 31, v26
	v_add_co_u32_e32 v24, vcc, v38, v17
	v_lshlrev_b64 v[16:17], 4, v[26:27]
	v_addc_co_u32_e32 v25, vcc, v39, v18, vcc
	s_waitcnt vmcnt(41)
	buffer_store_dword v23, off, s[0:3], 0 offset:220
	buffer_store_dword v22, off, s[0:3], 0 offset:216
	;; [unrolled: 1-line block ×4, first 2 shown]
	v_add_co_u32_e32 v27, vcc, v38, v16
	v_addc_co_u32_e32 v28, vcc, v39, v17, vcc
	global_load_dwordx4 v[16:19], v[24:25], off
	global_load_dwordx4 v[20:23], v[27:28], off
	v_add_u32_e32 v24, s6, v26
	v_ashrrev_i32_e32 v25, 31, v24
	v_lshlrev_b64 v[25:26], 4, v[24:25]
	v_add_u32_e32 v34, s6, v24
	v_ashrrev_i32_e32 v35, 31, v34
	v_add_co_u32_e32 v32, vcc, v38, v25
	v_lshlrev_b64 v[24:25], 4, v[34:35]
	v_addc_co_u32_e32 v33, vcc, v39, v26, vcc
	v_add_co_u32_e32 v35, vcc, v38, v24
	v_addc_co_u32_e32 v36, vcc, v39, v25, vcc
	global_load_dwordx4 v[24:27], v[32:33], off
	global_load_dwordx4 v[28:31], v[35:36], off
	v_add_u32_e32 v32, s6, v34
	v_ashrrev_i32_e32 v33, 31, v32
	v_lshlrev_b64 v[33:34], 4, v[32:33]
	v_add_u32_e32 v44, s6, v32
	v_ashrrev_i32_e32 v45, 31, v44
	v_add_co_u32_e32 v36, vcc, v38, v33
	v_lshlrev_b64 v[32:33], 4, v[44:45]
	v_addc_co_u32_e32 v37, vcc, v39, v34, vcc
	v_add_co_u32_e32 v45, vcc, v38, v32
	v_addc_co_u32_e32 v46, vcc, v39, v33, vcc
	global_load_dwordx4 v[32:35], v[36:37], off
	global_load_dwordx4 v[40:43], v[45:46], off
	v_add_u32_e32 v36, s6, v44
	v_ashrrev_i32_e32 v37, 31, v36
	v_lshlrev_b64 v[44:45], 4, v[36:37]
	v_add_u32_e32 v36, s6, v36
	v_add_co_u32_e32 v52, vcc, v38, v44
	v_ashrrev_i32_e32 v37, 31, v36
	v_addc_co_u32_e32 v53, vcc, v39, v45, vcc
	v_lshlrev_b64 v[44:45], 4, v[36:37]
	v_add_u32_e32 v36, s6, v36
	v_add_co_u32_e32 v54, vcc, v38, v44
	v_addc_co_u32_e32 v55, vcc, v39, v45, vcc
	global_load_dwordx4 v[44:47], v[52:53], off
	global_load_dwordx4 v[48:51], v[54:55], off
	v_ashrrev_i32_e32 v37, 31, v36
	v_lshlrev_b64 v[52:53], 4, v[36:37]
	v_add_u32_e32 v36, s6, v36
	v_add_co_u32_e32 v52, vcc, v38, v52
	v_addc_co_u32_e32 v53, vcc, v39, v53, vcc
	v_ashrrev_i32_e32 v37, 31, v36
	v_lshlrev_b64 v[56:57], 4, v[36:37]
	global_load_dwordx4 v[52:55], v[52:53], off
	v_add_co_u32_e32 v56, vcc, v38, v56
	v_addc_co_u32_e32 v57, vcc, v39, v57, vcc
	global_load_dwordx4 v[56:59], v[56:57], off
	v_add_u32_e32 v36, s6, v36
	v_ashrrev_i32_e32 v37, 31, v36
	s_waitcnt vmcnt(14)
	buffer_store_dword v15, off, s[0:3], 0 offset:236
	buffer_store_dword v14, off, s[0:3], 0 offset:232
	;; [unrolled: 1-line block ×4, first 2 shown]
	v_lshlrev_b64 v[12:13], 4, v[36:37]
	s_movk_i32 s51, 0x220
	v_add_co_u32_e32 v12, vcc, v38, v12
	v_addc_co_u32_e32 v13, vcc, v39, v13, vcc
	global_load_dwordx4 v[12:15], v[12:13], off
	s_waitcnt vmcnt(14)
	buffer_store_dword v19, off, s[0:3], 0 offset:252
	buffer_store_dword v18, off, s[0:3], 0 offset:248
	buffer_store_dword v17, off, s[0:3], 0 offset:244
	buffer_store_dword v16, off, s[0:3], 0 offset:240
	s_waitcnt vmcnt(17)
	buffer_store_dword v23, off, s[0:3], 0 offset:268
	buffer_store_dword v22, off, s[0:3], 0 offset:264
	buffer_store_dword v21, off, s[0:3], 0 offset:260
	buffer_store_dword v20, off, s[0:3], 0 offset:256
	;; [unrolled: 5-line block ×10, first 2 shown]
	v_add_u32_e32 v20, s6, v36
	v_ashrrev_i32_e32 v21, 31, v20
	v_lshlrev_b64 v[16:17], 4, v[20:21]
	s_movk_i32 s87, 0x230
	v_add_co_u32_e32 v16, vcc, v38, v16
	v_addc_co_u32_e32 v17, vcc, v39, v17, vcc
	global_load_dwordx4 v[16:19], v[16:17], off
	s_waitcnt vmcnt(41)
	buffer_store_dword v15, off, s[0:3], 0 offset:412
	buffer_store_dword v14, off, s[0:3], 0 offset:408
	;; [unrolled: 1-line block ×4, first 2 shown]
	v_add_u32_e32 v12, s6, v20
	v_ashrrev_i32_e32 v13, 31, v12
	v_lshlrev_b64 v[13:14], 4, v[12:13]
	v_add_u32_e32 v26, s6, v12
	v_ashrrev_i32_e32 v27, 31, v26
	v_add_co_u32_e32 v24, vcc, v38, v13
	v_lshlrev_b64 v[12:13], 4, v[26:27]
	v_addc_co_u32_e32 v25, vcc, v39, v14, vcc
	v_add_co_u32_e32 v27, vcc, v38, v12
	v_addc_co_u32_e32 v28, vcc, v39, v13, vcc
	global_load_dwordx4 v[12:15], v[24:25], off
	global_load_dwordx4 v[20:23], v[27:28], off
	v_add_u32_e32 v24, s6, v26
	v_ashrrev_i32_e32 v25, 31, v24
	v_lshlrev_b64 v[25:26], 4, v[24:25]
	v_add_u32_e32 v34, s6, v24
	v_ashrrev_i32_e32 v35, 31, v34
	v_add_co_u32_e32 v32, vcc, v38, v25
	v_lshlrev_b64 v[24:25], 4, v[34:35]
	v_addc_co_u32_e32 v33, vcc, v39, v26, vcc
	v_add_co_u32_e32 v35, vcc, v38, v24
	v_addc_co_u32_e32 v36, vcc, v39, v25, vcc
	global_load_dwordx4 v[24:27], v[32:33], off
	global_load_dwordx4 v[28:31], v[35:36], off
	;; [unrolled: 12-line block ×3, first 2 shown]
	v_add_u32_e32 v36, s6, v44
	v_ashrrev_i32_e32 v37, 31, v36
	v_lshlrev_b64 v[44:45], 4, v[36:37]
	v_add_u32_e32 v36, s6, v36
	v_add_co_u32_e32 v52, vcc, v38, v44
	v_ashrrev_i32_e32 v37, 31, v36
	v_addc_co_u32_e32 v53, vcc, v39, v45, vcc
	v_lshlrev_b64 v[44:45], 4, v[36:37]
	v_add_u32_e32 v36, s6, v36
	v_add_co_u32_e32 v54, vcc, v38, v44
	v_ashrrev_i32_e32 v37, 31, v36
	v_addc_co_u32_e32 v55, vcc, v39, v45, vcc
	global_load_dwordx4 v[44:47], v[52:53], off
	global_load_dwordx4 v[48:51], v[54:55], off
	v_lshlrev_b64 v[52:53], 4, v[36:37]
	v_add_u32_e32 v36, s6, v36
	v_ashrrev_i32_e32 v37, 31, v36
	v_add_co_u32_e32 v52, vcc, v38, v52
	v_lshlrev_b64 v[56:57], 4, v[36:37]
	v_addc_co_u32_e32 v53, vcc, v39, v53, vcc
	v_add_co_u32_e32 v56, vcc, v38, v56
	v_add_u32_e32 v36, s6, v36
	v_addc_co_u32_e32 v57, vcc, v39, v57, vcc
	v_ashrrev_i32_e32 v37, 31, v36
	global_load_dwordx4 v[52:55], v[52:53], off
	s_movk_i32 s88, 0x240
	global_load_dwordx4 v[56:59], v[56:57], off
	s_waitcnt vmcnt(14)
	buffer_store_dword v19, off, s[0:3], 0 offset:428
	buffer_store_dword v18, off, s[0:3], 0 offset:424
	;; [unrolled: 1-line block ×4, first 2 shown]
	v_lshlrev_b64 v[16:17], 4, v[36:37]
	s_movk_i32 s89, 0x250
	v_add_co_u32_e32 v16, vcc, v38, v16
	v_addc_co_u32_e32 v17, vcc, v39, v17, vcc
	global_load_dwordx4 v[16:19], v[16:17], off
	s_waitcnt vmcnt(14)
	buffer_store_dword v15, off, s[0:3], 0 offset:444
	buffer_store_dword v14, off, s[0:3], 0 offset:440
	buffer_store_dword v13, off, s[0:3], 0 offset:436
	buffer_store_dword v12, off, s[0:3], 0 offset:432
	s_waitcnt vmcnt(17)
	buffer_store_dword v23, off, s[0:3], 0 offset:460
	buffer_store_dword v22, off, s[0:3], 0 offset:456
	buffer_store_dword v21, off, s[0:3], 0 offset:452
	buffer_store_dword v20, off, s[0:3], 0 offset:448
	;; [unrolled: 5-line block ×10, first 2 shown]
	v_add_u32_e32 v20, s6, v36
	v_ashrrev_i32_e32 v21, 31, v20
	v_lshlrev_b64 v[12:13], 4, v[20:21]
	s_movk_i32 s90, 0x260
	v_add_co_u32_e32 v12, vcc, v38, v12
	v_addc_co_u32_e32 v13, vcc, v39, v13, vcc
	global_load_dwordx4 v[12:15], v[12:13], off
	s_waitcnt vmcnt(41)
	buffer_store_dword v19, off, s[0:3], 0 offset:604
	buffer_store_dword v18, off, s[0:3], 0 offset:600
	;; [unrolled: 1-line block ×4, first 2 shown]
	v_add_u32_e32 v16, s6, v20
	v_ashrrev_i32_e32 v17, 31, v16
	v_lshlrev_b64 v[17:18], 4, v[16:17]
	v_add_u32_e32 v26, s6, v16
	v_ashrrev_i32_e32 v27, 31, v26
	v_add_co_u32_e32 v24, vcc, v38, v17
	v_lshlrev_b64 v[16:17], 4, v[26:27]
	v_addc_co_u32_e32 v25, vcc, v39, v18, vcc
	v_add_co_u32_e32 v27, vcc, v38, v16
	v_addc_co_u32_e32 v28, vcc, v39, v17, vcc
	global_load_dwordx4 v[16:19], v[24:25], off
	global_load_dwordx4 v[20:23], v[27:28], off
	v_add_u32_e32 v24, s6, v26
	v_ashrrev_i32_e32 v25, 31, v24
	v_lshlrev_b64 v[25:26], 4, v[24:25]
	v_add_u32_e32 v34, s6, v24
	v_ashrrev_i32_e32 v35, 31, v34
	v_add_co_u32_e32 v32, vcc, v38, v25
	v_lshlrev_b64 v[24:25], 4, v[34:35]
	v_addc_co_u32_e32 v33, vcc, v39, v26, vcc
	v_add_co_u32_e32 v35, vcc, v38, v24
	v_addc_co_u32_e32 v36, vcc, v39, v25, vcc
	global_load_dwordx4 v[24:27], v[32:33], off
	global_load_dwordx4 v[28:31], v[35:36], off
	;; [unrolled: 12-line block ×3, first 2 shown]
	v_add_u32_e32 v36, s6, v44
	v_ashrrev_i32_e32 v37, 31, v36
	v_lshlrev_b64 v[44:45], 4, v[36:37]
	v_add_u32_e32 v36, s6, v36
	v_add_co_u32_e32 v52, vcc, v38, v44
	v_ashrrev_i32_e32 v37, 31, v36
	v_addc_co_u32_e32 v53, vcc, v39, v45, vcc
	v_lshlrev_b64 v[44:45], 4, v[36:37]
	v_add_u32_e32 v36, s6, v36
	v_add_co_u32_e32 v54, vcc, v38, v44
	v_addc_co_u32_e32 v55, vcc, v39, v45, vcc
	global_load_dwordx4 v[44:47], v[52:53], off
	global_load_dwordx4 v[48:51], v[54:55], off
	v_ashrrev_i32_e32 v37, 31, v36
	v_lshlrev_b64 v[52:53], 4, v[36:37]
	v_add_u32_e32 v36, s6, v36
	v_add_co_u32_e32 v52, vcc, v38, v52
	v_addc_co_u32_e32 v53, vcc, v39, v53, vcc
	v_ashrrev_i32_e32 v37, 31, v36
	v_lshlrev_b64 v[56:57], 4, v[36:37]
	global_load_dwordx4 v[52:55], v[52:53], off
	v_add_co_u32_e32 v56, vcc, v38, v56
	v_addc_co_u32_e32 v57, vcc, v39, v57, vcc
	global_load_dwordx4 v[56:59], v[56:57], off
	s_waitcnt vmcnt(14)
	buffer_store_dword v15, off, s[0:3], 0 offset:620
	buffer_store_dword v14, off, s[0:3], 0 offset:616
	buffer_store_dword v13, off, s[0:3], 0 offset:612
	buffer_store_dword v12, off, s[0:3], 0 offset:608
	s_waitcnt vmcnt(13)
	buffer_store_dword v19, off, s[0:3], 0 offset:636
	buffer_store_dword v18, off, s[0:3], 0 offset:632
	buffer_store_dword v17, off, s[0:3], 0 offset:628
	buffer_store_dword v16, off, s[0:3], 0 offset:624
	;; [unrolled: 5-line block ×11, first 2 shown]
	v_add_u32_e32 v12, s6, v36
	v_ashrrev_i32_e32 v13, 31, v12
	v_lshlrev_b64 v[13:14], 4, v[12:13]
	v_add_u32_e32 v22, s6, v12
	v_ashrrev_i32_e32 v23, 31, v22
	v_add_co_u32_e32 v20, vcc, v38, v13
	v_lshlrev_b64 v[12:13], 4, v[22:23]
	v_addc_co_u32_e32 v21, vcc, v39, v14, vcc
	v_add_co_u32_e32 v23, vcc, v38, v12
	v_addc_co_u32_e32 v24, vcc, v39, v13, vcc
	global_load_dwordx4 v[12:15], v[20:21], off
	global_load_dwordx4 v[16:19], v[23:24], off
	v_add_u32_e32 v20, s6, v22
	v_ashrrev_i32_e32 v21, 31, v20
	v_lshlrev_b64 v[21:22], 4, v[20:21]
	v_add_u32_e32 v30, s6, v20
	v_ashrrev_i32_e32 v31, 31, v30
	v_add_co_u32_e32 v28, vcc, v38, v21
	v_lshlrev_b64 v[20:21], 4, v[30:31]
	v_addc_co_u32_e32 v29, vcc, v39, v22, vcc
	v_add_co_u32_e32 v31, vcc, v38, v20
	v_addc_co_u32_e32 v32, vcc, v39, v21, vcc
	global_load_dwordx4 v[20:23], v[28:29], off
	global_load_dwordx4 v[24:27], v[31:32], off
	;; [unrolled: 12-line block ×3, first 2 shown]
	v_add_u32_e32 v36, s6, v40
	v_ashrrev_i32_e32 v37, 31, v36
	v_lshlrev_b64 v[40:41], 4, v[36:37]
	v_add_u32_e32 v36, s6, v36
	v_add_co_u32_e32 v48, vcc, v38, v40
	v_ashrrev_i32_e32 v37, 31, v36
	v_addc_co_u32_e32 v49, vcc, v39, v41, vcc
	v_lshlrev_b64 v[40:41], 4, v[36:37]
	v_add_u32_e32 v36, s6, v36
	v_add_co_u32_e32 v50, vcc, v38, v40
	v_ashrrev_i32_e32 v37, 31, v36
	v_addc_co_u32_e32 v51, vcc, v39, v41, vcc
	global_load_dwordx4 v[40:43], v[48:49], off
	global_load_dwordx4 v[44:47], v[50:51], off
	v_lshlrev_b64 v[48:49], 4, v[36:37]
	v_add_u32_e32 v36, s6, v36
	v_ashrrev_i32_e32 v37, 31, v36
	v_add_co_u32_e32 v48, vcc, v38, v48
	v_lshlrev_b64 v[52:53], 4, v[36:37]
	v_add_u32_e32 v36, s6, v36
	v_addc_co_u32_e32 v49, vcc, v39, v49, vcc
	v_ashrrev_i32_e32 v37, 31, v36
	v_add_co_u32_e32 v52, vcc, v38, v52
	v_lshlrev_b64 v[56:57], 4, v[36:37]
	v_addc_co_u32_e32 v53, vcc, v39, v53, vcc
	v_add_co_u32_e32 v56, vcc, v38, v56
	v_addc_co_u32_e32 v57, vcc, v39, v57, vcc
	global_load_dwordx4 v[48:51], v[48:49], off
	s_movk_i32 s91, 0x270
	global_load_dwordx4 v[52:55], v[52:53], off
	s_movk_i32 s92, 0x280
	global_load_dwordx4 v[56:59], v[56:57], off
	s_waitcnt vmcnt(10)
	buffer_store_dword v15, off, s[0:3], 0 offset:796
	buffer_store_dword v14, off, s[0:3], 0 offset:792
	buffer_store_dword v13, off, s[0:3], 0 offset:788
	buffer_store_dword v12, off, s[0:3], 0 offset:784
	s_waitcnt vmcnt(13)
	buffer_store_dword v19, off, s[0:3], 0 offset:812
	buffer_store_dword v18, off, s[0:3], 0 offset:808
	buffer_store_dword v17, off, s[0:3], 0 offset:804
	buffer_store_dword v16, off, s[0:3], 0 offset:800
	;; [unrolled: 5-line block ×3, first 2 shown]
	s_waitcnt vmcnt(19)
	buffer_store_dword v27, off, s[0:3], 0 offset:844
	buffer_store_dword v26, off, s[0:3], 0 offset:840
	v_add_u32_e32 v12, s6, v36
	v_ashrrev_i32_e32 v13, 31, v12
	v_lshlrev_b64 v[12:13], 4, v[12:13]
	v_mul_lo_u32 v16, s7, v1
	v_add_co_u32_e32 v12, vcc, v38, v12
	v_addc_co_u32_e32 v13, vcc, v39, v13, vcc
	global_load_dwordx4 v[12:15], v[12:13], off
	s_nop 0
	buffer_store_dword v25, off, s[0:3], 0 offset:836
	buffer_store_dword v24, off, s[0:3], 0 offset:832
	s_waitcnt vmcnt(23)
	buffer_store_dword v31, off, s[0:3], 0 offset:860
	buffer_store_dword v30, off, s[0:3], 0 offset:856
	buffer_store_dword v29, off, s[0:3], 0 offset:852
	buffer_store_dword v28, off, s[0:3], 0 offset:848
	s_waitcnt vmcnt(26)
	buffer_store_dword v35, off, s[0:3], 0 offset:876
	buffer_store_dword v34, off, s[0:3], 0 offset:872
	;; [unrolled: 5-line block ×6, first 2 shown]
	v_lshl_add_u32 v40, v16, 4, 0
	v_add_u32_e32 v1, v40, v11
	buffer_store_dword v53, off, s[0:3], 0 offset:932
	buffer_store_dword v52, off, s[0:3], 0 offset:928
	s_waitcnt vmcnt(41)
	buffer_store_dword v59, off, s[0:3], 0 offset:956
	buffer_store_dword v58, off, s[0:3], 0 offset:952
	;; [unrolled: 1-line block ×4, first 2 shown]
	s_waitcnt vmcnt(30)
	buffer_store_dword v15, off, s[0:3], 0 offset:972
	buffer_store_dword v14, off, s[0:3], 0 offset:968
	;; [unrolled: 1-line block ×4, first 2 shown]
	ds_write2_b64 v1, v[2:3], v[4:5] offset1:1
	s_waitcnt vmcnt(0) lgkmcnt(0)
	s_barrier
	ds_read2_b64 v[1:4], v40 offset1:1
	s_movk_i32 s7, 0x50
	s_movk_i32 s93, 0x290
	;; [unrolled: 1-line block ×9, first 2 shown]
	s_cmp_lt_i32 s64, 2
	v_lshlrev_b32_e32 v44, 4, v16
	s_movk_i32 s63, 0x310
	s_movk_i32 s65, 0x320
	;; [unrolled: 1-line block ×12, first 2 shown]
	v_writelane_b32 v63, s5, 12
	s_cbranch_scc1 .LBB120_6
; %bb.4:
	v_add3_u32 v5, v44, 0, 16
	s_mov_b32 s52, 1
	v_mov_b32_e32 v10, 0
.LBB120_5:                              ; =>This Inner Loop Header: Depth=1
	s_waitcnt lgkmcnt(0)
	v_cmp_gt_f64_e32 vcc, 0, v[3:4]
	v_cmp_gt_f64_e64 s[4:5], 0, v[1:2]
	ds_read2_b64 v[11:14], v5 offset1:1
	v_xor_b32_e32 v16, 0x80000000, v2
	v_xor_b32_e32 v18, 0x80000000, v4
	v_mov_b32_e32 v15, v1
	v_mov_b32_e32 v17, v3
	s_waitcnt lgkmcnt(0)
	v_xor_b32_e32 v20, 0x80000000, v14
	v_cndmask_b32_e32 v18, v4, v18, vcc
	v_cndmask_b32_e64 v16, v2, v16, s[4:5]
	v_cmp_gt_f64_e32 vcc, 0, v[13:14]
	v_cmp_gt_f64_e64 s[4:5], 0, v[11:12]
	v_add_f64 v[15:16], v[15:16], v[17:18]
	v_xor_b32_e32 v18, 0x80000000, v12
	v_mov_b32_e32 v17, v11
	v_mov_b32_e32 v19, v13
	v_add_u32_e32 v5, 16, v5
	v_cndmask_b32_e32 v20, v14, v20, vcc
	v_cndmask_b32_e64 v18, v12, v18, s[4:5]
	v_add_f64 v[17:18], v[17:18], v[19:20]
	v_mov_b32_e32 v19, s52
	s_add_i32 s52, s52, 1
	s_cmp_eq_u32 s64, s52
	v_cmp_lt_f64_e32 vcc, v[15:16], v[17:18]
	v_cndmask_b32_e32 v2, v2, v12, vcc
	v_cndmask_b32_e32 v1, v1, v11, vcc
	;; [unrolled: 1-line block ×5, first 2 shown]
	s_cbranch_scc0 .LBB120_5
.LBB120_6:
	s_waitcnt lgkmcnt(0)
	v_cmp_neq_f64_e32 vcc, 0, v[1:2]
	v_cmp_neq_f64_e64 s[4:5], 0, v[3:4]
	s_mov_b32 s10, s7
	s_mov_b32 s57, s18
	;; [unrolled: 1-line block ×56, first 2 shown]
	v_mov_b32_e32 v41, 1
	s_or_b64 s[16:17], vcc, s[4:5]
	v_mov_b32_e32 v45, 1
	s_mov_b32 s15, 16
	s_mov_b32 s14, 32
	;; [unrolled: 1-line block ×4, first 2 shown]
	s_and_saveexec_b64 s[4:5], s[16:17]
	s_mov_b32 s47, s18
	s_mov_b32 s63, s19
	;; [unrolled: 1-line block ×10, first 2 shown]
	s_cbranch_execz .LBB120_12
; %bb.7:
	v_cmp_ngt_f64_e64 s[16:17], |v[1:2]|, |v[3:4]|
	s_and_saveexec_b64 s[18:19], s[16:17]
	s_xor_b64 s[18:19], exec, s[18:19]
	s_cbranch_execz .LBB120_9
; %bb.8:
	v_div_scale_f64 v[11:12], s[16:17], v[3:4], v[3:4], v[1:2]
	v_rcp_f64_e32 v[13:14], v[11:12]
	v_fma_f64 v[15:16], -v[11:12], v[13:14], 1.0
	v_fma_f64 v[13:14], v[13:14], v[15:16], v[13:14]
	v_div_scale_f64 v[15:16], vcc, v[1:2], v[3:4], v[1:2]
	v_fma_f64 v[17:18], -v[11:12], v[13:14], 1.0
	v_fma_f64 v[13:14], v[13:14], v[17:18], v[13:14]
	v_mul_f64 v[17:18], v[15:16], v[13:14]
	v_fma_f64 v[11:12], -v[11:12], v[17:18], v[15:16]
	v_div_fmas_f64 v[11:12], v[11:12], v[13:14], v[17:18]
	v_div_fixup_f64 v[11:12], v[11:12], v[3:4], v[1:2]
	v_fma_f64 v[1:2], v[1:2], v[11:12], v[3:4]
	v_div_scale_f64 v[3:4], s[16:17], v[1:2], v[1:2], 1.0
	v_div_scale_f64 v[17:18], vcc, 1.0, v[1:2], 1.0
	v_rcp_f64_e32 v[13:14], v[3:4]
	v_fma_f64 v[15:16], -v[3:4], v[13:14], 1.0
	v_fma_f64 v[13:14], v[13:14], v[15:16], v[13:14]
	v_fma_f64 v[15:16], -v[3:4], v[13:14], 1.0
	v_fma_f64 v[13:14], v[13:14], v[15:16], v[13:14]
	v_mul_f64 v[15:16], v[17:18], v[13:14]
	v_fma_f64 v[3:4], -v[3:4], v[15:16], v[17:18]
	v_div_fmas_f64 v[3:4], v[3:4], v[13:14], v[15:16]
	v_div_fixup_f64 v[3:4], v[3:4], v[1:2], 1.0
	v_mul_f64 v[1:2], v[11:12], v[3:4]
	v_xor_b32_e32 v4, 0x80000000, v4
.LBB120_9:
	s_andn2_saveexec_b64 s[18:19], s[18:19]
	s_cbranch_execz .LBB120_11
; %bb.10:
	v_div_scale_f64 v[11:12], s[16:17], v[1:2], v[1:2], v[3:4]
	v_rcp_f64_e32 v[13:14], v[11:12]
	v_fma_f64 v[15:16], -v[11:12], v[13:14], 1.0
	v_fma_f64 v[13:14], v[13:14], v[15:16], v[13:14]
	v_div_scale_f64 v[15:16], vcc, v[3:4], v[1:2], v[3:4]
	v_fma_f64 v[17:18], -v[11:12], v[13:14], 1.0
	v_fma_f64 v[13:14], v[13:14], v[17:18], v[13:14]
	v_mul_f64 v[17:18], v[15:16], v[13:14]
	v_fma_f64 v[11:12], -v[11:12], v[17:18], v[15:16]
	v_div_fmas_f64 v[11:12], v[11:12], v[13:14], v[17:18]
	v_div_fixup_f64 v[11:12], v[11:12], v[1:2], v[3:4]
	v_fma_f64 v[1:2], v[3:4], v[11:12], v[1:2]
	v_div_scale_f64 v[3:4], s[16:17], v[1:2], v[1:2], 1.0
	v_div_scale_f64 v[17:18], vcc, 1.0, v[1:2], 1.0
	v_rcp_f64_e32 v[13:14], v[3:4]
	v_fma_f64 v[15:16], -v[3:4], v[13:14], 1.0
	v_fma_f64 v[13:14], v[13:14], v[15:16], v[13:14]
	v_fma_f64 v[15:16], -v[3:4], v[13:14], 1.0
	v_fma_f64 v[13:14], v[13:14], v[15:16], v[13:14]
	v_mul_f64 v[15:16], v[17:18], v[13:14]
	v_fma_f64 v[3:4], -v[3:4], v[15:16], v[17:18]
	v_div_fmas_f64 v[3:4], v[3:4], v[13:14], v[15:16]
	v_div_fixup_f64 v[1:2], v[3:4], v[1:2], 1.0
	v_mul_f64 v[3:4], v[11:12], -v[1:2]
.LBB120_11:
	s_or_b64 exec, exec, s[18:19]
	v_mov_b32_e32 v45, 0
	v_mov_b32_e32 v41, 2
.LBB120_12:
	s_or_b64 exec, exec, s[4:5]
	v_cmp_ne_u32_e32 vcc, v0, v10
                                        ; implicit-def: $vgpr43
	s_and_saveexec_b64 s[4:5], vcc
	s_xor_b64 s[4:5], exec, s[4:5]
	s_cbranch_execz .LBB120_18
; %bb.13:
	v_cmp_eq_u32_e32 vcc, 0, v0
	s_and_saveexec_b64 s[18:19], vcc
	s_cbranch_execz .LBB120_17
; %bb.14:
	v_cmp_ne_u32_e32 vcc, 0, v10
	s_xor_b64 s[16:17], s[22:23], -1
	s_and_b64 s[16:17], s[16:17], vcc
	s_and_saveexec_b64 s[24:25], s[16:17]
	s_cbranch_execz .LBB120_16
; %bb.15:
	v_ashrrev_i32_e32 v11, 31, v10
	v_lshlrev_b64 v[11:12], 2, v[10:11]
	v_add_co_u32_e32 v11, vcc, v8, v11
	v_addc_co_u32_e32 v12, vcc, v9, v12, vcc
	global_load_dword v0, v[11:12], off
	global_load_dword v5, v[8:9], off
	s_waitcnt vmcnt(1)
	global_store_dword v[8:9], v0, off
	s_waitcnt vmcnt(1)
	global_store_dword v[11:12], v5, off
.LBB120_16:
	s_or_b64 exec, exec, s[24:25]
	v_mov_b32_e32 v0, v10
.LBB120_17:
	s_or_b64 exec, exec, s[18:19]
	v_mov_b32_e32 v43, v0
                                        ; implicit-def: $vgpr0
.LBB120_18:
	s_or_saveexec_b64 s[4:5], s[4:5]
	v_mov_b32_e32 v42, v43
	s_xor_b64 exec, exec, s[4:5]
	s_cbranch_execz .LBB120_22
; %bb.19:
	s_mov_b32 s18, 16
.LBB120_20:                             ; =>This Inner Loop Header: Depth=1
	v_mov_b32_e32 v5, s18
	buffer_load_dword v10, v5, s[0:3], 0 offen
	buffer_load_dword v11, v5, s[0:3], 0 offen offset:4
	buffer_load_dword v12, v5, s[0:3], 0 offen offset:8
	;; [unrolled: 1-line block ×18, first 2 shown]
	v_add_u32_e32 v30, s18, v40
	s_addk_i32 s18, 0xf0
	s_cmpk_eq_i32 s18, 0x3d0
	s_waitcnt vmcnt(15)
	ds_write2_b64 v30, v[10:11], v[12:13] offset1:1
	buffer_load_dword v11, v5, s[0:3], 0 offen offset:68
	buffer_load_dword v10, v5, s[0:3], 0 offen offset:64
	;; [unrolled: 1-line block ×5, first 2 shown]
	s_waitcnt vmcnt(16)
	ds_write2_b64 v30, v[14:15], v[16:17] offset0:2 offset1:3
	buffer_load_dword v15, v5, s[0:3], 0 offen offset:108
	buffer_load_dword v16, v5, s[0:3], 0 offen offset:112
	;; [unrolled: 1-line block ×3, first 2 shown]
	s_waitcnt vmcnt(15)
	ds_write2_b64 v30, v[18:19], v[20:21] offset0:4 offset1:5
	buffer_load_dword v19, v5, s[0:3], 0 offen offset:100
	buffer_load_dword v18, v5, s[0:3], 0 offen offset:96
	;; [unrolled: 1-line block ×5, first 2 shown]
	s_waitcnt vmcnt(16)
	ds_write2_b64 v30, v[22:23], v[24:25] offset0:6 offset1:7
	buffer_load_dword v22, v5, s[0:3], 0 offen offset:128
	buffer_load_dword v23, v5, s[0:3], 0 offen offset:132
	buffer_load_dword v24, v5, s[0:3], 0 offen offset:136
	buffer_load_dword v25, v5, s[0:3], 0 offen offset:140
	s_waitcnt vmcnt(15)
	ds_write2_b64 v30, v[10:11], v[26:27] offset0:8 offset1:9
	buffer_load_dword v10, v5, s[0:3], 0 offen offset:144
	buffer_load_dword v11, v5, s[0:3], 0 offen offset:148
	buffer_load_dword v26, v5, s[0:3], 0 offen offset:152
	buffer_load_dword v27, v5, s[0:3], 0 offen offset:156
	;; [unrolled: 6-line block ×7, first 2 shown]
	s_waitcnt vmcnt(16)
	ds_write2_b64 v30, v[12:13], v[28:29] offset0:20 offset1:21
	s_waitcnt vmcnt(12)
	ds_write2_b64 v30, v[14:15], v[18:19] offset0:22 offset1:23
	;; [unrolled: 2-line block ×5, first 2 shown]
	s_cbranch_scc0 .LBB120_20
; %bb.21:
	v_mov_b32_e32 v43, 0
	v_mov_b32_e32 v42, v0
.LBB120_22:
	s_or_b64 exec, exec, s[4:5]
	v_cmp_lt_i32_e32 vcc, 0, v43
	s_waitcnt vmcnt(0) lgkmcnt(0)
	s_barrier
	s_and_saveexec_b64 s[4:5], vcc
	s_cbranch_execz .LBB120_25
; %bb.23:
	buffer_load_dword v10, off, s[0:3], 0 offset:8
	buffer_load_dword v11, off, s[0:3], 0 offset:12
	buffer_load_dword v12, off, s[0:3], 0
	buffer_load_dword v13, off, s[0:3], 0 offset:4
	s_mov_b32 s18, 16
	s_waitcnt vmcnt(2)
	v_mul_f64 v[14:15], v[3:4], v[10:11]
	v_mul_f64 v[10:11], v[1:2], v[10:11]
	s_waitcnt vmcnt(0)
	v_fma_f64 v[0:1], v[1:2], v[12:13], -v[14:15]
	v_fma_f64 v[2:3], v[3:4], v[12:13], v[10:11]
	buffer_store_dword v0, off, s[0:3], 0
	buffer_store_dword v1, off, s[0:3], 0 offset:4
	buffer_store_dword v2, off, s[0:3], 0 offset:8
	;; [unrolled: 1-line block ×3, first 2 shown]
.LBB120_24:                             ; =>This Inner Loop Header: Depth=1
	v_add_u32_e32 v4, s18, v40
	v_mov_b32_e32 v46, s18
	buffer_load_dword v34, v46, s[0:3], 0 offen
	buffer_load_dword v35, v46, s[0:3], 0 offen offset:4
	ds_read2_b64 v[10:13], v4 offset1:1
	ds_read2_b64 v[14:17], v4 offset0:2 offset1:3
	ds_read2_b64 v[18:21], v4 offset0:4 offset1:5
	;; [unrolled: 1-line block ×5, first 2 shown]
	s_waitcnt lgkmcnt(5)
	v_mul_f64 v[4:5], v[12:13], v[2:3]
	v_mul_f64 v[36:37], v[10:11], v[2:3]
	s_addk_i32 s18, 0x60
	s_cmpk_lg_i32 s18, 0x3d0
	v_fma_f64 v[47:48], v[10:11], v[0:1], -v[4:5]
	s_waitcnt lgkmcnt(4)
	v_mul_f64 v[4:5], v[16:17], v[2:3]
	v_mul_f64 v[10:11], v[14:15], v[2:3]
	v_fma_f64 v[36:37], v[12:13], v[0:1], v[36:37]
	s_waitcnt lgkmcnt(0)
	v_mul_f64 v[12:13], v[30:31], v[2:3]
	v_fma_f64 v[49:50], v[14:15], v[0:1], -v[4:5]
	v_mul_f64 v[4:5], v[20:21], v[2:3]
	v_fma_f64 v[51:52], v[16:17], v[0:1], v[10:11]
	v_mul_f64 v[10:11], v[18:19], v[2:3]
	v_fma_f64 v[12:13], v[32:33], v[0:1], v[12:13]
	v_fma_f64 v[53:54], v[18:19], v[0:1], -v[4:5]
	buffer_load_dword v16, v46, s[0:3], 0 offen offset:8
	buffer_load_dword v17, v46, s[0:3], 0 offen offset:12
	;; [unrolled: 1-line block ×4, first 2 shown]
	v_fma_f64 v[55:56], v[20:21], v[0:1], v[10:11]
	v_mul_f64 v[4:5], v[24:25], v[2:3]
	v_mul_f64 v[10:11], v[22:23], v[2:3]
	buffer_load_dword v20, v46, s[0:3], 0 offen offset:24
	buffer_load_dword v21, v46, s[0:3], 0 offen offset:28
	v_fma_f64 v[57:58], v[22:23], v[0:1], -v[4:5]
	v_fma_f64 v[59:60], v[24:25], v[0:1], v[10:11]
	v_mul_f64 v[4:5], v[28:29], v[2:3]
	v_mul_f64 v[10:11], v[26:27], v[2:3]
	buffer_load_dword v22, v46, s[0:3], 0 offen offset:32
	buffer_load_dword v23, v46, s[0:3], 0 offen offset:36
	;; [unrolled: 1-line block ×4, first 2 shown]
	v_fma_f64 v[61:62], v[26:27], v[0:1], -v[4:5]
	v_fma_f64 v[4:5], v[28:29], v[0:1], v[10:11]
	v_mul_f64 v[10:11], v[32:33], v[2:3]
	buffer_load_dword v26, v46, s[0:3], 0 offen offset:48
	buffer_load_dword v27, v46, s[0:3], 0 offen offset:52
	;; [unrolled: 1-line block ×4, first 2 shown]
	v_fma_f64 v[10:11], v[30:31], v[0:1], -v[10:11]
	buffer_load_dword v30, v46, s[0:3], 0 offen offset:64
	buffer_load_dword v31, v46, s[0:3], 0 offen offset:68
	;; [unrolled: 1-line block ×4, first 2 shown]
	s_waitcnt vmcnt(18)
	v_add_f64 v[14:15], v[34:35], -v[47:48]
	buffer_load_dword v34, v46, s[0:3], 0 offen offset:80
	buffer_load_dword v35, v46, s[0:3], 0 offen offset:84
	s_waitcnt vmcnt(18)
	v_add_f64 v[16:17], v[16:17], -v[36:37]
	buffer_load_dword v36, v46, s[0:3], 0 offen offset:88
	buffer_load_dword v37, v46, s[0:3], 0 offen offset:92
	s_waitcnt vmcnt(18)
	v_add_f64 v[18:19], v[18:19], -v[49:50]
	s_waitcnt vmcnt(16)
	v_add_f64 v[20:21], v[20:21], -v[51:52]
	;; [unrolled: 2-line block ×10, first 2 shown]
	buffer_store_dword v14, v46, s[0:3], 0 offen
	buffer_store_dword v15, v46, s[0:3], 0 offen offset:4
	buffer_store_dword v16, v46, s[0:3], 0 offen offset:8
	;; [unrolled: 1-line block ×23, first 2 shown]
	s_cbranch_scc1 .LBB120_24
.LBB120_25:
	s_or_b64 exec, exec, s[4:5]
	v_mov_b32_e32 v3, s83
	s_waitcnt vmcnt(0)
	s_barrier
	buffer_load_dword v0, v3, s[0:3], 0 offen
	buffer_load_dword v1, v3, s[0:3], 0 offen offset:4
	buffer_load_dword v2, v3, s[0:3], 0 offen offset:8
	s_nop 0
	buffer_load_dword v3, v3, s[0:3], 0 offen offset:12
	v_lshl_add_u32 v4, v43, 4, v40
	s_cmp_lt_i32 s64, 3
	s_waitcnt vmcnt(0)
	ds_write2_b64 v4, v[0:1], v[2:3] offset1:1
	s_waitcnt lgkmcnt(0)
	s_barrier
	ds_read2_b64 v[0:3], v40 offset0:2 offset1:3
	v_mov_b32_e32 v4, 1
	s_cbranch_scc1 .LBB120_28
; %bb.26:
	v_add3_u32 v5, v44, 0, 32
	s_mov_b32 s16, 2
	v_mov_b32_e32 v4, 1
.LBB120_27:                             ; =>This Inner Loop Header: Depth=1
	s_waitcnt lgkmcnt(0)
	v_cmp_gt_f64_e32 vcc, 0, v[2:3]
	v_cmp_gt_f64_e64 s[4:5], 0, v[0:1]
	ds_read2_b64 v[10:13], v5 offset1:1
	v_xor_b32_e32 v15, 0x80000000, v1
	v_xor_b32_e32 v17, 0x80000000, v3
	v_mov_b32_e32 v14, v0
	v_mov_b32_e32 v16, v2
	s_waitcnt lgkmcnt(0)
	v_xor_b32_e32 v19, 0x80000000, v13
	v_cndmask_b32_e32 v17, v3, v17, vcc
	v_cndmask_b32_e64 v15, v1, v15, s[4:5]
	v_cmp_gt_f64_e32 vcc, 0, v[12:13]
	v_cmp_gt_f64_e64 s[4:5], 0, v[10:11]
	v_add_f64 v[14:15], v[14:15], v[16:17]
	v_xor_b32_e32 v17, 0x80000000, v11
	v_mov_b32_e32 v16, v10
	v_mov_b32_e32 v18, v12
	v_add_u32_e32 v5, 16, v5
	v_cndmask_b32_e32 v19, v13, v19, vcc
	v_cndmask_b32_e64 v17, v11, v17, s[4:5]
	v_add_f64 v[16:17], v[16:17], v[18:19]
	v_mov_b32_e32 v18, s16
	s_add_i32 s16, s16, 1
	s_cmp_lg_u32 s64, s16
	v_cmp_lt_f64_e32 vcc, v[14:15], v[16:17]
	v_cndmask_b32_e32 v1, v1, v11, vcc
	v_cndmask_b32_e32 v0, v0, v10, vcc
	;; [unrolled: 1-line block ×5, first 2 shown]
	s_cbranch_scc1 .LBB120_27
.LBB120_28:
	s_waitcnt lgkmcnt(0)
	v_cmp_neq_f64_e32 vcc, 0, v[0:1]
	v_cmp_neq_f64_e64 s[4:5], 0, v[2:3]
	s_or_b64 s[16:17], vcc, s[4:5]
	s_and_saveexec_b64 s[4:5], s[16:17]
	s_cbranch_execz .LBB120_34
; %bb.29:
	v_cmp_ngt_f64_e64 s[16:17], |v[0:1]|, |v[2:3]|
	s_and_saveexec_b64 s[18:19], s[16:17]
	s_xor_b64 s[18:19], exec, s[18:19]
	s_cbranch_execz .LBB120_31
; %bb.30:
	v_div_scale_f64 v[10:11], s[16:17], v[2:3], v[2:3], v[0:1]
	v_rcp_f64_e32 v[12:13], v[10:11]
	v_fma_f64 v[14:15], -v[10:11], v[12:13], 1.0
	v_fma_f64 v[12:13], v[12:13], v[14:15], v[12:13]
	v_div_scale_f64 v[14:15], vcc, v[0:1], v[2:3], v[0:1]
	v_fma_f64 v[16:17], -v[10:11], v[12:13], 1.0
	v_fma_f64 v[12:13], v[12:13], v[16:17], v[12:13]
	v_mul_f64 v[16:17], v[14:15], v[12:13]
	v_fma_f64 v[10:11], -v[10:11], v[16:17], v[14:15]
	v_div_fmas_f64 v[10:11], v[10:11], v[12:13], v[16:17]
	v_div_fixup_f64 v[10:11], v[10:11], v[2:3], v[0:1]
	v_fma_f64 v[0:1], v[0:1], v[10:11], v[2:3]
	v_div_scale_f64 v[2:3], s[16:17], v[0:1], v[0:1], 1.0
	v_div_scale_f64 v[16:17], vcc, 1.0, v[0:1], 1.0
	v_rcp_f64_e32 v[12:13], v[2:3]
	v_fma_f64 v[14:15], -v[2:3], v[12:13], 1.0
	v_fma_f64 v[12:13], v[12:13], v[14:15], v[12:13]
	v_fma_f64 v[14:15], -v[2:3], v[12:13], 1.0
	v_fma_f64 v[12:13], v[12:13], v[14:15], v[12:13]
	v_mul_f64 v[14:15], v[16:17], v[12:13]
	v_fma_f64 v[2:3], -v[2:3], v[14:15], v[16:17]
	v_div_fmas_f64 v[2:3], v[2:3], v[12:13], v[14:15]
	v_div_fixup_f64 v[2:3], v[2:3], v[0:1], 1.0
	v_mul_f64 v[0:1], v[10:11], v[2:3]
	v_xor_b32_e32 v3, 0x80000000, v3
.LBB120_31:
	s_andn2_saveexec_b64 s[18:19], s[18:19]
	s_cbranch_execz .LBB120_33
; %bb.32:
	v_div_scale_f64 v[10:11], s[16:17], v[0:1], v[0:1], v[2:3]
	v_rcp_f64_e32 v[12:13], v[10:11]
	v_fma_f64 v[14:15], -v[10:11], v[12:13], 1.0
	v_fma_f64 v[12:13], v[12:13], v[14:15], v[12:13]
	v_div_scale_f64 v[14:15], vcc, v[2:3], v[0:1], v[2:3]
	v_fma_f64 v[16:17], -v[10:11], v[12:13], 1.0
	v_fma_f64 v[12:13], v[12:13], v[16:17], v[12:13]
	v_mul_f64 v[16:17], v[14:15], v[12:13]
	v_fma_f64 v[10:11], -v[10:11], v[16:17], v[14:15]
	v_div_fmas_f64 v[10:11], v[10:11], v[12:13], v[16:17]
	v_div_fixup_f64 v[10:11], v[10:11], v[0:1], v[2:3]
	v_fma_f64 v[0:1], v[2:3], v[10:11], v[0:1]
	v_div_scale_f64 v[2:3], s[16:17], v[0:1], v[0:1], 1.0
	v_div_scale_f64 v[16:17], vcc, 1.0, v[0:1], 1.0
	v_rcp_f64_e32 v[12:13], v[2:3]
	v_fma_f64 v[14:15], -v[2:3], v[12:13], 1.0
	v_fma_f64 v[12:13], v[12:13], v[14:15], v[12:13]
	v_fma_f64 v[14:15], -v[2:3], v[12:13], 1.0
	v_fma_f64 v[12:13], v[12:13], v[14:15], v[12:13]
	v_mul_f64 v[14:15], v[16:17], v[12:13]
	v_fma_f64 v[2:3], -v[2:3], v[14:15], v[16:17]
	v_div_fmas_f64 v[2:3], v[2:3], v[12:13], v[14:15]
	v_div_fixup_f64 v[0:1], v[2:3], v[0:1], 1.0
	v_mul_f64 v[2:3], v[10:11], -v[0:1]
.LBB120_33:
	s_or_b64 exec, exec, s[18:19]
	v_mov_b32_e32 v41, v45
.LBB120_34:
	s_or_b64 exec, exec, s[4:5]
	v_cmp_ne_u32_e32 vcc, v43, v4
	s_and_saveexec_b64 s[4:5], vcc
	s_xor_b64 s[4:5], exec, s[4:5]
	s_cbranch_execz .LBB120_40
; %bb.35:
	v_cmp_eq_u32_e32 vcc, 1, v43
	s_and_saveexec_b64 s[18:19], vcc
	s_cbranch_execz .LBB120_39
; %bb.36:
	v_cmp_ne_u32_e32 vcc, 1, v4
	s_xor_b64 s[16:17], s[22:23], -1
	s_and_b64 s[16:17], s[16:17], vcc
	s_and_saveexec_b64 s[24:25], s[16:17]
	s_cbranch_execz .LBB120_38
; %bb.37:
	v_ashrrev_i32_e32 v5, 31, v4
	v_lshlrev_b64 v[10:11], 2, v[4:5]
	v_add_co_u32_e32 v10, vcc, v8, v10
	v_addc_co_u32_e32 v11, vcc, v9, v11, vcc
	global_load_dword v5, v[10:11], off
	global_load_dword v12, v[8:9], off offset:4
	s_waitcnt vmcnt(1)
	global_store_dword v[8:9], v5, off offset:4
	s_waitcnt vmcnt(1)
	global_store_dword v[10:11], v12, off
.LBB120_38:
	s_or_b64 exec, exec, s[24:25]
	v_mov_b32_e32 v43, v4
	v_mov_b32_e32 v42, v4
.LBB120_39:
	s_or_b64 exec, exec, s[18:19]
.LBB120_40:
	s_andn2_saveexec_b64 s[4:5], s[4:5]
	s_cbranch_execz .LBB120_46
; %bb.41:
	s_mov_b32 s16, 32
	s_branch .LBB120_43
.LBB120_42:                             ;   in Loop: Header=BB120_43 Depth=1
	s_andn2_b64 vcc, exec, s[18:19]
	s_cbranch_vccz .LBB120_45
.LBB120_43:                             ; =>This Inner Loop Header: Depth=1
	v_mov_b32_e32 v4, s16
	buffer_load_dword v10, v4, s[0:3], 0 offen
	buffer_load_dword v11, v4, s[0:3], 0 offen offset:4
	buffer_load_dword v12, v4, s[0:3], 0 offen offset:8
	;; [unrolled: 1-line block ×11, first 2 shown]
	s_mov_b32 s17, s16
	v_add_u32_e32 v4, s16, v40
	s_cmpk_eq_i32 s16, 0x3a0
	s_mov_b64 s[18:19], -1
	s_waitcnt vmcnt(8)
	ds_write2_b64 v4, v[10:11], v[12:13] offset1:1
	s_waitcnt vmcnt(4)
	ds_write2_b64 v4, v[14:15], v[16:17] offset0:2 offset1:3
	s_waitcnt vmcnt(0)
	ds_write2_b64 v4, v[18:19], v[20:21] offset0:4 offset1:5
	s_cbranch_scc1 .LBB120_42
; %bb.44:                               ;   in Loop: Header=BB120_43 Depth=1
	v_mov_b32_e32 v5, s17
	buffer_load_dword v10, v5, s[0:3], 0 offen offset:48
	buffer_load_dword v11, v5, s[0:3], 0 offen offset:52
	;; [unrolled: 1-line block ×20, first 2 shown]
	s_addk_i32 s16, 0x80
	s_mov_b64 s[18:19], 0
	s_waitcnt vmcnt(16)
	ds_write2_b64 v4, v[10:11], v[12:13] offset0:6 offset1:7
	s_waitcnt vmcnt(12)
	ds_write2_b64 v4, v[14:15], v[16:17] offset0:8 offset1:9
	;; [unrolled: 2-line block ×5, first 2 shown]
	s_branch .LBB120_42
.LBB120_45:
	v_mov_b32_e32 v43, 1
.LBB120_46:
	s_or_b64 exec, exec, s[4:5]
	v_cmp_lt_i32_e32 vcc, 1, v43
	s_waitcnt vmcnt(0) lgkmcnt(0)
	s_barrier
	s_and_saveexec_b64 s[4:5], vcc
	s_cbranch_execz .LBB120_51
; %bb.47:
	buffer_load_dword v4, off, s[0:3], 0 offset:24
	buffer_load_dword v5, off, s[0:3], 0 offset:28
	;; [unrolled: 1-line block ×4, first 2 shown]
	s_mov_b32 s24, 32
	s_waitcnt vmcnt(2)
	v_mul_f64 v[12:13], v[2:3], v[4:5]
	v_mul_f64 v[4:5], v[0:1], v[4:5]
	s_waitcnt vmcnt(0)
	v_fma_f64 v[0:1], v[0:1], v[10:11], -v[12:13]
	v_fma_f64 v[2:3], v[2:3], v[10:11], v[4:5]
	buffer_store_dword v0, off, s[0:3], 0 offset:16
	buffer_store_dword v1, off, s[0:3], 0 offset:20
	;; [unrolled: 1-line block ×4, first 2 shown]
	s_branch .LBB120_49
.LBB120_48:                             ;   in Loop: Header=BB120_49 Depth=1
	s_andn2_b64 vcc, exec, s[18:19]
	s_cbranch_vccz .LBB120_51
.LBB120_49:                             ; =>This Inner Loop Header: Depth=1
	v_mov_b32_e32 v5, s24
	buffer_load_dword v18, v5, s[0:3], 0 offen
	buffer_load_dword v19, v5, s[0:3], 0 offen offset:4
	buffer_load_dword v20, v5, s[0:3], 0 offen offset:8
	;; [unrolled: 1-line block ×3, first 2 shown]
	v_add_u32_e32 v4, s24, v40
	ds_read2_b64 v[10:13], v4 offset1:1
	ds_read2_b64 v[14:17], v4 offset0:2 offset1:3
	s_mov_b32 s16, s24
	s_cmpk_eq_i32 s24, 0x3a0
	s_mov_b64 s[18:19], -1
	s_waitcnt lgkmcnt(1)
	v_mul_f64 v[22:23], v[12:13], v[2:3]
	v_mul_f64 v[2:3], v[10:11], v[2:3]
	v_fma_f64 v[10:11], v[10:11], v[0:1], -v[22:23]
	v_fma_f64 v[0:1], v[12:13], v[0:1], v[2:3]
	buffer_load_dword v22, v5, s[0:3], 0 offen offset:20
	buffer_load_dword v24, v5, s[0:3], 0 offen offset:28
	;; [unrolled: 1-line block ×4, first 2 shown]
	s_waitcnt vmcnt(6)
	v_add_f64 v[2:3], v[18:19], -v[10:11]
	s_waitcnt vmcnt(4)
	v_add_f64 v[0:1], v[20:21], -v[0:1]
	buffer_store_dword v3, v5, s[0:3], 0 offen offset:4
	buffer_store_dword v2, v5, s[0:3], 0 offen
	buffer_store_dword v1, v5, s[0:3], 0 offen offset:12
	buffer_store_dword v0, v5, s[0:3], 0 offen offset:8
	buffer_load_dword v23, v5, s[0:3], 0 offen offset:24
	buffer_load_dword v25, v5, s[0:3], 0 offen offset:32
	;; [unrolled: 1-line block ×3, first 2 shown]
	buffer_load_dword v3, off, s[0:3], 0 offset:28
	buffer_load_dword v2, off, s[0:3], 0 offset:24
	;; [unrolled: 1-line block ×4, first 2 shown]
	buffer_load_dword v21, v5, s[0:3], 0 offen offset:16
	ds_read2_b64 v[10:13], v4 offset0:4 offset1:5
	s_waitcnt vmcnt(3) lgkmcnt(1)
	v_mul_f64 v[18:19], v[16:17], v[2:3]
	v_mul_f64 v[29:30], v[14:15], v[2:3]
	s_waitcnt lgkmcnt(0)
	v_mul_f64 v[31:32], v[12:13], v[2:3]
	v_mul_f64 v[33:34], v[10:11], v[2:3]
	s_waitcnt vmcnt(1)
	v_fma_f64 v[14:15], v[14:15], v[0:1], -v[18:19]
	v_fma_f64 v[16:17], v[16:17], v[0:1], v[29:30]
	v_fma_f64 v[10:11], v[10:11], v[0:1], -v[31:32]
	v_fma_f64 v[12:13], v[12:13], v[0:1], v[33:34]
	s_waitcnt vmcnt(0)
	v_add_f64 v[14:15], v[21:22], -v[14:15]
	v_add_f64 v[16:17], v[23:24], -v[16:17]
	;; [unrolled: 1-line block ×4, first 2 shown]
	buffer_store_dword v15, v5, s[0:3], 0 offen offset:20
	buffer_store_dword v14, v5, s[0:3], 0 offen offset:16
	;; [unrolled: 1-line block ×8, first 2 shown]
	s_cbranch_scc1 .LBB120_48
; %bb.50:                               ;   in Loop: Header=BB120_49 Depth=1
	v_mov_b32_e32 v20, s16
	buffer_load_dword v14, v20, s[0:3], 0 offen offset:48
	buffer_load_dword v15, v20, s[0:3], 0 offen offset:52
	;; [unrolled: 1-line block ×4, first 2 shown]
	ds_read2_b64 v[10:13], v4 offset0:6 offset1:7
	s_add_i32 s24, s24, 64
	s_mov_b64 s[18:19], 0
	s_waitcnt lgkmcnt(0)
	v_mul_f64 v[4:5], v[12:13], v[2:3]
	v_mul_f64 v[18:19], v[10:11], v[2:3]
	v_fma_f64 v[4:5], v[10:11], v[0:1], -v[4:5]
	v_fma_f64 v[10:11], v[12:13], v[0:1], v[18:19]
	s_waitcnt vmcnt(2)
	v_add_f64 v[4:5], v[14:15], -v[4:5]
	s_waitcnt vmcnt(0)
	v_add_f64 v[10:11], v[16:17], -v[10:11]
	buffer_store_dword v4, v20, s[0:3], 0 offen offset:48
	buffer_store_dword v5, v20, s[0:3], 0 offen offset:52
	;; [unrolled: 1-line block ×4, first 2 shown]
	s_branch .LBB120_48
.LBB120_51:
	s_or_b64 exec, exec, s[4:5]
	v_mov_b32_e32 v3, s82
	s_waitcnt vmcnt(0)
	s_barrier
	buffer_load_dword v0, v3, s[0:3], 0 offen
	buffer_load_dword v1, v3, s[0:3], 0 offen offset:4
	buffer_load_dword v2, v3, s[0:3], 0 offen offset:8
	s_nop 0
	buffer_load_dword v3, v3, s[0:3], 0 offen offset:12
	v_lshl_add_u32 v4, v43, 4, v40
	s_cmp_lt_i32 s64, 4
	s_waitcnt vmcnt(0)
	ds_write2_b64 v4, v[0:1], v[2:3] offset1:1
	s_waitcnt lgkmcnt(0)
	s_barrier
	ds_read2_b64 v[0:3], v40 offset0:4 offset1:5
	v_mov_b32_e32 v4, 2
	s_cbranch_scc1 .LBB120_54
; %bb.52:
	v_add3_u32 v5, v44, 0, 48
	s_mov_b32 s16, 3
	v_mov_b32_e32 v4, 2
.LBB120_53:                             ; =>This Inner Loop Header: Depth=1
	s_waitcnt lgkmcnt(0)
	v_cmp_gt_f64_e32 vcc, 0, v[2:3]
	v_cmp_gt_f64_e64 s[4:5], 0, v[0:1]
	ds_read2_b64 v[10:13], v5 offset1:1
	v_xor_b32_e32 v15, 0x80000000, v1
	v_xor_b32_e32 v17, 0x80000000, v3
	v_mov_b32_e32 v14, v0
	v_mov_b32_e32 v16, v2
	s_waitcnt lgkmcnt(0)
	v_xor_b32_e32 v19, 0x80000000, v13
	v_cndmask_b32_e32 v17, v3, v17, vcc
	v_cndmask_b32_e64 v15, v1, v15, s[4:5]
	v_cmp_gt_f64_e32 vcc, 0, v[12:13]
	v_cmp_gt_f64_e64 s[4:5], 0, v[10:11]
	v_add_f64 v[14:15], v[14:15], v[16:17]
	v_xor_b32_e32 v17, 0x80000000, v11
	v_mov_b32_e32 v16, v10
	v_mov_b32_e32 v18, v12
	v_add_u32_e32 v5, 16, v5
	v_cndmask_b32_e32 v19, v13, v19, vcc
	v_cndmask_b32_e64 v17, v11, v17, s[4:5]
	v_add_f64 v[16:17], v[16:17], v[18:19]
	v_mov_b32_e32 v18, s16
	s_add_i32 s16, s16, 1
	s_cmp_lg_u32 s64, s16
	v_cmp_lt_f64_e32 vcc, v[14:15], v[16:17]
	v_cndmask_b32_e32 v1, v1, v11, vcc
	v_cndmask_b32_e32 v0, v0, v10, vcc
	;; [unrolled: 1-line block ×5, first 2 shown]
	s_cbranch_scc1 .LBB120_53
.LBB120_54:
	s_waitcnt lgkmcnt(0)
	v_cmp_eq_f64_e32 vcc, 0, v[0:1]
	v_cmp_eq_f64_e64 s[4:5], 0, v[2:3]
	s_and_b64 s[4:5], vcc, s[4:5]
	s_and_saveexec_b64 s[16:17], s[4:5]
	s_xor_b64 s[4:5], exec, s[16:17]
; %bb.55:
	v_cmp_ne_u32_e32 vcc, 0, v41
	v_cndmask_b32_e32 v41, 3, v41, vcc
; %bb.56:
	s_andn2_saveexec_b64 s[4:5], s[4:5]
	s_cbranch_execz .LBB120_62
; %bb.57:
	v_cmp_ngt_f64_e64 s[16:17], |v[0:1]|, |v[2:3]|
	s_and_saveexec_b64 s[18:19], s[16:17]
	s_xor_b64 s[18:19], exec, s[18:19]
	s_cbranch_execz .LBB120_59
; %bb.58:
	v_div_scale_f64 v[10:11], s[16:17], v[2:3], v[2:3], v[0:1]
	v_rcp_f64_e32 v[12:13], v[10:11]
	v_fma_f64 v[14:15], -v[10:11], v[12:13], 1.0
	v_fma_f64 v[12:13], v[12:13], v[14:15], v[12:13]
	v_div_scale_f64 v[14:15], vcc, v[0:1], v[2:3], v[0:1]
	v_fma_f64 v[16:17], -v[10:11], v[12:13], 1.0
	v_fma_f64 v[12:13], v[12:13], v[16:17], v[12:13]
	v_mul_f64 v[16:17], v[14:15], v[12:13]
	v_fma_f64 v[10:11], -v[10:11], v[16:17], v[14:15]
	v_div_fmas_f64 v[10:11], v[10:11], v[12:13], v[16:17]
	v_div_fixup_f64 v[10:11], v[10:11], v[2:3], v[0:1]
	v_fma_f64 v[0:1], v[0:1], v[10:11], v[2:3]
	v_div_scale_f64 v[2:3], s[16:17], v[0:1], v[0:1], 1.0
	v_div_scale_f64 v[16:17], vcc, 1.0, v[0:1], 1.0
	v_rcp_f64_e32 v[12:13], v[2:3]
	v_fma_f64 v[14:15], -v[2:3], v[12:13], 1.0
	v_fma_f64 v[12:13], v[12:13], v[14:15], v[12:13]
	v_fma_f64 v[14:15], -v[2:3], v[12:13], 1.0
	v_fma_f64 v[12:13], v[12:13], v[14:15], v[12:13]
	v_mul_f64 v[14:15], v[16:17], v[12:13]
	v_fma_f64 v[2:3], -v[2:3], v[14:15], v[16:17]
	v_div_fmas_f64 v[2:3], v[2:3], v[12:13], v[14:15]
	v_div_fixup_f64 v[2:3], v[2:3], v[0:1], 1.0
	v_mul_f64 v[0:1], v[10:11], v[2:3]
	v_xor_b32_e32 v3, 0x80000000, v3
.LBB120_59:
	s_andn2_saveexec_b64 s[18:19], s[18:19]
	s_cbranch_execz .LBB120_61
; %bb.60:
	v_div_scale_f64 v[10:11], s[16:17], v[0:1], v[0:1], v[2:3]
	v_rcp_f64_e32 v[12:13], v[10:11]
	v_fma_f64 v[14:15], -v[10:11], v[12:13], 1.0
	v_fma_f64 v[12:13], v[12:13], v[14:15], v[12:13]
	v_div_scale_f64 v[14:15], vcc, v[2:3], v[0:1], v[2:3]
	v_fma_f64 v[16:17], -v[10:11], v[12:13], 1.0
	v_fma_f64 v[12:13], v[12:13], v[16:17], v[12:13]
	v_mul_f64 v[16:17], v[14:15], v[12:13]
	v_fma_f64 v[10:11], -v[10:11], v[16:17], v[14:15]
	v_div_fmas_f64 v[10:11], v[10:11], v[12:13], v[16:17]
	v_div_fixup_f64 v[10:11], v[10:11], v[0:1], v[2:3]
	v_fma_f64 v[0:1], v[2:3], v[10:11], v[0:1]
	v_div_scale_f64 v[2:3], s[16:17], v[0:1], v[0:1], 1.0
	v_div_scale_f64 v[16:17], vcc, 1.0, v[0:1], 1.0
	v_rcp_f64_e32 v[12:13], v[2:3]
	v_fma_f64 v[14:15], -v[2:3], v[12:13], 1.0
	v_fma_f64 v[12:13], v[12:13], v[14:15], v[12:13]
	v_fma_f64 v[14:15], -v[2:3], v[12:13], 1.0
	v_fma_f64 v[12:13], v[12:13], v[14:15], v[12:13]
	v_mul_f64 v[14:15], v[16:17], v[12:13]
	v_fma_f64 v[2:3], -v[2:3], v[14:15], v[16:17]
	v_div_fmas_f64 v[2:3], v[2:3], v[12:13], v[14:15]
	v_div_fixup_f64 v[0:1], v[2:3], v[0:1], 1.0
	v_mul_f64 v[2:3], v[10:11], -v[0:1]
.LBB120_61:
	s_or_b64 exec, exec, s[18:19]
.LBB120_62:
	s_or_b64 exec, exec, s[4:5]
	v_cmp_ne_u32_e32 vcc, v43, v4
	s_and_saveexec_b64 s[4:5], vcc
	s_xor_b64 s[4:5], exec, s[4:5]
	s_cbranch_execz .LBB120_68
; %bb.63:
	v_cmp_eq_u32_e32 vcc, 2, v43
	s_and_saveexec_b64 s[18:19], vcc
	s_cbranch_execz .LBB120_67
; %bb.64:
	v_cmp_ne_u32_e32 vcc, 2, v4
	s_xor_b64 s[16:17], s[22:23], -1
	s_and_b64 s[16:17], s[16:17], vcc
	s_and_saveexec_b64 s[24:25], s[16:17]
	s_cbranch_execz .LBB120_66
; %bb.65:
	v_ashrrev_i32_e32 v5, 31, v4
	v_lshlrev_b64 v[10:11], 2, v[4:5]
	v_add_co_u32_e32 v10, vcc, v8, v10
	v_addc_co_u32_e32 v11, vcc, v9, v11, vcc
	global_load_dword v5, v[10:11], off
	global_load_dword v12, v[8:9], off offset:8
	s_waitcnt vmcnt(1)
	global_store_dword v[8:9], v5, off offset:8
	s_waitcnt vmcnt(1)
	global_store_dword v[10:11], v12, off
.LBB120_66:
	s_or_b64 exec, exec, s[24:25]
	v_mov_b32_e32 v43, v4
	v_mov_b32_e32 v42, v4
.LBB120_67:
	s_or_b64 exec, exec, s[18:19]
.LBB120_68:
	s_andn2_saveexec_b64 s[4:5], s[4:5]
	s_cbranch_execz .LBB120_72
; %bb.69:
	s_mov_b32 s16, 48
.LBB120_70:                             ; =>This Inner Loop Header: Depth=1
	v_mov_b32_e32 v15, s16
	buffer_load_dword v4, v15, s[0:3], 0 offen
	buffer_load_dword v5, v15, s[0:3], 0 offen offset:4
	buffer_load_dword v10, v15, s[0:3], 0 offen offset:8
	;; [unrolled: 1-line block ×6, first 2 shown]
	s_nop 0
	buffer_load_dword v15, v15, s[0:3], 0 offen offset:28
	v_add_u32_e32 v16, s16, v40
	s_add_i32 s16, s16, 32
	s_cmpk_eq_i32 s16, 0x3d0
	s_waitcnt vmcnt(4)
	ds_write2_b64 v16, v[4:5], v[10:11] offset1:1
	s_waitcnt vmcnt(0)
	ds_write2_b64 v16, v[12:13], v[14:15] offset0:2 offset1:3
	s_cbranch_scc0 .LBB120_70
; %bb.71:
	v_mov_b32_e32 v43, 2
.LBB120_72:
	s_or_b64 exec, exec, s[4:5]
	v_cmp_lt_i32_e32 vcc, 2, v43
	s_waitcnt vmcnt(0) lgkmcnt(0)
	s_barrier
	s_and_saveexec_b64 s[4:5], vcc
	s_cbranch_execz .LBB120_75
; %bb.73:
	buffer_load_dword v4, off, s[0:3], 0 offset:40
	buffer_load_dword v5, off, s[0:3], 0 offset:44
	;; [unrolled: 1-line block ×4, first 2 shown]
	s_mov_b32 s16, 48
	s_waitcnt vmcnt(2)
	v_mul_f64 v[12:13], v[2:3], v[4:5]
	v_mul_f64 v[4:5], v[0:1], v[4:5]
	s_waitcnt vmcnt(0)
	v_fma_f64 v[0:1], v[0:1], v[10:11], -v[12:13]
	v_fma_f64 v[2:3], v[2:3], v[10:11], v[4:5]
	buffer_store_dword v0, off, s[0:3], 0 offset:32
	buffer_store_dword v1, off, s[0:3], 0 offset:36
	;; [unrolled: 1-line block ×4, first 2 shown]
.LBB120_74:                             ; =>This Inner Loop Header: Depth=1
	buffer_load_dword v4, off, s[0:3], 0 offset:40
	buffer_load_dword v5, off, s[0:3], 0 offset:44
	;; [unrolled: 1-line block ×4, first 2 shown]
	v_mov_b32_e32 v26, s16
	buffer_load_dword v16, v26, s[0:3], 0 offen
	buffer_load_dword v17, v26, s[0:3], 0 offen offset:4
	buffer_load_dword v18, v26, s[0:3], 0 offen offset:8
	;; [unrolled: 1-line block ×3, first 2 shown]
	v_add_u32_e32 v10, s16, v40
	ds_read2_b64 v[0:3], v10 offset1:1
	buffer_load_dword v20, v26, s[0:3], 0 offen offset:16
	buffer_load_dword v21, v26, s[0:3], 0 offen offset:20
	;; [unrolled: 1-line block ×4, first 2 shown]
	ds_read2_b64 v[10:13], v10 offset0:2 offset1:3
	s_add_i32 s16, s16, 32
	s_cmpk_lg_i32 s16, 0x3d0
	s_waitcnt vmcnt(10) lgkmcnt(1)
	v_mul_f64 v[24:25], v[2:3], v[4:5]
	v_mul_f64 v[4:5], v[0:1], v[4:5]
	s_waitcnt vmcnt(8)
	v_fma_f64 v[0:1], v[0:1], v[14:15], -v[24:25]
	v_fma_f64 v[2:3], v[2:3], v[14:15], v[4:5]
	s_waitcnt vmcnt(6)
	v_add_f64 v[0:1], v[16:17], -v[0:1]
	s_waitcnt vmcnt(4)
	v_add_f64 v[2:3], v[18:19], -v[2:3]
	buffer_store_dword v1, v26, s[0:3], 0 offen offset:4
	buffer_store_dword v0, v26, s[0:3], 0 offen
	buffer_store_dword v3, v26, s[0:3], 0 offen offset:12
	buffer_store_dword v2, v26, s[0:3], 0 offen offset:8
	buffer_load_dword v1, off, s[0:3], 0 offset:44
	s_nop 0
	buffer_load_dword v0, off, s[0:3], 0 offset:40
	buffer_load_dword v3, off, s[0:3], 0 offset:36
	;; [unrolled: 1-line block ×3, first 2 shown]
	s_waitcnt vmcnt(2) lgkmcnt(0)
	v_mul_f64 v[4:5], v[12:13], v[0:1]
	v_mul_f64 v[0:1], v[10:11], v[0:1]
	s_waitcnt vmcnt(0)
	v_fma_f64 v[4:5], v[10:11], v[2:3], -v[4:5]
	v_fma_f64 v[0:1], v[12:13], v[2:3], v[0:1]
	v_add_f64 v[2:3], v[20:21], -v[4:5]
	v_add_f64 v[0:1], v[22:23], -v[0:1]
	buffer_store_dword v3, v26, s[0:3], 0 offen offset:20
	buffer_store_dword v2, v26, s[0:3], 0 offen offset:16
	;; [unrolled: 1-line block ×4, first 2 shown]
	s_cbranch_scc1 .LBB120_74
.LBB120_75:
	s_or_b64 exec, exec, s[4:5]
	v_mov_b32_e32 v3, s81
	s_waitcnt vmcnt(0)
	s_barrier
	buffer_load_dword v0, v3, s[0:3], 0 offen
	buffer_load_dword v1, v3, s[0:3], 0 offen offset:4
	buffer_load_dword v2, v3, s[0:3], 0 offen offset:8
	s_nop 0
	buffer_load_dword v3, v3, s[0:3], 0 offen offset:12
	v_lshl_add_u32 v4, v43, 4, v40
	s_mov_b32 s16, 4
	s_cmp_lt_i32 s64, 5
	s_waitcnt vmcnt(0)
	ds_write2_b64 v4, v[0:1], v[2:3] offset1:1
	s_waitcnt lgkmcnt(0)
	s_barrier
	ds_read2_b64 v[0:3], v40 offset0:6 offset1:7
	v_mov_b32_e32 v4, 3
	s_cbranch_scc1 .LBB120_78
; %bb.76:
	v_add3_u32 v5, v44, 0, 64
	v_mov_b32_e32 v4, 3
.LBB120_77:                             ; =>This Inner Loop Header: Depth=1
	s_waitcnt lgkmcnt(0)
	v_cmp_gt_f64_e32 vcc, 0, v[2:3]
	v_cmp_gt_f64_e64 s[4:5], 0, v[0:1]
	ds_read2_b64 v[10:13], v5 offset1:1
	v_xor_b32_e32 v15, 0x80000000, v1
	v_xor_b32_e32 v17, 0x80000000, v3
	v_mov_b32_e32 v14, v0
	v_mov_b32_e32 v16, v2
	s_waitcnt lgkmcnt(0)
	v_xor_b32_e32 v19, 0x80000000, v13
	v_cndmask_b32_e32 v17, v3, v17, vcc
	v_cndmask_b32_e64 v15, v1, v15, s[4:5]
	v_cmp_gt_f64_e32 vcc, 0, v[12:13]
	v_cmp_gt_f64_e64 s[4:5], 0, v[10:11]
	v_add_f64 v[14:15], v[14:15], v[16:17]
	v_xor_b32_e32 v17, 0x80000000, v11
	v_mov_b32_e32 v16, v10
	v_mov_b32_e32 v18, v12
	v_add_u32_e32 v5, 16, v5
	v_cndmask_b32_e32 v19, v13, v19, vcc
	v_cndmask_b32_e64 v17, v11, v17, s[4:5]
	v_add_f64 v[16:17], v[16:17], v[18:19]
	v_mov_b32_e32 v18, s16
	s_add_i32 s16, s16, 1
	s_cmp_lg_u32 s64, s16
	v_cmp_lt_f64_e32 vcc, v[14:15], v[16:17]
	v_cndmask_b32_e32 v1, v1, v11, vcc
	v_cndmask_b32_e32 v0, v0, v10, vcc
	;; [unrolled: 1-line block ×5, first 2 shown]
	s_cbranch_scc1 .LBB120_77
.LBB120_78:
	s_waitcnt lgkmcnt(0)
	v_cmp_eq_f64_e32 vcc, 0, v[0:1]
	v_cmp_eq_f64_e64 s[4:5], 0, v[2:3]
	s_and_b64 s[4:5], vcc, s[4:5]
	s_and_saveexec_b64 s[16:17], s[4:5]
	s_xor_b64 s[4:5], exec, s[16:17]
; %bb.79:
	v_cmp_ne_u32_e32 vcc, 0, v41
	v_cndmask_b32_e32 v41, 4, v41, vcc
; %bb.80:
	s_andn2_saveexec_b64 s[4:5], s[4:5]
	s_cbranch_execz .LBB120_86
; %bb.81:
	v_cmp_ngt_f64_e64 s[16:17], |v[0:1]|, |v[2:3]|
	s_and_saveexec_b64 s[18:19], s[16:17]
	s_xor_b64 s[18:19], exec, s[18:19]
	s_cbranch_execz .LBB120_83
; %bb.82:
	v_div_scale_f64 v[10:11], s[16:17], v[2:3], v[2:3], v[0:1]
	v_rcp_f64_e32 v[12:13], v[10:11]
	v_fma_f64 v[14:15], -v[10:11], v[12:13], 1.0
	v_fma_f64 v[12:13], v[12:13], v[14:15], v[12:13]
	v_div_scale_f64 v[14:15], vcc, v[0:1], v[2:3], v[0:1]
	v_fma_f64 v[16:17], -v[10:11], v[12:13], 1.0
	v_fma_f64 v[12:13], v[12:13], v[16:17], v[12:13]
	v_mul_f64 v[16:17], v[14:15], v[12:13]
	v_fma_f64 v[10:11], -v[10:11], v[16:17], v[14:15]
	v_div_fmas_f64 v[10:11], v[10:11], v[12:13], v[16:17]
	v_div_fixup_f64 v[10:11], v[10:11], v[2:3], v[0:1]
	v_fma_f64 v[0:1], v[0:1], v[10:11], v[2:3]
	v_div_scale_f64 v[2:3], s[16:17], v[0:1], v[0:1], 1.0
	v_div_scale_f64 v[16:17], vcc, 1.0, v[0:1], 1.0
	v_rcp_f64_e32 v[12:13], v[2:3]
	v_fma_f64 v[14:15], -v[2:3], v[12:13], 1.0
	v_fma_f64 v[12:13], v[12:13], v[14:15], v[12:13]
	v_fma_f64 v[14:15], -v[2:3], v[12:13], 1.0
	v_fma_f64 v[12:13], v[12:13], v[14:15], v[12:13]
	v_mul_f64 v[14:15], v[16:17], v[12:13]
	v_fma_f64 v[2:3], -v[2:3], v[14:15], v[16:17]
	v_div_fmas_f64 v[2:3], v[2:3], v[12:13], v[14:15]
	v_div_fixup_f64 v[2:3], v[2:3], v[0:1], 1.0
	v_mul_f64 v[0:1], v[10:11], v[2:3]
	v_xor_b32_e32 v3, 0x80000000, v3
.LBB120_83:
	s_andn2_saveexec_b64 s[18:19], s[18:19]
	s_cbranch_execz .LBB120_85
; %bb.84:
	v_div_scale_f64 v[10:11], s[16:17], v[0:1], v[0:1], v[2:3]
	v_rcp_f64_e32 v[12:13], v[10:11]
	v_fma_f64 v[14:15], -v[10:11], v[12:13], 1.0
	v_fma_f64 v[12:13], v[12:13], v[14:15], v[12:13]
	v_div_scale_f64 v[14:15], vcc, v[2:3], v[0:1], v[2:3]
	v_fma_f64 v[16:17], -v[10:11], v[12:13], 1.0
	v_fma_f64 v[12:13], v[12:13], v[16:17], v[12:13]
	v_mul_f64 v[16:17], v[14:15], v[12:13]
	v_fma_f64 v[10:11], -v[10:11], v[16:17], v[14:15]
	v_div_fmas_f64 v[10:11], v[10:11], v[12:13], v[16:17]
	v_div_fixup_f64 v[10:11], v[10:11], v[0:1], v[2:3]
	v_fma_f64 v[0:1], v[2:3], v[10:11], v[0:1]
	v_div_scale_f64 v[2:3], s[16:17], v[0:1], v[0:1], 1.0
	v_div_scale_f64 v[16:17], vcc, 1.0, v[0:1], 1.0
	v_rcp_f64_e32 v[12:13], v[2:3]
	v_fma_f64 v[14:15], -v[2:3], v[12:13], 1.0
	v_fma_f64 v[12:13], v[12:13], v[14:15], v[12:13]
	v_fma_f64 v[14:15], -v[2:3], v[12:13], 1.0
	v_fma_f64 v[12:13], v[12:13], v[14:15], v[12:13]
	v_mul_f64 v[14:15], v[16:17], v[12:13]
	v_fma_f64 v[2:3], -v[2:3], v[14:15], v[16:17]
	v_div_fmas_f64 v[2:3], v[2:3], v[12:13], v[14:15]
	v_div_fixup_f64 v[0:1], v[2:3], v[0:1], 1.0
	v_mul_f64 v[2:3], v[10:11], -v[0:1]
.LBB120_85:
	s_or_b64 exec, exec, s[18:19]
.LBB120_86:
	s_or_b64 exec, exec, s[4:5]
	v_cmp_ne_u32_e32 vcc, v43, v4
	s_and_saveexec_b64 s[4:5], vcc
	s_xor_b64 s[4:5], exec, s[4:5]
	s_cbranch_execz .LBB120_92
; %bb.87:
	v_cmp_eq_u32_e32 vcc, 3, v43
	s_and_saveexec_b64 s[18:19], vcc
	s_cbranch_execz .LBB120_91
; %bb.88:
	v_cmp_ne_u32_e32 vcc, 3, v4
	s_xor_b64 s[16:17], s[22:23], -1
	s_and_b64 s[16:17], s[16:17], vcc
	s_and_saveexec_b64 s[24:25], s[16:17]
	s_cbranch_execz .LBB120_90
; %bb.89:
	v_ashrrev_i32_e32 v5, 31, v4
	v_lshlrev_b64 v[10:11], 2, v[4:5]
	v_add_co_u32_e32 v10, vcc, v8, v10
	v_addc_co_u32_e32 v11, vcc, v9, v11, vcc
	global_load_dword v5, v[10:11], off
	global_load_dword v12, v[8:9], off offset:12
	s_waitcnt vmcnt(1)
	global_store_dword v[8:9], v5, off offset:12
	s_waitcnt vmcnt(1)
	global_store_dword v[10:11], v12, off
.LBB120_90:
	s_or_b64 exec, exec, s[24:25]
	v_mov_b32_e32 v43, v4
	v_mov_b32_e32 v42, v4
.LBB120_91:
	s_or_b64 exec, exec, s[18:19]
.LBB120_92:
	s_andn2_saveexec_b64 s[4:5], s[4:5]
	s_cbranch_execz .LBB120_96
; %bb.93:
	s_mov_b32 s16, 64
.LBB120_94:                             ; =>This Inner Loop Header: Depth=1
	v_mov_b32_e32 v19, s16
	buffer_load_dword v4, v19, s[0:3], 0 offen
	buffer_load_dword v5, v19, s[0:3], 0 offen offset:4
	buffer_load_dword v10, v19, s[0:3], 0 offen offset:8
	buffer_load_dword v11, v19, s[0:3], 0 offen offset:12
	buffer_load_dword v12, v19, s[0:3], 0 offen offset:16
	buffer_load_dword v13, v19, s[0:3], 0 offen offset:20
	buffer_load_dword v14, v19, s[0:3], 0 offen offset:24
	buffer_load_dword v15, v19, s[0:3], 0 offen offset:28
	buffer_load_dword v16, v19, s[0:3], 0 offen offset:32
	buffer_load_dword v17, v19, s[0:3], 0 offen offset:36
	buffer_load_dword v18, v19, s[0:3], 0 offen offset:40
	s_nop 0
	buffer_load_dword v19, v19, s[0:3], 0 offen offset:44
	v_add_u32_e32 v20, s16, v40
	s_add_i32 s16, s16, 48
	s_cmpk_eq_i32 s16, 0x3d0
	s_waitcnt vmcnt(8)
	ds_write2_b64 v20, v[4:5], v[10:11] offset1:1
	s_waitcnt vmcnt(4)
	ds_write2_b64 v20, v[12:13], v[14:15] offset0:2 offset1:3
	s_waitcnt vmcnt(0)
	ds_write2_b64 v20, v[16:17], v[18:19] offset0:4 offset1:5
	s_cbranch_scc0 .LBB120_94
; %bb.95:
	v_mov_b32_e32 v43, 3
.LBB120_96:
	s_or_b64 exec, exec, s[4:5]
	v_cmp_lt_i32_e32 vcc, 3, v43
	s_waitcnt vmcnt(0) lgkmcnt(0)
	s_barrier
	s_and_saveexec_b64 s[4:5], vcc
	s_cbranch_execz .LBB120_99
; %bb.97:
	buffer_load_dword v4, off, s[0:3], 0 offset:56
	buffer_load_dword v5, off, s[0:3], 0 offset:60
	;; [unrolled: 1-line block ×4, first 2 shown]
	s_mov_b32 s16, 64
	s_waitcnt vmcnt(2)
	v_mul_f64 v[12:13], v[2:3], v[4:5]
	v_mul_f64 v[4:5], v[0:1], v[4:5]
	s_waitcnt vmcnt(0)
	v_fma_f64 v[0:1], v[0:1], v[10:11], -v[12:13]
	v_fma_f64 v[2:3], v[2:3], v[10:11], v[4:5]
	buffer_store_dword v0, off, s[0:3], 0 offset:48
	buffer_store_dword v1, off, s[0:3], 0 offset:52
	;; [unrolled: 1-line block ×4, first 2 shown]
.LBB120_98:                             ; =>This Inner Loop Header: Depth=1
	buffer_load_dword v4, off, s[0:3], 0 offset:56
	buffer_load_dword v5, off, s[0:3], 0 offset:60
	;; [unrolled: 1-line block ×4, first 2 shown]
	v_mov_b32_e32 v26, s16
	buffer_load_dword v16, v26, s[0:3], 0 offen
	buffer_load_dword v17, v26, s[0:3], 0 offen offset:4
	buffer_load_dword v18, v26, s[0:3], 0 offen offset:8
	;; [unrolled: 1-line block ×3, first 2 shown]
	v_add_u32_e32 v27, s16, v40
	ds_read2_b64 v[0:3], v27 offset1:1
	buffer_load_dword v20, v26, s[0:3], 0 offen offset:16
	buffer_load_dword v21, v26, s[0:3], 0 offen offset:20
	;; [unrolled: 1-line block ×4, first 2 shown]
	ds_read2_b64 v[10:13], v27 offset0:2 offset1:3
	s_add_i32 s16, s16, 48
	s_cmpk_lg_i32 s16, 0x3d0
	s_waitcnt vmcnt(10) lgkmcnt(1)
	v_mul_f64 v[24:25], v[2:3], v[4:5]
	v_mul_f64 v[4:5], v[0:1], v[4:5]
	s_waitcnt vmcnt(8)
	v_fma_f64 v[0:1], v[0:1], v[14:15], -v[24:25]
	v_fma_f64 v[2:3], v[2:3], v[14:15], v[4:5]
	s_waitcnt vmcnt(6)
	v_add_f64 v[0:1], v[16:17], -v[0:1]
	s_waitcnt vmcnt(4)
	v_add_f64 v[2:3], v[18:19], -v[2:3]
	buffer_store_dword v1, v26, s[0:3], 0 offen offset:4
	buffer_store_dword v0, v26, s[0:3], 0 offen
	buffer_store_dword v3, v26, s[0:3], 0 offen offset:12
	buffer_store_dword v2, v26, s[0:3], 0 offen offset:8
	buffer_load_dword v1, off, s[0:3], 0 offset:60
	s_nop 0
	buffer_load_dword v0, off, s[0:3], 0 offset:56
	buffer_load_dword v3, off, s[0:3], 0 offset:52
	buffer_load_dword v2, off, s[0:3], 0 offset:48
	buffer_load_dword v4, v26, s[0:3], 0 offen offset:32
	buffer_load_dword v5, v26, s[0:3], 0 offen offset:36
	;; [unrolled: 1-line block ×4, first 2 shown]
	s_waitcnt vmcnt(6) lgkmcnt(0)
	v_mul_f64 v[16:17], v[12:13], v[0:1]
	v_mul_f64 v[0:1], v[10:11], v[0:1]
	s_waitcnt vmcnt(4)
	v_fma_f64 v[10:11], v[10:11], v[2:3], -v[16:17]
	v_fma_f64 v[0:1], v[12:13], v[2:3], v[0:1]
	v_add_f64 v[2:3], v[20:21], -v[10:11]
	v_add_f64 v[0:1], v[22:23], -v[0:1]
	buffer_store_dword v3, v26, s[0:3], 0 offen offset:20
	buffer_store_dword v2, v26, s[0:3], 0 offen offset:16
	buffer_store_dword v1, v26, s[0:3], 0 offen offset:28
	buffer_store_dword v0, v26, s[0:3], 0 offen offset:24
	buffer_load_dword v10, off, s[0:3], 0 offset:56
	buffer_load_dword v11, off, s[0:3], 0 offset:60
	;; [unrolled: 1-line block ×4, first 2 shown]
	ds_read2_b64 v[0:3], v27 offset0:4 offset1:5
	s_waitcnt vmcnt(2) lgkmcnt(0)
	v_mul_f64 v[16:17], v[2:3], v[10:11]
	v_mul_f64 v[10:11], v[0:1], v[10:11]
	s_waitcnt vmcnt(0)
	v_fma_f64 v[0:1], v[0:1], v[12:13], -v[16:17]
	v_fma_f64 v[2:3], v[2:3], v[12:13], v[10:11]
	v_add_f64 v[0:1], v[4:5], -v[0:1]
	v_add_f64 v[2:3], v[14:15], -v[2:3]
	buffer_store_dword v1, v26, s[0:3], 0 offen offset:36
	buffer_store_dword v0, v26, s[0:3], 0 offen offset:32
	buffer_store_dword v3, v26, s[0:3], 0 offen offset:44
	buffer_store_dword v2, v26, s[0:3], 0 offen offset:40
	s_cbranch_scc1 .LBB120_98
.LBB120_99:
	s_or_b64 exec, exec, s[4:5]
	v_mov_b32_e32 v3, s80
	s_waitcnt vmcnt(0)
	s_barrier
	buffer_load_dword v0, v3, s[0:3], 0 offen
	buffer_load_dword v1, v3, s[0:3], 0 offen offset:4
	buffer_load_dword v2, v3, s[0:3], 0 offen offset:8
	s_nop 0
	buffer_load_dword v3, v3, s[0:3], 0 offen offset:12
	v_lshl_add_u32 v4, v43, 4, v40
	s_cmp_lt_i32 s64, 6
	s_waitcnt vmcnt(0)
	ds_write2_b64 v4, v[0:1], v[2:3] offset1:1
	s_waitcnt lgkmcnt(0)
	s_barrier
	ds_read2_b64 v[0:3], v40 offset0:8 offset1:9
	v_mov_b32_e32 v4, 4
	s_cbranch_scc1 .LBB120_102
; %bb.100:
	v_mov_b32_e32 v4, 4
	v_add_u32_e32 v5, 0x50, v40
	s_mov_b32 s16, 5
.LBB120_101:                            ; =>This Inner Loop Header: Depth=1
	s_waitcnt lgkmcnt(0)
	v_cmp_gt_f64_e32 vcc, 0, v[2:3]
	v_cmp_gt_f64_e64 s[4:5], 0, v[0:1]
	ds_read2_b64 v[10:13], v5 offset1:1
	v_xor_b32_e32 v15, 0x80000000, v1
	v_xor_b32_e32 v17, 0x80000000, v3
	v_mov_b32_e32 v14, v0
	v_mov_b32_e32 v16, v2
	s_waitcnt lgkmcnt(0)
	v_xor_b32_e32 v19, 0x80000000, v13
	v_cndmask_b32_e32 v17, v3, v17, vcc
	v_cndmask_b32_e64 v15, v1, v15, s[4:5]
	v_cmp_gt_f64_e32 vcc, 0, v[12:13]
	v_cmp_gt_f64_e64 s[4:5], 0, v[10:11]
	v_add_f64 v[14:15], v[14:15], v[16:17]
	v_xor_b32_e32 v17, 0x80000000, v11
	v_mov_b32_e32 v16, v10
	v_mov_b32_e32 v18, v12
	v_add_u32_e32 v5, 16, v5
	v_cndmask_b32_e32 v19, v13, v19, vcc
	v_cndmask_b32_e64 v17, v11, v17, s[4:5]
	v_add_f64 v[16:17], v[16:17], v[18:19]
	v_mov_b32_e32 v18, s16
	s_add_i32 s16, s16, 1
	s_cmp_lg_u32 s64, s16
	v_cmp_lt_f64_e32 vcc, v[14:15], v[16:17]
	v_cndmask_b32_e32 v1, v1, v11, vcc
	v_cndmask_b32_e32 v0, v0, v10, vcc
	;; [unrolled: 1-line block ×5, first 2 shown]
	s_cbranch_scc1 .LBB120_101
.LBB120_102:
	s_waitcnt lgkmcnt(0)
	v_cmp_eq_f64_e32 vcc, 0, v[0:1]
	v_cmp_eq_f64_e64 s[4:5], 0, v[2:3]
	s_and_b64 s[4:5], vcc, s[4:5]
	s_and_saveexec_b64 s[16:17], s[4:5]
	s_xor_b64 s[4:5], exec, s[16:17]
; %bb.103:
	v_cmp_ne_u32_e32 vcc, 0, v41
	v_cndmask_b32_e32 v41, 5, v41, vcc
; %bb.104:
	s_andn2_saveexec_b64 s[4:5], s[4:5]
	s_cbranch_execz .LBB120_110
; %bb.105:
	v_cmp_ngt_f64_e64 s[16:17], |v[0:1]|, |v[2:3]|
	s_and_saveexec_b64 s[18:19], s[16:17]
	s_xor_b64 s[18:19], exec, s[18:19]
	s_cbranch_execz .LBB120_107
; %bb.106:
	v_div_scale_f64 v[10:11], s[16:17], v[2:3], v[2:3], v[0:1]
	v_rcp_f64_e32 v[12:13], v[10:11]
	v_fma_f64 v[14:15], -v[10:11], v[12:13], 1.0
	v_fma_f64 v[12:13], v[12:13], v[14:15], v[12:13]
	v_div_scale_f64 v[14:15], vcc, v[0:1], v[2:3], v[0:1]
	v_fma_f64 v[16:17], -v[10:11], v[12:13], 1.0
	v_fma_f64 v[12:13], v[12:13], v[16:17], v[12:13]
	v_mul_f64 v[16:17], v[14:15], v[12:13]
	v_fma_f64 v[10:11], -v[10:11], v[16:17], v[14:15]
	v_div_fmas_f64 v[10:11], v[10:11], v[12:13], v[16:17]
	v_div_fixup_f64 v[10:11], v[10:11], v[2:3], v[0:1]
	v_fma_f64 v[0:1], v[0:1], v[10:11], v[2:3]
	v_div_scale_f64 v[2:3], s[16:17], v[0:1], v[0:1], 1.0
	v_div_scale_f64 v[16:17], vcc, 1.0, v[0:1], 1.0
	v_rcp_f64_e32 v[12:13], v[2:3]
	v_fma_f64 v[14:15], -v[2:3], v[12:13], 1.0
	v_fma_f64 v[12:13], v[12:13], v[14:15], v[12:13]
	v_fma_f64 v[14:15], -v[2:3], v[12:13], 1.0
	v_fma_f64 v[12:13], v[12:13], v[14:15], v[12:13]
	v_mul_f64 v[14:15], v[16:17], v[12:13]
	v_fma_f64 v[2:3], -v[2:3], v[14:15], v[16:17]
	v_div_fmas_f64 v[2:3], v[2:3], v[12:13], v[14:15]
	v_div_fixup_f64 v[2:3], v[2:3], v[0:1], 1.0
	v_mul_f64 v[0:1], v[10:11], v[2:3]
	v_xor_b32_e32 v3, 0x80000000, v3
.LBB120_107:
	s_andn2_saveexec_b64 s[18:19], s[18:19]
	s_cbranch_execz .LBB120_109
; %bb.108:
	v_div_scale_f64 v[10:11], s[16:17], v[0:1], v[0:1], v[2:3]
	v_rcp_f64_e32 v[12:13], v[10:11]
	v_fma_f64 v[14:15], -v[10:11], v[12:13], 1.0
	v_fma_f64 v[12:13], v[12:13], v[14:15], v[12:13]
	v_div_scale_f64 v[14:15], vcc, v[2:3], v[0:1], v[2:3]
	v_fma_f64 v[16:17], -v[10:11], v[12:13], 1.0
	v_fma_f64 v[12:13], v[12:13], v[16:17], v[12:13]
	v_mul_f64 v[16:17], v[14:15], v[12:13]
	v_fma_f64 v[10:11], -v[10:11], v[16:17], v[14:15]
	v_div_fmas_f64 v[10:11], v[10:11], v[12:13], v[16:17]
	v_div_fixup_f64 v[10:11], v[10:11], v[0:1], v[2:3]
	v_fma_f64 v[0:1], v[2:3], v[10:11], v[0:1]
	v_div_scale_f64 v[2:3], s[16:17], v[0:1], v[0:1], 1.0
	v_div_scale_f64 v[16:17], vcc, 1.0, v[0:1], 1.0
	v_rcp_f64_e32 v[12:13], v[2:3]
	v_fma_f64 v[14:15], -v[2:3], v[12:13], 1.0
	v_fma_f64 v[12:13], v[12:13], v[14:15], v[12:13]
	v_fma_f64 v[14:15], -v[2:3], v[12:13], 1.0
	v_fma_f64 v[12:13], v[12:13], v[14:15], v[12:13]
	v_mul_f64 v[14:15], v[16:17], v[12:13]
	v_fma_f64 v[2:3], -v[2:3], v[14:15], v[16:17]
	v_div_fmas_f64 v[2:3], v[2:3], v[12:13], v[14:15]
	v_div_fixup_f64 v[0:1], v[2:3], v[0:1], 1.0
	v_mul_f64 v[2:3], v[10:11], -v[0:1]
.LBB120_109:
	s_or_b64 exec, exec, s[18:19]
.LBB120_110:
	s_or_b64 exec, exec, s[4:5]
	v_cmp_ne_u32_e32 vcc, v43, v4
	s_and_saveexec_b64 s[4:5], vcc
	s_xor_b64 s[4:5], exec, s[4:5]
	s_cbranch_execz .LBB120_116
; %bb.111:
	v_cmp_eq_u32_e32 vcc, 4, v43
	s_and_saveexec_b64 s[18:19], vcc
	s_cbranch_execz .LBB120_115
; %bb.112:
	v_cmp_ne_u32_e32 vcc, 4, v4
	s_xor_b64 s[16:17], s[22:23], -1
	s_and_b64 s[16:17], s[16:17], vcc
	s_and_saveexec_b64 s[24:25], s[16:17]
	s_cbranch_execz .LBB120_114
; %bb.113:
	v_ashrrev_i32_e32 v5, 31, v4
	v_lshlrev_b64 v[10:11], 2, v[4:5]
	v_add_co_u32_e32 v10, vcc, v8, v10
	v_addc_co_u32_e32 v11, vcc, v9, v11, vcc
	global_load_dword v5, v[10:11], off
	global_load_dword v12, v[8:9], off offset:16
	s_waitcnt vmcnt(1)
	global_store_dword v[8:9], v5, off offset:16
	s_waitcnt vmcnt(1)
	global_store_dword v[10:11], v12, off
.LBB120_114:
	s_or_b64 exec, exec, s[24:25]
	v_mov_b32_e32 v43, v4
	v_mov_b32_e32 v42, v4
.LBB120_115:
	s_or_b64 exec, exec, s[18:19]
.LBB120_116:
	s_andn2_saveexec_b64 s[4:5], s[4:5]
	s_cbranch_execz .LBB120_120
; %bb.117:
	s_movk_i32 s18, 0x50
.LBB120_118:                            ; =>This Inner Loop Header: Depth=1
	v_mov_b32_e32 v24, s18
	buffer_load_dword v4, v24, s[0:3], 0 offen
	buffer_load_dword v5, v24, s[0:3], 0 offen offset:4
	buffer_load_dword v10, v24, s[0:3], 0 offen offset:8
	;; [unrolled: 1-line block ×15, first 2 shown]
	v_add_u32_e32 v25, s18, v40
	s_addk_i32 s18, 0xe0
	s_cmpk_eq_i32 s18, 0x3d0
	s_waitcnt vmcnt(12)
	ds_write2_b64 v25, v[4:5], v[10:11] offset1:1
	s_waitcnt vmcnt(8)
	ds_write2_b64 v25, v[12:13], v[14:15] offset0:2 offset1:3
	s_waitcnt vmcnt(4)
	ds_write2_b64 v25, v[16:17], v[18:19] offset0:4 offset1:5
	;; [unrolled: 2-line block ×3, first 2 shown]
	buffer_load_dword v5, v24, s[0:3], 0 offen offset:76
	buffer_load_dword v4, v24, s[0:3], 0 offen offset:72
	buffer_load_dword v11, v24, s[0:3], 0 offen offset:68
	buffer_load_dword v10, v24, s[0:3], 0 offen offset:64
	s_waitcnt vmcnt(0)
	ds_write2_b64 v25, v[10:11], v[4:5] offset0:8 offset1:9
	buffer_load_dword v5, v24, s[0:3], 0 offen offset:92
	buffer_load_dword v4, v24, s[0:3], 0 offen offset:88
	buffer_load_dword v11, v24, s[0:3], 0 offen offset:84
	buffer_load_dword v10, v24, s[0:3], 0 offen offset:80
	s_waitcnt vmcnt(0)
	ds_write2_b64 v25, v[10:11], v[4:5] offset0:10 offset1:11
	;; [unrolled: 6-line block ×10, first 2 shown]
	s_cbranch_scc0 .LBB120_118
; %bb.119:
	v_mov_b32_e32 v43, 4
.LBB120_120:
	s_or_b64 exec, exec, s[4:5]
	v_cmp_lt_i32_e32 vcc, 4, v43
	s_waitcnt vmcnt(0) lgkmcnt(0)
	s_barrier
	s_and_saveexec_b64 s[4:5], vcc
	s_cbranch_execz .LBB120_123
; %bb.121:
	buffer_load_dword v4, off, s[0:3], 0 offset:72
	buffer_load_dword v5, off, s[0:3], 0 offset:76
	;; [unrolled: 1-line block ×4, first 2 shown]
	s_movk_i32 s18, 0x50
	s_waitcnt vmcnt(2)
	v_mul_f64 v[12:13], v[2:3], v[4:5]
	v_mul_f64 v[4:5], v[0:1], v[4:5]
	s_waitcnt vmcnt(0)
	v_fma_f64 v[0:1], v[0:1], v[10:11], -v[12:13]
	v_fma_f64 v[2:3], v[2:3], v[10:11], v[4:5]
	buffer_store_dword v0, off, s[0:3], 0 offset:64
	buffer_store_dword v1, off, s[0:3], 0 offset:68
	;; [unrolled: 1-line block ×4, first 2 shown]
.LBB120_122:                            ; =>This Inner Loop Header: Depth=1
	v_mov_b32_e32 v4, s18
	buffer_load_dword v18, v4, s[0:3], 0 offen
	buffer_load_dword v19, v4, s[0:3], 0 offen offset:4
	buffer_load_dword v20, v4, s[0:3], 0 offen offset:8
	;; [unrolled: 1-line block ×3, first 2 shown]
	v_add_u32_e32 v5, s18, v40
	ds_read2_b64 v[10:13], v5 offset1:1
	ds_read2_b64 v[14:17], v5 offset0:2 offset1:3
	buffer_load_dword v22, v4, s[0:3], 0 offen offset:16
	buffer_load_dword v24, v4, s[0:3], 0 offen offset:24
	;; [unrolled: 1-line block ×8, first 2 shown]
	s_addk_i32 s18, 0x70
	s_cmpk_lg_i32 s18, 0x3d0
	s_waitcnt lgkmcnt(1)
	v_mul_f64 v[32:33], v[12:13], v[2:3]
	v_mul_f64 v[2:3], v[10:11], v[2:3]
	v_fma_f64 v[10:11], v[10:11], v[0:1], -v[32:33]
	v_fma_f64 v[0:1], v[12:13], v[0:1], v[2:3]
	s_waitcnt vmcnt(10)
	v_add_f64 v[2:3], v[18:19], -v[10:11]
	s_waitcnt vmcnt(8)
	v_add_f64 v[0:1], v[20:21], -v[0:1]
	buffer_store_dword v3, v4, s[0:3], 0 offen offset:4
	buffer_store_dword v2, v4, s[0:3], 0 offen
	buffer_store_dword v1, v4, s[0:3], 0 offen offset:12
	buffer_store_dword v0, v4, s[0:3], 0 offen offset:8
	buffer_load_dword v1, off, s[0:3], 0 offset:76
	s_nop 0
	buffer_load_dword v0, off, s[0:3], 0 offset:72
	buffer_load_dword v3, off, s[0:3], 0 offset:68
	buffer_load_dword v2, off, s[0:3], 0 offset:64
	buffer_load_dword v26, v4, s[0:3], 0 offen offset:32
	buffer_load_dword v30, v4, s[0:3], 0 offen offset:44
	;; [unrolled: 1-line block ×4, first 2 shown]
	s_waitcnt vmcnt(6) lgkmcnt(0)
	v_mul_f64 v[10:11], v[16:17], v[0:1]
	v_mul_f64 v[0:1], v[14:15], v[0:1]
	s_waitcnt vmcnt(4)
	v_fma_f64 v[10:11], v[14:15], v[2:3], -v[10:11]
	v_fma_f64 v[0:1], v[16:17], v[2:3], v[0:1]
	v_add_f64 v[2:3], v[22:23], -v[10:11]
	v_add_f64 v[0:1], v[24:25], -v[0:1]
	buffer_store_dword v3, v4, s[0:3], 0 offen offset:20
	buffer_store_dword v2, v4, s[0:3], 0 offen offset:16
	;; [unrolled: 1-line block ×4, first 2 shown]
	buffer_load_dword v14, off, s[0:3], 0 offset:72
	buffer_load_dword v15, off, s[0:3], 0 offset:76
	;; [unrolled: 1-line block ×4, first 2 shown]
	ds_read2_b64 v[0:3], v5 offset0:4 offset1:5
	ds_read2_b64 v[10:13], v5 offset0:6 offset1:7
	s_waitcnt vmcnt(2) lgkmcnt(1)
	v_mul_f64 v[18:19], v[2:3], v[14:15]
	v_mul_f64 v[14:15], v[0:1], v[14:15]
	s_waitcnt vmcnt(0)
	v_fma_f64 v[0:1], v[0:1], v[16:17], -v[18:19]
	v_fma_f64 v[2:3], v[2:3], v[16:17], v[14:15]
	v_add_f64 v[0:1], v[26:27], -v[0:1]
	v_add_f64 v[2:3], v[29:30], -v[2:3]
	buffer_store_dword v1, v4, s[0:3], 0 offen offset:36
	buffer_store_dword v0, v4, s[0:3], 0 offen offset:32
	;; [unrolled: 1-line block ×4, first 2 shown]
	buffer_load_dword v0, off, s[0:3], 0 offset:72
	s_nop 0
	buffer_load_dword v1, off, s[0:3], 0 offset:76
	buffer_load_dword v2, off, s[0:3], 0 offset:64
	;; [unrolled: 1-line block ×3, first 2 shown]
	buffer_load_dword v27, v4, s[0:3], 0 offen offset:48
	buffer_load_dword v23, v4, s[0:3], 0 offen offset:68
	;; [unrolled: 1-line block ×4, first 2 shown]
	s_waitcnt vmcnt(6) lgkmcnt(0)
	v_mul_f64 v[14:15], v[12:13], v[0:1]
	v_mul_f64 v[0:1], v[10:11], v[0:1]
	s_waitcnt vmcnt(4)
	v_fma_f64 v[10:11], v[10:11], v[2:3], -v[14:15]
	v_fma_f64 v[0:1], v[12:13], v[2:3], v[0:1]
	s_waitcnt vmcnt(3)
	v_add_f64 v[2:3], v[27:28], -v[10:11]
	v_add_f64 v[0:1], v[31:32], -v[0:1]
	buffer_store_dword v3, v4, s[0:3], 0 offen offset:52
	buffer_store_dword v2, v4, s[0:3], 0 offen offset:48
	;; [unrolled: 1-line block ×4, first 2 shown]
	buffer_load_dword v2, off, s[0:3], 0 offset:72
	s_nop 0
	buffer_load_dword v3, off, s[0:3], 0 offset:76
	buffer_load_dword v0, off, s[0:3], 0 offset:64
	;; [unrolled: 1-line block ×3, first 2 shown]
	buffer_load_dword v28, v4, s[0:3], 0 offen offset:96
	buffer_load_dword v29, v4, s[0:3], 0 offen offset:100
	;; [unrolled: 1-line block ×8, first 2 shown]
	ds_read2_b64 v[10:13], v5 offset0:8 offset1:9
	ds_read2_b64 v[14:17], v5 offset0:10 offset1:11
	;; [unrolled: 1-line block ×3, first 2 shown]
	s_waitcnt vmcnt(10) lgkmcnt(2)
	v_mul_f64 v[35:36], v[12:13], v[2:3]
	v_mul_f64 v[44:45], v[10:11], v[2:3]
	s_waitcnt lgkmcnt(1)
	v_mul_f64 v[46:47], v[16:17], v[2:3]
	v_mul_f64 v[48:49], v[14:15], v[2:3]
	s_waitcnt lgkmcnt(0)
	v_mul_f64 v[50:51], v[20:21], v[2:3]
	v_mul_f64 v[52:53], v[18:19], v[2:3]
	s_waitcnt vmcnt(8)
	v_fma_f64 v[10:11], v[10:11], v[0:1], -v[35:36]
	v_fma_f64 v[12:13], v[12:13], v[0:1], v[44:45]
	v_fma_f64 v[14:15], v[14:15], v[0:1], -v[46:47]
	v_fma_f64 v[16:17], v[16:17], v[0:1], v[48:49]
	;; [unrolled: 2-line block ×3, first 2 shown]
	s_waitcnt vmcnt(3)
	v_add_f64 v[10:11], v[22:23], -v[10:11]
	s_waitcnt vmcnt(2)
	v_add_f64 v[12:13], v[33:34], -v[12:13]
	;; [unrolled: 2-line block ×4, first 2 shown]
	v_add_f64 v[18:19], v[28:29], -v[18:19]
	v_add_f64 v[20:21], v[30:31], -v[20:21]
	buffer_store_dword v11, v4, s[0:3], 0 offen offset:68
	buffer_store_dword v10, v4, s[0:3], 0 offen offset:64
	buffer_store_dword v13, v4, s[0:3], 0 offen offset:76
	buffer_store_dword v12, v4, s[0:3], 0 offen offset:72
	buffer_store_dword v15, v4, s[0:3], 0 offen offset:84
	buffer_store_dword v14, v4, s[0:3], 0 offen offset:80
	buffer_store_dword v17, v4, s[0:3], 0 offen offset:92
	buffer_store_dword v16, v4, s[0:3], 0 offen offset:88
	buffer_store_dword v19, v4, s[0:3], 0 offen offset:100
	buffer_store_dword v18, v4, s[0:3], 0 offen offset:96
	buffer_store_dword v21, v4, s[0:3], 0 offen offset:108
	buffer_store_dword v20, v4, s[0:3], 0 offen offset:104
	s_cbranch_scc1 .LBB120_122
.LBB120_123:
	s_or_b64 exec, exec, s[4:5]
	v_mov_b32_e32 v3, s79
	s_waitcnt vmcnt(0)
	s_barrier
	buffer_load_dword v0, v3, s[0:3], 0 offen
	buffer_load_dword v1, v3, s[0:3], 0 offen offset:4
	buffer_load_dword v2, v3, s[0:3], 0 offen offset:8
	s_nop 0
	buffer_load_dword v3, v3, s[0:3], 0 offen offset:12
	v_lshl_add_u32 v4, v43, 4, v40
	s_cmp_lt_i32 s64, 7
	s_waitcnt vmcnt(0)
	ds_write2_b64 v4, v[0:1], v[2:3] offset1:1
	s_waitcnt lgkmcnt(0)
	s_barrier
	ds_read2_b64 v[0:3], v40 offset0:10 offset1:11
	v_mov_b32_e32 v4, 5
	s_cbranch_scc1 .LBB120_126
; %bb.124:
	v_add_u32_e32 v5, 0x60, v40
	s_mov_b32 s16, 6
	v_mov_b32_e32 v4, 5
.LBB120_125:                            ; =>This Inner Loop Header: Depth=1
	s_waitcnt lgkmcnt(0)
	v_cmp_gt_f64_e32 vcc, 0, v[2:3]
	v_cmp_gt_f64_e64 s[4:5], 0, v[0:1]
	ds_read2_b64 v[10:13], v5 offset1:1
	v_xor_b32_e32 v15, 0x80000000, v1
	v_xor_b32_e32 v17, 0x80000000, v3
	v_mov_b32_e32 v14, v0
	v_mov_b32_e32 v16, v2
	s_waitcnt lgkmcnt(0)
	v_xor_b32_e32 v19, 0x80000000, v13
	v_cndmask_b32_e32 v17, v3, v17, vcc
	v_cndmask_b32_e64 v15, v1, v15, s[4:5]
	v_cmp_gt_f64_e32 vcc, 0, v[12:13]
	v_cmp_gt_f64_e64 s[4:5], 0, v[10:11]
	v_add_f64 v[14:15], v[14:15], v[16:17]
	v_xor_b32_e32 v17, 0x80000000, v11
	v_mov_b32_e32 v16, v10
	v_mov_b32_e32 v18, v12
	v_add_u32_e32 v5, 16, v5
	v_cndmask_b32_e32 v19, v13, v19, vcc
	v_cndmask_b32_e64 v17, v11, v17, s[4:5]
	v_add_f64 v[16:17], v[16:17], v[18:19]
	v_mov_b32_e32 v18, s16
	s_add_i32 s16, s16, 1
	s_cmp_lg_u32 s64, s16
	v_cmp_lt_f64_e32 vcc, v[14:15], v[16:17]
	v_cndmask_b32_e32 v1, v1, v11, vcc
	v_cndmask_b32_e32 v0, v0, v10, vcc
	;; [unrolled: 1-line block ×5, first 2 shown]
	s_cbranch_scc1 .LBB120_125
.LBB120_126:
	s_waitcnt lgkmcnt(0)
	v_cmp_eq_f64_e32 vcc, 0, v[0:1]
	v_cmp_eq_f64_e64 s[4:5], 0, v[2:3]
	s_and_b64 s[4:5], vcc, s[4:5]
	s_and_saveexec_b64 s[16:17], s[4:5]
	s_xor_b64 s[4:5], exec, s[16:17]
; %bb.127:
	v_cmp_ne_u32_e32 vcc, 0, v41
	v_cndmask_b32_e32 v41, 6, v41, vcc
; %bb.128:
	s_andn2_saveexec_b64 s[4:5], s[4:5]
	s_cbranch_execz .LBB120_134
; %bb.129:
	v_cmp_ngt_f64_e64 s[16:17], |v[0:1]|, |v[2:3]|
	s_and_saveexec_b64 s[18:19], s[16:17]
	s_xor_b64 s[18:19], exec, s[18:19]
	s_cbranch_execz .LBB120_131
; %bb.130:
	v_div_scale_f64 v[10:11], s[16:17], v[2:3], v[2:3], v[0:1]
	v_rcp_f64_e32 v[12:13], v[10:11]
	v_fma_f64 v[14:15], -v[10:11], v[12:13], 1.0
	v_fma_f64 v[12:13], v[12:13], v[14:15], v[12:13]
	v_div_scale_f64 v[14:15], vcc, v[0:1], v[2:3], v[0:1]
	v_fma_f64 v[16:17], -v[10:11], v[12:13], 1.0
	v_fma_f64 v[12:13], v[12:13], v[16:17], v[12:13]
	v_mul_f64 v[16:17], v[14:15], v[12:13]
	v_fma_f64 v[10:11], -v[10:11], v[16:17], v[14:15]
	v_div_fmas_f64 v[10:11], v[10:11], v[12:13], v[16:17]
	v_div_fixup_f64 v[10:11], v[10:11], v[2:3], v[0:1]
	v_fma_f64 v[0:1], v[0:1], v[10:11], v[2:3]
	v_div_scale_f64 v[2:3], s[16:17], v[0:1], v[0:1], 1.0
	v_div_scale_f64 v[16:17], vcc, 1.0, v[0:1], 1.0
	v_rcp_f64_e32 v[12:13], v[2:3]
	v_fma_f64 v[14:15], -v[2:3], v[12:13], 1.0
	v_fma_f64 v[12:13], v[12:13], v[14:15], v[12:13]
	v_fma_f64 v[14:15], -v[2:3], v[12:13], 1.0
	v_fma_f64 v[12:13], v[12:13], v[14:15], v[12:13]
	v_mul_f64 v[14:15], v[16:17], v[12:13]
	v_fma_f64 v[2:3], -v[2:3], v[14:15], v[16:17]
	v_div_fmas_f64 v[2:3], v[2:3], v[12:13], v[14:15]
	v_div_fixup_f64 v[2:3], v[2:3], v[0:1], 1.0
	v_mul_f64 v[0:1], v[10:11], v[2:3]
	v_xor_b32_e32 v3, 0x80000000, v3
.LBB120_131:
	s_andn2_saveexec_b64 s[18:19], s[18:19]
	s_cbranch_execz .LBB120_133
; %bb.132:
	v_div_scale_f64 v[10:11], s[16:17], v[0:1], v[0:1], v[2:3]
	v_rcp_f64_e32 v[12:13], v[10:11]
	v_fma_f64 v[14:15], -v[10:11], v[12:13], 1.0
	v_fma_f64 v[12:13], v[12:13], v[14:15], v[12:13]
	v_div_scale_f64 v[14:15], vcc, v[2:3], v[0:1], v[2:3]
	v_fma_f64 v[16:17], -v[10:11], v[12:13], 1.0
	v_fma_f64 v[12:13], v[12:13], v[16:17], v[12:13]
	v_mul_f64 v[16:17], v[14:15], v[12:13]
	v_fma_f64 v[10:11], -v[10:11], v[16:17], v[14:15]
	v_div_fmas_f64 v[10:11], v[10:11], v[12:13], v[16:17]
	v_div_fixup_f64 v[10:11], v[10:11], v[0:1], v[2:3]
	v_fma_f64 v[0:1], v[2:3], v[10:11], v[0:1]
	v_div_scale_f64 v[2:3], s[16:17], v[0:1], v[0:1], 1.0
	v_div_scale_f64 v[16:17], vcc, 1.0, v[0:1], 1.0
	v_rcp_f64_e32 v[12:13], v[2:3]
	v_fma_f64 v[14:15], -v[2:3], v[12:13], 1.0
	v_fma_f64 v[12:13], v[12:13], v[14:15], v[12:13]
	v_fma_f64 v[14:15], -v[2:3], v[12:13], 1.0
	v_fma_f64 v[12:13], v[12:13], v[14:15], v[12:13]
	v_mul_f64 v[14:15], v[16:17], v[12:13]
	v_fma_f64 v[2:3], -v[2:3], v[14:15], v[16:17]
	v_div_fmas_f64 v[2:3], v[2:3], v[12:13], v[14:15]
	v_div_fixup_f64 v[0:1], v[2:3], v[0:1], 1.0
	v_mul_f64 v[2:3], v[10:11], -v[0:1]
.LBB120_133:
	s_or_b64 exec, exec, s[18:19]
.LBB120_134:
	s_or_b64 exec, exec, s[4:5]
	v_cmp_ne_u32_e32 vcc, v43, v4
	s_and_saveexec_b64 s[4:5], vcc
	s_xor_b64 s[4:5], exec, s[4:5]
	s_cbranch_execz .LBB120_140
; %bb.135:
	v_cmp_eq_u32_e32 vcc, 5, v43
	s_and_saveexec_b64 s[18:19], vcc
	s_cbranch_execz .LBB120_139
; %bb.136:
	v_cmp_ne_u32_e32 vcc, 5, v4
	s_xor_b64 s[16:17], s[22:23], -1
	s_and_b64 s[16:17], s[16:17], vcc
	s_and_saveexec_b64 s[24:25], s[16:17]
	s_cbranch_execz .LBB120_138
; %bb.137:
	v_ashrrev_i32_e32 v5, 31, v4
	v_lshlrev_b64 v[10:11], 2, v[4:5]
	v_add_co_u32_e32 v10, vcc, v8, v10
	v_addc_co_u32_e32 v11, vcc, v9, v11, vcc
	global_load_dword v5, v[10:11], off
	global_load_dword v12, v[8:9], off offset:20
	s_waitcnt vmcnt(1)
	global_store_dword v[8:9], v5, off offset:20
	s_waitcnt vmcnt(1)
	global_store_dword v[10:11], v12, off
.LBB120_138:
	s_or_b64 exec, exec, s[24:25]
	v_mov_b32_e32 v43, v4
	v_mov_b32_e32 v42, v4
.LBB120_139:
	s_or_b64 exec, exec, s[18:19]
.LBB120_140:
	s_andn2_saveexec_b64 s[4:5], s[4:5]
	s_cbranch_execz .LBB120_144
; %bb.141:
	s_movk_i32 s16, 0x60
.LBB120_142:                            ; =>This Inner Loop Header: Depth=1
	v_mov_b32_e32 v56, s16
	buffer_load_dword v4, v56, s[0:3], 0 offen
	buffer_load_dword v5, v56, s[0:3], 0 offen offset:4
	buffer_load_dword v10, v56, s[0:3], 0 offen offset:8
	buffer_load_dword v11, v56, s[0:3], 0 offen offset:12
	buffer_load_dword v12, v56, s[0:3], 0 offen offset:16
	buffer_load_dword v13, v56, s[0:3], 0 offen offset:20
	buffer_load_dword v14, v56, s[0:3], 0 offen offset:24
	buffer_load_dword v15, v56, s[0:3], 0 offen offset:28
	buffer_load_dword v16, v56, s[0:3], 0 offen offset:32
	buffer_load_dword v17, v56, s[0:3], 0 offen offset:36
	buffer_load_dword v18, v56, s[0:3], 0 offen offset:40
	buffer_load_dword v19, v56, s[0:3], 0 offen offset:44
	buffer_load_dword v20, v56, s[0:3], 0 offen offset:48
	buffer_load_dword v21, v56, s[0:3], 0 offen offset:52
	buffer_load_dword v22, v56, s[0:3], 0 offen offset:56
	buffer_load_dword v23, v56, s[0:3], 0 offen offset:60
	buffer_load_dword v25, v56, s[0:3], 0 offen offset:76
	buffer_load_dword v27, v56, s[0:3], 0 offen offset:92
	buffer_load_dword v26, v56, s[0:3], 0 offen offset:88
	buffer_load_dword v29, v56, s[0:3], 0 offen offset:84
	buffer_load_dword v28, v56, s[0:3], 0 offen offset:80
	buffer_load_dword v24, v56, s[0:3], 0 offen offset:72
	buffer_load_dword v31, v56, s[0:3], 0 offen offset:68
	buffer_load_dword v30, v56, s[0:3], 0 offen offset:64
	buffer_load_dword v33, v56, s[0:3], 0 offen offset:108
	buffer_load_dword v35, v56, s[0:3], 0 offen offset:124
	buffer_load_dword v34, v56, s[0:3], 0 offen offset:120
	buffer_load_dword v37, v56, s[0:3], 0 offen offset:116
	buffer_load_dword v36, v56, s[0:3], 0 offen offset:112
	buffer_load_dword v32, v56, s[0:3], 0 offen offset:104
	buffer_load_dword v44, v56, s[0:3], 0 offen offset:100
	buffer_load_dword v43, v56, s[0:3], 0 offen offset:96
	buffer_load_dword v45, v56, s[0:3], 0 offen offset:128
	buffer_load_dword v46, v56, s[0:3], 0 offen offset:132
	buffer_load_dword v47, v56, s[0:3], 0 offen offset:136
	buffer_load_dword v48, v56, s[0:3], 0 offen offset:140
	buffer_load_dword v49, v56, s[0:3], 0 offen offset:144
	buffer_load_dword v50, v56, s[0:3], 0 offen offset:148
	buffer_load_dword v51, v56, s[0:3], 0 offen offset:152
	buffer_load_dword v52, v56, s[0:3], 0 offen offset:156
	buffer_load_dword v53, v56, s[0:3], 0 offen offset:160
	buffer_load_dword v54, v56, s[0:3], 0 offen offset:164
	buffer_load_dword v55, v56, s[0:3], 0 offen offset:168
	s_nop 0
	buffer_load_dword v56, v56, s[0:3], 0 offen offset:172
	v_add_u32_e32 v57, s16, v40
	s_addk_i32 s16, 0xb0
	s_cmpk_eq_i32 s16, 0x3d0
	s_waitcnt vmcnt(40)
	ds_write2_b64 v57, v[4:5], v[10:11] offset1:1
	s_waitcnt vmcnt(36)
	ds_write2_b64 v57, v[12:13], v[14:15] offset0:2 offset1:3
	s_waitcnt vmcnt(32)
	ds_write2_b64 v57, v[16:17], v[18:19] offset0:4 offset1:5
	;; [unrolled: 2-line block ×4, first 2 shown]
	ds_write2_b64 v57, v[28:29], v[26:27] offset0:10 offset1:11
	s_waitcnt vmcnt(12)
	ds_write2_b64 v57, v[43:44], v[32:33] offset0:12 offset1:13
	ds_write2_b64 v57, v[36:37], v[34:35] offset0:14 offset1:15
	s_waitcnt vmcnt(8)
	ds_write2_b64 v57, v[45:46], v[47:48] offset0:16 offset1:17
	s_waitcnt vmcnt(4)
	;; [unrolled: 2-line block ×3, first 2 shown]
	ds_write2_b64 v57, v[53:54], v[55:56] offset0:20 offset1:21
	s_cbranch_scc0 .LBB120_142
; %bb.143:
	v_mov_b32_e32 v43, 5
.LBB120_144:
	s_or_b64 exec, exec, s[4:5]
	v_cmp_lt_i32_e32 vcc, 5, v43
	s_waitcnt vmcnt(0) lgkmcnt(0)
	s_barrier
	s_and_saveexec_b64 s[4:5], vcc
	s_cbranch_execz .LBB120_147
; %bb.145:
	buffer_load_dword v4, off, s[0:3], 0 offset:88
	buffer_load_dword v5, off, s[0:3], 0 offset:92
	;; [unrolled: 1-line block ×4, first 2 shown]
	s_movk_i32 s18, 0x60
	s_waitcnt vmcnt(2)
	v_mul_f64 v[12:13], v[2:3], v[4:5]
	v_mul_f64 v[4:5], v[0:1], v[4:5]
	s_waitcnt vmcnt(0)
	v_fma_f64 v[0:1], v[0:1], v[10:11], -v[12:13]
	v_fma_f64 v[2:3], v[2:3], v[10:11], v[4:5]
	buffer_store_dword v0, off, s[0:3], 0 offset:80
	buffer_store_dword v1, off, s[0:3], 0 offset:84
	;; [unrolled: 1-line block ×4, first 2 shown]
.LBB120_146:                            ; =>This Inner Loop Header: Depth=1
	buffer_load_dword v4, off, s[0:3], 0 offset:88
	buffer_load_dword v5, off, s[0:3], 0 offset:92
	;; [unrolled: 1-line block ×4, first 2 shown]
	v_mov_b32_e32 v26, s18
	buffer_load_dword v16, v26, s[0:3], 0 offen
	buffer_load_dword v17, v26, s[0:3], 0 offen offset:4
	buffer_load_dword v18, v26, s[0:3], 0 offen offset:8
	;; [unrolled: 1-line block ×3, first 2 shown]
	v_add_u32_e32 v27, s18, v40
	ds_read2_b64 v[0:3], v27 offset1:1
	buffer_load_dword v20, v26, s[0:3], 0 offen offset:16
	buffer_load_dword v21, v26, s[0:3], 0 offen offset:20
	;; [unrolled: 1-line block ×4, first 2 shown]
	ds_read2_b64 v[10:13], v27 offset0:2 offset1:3
	s_addk_i32 s18, 0x50
	s_cmpk_lg_i32 s18, 0x3d0
	s_waitcnt vmcnt(10) lgkmcnt(1)
	v_mul_f64 v[24:25], v[2:3], v[4:5]
	v_mul_f64 v[4:5], v[0:1], v[4:5]
	s_waitcnt vmcnt(8)
	v_fma_f64 v[0:1], v[0:1], v[14:15], -v[24:25]
	v_fma_f64 v[2:3], v[2:3], v[14:15], v[4:5]
	s_waitcnt vmcnt(6)
	v_add_f64 v[0:1], v[16:17], -v[0:1]
	s_waitcnt vmcnt(4)
	v_add_f64 v[2:3], v[18:19], -v[2:3]
	buffer_store_dword v1, v26, s[0:3], 0 offen offset:4
	buffer_store_dword v0, v26, s[0:3], 0 offen
	buffer_store_dword v3, v26, s[0:3], 0 offen offset:12
	buffer_store_dword v2, v26, s[0:3], 0 offen offset:8
	buffer_load_dword v1, off, s[0:3], 0 offset:92
	s_nop 0
	buffer_load_dword v0, off, s[0:3], 0 offset:88
	buffer_load_dword v3, off, s[0:3], 0 offset:84
	buffer_load_dword v2, off, s[0:3], 0 offset:80
	buffer_load_dword v4, v26, s[0:3], 0 offen offset:32
	buffer_load_dword v5, v26, s[0:3], 0 offen offset:36
	;; [unrolled: 1-line block ×4, first 2 shown]
	s_waitcnt vmcnt(6) lgkmcnt(0)
	v_mul_f64 v[16:17], v[12:13], v[0:1]
	v_mul_f64 v[0:1], v[10:11], v[0:1]
	s_waitcnt vmcnt(4)
	v_fma_f64 v[10:11], v[10:11], v[2:3], -v[16:17]
	v_fma_f64 v[0:1], v[12:13], v[2:3], v[0:1]
	v_add_f64 v[2:3], v[20:21], -v[10:11]
	v_add_f64 v[0:1], v[22:23], -v[0:1]
	buffer_store_dword v3, v26, s[0:3], 0 offen offset:20
	buffer_store_dword v2, v26, s[0:3], 0 offen offset:16
	;; [unrolled: 1-line block ×4, first 2 shown]
	buffer_load_dword v16, off, s[0:3], 0 offset:88
	buffer_load_dword v17, off, s[0:3], 0 offset:92
	;; [unrolled: 1-line block ×4, first 2 shown]
	ds_read2_b64 v[0:3], v27 offset0:4 offset1:5
	ds_read2_b64 v[10:13], v27 offset0:6 offset1:7
	s_waitcnt vmcnt(2) lgkmcnt(1)
	v_mul_f64 v[20:21], v[2:3], v[16:17]
	v_mul_f64 v[16:17], v[0:1], v[16:17]
	s_waitcnt vmcnt(0)
	v_fma_f64 v[0:1], v[0:1], v[18:19], -v[20:21]
	v_fma_f64 v[2:3], v[2:3], v[18:19], v[16:17]
	v_add_f64 v[0:1], v[4:5], -v[0:1]
	v_add_f64 v[2:3], v[14:15], -v[2:3]
	buffer_store_dword v1, v26, s[0:3], 0 offen offset:36
	buffer_store_dword v0, v26, s[0:3], 0 offen offset:32
	;; [unrolled: 1-line block ×4, first 2 shown]
	buffer_load_dword v0, off, s[0:3], 0 offset:88
	s_nop 0
	buffer_load_dword v1, off, s[0:3], 0 offset:92
	buffer_load_dword v2, off, s[0:3], 0 offset:80
	;; [unrolled: 1-line block ×3, first 2 shown]
	buffer_load_dword v4, v26, s[0:3], 0 offen offset:48
	buffer_load_dword v5, v26, s[0:3], 0 offen offset:52
	;; [unrolled: 1-line block ×4, first 2 shown]
	s_waitcnt vmcnt(6) lgkmcnt(0)
	v_mul_f64 v[16:17], v[12:13], v[0:1]
	v_mul_f64 v[0:1], v[10:11], v[0:1]
	s_waitcnt vmcnt(4)
	v_fma_f64 v[10:11], v[10:11], v[2:3], -v[16:17]
	v_fma_f64 v[0:1], v[12:13], v[2:3], v[0:1]
	s_waitcnt vmcnt(2)
	v_add_f64 v[2:3], v[4:5], -v[10:11]
	s_waitcnt vmcnt(0)
	v_add_f64 v[0:1], v[14:15], -v[0:1]
	buffer_store_dword v3, v26, s[0:3], 0 offen offset:52
	buffer_store_dword v2, v26, s[0:3], 0 offen offset:48
	;; [unrolled: 1-line block ×4, first 2 shown]
	buffer_load_dword v4, off, s[0:3], 0 offset:88
	buffer_load_dword v5, off, s[0:3], 0 offset:92
	;; [unrolled: 1-line block ×4, first 2 shown]
	buffer_load_dword v12, v26, s[0:3], 0 offen offset:64
	buffer_load_dword v13, v26, s[0:3], 0 offen offset:68
	buffer_load_dword v14, v26, s[0:3], 0 offen offset:72
	buffer_load_dword v15, v26, s[0:3], 0 offen offset:76
	ds_read2_b64 v[0:3], v27 offset0:8 offset1:9
	s_waitcnt vmcnt(6) lgkmcnt(0)
	v_mul_f64 v[16:17], v[2:3], v[4:5]
	v_mul_f64 v[4:5], v[0:1], v[4:5]
	s_waitcnt vmcnt(4)
	v_fma_f64 v[0:1], v[0:1], v[10:11], -v[16:17]
	v_fma_f64 v[2:3], v[2:3], v[10:11], v[4:5]
	s_waitcnt vmcnt(2)
	v_add_f64 v[0:1], v[12:13], -v[0:1]
	s_waitcnt vmcnt(0)
	v_add_f64 v[2:3], v[14:15], -v[2:3]
	buffer_store_dword v1, v26, s[0:3], 0 offen offset:68
	buffer_store_dword v0, v26, s[0:3], 0 offen offset:64
	buffer_store_dword v3, v26, s[0:3], 0 offen offset:76
	buffer_store_dword v2, v26, s[0:3], 0 offen offset:72
	s_cbranch_scc1 .LBB120_146
.LBB120_147:
	s_or_b64 exec, exec, s[4:5]
	v_mov_b32_e32 v3, s57
	s_waitcnt vmcnt(0)
	s_barrier
	buffer_load_dword v0, v3, s[0:3], 0 offen
	buffer_load_dword v1, v3, s[0:3], 0 offen offset:4
	buffer_load_dword v2, v3, s[0:3], 0 offen offset:8
	s_nop 0
	buffer_load_dword v3, v3, s[0:3], 0 offen offset:12
	v_lshl_add_u32 v4, v43, 4, v40
	s_cmp_lt_i32 s64, 8
	s_waitcnt vmcnt(0)
	ds_write2_b64 v4, v[0:1], v[2:3] offset1:1
	s_waitcnt lgkmcnt(0)
	s_barrier
	ds_read2_b64 v[0:3], v40 offset0:12 offset1:13
	v_mov_b32_e32 v4, 6
	s_cbranch_scc1 .LBB120_150
; %bb.148:
	v_add_u32_e32 v5, 0x70, v40
	s_mov_b32 s16, 7
	v_mov_b32_e32 v4, 6
.LBB120_149:                            ; =>This Inner Loop Header: Depth=1
	s_waitcnt lgkmcnt(0)
	v_cmp_gt_f64_e32 vcc, 0, v[2:3]
	v_cmp_gt_f64_e64 s[4:5], 0, v[0:1]
	ds_read2_b64 v[10:13], v5 offset1:1
	v_xor_b32_e32 v15, 0x80000000, v1
	v_xor_b32_e32 v17, 0x80000000, v3
	v_mov_b32_e32 v14, v0
	v_mov_b32_e32 v16, v2
	s_waitcnt lgkmcnt(0)
	v_xor_b32_e32 v19, 0x80000000, v13
	v_cndmask_b32_e32 v17, v3, v17, vcc
	v_cndmask_b32_e64 v15, v1, v15, s[4:5]
	v_cmp_gt_f64_e32 vcc, 0, v[12:13]
	v_cmp_gt_f64_e64 s[4:5], 0, v[10:11]
	v_add_f64 v[14:15], v[14:15], v[16:17]
	v_xor_b32_e32 v17, 0x80000000, v11
	v_mov_b32_e32 v16, v10
	v_mov_b32_e32 v18, v12
	v_add_u32_e32 v5, 16, v5
	v_cndmask_b32_e32 v19, v13, v19, vcc
	v_cndmask_b32_e64 v17, v11, v17, s[4:5]
	v_add_f64 v[16:17], v[16:17], v[18:19]
	v_mov_b32_e32 v18, s16
	s_add_i32 s16, s16, 1
	s_cmp_lg_u32 s64, s16
	v_cmp_lt_f64_e32 vcc, v[14:15], v[16:17]
	v_cndmask_b32_e32 v1, v1, v11, vcc
	v_cndmask_b32_e32 v0, v0, v10, vcc
	;; [unrolled: 1-line block ×5, first 2 shown]
	s_cbranch_scc1 .LBB120_149
.LBB120_150:
	s_waitcnt lgkmcnt(0)
	v_cmp_eq_f64_e32 vcc, 0, v[0:1]
	v_cmp_eq_f64_e64 s[4:5], 0, v[2:3]
	s_and_b64 s[4:5], vcc, s[4:5]
	s_and_saveexec_b64 s[16:17], s[4:5]
	s_xor_b64 s[4:5], exec, s[16:17]
; %bb.151:
	v_cmp_ne_u32_e32 vcc, 0, v41
	v_cndmask_b32_e32 v41, 7, v41, vcc
; %bb.152:
	s_andn2_saveexec_b64 s[4:5], s[4:5]
	s_cbranch_execz .LBB120_158
; %bb.153:
	v_cmp_ngt_f64_e64 s[16:17], |v[0:1]|, |v[2:3]|
	s_and_saveexec_b64 s[18:19], s[16:17]
	s_xor_b64 s[18:19], exec, s[18:19]
	s_cbranch_execz .LBB120_155
; %bb.154:
	v_div_scale_f64 v[10:11], s[16:17], v[2:3], v[2:3], v[0:1]
	v_rcp_f64_e32 v[12:13], v[10:11]
	v_fma_f64 v[14:15], -v[10:11], v[12:13], 1.0
	v_fma_f64 v[12:13], v[12:13], v[14:15], v[12:13]
	v_div_scale_f64 v[14:15], vcc, v[0:1], v[2:3], v[0:1]
	v_fma_f64 v[16:17], -v[10:11], v[12:13], 1.0
	v_fma_f64 v[12:13], v[12:13], v[16:17], v[12:13]
	v_mul_f64 v[16:17], v[14:15], v[12:13]
	v_fma_f64 v[10:11], -v[10:11], v[16:17], v[14:15]
	v_div_fmas_f64 v[10:11], v[10:11], v[12:13], v[16:17]
	v_div_fixup_f64 v[10:11], v[10:11], v[2:3], v[0:1]
	v_fma_f64 v[0:1], v[0:1], v[10:11], v[2:3]
	v_div_scale_f64 v[2:3], s[16:17], v[0:1], v[0:1], 1.0
	v_div_scale_f64 v[16:17], vcc, 1.0, v[0:1], 1.0
	v_rcp_f64_e32 v[12:13], v[2:3]
	v_fma_f64 v[14:15], -v[2:3], v[12:13], 1.0
	v_fma_f64 v[12:13], v[12:13], v[14:15], v[12:13]
	v_fma_f64 v[14:15], -v[2:3], v[12:13], 1.0
	v_fma_f64 v[12:13], v[12:13], v[14:15], v[12:13]
	v_mul_f64 v[14:15], v[16:17], v[12:13]
	v_fma_f64 v[2:3], -v[2:3], v[14:15], v[16:17]
	v_div_fmas_f64 v[2:3], v[2:3], v[12:13], v[14:15]
	v_div_fixup_f64 v[2:3], v[2:3], v[0:1], 1.0
	v_mul_f64 v[0:1], v[10:11], v[2:3]
	v_xor_b32_e32 v3, 0x80000000, v3
.LBB120_155:
	s_andn2_saveexec_b64 s[18:19], s[18:19]
	s_cbranch_execz .LBB120_157
; %bb.156:
	v_div_scale_f64 v[10:11], s[16:17], v[0:1], v[0:1], v[2:3]
	v_rcp_f64_e32 v[12:13], v[10:11]
	v_fma_f64 v[14:15], -v[10:11], v[12:13], 1.0
	v_fma_f64 v[12:13], v[12:13], v[14:15], v[12:13]
	v_div_scale_f64 v[14:15], vcc, v[2:3], v[0:1], v[2:3]
	v_fma_f64 v[16:17], -v[10:11], v[12:13], 1.0
	v_fma_f64 v[12:13], v[12:13], v[16:17], v[12:13]
	v_mul_f64 v[16:17], v[14:15], v[12:13]
	v_fma_f64 v[10:11], -v[10:11], v[16:17], v[14:15]
	v_div_fmas_f64 v[10:11], v[10:11], v[12:13], v[16:17]
	v_div_fixup_f64 v[10:11], v[10:11], v[0:1], v[2:3]
	v_fma_f64 v[0:1], v[2:3], v[10:11], v[0:1]
	v_div_scale_f64 v[2:3], s[16:17], v[0:1], v[0:1], 1.0
	v_div_scale_f64 v[16:17], vcc, 1.0, v[0:1], 1.0
	v_rcp_f64_e32 v[12:13], v[2:3]
	v_fma_f64 v[14:15], -v[2:3], v[12:13], 1.0
	v_fma_f64 v[12:13], v[12:13], v[14:15], v[12:13]
	v_fma_f64 v[14:15], -v[2:3], v[12:13], 1.0
	v_fma_f64 v[12:13], v[12:13], v[14:15], v[12:13]
	v_mul_f64 v[14:15], v[16:17], v[12:13]
	v_fma_f64 v[2:3], -v[2:3], v[14:15], v[16:17]
	v_div_fmas_f64 v[2:3], v[2:3], v[12:13], v[14:15]
	v_div_fixup_f64 v[0:1], v[2:3], v[0:1], 1.0
	v_mul_f64 v[2:3], v[10:11], -v[0:1]
.LBB120_157:
	s_or_b64 exec, exec, s[18:19]
.LBB120_158:
	s_or_b64 exec, exec, s[4:5]
	v_cmp_ne_u32_e32 vcc, v43, v4
	s_and_saveexec_b64 s[4:5], vcc
	s_xor_b64 s[4:5], exec, s[4:5]
	s_cbranch_execz .LBB120_164
; %bb.159:
	v_cmp_eq_u32_e32 vcc, 6, v43
	s_and_saveexec_b64 s[18:19], vcc
	s_cbranch_execz .LBB120_163
; %bb.160:
	v_cmp_ne_u32_e32 vcc, 6, v4
	s_xor_b64 s[16:17], s[22:23], -1
	s_and_b64 s[16:17], s[16:17], vcc
	s_and_saveexec_b64 s[24:25], s[16:17]
	s_cbranch_execz .LBB120_162
; %bb.161:
	v_ashrrev_i32_e32 v5, 31, v4
	v_lshlrev_b64 v[10:11], 2, v[4:5]
	v_add_co_u32_e32 v10, vcc, v8, v10
	v_addc_co_u32_e32 v11, vcc, v9, v11, vcc
	global_load_dword v5, v[10:11], off
	global_load_dword v12, v[8:9], off offset:24
	s_waitcnt vmcnt(1)
	global_store_dword v[8:9], v5, off offset:24
	s_waitcnt vmcnt(1)
	global_store_dword v[10:11], v12, off
.LBB120_162:
	s_or_b64 exec, exec, s[24:25]
	v_mov_b32_e32 v43, v4
	v_mov_b32_e32 v42, v4
.LBB120_163:
	s_or_b64 exec, exec, s[18:19]
.LBB120_164:
	s_andn2_saveexec_b64 s[4:5], s[4:5]
	s_cbranch_execz .LBB120_168
; %bb.165:
	s_movk_i32 s18, 0x70
.LBB120_166:                            ; =>This Inner Loop Header: Depth=1
	v_mov_b32_e32 v24, s18
	buffer_load_dword v4, v24, s[0:3], 0 offen
	buffer_load_dword v5, v24, s[0:3], 0 offen offset:4
	buffer_load_dword v10, v24, s[0:3], 0 offen offset:8
	;; [unrolled: 1-line block ×15, first 2 shown]
	v_add_u32_e32 v25, s18, v40
	s_addk_i32 s18, 0x120
	s_cmpk_eq_i32 s18, 0x3d0
	s_waitcnt vmcnt(12)
	ds_write2_b64 v25, v[4:5], v[10:11] offset1:1
	s_waitcnt vmcnt(8)
	ds_write2_b64 v25, v[12:13], v[14:15] offset0:2 offset1:3
	s_waitcnt vmcnt(4)
	ds_write2_b64 v25, v[16:17], v[18:19] offset0:4 offset1:5
	s_waitcnt vmcnt(0)
	ds_write2_b64 v25, v[20:21], v[22:23] offset0:6 offset1:7
	buffer_load_dword v5, v24, s[0:3], 0 offen offset:76
	buffer_load_dword v4, v24, s[0:3], 0 offen offset:72
	buffer_load_dword v11, v24, s[0:3], 0 offen offset:68
	buffer_load_dword v10, v24, s[0:3], 0 offen offset:64
	s_waitcnt vmcnt(0)
	ds_write2_b64 v25, v[10:11], v[4:5] offset0:8 offset1:9
	buffer_load_dword v5, v24, s[0:3], 0 offen offset:92
	buffer_load_dword v4, v24, s[0:3], 0 offen offset:88
	buffer_load_dword v11, v24, s[0:3], 0 offen offset:84
	buffer_load_dword v10, v24, s[0:3], 0 offen offset:80
	s_waitcnt vmcnt(0)
	ds_write2_b64 v25, v[10:11], v[4:5] offset0:10 offset1:11
	;; [unrolled: 6-line block ×14, first 2 shown]
	s_cbranch_scc0 .LBB120_166
; %bb.167:
	v_mov_b32_e32 v43, 6
.LBB120_168:
	s_or_b64 exec, exec, s[4:5]
	v_cmp_lt_i32_e32 vcc, 6, v43
	s_waitcnt vmcnt(0) lgkmcnt(0)
	s_barrier
	s_and_saveexec_b64 s[4:5], vcc
	s_cbranch_execz .LBB120_171
; %bb.169:
	buffer_load_dword v4, off, s[0:3], 0 offset:104
	buffer_load_dword v5, off, s[0:3], 0 offset:108
	buffer_load_dword v10, off, s[0:3], 0 offset:96
	buffer_load_dword v11, off, s[0:3], 0 offset:100
	s_movk_i32 s18, 0x70
	s_waitcnt vmcnt(2)
	v_mul_f64 v[12:13], v[2:3], v[4:5]
	v_mul_f64 v[4:5], v[0:1], v[4:5]
	s_waitcnt vmcnt(0)
	v_fma_f64 v[0:1], v[0:1], v[10:11], -v[12:13]
	v_fma_f64 v[2:3], v[2:3], v[10:11], v[4:5]
	buffer_store_dword v0, off, s[0:3], 0 offset:96
	buffer_store_dword v1, off, s[0:3], 0 offset:100
	;; [unrolled: 1-line block ×4, first 2 shown]
.LBB120_170:                            ; =>This Inner Loop Header: Depth=1
	buffer_load_dword v4, off, s[0:3], 0 offset:104
	buffer_load_dword v5, off, s[0:3], 0 offset:108
	buffer_load_dword v14, off, s[0:3], 0 offset:96
	buffer_load_dword v15, off, s[0:3], 0 offset:100
	v_mov_b32_e32 v26, s18
	buffer_load_dword v16, v26, s[0:3], 0 offen
	buffer_load_dword v17, v26, s[0:3], 0 offen offset:4
	buffer_load_dword v18, v26, s[0:3], 0 offen offset:8
	;; [unrolled: 1-line block ×3, first 2 shown]
	v_add_u32_e32 v27, s18, v40
	ds_read2_b64 v[0:3], v27 offset1:1
	buffer_load_dword v20, v26, s[0:3], 0 offen offset:16
	buffer_load_dword v21, v26, s[0:3], 0 offen offset:20
	;; [unrolled: 1-line block ×4, first 2 shown]
	ds_read2_b64 v[10:13], v27 offset0:2 offset1:3
	s_addk_i32 s18, 0x60
	s_cmpk_lg_i32 s18, 0x3d0
	s_waitcnt vmcnt(10) lgkmcnt(1)
	v_mul_f64 v[24:25], v[2:3], v[4:5]
	v_mul_f64 v[4:5], v[0:1], v[4:5]
	s_waitcnt vmcnt(8)
	v_fma_f64 v[0:1], v[0:1], v[14:15], -v[24:25]
	v_fma_f64 v[2:3], v[2:3], v[14:15], v[4:5]
	s_waitcnt vmcnt(6)
	v_add_f64 v[0:1], v[16:17], -v[0:1]
	s_waitcnt vmcnt(4)
	v_add_f64 v[2:3], v[18:19], -v[2:3]
	buffer_store_dword v1, v26, s[0:3], 0 offen offset:4
	buffer_store_dword v0, v26, s[0:3], 0 offen
	buffer_store_dword v3, v26, s[0:3], 0 offen offset:12
	buffer_store_dword v2, v26, s[0:3], 0 offen offset:8
	buffer_load_dword v1, off, s[0:3], 0 offset:108
	s_nop 0
	buffer_load_dword v0, off, s[0:3], 0 offset:104
	buffer_load_dword v3, off, s[0:3], 0 offset:100
	;; [unrolled: 1-line block ×3, first 2 shown]
	buffer_load_dword v4, v26, s[0:3], 0 offen offset:32
	buffer_load_dword v5, v26, s[0:3], 0 offen offset:36
	;; [unrolled: 1-line block ×4, first 2 shown]
	s_waitcnt vmcnt(6) lgkmcnt(0)
	v_mul_f64 v[16:17], v[12:13], v[0:1]
	v_mul_f64 v[0:1], v[10:11], v[0:1]
	s_waitcnt vmcnt(4)
	v_fma_f64 v[10:11], v[10:11], v[2:3], -v[16:17]
	v_fma_f64 v[0:1], v[12:13], v[2:3], v[0:1]
	v_add_f64 v[2:3], v[20:21], -v[10:11]
	v_add_f64 v[0:1], v[22:23], -v[0:1]
	buffer_store_dword v3, v26, s[0:3], 0 offen offset:20
	buffer_store_dword v2, v26, s[0:3], 0 offen offset:16
	;; [unrolled: 1-line block ×4, first 2 shown]
	buffer_load_dword v16, off, s[0:3], 0 offset:104
	buffer_load_dword v17, off, s[0:3], 0 offset:108
	;; [unrolled: 1-line block ×4, first 2 shown]
	ds_read2_b64 v[0:3], v27 offset0:4 offset1:5
	ds_read2_b64 v[10:13], v27 offset0:6 offset1:7
	s_waitcnt vmcnt(2) lgkmcnt(1)
	v_mul_f64 v[20:21], v[2:3], v[16:17]
	v_mul_f64 v[16:17], v[0:1], v[16:17]
	s_waitcnt vmcnt(0)
	v_fma_f64 v[0:1], v[0:1], v[18:19], -v[20:21]
	v_fma_f64 v[2:3], v[2:3], v[18:19], v[16:17]
	v_add_f64 v[0:1], v[4:5], -v[0:1]
	v_add_f64 v[2:3], v[14:15], -v[2:3]
	buffer_store_dword v1, v26, s[0:3], 0 offen offset:36
	buffer_store_dword v0, v26, s[0:3], 0 offen offset:32
	buffer_store_dword v3, v26, s[0:3], 0 offen offset:44
	buffer_store_dword v2, v26, s[0:3], 0 offen offset:40
	buffer_load_dword v0, off, s[0:3], 0 offset:104
	s_nop 0
	buffer_load_dword v1, off, s[0:3], 0 offset:108
	buffer_load_dword v2, off, s[0:3], 0 offset:96
	;; [unrolled: 1-line block ×3, first 2 shown]
	buffer_load_dword v4, v26, s[0:3], 0 offen offset:48
	buffer_load_dword v5, v26, s[0:3], 0 offen offset:52
	;; [unrolled: 1-line block ×4, first 2 shown]
	s_waitcnt vmcnt(6) lgkmcnt(0)
	v_mul_f64 v[16:17], v[12:13], v[0:1]
	v_mul_f64 v[0:1], v[10:11], v[0:1]
	s_waitcnt vmcnt(4)
	v_fma_f64 v[10:11], v[10:11], v[2:3], -v[16:17]
	v_fma_f64 v[0:1], v[12:13], v[2:3], v[0:1]
	s_waitcnt vmcnt(2)
	v_add_f64 v[2:3], v[4:5], -v[10:11]
	s_waitcnt vmcnt(0)
	v_add_f64 v[0:1], v[14:15], -v[0:1]
	buffer_store_dword v3, v26, s[0:3], 0 offen offset:52
	buffer_store_dword v2, v26, s[0:3], 0 offen offset:48
	;; [unrolled: 1-line block ×4, first 2 shown]
	buffer_load_dword v4, off, s[0:3], 0 offset:104
	buffer_load_dword v5, off, s[0:3], 0 offset:108
	;; [unrolled: 1-line block ×4, first 2 shown]
	buffer_load_dword v16, v26, s[0:3], 0 offen offset:64
	buffer_load_dword v17, v26, s[0:3], 0 offen offset:68
	;; [unrolled: 1-line block ×4, first 2 shown]
	ds_read2_b64 v[0:3], v27 offset0:8 offset1:9
	ds_read2_b64 v[10:13], v27 offset0:10 offset1:11
	s_waitcnt vmcnt(6) lgkmcnt(1)
	v_mul_f64 v[20:21], v[2:3], v[4:5]
	v_mul_f64 v[4:5], v[0:1], v[4:5]
	s_waitcnt vmcnt(4)
	v_fma_f64 v[0:1], v[0:1], v[14:15], -v[20:21]
	v_fma_f64 v[2:3], v[2:3], v[14:15], v[4:5]
	s_waitcnt vmcnt(2)
	v_add_f64 v[0:1], v[16:17], -v[0:1]
	s_waitcnt vmcnt(0)
	v_add_f64 v[2:3], v[18:19], -v[2:3]
	buffer_store_dword v1, v26, s[0:3], 0 offen offset:68
	buffer_store_dword v0, v26, s[0:3], 0 offen offset:64
	;; [unrolled: 1-line block ×4, first 2 shown]
	buffer_load_dword v0, off, s[0:3], 0 offset:104
	s_nop 0
	buffer_load_dword v1, off, s[0:3], 0 offset:108
	buffer_load_dword v2, off, s[0:3], 0 offset:96
	;; [unrolled: 1-line block ×3, first 2 shown]
	buffer_load_dword v4, v26, s[0:3], 0 offen offset:80
	buffer_load_dword v5, v26, s[0:3], 0 offen offset:84
	;; [unrolled: 1-line block ×4, first 2 shown]
	s_waitcnt vmcnt(6) lgkmcnt(0)
	v_mul_f64 v[16:17], v[12:13], v[0:1]
	v_mul_f64 v[0:1], v[10:11], v[0:1]
	s_waitcnt vmcnt(4)
	v_fma_f64 v[10:11], v[10:11], v[2:3], -v[16:17]
	v_fma_f64 v[0:1], v[12:13], v[2:3], v[0:1]
	s_waitcnt vmcnt(2)
	v_add_f64 v[2:3], v[4:5], -v[10:11]
	s_waitcnt vmcnt(0)
	v_add_f64 v[0:1], v[14:15], -v[0:1]
	buffer_store_dword v3, v26, s[0:3], 0 offen offset:84
	buffer_store_dword v2, v26, s[0:3], 0 offen offset:80
	;; [unrolled: 1-line block ×4, first 2 shown]
	s_cbranch_scc1 .LBB120_170
.LBB120_171:
	s_or_b64 exec, exec, s[4:5]
	v_mov_b32_e32 v3, s9
	s_waitcnt vmcnt(0)
	s_barrier
	buffer_load_dword v0, v3, s[0:3], 0 offen
	buffer_load_dword v1, v3, s[0:3], 0 offen offset:4
	buffer_load_dword v2, v3, s[0:3], 0 offen offset:8
	s_nop 0
	buffer_load_dword v3, v3, s[0:3], 0 offen offset:12
	v_lshl_add_u32 v4, v43, 4, v40
	s_cmp_lt_i32 s64, 9
	s_waitcnt vmcnt(0)
	ds_write2_b64 v4, v[0:1], v[2:3] offset1:1
	s_waitcnt lgkmcnt(0)
	s_barrier
	ds_read2_b64 v[0:3], v40 offset0:14 offset1:15
	v_mov_b32_e32 v4, 7
	s_cbranch_scc1 .LBB120_174
; %bb.172:
	v_add_u32_e32 v5, 0x80, v40
	s_mov_b32 s16, 8
	v_mov_b32_e32 v4, 7
.LBB120_173:                            ; =>This Inner Loop Header: Depth=1
	s_waitcnt lgkmcnt(0)
	v_cmp_gt_f64_e32 vcc, 0, v[2:3]
	v_cmp_gt_f64_e64 s[4:5], 0, v[0:1]
	ds_read2_b64 v[10:13], v5 offset1:1
	v_xor_b32_e32 v15, 0x80000000, v1
	v_xor_b32_e32 v17, 0x80000000, v3
	v_mov_b32_e32 v14, v0
	v_mov_b32_e32 v16, v2
	s_waitcnt lgkmcnt(0)
	v_xor_b32_e32 v19, 0x80000000, v13
	v_cndmask_b32_e32 v17, v3, v17, vcc
	v_cndmask_b32_e64 v15, v1, v15, s[4:5]
	v_cmp_gt_f64_e32 vcc, 0, v[12:13]
	v_cmp_gt_f64_e64 s[4:5], 0, v[10:11]
	v_add_f64 v[14:15], v[14:15], v[16:17]
	v_xor_b32_e32 v17, 0x80000000, v11
	v_mov_b32_e32 v16, v10
	v_mov_b32_e32 v18, v12
	v_add_u32_e32 v5, 16, v5
	v_cndmask_b32_e32 v19, v13, v19, vcc
	v_cndmask_b32_e64 v17, v11, v17, s[4:5]
	v_add_f64 v[16:17], v[16:17], v[18:19]
	v_mov_b32_e32 v18, s16
	s_add_i32 s16, s16, 1
	s_cmp_lg_u32 s64, s16
	v_cmp_lt_f64_e32 vcc, v[14:15], v[16:17]
	v_cndmask_b32_e32 v1, v1, v11, vcc
	v_cndmask_b32_e32 v0, v0, v10, vcc
	;; [unrolled: 1-line block ×5, first 2 shown]
	s_cbranch_scc1 .LBB120_173
.LBB120_174:
	s_waitcnt lgkmcnt(0)
	v_cmp_eq_f64_e32 vcc, 0, v[0:1]
	v_cmp_eq_f64_e64 s[4:5], 0, v[2:3]
	s_and_b64 s[4:5], vcc, s[4:5]
	s_and_saveexec_b64 s[16:17], s[4:5]
	s_xor_b64 s[4:5], exec, s[16:17]
; %bb.175:
	v_cmp_ne_u32_e32 vcc, 0, v41
	v_cndmask_b32_e32 v41, 8, v41, vcc
; %bb.176:
	s_andn2_saveexec_b64 s[4:5], s[4:5]
	s_cbranch_execz .LBB120_182
; %bb.177:
	v_cmp_ngt_f64_e64 s[16:17], |v[0:1]|, |v[2:3]|
	s_and_saveexec_b64 s[18:19], s[16:17]
	s_xor_b64 s[18:19], exec, s[18:19]
	s_cbranch_execz .LBB120_179
; %bb.178:
	v_div_scale_f64 v[10:11], s[16:17], v[2:3], v[2:3], v[0:1]
	v_rcp_f64_e32 v[12:13], v[10:11]
	v_fma_f64 v[14:15], -v[10:11], v[12:13], 1.0
	v_fma_f64 v[12:13], v[12:13], v[14:15], v[12:13]
	v_div_scale_f64 v[14:15], vcc, v[0:1], v[2:3], v[0:1]
	v_fma_f64 v[16:17], -v[10:11], v[12:13], 1.0
	v_fma_f64 v[12:13], v[12:13], v[16:17], v[12:13]
	v_mul_f64 v[16:17], v[14:15], v[12:13]
	v_fma_f64 v[10:11], -v[10:11], v[16:17], v[14:15]
	v_div_fmas_f64 v[10:11], v[10:11], v[12:13], v[16:17]
	v_div_fixup_f64 v[10:11], v[10:11], v[2:3], v[0:1]
	v_fma_f64 v[0:1], v[0:1], v[10:11], v[2:3]
	v_div_scale_f64 v[2:3], s[16:17], v[0:1], v[0:1], 1.0
	v_div_scale_f64 v[16:17], vcc, 1.0, v[0:1], 1.0
	v_rcp_f64_e32 v[12:13], v[2:3]
	v_fma_f64 v[14:15], -v[2:3], v[12:13], 1.0
	v_fma_f64 v[12:13], v[12:13], v[14:15], v[12:13]
	v_fma_f64 v[14:15], -v[2:3], v[12:13], 1.0
	v_fma_f64 v[12:13], v[12:13], v[14:15], v[12:13]
	v_mul_f64 v[14:15], v[16:17], v[12:13]
	v_fma_f64 v[2:3], -v[2:3], v[14:15], v[16:17]
	v_div_fmas_f64 v[2:3], v[2:3], v[12:13], v[14:15]
	v_div_fixup_f64 v[2:3], v[2:3], v[0:1], 1.0
	v_mul_f64 v[0:1], v[10:11], v[2:3]
	v_xor_b32_e32 v3, 0x80000000, v3
.LBB120_179:
	s_andn2_saveexec_b64 s[18:19], s[18:19]
	s_cbranch_execz .LBB120_181
; %bb.180:
	v_div_scale_f64 v[10:11], s[16:17], v[0:1], v[0:1], v[2:3]
	v_rcp_f64_e32 v[12:13], v[10:11]
	v_fma_f64 v[14:15], -v[10:11], v[12:13], 1.0
	v_fma_f64 v[12:13], v[12:13], v[14:15], v[12:13]
	v_div_scale_f64 v[14:15], vcc, v[2:3], v[0:1], v[2:3]
	v_fma_f64 v[16:17], -v[10:11], v[12:13], 1.0
	v_fma_f64 v[12:13], v[12:13], v[16:17], v[12:13]
	v_mul_f64 v[16:17], v[14:15], v[12:13]
	v_fma_f64 v[10:11], -v[10:11], v[16:17], v[14:15]
	v_div_fmas_f64 v[10:11], v[10:11], v[12:13], v[16:17]
	v_div_fixup_f64 v[10:11], v[10:11], v[0:1], v[2:3]
	v_fma_f64 v[0:1], v[2:3], v[10:11], v[0:1]
	v_div_scale_f64 v[2:3], s[16:17], v[0:1], v[0:1], 1.0
	v_div_scale_f64 v[16:17], vcc, 1.0, v[0:1], 1.0
	v_rcp_f64_e32 v[12:13], v[2:3]
	v_fma_f64 v[14:15], -v[2:3], v[12:13], 1.0
	v_fma_f64 v[12:13], v[12:13], v[14:15], v[12:13]
	v_fma_f64 v[14:15], -v[2:3], v[12:13], 1.0
	v_fma_f64 v[12:13], v[12:13], v[14:15], v[12:13]
	v_mul_f64 v[14:15], v[16:17], v[12:13]
	v_fma_f64 v[2:3], -v[2:3], v[14:15], v[16:17]
	v_div_fmas_f64 v[2:3], v[2:3], v[12:13], v[14:15]
	v_div_fixup_f64 v[0:1], v[2:3], v[0:1], 1.0
	v_mul_f64 v[2:3], v[10:11], -v[0:1]
.LBB120_181:
	s_or_b64 exec, exec, s[18:19]
.LBB120_182:
	s_or_b64 exec, exec, s[4:5]
	v_cmp_ne_u32_e32 vcc, v43, v4
	s_and_saveexec_b64 s[4:5], vcc
	s_xor_b64 s[4:5], exec, s[4:5]
	s_cbranch_execz .LBB120_188
; %bb.183:
	v_cmp_eq_u32_e32 vcc, 7, v43
	s_and_saveexec_b64 s[18:19], vcc
	s_cbranch_execz .LBB120_187
; %bb.184:
	v_cmp_ne_u32_e32 vcc, 7, v4
	s_xor_b64 s[16:17], s[22:23], -1
	s_and_b64 s[16:17], s[16:17], vcc
	s_and_saveexec_b64 s[24:25], s[16:17]
	s_cbranch_execz .LBB120_186
; %bb.185:
	v_ashrrev_i32_e32 v5, 31, v4
	v_lshlrev_b64 v[10:11], 2, v[4:5]
	v_add_co_u32_e32 v10, vcc, v8, v10
	v_addc_co_u32_e32 v11, vcc, v9, v11, vcc
	global_load_dword v5, v[10:11], off
	global_load_dword v12, v[8:9], off offset:28
	s_waitcnt vmcnt(1)
	global_store_dword v[8:9], v5, off offset:28
	s_waitcnt vmcnt(1)
	global_store_dword v[10:11], v12, off
.LBB120_186:
	s_or_b64 exec, exec, s[24:25]
	v_mov_b32_e32 v43, v4
	v_mov_b32_e32 v42, v4
.LBB120_187:
	s_or_b64 exec, exec, s[18:19]
.LBB120_188:
	s_andn2_saveexec_b64 s[4:5], s[4:5]
	s_cbranch_execz .LBB120_194
; %bb.189:
	s_movk_i32 s16, 0x80
	s_branch .LBB120_191
.LBB120_190:                            ;   in Loop: Header=BB120_191 Depth=1
	s_andn2_b64 vcc, exec, s[18:19]
	s_cbranch_vccz .LBB120_193
.LBB120_191:                            ; =>This Inner Loop Header: Depth=1
	v_mov_b32_e32 v4, s16
	buffer_load_dword v10, v4, s[0:3], 0 offen
	buffer_load_dword v11, v4, s[0:3], 0 offen offset:4
	buffer_load_dword v12, v4, s[0:3], 0 offen offset:8
	;; [unrolled: 1-line block ×19, first 2 shown]
	s_mov_b32 s17, s16
	v_add_u32_e32 v4, s16, v40
	s_cmpk_eq_i32 s16, 0x380
	s_mov_b64 s[18:19], -1
	s_waitcnt vmcnt(16)
	ds_write2_b64 v4, v[10:11], v[12:13] offset1:1
	s_waitcnt vmcnt(12)
	ds_write2_b64 v4, v[14:15], v[16:17] offset0:2 offset1:3
	s_waitcnt vmcnt(8)
	ds_write2_b64 v4, v[18:19], v[20:21] offset0:4 offset1:5
	;; [unrolled: 2-line block ×4, first 2 shown]
	s_cbranch_scc1 .LBB120_190
; %bb.192:                              ;   in Loop: Header=BB120_191 Depth=1
	v_mov_b32_e32 v5, s17
	buffer_load_dword v10, v5, s[0:3], 0 offen offset:80
	buffer_load_dword v11, v5, s[0:3], 0 offen offset:84
	;; [unrolled: 1-line block ×12, first 2 shown]
	s_addk_i32 s16, 0x80
	s_mov_b64 s[18:19], 0
	s_waitcnt vmcnt(8)
	ds_write2_b64 v4, v[10:11], v[12:13] offset0:10 offset1:11
	s_waitcnt vmcnt(4)
	ds_write2_b64 v4, v[14:15], v[16:17] offset0:12 offset1:13
	;; [unrolled: 2-line block ×3, first 2 shown]
	s_branch .LBB120_190
.LBB120_193:
	v_mov_b32_e32 v43, 7
.LBB120_194:
	s_or_b64 exec, exec, s[4:5]
	v_cmp_lt_i32_e32 vcc, 7, v43
	s_waitcnt vmcnt(0) lgkmcnt(0)
	s_barrier
	s_and_saveexec_b64 s[4:5], vcc
	s_cbranch_execz .LBB120_199
; %bb.195:
	buffer_load_dword v4, off, s[0:3], 0 offset:120
	buffer_load_dword v5, off, s[0:3], 0 offset:124
	;; [unrolled: 1-line block ×4, first 2 shown]
	s_movk_i32 s24, 0x80
	s_waitcnt vmcnt(2)
	v_mul_f64 v[12:13], v[2:3], v[4:5]
	v_mul_f64 v[4:5], v[0:1], v[4:5]
	s_waitcnt vmcnt(0)
	v_fma_f64 v[0:1], v[0:1], v[10:11], -v[12:13]
	v_fma_f64 v[2:3], v[2:3], v[10:11], v[4:5]
	buffer_store_dword v0, off, s[0:3], 0 offset:112
	buffer_store_dword v1, off, s[0:3], 0 offset:116
	;; [unrolled: 1-line block ×4, first 2 shown]
	s_branch .LBB120_197
.LBB120_196:                            ;   in Loop: Header=BB120_197 Depth=1
	s_andn2_b64 vcc, exec, s[18:19]
	s_cbranch_vccz .LBB120_199
.LBB120_197:                            ; =>This Inner Loop Header: Depth=1
	v_mov_b32_e32 v5, s24
	buffer_load_dword v14, v5, s[0:3], 0 offen
	buffer_load_dword v15, v5, s[0:3], 0 offen offset:4
	buffer_load_dword v16, v5, s[0:3], 0 offen offset:8
	;; [unrolled: 1-line block ×3, first 2 shown]
	v_add_u32_e32 v4, s24, v40
	ds_read2_b64 v[10:13], v4 offset1:1
	s_mov_b32 s16, s24
	s_cmpk_eq_i32 s24, 0x3c0
	s_mov_b64 s[18:19], -1
	s_waitcnt vmcnt(4) lgkmcnt(0)
	v_mul_f64 v[18:19], v[12:13], v[2:3]
	v_mul_f64 v[2:3], v[10:11], v[2:3]
	v_fma_f64 v[10:11], v[10:11], v[0:1], -v[18:19]
	v_fma_f64 v[0:1], v[12:13], v[0:1], v[2:3]
	s_waitcnt vmcnt(2)
	v_add_f64 v[2:3], v[14:15], -v[10:11]
	s_waitcnt vmcnt(0)
	v_add_f64 v[0:1], v[16:17], -v[0:1]
	buffer_store_dword v2, v5, s[0:3], 0 offen
	buffer_store_dword v3, v5, s[0:3], 0 offen offset:4
	buffer_store_dword v0, v5, s[0:3], 0 offen offset:8
	buffer_store_dword v1, v5, s[0:3], 0 offen offset:12
                                        ; implicit-def: $vgpr0_vgpr1
                                        ; implicit-def: $vgpr2_vgpr3
	s_cbranch_scc1 .LBB120_196
; %bb.198:                              ;   in Loop: Header=BB120_197 Depth=1
	buffer_load_dword v14, off, s[0:3], 0 offset:120
	buffer_load_dword v15, off, s[0:3], 0 offset:124
	;; [unrolled: 1-line block ×4, first 2 shown]
	v_mov_b32_e32 v24, s16
	buffer_load_dword v18, v24, s[0:3], 0 offen offset:16
	buffer_load_dword v19, v24, s[0:3], 0 offen offset:20
	;; [unrolled: 1-line block ×4, first 2 shown]
	ds_read2_b64 v[0:3], v4 offset0:2 offset1:3
	ds_read2_b64 v[10:13], v4 offset0:4 offset1:5
	s_add_i32 s24, s24, 64
	s_mov_b64 s[18:19], 0
	s_waitcnt vmcnt(6) lgkmcnt(1)
	v_mul_f64 v[22:23], v[2:3], v[14:15]
	v_mul_f64 v[14:15], v[0:1], v[14:15]
	s_waitcnt vmcnt(4)
	v_fma_f64 v[0:1], v[0:1], v[16:17], -v[22:23]
	v_fma_f64 v[2:3], v[2:3], v[16:17], v[14:15]
	s_waitcnt vmcnt(2)
	v_add_f64 v[0:1], v[18:19], -v[0:1]
	s_waitcnt vmcnt(0)
	v_add_f64 v[2:3], v[20:21], -v[2:3]
	buffer_store_dword v1, v24, s[0:3], 0 offen offset:20
	buffer_store_dword v0, v24, s[0:3], 0 offen offset:16
	;; [unrolled: 1-line block ×4, first 2 shown]
	buffer_load_dword v1, v24, s[0:3], 0 offen offset:36
	s_nop 0
	buffer_load_dword v2, v24, s[0:3], 0 offen offset:40
	buffer_load_dword v3, v24, s[0:3], 0 offen offset:44
	buffer_load_dword v15, off, s[0:3], 0 offset:124
	buffer_load_dword v14, off, s[0:3], 0 offset:120
	;; [unrolled: 1-line block ×4, first 2 shown]
	buffer_load_dword v0, v24, s[0:3], 0 offen offset:32
	s_waitcnt vmcnt(3) lgkmcnt(0)
	v_mul_f64 v[18:19], v[12:13], v[14:15]
	v_mul_f64 v[14:15], v[10:11], v[14:15]
	s_waitcnt vmcnt(1)
	v_fma_f64 v[10:11], v[10:11], v[16:17], -v[18:19]
	v_fma_f64 v[12:13], v[12:13], v[16:17], v[14:15]
	s_waitcnt vmcnt(0)
	v_add_f64 v[0:1], v[0:1], -v[10:11]
	v_add_f64 v[2:3], v[2:3], -v[12:13]
	buffer_store_dword v1, v24, s[0:3], 0 offen offset:36
	buffer_store_dword v0, v24, s[0:3], 0 offen offset:32
	buffer_store_dword v3, v24, s[0:3], 0 offen offset:44
	buffer_store_dword v2, v24, s[0:3], 0 offen offset:40
	buffer_load_dword v11, v24, s[0:3], 0 offen offset:52
	buffer_load_dword v12, v24, s[0:3], 0 offen offset:56
	;; [unrolled: 1-line block ×3, first 2 shown]
	buffer_load_dword v14, off, s[0:3], 0 offset:120
	buffer_load_dword v15, off, s[0:3], 0 offset:124
	;; [unrolled: 1-line block ×4, first 2 shown]
	buffer_load_dword v10, v24, s[0:3], 0 offen offset:48
	ds_read2_b64 v[0:3], v4 offset0:6 offset1:7
	s_waitcnt vmcnt(3) lgkmcnt(0)
	v_mul_f64 v[4:5], v[2:3], v[14:15]
	v_mul_f64 v[14:15], v[0:1], v[14:15]
	s_waitcnt vmcnt(1)
	v_fma_f64 v[0:1], v[0:1], v[16:17], -v[4:5]
	v_fma_f64 v[2:3], v[2:3], v[16:17], v[14:15]
	s_waitcnt vmcnt(0)
	v_add_f64 v[0:1], v[10:11], -v[0:1]
	v_add_f64 v[2:3], v[12:13], -v[2:3]
	buffer_store_dword v1, v24, s[0:3], 0 offen offset:52
	buffer_store_dword v0, v24, s[0:3], 0 offen offset:48
	;; [unrolled: 1-line block ×4, first 2 shown]
	buffer_load_dword v0, off, s[0:3], 0 offset:112
	s_nop 0
	buffer_load_dword v1, off, s[0:3], 0 offset:116
	buffer_load_dword v2, off, s[0:3], 0 offset:120
	;; [unrolled: 1-line block ×3, first 2 shown]
	s_branch .LBB120_196
.LBB120_199:
	s_or_b64 exec, exec, s[4:5]
	s_waitcnt vmcnt(0)
	v_mov_b32_e32 v3, s78
	s_barrier
	buffer_load_dword v0, v3, s[0:3], 0 offen
	buffer_load_dword v1, v3, s[0:3], 0 offen offset:4
	buffer_load_dword v2, v3, s[0:3], 0 offen offset:8
	s_nop 0
	buffer_load_dword v3, v3, s[0:3], 0 offen offset:12
	v_lshl_add_u32 v4, v43, 4, v40
	s_cmp_lt_i32 s64, 10
	s_waitcnt vmcnt(0)
	ds_write2_b64 v4, v[0:1], v[2:3] offset1:1
	s_waitcnt lgkmcnt(0)
	s_barrier
	ds_read2_b64 v[0:3], v40 offset0:16 offset1:17
	v_mov_b32_e32 v4, 8
	s_cbranch_scc1 .LBB120_202
; %bb.200:
	v_add_u32_e32 v5, 0x90, v40
	s_mov_b32 s16, 9
	v_mov_b32_e32 v4, 8
.LBB120_201:                            ; =>This Inner Loop Header: Depth=1
	s_waitcnt lgkmcnt(0)
	v_cmp_gt_f64_e32 vcc, 0, v[2:3]
	v_cmp_gt_f64_e64 s[4:5], 0, v[0:1]
	ds_read2_b64 v[10:13], v5 offset1:1
	v_xor_b32_e32 v15, 0x80000000, v1
	v_xor_b32_e32 v17, 0x80000000, v3
	v_mov_b32_e32 v14, v0
	v_mov_b32_e32 v16, v2
	s_waitcnt lgkmcnt(0)
	v_xor_b32_e32 v19, 0x80000000, v13
	v_cndmask_b32_e32 v17, v3, v17, vcc
	v_cndmask_b32_e64 v15, v1, v15, s[4:5]
	v_cmp_gt_f64_e32 vcc, 0, v[12:13]
	v_cmp_gt_f64_e64 s[4:5], 0, v[10:11]
	v_add_f64 v[14:15], v[14:15], v[16:17]
	v_xor_b32_e32 v17, 0x80000000, v11
	v_mov_b32_e32 v16, v10
	v_mov_b32_e32 v18, v12
	v_add_u32_e32 v5, 16, v5
	v_cndmask_b32_e32 v19, v13, v19, vcc
	v_cndmask_b32_e64 v17, v11, v17, s[4:5]
	v_add_f64 v[16:17], v[16:17], v[18:19]
	v_mov_b32_e32 v18, s16
	s_add_i32 s16, s16, 1
	s_cmp_lg_u32 s64, s16
	v_cmp_lt_f64_e32 vcc, v[14:15], v[16:17]
	v_cndmask_b32_e32 v1, v1, v11, vcc
	v_cndmask_b32_e32 v0, v0, v10, vcc
	;; [unrolled: 1-line block ×5, first 2 shown]
	s_cbranch_scc1 .LBB120_201
.LBB120_202:
	s_waitcnt lgkmcnt(0)
	v_cmp_eq_f64_e32 vcc, 0, v[0:1]
	v_cmp_eq_f64_e64 s[4:5], 0, v[2:3]
	s_and_b64 s[4:5], vcc, s[4:5]
	s_and_saveexec_b64 s[16:17], s[4:5]
	s_xor_b64 s[4:5], exec, s[16:17]
; %bb.203:
	v_cmp_ne_u32_e32 vcc, 0, v41
	v_cndmask_b32_e32 v41, 9, v41, vcc
; %bb.204:
	s_andn2_saveexec_b64 s[4:5], s[4:5]
	s_cbranch_execz .LBB120_210
; %bb.205:
	v_cmp_ngt_f64_e64 s[16:17], |v[0:1]|, |v[2:3]|
	s_and_saveexec_b64 s[18:19], s[16:17]
	s_xor_b64 s[18:19], exec, s[18:19]
	s_cbranch_execz .LBB120_207
; %bb.206:
	v_div_scale_f64 v[10:11], s[16:17], v[2:3], v[2:3], v[0:1]
	v_rcp_f64_e32 v[12:13], v[10:11]
	v_fma_f64 v[14:15], -v[10:11], v[12:13], 1.0
	v_fma_f64 v[12:13], v[12:13], v[14:15], v[12:13]
	v_div_scale_f64 v[14:15], vcc, v[0:1], v[2:3], v[0:1]
	v_fma_f64 v[16:17], -v[10:11], v[12:13], 1.0
	v_fma_f64 v[12:13], v[12:13], v[16:17], v[12:13]
	v_mul_f64 v[16:17], v[14:15], v[12:13]
	v_fma_f64 v[10:11], -v[10:11], v[16:17], v[14:15]
	v_div_fmas_f64 v[10:11], v[10:11], v[12:13], v[16:17]
	v_div_fixup_f64 v[10:11], v[10:11], v[2:3], v[0:1]
	v_fma_f64 v[0:1], v[0:1], v[10:11], v[2:3]
	v_div_scale_f64 v[2:3], s[16:17], v[0:1], v[0:1], 1.0
	v_div_scale_f64 v[16:17], vcc, 1.0, v[0:1], 1.0
	v_rcp_f64_e32 v[12:13], v[2:3]
	v_fma_f64 v[14:15], -v[2:3], v[12:13], 1.0
	v_fma_f64 v[12:13], v[12:13], v[14:15], v[12:13]
	v_fma_f64 v[14:15], -v[2:3], v[12:13], 1.0
	v_fma_f64 v[12:13], v[12:13], v[14:15], v[12:13]
	v_mul_f64 v[14:15], v[16:17], v[12:13]
	v_fma_f64 v[2:3], -v[2:3], v[14:15], v[16:17]
	v_div_fmas_f64 v[2:3], v[2:3], v[12:13], v[14:15]
	v_div_fixup_f64 v[2:3], v[2:3], v[0:1], 1.0
	v_mul_f64 v[0:1], v[10:11], v[2:3]
	v_xor_b32_e32 v3, 0x80000000, v3
.LBB120_207:
	s_andn2_saveexec_b64 s[18:19], s[18:19]
	s_cbranch_execz .LBB120_209
; %bb.208:
	v_div_scale_f64 v[10:11], s[16:17], v[0:1], v[0:1], v[2:3]
	v_rcp_f64_e32 v[12:13], v[10:11]
	v_fma_f64 v[14:15], -v[10:11], v[12:13], 1.0
	v_fma_f64 v[12:13], v[12:13], v[14:15], v[12:13]
	v_div_scale_f64 v[14:15], vcc, v[2:3], v[0:1], v[2:3]
	v_fma_f64 v[16:17], -v[10:11], v[12:13], 1.0
	v_fma_f64 v[12:13], v[12:13], v[16:17], v[12:13]
	v_mul_f64 v[16:17], v[14:15], v[12:13]
	v_fma_f64 v[10:11], -v[10:11], v[16:17], v[14:15]
	v_div_fmas_f64 v[10:11], v[10:11], v[12:13], v[16:17]
	v_div_fixup_f64 v[10:11], v[10:11], v[0:1], v[2:3]
	v_fma_f64 v[0:1], v[2:3], v[10:11], v[0:1]
	v_div_scale_f64 v[2:3], s[16:17], v[0:1], v[0:1], 1.0
	v_div_scale_f64 v[16:17], vcc, 1.0, v[0:1], 1.0
	v_rcp_f64_e32 v[12:13], v[2:3]
	v_fma_f64 v[14:15], -v[2:3], v[12:13], 1.0
	v_fma_f64 v[12:13], v[12:13], v[14:15], v[12:13]
	v_fma_f64 v[14:15], -v[2:3], v[12:13], 1.0
	v_fma_f64 v[12:13], v[12:13], v[14:15], v[12:13]
	v_mul_f64 v[14:15], v[16:17], v[12:13]
	v_fma_f64 v[2:3], -v[2:3], v[14:15], v[16:17]
	v_div_fmas_f64 v[2:3], v[2:3], v[12:13], v[14:15]
	v_div_fixup_f64 v[0:1], v[2:3], v[0:1], 1.0
	v_mul_f64 v[2:3], v[10:11], -v[0:1]
.LBB120_209:
	s_or_b64 exec, exec, s[18:19]
.LBB120_210:
	s_or_b64 exec, exec, s[4:5]
	v_cmp_ne_u32_e32 vcc, v43, v4
	s_and_saveexec_b64 s[4:5], vcc
	s_xor_b64 s[4:5], exec, s[4:5]
	s_cbranch_execz .LBB120_216
; %bb.211:
	v_cmp_eq_u32_e32 vcc, 8, v43
	s_and_saveexec_b64 s[18:19], vcc
	s_cbranch_execz .LBB120_215
; %bb.212:
	v_cmp_ne_u32_e32 vcc, 8, v4
	s_xor_b64 s[16:17], s[22:23], -1
	s_and_b64 s[16:17], s[16:17], vcc
	s_and_saveexec_b64 s[24:25], s[16:17]
	s_cbranch_execz .LBB120_214
; %bb.213:
	v_ashrrev_i32_e32 v5, 31, v4
	v_lshlrev_b64 v[10:11], 2, v[4:5]
	v_add_co_u32_e32 v10, vcc, v8, v10
	v_addc_co_u32_e32 v11, vcc, v9, v11, vcc
	global_load_dword v5, v[10:11], off
	global_load_dword v12, v[8:9], off offset:32
	s_waitcnt vmcnt(1)
	global_store_dword v[8:9], v5, off offset:32
	s_waitcnt vmcnt(1)
	global_store_dword v[10:11], v12, off
.LBB120_214:
	s_or_b64 exec, exec, s[24:25]
	v_mov_b32_e32 v43, v4
	v_mov_b32_e32 v42, v4
.LBB120_215:
	s_or_b64 exec, exec, s[18:19]
.LBB120_216:
	s_andn2_saveexec_b64 s[4:5], s[4:5]
	s_cbranch_execz .LBB120_220
; %bb.217:
	s_movk_i32 s16, 0x90
.LBB120_218:                            ; =>This Inner Loop Header: Depth=1
	v_mov_b32_e32 v24, s16
	buffer_load_dword v4, v24, s[0:3], 0 offen
	buffer_load_dword v5, v24, s[0:3], 0 offen offset:4
	buffer_load_dword v10, v24, s[0:3], 0 offen offset:8
	;; [unrolled: 1-line block ×15, first 2 shown]
	v_add_u32_e32 v25, s16, v40
	s_addk_i32 s16, 0xd0
	s_cmpk_eq_i32 s16, 0x3d0
	s_waitcnt vmcnt(12)
	ds_write2_b64 v25, v[4:5], v[10:11] offset1:1
	s_waitcnt vmcnt(8)
	ds_write2_b64 v25, v[12:13], v[14:15] offset0:2 offset1:3
	s_waitcnt vmcnt(4)
	ds_write2_b64 v25, v[16:17], v[18:19] offset0:4 offset1:5
	;; [unrolled: 2-line block ×3, first 2 shown]
	buffer_load_dword v5, v24, s[0:3], 0 offen offset:76
	buffer_load_dword v4, v24, s[0:3], 0 offen offset:72
	buffer_load_dword v11, v24, s[0:3], 0 offen offset:68
	buffer_load_dword v10, v24, s[0:3], 0 offen offset:64
	s_waitcnt vmcnt(0)
	ds_write2_b64 v25, v[10:11], v[4:5] offset0:8 offset1:9
	buffer_load_dword v5, v24, s[0:3], 0 offen offset:92
	buffer_load_dword v4, v24, s[0:3], 0 offen offset:88
	buffer_load_dword v11, v24, s[0:3], 0 offen offset:84
	buffer_load_dword v10, v24, s[0:3], 0 offen offset:80
	s_waitcnt vmcnt(0)
	ds_write2_b64 v25, v[10:11], v[4:5] offset0:10 offset1:11
	;; [unrolled: 6-line block ×9, first 2 shown]
	s_cbranch_scc0 .LBB120_218
; %bb.219:
	v_mov_b32_e32 v43, 8
.LBB120_220:
	s_or_b64 exec, exec, s[4:5]
	v_cmp_lt_i32_e32 vcc, 8, v43
	s_waitcnt vmcnt(0) lgkmcnt(0)
	s_barrier
	s_and_saveexec_b64 s[4:5], vcc
	s_cbranch_execz .LBB120_223
; %bb.221:
	buffer_load_dword v4, off, s[0:3], 0 offset:136
	buffer_load_dword v5, off, s[0:3], 0 offset:140
	;; [unrolled: 1-line block ×4, first 2 shown]
	s_movk_i32 s18, 0x90
	s_waitcnt vmcnt(2)
	v_mul_f64 v[12:13], v[2:3], v[4:5]
	v_mul_f64 v[4:5], v[0:1], v[4:5]
	s_waitcnt vmcnt(0)
	v_fma_f64 v[0:1], v[0:1], v[10:11], -v[12:13]
	v_fma_f64 v[2:3], v[2:3], v[10:11], v[4:5]
	buffer_store_dword v0, off, s[0:3], 0 offset:128
	buffer_store_dword v1, off, s[0:3], 0 offset:132
	;; [unrolled: 1-line block ×4, first 2 shown]
.LBB120_222:                            ; =>This Inner Loop Header: Depth=1
	buffer_load_dword v4, off, s[0:3], 0 offset:136
	buffer_load_dword v5, off, s[0:3], 0 offset:140
	;; [unrolled: 1-line block ×4, first 2 shown]
	v_mov_b32_e32 v26, s18
	buffer_load_dword v16, v26, s[0:3], 0 offen
	buffer_load_dword v17, v26, s[0:3], 0 offen offset:4
	buffer_load_dword v18, v26, s[0:3], 0 offen offset:8
	;; [unrolled: 1-line block ×3, first 2 shown]
	v_add_u32_e32 v27, s18, v40
	ds_read2_b64 v[0:3], v27 offset1:1
	buffer_load_dword v20, v26, s[0:3], 0 offen offset:16
	buffer_load_dword v21, v26, s[0:3], 0 offen offset:20
	;; [unrolled: 1-line block ×4, first 2 shown]
	ds_read2_b64 v[10:13], v27 offset0:2 offset1:3
	s_add_i32 s18, s18, 64
	s_cmpk_lg_i32 s18, 0x3d0
	s_waitcnt vmcnt(10) lgkmcnt(1)
	v_mul_f64 v[24:25], v[2:3], v[4:5]
	v_mul_f64 v[4:5], v[0:1], v[4:5]
	s_waitcnt vmcnt(8)
	v_fma_f64 v[0:1], v[0:1], v[14:15], -v[24:25]
	v_fma_f64 v[2:3], v[2:3], v[14:15], v[4:5]
	s_waitcnt vmcnt(6)
	v_add_f64 v[0:1], v[16:17], -v[0:1]
	s_waitcnt vmcnt(4)
	v_add_f64 v[2:3], v[18:19], -v[2:3]
	buffer_store_dword v1, v26, s[0:3], 0 offen offset:4
	buffer_store_dword v0, v26, s[0:3], 0 offen
	buffer_store_dword v3, v26, s[0:3], 0 offen offset:12
	buffer_store_dword v2, v26, s[0:3], 0 offen offset:8
	buffer_load_dword v1, off, s[0:3], 0 offset:140
	s_nop 0
	buffer_load_dword v0, off, s[0:3], 0 offset:136
	buffer_load_dword v3, off, s[0:3], 0 offset:132
	;; [unrolled: 1-line block ×3, first 2 shown]
	buffer_load_dword v4, v26, s[0:3], 0 offen offset:32
	buffer_load_dword v5, v26, s[0:3], 0 offen offset:36
	;; [unrolled: 1-line block ×4, first 2 shown]
	s_waitcnt vmcnt(6) lgkmcnt(0)
	v_mul_f64 v[16:17], v[12:13], v[0:1]
	v_mul_f64 v[0:1], v[10:11], v[0:1]
	s_waitcnt vmcnt(4)
	v_fma_f64 v[10:11], v[10:11], v[2:3], -v[16:17]
	v_fma_f64 v[0:1], v[12:13], v[2:3], v[0:1]
	v_add_f64 v[2:3], v[20:21], -v[10:11]
	v_add_f64 v[0:1], v[22:23], -v[0:1]
	buffer_store_dword v3, v26, s[0:3], 0 offen offset:20
	buffer_store_dword v2, v26, s[0:3], 0 offen offset:16
	;; [unrolled: 1-line block ×4, first 2 shown]
	buffer_load_dword v16, off, s[0:3], 0 offset:136
	buffer_load_dword v17, off, s[0:3], 0 offset:140
	;; [unrolled: 1-line block ×4, first 2 shown]
	ds_read2_b64 v[0:3], v27 offset0:4 offset1:5
	ds_read2_b64 v[10:13], v27 offset0:6 offset1:7
	s_waitcnt vmcnt(2) lgkmcnt(1)
	v_mul_f64 v[20:21], v[2:3], v[16:17]
	v_mul_f64 v[16:17], v[0:1], v[16:17]
	s_waitcnt vmcnt(0)
	v_fma_f64 v[0:1], v[0:1], v[18:19], -v[20:21]
	v_fma_f64 v[2:3], v[2:3], v[18:19], v[16:17]
	v_add_f64 v[0:1], v[4:5], -v[0:1]
	v_add_f64 v[2:3], v[14:15], -v[2:3]
	buffer_store_dword v1, v26, s[0:3], 0 offen offset:36
	buffer_store_dword v0, v26, s[0:3], 0 offen offset:32
	;; [unrolled: 1-line block ×4, first 2 shown]
	buffer_load_dword v0, off, s[0:3], 0 offset:136
	s_nop 0
	buffer_load_dword v1, off, s[0:3], 0 offset:140
	buffer_load_dword v2, off, s[0:3], 0 offset:128
	;; [unrolled: 1-line block ×3, first 2 shown]
	buffer_load_dword v4, v26, s[0:3], 0 offen offset:48
	buffer_load_dword v5, v26, s[0:3], 0 offen offset:52
	buffer_load_dword v14, v26, s[0:3], 0 offen offset:56
	buffer_load_dword v15, v26, s[0:3], 0 offen offset:60
	s_waitcnt vmcnt(6) lgkmcnt(0)
	v_mul_f64 v[16:17], v[12:13], v[0:1]
	v_mul_f64 v[0:1], v[10:11], v[0:1]
	s_waitcnt vmcnt(4)
	v_fma_f64 v[10:11], v[10:11], v[2:3], -v[16:17]
	v_fma_f64 v[0:1], v[12:13], v[2:3], v[0:1]
	s_waitcnt vmcnt(2)
	v_add_f64 v[2:3], v[4:5], -v[10:11]
	s_waitcnt vmcnt(0)
	v_add_f64 v[0:1], v[14:15], -v[0:1]
	buffer_store_dword v3, v26, s[0:3], 0 offen offset:52
	buffer_store_dword v2, v26, s[0:3], 0 offen offset:48
	;; [unrolled: 1-line block ×4, first 2 shown]
	s_cbranch_scc1 .LBB120_222
.LBB120_223:
	s_or_b64 exec, exec, s[4:5]
	v_mov_b32_e32 v3, s77
	s_waitcnt vmcnt(0)
	s_barrier
	buffer_load_dword v0, v3, s[0:3], 0 offen
	buffer_load_dword v1, v3, s[0:3], 0 offen offset:4
	buffer_load_dword v2, v3, s[0:3], 0 offen offset:8
	s_nop 0
	buffer_load_dword v3, v3, s[0:3], 0 offen offset:12
	v_lshl_add_u32 v4, v43, 4, v40
	s_cmp_lt_i32 s64, 11
	s_waitcnt vmcnt(0)
	ds_write2_b64 v4, v[0:1], v[2:3] offset1:1
	s_waitcnt lgkmcnt(0)
	s_barrier
	ds_read2_b64 v[0:3], v40 offset0:18 offset1:19
	v_mov_b32_e32 v4, 9
	s_cbranch_scc1 .LBB120_226
; %bb.224:
	v_add_u32_e32 v5, 0xa0, v40
	s_mov_b32 s16, 10
	v_mov_b32_e32 v4, 9
.LBB120_225:                            ; =>This Inner Loop Header: Depth=1
	s_waitcnt lgkmcnt(0)
	v_cmp_gt_f64_e32 vcc, 0, v[2:3]
	v_cmp_gt_f64_e64 s[4:5], 0, v[0:1]
	ds_read2_b64 v[10:13], v5 offset1:1
	v_xor_b32_e32 v15, 0x80000000, v1
	v_xor_b32_e32 v17, 0x80000000, v3
	v_mov_b32_e32 v14, v0
	v_mov_b32_e32 v16, v2
	s_waitcnt lgkmcnt(0)
	v_xor_b32_e32 v19, 0x80000000, v13
	v_cndmask_b32_e32 v17, v3, v17, vcc
	v_cndmask_b32_e64 v15, v1, v15, s[4:5]
	v_cmp_gt_f64_e32 vcc, 0, v[12:13]
	v_cmp_gt_f64_e64 s[4:5], 0, v[10:11]
	v_add_f64 v[14:15], v[14:15], v[16:17]
	v_xor_b32_e32 v17, 0x80000000, v11
	v_mov_b32_e32 v16, v10
	v_mov_b32_e32 v18, v12
	v_add_u32_e32 v5, 16, v5
	v_cndmask_b32_e32 v19, v13, v19, vcc
	v_cndmask_b32_e64 v17, v11, v17, s[4:5]
	v_add_f64 v[16:17], v[16:17], v[18:19]
	v_mov_b32_e32 v18, s16
	s_add_i32 s16, s16, 1
	s_cmp_lg_u32 s64, s16
	v_cmp_lt_f64_e32 vcc, v[14:15], v[16:17]
	v_cndmask_b32_e32 v1, v1, v11, vcc
	v_cndmask_b32_e32 v0, v0, v10, vcc
	;; [unrolled: 1-line block ×5, first 2 shown]
	s_cbranch_scc1 .LBB120_225
.LBB120_226:
	s_waitcnt lgkmcnt(0)
	v_cmp_eq_f64_e32 vcc, 0, v[0:1]
	v_cmp_eq_f64_e64 s[4:5], 0, v[2:3]
	s_and_b64 s[4:5], vcc, s[4:5]
	s_and_saveexec_b64 s[16:17], s[4:5]
	s_xor_b64 s[4:5], exec, s[16:17]
; %bb.227:
	v_cmp_ne_u32_e32 vcc, 0, v41
	v_cndmask_b32_e32 v41, 10, v41, vcc
; %bb.228:
	s_andn2_saveexec_b64 s[4:5], s[4:5]
	s_cbranch_execz .LBB120_234
; %bb.229:
	v_cmp_ngt_f64_e64 s[16:17], |v[0:1]|, |v[2:3]|
	s_and_saveexec_b64 s[18:19], s[16:17]
	s_xor_b64 s[18:19], exec, s[18:19]
	s_cbranch_execz .LBB120_231
; %bb.230:
	v_div_scale_f64 v[10:11], s[16:17], v[2:3], v[2:3], v[0:1]
	v_rcp_f64_e32 v[12:13], v[10:11]
	v_fma_f64 v[14:15], -v[10:11], v[12:13], 1.0
	v_fma_f64 v[12:13], v[12:13], v[14:15], v[12:13]
	v_div_scale_f64 v[14:15], vcc, v[0:1], v[2:3], v[0:1]
	v_fma_f64 v[16:17], -v[10:11], v[12:13], 1.0
	v_fma_f64 v[12:13], v[12:13], v[16:17], v[12:13]
	v_mul_f64 v[16:17], v[14:15], v[12:13]
	v_fma_f64 v[10:11], -v[10:11], v[16:17], v[14:15]
	v_div_fmas_f64 v[10:11], v[10:11], v[12:13], v[16:17]
	v_div_fixup_f64 v[10:11], v[10:11], v[2:3], v[0:1]
	v_fma_f64 v[0:1], v[0:1], v[10:11], v[2:3]
	v_div_scale_f64 v[2:3], s[16:17], v[0:1], v[0:1], 1.0
	v_div_scale_f64 v[16:17], vcc, 1.0, v[0:1], 1.0
	v_rcp_f64_e32 v[12:13], v[2:3]
	v_fma_f64 v[14:15], -v[2:3], v[12:13], 1.0
	v_fma_f64 v[12:13], v[12:13], v[14:15], v[12:13]
	v_fma_f64 v[14:15], -v[2:3], v[12:13], 1.0
	v_fma_f64 v[12:13], v[12:13], v[14:15], v[12:13]
	v_mul_f64 v[14:15], v[16:17], v[12:13]
	v_fma_f64 v[2:3], -v[2:3], v[14:15], v[16:17]
	v_div_fmas_f64 v[2:3], v[2:3], v[12:13], v[14:15]
	v_div_fixup_f64 v[2:3], v[2:3], v[0:1], 1.0
	v_mul_f64 v[0:1], v[10:11], v[2:3]
	v_xor_b32_e32 v3, 0x80000000, v3
.LBB120_231:
	s_andn2_saveexec_b64 s[18:19], s[18:19]
	s_cbranch_execz .LBB120_233
; %bb.232:
	v_div_scale_f64 v[10:11], s[16:17], v[0:1], v[0:1], v[2:3]
	v_rcp_f64_e32 v[12:13], v[10:11]
	v_fma_f64 v[14:15], -v[10:11], v[12:13], 1.0
	v_fma_f64 v[12:13], v[12:13], v[14:15], v[12:13]
	v_div_scale_f64 v[14:15], vcc, v[2:3], v[0:1], v[2:3]
	v_fma_f64 v[16:17], -v[10:11], v[12:13], 1.0
	v_fma_f64 v[12:13], v[12:13], v[16:17], v[12:13]
	v_mul_f64 v[16:17], v[14:15], v[12:13]
	v_fma_f64 v[10:11], -v[10:11], v[16:17], v[14:15]
	v_div_fmas_f64 v[10:11], v[10:11], v[12:13], v[16:17]
	v_div_fixup_f64 v[10:11], v[10:11], v[0:1], v[2:3]
	v_fma_f64 v[0:1], v[2:3], v[10:11], v[0:1]
	v_div_scale_f64 v[2:3], s[16:17], v[0:1], v[0:1], 1.0
	v_div_scale_f64 v[16:17], vcc, 1.0, v[0:1], 1.0
	v_rcp_f64_e32 v[12:13], v[2:3]
	v_fma_f64 v[14:15], -v[2:3], v[12:13], 1.0
	v_fma_f64 v[12:13], v[12:13], v[14:15], v[12:13]
	v_fma_f64 v[14:15], -v[2:3], v[12:13], 1.0
	v_fma_f64 v[12:13], v[12:13], v[14:15], v[12:13]
	v_mul_f64 v[14:15], v[16:17], v[12:13]
	v_fma_f64 v[2:3], -v[2:3], v[14:15], v[16:17]
	v_div_fmas_f64 v[2:3], v[2:3], v[12:13], v[14:15]
	v_div_fixup_f64 v[0:1], v[2:3], v[0:1], 1.0
	v_mul_f64 v[2:3], v[10:11], -v[0:1]
.LBB120_233:
	s_or_b64 exec, exec, s[18:19]
.LBB120_234:
	s_or_b64 exec, exec, s[4:5]
	v_cmp_ne_u32_e32 vcc, v43, v4
	s_and_saveexec_b64 s[4:5], vcc
	s_xor_b64 s[4:5], exec, s[4:5]
	s_cbranch_execz .LBB120_240
; %bb.235:
	v_cmp_eq_u32_e32 vcc, 9, v43
	s_and_saveexec_b64 s[18:19], vcc
	s_cbranch_execz .LBB120_239
; %bb.236:
	v_cmp_ne_u32_e32 vcc, 9, v4
	s_xor_b64 s[16:17], s[22:23], -1
	s_and_b64 s[16:17], s[16:17], vcc
	s_and_saveexec_b64 s[24:25], s[16:17]
	s_cbranch_execz .LBB120_238
; %bb.237:
	v_ashrrev_i32_e32 v5, 31, v4
	v_lshlrev_b64 v[10:11], 2, v[4:5]
	v_add_co_u32_e32 v10, vcc, v8, v10
	v_addc_co_u32_e32 v11, vcc, v9, v11, vcc
	global_load_dword v5, v[10:11], off
	global_load_dword v12, v[8:9], off offset:36
	s_waitcnt vmcnt(1)
	global_store_dword v[8:9], v5, off offset:36
	s_waitcnt vmcnt(1)
	global_store_dword v[10:11], v12, off
.LBB120_238:
	s_or_b64 exec, exec, s[24:25]
	v_mov_b32_e32 v43, v4
	v_mov_b32_e32 v42, v4
.LBB120_239:
	s_or_b64 exec, exec, s[18:19]
.LBB120_240:
	s_andn2_saveexec_b64 s[4:5], s[4:5]
	s_cbranch_execz .LBB120_244
; %bb.241:
	s_movk_i32 s18, 0xa0
.LBB120_242:                            ; =>This Inner Loop Header: Depth=1
	v_mov_b32_e32 v24, s18
	buffer_load_dword v4, v24, s[0:3], 0 offen
	buffer_load_dword v5, v24, s[0:3], 0 offen offset:4
	buffer_load_dword v10, v24, s[0:3], 0 offen offset:8
	;; [unrolled: 1-line block ×15, first 2 shown]
	v_add_u32_e32 v25, s18, v40
	s_addk_i32 s18, 0x110
	s_cmpk_eq_i32 s18, 0x3d0
	s_waitcnt vmcnt(12)
	ds_write2_b64 v25, v[4:5], v[10:11] offset1:1
	s_waitcnt vmcnt(8)
	ds_write2_b64 v25, v[12:13], v[14:15] offset0:2 offset1:3
	s_waitcnt vmcnt(4)
	ds_write2_b64 v25, v[16:17], v[18:19] offset0:4 offset1:5
	;; [unrolled: 2-line block ×3, first 2 shown]
	buffer_load_dword v5, v24, s[0:3], 0 offen offset:76
	buffer_load_dword v4, v24, s[0:3], 0 offen offset:72
	buffer_load_dword v11, v24, s[0:3], 0 offen offset:68
	buffer_load_dword v10, v24, s[0:3], 0 offen offset:64
	s_waitcnt vmcnt(0)
	ds_write2_b64 v25, v[10:11], v[4:5] offset0:8 offset1:9
	buffer_load_dword v5, v24, s[0:3], 0 offen offset:92
	buffer_load_dword v4, v24, s[0:3], 0 offen offset:88
	buffer_load_dword v11, v24, s[0:3], 0 offen offset:84
	buffer_load_dword v10, v24, s[0:3], 0 offen offset:80
	s_waitcnt vmcnt(0)
	ds_write2_b64 v25, v[10:11], v[4:5] offset0:10 offset1:11
	;; [unrolled: 6-line block ×13, first 2 shown]
	s_cbranch_scc0 .LBB120_242
; %bb.243:
	v_mov_b32_e32 v43, 9
.LBB120_244:
	s_or_b64 exec, exec, s[4:5]
	v_cmp_lt_i32_e32 vcc, 9, v43
	s_waitcnt vmcnt(0) lgkmcnt(0)
	s_barrier
	s_and_saveexec_b64 s[4:5], vcc
	s_cbranch_execz .LBB120_247
; %bb.245:
	buffer_load_dword v4, off, s[0:3], 0 offset:152
	buffer_load_dword v5, off, s[0:3], 0 offset:156
	;; [unrolled: 1-line block ×4, first 2 shown]
	s_movk_i32 s16, 0xa0
	s_waitcnt vmcnt(2)
	v_mul_f64 v[12:13], v[2:3], v[4:5]
	v_mul_f64 v[4:5], v[0:1], v[4:5]
	s_waitcnt vmcnt(0)
	v_fma_f64 v[0:1], v[0:1], v[10:11], -v[12:13]
	v_fma_f64 v[2:3], v[2:3], v[10:11], v[4:5]
	buffer_store_dword v0, off, s[0:3], 0 offset:144
	buffer_store_dword v1, off, s[0:3], 0 offset:148
	;; [unrolled: 1-line block ×4, first 2 shown]
.LBB120_246:                            ; =>This Inner Loop Header: Depth=1
	buffer_load_dword v4, off, s[0:3], 0 offset:152
	buffer_load_dword v5, off, s[0:3], 0 offset:156
	;; [unrolled: 1-line block ×4, first 2 shown]
	v_mov_b32_e32 v26, s16
	buffer_load_dword v16, v26, s[0:3], 0 offen
	buffer_load_dword v17, v26, s[0:3], 0 offen offset:4
	buffer_load_dword v18, v26, s[0:3], 0 offen offset:8
	;; [unrolled: 1-line block ×3, first 2 shown]
	v_add_u32_e32 v27, s16, v40
	ds_read2_b64 v[0:3], v27 offset1:1
	buffer_load_dword v20, v26, s[0:3], 0 offen offset:16
	buffer_load_dword v21, v26, s[0:3], 0 offen offset:20
	;; [unrolled: 1-line block ×4, first 2 shown]
	ds_read2_b64 v[10:13], v27 offset0:2 offset1:3
	s_add_i32 s16, s16, 48
	s_cmpk_lg_i32 s16, 0x3d0
	s_waitcnt vmcnt(10) lgkmcnt(1)
	v_mul_f64 v[24:25], v[2:3], v[4:5]
	v_mul_f64 v[4:5], v[0:1], v[4:5]
	s_waitcnt vmcnt(8)
	v_fma_f64 v[0:1], v[0:1], v[14:15], -v[24:25]
	v_fma_f64 v[2:3], v[2:3], v[14:15], v[4:5]
	s_waitcnt vmcnt(6)
	v_add_f64 v[0:1], v[16:17], -v[0:1]
	s_waitcnt vmcnt(4)
	v_add_f64 v[2:3], v[18:19], -v[2:3]
	buffer_store_dword v1, v26, s[0:3], 0 offen offset:4
	buffer_store_dword v0, v26, s[0:3], 0 offen
	buffer_store_dword v3, v26, s[0:3], 0 offen offset:12
	buffer_store_dword v2, v26, s[0:3], 0 offen offset:8
	buffer_load_dword v1, off, s[0:3], 0 offset:156
	s_nop 0
	buffer_load_dword v0, off, s[0:3], 0 offset:152
	buffer_load_dword v3, off, s[0:3], 0 offset:148
	buffer_load_dword v2, off, s[0:3], 0 offset:144
	buffer_load_dword v4, v26, s[0:3], 0 offen offset:32
	buffer_load_dword v5, v26, s[0:3], 0 offen offset:36
	;; [unrolled: 1-line block ×4, first 2 shown]
	s_waitcnt vmcnt(6) lgkmcnt(0)
	v_mul_f64 v[16:17], v[12:13], v[0:1]
	v_mul_f64 v[0:1], v[10:11], v[0:1]
	s_waitcnt vmcnt(4)
	v_fma_f64 v[10:11], v[10:11], v[2:3], -v[16:17]
	v_fma_f64 v[0:1], v[12:13], v[2:3], v[0:1]
	v_add_f64 v[2:3], v[20:21], -v[10:11]
	v_add_f64 v[0:1], v[22:23], -v[0:1]
	buffer_store_dword v3, v26, s[0:3], 0 offen offset:20
	buffer_store_dword v2, v26, s[0:3], 0 offen offset:16
	buffer_store_dword v1, v26, s[0:3], 0 offen offset:28
	buffer_store_dword v0, v26, s[0:3], 0 offen offset:24
	buffer_load_dword v10, off, s[0:3], 0 offset:152
	buffer_load_dword v11, off, s[0:3], 0 offset:156
	;; [unrolled: 1-line block ×4, first 2 shown]
	ds_read2_b64 v[0:3], v27 offset0:4 offset1:5
	s_waitcnt vmcnt(2) lgkmcnt(0)
	v_mul_f64 v[16:17], v[2:3], v[10:11]
	v_mul_f64 v[10:11], v[0:1], v[10:11]
	s_waitcnt vmcnt(0)
	v_fma_f64 v[0:1], v[0:1], v[12:13], -v[16:17]
	v_fma_f64 v[2:3], v[2:3], v[12:13], v[10:11]
	v_add_f64 v[0:1], v[4:5], -v[0:1]
	v_add_f64 v[2:3], v[14:15], -v[2:3]
	buffer_store_dword v1, v26, s[0:3], 0 offen offset:36
	buffer_store_dword v0, v26, s[0:3], 0 offen offset:32
	;; [unrolled: 1-line block ×4, first 2 shown]
	s_cbranch_scc1 .LBB120_246
.LBB120_247:
	s_or_b64 exec, exec, s[4:5]
	v_mov_b32_e32 v3, s76
	s_waitcnt vmcnt(0)
	s_barrier
	buffer_load_dword v0, v3, s[0:3], 0 offen
	buffer_load_dword v1, v3, s[0:3], 0 offen offset:4
	buffer_load_dword v2, v3, s[0:3], 0 offen offset:8
	s_nop 0
	buffer_load_dword v3, v3, s[0:3], 0 offen offset:12
	v_lshl_add_u32 v4, v43, 4, v40
	s_cmp_lt_i32 s64, 12
	s_waitcnt vmcnt(0)
	ds_write2_b64 v4, v[0:1], v[2:3] offset1:1
	s_waitcnt lgkmcnt(0)
	s_barrier
	ds_read2_b64 v[0:3], v40 offset0:20 offset1:21
	v_mov_b32_e32 v4, 10
	s_cbranch_scc1 .LBB120_250
; %bb.248:
	v_add_u32_e32 v5, 0xb0, v40
	s_mov_b32 s16, 11
	v_mov_b32_e32 v4, 10
.LBB120_249:                            ; =>This Inner Loop Header: Depth=1
	s_waitcnt lgkmcnt(0)
	v_cmp_gt_f64_e32 vcc, 0, v[2:3]
	v_cmp_gt_f64_e64 s[4:5], 0, v[0:1]
	ds_read2_b64 v[10:13], v5 offset1:1
	v_xor_b32_e32 v15, 0x80000000, v1
	v_xor_b32_e32 v17, 0x80000000, v3
	v_mov_b32_e32 v14, v0
	v_mov_b32_e32 v16, v2
	s_waitcnt lgkmcnt(0)
	v_xor_b32_e32 v19, 0x80000000, v13
	v_cndmask_b32_e32 v17, v3, v17, vcc
	v_cndmask_b32_e64 v15, v1, v15, s[4:5]
	v_cmp_gt_f64_e32 vcc, 0, v[12:13]
	v_cmp_gt_f64_e64 s[4:5], 0, v[10:11]
	v_add_f64 v[14:15], v[14:15], v[16:17]
	v_xor_b32_e32 v17, 0x80000000, v11
	v_mov_b32_e32 v16, v10
	v_mov_b32_e32 v18, v12
	v_add_u32_e32 v5, 16, v5
	v_cndmask_b32_e32 v19, v13, v19, vcc
	v_cndmask_b32_e64 v17, v11, v17, s[4:5]
	v_add_f64 v[16:17], v[16:17], v[18:19]
	v_mov_b32_e32 v18, s16
	s_add_i32 s16, s16, 1
	s_cmp_lg_u32 s64, s16
	v_cmp_lt_f64_e32 vcc, v[14:15], v[16:17]
	v_cndmask_b32_e32 v1, v1, v11, vcc
	v_cndmask_b32_e32 v0, v0, v10, vcc
	;; [unrolled: 1-line block ×5, first 2 shown]
	s_cbranch_scc1 .LBB120_249
.LBB120_250:
	s_waitcnt lgkmcnt(0)
	v_cmp_eq_f64_e32 vcc, 0, v[0:1]
	v_cmp_eq_f64_e64 s[4:5], 0, v[2:3]
	s_and_b64 s[4:5], vcc, s[4:5]
	s_and_saveexec_b64 s[16:17], s[4:5]
	s_xor_b64 s[4:5], exec, s[16:17]
; %bb.251:
	v_cmp_ne_u32_e32 vcc, 0, v41
	v_cndmask_b32_e32 v41, 11, v41, vcc
; %bb.252:
	s_andn2_saveexec_b64 s[4:5], s[4:5]
	s_cbranch_execz .LBB120_258
; %bb.253:
	v_cmp_ngt_f64_e64 s[16:17], |v[0:1]|, |v[2:3]|
	s_and_saveexec_b64 s[18:19], s[16:17]
	s_xor_b64 s[18:19], exec, s[18:19]
	s_cbranch_execz .LBB120_255
; %bb.254:
	v_div_scale_f64 v[10:11], s[16:17], v[2:3], v[2:3], v[0:1]
	v_rcp_f64_e32 v[12:13], v[10:11]
	v_fma_f64 v[14:15], -v[10:11], v[12:13], 1.0
	v_fma_f64 v[12:13], v[12:13], v[14:15], v[12:13]
	v_div_scale_f64 v[14:15], vcc, v[0:1], v[2:3], v[0:1]
	v_fma_f64 v[16:17], -v[10:11], v[12:13], 1.0
	v_fma_f64 v[12:13], v[12:13], v[16:17], v[12:13]
	v_mul_f64 v[16:17], v[14:15], v[12:13]
	v_fma_f64 v[10:11], -v[10:11], v[16:17], v[14:15]
	v_div_fmas_f64 v[10:11], v[10:11], v[12:13], v[16:17]
	v_div_fixup_f64 v[10:11], v[10:11], v[2:3], v[0:1]
	v_fma_f64 v[0:1], v[0:1], v[10:11], v[2:3]
	v_div_scale_f64 v[2:3], s[16:17], v[0:1], v[0:1], 1.0
	v_div_scale_f64 v[16:17], vcc, 1.0, v[0:1], 1.0
	v_rcp_f64_e32 v[12:13], v[2:3]
	v_fma_f64 v[14:15], -v[2:3], v[12:13], 1.0
	v_fma_f64 v[12:13], v[12:13], v[14:15], v[12:13]
	v_fma_f64 v[14:15], -v[2:3], v[12:13], 1.0
	v_fma_f64 v[12:13], v[12:13], v[14:15], v[12:13]
	v_mul_f64 v[14:15], v[16:17], v[12:13]
	v_fma_f64 v[2:3], -v[2:3], v[14:15], v[16:17]
	v_div_fmas_f64 v[2:3], v[2:3], v[12:13], v[14:15]
	v_div_fixup_f64 v[2:3], v[2:3], v[0:1], 1.0
	v_mul_f64 v[0:1], v[10:11], v[2:3]
	v_xor_b32_e32 v3, 0x80000000, v3
.LBB120_255:
	s_andn2_saveexec_b64 s[18:19], s[18:19]
	s_cbranch_execz .LBB120_257
; %bb.256:
	v_div_scale_f64 v[10:11], s[16:17], v[0:1], v[0:1], v[2:3]
	v_rcp_f64_e32 v[12:13], v[10:11]
	v_fma_f64 v[14:15], -v[10:11], v[12:13], 1.0
	v_fma_f64 v[12:13], v[12:13], v[14:15], v[12:13]
	v_div_scale_f64 v[14:15], vcc, v[2:3], v[0:1], v[2:3]
	v_fma_f64 v[16:17], -v[10:11], v[12:13], 1.0
	v_fma_f64 v[12:13], v[12:13], v[16:17], v[12:13]
	v_mul_f64 v[16:17], v[14:15], v[12:13]
	v_fma_f64 v[10:11], -v[10:11], v[16:17], v[14:15]
	v_div_fmas_f64 v[10:11], v[10:11], v[12:13], v[16:17]
	v_div_fixup_f64 v[10:11], v[10:11], v[0:1], v[2:3]
	v_fma_f64 v[0:1], v[2:3], v[10:11], v[0:1]
	v_div_scale_f64 v[2:3], s[16:17], v[0:1], v[0:1], 1.0
	v_div_scale_f64 v[16:17], vcc, 1.0, v[0:1], 1.0
	v_rcp_f64_e32 v[12:13], v[2:3]
	v_fma_f64 v[14:15], -v[2:3], v[12:13], 1.0
	v_fma_f64 v[12:13], v[12:13], v[14:15], v[12:13]
	v_fma_f64 v[14:15], -v[2:3], v[12:13], 1.0
	v_fma_f64 v[12:13], v[12:13], v[14:15], v[12:13]
	v_mul_f64 v[14:15], v[16:17], v[12:13]
	v_fma_f64 v[2:3], -v[2:3], v[14:15], v[16:17]
	v_div_fmas_f64 v[2:3], v[2:3], v[12:13], v[14:15]
	v_div_fixup_f64 v[0:1], v[2:3], v[0:1], 1.0
	v_mul_f64 v[2:3], v[10:11], -v[0:1]
.LBB120_257:
	s_or_b64 exec, exec, s[18:19]
.LBB120_258:
	s_or_b64 exec, exec, s[4:5]
	v_cmp_ne_u32_e32 vcc, v43, v4
	s_and_saveexec_b64 s[4:5], vcc
	s_xor_b64 s[4:5], exec, s[4:5]
	s_cbranch_execz .LBB120_264
; %bb.259:
	v_cmp_eq_u32_e32 vcc, 10, v43
	s_and_saveexec_b64 s[18:19], vcc
	s_cbranch_execz .LBB120_263
; %bb.260:
	v_cmp_ne_u32_e32 vcc, 10, v4
	s_xor_b64 s[16:17], s[22:23], -1
	s_and_b64 s[16:17], s[16:17], vcc
	s_and_saveexec_b64 s[24:25], s[16:17]
	s_cbranch_execz .LBB120_262
; %bb.261:
	v_ashrrev_i32_e32 v5, 31, v4
	v_lshlrev_b64 v[10:11], 2, v[4:5]
	v_add_co_u32_e32 v10, vcc, v8, v10
	v_addc_co_u32_e32 v11, vcc, v9, v11, vcc
	global_load_dword v5, v[10:11], off
	global_load_dword v12, v[8:9], off offset:40
	s_waitcnt vmcnt(1)
	global_store_dword v[8:9], v5, off offset:40
	s_waitcnt vmcnt(1)
	global_store_dword v[10:11], v12, off
.LBB120_262:
	s_or_b64 exec, exec, s[24:25]
	v_mov_b32_e32 v43, v4
	v_mov_b32_e32 v42, v4
.LBB120_263:
	s_or_b64 exec, exec, s[18:19]
.LBB120_264:
	s_andn2_saveexec_b64 s[4:5], s[4:5]
	s_cbranch_execz .LBB120_268
; %bb.265:
	s_movk_i32 s16, 0xb0
.LBB120_266:                            ; =>This Inner Loop Header: Depth=1
	v_mov_b32_e32 v52, s16
	buffer_load_dword v4, v52, s[0:3], 0 offen
	buffer_load_dword v5, v52, s[0:3], 0 offen offset:4
	buffer_load_dword v10, v52, s[0:3], 0 offen offset:8
	;; [unrolled: 1-line block ×38, first 2 shown]
	s_nop 0
	buffer_load_dword v52, v52, s[0:3], 0 offen offset:156
	v_add_u32_e32 v53, s16, v40
	s_addk_i32 s16, 0xa0
	s_cmpk_eq_i32 s16, 0x3d0
	s_waitcnt vmcnt(36)
	ds_write2_b64 v53, v[4:5], v[10:11] offset1:1
	s_waitcnt vmcnt(32)
	ds_write2_b64 v53, v[12:13], v[14:15] offset0:2 offset1:3
	s_waitcnt vmcnt(28)
	ds_write2_b64 v53, v[16:17], v[18:19] offset0:4 offset1:5
	;; [unrolled: 2-line block ×4, first 2 shown]
	ds_write2_b64 v53, v[28:29], v[26:27] offset0:10 offset1:11
	s_waitcnt vmcnt(8)
	ds_write2_b64 v53, v[43:44], v[32:33] offset0:12 offset1:13
	ds_write2_b64 v53, v[36:37], v[34:35] offset0:14 offset1:15
	s_waitcnt vmcnt(4)
	ds_write2_b64 v53, v[45:46], v[47:48] offset0:16 offset1:17
	s_waitcnt vmcnt(0)
	ds_write2_b64 v53, v[49:50], v[51:52] offset0:18 offset1:19
	s_cbranch_scc0 .LBB120_266
; %bb.267:
	v_mov_b32_e32 v43, 10
.LBB120_268:
	s_or_b64 exec, exec, s[4:5]
	v_cmp_lt_i32_e32 vcc, 10, v43
	s_waitcnt vmcnt(0) lgkmcnt(0)
	s_barrier
	s_and_saveexec_b64 s[4:5], vcc
	s_cbranch_execz .LBB120_271
; %bb.269:
	buffer_load_dword v4, off, s[0:3], 0 offset:168
	buffer_load_dword v5, off, s[0:3], 0 offset:172
	;; [unrolled: 1-line block ×4, first 2 shown]
	s_movk_i32 s18, 0xb0
	s_waitcnt vmcnt(2)
	v_mul_f64 v[12:13], v[2:3], v[4:5]
	v_mul_f64 v[4:5], v[0:1], v[4:5]
	s_waitcnt vmcnt(0)
	v_fma_f64 v[0:1], v[0:1], v[10:11], -v[12:13]
	v_fma_f64 v[2:3], v[2:3], v[10:11], v[4:5]
	buffer_store_dword v0, off, s[0:3], 0 offset:160
	buffer_store_dword v1, off, s[0:3], 0 offset:164
	;; [unrolled: 1-line block ×4, first 2 shown]
.LBB120_270:                            ; =>This Inner Loop Header: Depth=1
	buffer_load_dword v4, off, s[0:3], 0 offset:168
	buffer_load_dword v5, off, s[0:3], 0 offset:172
	;; [unrolled: 1-line block ×4, first 2 shown]
	v_mov_b32_e32 v26, s18
	buffer_load_dword v16, v26, s[0:3], 0 offen
	buffer_load_dword v17, v26, s[0:3], 0 offen offset:4
	buffer_load_dword v18, v26, s[0:3], 0 offen offset:8
	;; [unrolled: 1-line block ×3, first 2 shown]
	v_add_u32_e32 v27, s18, v40
	ds_read2_b64 v[0:3], v27 offset1:1
	buffer_load_dword v20, v26, s[0:3], 0 offen offset:16
	buffer_load_dword v21, v26, s[0:3], 0 offen offset:20
	;; [unrolled: 1-line block ×4, first 2 shown]
	ds_read2_b64 v[10:13], v27 offset0:2 offset1:3
	s_addk_i32 s18, 0x50
	s_cmpk_lg_i32 s18, 0x3d0
	s_waitcnt vmcnt(10) lgkmcnt(1)
	v_mul_f64 v[24:25], v[2:3], v[4:5]
	v_mul_f64 v[4:5], v[0:1], v[4:5]
	s_waitcnt vmcnt(8)
	v_fma_f64 v[0:1], v[0:1], v[14:15], -v[24:25]
	v_fma_f64 v[2:3], v[2:3], v[14:15], v[4:5]
	s_waitcnt vmcnt(6)
	v_add_f64 v[0:1], v[16:17], -v[0:1]
	s_waitcnt vmcnt(4)
	v_add_f64 v[2:3], v[18:19], -v[2:3]
	buffer_store_dword v1, v26, s[0:3], 0 offen offset:4
	buffer_store_dword v0, v26, s[0:3], 0 offen
	buffer_store_dword v3, v26, s[0:3], 0 offen offset:12
	buffer_store_dword v2, v26, s[0:3], 0 offen offset:8
	buffer_load_dword v1, off, s[0:3], 0 offset:172
	s_nop 0
	buffer_load_dword v0, off, s[0:3], 0 offset:168
	buffer_load_dword v3, off, s[0:3], 0 offset:164
	;; [unrolled: 1-line block ×3, first 2 shown]
	buffer_load_dword v4, v26, s[0:3], 0 offen offset:32
	buffer_load_dword v5, v26, s[0:3], 0 offen offset:36
	;; [unrolled: 1-line block ×4, first 2 shown]
	s_waitcnt vmcnt(6) lgkmcnt(0)
	v_mul_f64 v[16:17], v[12:13], v[0:1]
	v_mul_f64 v[0:1], v[10:11], v[0:1]
	s_waitcnt vmcnt(4)
	v_fma_f64 v[10:11], v[10:11], v[2:3], -v[16:17]
	v_fma_f64 v[0:1], v[12:13], v[2:3], v[0:1]
	v_add_f64 v[2:3], v[20:21], -v[10:11]
	v_add_f64 v[0:1], v[22:23], -v[0:1]
	buffer_store_dword v3, v26, s[0:3], 0 offen offset:20
	buffer_store_dword v2, v26, s[0:3], 0 offen offset:16
	buffer_store_dword v1, v26, s[0:3], 0 offen offset:28
	buffer_store_dword v0, v26, s[0:3], 0 offen offset:24
	buffer_load_dword v16, off, s[0:3], 0 offset:168
	buffer_load_dword v17, off, s[0:3], 0 offset:172
	buffer_load_dword v18, off, s[0:3], 0 offset:160
	buffer_load_dword v19, off, s[0:3], 0 offset:164
	ds_read2_b64 v[0:3], v27 offset0:4 offset1:5
	ds_read2_b64 v[10:13], v27 offset0:6 offset1:7
	s_waitcnt vmcnt(2) lgkmcnt(1)
	v_mul_f64 v[20:21], v[2:3], v[16:17]
	v_mul_f64 v[16:17], v[0:1], v[16:17]
	s_waitcnt vmcnt(0)
	v_fma_f64 v[0:1], v[0:1], v[18:19], -v[20:21]
	v_fma_f64 v[2:3], v[2:3], v[18:19], v[16:17]
	v_add_f64 v[0:1], v[4:5], -v[0:1]
	v_add_f64 v[2:3], v[14:15], -v[2:3]
	buffer_store_dword v1, v26, s[0:3], 0 offen offset:36
	buffer_store_dword v0, v26, s[0:3], 0 offen offset:32
	;; [unrolled: 1-line block ×4, first 2 shown]
	buffer_load_dword v0, off, s[0:3], 0 offset:168
	s_nop 0
	buffer_load_dword v1, off, s[0:3], 0 offset:172
	buffer_load_dword v2, off, s[0:3], 0 offset:160
	;; [unrolled: 1-line block ×3, first 2 shown]
	buffer_load_dword v4, v26, s[0:3], 0 offen offset:48
	buffer_load_dword v5, v26, s[0:3], 0 offen offset:52
	;; [unrolled: 1-line block ×4, first 2 shown]
	s_waitcnt vmcnt(6) lgkmcnt(0)
	v_mul_f64 v[16:17], v[12:13], v[0:1]
	v_mul_f64 v[0:1], v[10:11], v[0:1]
	s_waitcnt vmcnt(4)
	v_fma_f64 v[10:11], v[10:11], v[2:3], -v[16:17]
	v_fma_f64 v[0:1], v[12:13], v[2:3], v[0:1]
	s_waitcnt vmcnt(2)
	v_add_f64 v[2:3], v[4:5], -v[10:11]
	s_waitcnt vmcnt(0)
	v_add_f64 v[0:1], v[14:15], -v[0:1]
	buffer_store_dword v3, v26, s[0:3], 0 offen offset:52
	buffer_store_dword v2, v26, s[0:3], 0 offen offset:48
	;; [unrolled: 1-line block ×4, first 2 shown]
	buffer_load_dword v4, off, s[0:3], 0 offset:168
	buffer_load_dword v5, off, s[0:3], 0 offset:172
	;; [unrolled: 1-line block ×4, first 2 shown]
	buffer_load_dword v12, v26, s[0:3], 0 offen offset:64
	buffer_load_dword v13, v26, s[0:3], 0 offen offset:68
	;; [unrolled: 1-line block ×4, first 2 shown]
	ds_read2_b64 v[0:3], v27 offset0:8 offset1:9
	s_waitcnt vmcnt(6) lgkmcnt(0)
	v_mul_f64 v[16:17], v[2:3], v[4:5]
	v_mul_f64 v[4:5], v[0:1], v[4:5]
	s_waitcnt vmcnt(4)
	v_fma_f64 v[0:1], v[0:1], v[10:11], -v[16:17]
	v_fma_f64 v[2:3], v[2:3], v[10:11], v[4:5]
	s_waitcnt vmcnt(2)
	v_add_f64 v[0:1], v[12:13], -v[0:1]
	s_waitcnt vmcnt(0)
	v_add_f64 v[2:3], v[14:15], -v[2:3]
	buffer_store_dword v1, v26, s[0:3], 0 offen offset:68
	buffer_store_dword v0, v26, s[0:3], 0 offen offset:64
	;; [unrolled: 1-line block ×4, first 2 shown]
	s_cbranch_scc1 .LBB120_270
.LBB120_271:
	s_or_b64 exec, exec, s[4:5]
	v_mov_b32_e32 v3, s75
	s_waitcnt vmcnt(0)
	s_barrier
	buffer_load_dword v0, v3, s[0:3], 0 offen
	buffer_load_dword v1, v3, s[0:3], 0 offen offset:4
	buffer_load_dword v2, v3, s[0:3], 0 offen offset:8
	s_nop 0
	buffer_load_dword v3, v3, s[0:3], 0 offen offset:12
	v_lshl_add_u32 v4, v43, 4, v40
	s_cmp_lt_i32 s64, 13
	s_waitcnt vmcnt(0)
	ds_write2_b64 v4, v[0:1], v[2:3] offset1:1
	s_waitcnt lgkmcnt(0)
	s_barrier
	ds_read2_b64 v[0:3], v40 offset0:22 offset1:23
	v_mov_b32_e32 v4, 11
	s_cbranch_scc1 .LBB120_274
; %bb.272:
	v_add_u32_e32 v5, 0xc0, v40
	s_mov_b32 s16, 12
	v_mov_b32_e32 v4, 11
.LBB120_273:                            ; =>This Inner Loop Header: Depth=1
	s_waitcnt lgkmcnt(0)
	v_cmp_gt_f64_e32 vcc, 0, v[2:3]
	v_cmp_gt_f64_e64 s[4:5], 0, v[0:1]
	ds_read2_b64 v[10:13], v5 offset1:1
	v_xor_b32_e32 v15, 0x80000000, v1
	v_xor_b32_e32 v17, 0x80000000, v3
	v_mov_b32_e32 v14, v0
	v_mov_b32_e32 v16, v2
	s_waitcnt lgkmcnt(0)
	v_xor_b32_e32 v19, 0x80000000, v13
	v_cndmask_b32_e32 v17, v3, v17, vcc
	v_cndmask_b32_e64 v15, v1, v15, s[4:5]
	v_cmp_gt_f64_e32 vcc, 0, v[12:13]
	v_cmp_gt_f64_e64 s[4:5], 0, v[10:11]
	v_add_f64 v[14:15], v[14:15], v[16:17]
	v_xor_b32_e32 v17, 0x80000000, v11
	v_mov_b32_e32 v16, v10
	v_mov_b32_e32 v18, v12
	v_add_u32_e32 v5, 16, v5
	v_cndmask_b32_e32 v19, v13, v19, vcc
	v_cndmask_b32_e64 v17, v11, v17, s[4:5]
	v_add_f64 v[16:17], v[16:17], v[18:19]
	v_mov_b32_e32 v18, s16
	s_add_i32 s16, s16, 1
	s_cmp_lg_u32 s64, s16
	v_cmp_lt_f64_e32 vcc, v[14:15], v[16:17]
	v_cndmask_b32_e32 v1, v1, v11, vcc
	v_cndmask_b32_e32 v0, v0, v10, vcc
	;; [unrolled: 1-line block ×5, first 2 shown]
	s_cbranch_scc1 .LBB120_273
.LBB120_274:
	s_waitcnt lgkmcnt(0)
	v_cmp_eq_f64_e32 vcc, 0, v[0:1]
	v_cmp_eq_f64_e64 s[4:5], 0, v[2:3]
	s_and_b64 s[4:5], vcc, s[4:5]
	s_and_saveexec_b64 s[16:17], s[4:5]
	s_xor_b64 s[4:5], exec, s[16:17]
; %bb.275:
	v_cmp_ne_u32_e32 vcc, 0, v41
	v_cndmask_b32_e32 v41, 12, v41, vcc
; %bb.276:
	s_andn2_saveexec_b64 s[4:5], s[4:5]
	s_cbranch_execz .LBB120_282
; %bb.277:
	v_cmp_ngt_f64_e64 s[16:17], |v[0:1]|, |v[2:3]|
	s_and_saveexec_b64 s[18:19], s[16:17]
	s_xor_b64 s[18:19], exec, s[18:19]
	s_cbranch_execz .LBB120_279
; %bb.278:
	v_div_scale_f64 v[10:11], s[16:17], v[2:3], v[2:3], v[0:1]
	v_rcp_f64_e32 v[12:13], v[10:11]
	v_fma_f64 v[14:15], -v[10:11], v[12:13], 1.0
	v_fma_f64 v[12:13], v[12:13], v[14:15], v[12:13]
	v_div_scale_f64 v[14:15], vcc, v[0:1], v[2:3], v[0:1]
	v_fma_f64 v[16:17], -v[10:11], v[12:13], 1.0
	v_fma_f64 v[12:13], v[12:13], v[16:17], v[12:13]
	v_mul_f64 v[16:17], v[14:15], v[12:13]
	v_fma_f64 v[10:11], -v[10:11], v[16:17], v[14:15]
	v_div_fmas_f64 v[10:11], v[10:11], v[12:13], v[16:17]
	v_div_fixup_f64 v[10:11], v[10:11], v[2:3], v[0:1]
	v_fma_f64 v[0:1], v[0:1], v[10:11], v[2:3]
	v_div_scale_f64 v[2:3], s[16:17], v[0:1], v[0:1], 1.0
	v_div_scale_f64 v[16:17], vcc, 1.0, v[0:1], 1.0
	v_rcp_f64_e32 v[12:13], v[2:3]
	v_fma_f64 v[14:15], -v[2:3], v[12:13], 1.0
	v_fma_f64 v[12:13], v[12:13], v[14:15], v[12:13]
	v_fma_f64 v[14:15], -v[2:3], v[12:13], 1.0
	v_fma_f64 v[12:13], v[12:13], v[14:15], v[12:13]
	v_mul_f64 v[14:15], v[16:17], v[12:13]
	v_fma_f64 v[2:3], -v[2:3], v[14:15], v[16:17]
	v_div_fmas_f64 v[2:3], v[2:3], v[12:13], v[14:15]
	v_div_fixup_f64 v[2:3], v[2:3], v[0:1], 1.0
	v_mul_f64 v[0:1], v[10:11], v[2:3]
	v_xor_b32_e32 v3, 0x80000000, v3
.LBB120_279:
	s_andn2_saveexec_b64 s[18:19], s[18:19]
	s_cbranch_execz .LBB120_281
; %bb.280:
	v_div_scale_f64 v[10:11], s[16:17], v[0:1], v[0:1], v[2:3]
	v_rcp_f64_e32 v[12:13], v[10:11]
	v_fma_f64 v[14:15], -v[10:11], v[12:13], 1.0
	v_fma_f64 v[12:13], v[12:13], v[14:15], v[12:13]
	v_div_scale_f64 v[14:15], vcc, v[2:3], v[0:1], v[2:3]
	v_fma_f64 v[16:17], -v[10:11], v[12:13], 1.0
	v_fma_f64 v[12:13], v[12:13], v[16:17], v[12:13]
	v_mul_f64 v[16:17], v[14:15], v[12:13]
	v_fma_f64 v[10:11], -v[10:11], v[16:17], v[14:15]
	v_div_fmas_f64 v[10:11], v[10:11], v[12:13], v[16:17]
	v_div_fixup_f64 v[10:11], v[10:11], v[0:1], v[2:3]
	v_fma_f64 v[0:1], v[2:3], v[10:11], v[0:1]
	v_div_scale_f64 v[2:3], s[16:17], v[0:1], v[0:1], 1.0
	v_div_scale_f64 v[16:17], vcc, 1.0, v[0:1], 1.0
	v_rcp_f64_e32 v[12:13], v[2:3]
	v_fma_f64 v[14:15], -v[2:3], v[12:13], 1.0
	v_fma_f64 v[12:13], v[12:13], v[14:15], v[12:13]
	v_fma_f64 v[14:15], -v[2:3], v[12:13], 1.0
	v_fma_f64 v[12:13], v[12:13], v[14:15], v[12:13]
	v_mul_f64 v[14:15], v[16:17], v[12:13]
	v_fma_f64 v[2:3], -v[2:3], v[14:15], v[16:17]
	v_div_fmas_f64 v[2:3], v[2:3], v[12:13], v[14:15]
	v_div_fixup_f64 v[0:1], v[2:3], v[0:1], 1.0
	v_mul_f64 v[2:3], v[10:11], -v[0:1]
.LBB120_281:
	s_or_b64 exec, exec, s[18:19]
.LBB120_282:
	s_or_b64 exec, exec, s[4:5]
	v_cmp_ne_u32_e32 vcc, v43, v4
	s_and_saveexec_b64 s[4:5], vcc
	s_xor_b64 s[4:5], exec, s[4:5]
	s_cbranch_execz .LBB120_288
; %bb.283:
	v_cmp_eq_u32_e32 vcc, 11, v43
	s_and_saveexec_b64 s[18:19], vcc
	s_cbranch_execz .LBB120_287
; %bb.284:
	v_cmp_ne_u32_e32 vcc, 11, v4
	s_xor_b64 s[16:17], s[22:23], -1
	s_and_b64 s[16:17], s[16:17], vcc
	s_and_saveexec_b64 s[24:25], s[16:17]
	s_cbranch_execz .LBB120_286
; %bb.285:
	v_ashrrev_i32_e32 v5, 31, v4
	v_lshlrev_b64 v[10:11], 2, v[4:5]
	v_add_co_u32_e32 v10, vcc, v8, v10
	v_addc_co_u32_e32 v11, vcc, v9, v11, vcc
	global_load_dword v5, v[10:11], off
	global_load_dword v12, v[8:9], off offset:44
	s_waitcnt vmcnt(1)
	global_store_dword v[8:9], v5, off offset:44
	s_waitcnt vmcnt(1)
	global_store_dword v[10:11], v12, off
.LBB120_286:
	s_or_b64 exec, exec, s[24:25]
	v_mov_b32_e32 v43, v4
	v_mov_b32_e32 v42, v4
.LBB120_287:
	s_or_b64 exec, exec, s[18:19]
.LBB120_288:
	s_andn2_saveexec_b64 s[4:5], s[4:5]
	s_cbranch_execz .LBB120_292
; %bb.289:
	s_movk_i32 s16, 0xc0
.LBB120_290:                            ; =>This Inner Loop Header: Depth=1
	v_mov_b32_e32 v34, s16
	buffer_load_dword v4, v34, s[0:3], 0 offen
	buffer_load_dword v5, v34, s[0:3], 0 offen offset:4
	buffer_load_dword v10, v34, s[0:3], 0 offen offset:8
	;; [unrolled: 1-line block ×26, first 2 shown]
	s_nop 0
	buffer_load_dword v34, v34, s[0:3], 0 offen offset:96
	v_add_u32_e32 v36, s16, v40
	s_addk_i32 s16, 0x70
	s_cmpk_eq_i32 s16, 0x3d0
	s_waitcnt vmcnt(24)
	ds_write2_b64 v36, v[4:5], v[10:11] offset1:1
	s_waitcnt vmcnt(20)
	ds_write2_b64 v36, v[12:13], v[14:15] offset0:2 offset1:3
	s_waitcnt vmcnt(16)
	ds_write2_b64 v36, v[16:17], v[18:19] offset0:4 offset1:5
	;; [unrolled: 2-line block ×4, first 2 shown]
	ds_write2_b64 v36, v[28:29], v[26:27] offset0:10 offset1:11
	s_waitcnt vmcnt(0)
	ds_write2_b64 v36, v[34:35], v[32:33] offset0:12 offset1:13
	s_cbranch_scc0 .LBB120_290
; %bb.291:
	v_mov_b32_e32 v43, 11
.LBB120_292:
	s_or_b64 exec, exec, s[4:5]
	v_cmp_lt_i32_e32 vcc, 11, v43
	s_waitcnt vmcnt(0) lgkmcnt(0)
	s_barrier
	s_and_saveexec_b64 s[4:5], vcc
	s_cbranch_execz .LBB120_295
; %bb.293:
	buffer_load_dword v4, off, s[0:3], 0 offset:184
	buffer_load_dword v5, off, s[0:3], 0 offset:188
	;; [unrolled: 1-line block ×4, first 2 shown]
	s_movk_i32 s18, 0xc0
	s_waitcnt vmcnt(2)
	v_mul_f64 v[12:13], v[2:3], v[4:5]
	v_mul_f64 v[4:5], v[0:1], v[4:5]
	s_waitcnt vmcnt(0)
	v_fma_f64 v[0:1], v[0:1], v[10:11], -v[12:13]
	v_fma_f64 v[2:3], v[2:3], v[10:11], v[4:5]
	buffer_store_dword v0, off, s[0:3], 0 offset:176
	buffer_store_dword v1, off, s[0:3], 0 offset:180
	;; [unrolled: 1-line block ×4, first 2 shown]
.LBB120_294:                            ; =>This Inner Loop Header: Depth=1
	buffer_load_dword v14, off, s[0:3], 0 offset:184
	buffer_load_dword v15, off, s[0:3], 0 offset:188
	;; [unrolled: 1-line block ×4, first 2 shown]
	v_mov_b32_e32 v0, s18
	buffer_load_dword v18, v0, s[0:3], 0 offen
	buffer_load_dword v19, v0, s[0:3], 0 offen offset:4
	buffer_load_dword v20, v0, s[0:3], 0 offen offset:8
	;; [unrolled: 1-line block ×3, first 2 shown]
	v_add_u32_e32 v5, s18, v40
	ds_read2_b64 v[1:4], v5 offset1:1
	buffer_load_dword v22, v0, s[0:3], 0 offen offset:16
	buffer_load_dword v23, v0, s[0:3], 0 offen offset:20
	;; [unrolled: 1-line block ×4, first 2 shown]
	ds_read2_b64 v[10:13], v5 offset0:2 offset1:3
	s_addk_i32 s18, 0x70
	s_cmpk_lg_i32 s18, 0x3d0
	s_waitcnt vmcnt(10) lgkmcnt(1)
	v_mul_f64 v[26:27], v[3:4], v[14:15]
	v_mul_f64 v[14:15], v[1:2], v[14:15]
	s_waitcnt vmcnt(8)
	v_fma_f64 v[1:2], v[1:2], v[16:17], -v[26:27]
	v_fma_f64 v[3:4], v[3:4], v[16:17], v[14:15]
	s_waitcnt vmcnt(6)
	v_add_f64 v[1:2], v[18:19], -v[1:2]
	s_waitcnt vmcnt(4)
	v_add_f64 v[3:4], v[20:21], -v[3:4]
	buffer_store_dword v2, v0, s[0:3], 0 offen offset:4
	buffer_store_dword v1, v0, s[0:3], 0 offen
	buffer_store_dword v4, v0, s[0:3], 0 offen offset:12
	buffer_store_dword v3, v0, s[0:3], 0 offen offset:8
	buffer_load_dword v2, off, s[0:3], 0 offset:188
	s_nop 0
	buffer_load_dword v1, off, s[0:3], 0 offset:184
	buffer_load_dword v4, off, s[0:3], 0 offset:180
	;; [unrolled: 1-line block ×3, first 2 shown]
	buffer_load_dword v14, v0, s[0:3], 0 offen offset:32
	buffer_load_dword v15, v0, s[0:3], 0 offen offset:36
	;; [unrolled: 1-line block ×4, first 2 shown]
	s_waitcnt vmcnt(6) lgkmcnt(0)
	v_mul_f64 v[18:19], v[12:13], v[1:2]
	v_mul_f64 v[1:2], v[10:11], v[1:2]
	s_waitcnt vmcnt(4)
	v_fma_f64 v[10:11], v[10:11], v[3:4], -v[18:19]
	v_fma_f64 v[1:2], v[12:13], v[3:4], v[1:2]
	v_add_f64 v[3:4], v[22:23], -v[10:11]
	v_add_f64 v[1:2], v[24:25], -v[1:2]
	buffer_store_dword v4, v0, s[0:3], 0 offen offset:20
	buffer_store_dword v3, v0, s[0:3], 0 offen offset:16
	;; [unrolled: 1-line block ×4, first 2 shown]
	buffer_load_dword v18, off, s[0:3], 0 offset:184
	buffer_load_dword v19, off, s[0:3], 0 offset:188
	;; [unrolled: 1-line block ×4, first 2 shown]
	ds_read2_b64 v[1:4], v5 offset0:4 offset1:5
	ds_read2_b64 v[10:13], v5 offset0:6 offset1:7
	s_waitcnt vmcnt(2) lgkmcnt(1)
	v_mul_f64 v[22:23], v[3:4], v[18:19]
	v_mul_f64 v[18:19], v[1:2], v[18:19]
	s_waitcnt vmcnt(0)
	v_fma_f64 v[1:2], v[1:2], v[20:21], -v[22:23]
	v_fma_f64 v[3:4], v[3:4], v[20:21], v[18:19]
	v_add_f64 v[1:2], v[14:15], -v[1:2]
	v_add_f64 v[3:4], v[16:17], -v[3:4]
	buffer_store_dword v2, v0, s[0:3], 0 offen offset:36
	buffer_store_dword v1, v0, s[0:3], 0 offen offset:32
	buffer_store_dword v4, v0, s[0:3], 0 offen offset:44
	buffer_store_dword v3, v0, s[0:3], 0 offen offset:40
	buffer_load_dword v1, off, s[0:3], 0 offset:184
	s_nop 0
	buffer_load_dword v2, off, s[0:3], 0 offset:188
	buffer_load_dword v3, off, s[0:3], 0 offset:176
	;; [unrolled: 1-line block ×3, first 2 shown]
	buffer_load_dword v14, v0, s[0:3], 0 offen offset:48
	buffer_load_dword v15, v0, s[0:3], 0 offen offset:52
	;; [unrolled: 1-line block ×4, first 2 shown]
	s_waitcnt vmcnt(6) lgkmcnt(0)
	v_mul_f64 v[18:19], v[12:13], v[1:2]
	v_mul_f64 v[1:2], v[10:11], v[1:2]
	s_waitcnt vmcnt(4)
	v_fma_f64 v[10:11], v[10:11], v[3:4], -v[18:19]
	v_fma_f64 v[1:2], v[12:13], v[3:4], v[1:2]
	s_waitcnt vmcnt(2)
	v_add_f64 v[3:4], v[14:15], -v[10:11]
	s_waitcnt vmcnt(0)
	v_add_f64 v[1:2], v[16:17], -v[1:2]
	buffer_store_dword v4, v0, s[0:3], 0 offen offset:52
	buffer_store_dword v3, v0, s[0:3], 0 offen offset:48
	;; [unrolled: 1-line block ×4, first 2 shown]
	buffer_load_dword v14, off, s[0:3], 0 offset:184
	buffer_load_dword v15, off, s[0:3], 0 offset:188
	;; [unrolled: 1-line block ×4, first 2 shown]
	buffer_load_dword v18, v0, s[0:3], 0 offen offset:64
	buffer_load_dword v19, v0, s[0:3], 0 offen offset:68
	;; [unrolled: 1-line block ×4, first 2 shown]
	ds_read2_b64 v[1:4], v5 offset0:8 offset1:9
	ds_read2_b64 v[10:13], v5 offset0:10 offset1:11
	s_waitcnt vmcnt(6) lgkmcnt(1)
	v_mul_f64 v[22:23], v[3:4], v[14:15]
	v_mul_f64 v[14:15], v[1:2], v[14:15]
	s_waitcnt vmcnt(4)
	v_fma_f64 v[1:2], v[1:2], v[16:17], -v[22:23]
	v_fma_f64 v[3:4], v[3:4], v[16:17], v[14:15]
	s_waitcnt vmcnt(2)
	v_add_f64 v[1:2], v[18:19], -v[1:2]
	s_waitcnt vmcnt(0)
	v_add_f64 v[3:4], v[20:21], -v[3:4]
	buffer_store_dword v2, v0, s[0:3], 0 offen offset:68
	buffer_store_dword v1, v0, s[0:3], 0 offen offset:64
	;; [unrolled: 1-line block ×4, first 2 shown]
	buffer_load_dword v1, off, s[0:3], 0 offset:184
	s_nop 0
	buffer_load_dword v2, off, s[0:3], 0 offset:188
	buffer_load_dword v3, off, s[0:3], 0 offset:176
	;; [unrolled: 1-line block ×3, first 2 shown]
	buffer_load_dword v14, v0, s[0:3], 0 offen offset:80
	buffer_load_dword v15, v0, s[0:3], 0 offen offset:84
	;; [unrolled: 1-line block ×4, first 2 shown]
	s_waitcnt vmcnt(6) lgkmcnt(0)
	v_mul_f64 v[18:19], v[12:13], v[1:2]
	v_mul_f64 v[1:2], v[10:11], v[1:2]
	s_waitcnt vmcnt(4)
	v_fma_f64 v[10:11], v[10:11], v[3:4], -v[18:19]
	v_fma_f64 v[1:2], v[12:13], v[3:4], v[1:2]
	s_waitcnt vmcnt(2)
	v_add_f64 v[3:4], v[14:15], -v[10:11]
	s_waitcnt vmcnt(0)
	v_add_f64 v[1:2], v[16:17], -v[1:2]
	buffer_store_dword v4, v0, s[0:3], 0 offen offset:84
	buffer_store_dword v3, v0, s[0:3], 0 offen offset:80
	;; [unrolled: 1-line block ×4, first 2 shown]
	buffer_load_dword v10, off, s[0:3], 0 offset:184
	buffer_load_dword v11, off, s[0:3], 0 offset:188
	;; [unrolled: 1-line block ×4, first 2 shown]
	buffer_load_dword v14, v0, s[0:3], 0 offen offset:96
	buffer_load_dword v15, v0, s[0:3], 0 offen offset:100
	;; [unrolled: 1-line block ×4, first 2 shown]
	ds_read2_b64 v[1:4], v5 offset0:12 offset1:13
	s_waitcnt vmcnt(6) lgkmcnt(0)
	v_mul_f64 v[18:19], v[3:4], v[10:11]
	v_mul_f64 v[10:11], v[1:2], v[10:11]
	s_waitcnt vmcnt(4)
	v_fma_f64 v[1:2], v[1:2], v[12:13], -v[18:19]
	v_fma_f64 v[3:4], v[3:4], v[12:13], v[10:11]
	s_waitcnt vmcnt(2)
	v_add_f64 v[1:2], v[14:15], -v[1:2]
	s_waitcnt vmcnt(0)
	v_add_f64 v[3:4], v[16:17], -v[3:4]
	buffer_store_dword v2, v0, s[0:3], 0 offen offset:100
	buffer_store_dword v1, v0, s[0:3], 0 offen offset:96
	;; [unrolled: 1-line block ×4, first 2 shown]
	s_cbranch_scc1 .LBB120_294
.LBB120_295:
	s_or_b64 exec, exec, s[4:5]
	v_mov_b32_e32 v3, s74
	s_waitcnt vmcnt(0)
	s_barrier
	buffer_load_dword v0, v3, s[0:3], 0 offen
	buffer_load_dword v1, v3, s[0:3], 0 offen offset:4
	buffer_load_dword v2, v3, s[0:3], 0 offen offset:8
	s_nop 0
	buffer_load_dword v3, v3, s[0:3], 0 offen offset:12
	v_lshl_add_u32 v4, v43, 4, v40
	s_cmp_lt_i32 s64, 14
	s_waitcnt vmcnt(0)
	ds_write2_b64 v4, v[0:1], v[2:3] offset1:1
	s_waitcnt lgkmcnt(0)
	s_barrier
	ds_read2_b64 v[0:3], v40 offset0:24 offset1:25
	v_mov_b32_e32 v4, 12
	s_cbranch_scc1 .LBB120_298
; %bb.296:
	v_add_u32_e32 v5, 0xd0, v40
	s_mov_b32 s16, 13
	v_mov_b32_e32 v4, 12
.LBB120_297:                            ; =>This Inner Loop Header: Depth=1
	s_waitcnt lgkmcnt(0)
	v_cmp_gt_f64_e32 vcc, 0, v[2:3]
	v_cmp_gt_f64_e64 s[4:5], 0, v[0:1]
	ds_read2_b64 v[10:13], v5 offset1:1
	v_xor_b32_e32 v15, 0x80000000, v1
	v_xor_b32_e32 v17, 0x80000000, v3
	v_mov_b32_e32 v14, v0
	v_mov_b32_e32 v16, v2
	s_waitcnt lgkmcnt(0)
	v_xor_b32_e32 v19, 0x80000000, v13
	v_cndmask_b32_e32 v17, v3, v17, vcc
	v_cndmask_b32_e64 v15, v1, v15, s[4:5]
	v_cmp_gt_f64_e32 vcc, 0, v[12:13]
	v_cmp_gt_f64_e64 s[4:5], 0, v[10:11]
	v_add_f64 v[14:15], v[14:15], v[16:17]
	v_xor_b32_e32 v17, 0x80000000, v11
	v_mov_b32_e32 v16, v10
	v_mov_b32_e32 v18, v12
	v_add_u32_e32 v5, 16, v5
	v_cndmask_b32_e32 v19, v13, v19, vcc
	v_cndmask_b32_e64 v17, v11, v17, s[4:5]
	v_add_f64 v[16:17], v[16:17], v[18:19]
	v_mov_b32_e32 v18, s16
	s_add_i32 s16, s16, 1
	s_cmp_lg_u32 s64, s16
	v_cmp_lt_f64_e32 vcc, v[14:15], v[16:17]
	v_cndmask_b32_e32 v1, v1, v11, vcc
	v_cndmask_b32_e32 v0, v0, v10, vcc
	;; [unrolled: 1-line block ×5, first 2 shown]
	s_cbranch_scc1 .LBB120_297
.LBB120_298:
	s_waitcnt lgkmcnt(0)
	v_cmp_eq_f64_e32 vcc, 0, v[0:1]
	v_cmp_eq_f64_e64 s[4:5], 0, v[2:3]
	s_and_b64 s[4:5], vcc, s[4:5]
	s_and_saveexec_b64 s[16:17], s[4:5]
	s_xor_b64 s[4:5], exec, s[16:17]
; %bb.299:
	v_cmp_ne_u32_e32 vcc, 0, v41
	v_cndmask_b32_e32 v41, 13, v41, vcc
; %bb.300:
	s_andn2_saveexec_b64 s[4:5], s[4:5]
	s_cbranch_execz .LBB120_306
; %bb.301:
	v_cmp_ngt_f64_e64 s[16:17], |v[0:1]|, |v[2:3]|
	s_and_saveexec_b64 s[18:19], s[16:17]
	s_xor_b64 s[18:19], exec, s[18:19]
	s_cbranch_execz .LBB120_303
; %bb.302:
	v_div_scale_f64 v[10:11], s[16:17], v[2:3], v[2:3], v[0:1]
	v_rcp_f64_e32 v[12:13], v[10:11]
	v_fma_f64 v[14:15], -v[10:11], v[12:13], 1.0
	v_fma_f64 v[12:13], v[12:13], v[14:15], v[12:13]
	v_div_scale_f64 v[14:15], vcc, v[0:1], v[2:3], v[0:1]
	v_fma_f64 v[16:17], -v[10:11], v[12:13], 1.0
	v_fma_f64 v[12:13], v[12:13], v[16:17], v[12:13]
	v_mul_f64 v[16:17], v[14:15], v[12:13]
	v_fma_f64 v[10:11], -v[10:11], v[16:17], v[14:15]
	v_div_fmas_f64 v[10:11], v[10:11], v[12:13], v[16:17]
	v_div_fixup_f64 v[10:11], v[10:11], v[2:3], v[0:1]
	v_fma_f64 v[0:1], v[0:1], v[10:11], v[2:3]
	v_div_scale_f64 v[2:3], s[16:17], v[0:1], v[0:1], 1.0
	v_div_scale_f64 v[16:17], vcc, 1.0, v[0:1], 1.0
	v_rcp_f64_e32 v[12:13], v[2:3]
	v_fma_f64 v[14:15], -v[2:3], v[12:13], 1.0
	v_fma_f64 v[12:13], v[12:13], v[14:15], v[12:13]
	v_fma_f64 v[14:15], -v[2:3], v[12:13], 1.0
	v_fma_f64 v[12:13], v[12:13], v[14:15], v[12:13]
	v_mul_f64 v[14:15], v[16:17], v[12:13]
	v_fma_f64 v[2:3], -v[2:3], v[14:15], v[16:17]
	v_div_fmas_f64 v[2:3], v[2:3], v[12:13], v[14:15]
	v_div_fixup_f64 v[2:3], v[2:3], v[0:1], 1.0
	v_mul_f64 v[0:1], v[10:11], v[2:3]
	v_xor_b32_e32 v3, 0x80000000, v3
.LBB120_303:
	s_andn2_saveexec_b64 s[18:19], s[18:19]
	s_cbranch_execz .LBB120_305
; %bb.304:
	v_div_scale_f64 v[10:11], s[16:17], v[0:1], v[0:1], v[2:3]
	v_rcp_f64_e32 v[12:13], v[10:11]
	v_fma_f64 v[14:15], -v[10:11], v[12:13], 1.0
	v_fma_f64 v[12:13], v[12:13], v[14:15], v[12:13]
	v_div_scale_f64 v[14:15], vcc, v[2:3], v[0:1], v[2:3]
	v_fma_f64 v[16:17], -v[10:11], v[12:13], 1.0
	v_fma_f64 v[12:13], v[12:13], v[16:17], v[12:13]
	v_mul_f64 v[16:17], v[14:15], v[12:13]
	v_fma_f64 v[10:11], -v[10:11], v[16:17], v[14:15]
	v_div_fmas_f64 v[10:11], v[10:11], v[12:13], v[16:17]
	v_div_fixup_f64 v[10:11], v[10:11], v[0:1], v[2:3]
	v_fma_f64 v[0:1], v[2:3], v[10:11], v[0:1]
	v_div_scale_f64 v[2:3], s[16:17], v[0:1], v[0:1], 1.0
	v_div_scale_f64 v[16:17], vcc, 1.0, v[0:1], 1.0
	v_rcp_f64_e32 v[12:13], v[2:3]
	v_fma_f64 v[14:15], -v[2:3], v[12:13], 1.0
	v_fma_f64 v[12:13], v[12:13], v[14:15], v[12:13]
	v_fma_f64 v[14:15], -v[2:3], v[12:13], 1.0
	v_fma_f64 v[12:13], v[12:13], v[14:15], v[12:13]
	v_mul_f64 v[14:15], v[16:17], v[12:13]
	v_fma_f64 v[2:3], -v[2:3], v[14:15], v[16:17]
	v_div_fmas_f64 v[2:3], v[2:3], v[12:13], v[14:15]
	v_div_fixup_f64 v[0:1], v[2:3], v[0:1], 1.0
	v_mul_f64 v[2:3], v[10:11], -v[0:1]
.LBB120_305:
	s_or_b64 exec, exec, s[18:19]
.LBB120_306:
	s_or_b64 exec, exec, s[4:5]
	v_cmp_ne_u32_e32 vcc, v43, v4
	s_and_saveexec_b64 s[4:5], vcc
	s_xor_b64 s[4:5], exec, s[4:5]
	s_cbranch_execz .LBB120_312
; %bb.307:
	v_cmp_eq_u32_e32 vcc, 12, v43
	s_and_saveexec_b64 s[18:19], vcc
	s_cbranch_execz .LBB120_311
; %bb.308:
	v_cmp_ne_u32_e32 vcc, 12, v4
	s_xor_b64 s[16:17], s[22:23], -1
	s_and_b64 s[16:17], s[16:17], vcc
	s_and_saveexec_b64 s[24:25], s[16:17]
	s_cbranch_execz .LBB120_310
; %bb.309:
	v_ashrrev_i32_e32 v5, 31, v4
	v_lshlrev_b64 v[10:11], 2, v[4:5]
	v_add_co_u32_e32 v10, vcc, v8, v10
	v_addc_co_u32_e32 v11, vcc, v9, v11, vcc
	global_load_dword v5, v[10:11], off
	global_load_dword v12, v[8:9], off offset:48
	s_waitcnt vmcnt(1)
	global_store_dword v[8:9], v5, off offset:48
	s_waitcnt vmcnt(1)
	global_store_dword v[10:11], v12, off
.LBB120_310:
	s_or_b64 exec, exec, s[24:25]
	v_mov_b32_e32 v43, v4
	v_mov_b32_e32 v42, v4
.LBB120_311:
	s_or_b64 exec, exec, s[18:19]
.LBB120_312:
	s_andn2_saveexec_b64 s[4:5], s[4:5]
	s_cbranch_execz .LBB120_316
; %bb.313:
	s_movk_i32 s18, 0xd0
.LBB120_314:                            ; =>This Inner Loop Header: Depth=1
	v_mov_b32_e32 v24, s18
	buffer_load_dword v4, v24, s[0:3], 0 offen
	buffer_load_dword v5, v24, s[0:3], 0 offen offset:4
	buffer_load_dword v10, v24, s[0:3], 0 offen offset:8
	;; [unrolled: 1-line block ×15, first 2 shown]
	v_add_u32_e32 v25, s18, v40
	s_addk_i32 s18, 0x100
	s_cmpk_eq_i32 s18, 0x3d0
	s_waitcnt vmcnt(12)
	ds_write2_b64 v25, v[4:5], v[10:11] offset1:1
	s_waitcnt vmcnt(8)
	ds_write2_b64 v25, v[12:13], v[14:15] offset0:2 offset1:3
	s_waitcnt vmcnt(4)
	ds_write2_b64 v25, v[16:17], v[18:19] offset0:4 offset1:5
	;; [unrolled: 2-line block ×3, first 2 shown]
	buffer_load_dword v5, v24, s[0:3], 0 offen offset:76
	buffer_load_dword v4, v24, s[0:3], 0 offen offset:72
	buffer_load_dword v11, v24, s[0:3], 0 offen offset:68
	buffer_load_dword v10, v24, s[0:3], 0 offen offset:64
	s_waitcnt vmcnt(0)
	ds_write2_b64 v25, v[10:11], v[4:5] offset0:8 offset1:9
	buffer_load_dword v5, v24, s[0:3], 0 offen offset:92
	buffer_load_dword v4, v24, s[0:3], 0 offen offset:88
	buffer_load_dword v11, v24, s[0:3], 0 offen offset:84
	buffer_load_dword v10, v24, s[0:3], 0 offen offset:80
	s_waitcnt vmcnt(0)
	ds_write2_b64 v25, v[10:11], v[4:5] offset0:10 offset1:11
	;; [unrolled: 6-line block ×12, first 2 shown]
	s_cbranch_scc0 .LBB120_314
; %bb.315:
	v_mov_b32_e32 v43, 12
.LBB120_316:
	s_or_b64 exec, exec, s[4:5]
	v_cmp_lt_i32_e32 vcc, 12, v43
	s_waitcnt vmcnt(0) lgkmcnt(0)
	s_barrier
	s_and_saveexec_b64 s[4:5], vcc
	s_cbranch_execz .LBB120_319
; %bb.317:
	buffer_load_dword v4, off, s[0:3], 0 offset:200
	buffer_load_dword v5, off, s[0:3], 0 offset:204
	;; [unrolled: 1-line block ×4, first 2 shown]
	s_movk_i32 s18, 0xd0
	s_waitcnt vmcnt(2)
	v_mul_f64 v[12:13], v[2:3], v[4:5]
	v_mul_f64 v[4:5], v[0:1], v[4:5]
	s_waitcnt vmcnt(0)
	v_fma_f64 v[0:1], v[0:1], v[10:11], -v[12:13]
	v_fma_f64 v[2:3], v[2:3], v[10:11], v[4:5]
	buffer_store_dword v0, off, s[0:3], 0 offset:192
	buffer_store_dword v1, off, s[0:3], 0 offset:196
	;; [unrolled: 1-line block ×4, first 2 shown]
.LBB120_318:                            ; =>This Inner Loop Header: Depth=1
	buffer_load_dword v4, off, s[0:3], 0 offset:200
	buffer_load_dword v5, off, s[0:3], 0 offset:204
	buffer_load_dword v14, off, s[0:3], 0 offset:192
	buffer_load_dword v15, off, s[0:3], 0 offset:196
	v_mov_b32_e32 v26, s18
	buffer_load_dword v16, v26, s[0:3], 0 offen
	buffer_load_dword v17, v26, s[0:3], 0 offen offset:4
	buffer_load_dword v18, v26, s[0:3], 0 offen offset:8
	;; [unrolled: 1-line block ×3, first 2 shown]
	v_add_u32_e32 v27, s18, v40
	ds_read2_b64 v[0:3], v27 offset1:1
	buffer_load_dword v20, v26, s[0:3], 0 offen offset:16
	buffer_load_dword v21, v26, s[0:3], 0 offen offset:20
	;; [unrolled: 1-line block ×4, first 2 shown]
	ds_read2_b64 v[10:13], v27 offset0:2 offset1:3
	s_addk_i32 s18, 0x60
	s_cmpk_lg_i32 s18, 0x3d0
	s_waitcnt vmcnt(10) lgkmcnt(1)
	v_mul_f64 v[24:25], v[2:3], v[4:5]
	v_mul_f64 v[4:5], v[0:1], v[4:5]
	s_waitcnt vmcnt(8)
	v_fma_f64 v[0:1], v[0:1], v[14:15], -v[24:25]
	v_fma_f64 v[2:3], v[2:3], v[14:15], v[4:5]
	s_waitcnt vmcnt(6)
	v_add_f64 v[0:1], v[16:17], -v[0:1]
	s_waitcnt vmcnt(4)
	v_add_f64 v[2:3], v[18:19], -v[2:3]
	buffer_store_dword v1, v26, s[0:3], 0 offen offset:4
	buffer_store_dword v0, v26, s[0:3], 0 offen
	buffer_store_dword v3, v26, s[0:3], 0 offen offset:12
	buffer_store_dword v2, v26, s[0:3], 0 offen offset:8
	buffer_load_dword v1, off, s[0:3], 0 offset:204
	s_nop 0
	buffer_load_dword v0, off, s[0:3], 0 offset:200
	buffer_load_dword v3, off, s[0:3], 0 offset:196
	buffer_load_dword v2, off, s[0:3], 0 offset:192
	buffer_load_dword v4, v26, s[0:3], 0 offen offset:32
	buffer_load_dword v5, v26, s[0:3], 0 offen offset:36
	;; [unrolled: 1-line block ×4, first 2 shown]
	s_waitcnt vmcnt(6) lgkmcnt(0)
	v_mul_f64 v[16:17], v[12:13], v[0:1]
	v_mul_f64 v[0:1], v[10:11], v[0:1]
	s_waitcnt vmcnt(4)
	v_fma_f64 v[10:11], v[10:11], v[2:3], -v[16:17]
	v_fma_f64 v[0:1], v[12:13], v[2:3], v[0:1]
	v_add_f64 v[2:3], v[20:21], -v[10:11]
	v_add_f64 v[0:1], v[22:23], -v[0:1]
	buffer_store_dword v3, v26, s[0:3], 0 offen offset:20
	buffer_store_dword v2, v26, s[0:3], 0 offen offset:16
	;; [unrolled: 1-line block ×4, first 2 shown]
	buffer_load_dword v16, off, s[0:3], 0 offset:200
	buffer_load_dword v17, off, s[0:3], 0 offset:204
	;; [unrolled: 1-line block ×4, first 2 shown]
	ds_read2_b64 v[0:3], v27 offset0:4 offset1:5
	ds_read2_b64 v[10:13], v27 offset0:6 offset1:7
	s_waitcnt vmcnt(2) lgkmcnt(1)
	v_mul_f64 v[20:21], v[2:3], v[16:17]
	v_mul_f64 v[16:17], v[0:1], v[16:17]
	s_waitcnt vmcnt(0)
	v_fma_f64 v[0:1], v[0:1], v[18:19], -v[20:21]
	v_fma_f64 v[2:3], v[2:3], v[18:19], v[16:17]
	v_add_f64 v[0:1], v[4:5], -v[0:1]
	v_add_f64 v[2:3], v[14:15], -v[2:3]
	buffer_store_dword v1, v26, s[0:3], 0 offen offset:36
	buffer_store_dword v0, v26, s[0:3], 0 offen offset:32
	;; [unrolled: 1-line block ×4, first 2 shown]
	buffer_load_dword v0, off, s[0:3], 0 offset:200
	s_nop 0
	buffer_load_dword v1, off, s[0:3], 0 offset:204
	buffer_load_dword v2, off, s[0:3], 0 offset:192
	;; [unrolled: 1-line block ×3, first 2 shown]
	buffer_load_dword v4, v26, s[0:3], 0 offen offset:48
	buffer_load_dword v5, v26, s[0:3], 0 offen offset:52
	;; [unrolled: 1-line block ×4, first 2 shown]
	s_waitcnt vmcnt(6) lgkmcnt(0)
	v_mul_f64 v[16:17], v[12:13], v[0:1]
	v_mul_f64 v[0:1], v[10:11], v[0:1]
	s_waitcnt vmcnt(4)
	v_fma_f64 v[10:11], v[10:11], v[2:3], -v[16:17]
	v_fma_f64 v[0:1], v[12:13], v[2:3], v[0:1]
	s_waitcnt vmcnt(2)
	v_add_f64 v[2:3], v[4:5], -v[10:11]
	s_waitcnt vmcnt(0)
	v_add_f64 v[0:1], v[14:15], -v[0:1]
	buffer_store_dword v3, v26, s[0:3], 0 offen offset:52
	buffer_store_dword v2, v26, s[0:3], 0 offen offset:48
	;; [unrolled: 1-line block ×4, first 2 shown]
	buffer_load_dword v4, off, s[0:3], 0 offset:200
	buffer_load_dword v5, off, s[0:3], 0 offset:204
	buffer_load_dword v14, off, s[0:3], 0 offset:192
	buffer_load_dword v15, off, s[0:3], 0 offset:196
	buffer_load_dword v16, v26, s[0:3], 0 offen offset:64
	buffer_load_dword v17, v26, s[0:3], 0 offen offset:68
	;; [unrolled: 1-line block ×4, first 2 shown]
	ds_read2_b64 v[0:3], v27 offset0:8 offset1:9
	ds_read2_b64 v[10:13], v27 offset0:10 offset1:11
	s_waitcnt vmcnt(6) lgkmcnt(1)
	v_mul_f64 v[20:21], v[2:3], v[4:5]
	v_mul_f64 v[4:5], v[0:1], v[4:5]
	s_waitcnt vmcnt(4)
	v_fma_f64 v[0:1], v[0:1], v[14:15], -v[20:21]
	v_fma_f64 v[2:3], v[2:3], v[14:15], v[4:5]
	s_waitcnt vmcnt(2)
	v_add_f64 v[0:1], v[16:17], -v[0:1]
	s_waitcnt vmcnt(0)
	v_add_f64 v[2:3], v[18:19], -v[2:3]
	buffer_store_dword v1, v26, s[0:3], 0 offen offset:68
	buffer_store_dword v0, v26, s[0:3], 0 offen offset:64
	buffer_store_dword v3, v26, s[0:3], 0 offen offset:76
	buffer_store_dword v2, v26, s[0:3], 0 offen offset:72
	buffer_load_dword v0, off, s[0:3], 0 offset:200
	s_nop 0
	buffer_load_dword v1, off, s[0:3], 0 offset:204
	buffer_load_dword v2, off, s[0:3], 0 offset:192
	;; [unrolled: 1-line block ×3, first 2 shown]
	buffer_load_dword v4, v26, s[0:3], 0 offen offset:80
	buffer_load_dword v5, v26, s[0:3], 0 offen offset:84
	buffer_load_dword v14, v26, s[0:3], 0 offen offset:88
	buffer_load_dword v15, v26, s[0:3], 0 offen offset:92
	s_waitcnt vmcnt(6) lgkmcnt(0)
	v_mul_f64 v[16:17], v[12:13], v[0:1]
	v_mul_f64 v[0:1], v[10:11], v[0:1]
	s_waitcnt vmcnt(4)
	v_fma_f64 v[10:11], v[10:11], v[2:3], -v[16:17]
	v_fma_f64 v[0:1], v[12:13], v[2:3], v[0:1]
	s_waitcnt vmcnt(2)
	v_add_f64 v[2:3], v[4:5], -v[10:11]
	s_waitcnt vmcnt(0)
	v_add_f64 v[0:1], v[14:15], -v[0:1]
	buffer_store_dword v3, v26, s[0:3], 0 offen offset:84
	buffer_store_dword v2, v26, s[0:3], 0 offen offset:80
	;; [unrolled: 1-line block ×4, first 2 shown]
	s_cbranch_scc1 .LBB120_318
.LBB120_319:
	s_or_b64 exec, exec, s[4:5]
	v_mov_b32_e32 v3, s73
	s_waitcnt vmcnt(0)
	s_barrier
	buffer_load_dword v0, v3, s[0:3], 0 offen
	buffer_load_dword v1, v3, s[0:3], 0 offen offset:4
	buffer_load_dword v2, v3, s[0:3], 0 offen offset:8
	s_nop 0
	buffer_load_dword v3, v3, s[0:3], 0 offen offset:12
	v_lshl_add_u32 v4, v43, 4, v40
	s_cmp_lt_i32 s64, 15
	s_waitcnt vmcnt(0)
	ds_write2_b64 v4, v[0:1], v[2:3] offset1:1
	s_waitcnt lgkmcnt(0)
	s_barrier
	ds_read2_b64 v[0:3], v40 offset0:26 offset1:27
	v_mov_b32_e32 v4, 13
	s_cbranch_scc1 .LBB120_322
; %bb.320:
	v_add_u32_e32 v5, 0xe0, v40
	s_mov_b32 s16, 14
	v_mov_b32_e32 v4, 13
.LBB120_321:                            ; =>This Inner Loop Header: Depth=1
	s_waitcnt lgkmcnt(0)
	v_cmp_gt_f64_e32 vcc, 0, v[2:3]
	v_cmp_gt_f64_e64 s[4:5], 0, v[0:1]
	ds_read2_b64 v[10:13], v5 offset1:1
	v_xor_b32_e32 v15, 0x80000000, v1
	v_xor_b32_e32 v17, 0x80000000, v3
	v_mov_b32_e32 v14, v0
	v_mov_b32_e32 v16, v2
	s_waitcnt lgkmcnt(0)
	v_xor_b32_e32 v19, 0x80000000, v13
	v_cndmask_b32_e32 v17, v3, v17, vcc
	v_cndmask_b32_e64 v15, v1, v15, s[4:5]
	v_cmp_gt_f64_e32 vcc, 0, v[12:13]
	v_cmp_gt_f64_e64 s[4:5], 0, v[10:11]
	v_add_f64 v[14:15], v[14:15], v[16:17]
	v_xor_b32_e32 v17, 0x80000000, v11
	v_mov_b32_e32 v16, v10
	v_mov_b32_e32 v18, v12
	v_add_u32_e32 v5, 16, v5
	v_cndmask_b32_e32 v19, v13, v19, vcc
	v_cndmask_b32_e64 v17, v11, v17, s[4:5]
	v_add_f64 v[16:17], v[16:17], v[18:19]
	v_mov_b32_e32 v18, s16
	s_add_i32 s16, s16, 1
	s_cmp_lg_u32 s64, s16
	v_cmp_lt_f64_e32 vcc, v[14:15], v[16:17]
	v_cndmask_b32_e32 v1, v1, v11, vcc
	v_cndmask_b32_e32 v0, v0, v10, vcc
	;; [unrolled: 1-line block ×5, first 2 shown]
	s_cbranch_scc1 .LBB120_321
.LBB120_322:
	s_waitcnt lgkmcnt(0)
	v_cmp_eq_f64_e32 vcc, 0, v[0:1]
	v_cmp_eq_f64_e64 s[4:5], 0, v[2:3]
	s_and_b64 s[4:5], vcc, s[4:5]
	s_and_saveexec_b64 s[16:17], s[4:5]
	s_xor_b64 s[4:5], exec, s[16:17]
; %bb.323:
	v_cmp_ne_u32_e32 vcc, 0, v41
	v_cndmask_b32_e32 v41, 14, v41, vcc
; %bb.324:
	s_andn2_saveexec_b64 s[4:5], s[4:5]
	s_cbranch_execz .LBB120_330
; %bb.325:
	v_cmp_ngt_f64_e64 s[16:17], |v[0:1]|, |v[2:3]|
	s_and_saveexec_b64 s[18:19], s[16:17]
	s_xor_b64 s[18:19], exec, s[18:19]
	s_cbranch_execz .LBB120_327
; %bb.326:
	v_div_scale_f64 v[10:11], s[16:17], v[2:3], v[2:3], v[0:1]
	v_rcp_f64_e32 v[12:13], v[10:11]
	v_fma_f64 v[14:15], -v[10:11], v[12:13], 1.0
	v_fma_f64 v[12:13], v[12:13], v[14:15], v[12:13]
	v_div_scale_f64 v[14:15], vcc, v[0:1], v[2:3], v[0:1]
	v_fma_f64 v[16:17], -v[10:11], v[12:13], 1.0
	v_fma_f64 v[12:13], v[12:13], v[16:17], v[12:13]
	v_mul_f64 v[16:17], v[14:15], v[12:13]
	v_fma_f64 v[10:11], -v[10:11], v[16:17], v[14:15]
	v_div_fmas_f64 v[10:11], v[10:11], v[12:13], v[16:17]
	v_div_fixup_f64 v[10:11], v[10:11], v[2:3], v[0:1]
	v_fma_f64 v[0:1], v[0:1], v[10:11], v[2:3]
	v_div_scale_f64 v[2:3], s[16:17], v[0:1], v[0:1], 1.0
	v_div_scale_f64 v[16:17], vcc, 1.0, v[0:1], 1.0
	v_rcp_f64_e32 v[12:13], v[2:3]
	v_fma_f64 v[14:15], -v[2:3], v[12:13], 1.0
	v_fma_f64 v[12:13], v[12:13], v[14:15], v[12:13]
	v_fma_f64 v[14:15], -v[2:3], v[12:13], 1.0
	v_fma_f64 v[12:13], v[12:13], v[14:15], v[12:13]
	v_mul_f64 v[14:15], v[16:17], v[12:13]
	v_fma_f64 v[2:3], -v[2:3], v[14:15], v[16:17]
	v_div_fmas_f64 v[2:3], v[2:3], v[12:13], v[14:15]
	v_div_fixup_f64 v[2:3], v[2:3], v[0:1], 1.0
	v_mul_f64 v[0:1], v[10:11], v[2:3]
	v_xor_b32_e32 v3, 0x80000000, v3
.LBB120_327:
	s_andn2_saveexec_b64 s[18:19], s[18:19]
	s_cbranch_execz .LBB120_329
; %bb.328:
	v_div_scale_f64 v[10:11], s[16:17], v[0:1], v[0:1], v[2:3]
	v_rcp_f64_e32 v[12:13], v[10:11]
	v_fma_f64 v[14:15], -v[10:11], v[12:13], 1.0
	v_fma_f64 v[12:13], v[12:13], v[14:15], v[12:13]
	v_div_scale_f64 v[14:15], vcc, v[2:3], v[0:1], v[2:3]
	v_fma_f64 v[16:17], -v[10:11], v[12:13], 1.0
	v_fma_f64 v[12:13], v[12:13], v[16:17], v[12:13]
	v_mul_f64 v[16:17], v[14:15], v[12:13]
	v_fma_f64 v[10:11], -v[10:11], v[16:17], v[14:15]
	v_div_fmas_f64 v[10:11], v[10:11], v[12:13], v[16:17]
	v_div_fixup_f64 v[10:11], v[10:11], v[0:1], v[2:3]
	v_fma_f64 v[0:1], v[2:3], v[10:11], v[0:1]
	v_div_scale_f64 v[2:3], s[16:17], v[0:1], v[0:1], 1.0
	v_div_scale_f64 v[16:17], vcc, 1.0, v[0:1], 1.0
	v_rcp_f64_e32 v[12:13], v[2:3]
	v_fma_f64 v[14:15], -v[2:3], v[12:13], 1.0
	v_fma_f64 v[12:13], v[12:13], v[14:15], v[12:13]
	v_fma_f64 v[14:15], -v[2:3], v[12:13], 1.0
	v_fma_f64 v[12:13], v[12:13], v[14:15], v[12:13]
	v_mul_f64 v[14:15], v[16:17], v[12:13]
	v_fma_f64 v[2:3], -v[2:3], v[14:15], v[16:17]
	v_div_fmas_f64 v[2:3], v[2:3], v[12:13], v[14:15]
	v_div_fixup_f64 v[0:1], v[2:3], v[0:1], 1.0
	v_mul_f64 v[2:3], v[10:11], -v[0:1]
.LBB120_329:
	s_or_b64 exec, exec, s[18:19]
.LBB120_330:
	s_or_b64 exec, exec, s[4:5]
	v_cmp_ne_u32_e32 vcc, v43, v4
	s_and_saveexec_b64 s[4:5], vcc
	s_xor_b64 s[4:5], exec, s[4:5]
	s_cbranch_execz .LBB120_336
; %bb.331:
	v_cmp_eq_u32_e32 vcc, 13, v43
	s_and_saveexec_b64 s[18:19], vcc
	s_cbranch_execz .LBB120_335
; %bb.332:
	v_cmp_ne_u32_e32 vcc, 13, v4
	s_xor_b64 s[16:17], s[22:23], -1
	s_and_b64 s[16:17], s[16:17], vcc
	s_and_saveexec_b64 s[24:25], s[16:17]
	s_cbranch_execz .LBB120_334
; %bb.333:
	v_ashrrev_i32_e32 v5, 31, v4
	v_lshlrev_b64 v[10:11], 2, v[4:5]
	v_add_co_u32_e32 v10, vcc, v8, v10
	v_addc_co_u32_e32 v11, vcc, v9, v11, vcc
	global_load_dword v5, v[10:11], off
	global_load_dword v12, v[8:9], off offset:52
	s_waitcnt vmcnt(1)
	global_store_dword v[8:9], v5, off offset:52
	s_waitcnt vmcnt(1)
	global_store_dword v[10:11], v12, off
.LBB120_334:
	s_or_b64 exec, exec, s[24:25]
	v_mov_b32_e32 v43, v4
	v_mov_b32_e32 v42, v4
.LBB120_335:
	s_or_b64 exec, exec, s[18:19]
.LBB120_336:
	s_andn2_saveexec_b64 s[4:5], s[4:5]
	s_cbranch_execz .LBB120_342
; %bb.337:
	s_movk_i32 s16, 0xe0
	s_branch .LBB120_339
.LBB120_338:                            ;   in Loop: Header=BB120_339 Depth=1
	s_andn2_b64 vcc, exec, s[18:19]
	s_cbranch_vccz .LBB120_341
.LBB120_339:                            ; =>This Inner Loop Header: Depth=1
	v_mov_b32_e32 v4, s16
	buffer_load_dword v10, v4, s[0:3], 0 offen
	buffer_load_dword v11, v4, s[0:3], 0 offen offset:4
	buffer_load_dword v12, v4, s[0:3], 0 offen offset:8
	;; [unrolled: 1-line block ×27, first 2 shown]
	s_mov_b32 s17, s16
	v_add_u32_e32 v4, s16, v40
	s_cmpk_eq_i32 s16, 0x360
	s_mov_b64 s[18:19], -1
	s_waitcnt vmcnt(24)
	ds_write2_b64 v4, v[10:11], v[12:13] offset1:1
	s_waitcnt vmcnt(20)
	ds_write2_b64 v4, v[14:15], v[16:17] offset0:2 offset1:3
	s_waitcnt vmcnt(16)
	ds_write2_b64 v4, v[18:19], v[20:21] offset0:4 offset1:5
	;; [unrolled: 2-line block ×4, first 2 shown]
	ds_write2_b64 v4, v[30:31], v[28:29] offset0:10 offset1:11
	s_waitcnt vmcnt(0)
	ds_write2_b64 v4, v[36:37], v[34:35] offset0:12 offset1:13
	s_cbranch_scc1 .LBB120_338
; %bb.340:                              ;   in Loop: Header=BB120_339 Depth=1
	v_mov_b32_e32 v5, s17
	buffer_load_dword v10, v5, s[0:3], 0 offen offset:112
	buffer_load_dword v11, v5, s[0:3], 0 offen offset:116
	;; [unrolled: 1-line block ×4, first 2 shown]
	s_addk_i32 s16, 0x80
	s_mov_b64 s[18:19], 0
	s_waitcnt vmcnt(0)
	ds_write2_b64 v4, v[10:11], v[12:13] offset0:14 offset1:15
	s_branch .LBB120_338
.LBB120_341:
	v_mov_b32_e32 v43, 13
.LBB120_342:
	s_or_b64 exec, exec, s[4:5]
	v_cmp_lt_i32_e32 vcc, 13, v43
	s_waitcnt vmcnt(0) lgkmcnt(0)
	s_barrier
	s_and_saveexec_b64 s[4:5], vcc
	s_cbranch_execz .LBB120_347
; %bb.343:
	buffer_load_dword v4, off, s[0:3], 0 offset:216
	buffer_load_dword v5, off, s[0:3], 0 offset:220
	;; [unrolled: 1-line block ×4, first 2 shown]
	s_movk_i32 s24, 0xe0
	s_waitcnt vmcnt(2)
	v_mul_f64 v[12:13], v[2:3], v[4:5]
	v_mul_f64 v[4:5], v[0:1], v[4:5]
	s_waitcnt vmcnt(0)
	v_fma_f64 v[0:1], v[0:1], v[10:11], -v[12:13]
	v_fma_f64 v[2:3], v[2:3], v[10:11], v[4:5]
	buffer_store_dword v0, off, s[0:3], 0 offset:208
	buffer_store_dword v1, off, s[0:3], 0 offset:212
	;; [unrolled: 1-line block ×4, first 2 shown]
	s_branch .LBB120_345
.LBB120_344:                            ;   in Loop: Header=BB120_345 Depth=1
	s_andn2_b64 vcc, exec, s[18:19]
	s_cbranch_vccz .LBB120_347
.LBB120_345:                            ; =>This Inner Loop Header: Depth=1
	v_mov_b32_e32 v5, s24
	buffer_load_dword v18, v5, s[0:3], 0 offen
	buffer_load_dword v19, v5, s[0:3], 0 offen offset:4
	buffer_load_dword v20, v5, s[0:3], 0 offen offset:8
	;; [unrolled: 1-line block ×3, first 2 shown]
	v_add_u32_e32 v4, s24, v40
	ds_read2_b64 v[10:13], v4 offset1:1
	ds_read2_b64 v[14:17], v4 offset0:2 offset1:3
	s_mov_b32 s16, s24
	s_cmpk_eq_i32 s24, 0x3a0
	s_mov_b64 s[18:19], -1
	s_waitcnt vmcnt(5) lgkmcnt(1)
	v_mul_f64 v[22:23], v[12:13], v[2:3]
	v_mul_f64 v[2:3], v[10:11], v[2:3]
	s_waitcnt vmcnt(4)
	v_fma_f64 v[10:11], v[10:11], v[0:1], -v[22:23]
	v_fma_f64 v[0:1], v[12:13], v[0:1], v[2:3]
	buffer_load_dword v2, v5, s[0:3], 0 offen offset:20
	buffer_load_dword v12, v5, s[0:3], 0 offen offset:28
	;; [unrolled: 1-line block ×3, first 2 shown]
	s_waitcnt vmcnt(5)
	v_add_f64 v[10:11], v[18:19], -v[10:11]
	s_waitcnt vmcnt(3)
	v_add_f64 v[0:1], v[20:21], -v[0:1]
	buffer_store_dword v11, v5, s[0:3], 0 offen offset:4
	buffer_store_dword v10, v5, s[0:3], 0 offen
	buffer_store_dword v1, v5, s[0:3], 0 offen offset:12
	buffer_store_dword v0, v5, s[0:3], 0 offen offset:8
	buffer_load_dword v11, v5, s[0:3], 0 offen offset:24
	s_nop 0
	buffer_load_dword v18, v5, s[0:3], 0 offen offset:36
	buffer_load_dword v20, off, s[0:3], 0 offset:220
	buffer_load_dword v19, off, s[0:3], 0 offset:216
	;; [unrolled: 1-line block ×4, first 2 shown]
	buffer_load_dword v1, v5, s[0:3], 0 offen offset:16
	s_waitcnt vmcnt(3) lgkmcnt(0)
	v_mul_f64 v[23:24], v[16:17], v[19:20]
	v_mul_f64 v[19:20], v[14:15], v[19:20]
	s_waitcnt vmcnt(1)
	v_fma_f64 v[14:15], v[14:15], v[21:22], -v[23:24]
	v_fma_f64 v[16:17], v[16:17], v[21:22], v[19:20]
	s_waitcnt vmcnt(0)
	v_add_f64 v[0:1], v[1:2], -v[14:15]
	v_add_f64 v[2:3], v[11:12], -v[16:17]
	buffer_store_dword v1, v5, s[0:3], 0 offen offset:20
	buffer_store_dword v0, v5, s[0:3], 0 offen offset:16
	;; [unrolled: 1-line block ×4, first 2 shown]
	buffer_load_dword v14, v5, s[0:3], 0 offen offset:44
	buffer_load_dword v10, off, s[0:3], 0 offset:216
	buffer_load_dword v11, off, s[0:3], 0 offset:220
	;; [unrolled: 1-line block ×4, first 2 shown]
	buffer_load_dword v17, v5, s[0:3], 0 offen offset:32
	ds_read2_b64 v[0:3], v4 offset0:4 offset1:5
	s_waitcnt vmcnt(3) lgkmcnt(0)
	v_mul_f64 v[19:20], v[2:3], v[10:11]
	v_mul_f64 v[10:11], v[0:1], v[10:11]
	s_waitcnt vmcnt(1)
	v_fma_f64 v[0:1], v[0:1], v[15:16], -v[19:20]
	v_fma_f64 v[2:3], v[2:3], v[15:16], v[10:11]
	s_waitcnt vmcnt(0)
	v_add_f64 v[0:1], v[17:18], -v[0:1]
	v_add_f64 v[2:3], v[13:14], -v[2:3]
	buffer_store_dword v1, v5, s[0:3], 0 offen offset:36
	buffer_store_dword v0, v5, s[0:3], 0 offen offset:32
	;; [unrolled: 1-line block ×4, first 2 shown]
                                        ; implicit-def: $vgpr0_vgpr1
                                        ; implicit-def: $vgpr2_vgpr3
	s_cbranch_scc1 .LBB120_344
; %bb.346:                              ;   in Loop: Header=BB120_345 Depth=1
	buffer_load_dword v10, off, s[0:3], 0 offset:216
	buffer_load_dword v11, off, s[0:3], 0 offset:220
	;; [unrolled: 1-line block ×4, first 2 shown]
	v_mov_b32_e32 v18, s16
	buffer_load_dword v14, v18, s[0:3], 0 offen offset:48
	buffer_load_dword v15, v18, s[0:3], 0 offen offset:52
	buffer_load_dword v16, v18, s[0:3], 0 offen offset:56
	buffer_load_dword v17, v18, s[0:3], 0 offen offset:60
	ds_read2_b64 v[0:3], v4 offset0:6 offset1:7
	s_add_i32 s24, s24, 64
	s_mov_b64 s[18:19], 0
	s_waitcnt vmcnt(6) lgkmcnt(0)
	v_mul_f64 v[4:5], v[2:3], v[10:11]
	v_mul_f64 v[10:11], v[0:1], v[10:11]
	s_waitcnt vmcnt(4)
	v_fma_f64 v[0:1], v[0:1], v[12:13], -v[4:5]
	v_fma_f64 v[2:3], v[2:3], v[12:13], v[10:11]
	s_waitcnt vmcnt(2)
	v_add_f64 v[0:1], v[14:15], -v[0:1]
	s_waitcnt vmcnt(0)
	v_add_f64 v[2:3], v[16:17], -v[2:3]
	buffer_store_dword v1, v18, s[0:3], 0 offen offset:52
	buffer_store_dword v0, v18, s[0:3], 0 offen offset:48
	;; [unrolled: 1-line block ×4, first 2 shown]
	buffer_load_dword v1, off, s[0:3], 0 offset:212
	s_nop 0
	buffer_load_dword v3, off, s[0:3], 0 offset:220
	buffer_load_dword v2, off, s[0:3], 0 offset:216
	;; [unrolled: 1-line block ×3, first 2 shown]
	s_branch .LBB120_344
.LBB120_347:
	s_or_b64 exec, exec, s[4:5]
	s_waitcnt vmcnt(2)
	v_mov_b32_e32 v3, s72
	s_waitcnt vmcnt(0)
	s_barrier
	buffer_load_dword v0, v3, s[0:3], 0 offen
	buffer_load_dword v1, v3, s[0:3], 0 offen offset:4
	buffer_load_dword v2, v3, s[0:3], 0 offen offset:8
	s_nop 0
	buffer_load_dword v3, v3, s[0:3], 0 offen offset:12
	v_lshl_add_u32 v4, v43, 4, v40
	s_cmp_lt_i32 s64, 16
	s_waitcnt vmcnt(0)
	ds_write2_b64 v4, v[0:1], v[2:3] offset1:1
	s_waitcnt lgkmcnt(0)
	s_barrier
	ds_read2_b64 v[0:3], v40 offset0:28 offset1:29
	v_mov_b32_e32 v4, 14
	s_cbranch_scc1 .LBB120_350
; %bb.348:
	v_add_u32_e32 v5, 0xf0, v40
	s_mov_b32 s16, 15
	v_mov_b32_e32 v4, 14
.LBB120_349:                            ; =>This Inner Loop Header: Depth=1
	s_waitcnt lgkmcnt(0)
	v_cmp_gt_f64_e32 vcc, 0, v[2:3]
	v_cmp_gt_f64_e64 s[4:5], 0, v[0:1]
	ds_read2_b64 v[10:13], v5 offset1:1
	v_xor_b32_e32 v15, 0x80000000, v1
	v_xor_b32_e32 v17, 0x80000000, v3
	v_mov_b32_e32 v14, v0
	v_mov_b32_e32 v16, v2
	s_waitcnt lgkmcnt(0)
	v_xor_b32_e32 v19, 0x80000000, v13
	v_cndmask_b32_e32 v17, v3, v17, vcc
	v_cndmask_b32_e64 v15, v1, v15, s[4:5]
	v_cmp_gt_f64_e32 vcc, 0, v[12:13]
	v_cmp_gt_f64_e64 s[4:5], 0, v[10:11]
	v_add_f64 v[14:15], v[14:15], v[16:17]
	v_xor_b32_e32 v17, 0x80000000, v11
	v_mov_b32_e32 v16, v10
	v_mov_b32_e32 v18, v12
	v_add_u32_e32 v5, 16, v5
	v_cndmask_b32_e32 v19, v13, v19, vcc
	v_cndmask_b32_e64 v17, v11, v17, s[4:5]
	v_add_f64 v[16:17], v[16:17], v[18:19]
	v_mov_b32_e32 v18, s16
	s_add_i32 s16, s16, 1
	s_cmp_lg_u32 s64, s16
	v_cmp_lt_f64_e32 vcc, v[14:15], v[16:17]
	v_cndmask_b32_e32 v1, v1, v11, vcc
	v_cndmask_b32_e32 v0, v0, v10, vcc
	;; [unrolled: 1-line block ×5, first 2 shown]
	s_cbranch_scc1 .LBB120_349
.LBB120_350:
	s_waitcnt lgkmcnt(0)
	v_cmp_eq_f64_e32 vcc, 0, v[0:1]
	v_cmp_eq_f64_e64 s[4:5], 0, v[2:3]
	s_and_b64 s[4:5], vcc, s[4:5]
	s_and_saveexec_b64 s[16:17], s[4:5]
	s_xor_b64 s[4:5], exec, s[16:17]
; %bb.351:
	v_cmp_ne_u32_e32 vcc, 0, v41
	v_cndmask_b32_e32 v41, 15, v41, vcc
; %bb.352:
	s_andn2_saveexec_b64 s[4:5], s[4:5]
	s_cbranch_execz .LBB120_358
; %bb.353:
	v_cmp_ngt_f64_e64 s[16:17], |v[0:1]|, |v[2:3]|
	s_and_saveexec_b64 s[18:19], s[16:17]
	s_xor_b64 s[18:19], exec, s[18:19]
	s_cbranch_execz .LBB120_355
; %bb.354:
	v_div_scale_f64 v[10:11], s[16:17], v[2:3], v[2:3], v[0:1]
	v_rcp_f64_e32 v[12:13], v[10:11]
	v_fma_f64 v[14:15], -v[10:11], v[12:13], 1.0
	v_fma_f64 v[12:13], v[12:13], v[14:15], v[12:13]
	v_div_scale_f64 v[14:15], vcc, v[0:1], v[2:3], v[0:1]
	v_fma_f64 v[16:17], -v[10:11], v[12:13], 1.0
	v_fma_f64 v[12:13], v[12:13], v[16:17], v[12:13]
	v_mul_f64 v[16:17], v[14:15], v[12:13]
	v_fma_f64 v[10:11], -v[10:11], v[16:17], v[14:15]
	v_div_fmas_f64 v[10:11], v[10:11], v[12:13], v[16:17]
	v_div_fixup_f64 v[10:11], v[10:11], v[2:3], v[0:1]
	v_fma_f64 v[0:1], v[0:1], v[10:11], v[2:3]
	v_div_scale_f64 v[2:3], s[16:17], v[0:1], v[0:1], 1.0
	v_div_scale_f64 v[16:17], vcc, 1.0, v[0:1], 1.0
	v_rcp_f64_e32 v[12:13], v[2:3]
	v_fma_f64 v[14:15], -v[2:3], v[12:13], 1.0
	v_fma_f64 v[12:13], v[12:13], v[14:15], v[12:13]
	v_fma_f64 v[14:15], -v[2:3], v[12:13], 1.0
	v_fma_f64 v[12:13], v[12:13], v[14:15], v[12:13]
	v_mul_f64 v[14:15], v[16:17], v[12:13]
	v_fma_f64 v[2:3], -v[2:3], v[14:15], v[16:17]
	v_div_fmas_f64 v[2:3], v[2:3], v[12:13], v[14:15]
	v_div_fixup_f64 v[2:3], v[2:3], v[0:1], 1.0
	v_mul_f64 v[0:1], v[10:11], v[2:3]
	v_xor_b32_e32 v3, 0x80000000, v3
.LBB120_355:
	s_andn2_saveexec_b64 s[18:19], s[18:19]
	s_cbranch_execz .LBB120_357
; %bb.356:
	v_div_scale_f64 v[10:11], s[16:17], v[0:1], v[0:1], v[2:3]
	v_rcp_f64_e32 v[12:13], v[10:11]
	v_fma_f64 v[14:15], -v[10:11], v[12:13], 1.0
	v_fma_f64 v[12:13], v[12:13], v[14:15], v[12:13]
	v_div_scale_f64 v[14:15], vcc, v[2:3], v[0:1], v[2:3]
	v_fma_f64 v[16:17], -v[10:11], v[12:13], 1.0
	v_fma_f64 v[12:13], v[12:13], v[16:17], v[12:13]
	v_mul_f64 v[16:17], v[14:15], v[12:13]
	v_fma_f64 v[10:11], -v[10:11], v[16:17], v[14:15]
	v_div_fmas_f64 v[10:11], v[10:11], v[12:13], v[16:17]
	v_div_fixup_f64 v[10:11], v[10:11], v[0:1], v[2:3]
	v_fma_f64 v[0:1], v[2:3], v[10:11], v[0:1]
	v_div_scale_f64 v[2:3], s[16:17], v[0:1], v[0:1], 1.0
	v_div_scale_f64 v[16:17], vcc, 1.0, v[0:1], 1.0
	v_rcp_f64_e32 v[12:13], v[2:3]
	v_fma_f64 v[14:15], -v[2:3], v[12:13], 1.0
	v_fma_f64 v[12:13], v[12:13], v[14:15], v[12:13]
	v_fma_f64 v[14:15], -v[2:3], v[12:13], 1.0
	v_fma_f64 v[12:13], v[12:13], v[14:15], v[12:13]
	v_mul_f64 v[14:15], v[16:17], v[12:13]
	v_fma_f64 v[2:3], -v[2:3], v[14:15], v[16:17]
	v_div_fmas_f64 v[2:3], v[2:3], v[12:13], v[14:15]
	v_div_fixup_f64 v[0:1], v[2:3], v[0:1], 1.0
	v_mul_f64 v[2:3], v[10:11], -v[0:1]
.LBB120_357:
	s_or_b64 exec, exec, s[18:19]
.LBB120_358:
	s_or_b64 exec, exec, s[4:5]
	v_cmp_ne_u32_e32 vcc, v43, v4
	s_and_saveexec_b64 s[4:5], vcc
	s_xor_b64 s[4:5], exec, s[4:5]
	s_cbranch_execz .LBB120_364
; %bb.359:
	v_cmp_eq_u32_e32 vcc, 14, v43
	s_and_saveexec_b64 s[18:19], vcc
	s_cbranch_execz .LBB120_363
; %bb.360:
	v_cmp_ne_u32_e32 vcc, 14, v4
	s_xor_b64 s[16:17], s[22:23], -1
	s_and_b64 s[16:17], s[16:17], vcc
	s_and_saveexec_b64 s[24:25], s[16:17]
	s_cbranch_execz .LBB120_362
; %bb.361:
	v_ashrrev_i32_e32 v5, 31, v4
	v_lshlrev_b64 v[10:11], 2, v[4:5]
	v_add_co_u32_e32 v10, vcc, v8, v10
	v_addc_co_u32_e32 v11, vcc, v9, v11, vcc
	global_load_dword v5, v[10:11], off
	global_load_dword v12, v[8:9], off offset:56
	s_waitcnt vmcnt(1)
	global_store_dword v[8:9], v5, off offset:56
	s_waitcnt vmcnt(1)
	global_store_dword v[10:11], v12, off
.LBB120_362:
	s_or_b64 exec, exec, s[24:25]
	v_mov_b32_e32 v43, v4
	v_mov_b32_e32 v42, v4
.LBB120_363:
	s_or_b64 exec, exec, s[18:19]
.LBB120_364:
	s_andn2_saveexec_b64 s[4:5], s[4:5]
	s_cbranch_execz .LBB120_368
; %bb.365:
	s_movk_i32 s16, 0xf0
.LBB120_366:                            ; =>This Inner Loop Header: Depth=1
	v_mov_b32_e32 v15, s16
	buffer_load_dword v4, v15, s[0:3], 0 offen
	buffer_load_dword v5, v15, s[0:3], 0 offen offset:4
	buffer_load_dword v10, v15, s[0:3], 0 offen offset:8
	;; [unrolled: 1-line block ×6, first 2 shown]
	s_nop 0
	buffer_load_dword v15, v15, s[0:3], 0 offen offset:28
	v_add_u32_e32 v16, s16, v40
	s_add_i32 s16, s16, 32
	s_cmpk_eq_i32 s16, 0x3d0
	s_waitcnt vmcnt(4)
	ds_write2_b64 v16, v[4:5], v[10:11] offset1:1
	s_waitcnt vmcnt(0)
	ds_write2_b64 v16, v[12:13], v[14:15] offset0:2 offset1:3
	s_cbranch_scc0 .LBB120_366
; %bb.367:
	v_mov_b32_e32 v43, 14
.LBB120_368:
	s_or_b64 exec, exec, s[4:5]
	v_cmp_lt_i32_e32 vcc, 14, v43
	s_waitcnt vmcnt(0) lgkmcnt(0)
	s_barrier
	s_and_saveexec_b64 s[4:5], vcc
	s_cbranch_execz .LBB120_371
; %bb.369:
	buffer_load_dword v4, off, s[0:3], 0 offset:232
	buffer_load_dword v5, off, s[0:3], 0 offset:236
	;; [unrolled: 1-line block ×4, first 2 shown]
	s_movk_i32 s16, 0xf0
	s_waitcnt vmcnt(2)
	v_mul_f64 v[12:13], v[2:3], v[4:5]
	v_mul_f64 v[4:5], v[0:1], v[4:5]
	s_waitcnt vmcnt(0)
	v_fma_f64 v[0:1], v[0:1], v[10:11], -v[12:13]
	v_fma_f64 v[2:3], v[2:3], v[10:11], v[4:5]
	buffer_store_dword v0, off, s[0:3], 0 offset:224
	buffer_store_dword v1, off, s[0:3], 0 offset:228
	;; [unrolled: 1-line block ×4, first 2 shown]
.LBB120_370:                            ; =>This Inner Loop Header: Depth=1
	buffer_load_dword v4, off, s[0:3], 0 offset:232
	buffer_load_dword v5, off, s[0:3], 0 offset:236
	;; [unrolled: 1-line block ×4, first 2 shown]
	v_mov_b32_e32 v26, s16
	buffer_load_dword v16, v26, s[0:3], 0 offen
	buffer_load_dword v17, v26, s[0:3], 0 offen offset:4
	buffer_load_dword v18, v26, s[0:3], 0 offen offset:8
	;; [unrolled: 1-line block ×3, first 2 shown]
	v_add_u32_e32 v10, s16, v40
	ds_read2_b64 v[0:3], v10 offset1:1
	buffer_load_dword v20, v26, s[0:3], 0 offen offset:16
	buffer_load_dword v21, v26, s[0:3], 0 offen offset:20
	;; [unrolled: 1-line block ×4, first 2 shown]
	ds_read2_b64 v[10:13], v10 offset0:2 offset1:3
	s_add_i32 s16, s16, 32
	s_cmpk_lg_i32 s16, 0x3d0
	s_waitcnt vmcnt(10) lgkmcnt(1)
	v_mul_f64 v[24:25], v[2:3], v[4:5]
	v_mul_f64 v[4:5], v[0:1], v[4:5]
	s_waitcnt vmcnt(8)
	v_fma_f64 v[0:1], v[0:1], v[14:15], -v[24:25]
	v_fma_f64 v[2:3], v[2:3], v[14:15], v[4:5]
	s_waitcnt vmcnt(6)
	v_add_f64 v[0:1], v[16:17], -v[0:1]
	s_waitcnt vmcnt(4)
	v_add_f64 v[2:3], v[18:19], -v[2:3]
	buffer_store_dword v1, v26, s[0:3], 0 offen offset:4
	buffer_store_dword v0, v26, s[0:3], 0 offen
	buffer_store_dword v3, v26, s[0:3], 0 offen offset:12
	buffer_store_dword v2, v26, s[0:3], 0 offen offset:8
	buffer_load_dword v1, off, s[0:3], 0 offset:236
	s_nop 0
	buffer_load_dword v0, off, s[0:3], 0 offset:232
	buffer_load_dword v3, off, s[0:3], 0 offset:228
	;; [unrolled: 1-line block ×3, first 2 shown]
	s_waitcnt vmcnt(2) lgkmcnt(0)
	v_mul_f64 v[4:5], v[12:13], v[0:1]
	v_mul_f64 v[0:1], v[10:11], v[0:1]
	s_waitcnt vmcnt(0)
	v_fma_f64 v[4:5], v[10:11], v[2:3], -v[4:5]
	v_fma_f64 v[0:1], v[12:13], v[2:3], v[0:1]
	v_add_f64 v[2:3], v[20:21], -v[4:5]
	v_add_f64 v[0:1], v[22:23], -v[0:1]
	buffer_store_dword v3, v26, s[0:3], 0 offen offset:20
	buffer_store_dword v2, v26, s[0:3], 0 offen offset:16
	;; [unrolled: 1-line block ×4, first 2 shown]
	s_cbranch_scc1 .LBB120_370
.LBB120_371:
	s_or_b64 exec, exec, s[4:5]
	v_mov_b32_e32 v3, s71
	s_waitcnt vmcnt(0)
	s_barrier
	buffer_load_dword v0, v3, s[0:3], 0 offen
	buffer_load_dword v1, v3, s[0:3], 0 offen offset:4
	buffer_load_dword v2, v3, s[0:3], 0 offen offset:8
	s_nop 0
	buffer_load_dword v3, v3, s[0:3], 0 offen offset:12
	v_lshl_add_u32 v4, v43, 4, v40
	s_cmp_lt_i32 s64, 17
	s_waitcnt vmcnt(0)
	ds_write2_b64 v4, v[0:1], v[2:3] offset1:1
	s_waitcnt lgkmcnt(0)
	s_barrier
	ds_read2_b64 v[0:3], v40 offset0:30 offset1:31
	v_mov_b32_e32 v4, 15
	s_cbranch_scc1 .LBB120_374
; %bb.372:
	v_add_u32_e32 v5, 0x100, v40
	s_mov_b32 s16, 16
	v_mov_b32_e32 v4, 15
.LBB120_373:                            ; =>This Inner Loop Header: Depth=1
	s_waitcnt lgkmcnt(0)
	v_cmp_gt_f64_e32 vcc, 0, v[2:3]
	v_cmp_gt_f64_e64 s[4:5], 0, v[0:1]
	ds_read2_b64 v[10:13], v5 offset1:1
	v_xor_b32_e32 v15, 0x80000000, v1
	v_xor_b32_e32 v17, 0x80000000, v3
	v_mov_b32_e32 v14, v0
	v_mov_b32_e32 v16, v2
	s_waitcnt lgkmcnt(0)
	v_xor_b32_e32 v19, 0x80000000, v13
	v_cndmask_b32_e32 v17, v3, v17, vcc
	v_cndmask_b32_e64 v15, v1, v15, s[4:5]
	v_cmp_gt_f64_e32 vcc, 0, v[12:13]
	v_cmp_gt_f64_e64 s[4:5], 0, v[10:11]
	v_add_f64 v[14:15], v[14:15], v[16:17]
	v_xor_b32_e32 v17, 0x80000000, v11
	v_mov_b32_e32 v16, v10
	v_mov_b32_e32 v18, v12
	v_add_u32_e32 v5, 16, v5
	v_cndmask_b32_e32 v19, v13, v19, vcc
	v_cndmask_b32_e64 v17, v11, v17, s[4:5]
	v_add_f64 v[16:17], v[16:17], v[18:19]
	v_mov_b32_e32 v18, s16
	s_add_i32 s16, s16, 1
	s_cmp_lg_u32 s64, s16
	v_cmp_lt_f64_e32 vcc, v[14:15], v[16:17]
	v_cndmask_b32_e32 v1, v1, v11, vcc
	v_cndmask_b32_e32 v0, v0, v10, vcc
	;; [unrolled: 1-line block ×5, first 2 shown]
	s_cbranch_scc1 .LBB120_373
.LBB120_374:
	s_waitcnt lgkmcnt(0)
	v_cmp_eq_f64_e32 vcc, 0, v[0:1]
	v_cmp_eq_f64_e64 s[4:5], 0, v[2:3]
	s_and_b64 s[4:5], vcc, s[4:5]
	s_and_saveexec_b64 s[16:17], s[4:5]
	s_xor_b64 s[4:5], exec, s[16:17]
; %bb.375:
	v_cmp_ne_u32_e32 vcc, 0, v41
	v_cndmask_b32_e32 v41, 16, v41, vcc
; %bb.376:
	s_andn2_saveexec_b64 s[4:5], s[4:5]
	s_cbranch_execz .LBB120_382
; %bb.377:
	v_cmp_ngt_f64_e64 s[16:17], |v[0:1]|, |v[2:3]|
	s_and_saveexec_b64 s[18:19], s[16:17]
	s_xor_b64 s[18:19], exec, s[18:19]
	s_cbranch_execz .LBB120_379
; %bb.378:
	v_div_scale_f64 v[10:11], s[16:17], v[2:3], v[2:3], v[0:1]
	v_rcp_f64_e32 v[12:13], v[10:11]
	v_fma_f64 v[14:15], -v[10:11], v[12:13], 1.0
	v_fma_f64 v[12:13], v[12:13], v[14:15], v[12:13]
	v_div_scale_f64 v[14:15], vcc, v[0:1], v[2:3], v[0:1]
	v_fma_f64 v[16:17], -v[10:11], v[12:13], 1.0
	v_fma_f64 v[12:13], v[12:13], v[16:17], v[12:13]
	v_mul_f64 v[16:17], v[14:15], v[12:13]
	v_fma_f64 v[10:11], -v[10:11], v[16:17], v[14:15]
	v_div_fmas_f64 v[10:11], v[10:11], v[12:13], v[16:17]
	v_div_fixup_f64 v[10:11], v[10:11], v[2:3], v[0:1]
	v_fma_f64 v[0:1], v[0:1], v[10:11], v[2:3]
	v_div_scale_f64 v[2:3], s[16:17], v[0:1], v[0:1], 1.0
	v_div_scale_f64 v[16:17], vcc, 1.0, v[0:1], 1.0
	v_rcp_f64_e32 v[12:13], v[2:3]
	v_fma_f64 v[14:15], -v[2:3], v[12:13], 1.0
	v_fma_f64 v[12:13], v[12:13], v[14:15], v[12:13]
	v_fma_f64 v[14:15], -v[2:3], v[12:13], 1.0
	v_fma_f64 v[12:13], v[12:13], v[14:15], v[12:13]
	v_mul_f64 v[14:15], v[16:17], v[12:13]
	v_fma_f64 v[2:3], -v[2:3], v[14:15], v[16:17]
	v_div_fmas_f64 v[2:3], v[2:3], v[12:13], v[14:15]
	v_div_fixup_f64 v[2:3], v[2:3], v[0:1], 1.0
	v_mul_f64 v[0:1], v[10:11], v[2:3]
	v_xor_b32_e32 v3, 0x80000000, v3
.LBB120_379:
	s_andn2_saveexec_b64 s[18:19], s[18:19]
	s_cbranch_execz .LBB120_381
; %bb.380:
	v_div_scale_f64 v[10:11], s[16:17], v[0:1], v[0:1], v[2:3]
	v_rcp_f64_e32 v[12:13], v[10:11]
	v_fma_f64 v[14:15], -v[10:11], v[12:13], 1.0
	v_fma_f64 v[12:13], v[12:13], v[14:15], v[12:13]
	v_div_scale_f64 v[14:15], vcc, v[2:3], v[0:1], v[2:3]
	v_fma_f64 v[16:17], -v[10:11], v[12:13], 1.0
	v_fma_f64 v[12:13], v[12:13], v[16:17], v[12:13]
	v_mul_f64 v[16:17], v[14:15], v[12:13]
	v_fma_f64 v[10:11], -v[10:11], v[16:17], v[14:15]
	v_div_fmas_f64 v[10:11], v[10:11], v[12:13], v[16:17]
	v_div_fixup_f64 v[10:11], v[10:11], v[0:1], v[2:3]
	v_fma_f64 v[0:1], v[2:3], v[10:11], v[0:1]
	v_div_scale_f64 v[2:3], s[16:17], v[0:1], v[0:1], 1.0
	v_div_scale_f64 v[16:17], vcc, 1.0, v[0:1], 1.0
	v_rcp_f64_e32 v[12:13], v[2:3]
	v_fma_f64 v[14:15], -v[2:3], v[12:13], 1.0
	v_fma_f64 v[12:13], v[12:13], v[14:15], v[12:13]
	v_fma_f64 v[14:15], -v[2:3], v[12:13], 1.0
	v_fma_f64 v[12:13], v[12:13], v[14:15], v[12:13]
	v_mul_f64 v[14:15], v[16:17], v[12:13]
	v_fma_f64 v[2:3], -v[2:3], v[14:15], v[16:17]
	v_div_fmas_f64 v[2:3], v[2:3], v[12:13], v[14:15]
	v_div_fixup_f64 v[0:1], v[2:3], v[0:1], 1.0
	v_mul_f64 v[2:3], v[10:11], -v[0:1]
.LBB120_381:
	s_or_b64 exec, exec, s[18:19]
.LBB120_382:
	s_or_b64 exec, exec, s[4:5]
	v_cmp_ne_u32_e32 vcc, v43, v4
	s_and_saveexec_b64 s[4:5], vcc
	s_xor_b64 s[4:5], exec, s[4:5]
	s_cbranch_execz .LBB120_388
; %bb.383:
	v_cmp_eq_u32_e32 vcc, 15, v43
	s_and_saveexec_b64 s[18:19], vcc
	s_cbranch_execz .LBB120_387
; %bb.384:
	v_cmp_ne_u32_e32 vcc, 15, v4
	s_xor_b64 s[16:17], s[22:23], -1
	s_and_b64 s[16:17], s[16:17], vcc
	s_and_saveexec_b64 s[24:25], s[16:17]
	s_cbranch_execz .LBB120_386
; %bb.385:
	v_ashrrev_i32_e32 v5, 31, v4
	v_lshlrev_b64 v[10:11], 2, v[4:5]
	v_add_co_u32_e32 v10, vcc, v8, v10
	v_addc_co_u32_e32 v11, vcc, v9, v11, vcc
	global_load_dword v5, v[10:11], off
	global_load_dword v12, v[8:9], off offset:60
	s_waitcnt vmcnt(1)
	global_store_dword v[8:9], v5, off offset:60
	s_waitcnt vmcnt(1)
	global_store_dword v[10:11], v12, off
.LBB120_386:
	s_or_b64 exec, exec, s[24:25]
	v_mov_b32_e32 v43, v4
	v_mov_b32_e32 v42, v4
.LBB120_387:
	s_or_b64 exec, exec, s[18:19]
.LBB120_388:
	s_andn2_saveexec_b64 s[4:5], s[4:5]
	s_cbranch_execz .LBB120_392
; %bb.389:
	s_movk_i32 s18, 0x100
.LBB120_390:                            ; =>This Inner Loop Header: Depth=1
	v_mov_b32_e32 v24, s18
	buffer_load_dword v4, v24, s[0:3], 0 offen
	buffer_load_dword v5, v24, s[0:3], 0 offen offset:4
	buffer_load_dword v10, v24, s[0:3], 0 offen offset:8
	;; [unrolled: 1-line block ×15, first 2 shown]
	v_add_u32_e32 v25, s18, v40
	s_addk_i32 s18, 0xf0
	s_cmpk_eq_i32 s18, 0x3d0
	s_waitcnt vmcnt(12)
	ds_write2_b64 v25, v[4:5], v[10:11] offset1:1
	s_waitcnt vmcnt(8)
	ds_write2_b64 v25, v[12:13], v[14:15] offset0:2 offset1:3
	s_waitcnt vmcnt(4)
	ds_write2_b64 v25, v[16:17], v[18:19] offset0:4 offset1:5
	;; [unrolled: 2-line block ×3, first 2 shown]
	buffer_load_dword v5, v24, s[0:3], 0 offen offset:76
	buffer_load_dword v4, v24, s[0:3], 0 offen offset:72
	buffer_load_dword v11, v24, s[0:3], 0 offen offset:68
	buffer_load_dword v10, v24, s[0:3], 0 offen offset:64
	s_waitcnt vmcnt(0)
	ds_write2_b64 v25, v[10:11], v[4:5] offset0:8 offset1:9
	buffer_load_dword v5, v24, s[0:3], 0 offen offset:92
	buffer_load_dword v4, v24, s[0:3], 0 offen offset:88
	buffer_load_dword v11, v24, s[0:3], 0 offen offset:84
	buffer_load_dword v10, v24, s[0:3], 0 offen offset:80
	s_waitcnt vmcnt(0)
	ds_write2_b64 v25, v[10:11], v[4:5] offset0:10 offset1:11
	;; [unrolled: 6-line block ×11, first 2 shown]
	s_cbranch_scc0 .LBB120_390
; %bb.391:
	v_mov_b32_e32 v43, 15
.LBB120_392:
	s_or_b64 exec, exec, s[4:5]
	v_cmp_lt_i32_e32 vcc, 15, v43
	s_waitcnt vmcnt(0) lgkmcnt(0)
	s_barrier
	s_and_saveexec_b64 s[4:5], vcc
	s_cbranch_execz .LBB120_395
; %bb.393:
	buffer_load_dword v4, off, s[0:3], 0 offset:248
	buffer_load_dword v5, off, s[0:3], 0 offset:252
	;; [unrolled: 1-line block ×4, first 2 shown]
	s_movk_i32 s18, 0x100
	s_waitcnt vmcnt(2)
	v_mul_f64 v[12:13], v[2:3], v[4:5]
	v_mul_f64 v[4:5], v[0:1], v[4:5]
	s_waitcnt vmcnt(0)
	v_fma_f64 v[0:1], v[0:1], v[10:11], -v[12:13]
	v_fma_f64 v[2:3], v[2:3], v[10:11], v[4:5]
	buffer_store_dword v0, off, s[0:3], 0 offset:240
	buffer_store_dword v1, off, s[0:3], 0 offset:244
	;; [unrolled: 1-line block ×4, first 2 shown]
.LBB120_394:                            ; =>This Inner Loop Header: Depth=1
	buffer_load_dword v4, off, s[0:3], 0 offset:248
	buffer_load_dword v5, off, s[0:3], 0 offset:252
	;; [unrolled: 1-line block ×4, first 2 shown]
	v_mov_b32_e32 v26, s18
	buffer_load_dword v16, v26, s[0:3], 0 offen
	buffer_load_dword v17, v26, s[0:3], 0 offen offset:4
	buffer_load_dword v18, v26, s[0:3], 0 offen offset:8
	;; [unrolled: 1-line block ×3, first 2 shown]
	v_add_u32_e32 v27, s18, v40
	ds_read2_b64 v[0:3], v27 offset1:1
	buffer_load_dword v20, v26, s[0:3], 0 offen offset:16
	buffer_load_dword v21, v26, s[0:3], 0 offen offset:20
	;; [unrolled: 1-line block ×4, first 2 shown]
	ds_read2_b64 v[10:13], v27 offset0:2 offset1:3
	s_addk_i32 s18, 0x50
	s_cmpk_lg_i32 s18, 0x3d0
	s_waitcnt vmcnt(10) lgkmcnt(1)
	v_mul_f64 v[24:25], v[2:3], v[4:5]
	v_mul_f64 v[4:5], v[0:1], v[4:5]
	s_waitcnt vmcnt(8)
	v_fma_f64 v[0:1], v[0:1], v[14:15], -v[24:25]
	v_fma_f64 v[2:3], v[2:3], v[14:15], v[4:5]
	s_waitcnt vmcnt(6)
	v_add_f64 v[0:1], v[16:17], -v[0:1]
	s_waitcnt vmcnt(4)
	v_add_f64 v[2:3], v[18:19], -v[2:3]
	buffer_store_dword v1, v26, s[0:3], 0 offen offset:4
	buffer_store_dword v0, v26, s[0:3], 0 offen
	buffer_store_dword v3, v26, s[0:3], 0 offen offset:12
	buffer_store_dword v2, v26, s[0:3], 0 offen offset:8
	buffer_load_dword v1, off, s[0:3], 0 offset:252
	s_nop 0
	buffer_load_dword v0, off, s[0:3], 0 offset:248
	buffer_load_dword v3, off, s[0:3], 0 offset:244
	;; [unrolled: 1-line block ×3, first 2 shown]
	buffer_load_dword v4, v26, s[0:3], 0 offen offset:32
	buffer_load_dword v5, v26, s[0:3], 0 offen offset:36
	;; [unrolled: 1-line block ×4, first 2 shown]
	s_waitcnt vmcnt(6) lgkmcnt(0)
	v_mul_f64 v[16:17], v[12:13], v[0:1]
	v_mul_f64 v[0:1], v[10:11], v[0:1]
	s_waitcnt vmcnt(4)
	v_fma_f64 v[10:11], v[10:11], v[2:3], -v[16:17]
	v_fma_f64 v[0:1], v[12:13], v[2:3], v[0:1]
	v_add_f64 v[2:3], v[20:21], -v[10:11]
	v_add_f64 v[0:1], v[22:23], -v[0:1]
	buffer_store_dword v3, v26, s[0:3], 0 offen offset:20
	buffer_store_dword v2, v26, s[0:3], 0 offen offset:16
	;; [unrolled: 1-line block ×4, first 2 shown]
	buffer_load_dword v16, off, s[0:3], 0 offset:248
	buffer_load_dword v17, off, s[0:3], 0 offset:252
	;; [unrolled: 1-line block ×4, first 2 shown]
	ds_read2_b64 v[0:3], v27 offset0:4 offset1:5
	ds_read2_b64 v[10:13], v27 offset0:6 offset1:7
	s_waitcnt vmcnt(2) lgkmcnt(1)
	v_mul_f64 v[20:21], v[2:3], v[16:17]
	v_mul_f64 v[16:17], v[0:1], v[16:17]
	s_waitcnt vmcnt(0)
	v_fma_f64 v[0:1], v[0:1], v[18:19], -v[20:21]
	v_fma_f64 v[2:3], v[2:3], v[18:19], v[16:17]
	v_add_f64 v[0:1], v[4:5], -v[0:1]
	v_add_f64 v[2:3], v[14:15], -v[2:3]
	buffer_store_dword v1, v26, s[0:3], 0 offen offset:36
	buffer_store_dword v0, v26, s[0:3], 0 offen offset:32
	buffer_store_dword v3, v26, s[0:3], 0 offen offset:44
	buffer_store_dword v2, v26, s[0:3], 0 offen offset:40
	buffer_load_dword v0, off, s[0:3], 0 offset:248
	s_nop 0
	buffer_load_dword v1, off, s[0:3], 0 offset:252
	buffer_load_dword v2, off, s[0:3], 0 offset:240
	buffer_load_dword v3, off, s[0:3], 0 offset:244
	buffer_load_dword v4, v26, s[0:3], 0 offen offset:48
	buffer_load_dword v5, v26, s[0:3], 0 offen offset:52
	;; [unrolled: 1-line block ×4, first 2 shown]
	s_waitcnt vmcnt(6) lgkmcnt(0)
	v_mul_f64 v[16:17], v[12:13], v[0:1]
	v_mul_f64 v[0:1], v[10:11], v[0:1]
	s_waitcnt vmcnt(4)
	v_fma_f64 v[10:11], v[10:11], v[2:3], -v[16:17]
	v_fma_f64 v[0:1], v[12:13], v[2:3], v[0:1]
	s_waitcnt vmcnt(2)
	v_add_f64 v[2:3], v[4:5], -v[10:11]
	s_waitcnt vmcnt(0)
	v_add_f64 v[0:1], v[14:15], -v[0:1]
	buffer_store_dword v3, v26, s[0:3], 0 offen offset:52
	buffer_store_dword v2, v26, s[0:3], 0 offen offset:48
	;; [unrolled: 1-line block ×4, first 2 shown]
	buffer_load_dword v4, off, s[0:3], 0 offset:248
	buffer_load_dword v5, off, s[0:3], 0 offset:252
	;; [unrolled: 1-line block ×4, first 2 shown]
	buffer_load_dword v12, v26, s[0:3], 0 offen offset:64
	buffer_load_dword v13, v26, s[0:3], 0 offen offset:68
	;; [unrolled: 1-line block ×4, first 2 shown]
	ds_read2_b64 v[0:3], v27 offset0:8 offset1:9
	s_waitcnt vmcnt(6) lgkmcnt(0)
	v_mul_f64 v[16:17], v[2:3], v[4:5]
	v_mul_f64 v[4:5], v[0:1], v[4:5]
	s_waitcnt vmcnt(4)
	v_fma_f64 v[0:1], v[0:1], v[10:11], -v[16:17]
	v_fma_f64 v[2:3], v[2:3], v[10:11], v[4:5]
	s_waitcnt vmcnt(2)
	v_add_f64 v[0:1], v[12:13], -v[0:1]
	s_waitcnt vmcnt(0)
	v_add_f64 v[2:3], v[14:15], -v[2:3]
	buffer_store_dword v1, v26, s[0:3], 0 offen offset:68
	buffer_store_dword v0, v26, s[0:3], 0 offen offset:64
	;; [unrolled: 1-line block ×4, first 2 shown]
	s_cbranch_scc1 .LBB120_394
.LBB120_395:
	s_or_b64 exec, exec, s[4:5]
	v_mov_b32_e32 v3, s70
	s_waitcnt vmcnt(0)
	s_barrier
	buffer_load_dword v0, v3, s[0:3], 0 offen
	buffer_load_dword v1, v3, s[0:3], 0 offen offset:4
	buffer_load_dword v2, v3, s[0:3], 0 offen offset:8
	s_nop 0
	buffer_load_dword v3, v3, s[0:3], 0 offen offset:12
	v_lshl_add_u32 v4, v43, 4, v40
	s_cmp_lt_i32 s64, 18
	s_waitcnt vmcnt(0)
	ds_write2_b64 v4, v[0:1], v[2:3] offset1:1
	s_waitcnt lgkmcnt(0)
	s_barrier
	ds_read2_b64 v[0:3], v40 offset0:32 offset1:33
	v_mov_b32_e32 v4, 16
	s_cbranch_scc1 .LBB120_398
; %bb.396:
	v_add_u32_e32 v5, 0x110, v40
	s_mov_b32 s16, 17
	v_mov_b32_e32 v4, 16
.LBB120_397:                            ; =>This Inner Loop Header: Depth=1
	s_waitcnt lgkmcnt(0)
	v_cmp_gt_f64_e32 vcc, 0, v[2:3]
	v_cmp_gt_f64_e64 s[4:5], 0, v[0:1]
	ds_read2_b64 v[10:13], v5 offset1:1
	v_xor_b32_e32 v15, 0x80000000, v1
	v_xor_b32_e32 v17, 0x80000000, v3
	v_mov_b32_e32 v14, v0
	v_mov_b32_e32 v16, v2
	s_waitcnt lgkmcnt(0)
	v_xor_b32_e32 v19, 0x80000000, v13
	v_cndmask_b32_e32 v17, v3, v17, vcc
	v_cndmask_b32_e64 v15, v1, v15, s[4:5]
	v_cmp_gt_f64_e32 vcc, 0, v[12:13]
	v_cmp_gt_f64_e64 s[4:5], 0, v[10:11]
	v_add_f64 v[14:15], v[14:15], v[16:17]
	v_xor_b32_e32 v17, 0x80000000, v11
	v_mov_b32_e32 v16, v10
	v_mov_b32_e32 v18, v12
	v_add_u32_e32 v5, 16, v5
	v_cndmask_b32_e32 v19, v13, v19, vcc
	v_cndmask_b32_e64 v17, v11, v17, s[4:5]
	v_add_f64 v[16:17], v[16:17], v[18:19]
	v_mov_b32_e32 v18, s16
	s_add_i32 s16, s16, 1
	s_cmp_lg_u32 s64, s16
	v_cmp_lt_f64_e32 vcc, v[14:15], v[16:17]
	v_cndmask_b32_e32 v1, v1, v11, vcc
	v_cndmask_b32_e32 v0, v0, v10, vcc
	;; [unrolled: 1-line block ×5, first 2 shown]
	s_cbranch_scc1 .LBB120_397
.LBB120_398:
	s_waitcnt lgkmcnt(0)
	v_cmp_eq_f64_e32 vcc, 0, v[0:1]
	v_cmp_eq_f64_e64 s[4:5], 0, v[2:3]
	s_and_b64 s[4:5], vcc, s[4:5]
	s_and_saveexec_b64 s[16:17], s[4:5]
	s_xor_b64 s[4:5], exec, s[16:17]
; %bb.399:
	v_cmp_ne_u32_e32 vcc, 0, v41
	v_cndmask_b32_e32 v41, 17, v41, vcc
; %bb.400:
	s_andn2_saveexec_b64 s[4:5], s[4:5]
	s_cbranch_execz .LBB120_406
; %bb.401:
	v_cmp_ngt_f64_e64 s[16:17], |v[0:1]|, |v[2:3]|
	s_and_saveexec_b64 s[18:19], s[16:17]
	s_xor_b64 s[18:19], exec, s[18:19]
	s_cbranch_execz .LBB120_403
; %bb.402:
	v_div_scale_f64 v[10:11], s[16:17], v[2:3], v[2:3], v[0:1]
	v_rcp_f64_e32 v[12:13], v[10:11]
	v_fma_f64 v[14:15], -v[10:11], v[12:13], 1.0
	v_fma_f64 v[12:13], v[12:13], v[14:15], v[12:13]
	v_div_scale_f64 v[14:15], vcc, v[0:1], v[2:3], v[0:1]
	v_fma_f64 v[16:17], -v[10:11], v[12:13], 1.0
	v_fma_f64 v[12:13], v[12:13], v[16:17], v[12:13]
	v_mul_f64 v[16:17], v[14:15], v[12:13]
	v_fma_f64 v[10:11], -v[10:11], v[16:17], v[14:15]
	v_div_fmas_f64 v[10:11], v[10:11], v[12:13], v[16:17]
	v_div_fixup_f64 v[10:11], v[10:11], v[2:3], v[0:1]
	v_fma_f64 v[0:1], v[0:1], v[10:11], v[2:3]
	v_div_scale_f64 v[2:3], s[16:17], v[0:1], v[0:1], 1.0
	v_div_scale_f64 v[16:17], vcc, 1.0, v[0:1], 1.0
	v_rcp_f64_e32 v[12:13], v[2:3]
	v_fma_f64 v[14:15], -v[2:3], v[12:13], 1.0
	v_fma_f64 v[12:13], v[12:13], v[14:15], v[12:13]
	v_fma_f64 v[14:15], -v[2:3], v[12:13], 1.0
	v_fma_f64 v[12:13], v[12:13], v[14:15], v[12:13]
	v_mul_f64 v[14:15], v[16:17], v[12:13]
	v_fma_f64 v[2:3], -v[2:3], v[14:15], v[16:17]
	v_div_fmas_f64 v[2:3], v[2:3], v[12:13], v[14:15]
	v_div_fixup_f64 v[2:3], v[2:3], v[0:1], 1.0
	v_mul_f64 v[0:1], v[10:11], v[2:3]
	v_xor_b32_e32 v3, 0x80000000, v3
.LBB120_403:
	s_andn2_saveexec_b64 s[18:19], s[18:19]
	s_cbranch_execz .LBB120_405
; %bb.404:
	v_div_scale_f64 v[10:11], s[16:17], v[0:1], v[0:1], v[2:3]
	v_rcp_f64_e32 v[12:13], v[10:11]
	v_fma_f64 v[14:15], -v[10:11], v[12:13], 1.0
	v_fma_f64 v[12:13], v[12:13], v[14:15], v[12:13]
	v_div_scale_f64 v[14:15], vcc, v[2:3], v[0:1], v[2:3]
	v_fma_f64 v[16:17], -v[10:11], v[12:13], 1.0
	v_fma_f64 v[12:13], v[12:13], v[16:17], v[12:13]
	v_mul_f64 v[16:17], v[14:15], v[12:13]
	v_fma_f64 v[10:11], -v[10:11], v[16:17], v[14:15]
	v_div_fmas_f64 v[10:11], v[10:11], v[12:13], v[16:17]
	v_div_fixup_f64 v[10:11], v[10:11], v[0:1], v[2:3]
	v_fma_f64 v[0:1], v[2:3], v[10:11], v[0:1]
	v_div_scale_f64 v[2:3], s[16:17], v[0:1], v[0:1], 1.0
	v_div_scale_f64 v[16:17], vcc, 1.0, v[0:1], 1.0
	v_rcp_f64_e32 v[12:13], v[2:3]
	v_fma_f64 v[14:15], -v[2:3], v[12:13], 1.0
	v_fma_f64 v[12:13], v[12:13], v[14:15], v[12:13]
	v_fma_f64 v[14:15], -v[2:3], v[12:13], 1.0
	v_fma_f64 v[12:13], v[12:13], v[14:15], v[12:13]
	v_mul_f64 v[14:15], v[16:17], v[12:13]
	v_fma_f64 v[2:3], -v[2:3], v[14:15], v[16:17]
	v_div_fmas_f64 v[2:3], v[2:3], v[12:13], v[14:15]
	v_div_fixup_f64 v[0:1], v[2:3], v[0:1], 1.0
	v_mul_f64 v[2:3], v[10:11], -v[0:1]
.LBB120_405:
	s_or_b64 exec, exec, s[18:19]
.LBB120_406:
	s_or_b64 exec, exec, s[4:5]
	v_cmp_ne_u32_e32 vcc, v43, v4
	s_and_saveexec_b64 s[4:5], vcc
	s_xor_b64 s[4:5], exec, s[4:5]
	s_cbranch_execz .LBB120_412
; %bb.407:
	v_cmp_eq_u32_e32 vcc, 16, v43
	s_and_saveexec_b64 s[18:19], vcc
	s_cbranch_execz .LBB120_411
; %bb.408:
	v_cmp_ne_u32_e32 vcc, 16, v4
	s_xor_b64 s[16:17], s[22:23], -1
	s_and_b64 s[16:17], s[16:17], vcc
	s_and_saveexec_b64 s[24:25], s[16:17]
	s_cbranch_execz .LBB120_410
; %bb.409:
	v_ashrrev_i32_e32 v5, 31, v4
	v_lshlrev_b64 v[10:11], 2, v[4:5]
	v_add_co_u32_e32 v10, vcc, v8, v10
	v_addc_co_u32_e32 v11, vcc, v9, v11, vcc
	global_load_dword v5, v[10:11], off
	global_load_dword v12, v[8:9], off offset:64
	s_waitcnt vmcnt(1)
	global_store_dword v[8:9], v5, off offset:64
	s_waitcnt vmcnt(1)
	global_store_dword v[10:11], v12, off
.LBB120_410:
	s_or_b64 exec, exec, s[24:25]
	v_mov_b32_e32 v43, v4
	v_mov_b32_e32 v42, v4
.LBB120_411:
	s_or_b64 exec, exec, s[18:19]
.LBB120_412:
	s_andn2_saveexec_b64 s[4:5], s[4:5]
	s_cbranch_execz .LBB120_416
; %bb.413:
	s_movk_i32 s16, 0x110
.LBB120_414:                            ; =>This Inner Loop Header: Depth=1
	v_mov_b32_e32 v56, s16
	buffer_load_dword v4, v56, s[0:3], 0 offen
	buffer_load_dword v5, v56, s[0:3], 0 offen offset:4
	buffer_load_dword v10, v56, s[0:3], 0 offen offset:8
	;; [unrolled: 1-line block ×42, first 2 shown]
	s_nop 0
	buffer_load_dword v56, v56, s[0:3], 0 offen offset:172
	v_add_u32_e32 v57, s16, v40
	s_addk_i32 s16, 0xb0
	s_cmpk_eq_i32 s16, 0x3d0
	s_waitcnt vmcnt(40)
	ds_write2_b64 v57, v[4:5], v[10:11] offset1:1
	s_waitcnt vmcnt(36)
	ds_write2_b64 v57, v[12:13], v[14:15] offset0:2 offset1:3
	s_waitcnt vmcnt(32)
	ds_write2_b64 v57, v[16:17], v[18:19] offset0:4 offset1:5
	;; [unrolled: 2-line block ×4, first 2 shown]
	ds_write2_b64 v57, v[28:29], v[26:27] offset0:10 offset1:11
	s_waitcnt vmcnt(12)
	ds_write2_b64 v57, v[43:44], v[32:33] offset0:12 offset1:13
	ds_write2_b64 v57, v[36:37], v[34:35] offset0:14 offset1:15
	s_waitcnt vmcnt(8)
	ds_write2_b64 v57, v[45:46], v[47:48] offset0:16 offset1:17
	s_waitcnt vmcnt(4)
	;; [unrolled: 2-line block ×3, first 2 shown]
	ds_write2_b64 v57, v[53:54], v[55:56] offset0:20 offset1:21
	s_cbranch_scc0 .LBB120_414
; %bb.415:
	v_mov_b32_e32 v43, 16
.LBB120_416:
	s_or_b64 exec, exec, s[4:5]
	v_cmp_lt_i32_e32 vcc, 16, v43
	s_waitcnt vmcnt(0) lgkmcnt(0)
	s_barrier
	s_and_saveexec_b64 s[4:5], vcc
	s_cbranch_execz .LBB120_419
; %bb.417:
	buffer_load_dword v4, off, s[0:3], 0 offset:264
	buffer_load_dword v5, off, s[0:3], 0 offset:268
	;; [unrolled: 1-line block ×4, first 2 shown]
	s_movk_i32 s18, 0x110
	s_waitcnt vmcnt(2)
	v_mul_f64 v[12:13], v[2:3], v[4:5]
	v_mul_f64 v[4:5], v[0:1], v[4:5]
	s_waitcnt vmcnt(0)
	v_fma_f64 v[0:1], v[0:1], v[10:11], -v[12:13]
	v_fma_f64 v[2:3], v[2:3], v[10:11], v[4:5]
	buffer_store_dword v0, off, s[0:3], 0 offset:256
	buffer_store_dword v1, off, s[0:3], 0 offset:260
	;; [unrolled: 1-line block ×4, first 2 shown]
.LBB120_418:                            ; =>This Inner Loop Header: Depth=1
	buffer_load_dword v4, off, s[0:3], 0 offset:264
	buffer_load_dword v5, off, s[0:3], 0 offset:268
	;; [unrolled: 1-line block ×4, first 2 shown]
	v_mov_b32_e32 v26, s18
	buffer_load_dword v16, v26, s[0:3], 0 offen
	buffer_load_dword v17, v26, s[0:3], 0 offen offset:4
	buffer_load_dword v18, v26, s[0:3], 0 offen offset:8
	;; [unrolled: 1-line block ×3, first 2 shown]
	v_add_u32_e32 v27, s18, v40
	ds_read2_b64 v[0:3], v27 offset1:1
	buffer_load_dword v20, v26, s[0:3], 0 offen offset:16
	buffer_load_dword v21, v26, s[0:3], 0 offen offset:20
	;; [unrolled: 1-line block ×4, first 2 shown]
	ds_read2_b64 v[10:13], v27 offset0:2 offset1:3
	s_add_i32 s18, s18, 64
	s_cmpk_lg_i32 s18, 0x3d0
	s_waitcnt vmcnt(10) lgkmcnt(1)
	v_mul_f64 v[24:25], v[2:3], v[4:5]
	v_mul_f64 v[4:5], v[0:1], v[4:5]
	s_waitcnt vmcnt(8)
	v_fma_f64 v[0:1], v[0:1], v[14:15], -v[24:25]
	v_fma_f64 v[2:3], v[2:3], v[14:15], v[4:5]
	s_waitcnt vmcnt(6)
	v_add_f64 v[0:1], v[16:17], -v[0:1]
	s_waitcnt vmcnt(4)
	v_add_f64 v[2:3], v[18:19], -v[2:3]
	buffer_store_dword v1, v26, s[0:3], 0 offen offset:4
	buffer_store_dword v0, v26, s[0:3], 0 offen
	buffer_store_dword v3, v26, s[0:3], 0 offen offset:12
	buffer_store_dword v2, v26, s[0:3], 0 offen offset:8
	buffer_load_dword v1, off, s[0:3], 0 offset:268
	s_nop 0
	buffer_load_dword v0, off, s[0:3], 0 offset:264
	buffer_load_dword v3, off, s[0:3], 0 offset:260
	;; [unrolled: 1-line block ×3, first 2 shown]
	buffer_load_dword v4, v26, s[0:3], 0 offen offset:32
	buffer_load_dword v5, v26, s[0:3], 0 offen offset:36
	;; [unrolled: 1-line block ×4, first 2 shown]
	s_waitcnt vmcnt(6) lgkmcnt(0)
	v_mul_f64 v[16:17], v[12:13], v[0:1]
	v_mul_f64 v[0:1], v[10:11], v[0:1]
	s_waitcnt vmcnt(4)
	v_fma_f64 v[10:11], v[10:11], v[2:3], -v[16:17]
	v_fma_f64 v[0:1], v[12:13], v[2:3], v[0:1]
	v_add_f64 v[2:3], v[20:21], -v[10:11]
	v_add_f64 v[0:1], v[22:23], -v[0:1]
	buffer_store_dword v3, v26, s[0:3], 0 offen offset:20
	buffer_store_dword v2, v26, s[0:3], 0 offen offset:16
	;; [unrolled: 1-line block ×4, first 2 shown]
	buffer_load_dword v16, off, s[0:3], 0 offset:264
	buffer_load_dword v17, off, s[0:3], 0 offset:268
	;; [unrolled: 1-line block ×4, first 2 shown]
	ds_read2_b64 v[0:3], v27 offset0:4 offset1:5
	ds_read2_b64 v[10:13], v27 offset0:6 offset1:7
	s_waitcnt vmcnt(2) lgkmcnt(1)
	v_mul_f64 v[20:21], v[2:3], v[16:17]
	v_mul_f64 v[16:17], v[0:1], v[16:17]
	s_waitcnt vmcnt(0)
	v_fma_f64 v[0:1], v[0:1], v[18:19], -v[20:21]
	v_fma_f64 v[2:3], v[2:3], v[18:19], v[16:17]
	v_add_f64 v[0:1], v[4:5], -v[0:1]
	v_add_f64 v[2:3], v[14:15], -v[2:3]
	buffer_store_dword v1, v26, s[0:3], 0 offen offset:36
	buffer_store_dword v0, v26, s[0:3], 0 offen offset:32
	;; [unrolled: 1-line block ×4, first 2 shown]
	buffer_load_dword v0, off, s[0:3], 0 offset:264
	s_nop 0
	buffer_load_dword v1, off, s[0:3], 0 offset:268
	buffer_load_dword v2, off, s[0:3], 0 offset:256
	;; [unrolled: 1-line block ×3, first 2 shown]
	buffer_load_dword v4, v26, s[0:3], 0 offen offset:48
	buffer_load_dword v5, v26, s[0:3], 0 offen offset:52
	;; [unrolled: 1-line block ×4, first 2 shown]
	s_waitcnt vmcnt(6) lgkmcnt(0)
	v_mul_f64 v[16:17], v[12:13], v[0:1]
	v_mul_f64 v[0:1], v[10:11], v[0:1]
	s_waitcnt vmcnt(4)
	v_fma_f64 v[10:11], v[10:11], v[2:3], -v[16:17]
	v_fma_f64 v[0:1], v[12:13], v[2:3], v[0:1]
	s_waitcnt vmcnt(2)
	v_add_f64 v[2:3], v[4:5], -v[10:11]
	s_waitcnt vmcnt(0)
	v_add_f64 v[0:1], v[14:15], -v[0:1]
	buffer_store_dword v3, v26, s[0:3], 0 offen offset:52
	buffer_store_dword v2, v26, s[0:3], 0 offen offset:48
	;; [unrolled: 1-line block ×4, first 2 shown]
	s_cbranch_scc1 .LBB120_418
.LBB120_419:
	s_or_b64 exec, exec, s[4:5]
	v_mov_b32_e32 v3, s69
	s_waitcnt vmcnt(0)
	s_barrier
	buffer_load_dword v0, v3, s[0:3], 0 offen
	buffer_load_dword v1, v3, s[0:3], 0 offen offset:4
	buffer_load_dword v2, v3, s[0:3], 0 offen offset:8
	s_nop 0
	buffer_load_dword v3, v3, s[0:3], 0 offen offset:12
	v_lshl_add_u32 v4, v43, 4, v40
	s_cmp_lt_i32 s64, 19
	s_waitcnt vmcnt(0)
	ds_write2_b64 v4, v[0:1], v[2:3] offset1:1
	s_waitcnt lgkmcnt(0)
	s_barrier
	ds_read2_b64 v[0:3], v40 offset0:34 offset1:35
	v_mov_b32_e32 v4, 17
	s_cbranch_scc1 .LBB120_422
; %bb.420:
	v_add_u32_e32 v5, 0x120, v40
	s_mov_b32 s16, 18
	v_mov_b32_e32 v4, 17
.LBB120_421:                            ; =>This Inner Loop Header: Depth=1
	s_waitcnt lgkmcnt(0)
	v_cmp_gt_f64_e32 vcc, 0, v[2:3]
	v_cmp_gt_f64_e64 s[4:5], 0, v[0:1]
	ds_read2_b64 v[10:13], v5 offset1:1
	v_xor_b32_e32 v15, 0x80000000, v1
	v_xor_b32_e32 v17, 0x80000000, v3
	v_mov_b32_e32 v14, v0
	v_mov_b32_e32 v16, v2
	s_waitcnt lgkmcnt(0)
	v_xor_b32_e32 v19, 0x80000000, v13
	v_cndmask_b32_e32 v17, v3, v17, vcc
	v_cndmask_b32_e64 v15, v1, v15, s[4:5]
	v_cmp_gt_f64_e32 vcc, 0, v[12:13]
	v_cmp_gt_f64_e64 s[4:5], 0, v[10:11]
	v_add_f64 v[14:15], v[14:15], v[16:17]
	v_xor_b32_e32 v17, 0x80000000, v11
	v_mov_b32_e32 v16, v10
	v_mov_b32_e32 v18, v12
	v_add_u32_e32 v5, 16, v5
	v_cndmask_b32_e32 v19, v13, v19, vcc
	v_cndmask_b32_e64 v17, v11, v17, s[4:5]
	v_add_f64 v[16:17], v[16:17], v[18:19]
	v_mov_b32_e32 v18, s16
	s_add_i32 s16, s16, 1
	s_cmp_lg_u32 s64, s16
	v_cmp_lt_f64_e32 vcc, v[14:15], v[16:17]
	v_cndmask_b32_e32 v1, v1, v11, vcc
	v_cndmask_b32_e32 v0, v0, v10, vcc
	;; [unrolled: 1-line block ×5, first 2 shown]
	s_cbranch_scc1 .LBB120_421
.LBB120_422:
	s_waitcnt lgkmcnt(0)
	v_cmp_eq_f64_e32 vcc, 0, v[0:1]
	v_cmp_eq_f64_e64 s[4:5], 0, v[2:3]
	s_and_b64 s[4:5], vcc, s[4:5]
	s_and_saveexec_b64 s[16:17], s[4:5]
	s_xor_b64 s[4:5], exec, s[16:17]
; %bb.423:
	v_cmp_ne_u32_e32 vcc, 0, v41
	v_cndmask_b32_e32 v41, 18, v41, vcc
; %bb.424:
	s_andn2_saveexec_b64 s[4:5], s[4:5]
	s_cbranch_execz .LBB120_430
; %bb.425:
	v_cmp_ngt_f64_e64 s[16:17], |v[0:1]|, |v[2:3]|
	s_and_saveexec_b64 s[18:19], s[16:17]
	s_xor_b64 s[18:19], exec, s[18:19]
	s_cbranch_execz .LBB120_427
; %bb.426:
	v_div_scale_f64 v[10:11], s[16:17], v[2:3], v[2:3], v[0:1]
	v_rcp_f64_e32 v[12:13], v[10:11]
	v_fma_f64 v[14:15], -v[10:11], v[12:13], 1.0
	v_fma_f64 v[12:13], v[12:13], v[14:15], v[12:13]
	v_div_scale_f64 v[14:15], vcc, v[0:1], v[2:3], v[0:1]
	v_fma_f64 v[16:17], -v[10:11], v[12:13], 1.0
	v_fma_f64 v[12:13], v[12:13], v[16:17], v[12:13]
	v_mul_f64 v[16:17], v[14:15], v[12:13]
	v_fma_f64 v[10:11], -v[10:11], v[16:17], v[14:15]
	v_div_fmas_f64 v[10:11], v[10:11], v[12:13], v[16:17]
	v_div_fixup_f64 v[10:11], v[10:11], v[2:3], v[0:1]
	v_fma_f64 v[0:1], v[0:1], v[10:11], v[2:3]
	v_div_scale_f64 v[2:3], s[16:17], v[0:1], v[0:1], 1.0
	v_div_scale_f64 v[16:17], vcc, 1.0, v[0:1], 1.0
	v_rcp_f64_e32 v[12:13], v[2:3]
	v_fma_f64 v[14:15], -v[2:3], v[12:13], 1.0
	v_fma_f64 v[12:13], v[12:13], v[14:15], v[12:13]
	v_fma_f64 v[14:15], -v[2:3], v[12:13], 1.0
	v_fma_f64 v[12:13], v[12:13], v[14:15], v[12:13]
	v_mul_f64 v[14:15], v[16:17], v[12:13]
	v_fma_f64 v[2:3], -v[2:3], v[14:15], v[16:17]
	v_div_fmas_f64 v[2:3], v[2:3], v[12:13], v[14:15]
	v_div_fixup_f64 v[2:3], v[2:3], v[0:1], 1.0
	v_mul_f64 v[0:1], v[10:11], v[2:3]
	v_xor_b32_e32 v3, 0x80000000, v3
.LBB120_427:
	s_andn2_saveexec_b64 s[18:19], s[18:19]
	s_cbranch_execz .LBB120_429
; %bb.428:
	v_div_scale_f64 v[10:11], s[16:17], v[0:1], v[0:1], v[2:3]
	v_rcp_f64_e32 v[12:13], v[10:11]
	v_fma_f64 v[14:15], -v[10:11], v[12:13], 1.0
	v_fma_f64 v[12:13], v[12:13], v[14:15], v[12:13]
	v_div_scale_f64 v[14:15], vcc, v[2:3], v[0:1], v[2:3]
	v_fma_f64 v[16:17], -v[10:11], v[12:13], 1.0
	v_fma_f64 v[12:13], v[12:13], v[16:17], v[12:13]
	v_mul_f64 v[16:17], v[14:15], v[12:13]
	v_fma_f64 v[10:11], -v[10:11], v[16:17], v[14:15]
	v_div_fmas_f64 v[10:11], v[10:11], v[12:13], v[16:17]
	v_div_fixup_f64 v[10:11], v[10:11], v[0:1], v[2:3]
	v_fma_f64 v[0:1], v[2:3], v[10:11], v[0:1]
	v_div_scale_f64 v[2:3], s[16:17], v[0:1], v[0:1], 1.0
	v_div_scale_f64 v[16:17], vcc, 1.0, v[0:1], 1.0
	v_rcp_f64_e32 v[12:13], v[2:3]
	v_fma_f64 v[14:15], -v[2:3], v[12:13], 1.0
	v_fma_f64 v[12:13], v[12:13], v[14:15], v[12:13]
	v_fma_f64 v[14:15], -v[2:3], v[12:13], 1.0
	v_fma_f64 v[12:13], v[12:13], v[14:15], v[12:13]
	v_mul_f64 v[14:15], v[16:17], v[12:13]
	v_fma_f64 v[2:3], -v[2:3], v[14:15], v[16:17]
	v_div_fmas_f64 v[2:3], v[2:3], v[12:13], v[14:15]
	v_div_fixup_f64 v[0:1], v[2:3], v[0:1], 1.0
	v_mul_f64 v[2:3], v[10:11], -v[0:1]
.LBB120_429:
	s_or_b64 exec, exec, s[18:19]
.LBB120_430:
	s_or_b64 exec, exec, s[4:5]
	v_cmp_ne_u32_e32 vcc, v43, v4
	s_and_saveexec_b64 s[4:5], vcc
	s_xor_b64 s[4:5], exec, s[4:5]
	s_cbranch_execz .LBB120_436
; %bb.431:
	v_cmp_eq_u32_e32 vcc, 17, v43
	s_and_saveexec_b64 s[18:19], vcc
	s_cbranch_execz .LBB120_435
; %bb.432:
	v_cmp_ne_u32_e32 vcc, 17, v4
	s_xor_b64 s[16:17], s[22:23], -1
	s_and_b64 s[16:17], s[16:17], vcc
	s_and_saveexec_b64 s[24:25], s[16:17]
	s_cbranch_execz .LBB120_434
; %bb.433:
	v_ashrrev_i32_e32 v5, 31, v4
	v_lshlrev_b64 v[10:11], 2, v[4:5]
	v_add_co_u32_e32 v10, vcc, v8, v10
	v_addc_co_u32_e32 v11, vcc, v9, v11, vcc
	global_load_dword v5, v[10:11], off
	global_load_dword v12, v[8:9], off offset:68
	s_waitcnt vmcnt(1)
	global_store_dword v[8:9], v5, off offset:68
	s_waitcnt vmcnt(1)
	global_store_dword v[10:11], v12, off
.LBB120_434:
	s_or_b64 exec, exec, s[24:25]
	v_mov_b32_e32 v43, v4
	v_mov_b32_e32 v42, v4
.LBB120_435:
	s_or_b64 exec, exec, s[18:19]
.LBB120_436:
	s_andn2_saveexec_b64 s[4:5], s[4:5]
	s_cbranch_execz .LBB120_442
; %bb.437:
	s_movk_i32 s16, 0x120
	s_branch .LBB120_439
.LBB120_438:                            ;   in Loop: Header=BB120_439 Depth=1
	s_andn2_b64 vcc, exec, s[18:19]
	s_cbranch_vccz .LBB120_441
.LBB120_439:                            ; =>This Inner Loop Header: Depth=1
	v_mov_b32_e32 v4, s16
	buffer_load_dword v10, v4, s[0:3], 0 offen
	buffer_load_dword v11, v4, s[0:3], 0 offen offset:4
	buffer_load_dword v12, v4, s[0:3], 0 offen offset:8
	;; [unrolled: 1-line block ×11, first 2 shown]
	s_mov_b32 s17, s16
	v_add_u32_e32 v4, s16, v40
	s_cmpk_eq_i32 s16, 0x3a0
	s_mov_b64 s[18:19], -1
	s_waitcnt vmcnt(8)
	ds_write2_b64 v4, v[10:11], v[12:13] offset1:1
	s_waitcnt vmcnt(4)
	ds_write2_b64 v4, v[14:15], v[16:17] offset0:2 offset1:3
	s_waitcnt vmcnt(0)
	ds_write2_b64 v4, v[18:19], v[20:21] offset0:4 offset1:5
	s_cbranch_scc1 .LBB120_438
; %bb.440:                              ;   in Loop: Header=BB120_439 Depth=1
	v_mov_b32_e32 v5, s17
	buffer_load_dword v10, v5, s[0:3], 0 offen offset:48
	buffer_load_dword v11, v5, s[0:3], 0 offen offset:52
	;; [unrolled: 1-line block ×20, first 2 shown]
	s_addk_i32 s16, 0x80
	s_mov_b64 s[18:19], 0
	s_waitcnt vmcnt(16)
	ds_write2_b64 v4, v[10:11], v[12:13] offset0:6 offset1:7
	s_waitcnt vmcnt(12)
	ds_write2_b64 v4, v[14:15], v[16:17] offset0:8 offset1:9
	;; [unrolled: 2-line block ×5, first 2 shown]
	s_branch .LBB120_438
.LBB120_441:
	v_mov_b32_e32 v43, 17
.LBB120_442:
	s_or_b64 exec, exec, s[4:5]
	v_cmp_lt_i32_e32 vcc, 17, v43
	s_waitcnt vmcnt(0) lgkmcnt(0)
	s_barrier
	s_and_saveexec_b64 s[4:5], vcc
	s_cbranch_execz .LBB120_447
; %bb.443:
	buffer_load_dword v4, off, s[0:3], 0 offset:280
	buffer_load_dword v5, off, s[0:3], 0 offset:284
	;; [unrolled: 1-line block ×4, first 2 shown]
	s_movk_i32 s24, 0x120
	s_waitcnt vmcnt(2)
	v_mul_f64 v[12:13], v[2:3], v[4:5]
	v_mul_f64 v[4:5], v[0:1], v[4:5]
	s_waitcnt vmcnt(0)
	v_fma_f64 v[0:1], v[0:1], v[10:11], -v[12:13]
	v_fma_f64 v[2:3], v[2:3], v[10:11], v[4:5]
	buffer_store_dword v0, off, s[0:3], 0 offset:272
	buffer_store_dword v1, off, s[0:3], 0 offset:276
	;; [unrolled: 1-line block ×4, first 2 shown]
	s_branch .LBB120_445
.LBB120_444:                            ;   in Loop: Header=BB120_445 Depth=1
	s_andn2_b64 vcc, exec, s[18:19]
	s_cbranch_vccz .LBB120_447
.LBB120_445:                            ; =>This Inner Loop Header: Depth=1
	v_mov_b32_e32 v5, s24
	buffer_load_dword v18, v5, s[0:3], 0 offen
	buffer_load_dword v19, v5, s[0:3], 0 offen offset:4
	buffer_load_dword v20, v5, s[0:3], 0 offen offset:8
	buffer_load_dword v21, v5, s[0:3], 0 offen offset:12
	v_add_u32_e32 v4, s24, v40
	ds_read2_b64 v[10:13], v4 offset1:1
	ds_read2_b64 v[14:17], v4 offset0:2 offset1:3
	s_mov_b32 s16, s24
	s_cmpk_eq_i32 s24, 0x3a0
	s_mov_b64 s[18:19], -1
	s_waitcnt vmcnt(5) lgkmcnt(1)
	v_mul_f64 v[22:23], v[12:13], v[2:3]
	v_mul_f64 v[2:3], v[10:11], v[2:3]
	s_waitcnt vmcnt(4)
	v_fma_f64 v[10:11], v[10:11], v[0:1], -v[22:23]
	v_fma_f64 v[0:1], v[12:13], v[0:1], v[2:3]
	buffer_load_dword v2, v5, s[0:3], 0 offen offset:20
	buffer_load_dword v12, v5, s[0:3], 0 offen offset:28
	;; [unrolled: 1-line block ×3, first 2 shown]
	s_waitcnt vmcnt(5)
	v_add_f64 v[10:11], v[18:19], -v[10:11]
	s_waitcnt vmcnt(3)
	v_add_f64 v[0:1], v[20:21], -v[0:1]
	buffer_store_dword v11, v5, s[0:3], 0 offen offset:4
	buffer_store_dword v10, v5, s[0:3], 0 offen
	buffer_store_dword v1, v5, s[0:3], 0 offen offset:12
	buffer_store_dword v0, v5, s[0:3], 0 offen offset:8
	buffer_load_dword v11, v5, s[0:3], 0 offen offset:24
	s_nop 0
	buffer_load_dword v18, v5, s[0:3], 0 offen offset:36
	buffer_load_dword v20, off, s[0:3], 0 offset:284
	buffer_load_dword v19, off, s[0:3], 0 offset:280
	;; [unrolled: 1-line block ×4, first 2 shown]
	buffer_load_dword v1, v5, s[0:3], 0 offen offset:16
	s_waitcnt vmcnt(3) lgkmcnt(0)
	v_mul_f64 v[23:24], v[16:17], v[19:20]
	v_mul_f64 v[19:20], v[14:15], v[19:20]
	s_waitcnt vmcnt(1)
	v_fma_f64 v[14:15], v[14:15], v[21:22], -v[23:24]
	v_fma_f64 v[16:17], v[16:17], v[21:22], v[19:20]
	s_waitcnt vmcnt(0)
	v_add_f64 v[0:1], v[1:2], -v[14:15]
	v_add_f64 v[2:3], v[11:12], -v[16:17]
	buffer_store_dword v1, v5, s[0:3], 0 offen offset:20
	buffer_store_dword v0, v5, s[0:3], 0 offen offset:16
	;; [unrolled: 1-line block ×4, first 2 shown]
	buffer_load_dword v14, v5, s[0:3], 0 offen offset:44
	buffer_load_dword v10, off, s[0:3], 0 offset:280
	buffer_load_dword v11, off, s[0:3], 0 offset:284
	;; [unrolled: 1-line block ×4, first 2 shown]
	buffer_load_dword v17, v5, s[0:3], 0 offen offset:32
	ds_read2_b64 v[0:3], v4 offset0:4 offset1:5
	s_waitcnt vmcnt(3) lgkmcnt(0)
	v_mul_f64 v[19:20], v[2:3], v[10:11]
	v_mul_f64 v[10:11], v[0:1], v[10:11]
	s_waitcnt vmcnt(1)
	v_fma_f64 v[0:1], v[0:1], v[15:16], -v[19:20]
	v_fma_f64 v[2:3], v[2:3], v[15:16], v[10:11]
	s_waitcnt vmcnt(0)
	v_add_f64 v[0:1], v[17:18], -v[0:1]
	v_add_f64 v[2:3], v[13:14], -v[2:3]
	buffer_store_dword v1, v5, s[0:3], 0 offen offset:36
	buffer_store_dword v0, v5, s[0:3], 0 offen offset:32
	;; [unrolled: 1-line block ×4, first 2 shown]
                                        ; implicit-def: $vgpr0_vgpr1
                                        ; implicit-def: $vgpr2_vgpr3
	s_cbranch_scc1 .LBB120_444
; %bb.446:                              ;   in Loop: Header=BB120_445 Depth=1
	buffer_load_dword v10, off, s[0:3], 0 offset:280
	buffer_load_dword v11, off, s[0:3], 0 offset:284
	buffer_load_dword v12, off, s[0:3], 0 offset:272
	buffer_load_dword v13, off, s[0:3], 0 offset:276
	v_mov_b32_e32 v18, s16
	buffer_load_dword v14, v18, s[0:3], 0 offen offset:48
	buffer_load_dword v15, v18, s[0:3], 0 offen offset:52
	;; [unrolled: 1-line block ×4, first 2 shown]
	ds_read2_b64 v[0:3], v4 offset0:6 offset1:7
	s_add_i32 s24, s24, 64
	s_mov_b64 s[18:19], 0
	s_waitcnt vmcnt(6) lgkmcnt(0)
	v_mul_f64 v[4:5], v[2:3], v[10:11]
	v_mul_f64 v[10:11], v[0:1], v[10:11]
	s_waitcnt vmcnt(4)
	v_fma_f64 v[0:1], v[0:1], v[12:13], -v[4:5]
	v_fma_f64 v[2:3], v[2:3], v[12:13], v[10:11]
	s_waitcnt vmcnt(2)
	v_add_f64 v[0:1], v[14:15], -v[0:1]
	s_waitcnt vmcnt(0)
	v_add_f64 v[2:3], v[16:17], -v[2:3]
	buffer_store_dword v1, v18, s[0:3], 0 offen offset:52
	buffer_store_dword v0, v18, s[0:3], 0 offen offset:48
	;; [unrolled: 1-line block ×4, first 2 shown]
	buffer_load_dword v1, off, s[0:3], 0 offset:276
	s_nop 0
	buffer_load_dword v3, off, s[0:3], 0 offset:284
	buffer_load_dword v2, off, s[0:3], 0 offset:280
	;; [unrolled: 1-line block ×3, first 2 shown]
	s_branch .LBB120_444
.LBB120_447:
	s_or_b64 exec, exec, s[4:5]
	s_waitcnt vmcnt(2)
	v_mov_b32_e32 v3, s68
	s_waitcnt vmcnt(0)
	s_barrier
	buffer_load_dword v0, v3, s[0:3], 0 offen
	buffer_load_dword v1, v3, s[0:3], 0 offen offset:4
	buffer_load_dword v2, v3, s[0:3], 0 offen offset:8
	s_nop 0
	buffer_load_dword v3, v3, s[0:3], 0 offen offset:12
	v_lshl_add_u32 v4, v43, 4, v40
	s_cmp_lt_i32 s64, 20
	s_waitcnt vmcnt(0)
	ds_write2_b64 v4, v[0:1], v[2:3] offset1:1
	s_waitcnt lgkmcnt(0)
	s_barrier
	ds_read2_b64 v[0:3], v40 offset0:36 offset1:37
	v_mov_b32_e32 v4, 18
	s_cbranch_scc1 .LBB120_450
; %bb.448:
	v_add_u32_e32 v5, 0x130, v40
	s_mov_b32 s16, 19
	v_mov_b32_e32 v4, 18
.LBB120_449:                            ; =>This Inner Loop Header: Depth=1
	s_waitcnt lgkmcnt(0)
	v_cmp_gt_f64_e32 vcc, 0, v[2:3]
	v_cmp_gt_f64_e64 s[4:5], 0, v[0:1]
	ds_read2_b64 v[10:13], v5 offset1:1
	v_xor_b32_e32 v15, 0x80000000, v1
	v_xor_b32_e32 v17, 0x80000000, v3
	v_mov_b32_e32 v14, v0
	v_mov_b32_e32 v16, v2
	s_waitcnt lgkmcnt(0)
	v_xor_b32_e32 v19, 0x80000000, v13
	v_cndmask_b32_e32 v17, v3, v17, vcc
	v_cndmask_b32_e64 v15, v1, v15, s[4:5]
	v_cmp_gt_f64_e32 vcc, 0, v[12:13]
	v_cmp_gt_f64_e64 s[4:5], 0, v[10:11]
	v_add_f64 v[14:15], v[14:15], v[16:17]
	v_xor_b32_e32 v17, 0x80000000, v11
	v_mov_b32_e32 v16, v10
	v_mov_b32_e32 v18, v12
	v_add_u32_e32 v5, 16, v5
	v_cndmask_b32_e32 v19, v13, v19, vcc
	v_cndmask_b32_e64 v17, v11, v17, s[4:5]
	v_add_f64 v[16:17], v[16:17], v[18:19]
	v_mov_b32_e32 v18, s16
	s_add_i32 s16, s16, 1
	s_cmp_lg_u32 s64, s16
	v_cmp_lt_f64_e32 vcc, v[14:15], v[16:17]
	v_cndmask_b32_e32 v1, v1, v11, vcc
	v_cndmask_b32_e32 v0, v0, v10, vcc
	v_cndmask_b32_e32 v3, v3, v13, vcc
	v_cndmask_b32_e32 v2, v2, v12, vcc
	v_cndmask_b32_e32 v4, v4, v18, vcc
	s_cbranch_scc1 .LBB120_449
.LBB120_450:
	s_waitcnt lgkmcnt(0)
	v_cmp_eq_f64_e32 vcc, 0, v[0:1]
	v_cmp_eq_f64_e64 s[4:5], 0, v[2:3]
	s_and_b64 s[4:5], vcc, s[4:5]
	s_and_saveexec_b64 s[16:17], s[4:5]
	s_xor_b64 s[4:5], exec, s[16:17]
; %bb.451:
	v_cmp_ne_u32_e32 vcc, 0, v41
	v_cndmask_b32_e32 v41, 19, v41, vcc
; %bb.452:
	s_andn2_saveexec_b64 s[4:5], s[4:5]
	s_cbranch_execz .LBB120_458
; %bb.453:
	v_cmp_ngt_f64_e64 s[16:17], |v[0:1]|, |v[2:3]|
	s_and_saveexec_b64 s[18:19], s[16:17]
	s_xor_b64 s[18:19], exec, s[18:19]
	s_cbranch_execz .LBB120_455
; %bb.454:
	v_div_scale_f64 v[10:11], s[16:17], v[2:3], v[2:3], v[0:1]
	v_rcp_f64_e32 v[12:13], v[10:11]
	v_fma_f64 v[14:15], -v[10:11], v[12:13], 1.0
	v_fma_f64 v[12:13], v[12:13], v[14:15], v[12:13]
	v_div_scale_f64 v[14:15], vcc, v[0:1], v[2:3], v[0:1]
	v_fma_f64 v[16:17], -v[10:11], v[12:13], 1.0
	v_fma_f64 v[12:13], v[12:13], v[16:17], v[12:13]
	v_mul_f64 v[16:17], v[14:15], v[12:13]
	v_fma_f64 v[10:11], -v[10:11], v[16:17], v[14:15]
	v_div_fmas_f64 v[10:11], v[10:11], v[12:13], v[16:17]
	v_div_fixup_f64 v[10:11], v[10:11], v[2:3], v[0:1]
	v_fma_f64 v[0:1], v[0:1], v[10:11], v[2:3]
	v_div_scale_f64 v[2:3], s[16:17], v[0:1], v[0:1], 1.0
	v_div_scale_f64 v[16:17], vcc, 1.0, v[0:1], 1.0
	v_rcp_f64_e32 v[12:13], v[2:3]
	v_fma_f64 v[14:15], -v[2:3], v[12:13], 1.0
	v_fma_f64 v[12:13], v[12:13], v[14:15], v[12:13]
	v_fma_f64 v[14:15], -v[2:3], v[12:13], 1.0
	v_fma_f64 v[12:13], v[12:13], v[14:15], v[12:13]
	v_mul_f64 v[14:15], v[16:17], v[12:13]
	v_fma_f64 v[2:3], -v[2:3], v[14:15], v[16:17]
	v_div_fmas_f64 v[2:3], v[2:3], v[12:13], v[14:15]
	v_div_fixup_f64 v[2:3], v[2:3], v[0:1], 1.0
	v_mul_f64 v[0:1], v[10:11], v[2:3]
	v_xor_b32_e32 v3, 0x80000000, v3
.LBB120_455:
	s_andn2_saveexec_b64 s[18:19], s[18:19]
	s_cbranch_execz .LBB120_457
; %bb.456:
	v_div_scale_f64 v[10:11], s[16:17], v[0:1], v[0:1], v[2:3]
	v_rcp_f64_e32 v[12:13], v[10:11]
	v_fma_f64 v[14:15], -v[10:11], v[12:13], 1.0
	v_fma_f64 v[12:13], v[12:13], v[14:15], v[12:13]
	v_div_scale_f64 v[14:15], vcc, v[2:3], v[0:1], v[2:3]
	v_fma_f64 v[16:17], -v[10:11], v[12:13], 1.0
	v_fma_f64 v[12:13], v[12:13], v[16:17], v[12:13]
	v_mul_f64 v[16:17], v[14:15], v[12:13]
	v_fma_f64 v[10:11], -v[10:11], v[16:17], v[14:15]
	v_div_fmas_f64 v[10:11], v[10:11], v[12:13], v[16:17]
	v_div_fixup_f64 v[10:11], v[10:11], v[0:1], v[2:3]
	v_fma_f64 v[0:1], v[2:3], v[10:11], v[0:1]
	v_div_scale_f64 v[2:3], s[16:17], v[0:1], v[0:1], 1.0
	v_div_scale_f64 v[16:17], vcc, 1.0, v[0:1], 1.0
	v_rcp_f64_e32 v[12:13], v[2:3]
	v_fma_f64 v[14:15], -v[2:3], v[12:13], 1.0
	v_fma_f64 v[12:13], v[12:13], v[14:15], v[12:13]
	v_fma_f64 v[14:15], -v[2:3], v[12:13], 1.0
	v_fma_f64 v[12:13], v[12:13], v[14:15], v[12:13]
	v_mul_f64 v[14:15], v[16:17], v[12:13]
	v_fma_f64 v[2:3], -v[2:3], v[14:15], v[16:17]
	v_div_fmas_f64 v[2:3], v[2:3], v[12:13], v[14:15]
	v_div_fixup_f64 v[0:1], v[2:3], v[0:1], 1.0
	v_mul_f64 v[2:3], v[10:11], -v[0:1]
.LBB120_457:
	s_or_b64 exec, exec, s[18:19]
.LBB120_458:
	s_or_b64 exec, exec, s[4:5]
	v_cmp_ne_u32_e32 vcc, v43, v4
	s_and_saveexec_b64 s[4:5], vcc
	s_xor_b64 s[4:5], exec, s[4:5]
	s_cbranch_execz .LBB120_464
; %bb.459:
	v_cmp_eq_u32_e32 vcc, 18, v43
	s_and_saveexec_b64 s[18:19], vcc
	s_cbranch_execz .LBB120_463
; %bb.460:
	v_cmp_ne_u32_e32 vcc, 18, v4
	s_xor_b64 s[16:17], s[22:23], -1
	s_and_b64 s[16:17], s[16:17], vcc
	s_and_saveexec_b64 s[24:25], s[16:17]
	s_cbranch_execz .LBB120_462
; %bb.461:
	v_ashrrev_i32_e32 v5, 31, v4
	v_lshlrev_b64 v[10:11], 2, v[4:5]
	v_add_co_u32_e32 v10, vcc, v8, v10
	v_addc_co_u32_e32 v11, vcc, v9, v11, vcc
	global_load_dword v5, v[10:11], off
	global_load_dword v12, v[8:9], off offset:72
	s_waitcnt vmcnt(1)
	global_store_dword v[8:9], v5, off offset:72
	s_waitcnt vmcnt(1)
	global_store_dword v[10:11], v12, off
.LBB120_462:
	s_or_b64 exec, exec, s[24:25]
	v_mov_b32_e32 v43, v4
	v_mov_b32_e32 v42, v4
.LBB120_463:
	s_or_b64 exec, exec, s[18:19]
.LBB120_464:
	s_andn2_saveexec_b64 s[4:5], s[4:5]
	s_cbranch_execz .LBB120_468
; %bb.465:
	s_movk_i32 s18, 0x130
.LBB120_466:                            ; =>This Inner Loop Header: Depth=1
	v_mov_b32_e32 v24, s18
	buffer_load_dword v4, v24, s[0:3], 0 offen
	buffer_load_dword v5, v24, s[0:3], 0 offen offset:4
	buffer_load_dword v10, v24, s[0:3], 0 offen offset:8
	;; [unrolled: 1-line block ×15, first 2 shown]
	v_add_u32_e32 v25, s18, v40
	s_addk_i32 s18, 0xe0
	s_cmpk_eq_i32 s18, 0x3d0
	s_waitcnt vmcnt(12)
	ds_write2_b64 v25, v[4:5], v[10:11] offset1:1
	s_waitcnt vmcnt(8)
	ds_write2_b64 v25, v[12:13], v[14:15] offset0:2 offset1:3
	s_waitcnt vmcnt(4)
	ds_write2_b64 v25, v[16:17], v[18:19] offset0:4 offset1:5
	;; [unrolled: 2-line block ×3, first 2 shown]
	buffer_load_dword v5, v24, s[0:3], 0 offen offset:76
	buffer_load_dword v4, v24, s[0:3], 0 offen offset:72
	buffer_load_dword v11, v24, s[0:3], 0 offen offset:68
	buffer_load_dword v10, v24, s[0:3], 0 offen offset:64
	s_waitcnt vmcnt(0)
	ds_write2_b64 v25, v[10:11], v[4:5] offset0:8 offset1:9
	buffer_load_dword v5, v24, s[0:3], 0 offen offset:92
	buffer_load_dword v4, v24, s[0:3], 0 offen offset:88
	buffer_load_dword v11, v24, s[0:3], 0 offen offset:84
	buffer_load_dword v10, v24, s[0:3], 0 offen offset:80
	s_waitcnt vmcnt(0)
	ds_write2_b64 v25, v[10:11], v[4:5] offset0:10 offset1:11
	;; [unrolled: 6-line block ×10, first 2 shown]
	s_cbranch_scc0 .LBB120_466
; %bb.467:
	v_mov_b32_e32 v43, 18
.LBB120_468:
	s_or_b64 exec, exec, s[4:5]
	v_cmp_lt_i32_e32 vcc, 18, v43
	s_waitcnt vmcnt(0) lgkmcnt(0)
	s_barrier
	s_and_saveexec_b64 s[4:5], vcc
	s_cbranch_execz .LBB120_471
; %bb.469:
	buffer_load_dword v4, off, s[0:3], 0 offset:296
	buffer_load_dword v5, off, s[0:3], 0 offset:300
	;; [unrolled: 1-line block ×4, first 2 shown]
	s_movk_i32 s18, 0x130
	s_waitcnt vmcnt(2)
	v_mul_f64 v[12:13], v[2:3], v[4:5]
	v_mul_f64 v[4:5], v[0:1], v[4:5]
	s_waitcnt vmcnt(0)
	v_fma_f64 v[0:1], v[0:1], v[10:11], -v[12:13]
	v_fma_f64 v[2:3], v[2:3], v[10:11], v[4:5]
	buffer_store_dword v0, off, s[0:3], 0 offset:288
	buffer_store_dword v1, off, s[0:3], 0 offset:292
	buffer_store_dword v2, off, s[0:3], 0 offset:296
	buffer_store_dword v3, off, s[0:3], 0 offset:300
.LBB120_470:                            ; =>This Inner Loop Header: Depth=1
	buffer_load_dword v14, off, s[0:3], 0 offset:296
	buffer_load_dword v15, off, s[0:3], 0 offset:300
	;; [unrolled: 1-line block ×4, first 2 shown]
	v_mov_b32_e32 v0, s18
	buffer_load_dword v18, v0, s[0:3], 0 offen
	buffer_load_dword v19, v0, s[0:3], 0 offen offset:4
	buffer_load_dword v20, v0, s[0:3], 0 offen offset:8
	;; [unrolled: 1-line block ×3, first 2 shown]
	v_add_u32_e32 v5, s18, v40
	ds_read2_b64 v[1:4], v5 offset1:1
	buffer_load_dword v22, v0, s[0:3], 0 offen offset:16
	buffer_load_dword v23, v0, s[0:3], 0 offen offset:20
	;; [unrolled: 1-line block ×4, first 2 shown]
	ds_read2_b64 v[10:13], v5 offset0:2 offset1:3
	s_addk_i32 s18, 0x70
	s_cmpk_lg_i32 s18, 0x3d0
	s_waitcnt vmcnt(10) lgkmcnt(1)
	v_mul_f64 v[26:27], v[3:4], v[14:15]
	v_mul_f64 v[14:15], v[1:2], v[14:15]
	s_waitcnt vmcnt(8)
	v_fma_f64 v[1:2], v[1:2], v[16:17], -v[26:27]
	v_fma_f64 v[3:4], v[3:4], v[16:17], v[14:15]
	s_waitcnt vmcnt(6)
	v_add_f64 v[1:2], v[18:19], -v[1:2]
	s_waitcnt vmcnt(4)
	v_add_f64 v[3:4], v[20:21], -v[3:4]
	buffer_store_dword v2, v0, s[0:3], 0 offen offset:4
	buffer_store_dword v1, v0, s[0:3], 0 offen
	buffer_store_dword v4, v0, s[0:3], 0 offen offset:12
	buffer_store_dword v3, v0, s[0:3], 0 offen offset:8
	buffer_load_dword v2, off, s[0:3], 0 offset:300
	s_nop 0
	buffer_load_dword v1, off, s[0:3], 0 offset:296
	buffer_load_dword v4, off, s[0:3], 0 offset:292
	;; [unrolled: 1-line block ×3, first 2 shown]
	buffer_load_dword v14, v0, s[0:3], 0 offen offset:32
	buffer_load_dword v15, v0, s[0:3], 0 offen offset:36
	;; [unrolled: 1-line block ×4, first 2 shown]
	s_waitcnt vmcnt(6) lgkmcnt(0)
	v_mul_f64 v[18:19], v[12:13], v[1:2]
	v_mul_f64 v[1:2], v[10:11], v[1:2]
	s_waitcnt vmcnt(4)
	v_fma_f64 v[10:11], v[10:11], v[3:4], -v[18:19]
	v_fma_f64 v[1:2], v[12:13], v[3:4], v[1:2]
	v_add_f64 v[3:4], v[22:23], -v[10:11]
	v_add_f64 v[1:2], v[24:25], -v[1:2]
	buffer_store_dword v4, v0, s[0:3], 0 offen offset:20
	buffer_store_dword v3, v0, s[0:3], 0 offen offset:16
	;; [unrolled: 1-line block ×4, first 2 shown]
	buffer_load_dword v18, off, s[0:3], 0 offset:296
	buffer_load_dword v19, off, s[0:3], 0 offset:300
	buffer_load_dword v20, off, s[0:3], 0 offset:288
	buffer_load_dword v21, off, s[0:3], 0 offset:292
	ds_read2_b64 v[1:4], v5 offset0:4 offset1:5
	ds_read2_b64 v[10:13], v5 offset0:6 offset1:7
	s_waitcnt vmcnt(2) lgkmcnt(1)
	v_mul_f64 v[22:23], v[3:4], v[18:19]
	v_mul_f64 v[18:19], v[1:2], v[18:19]
	s_waitcnt vmcnt(0)
	v_fma_f64 v[1:2], v[1:2], v[20:21], -v[22:23]
	v_fma_f64 v[3:4], v[3:4], v[20:21], v[18:19]
	v_add_f64 v[1:2], v[14:15], -v[1:2]
	v_add_f64 v[3:4], v[16:17], -v[3:4]
	buffer_store_dword v2, v0, s[0:3], 0 offen offset:36
	buffer_store_dword v1, v0, s[0:3], 0 offen offset:32
	;; [unrolled: 1-line block ×4, first 2 shown]
	buffer_load_dword v1, off, s[0:3], 0 offset:296
	s_nop 0
	buffer_load_dword v2, off, s[0:3], 0 offset:300
	buffer_load_dword v3, off, s[0:3], 0 offset:288
	;; [unrolled: 1-line block ×3, first 2 shown]
	buffer_load_dword v14, v0, s[0:3], 0 offen offset:48
	buffer_load_dword v15, v0, s[0:3], 0 offen offset:52
	;; [unrolled: 1-line block ×4, first 2 shown]
	s_waitcnt vmcnt(6) lgkmcnt(0)
	v_mul_f64 v[18:19], v[12:13], v[1:2]
	v_mul_f64 v[1:2], v[10:11], v[1:2]
	s_waitcnt vmcnt(4)
	v_fma_f64 v[10:11], v[10:11], v[3:4], -v[18:19]
	v_fma_f64 v[1:2], v[12:13], v[3:4], v[1:2]
	s_waitcnt vmcnt(2)
	v_add_f64 v[3:4], v[14:15], -v[10:11]
	s_waitcnt vmcnt(0)
	v_add_f64 v[1:2], v[16:17], -v[1:2]
	buffer_store_dword v4, v0, s[0:3], 0 offen offset:52
	buffer_store_dword v3, v0, s[0:3], 0 offen offset:48
	;; [unrolled: 1-line block ×4, first 2 shown]
	buffer_load_dword v14, off, s[0:3], 0 offset:296
	buffer_load_dword v15, off, s[0:3], 0 offset:300
	;; [unrolled: 1-line block ×4, first 2 shown]
	buffer_load_dword v18, v0, s[0:3], 0 offen offset:64
	buffer_load_dword v19, v0, s[0:3], 0 offen offset:68
	;; [unrolled: 1-line block ×4, first 2 shown]
	ds_read2_b64 v[1:4], v5 offset0:8 offset1:9
	ds_read2_b64 v[10:13], v5 offset0:10 offset1:11
	s_waitcnt vmcnt(6) lgkmcnt(1)
	v_mul_f64 v[22:23], v[3:4], v[14:15]
	v_mul_f64 v[14:15], v[1:2], v[14:15]
	s_waitcnt vmcnt(4)
	v_fma_f64 v[1:2], v[1:2], v[16:17], -v[22:23]
	v_fma_f64 v[3:4], v[3:4], v[16:17], v[14:15]
	s_waitcnt vmcnt(2)
	v_add_f64 v[1:2], v[18:19], -v[1:2]
	s_waitcnt vmcnt(0)
	v_add_f64 v[3:4], v[20:21], -v[3:4]
	buffer_store_dword v2, v0, s[0:3], 0 offen offset:68
	buffer_store_dword v1, v0, s[0:3], 0 offen offset:64
	;; [unrolled: 1-line block ×4, first 2 shown]
	buffer_load_dword v1, off, s[0:3], 0 offset:296
	s_nop 0
	buffer_load_dword v2, off, s[0:3], 0 offset:300
	buffer_load_dword v3, off, s[0:3], 0 offset:288
	;; [unrolled: 1-line block ×3, first 2 shown]
	buffer_load_dword v14, v0, s[0:3], 0 offen offset:80
	buffer_load_dword v15, v0, s[0:3], 0 offen offset:84
	;; [unrolled: 1-line block ×4, first 2 shown]
	s_waitcnt vmcnt(6) lgkmcnt(0)
	v_mul_f64 v[18:19], v[12:13], v[1:2]
	v_mul_f64 v[1:2], v[10:11], v[1:2]
	s_waitcnt vmcnt(4)
	v_fma_f64 v[10:11], v[10:11], v[3:4], -v[18:19]
	v_fma_f64 v[1:2], v[12:13], v[3:4], v[1:2]
	s_waitcnt vmcnt(2)
	v_add_f64 v[3:4], v[14:15], -v[10:11]
	s_waitcnt vmcnt(0)
	v_add_f64 v[1:2], v[16:17], -v[1:2]
	buffer_store_dword v4, v0, s[0:3], 0 offen offset:84
	buffer_store_dword v3, v0, s[0:3], 0 offen offset:80
	;; [unrolled: 1-line block ×4, first 2 shown]
	buffer_load_dword v10, off, s[0:3], 0 offset:296
	buffer_load_dword v11, off, s[0:3], 0 offset:300
	;; [unrolled: 1-line block ×4, first 2 shown]
	buffer_load_dword v14, v0, s[0:3], 0 offen offset:96
	buffer_load_dword v15, v0, s[0:3], 0 offen offset:100
	;; [unrolled: 1-line block ×4, first 2 shown]
	ds_read2_b64 v[1:4], v5 offset0:12 offset1:13
	s_waitcnt vmcnt(6) lgkmcnt(0)
	v_mul_f64 v[18:19], v[3:4], v[10:11]
	v_mul_f64 v[10:11], v[1:2], v[10:11]
	s_waitcnt vmcnt(4)
	v_fma_f64 v[1:2], v[1:2], v[12:13], -v[18:19]
	v_fma_f64 v[3:4], v[3:4], v[12:13], v[10:11]
	s_waitcnt vmcnt(2)
	v_add_f64 v[1:2], v[14:15], -v[1:2]
	s_waitcnt vmcnt(0)
	v_add_f64 v[3:4], v[16:17], -v[3:4]
	buffer_store_dword v2, v0, s[0:3], 0 offen offset:100
	buffer_store_dword v1, v0, s[0:3], 0 offen offset:96
	;; [unrolled: 1-line block ×4, first 2 shown]
	s_cbranch_scc1 .LBB120_470
.LBB120_471:
	s_or_b64 exec, exec, s[4:5]
	v_mov_b32_e32 v3, s67
	s_waitcnt vmcnt(0)
	s_barrier
	buffer_load_dword v0, v3, s[0:3], 0 offen
	buffer_load_dword v1, v3, s[0:3], 0 offen offset:4
	buffer_load_dword v2, v3, s[0:3], 0 offen offset:8
	s_nop 0
	buffer_load_dword v3, v3, s[0:3], 0 offen offset:12
	v_lshl_add_u32 v4, v43, 4, v40
	s_cmp_lt_i32 s64, 21
	s_waitcnt vmcnt(0)
	ds_write2_b64 v4, v[0:1], v[2:3] offset1:1
	s_waitcnt lgkmcnt(0)
	s_barrier
	ds_read2_b64 v[0:3], v40 offset0:38 offset1:39
	v_mov_b32_e32 v4, 19
	s_cbranch_scc1 .LBB120_474
; %bb.472:
	v_add_u32_e32 v5, 0x140, v40
	s_mov_b32 s16, 20
	v_mov_b32_e32 v4, 19
.LBB120_473:                            ; =>This Inner Loop Header: Depth=1
	s_waitcnt lgkmcnt(0)
	v_cmp_gt_f64_e32 vcc, 0, v[2:3]
	v_cmp_gt_f64_e64 s[4:5], 0, v[0:1]
	ds_read2_b64 v[10:13], v5 offset1:1
	v_xor_b32_e32 v15, 0x80000000, v1
	v_xor_b32_e32 v17, 0x80000000, v3
	v_mov_b32_e32 v14, v0
	v_mov_b32_e32 v16, v2
	s_waitcnt lgkmcnt(0)
	v_xor_b32_e32 v19, 0x80000000, v13
	v_cndmask_b32_e32 v17, v3, v17, vcc
	v_cndmask_b32_e64 v15, v1, v15, s[4:5]
	v_cmp_gt_f64_e32 vcc, 0, v[12:13]
	v_cmp_gt_f64_e64 s[4:5], 0, v[10:11]
	v_add_f64 v[14:15], v[14:15], v[16:17]
	v_xor_b32_e32 v17, 0x80000000, v11
	v_mov_b32_e32 v16, v10
	v_mov_b32_e32 v18, v12
	v_add_u32_e32 v5, 16, v5
	v_cndmask_b32_e32 v19, v13, v19, vcc
	v_cndmask_b32_e64 v17, v11, v17, s[4:5]
	v_add_f64 v[16:17], v[16:17], v[18:19]
	v_mov_b32_e32 v18, s16
	s_add_i32 s16, s16, 1
	s_cmp_lg_u32 s64, s16
	v_cmp_lt_f64_e32 vcc, v[14:15], v[16:17]
	v_cndmask_b32_e32 v1, v1, v11, vcc
	v_cndmask_b32_e32 v0, v0, v10, vcc
	v_cndmask_b32_e32 v3, v3, v13, vcc
	v_cndmask_b32_e32 v2, v2, v12, vcc
	v_cndmask_b32_e32 v4, v4, v18, vcc
	s_cbranch_scc1 .LBB120_473
.LBB120_474:
	s_waitcnt lgkmcnt(0)
	v_cmp_eq_f64_e32 vcc, 0, v[0:1]
	v_cmp_eq_f64_e64 s[4:5], 0, v[2:3]
	s_and_b64 s[4:5], vcc, s[4:5]
	s_and_saveexec_b64 s[16:17], s[4:5]
	s_xor_b64 s[4:5], exec, s[16:17]
; %bb.475:
	v_cmp_ne_u32_e32 vcc, 0, v41
	v_cndmask_b32_e32 v41, 20, v41, vcc
; %bb.476:
	s_andn2_saveexec_b64 s[4:5], s[4:5]
	s_cbranch_execz .LBB120_482
; %bb.477:
	v_cmp_ngt_f64_e64 s[16:17], |v[0:1]|, |v[2:3]|
	s_and_saveexec_b64 s[18:19], s[16:17]
	s_xor_b64 s[18:19], exec, s[18:19]
	s_cbranch_execz .LBB120_479
; %bb.478:
	v_div_scale_f64 v[10:11], s[16:17], v[2:3], v[2:3], v[0:1]
	v_rcp_f64_e32 v[12:13], v[10:11]
	v_fma_f64 v[14:15], -v[10:11], v[12:13], 1.0
	v_fma_f64 v[12:13], v[12:13], v[14:15], v[12:13]
	v_div_scale_f64 v[14:15], vcc, v[0:1], v[2:3], v[0:1]
	v_fma_f64 v[16:17], -v[10:11], v[12:13], 1.0
	v_fma_f64 v[12:13], v[12:13], v[16:17], v[12:13]
	v_mul_f64 v[16:17], v[14:15], v[12:13]
	v_fma_f64 v[10:11], -v[10:11], v[16:17], v[14:15]
	v_div_fmas_f64 v[10:11], v[10:11], v[12:13], v[16:17]
	v_div_fixup_f64 v[10:11], v[10:11], v[2:3], v[0:1]
	v_fma_f64 v[0:1], v[0:1], v[10:11], v[2:3]
	v_div_scale_f64 v[2:3], s[16:17], v[0:1], v[0:1], 1.0
	v_div_scale_f64 v[16:17], vcc, 1.0, v[0:1], 1.0
	v_rcp_f64_e32 v[12:13], v[2:3]
	v_fma_f64 v[14:15], -v[2:3], v[12:13], 1.0
	v_fma_f64 v[12:13], v[12:13], v[14:15], v[12:13]
	v_fma_f64 v[14:15], -v[2:3], v[12:13], 1.0
	v_fma_f64 v[12:13], v[12:13], v[14:15], v[12:13]
	v_mul_f64 v[14:15], v[16:17], v[12:13]
	v_fma_f64 v[2:3], -v[2:3], v[14:15], v[16:17]
	v_div_fmas_f64 v[2:3], v[2:3], v[12:13], v[14:15]
	v_div_fixup_f64 v[2:3], v[2:3], v[0:1], 1.0
	v_mul_f64 v[0:1], v[10:11], v[2:3]
	v_xor_b32_e32 v3, 0x80000000, v3
.LBB120_479:
	s_andn2_saveexec_b64 s[18:19], s[18:19]
	s_cbranch_execz .LBB120_481
; %bb.480:
	v_div_scale_f64 v[10:11], s[16:17], v[0:1], v[0:1], v[2:3]
	v_rcp_f64_e32 v[12:13], v[10:11]
	v_fma_f64 v[14:15], -v[10:11], v[12:13], 1.0
	v_fma_f64 v[12:13], v[12:13], v[14:15], v[12:13]
	v_div_scale_f64 v[14:15], vcc, v[2:3], v[0:1], v[2:3]
	v_fma_f64 v[16:17], -v[10:11], v[12:13], 1.0
	v_fma_f64 v[12:13], v[12:13], v[16:17], v[12:13]
	v_mul_f64 v[16:17], v[14:15], v[12:13]
	v_fma_f64 v[10:11], -v[10:11], v[16:17], v[14:15]
	v_div_fmas_f64 v[10:11], v[10:11], v[12:13], v[16:17]
	v_div_fixup_f64 v[10:11], v[10:11], v[0:1], v[2:3]
	v_fma_f64 v[0:1], v[2:3], v[10:11], v[0:1]
	v_div_scale_f64 v[2:3], s[16:17], v[0:1], v[0:1], 1.0
	v_div_scale_f64 v[16:17], vcc, 1.0, v[0:1], 1.0
	v_rcp_f64_e32 v[12:13], v[2:3]
	v_fma_f64 v[14:15], -v[2:3], v[12:13], 1.0
	v_fma_f64 v[12:13], v[12:13], v[14:15], v[12:13]
	v_fma_f64 v[14:15], -v[2:3], v[12:13], 1.0
	v_fma_f64 v[12:13], v[12:13], v[14:15], v[12:13]
	v_mul_f64 v[14:15], v[16:17], v[12:13]
	v_fma_f64 v[2:3], -v[2:3], v[14:15], v[16:17]
	v_div_fmas_f64 v[2:3], v[2:3], v[12:13], v[14:15]
	v_div_fixup_f64 v[0:1], v[2:3], v[0:1], 1.0
	v_mul_f64 v[2:3], v[10:11], -v[0:1]
.LBB120_481:
	s_or_b64 exec, exec, s[18:19]
.LBB120_482:
	s_or_b64 exec, exec, s[4:5]
	v_cmp_ne_u32_e32 vcc, v43, v4
	s_and_saveexec_b64 s[4:5], vcc
	s_xor_b64 s[4:5], exec, s[4:5]
	s_cbranch_execz .LBB120_488
; %bb.483:
	v_cmp_eq_u32_e32 vcc, 19, v43
	s_and_saveexec_b64 s[18:19], vcc
	s_cbranch_execz .LBB120_487
; %bb.484:
	v_cmp_ne_u32_e32 vcc, 19, v4
	s_xor_b64 s[16:17], s[22:23], -1
	s_and_b64 s[16:17], s[16:17], vcc
	s_and_saveexec_b64 s[24:25], s[16:17]
	s_cbranch_execz .LBB120_486
; %bb.485:
	v_ashrrev_i32_e32 v5, 31, v4
	v_lshlrev_b64 v[10:11], 2, v[4:5]
	v_add_co_u32_e32 v10, vcc, v8, v10
	v_addc_co_u32_e32 v11, vcc, v9, v11, vcc
	global_load_dword v5, v[10:11], off
	global_load_dword v12, v[8:9], off offset:76
	s_waitcnt vmcnt(1)
	global_store_dword v[8:9], v5, off offset:76
	s_waitcnt vmcnt(1)
	global_store_dword v[10:11], v12, off
.LBB120_486:
	s_or_b64 exec, exec, s[24:25]
	v_mov_b32_e32 v43, v4
	v_mov_b32_e32 v42, v4
.LBB120_487:
	s_or_b64 exec, exec, s[18:19]
.LBB120_488:
	s_andn2_saveexec_b64 s[4:5], s[4:5]
	s_cbranch_execz .LBB120_494
; %bb.489:
	s_movk_i32 s16, 0x140
	s_branch .LBB120_491
.LBB120_490:                            ;   in Loop: Header=BB120_491 Depth=1
	s_andn2_b64 vcc, exec, s[18:19]
	s_cbranch_vccz .LBB120_493
.LBB120_491:                            ; =>This Inner Loop Header: Depth=1
	v_mov_b32_e32 v4, s16
	buffer_load_dword v10, v4, s[0:3], 0 offen
	buffer_load_dword v11, v4, s[0:3], 0 offen offset:4
	buffer_load_dword v12, v4, s[0:3], 0 offen offset:8
	;; [unrolled: 1-line block ×3, first 2 shown]
	s_mov_b32 s17, s16
	v_add_u32_e32 v4, s16, v40
	s_cmpk_eq_i32 s16, 0x3c0
	s_mov_b64 s[18:19], -1
	s_waitcnt vmcnt(0)
	ds_write2_b64 v4, v[10:11], v[12:13] offset1:1
	s_cbranch_scc1 .LBB120_490
; %bb.492:                              ;   in Loop: Header=BB120_491 Depth=1
	v_mov_b32_e32 v5, s17
	buffer_load_dword v10, v5, s[0:3], 0 offen offset:16
	buffer_load_dword v11, v5, s[0:3], 0 offen offset:20
	;; [unrolled: 1-line block ×28, first 2 shown]
	s_addk_i32 s16, 0x80
	s_mov_b64 s[18:19], 0
	s_waitcnt vmcnt(24)
	ds_write2_b64 v4, v[10:11], v[12:13] offset0:2 offset1:3
	s_waitcnt vmcnt(20)
	ds_write2_b64 v4, v[14:15], v[16:17] offset0:4 offset1:5
	;; [unrolled: 2-line block ×5, first 2 shown]
	ds_write2_b64 v4, v[30:31], v[28:29] offset0:12 offset1:13
	s_waitcnt vmcnt(0)
	ds_write2_b64 v4, v[36:37], v[34:35] offset0:14 offset1:15
	s_branch .LBB120_490
.LBB120_493:
	v_mov_b32_e32 v43, 19
.LBB120_494:
	s_or_b64 exec, exec, s[4:5]
	v_cmp_lt_i32_e32 vcc, 19, v43
	s_waitcnt vmcnt(0) lgkmcnt(0)
	s_barrier
	s_and_saveexec_b64 s[4:5], vcc
	s_cbranch_execz .LBB120_499
; %bb.495:
	buffer_load_dword v4, off, s[0:3], 0 offset:312
	buffer_load_dword v5, off, s[0:3], 0 offset:316
	;; [unrolled: 1-line block ×4, first 2 shown]
	s_movk_i32 s24, 0x140
	s_waitcnt vmcnt(2)
	v_mul_f64 v[12:13], v[2:3], v[4:5]
	v_mul_f64 v[4:5], v[0:1], v[4:5]
	s_waitcnt vmcnt(0)
	v_fma_f64 v[0:1], v[0:1], v[10:11], -v[12:13]
	v_fma_f64 v[2:3], v[2:3], v[10:11], v[4:5]
	buffer_store_dword v0, off, s[0:3], 0 offset:304
	buffer_store_dword v1, off, s[0:3], 0 offset:308
	;; [unrolled: 1-line block ×4, first 2 shown]
	s_branch .LBB120_497
.LBB120_496:                            ;   in Loop: Header=BB120_497 Depth=1
	s_andn2_b64 vcc, exec, s[18:19]
	s_cbranch_vccz .LBB120_499
.LBB120_497:                            ; =>This Inner Loop Header: Depth=1
	v_mov_b32_e32 v5, s24
	buffer_load_dword v14, v5, s[0:3], 0 offen
	buffer_load_dword v15, v5, s[0:3], 0 offen offset:4
	buffer_load_dword v16, v5, s[0:3], 0 offen offset:8
	;; [unrolled: 1-line block ×3, first 2 shown]
	v_add_u32_e32 v4, s24, v40
	ds_read2_b64 v[10:13], v4 offset1:1
	s_mov_b32 s16, s24
	s_cmpk_eq_i32 s24, 0x3c0
	s_mov_b64 s[18:19], -1
	s_waitcnt vmcnt(4) lgkmcnt(0)
	v_mul_f64 v[18:19], v[12:13], v[2:3]
	v_mul_f64 v[2:3], v[10:11], v[2:3]
	v_fma_f64 v[10:11], v[10:11], v[0:1], -v[18:19]
	v_fma_f64 v[0:1], v[12:13], v[0:1], v[2:3]
	s_waitcnt vmcnt(2)
	v_add_f64 v[2:3], v[14:15], -v[10:11]
	s_waitcnt vmcnt(0)
	v_add_f64 v[0:1], v[16:17], -v[0:1]
	buffer_store_dword v2, v5, s[0:3], 0 offen
	buffer_store_dword v3, v5, s[0:3], 0 offen offset:4
	buffer_store_dword v0, v5, s[0:3], 0 offen offset:8
	;; [unrolled: 1-line block ×3, first 2 shown]
                                        ; implicit-def: $vgpr0_vgpr1
                                        ; implicit-def: $vgpr2_vgpr3
	s_cbranch_scc1 .LBB120_496
; %bb.498:                              ;   in Loop: Header=BB120_497 Depth=1
	buffer_load_dword v14, off, s[0:3], 0 offset:312
	buffer_load_dword v15, off, s[0:3], 0 offset:316
	;; [unrolled: 1-line block ×4, first 2 shown]
	v_mov_b32_e32 v24, s16
	buffer_load_dword v18, v24, s[0:3], 0 offen offset:16
	buffer_load_dword v19, v24, s[0:3], 0 offen offset:20
	;; [unrolled: 1-line block ×4, first 2 shown]
	ds_read2_b64 v[0:3], v4 offset0:2 offset1:3
	ds_read2_b64 v[10:13], v4 offset0:4 offset1:5
	s_add_i32 s24, s24, 64
	s_mov_b64 s[18:19], 0
	s_waitcnt vmcnt(6) lgkmcnt(1)
	v_mul_f64 v[22:23], v[2:3], v[14:15]
	v_mul_f64 v[14:15], v[0:1], v[14:15]
	s_waitcnt vmcnt(4)
	v_fma_f64 v[0:1], v[0:1], v[16:17], -v[22:23]
	v_fma_f64 v[2:3], v[2:3], v[16:17], v[14:15]
	s_waitcnt vmcnt(2)
	v_add_f64 v[0:1], v[18:19], -v[0:1]
	s_waitcnt vmcnt(0)
	v_add_f64 v[2:3], v[20:21], -v[2:3]
	buffer_store_dword v1, v24, s[0:3], 0 offen offset:20
	buffer_store_dword v0, v24, s[0:3], 0 offen offset:16
	;; [unrolled: 1-line block ×4, first 2 shown]
	buffer_load_dword v1, v24, s[0:3], 0 offen offset:36
	s_nop 0
	buffer_load_dword v2, v24, s[0:3], 0 offen offset:40
	buffer_load_dword v3, v24, s[0:3], 0 offen offset:44
	buffer_load_dword v15, off, s[0:3], 0 offset:316
	buffer_load_dword v14, off, s[0:3], 0 offset:312
	;; [unrolled: 1-line block ×4, first 2 shown]
	buffer_load_dword v0, v24, s[0:3], 0 offen offset:32
	s_waitcnt vmcnt(3) lgkmcnt(0)
	v_mul_f64 v[18:19], v[12:13], v[14:15]
	v_mul_f64 v[14:15], v[10:11], v[14:15]
	s_waitcnt vmcnt(1)
	v_fma_f64 v[10:11], v[10:11], v[16:17], -v[18:19]
	v_fma_f64 v[12:13], v[12:13], v[16:17], v[14:15]
	s_waitcnt vmcnt(0)
	v_add_f64 v[0:1], v[0:1], -v[10:11]
	v_add_f64 v[2:3], v[2:3], -v[12:13]
	buffer_store_dword v1, v24, s[0:3], 0 offen offset:36
	buffer_store_dword v0, v24, s[0:3], 0 offen offset:32
	;; [unrolled: 1-line block ×4, first 2 shown]
	buffer_load_dword v11, v24, s[0:3], 0 offen offset:52
	buffer_load_dword v12, v24, s[0:3], 0 offen offset:56
	;; [unrolled: 1-line block ×3, first 2 shown]
	buffer_load_dword v14, off, s[0:3], 0 offset:312
	buffer_load_dword v15, off, s[0:3], 0 offset:316
	buffer_load_dword v16, off, s[0:3], 0 offset:304
	buffer_load_dword v17, off, s[0:3], 0 offset:308
	buffer_load_dword v10, v24, s[0:3], 0 offen offset:48
	ds_read2_b64 v[0:3], v4 offset0:6 offset1:7
	s_waitcnt vmcnt(3) lgkmcnt(0)
	v_mul_f64 v[4:5], v[2:3], v[14:15]
	v_mul_f64 v[14:15], v[0:1], v[14:15]
	s_waitcnt vmcnt(1)
	v_fma_f64 v[0:1], v[0:1], v[16:17], -v[4:5]
	v_fma_f64 v[2:3], v[2:3], v[16:17], v[14:15]
	s_waitcnt vmcnt(0)
	v_add_f64 v[0:1], v[10:11], -v[0:1]
	v_add_f64 v[2:3], v[12:13], -v[2:3]
	buffer_store_dword v1, v24, s[0:3], 0 offen offset:52
	buffer_store_dword v0, v24, s[0:3], 0 offen offset:48
	;; [unrolled: 1-line block ×4, first 2 shown]
	buffer_load_dword v0, off, s[0:3], 0 offset:304
	s_nop 0
	buffer_load_dword v1, off, s[0:3], 0 offset:308
	buffer_load_dword v2, off, s[0:3], 0 offset:312
	;; [unrolled: 1-line block ×3, first 2 shown]
	s_branch .LBB120_496
.LBB120_499:
	s_or_b64 exec, exec, s[4:5]
	s_waitcnt vmcnt(0)
	v_mov_b32_e32 v3, s66
	s_barrier
	buffer_load_dword v0, v3, s[0:3], 0 offen
	buffer_load_dword v1, v3, s[0:3], 0 offen offset:4
	buffer_load_dword v2, v3, s[0:3], 0 offen offset:8
	s_nop 0
	buffer_load_dword v3, v3, s[0:3], 0 offen offset:12
	v_lshl_add_u32 v4, v43, 4, v40
	s_cmp_lt_i32 s64, 22
	s_waitcnt vmcnt(0)
	ds_write2_b64 v4, v[0:1], v[2:3] offset1:1
	s_waitcnt lgkmcnt(0)
	s_barrier
	ds_read2_b64 v[0:3], v40 offset0:40 offset1:41
	v_mov_b32_e32 v4, 20
	s_cbranch_scc1 .LBB120_502
; %bb.500:
	v_add_u32_e32 v5, 0x150, v40
	s_mov_b32 s16, 21
	v_mov_b32_e32 v4, 20
.LBB120_501:                            ; =>This Inner Loop Header: Depth=1
	s_waitcnt lgkmcnt(0)
	v_cmp_gt_f64_e32 vcc, 0, v[2:3]
	v_cmp_gt_f64_e64 s[4:5], 0, v[0:1]
	ds_read2_b64 v[10:13], v5 offset1:1
	v_xor_b32_e32 v15, 0x80000000, v1
	v_xor_b32_e32 v17, 0x80000000, v3
	v_mov_b32_e32 v14, v0
	v_mov_b32_e32 v16, v2
	s_waitcnt lgkmcnt(0)
	v_xor_b32_e32 v19, 0x80000000, v13
	v_cndmask_b32_e32 v17, v3, v17, vcc
	v_cndmask_b32_e64 v15, v1, v15, s[4:5]
	v_cmp_gt_f64_e32 vcc, 0, v[12:13]
	v_cmp_gt_f64_e64 s[4:5], 0, v[10:11]
	v_add_f64 v[14:15], v[14:15], v[16:17]
	v_xor_b32_e32 v17, 0x80000000, v11
	v_mov_b32_e32 v16, v10
	v_mov_b32_e32 v18, v12
	v_add_u32_e32 v5, 16, v5
	v_cndmask_b32_e32 v19, v13, v19, vcc
	v_cndmask_b32_e64 v17, v11, v17, s[4:5]
	v_add_f64 v[16:17], v[16:17], v[18:19]
	v_mov_b32_e32 v18, s16
	s_add_i32 s16, s16, 1
	s_cmp_lg_u32 s64, s16
	v_cmp_lt_f64_e32 vcc, v[14:15], v[16:17]
	v_cndmask_b32_e32 v1, v1, v11, vcc
	v_cndmask_b32_e32 v0, v0, v10, vcc
	;; [unrolled: 1-line block ×5, first 2 shown]
	s_cbranch_scc1 .LBB120_501
.LBB120_502:
	s_waitcnt lgkmcnt(0)
	v_cmp_eq_f64_e32 vcc, 0, v[0:1]
	v_cmp_eq_f64_e64 s[4:5], 0, v[2:3]
	s_and_b64 s[4:5], vcc, s[4:5]
	s_and_saveexec_b64 s[16:17], s[4:5]
	s_xor_b64 s[4:5], exec, s[16:17]
; %bb.503:
	v_cmp_ne_u32_e32 vcc, 0, v41
	v_cndmask_b32_e32 v41, 21, v41, vcc
; %bb.504:
	s_andn2_saveexec_b64 s[4:5], s[4:5]
	s_cbranch_execz .LBB120_510
; %bb.505:
	v_cmp_ngt_f64_e64 s[16:17], |v[0:1]|, |v[2:3]|
	s_and_saveexec_b64 s[18:19], s[16:17]
	s_xor_b64 s[18:19], exec, s[18:19]
	s_cbranch_execz .LBB120_507
; %bb.506:
	v_div_scale_f64 v[10:11], s[16:17], v[2:3], v[2:3], v[0:1]
	v_rcp_f64_e32 v[12:13], v[10:11]
	v_fma_f64 v[14:15], -v[10:11], v[12:13], 1.0
	v_fma_f64 v[12:13], v[12:13], v[14:15], v[12:13]
	v_div_scale_f64 v[14:15], vcc, v[0:1], v[2:3], v[0:1]
	v_fma_f64 v[16:17], -v[10:11], v[12:13], 1.0
	v_fma_f64 v[12:13], v[12:13], v[16:17], v[12:13]
	v_mul_f64 v[16:17], v[14:15], v[12:13]
	v_fma_f64 v[10:11], -v[10:11], v[16:17], v[14:15]
	v_div_fmas_f64 v[10:11], v[10:11], v[12:13], v[16:17]
	v_div_fixup_f64 v[10:11], v[10:11], v[2:3], v[0:1]
	v_fma_f64 v[0:1], v[0:1], v[10:11], v[2:3]
	v_div_scale_f64 v[2:3], s[16:17], v[0:1], v[0:1], 1.0
	v_div_scale_f64 v[16:17], vcc, 1.0, v[0:1], 1.0
	v_rcp_f64_e32 v[12:13], v[2:3]
	v_fma_f64 v[14:15], -v[2:3], v[12:13], 1.0
	v_fma_f64 v[12:13], v[12:13], v[14:15], v[12:13]
	v_fma_f64 v[14:15], -v[2:3], v[12:13], 1.0
	v_fma_f64 v[12:13], v[12:13], v[14:15], v[12:13]
	v_mul_f64 v[14:15], v[16:17], v[12:13]
	v_fma_f64 v[2:3], -v[2:3], v[14:15], v[16:17]
	v_div_fmas_f64 v[2:3], v[2:3], v[12:13], v[14:15]
	v_div_fixup_f64 v[2:3], v[2:3], v[0:1], 1.0
	v_mul_f64 v[0:1], v[10:11], v[2:3]
	v_xor_b32_e32 v3, 0x80000000, v3
.LBB120_507:
	s_andn2_saveexec_b64 s[18:19], s[18:19]
	s_cbranch_execz .LBB120_509
; %bb.508:
	v_div_scale_f64 v[10:11], s[16:17], v[0:1], v[0:1], v[2:3]
	v_rcp_f64_e32 v[12:13], v[10:11]
	v_fma_f64 v[14:15], -v[10:11], v[12:13], 1.0
	v_fma_f64 v[12:13], v[12:13], v[14:15], v[12:13]
	v_div_scale_f64 v[14:15], vcc, v[2:3], v[0:1], v[2:3]
	v_fma_f64 v[16:17], -v[10:11], v[12:13], 1.0
	v_fma_f64 v[12:13], v[12:13], v[16:17], v[12:13]
	v_mul_f64 v[16:17], v[14:15], v[12:13]
	v_fma_f64 v[10:11], -v[10:11], v[16:17], v[14:15]
	v_div_fmas_f64 v[10:11], v[10:11], v[12:13], v[16:17]
	v_div_fixup_f64 v[10:11], v[10:11], v[0:1], v[2:3]
	v_fma_f64 v[0:1], v[2:3], v[10:11], v[0:1]
	v_div_scale_f64 v[2:3], s[16:17], v[0:1], v[0:1], 1.0
	v_div_scale_f64 v[16:17], vcc, 1.0, v[0:1], 1.0
	v_rcp_f64_e32 v[12:13], v[2:3]
	v_fma_f64 v[14:15], -v[2:3], v[12:13], 1.0
	v_fma_f64 v[12:13], v[12:13], v[14:15], v[12:13]
	v_fma_f64 v[14:15], -v[2:3], v[12:13], 1.0
	v_fma_f64 v[12:13], v[12:13], v[14:15], v[12:13]
	v_mul_f64 v[14:15], v[16:17], v[12:13]
	v_fma_f64 v[2:3], -v[2:3], v[14:15], v[16:17]
	v_div_fmas_f64 v[2:3], v[2:3], v[12:13], v[14:15]
	v_div_fixup_f64 v[0:1], v[2:3], v[0:1], 1.0
	v_mul_f64 v[2:3], v[10:11], -v[0:1]
.LBB120_509:
	s_or_b64 exec, exec, s[18:19]
.LBB120_510:
	s_or_b64 exec, exec, s[4:5]
	v_cmp_ne_u32_e32 vcc, v43, v4
	s_and_saveexec_b64 s[4:5], vcc
	s_xor_b64 s[4:5], exec, s[4:5]
	s_cbranch_execz .LBB120_516
; %bb.511:
	v_cmp_eq_u32_e32 vcc, 20, v43
	s_and_saveexec_b64 s[18:19], vcc
	s_cbranch_execz .LBB120_515
; %bb.512:
	v_cmp_ne_u32_e32 vcc, 20, v4
	s_xor_b64 s[16:17], s[22:23], -1
	s_and_b64 s[16:17], s[16:17], vcc
	s_and_saveexec_b64 s[24:25], s[16:17]
	s_cbranch_execz .LBB120_514
; %bb.513:
	v_ashrrev_i32_e32 v5, 31, v4
	v_lshlrev_b64 v[10:11], 2, v[4:5]
	v_add_co_u32_e32 v10, vcc, v8, v10
	v_addc_co_u32_e32 v11, vcc, v9, v11, vcc
	global_load_dword v5, v[10:11], off
	global_load_dword v12, v[8:9], off offset:80
	s_waitcnt vmcnt(1)
	global_store_dword v[8:9], v5, off offset:80
	s_waitcnt vmcnt(1)
	global_store_dword v[10:11], v12, off
.LBB120_514:
	s_or_b64 exec, exec, s[24:25]
	v_mov_b32_e32 v43, v4
	v_mov_b32_e32 v42, v4
.LBB120_515:
	s_or_b64 exec, exec, s[18:19]
.LBB120_516:
	s_andn2_saveexec_b64 s[4:5], s[4:5]
	s_cbranch_execz .LBB120_520
; %bb.517:
	s_movk_i32 s16, 0x150
.LBB120_518:                            ; =>This Inner Loop Header: Depth=1
	v_mov_b32_e32 v52, s16
	buffer_load_dword v4, v52, s[0:3], 0 offen
	buffer_load_dword v5, v52, s[0:3], 0 offen offset:4
	buffer_load_dword v10, v52, s[0:3], 0 offen offset:8
	;; [unrolled: 1-line block ×38, first 2 shown]
	s_nop 0
	buffer_load_dword v52, v52, s[0:3], 0 offen offset:156
	v_add_u32_e32 v53, s16, v40
	s_addk_i32 s16, 0xa0
	s_cmpk_eq_i32 s16, 0x3d0
	s_waitcnt vmcnt(36)
	ds_write2_b64 v53, v[4:5], v[10:11] offset1:1
	s_waitcnt vmcnt(32)
	ds_write2_b64 v53, v[12:13], v[14:15] offset0:2 offset1:3
	s_waitcnt vmcnt(28)
	ds_write2_b64 v53, v[16:17], v[18:19] offset0:4 offset1:5
	s_waitcnt vmcnt(24)
	ds_write2_b64 v53, v[20:21], v[22:23] offset0:6 offset1:7
	s_waitcnt vmcnt(16)
	ds_write2_b64 v53, v[30:31], v[24:25] offset0:8 offset1:9
	ds_write2_b64 v53, v[28:29], v[26:27] offset0:10 offset1:11
	s_waitcnt vmcnt(8)
	ds_write2_b64 v53, v[43:44], v[32:33] offset0:12 offset1:13
	ds_write2_b64 v53, v[36:37], v[34:35] offset0:14 offset1:15
	s_waitcnt vmcnt(4)
	ds_write2_b64 v53, v[45:46], v[47:48] offset0:16 offset1:17
	s_waitcnt vmcnt(0)
	ds_write2_b64 v53, v[49:50], v[51:52] offset0:18 offset1:19
	s_cbranch_scc0 .LBB120_518
; %bb.519:
	v_mov_b32_e32 v43, 20
.LBB120_520:
	s_or_b64 exec, exec, s[4:5]
	v_cmp_lt_i32_e32 vcc, 20, v43
	s_waitcnt vmcnt(0) lgkmcnt(0)
	s_barrier
	s_and_saveexec_b64 s[4:5], vcc
	s_cbranch_execz .LBB120_523
; %bb.521:
	buffer_load_dword v4, off, s[0:3], 0 offset:328
	buffer_load_dword v5, off, s[0:3], 0 offset:332
	buffer_load_dword v10, off, s[0:3], 0 offset:320
	buffer_load_dword v11, off, s[0:3], 0 offset:324
	s_movk_i32 s18, 0x150
	s_waitcnt vmcnt(2)
	v_mul_f64 v[12:13], v[2:3], v[4:5]
	v_mul_f64 v[4:5], v[0:1], v[4:5]
	s_waitcnt vmcnt(0)
	v_fma_f64 v[0:1], v[0:1], v[10:11], -v[12:13]
	v_fma_f64 v[2:3], v[2:3], v[10:11], v[4:5]
	buffer_store_dword v0, off, s[0:3], 0 offset:320
	buffer_store_dword v1, off, s[0:3], 0 offset:324
	;; [unrolled: 1-line block ×4, first 2 shown]
.LBB120_522:                            ; =>This Inner Loop Header: Depth=1
	buffer_load_dword v4, off, s[0:3], 0 offset:328
	buffer_load_dword v5, off, s[0:3], 0 offset:332
	;; [unrolled: 1-line block ×4, first 2 shown]
	v_mov_b32_e32 v26, s18
	buffer_load_dword v16, v26, s[0:3], 0 offen
	buffer_load_dword v17, v26, s[0:3], 0 offen offset:4
	buffer_load_dword v18, v26, s[0:3], 0 offen offset:8
	;; [unrolled: 1-line block ×3, first 2 shown]
	v_add_u32_e32 v27, s18, v40
	ds_read2_b64 v[0:3], v27 offset1:1
	buffer_load_dword v20, v26, s[0:3], 0 offen offset:16
	buffer_load_dword v21, v26, s[0:3], 0 offen offset:20
	;; [unrolled: 1-line block ×4, first 2 shown]
	ds_read2_b64 v[10:13], v27 offset0:2 offset1:3
	s_addk_i32 s18, 0x50
	s_cmpk_lg_i32 s18, 0x3d0
	s_waitcnt vmcnt(10) lgkmcnt(1)
	v_mul_f64 v[24:25], v[2:3], v[4:5]
	v_mul_f64 v[4:5], v[0:1], v[4:5]
	s_waitcnt vmcnt(8)
	v_fma_f64 v[0:1], v[0:1], v[14:15], -v[24:25]
	v_fma_f64 v[2:3], v[2:3], v[14:15], v[4:5]
	s_waitcnt vmcnt(6)
	v_add_f64 v[0:1], v[16:17], -v[0:1]
	s_waitcnt vmcnt(4)
	v_add_f64 v[2:3], v[18:19], -v[2:3]
	buffer_store_dword v1, v26, s[0:3], 0 offen offset:4
	buffer_store_dword v0, v26, s[0:3], 0 offen
	buffer_store_dword v3, v26, s[0:3], 0 offen offset:12
	buffer_store_dword v2, v26, s[0:3], 0 offen offset:8
	buffer_load_dword v1, off, s[0:3], 0 offset:332
	s_nop 0
	buffer_load_dword v0, off, s[0:3], 0 offset:328
	buffer_load_dword v3, off, s[0:3], 0 offset:324
	;; [unrolled: 1-line block ×3, first 2 shown]
	buffer_load_dword v4, v26, s[0:3], 0 offen offset:32
	buffer_load_dword v5, v26, s[0:3], 0 offen offset:36
	;; [unrolled: 1-line block ×4, first 2 shown]
	s_waitcnt vmcnt(6) lgkmcnt(0)
	v_mul_f64 v[16:17], v[12:13], v[0:1]
	v_mul_f64 v[0:1], v[10:11], v[0:1]
	s_waitcnt vmcnt(4)
	v_fma_f64 v[10:11], v[10:11], v[2:3], -v[16:17]
	v_fma_f64 v[0:1], v[12:13], v[2:3], v[0:1]
	v_add_f64 v[2:3], v[20:21], -v[10:11]
	v_add_f64 v[0:1], v[22:23], -v[0:1]
	buffer_store_dword v3, v26, s[0:3], 0 offen offset:20
	buffer_store_dword v2, v26, s[0:3], 0 offen offset:16
	;; [unrolled: 1-line block ×4, first 2 shown]
	buffer_load_dword v16, off, s[0:3], 0 offset:328
	buffer_load_dword v17, off, s[0:3], 0 offset:332
	;; [unrolled: 1-line block ×4, first 2 shown]
	ds_read2_b64 v[0:3], v27 offset0:4 offset1:5
	ds_read2_b64 v[10:13], v27 offset0:6 offset1:7
	s_waitcnt vmcnt(2) lgkmcnt(1)
	v_mul_f64 v[20:21], v[2:3], v[16:17]
	v_mul_f64 v[16:17], v[0:1], v[16:17]
	s_waitcnt vmcnt(0)
	v_fma_f64 v[0:1], v[0:1], v[18:19], -v[20:21]
	v_fma_f64 v[2:3], v[2:3], v[18:19], v[16:17]
	v_add_f64 v[0:1], v[4:5], -v[0:1]
	v_add_f64 v[2:3], v[14:15], -v[2:3]
	buffer_store_dword v1, v26, s[0:3], 0 offen offset:36
	buffer_store_dword v0, v26, s[0:3], 0 offen offset:32
	;; [unrolled: 1-line block ×4, first 2 shown]
	buffer_load_dword v0, off, s[0:3], 0 offset:328
	s_nop 0
	buffer_load_dword v1, off, s[0:3], 0 offset:332
	buffer_load_dword v2, off, s[0:3], 0 offset:320
	;; [unrolled: 1-line block ×3, first 2 shown]
	buffer_load_dword v4, v26, s[0:3], 0 offen offset:48
	buffer_load_dword v5, v26, s[0:3], 0 offen offset:52
	;; [unrolled: 1-line block ×4, first 2 shown]
	s_waitcnt vmcnt(6) lgkmcnt(0)
	v_mul_f64 v[16:17], v[12:13], v[0:1]
	v_mul_f64 v[0:1], v[10:11], v[0:1]
	s_waitcnt vmcnt(4)
	v_fma_f64 v[10:11], v[10:11], v[2:3], -v[16:17]
	v_fma_f64 v[0:1], v[12:13], v[2:3], v[0:1]
	s_waitcnt vmcnt(2)
	v_add_f64 v[2:3], v[4:5], -v[10:11]
	s_waitcnt vmcnt(0)
	v_add_f64 v[0:1], v[14:15], -v[0:1]
	buffer_store_dword v3, v26, s[0:3], 0 offen offset:52
	buffer_store_dword v2, v26, s[0:3], 0 offen offset:48
	;; [unrolled: 1-line block ×4, first 2 shown]
	buffer_load_dword v4, off, s[0:3], 0 offset:328
	buffer_load_dword v5, off, s[0:3], 0 offset:332
	;; [unrolled: 1-line block ×4, first 2 shown]
	buffer_load_dword v12, v26, s[0:3], 0 offen offset:64
	buffer_load_dword v13, v26, s[0:3], 0 offen offset:68
	;; [unrolled: 1-line block ×4, first 2 shown]
	ds_read2_b64 v[0:3], v27 offset0:8 offset1:9
	s_waitcnt vmcnt(6) lgkmcnt(0)
	v_mul_f64 v[16:17], v[2:3], v[4:5]
	v_mul_f64 v[4:5], v[0:1], v[4:5]
	s_waitcnt vmcnt(4)
	v_fma_f64 v[0:1], v[0:1], v[10:11], -v[16:17]
	v_fma_f64 v[2:3], v[2:3], v[10:11], v[4:5]
	s_waitcnt vmcnt(2)
	v_add_f64 v[0:1], v[12:13], -v[0:1]
	s_waitcnt vmcnt(0)
	v_add_f64 v[2:3], v[14:15], -v[2:3]
	buffer_store_dword v1, v26, s[0:3], 0 offen offset:68
	buffer_store_dword v0, v26, s[0:3], 0 offen offset:64
	buffer_store_dword v3, v26, s[0:3], 0 offen offset:76
	buffer_store_dword v2, v26, s[0:3], 0 offen offset:72
	s_cbranch_scc1 .LBB120_522
.LBB120_523:
	s_or_b64 exec, exec, s[4:5]
	v_mov_b32_e32 v3, s65
	s_waitcnt vmcnt(0)
	s_barrier
	buffer_load_dword v0, v3, s[0:3], 0 offen
	buffer_load_dword v1, v3, s[0:3], 0 offen offset:4
	buffer_load_dword v2, v3, s[0:3], 0 offen offset:8
	s_nop 0
	buffer_load_dword v3, v3, s[0:3], 0 offen offset:12
	v_lshl_add_u32 v4, v43, 4, v40
	s_cmp_lt_i32 s64, 23
	s_waitcnt vmcnt(0)
	ds_write2_b64 v4, v[0:1], v[2:3] offset1:1
	s_waitcnt lgkmcnt(0)
	s_barrier
	ds_read2_b64 v[0:3], v40 offset0:42 offset1:43
	v_mov_b32_e32 v4, 21
	s_cbranch_scc1 .LBB120_526
; %bb.524:
	v_add_u32_e32 v5, 0x160, v40
	s_mov_b32 s16, 22
	v_mov_b32_e32 v4, 21
.LBB120_525:                            ; =>This Inner Loop Header: Depth=1
	s_waitcnt lgkmcnt(0)
	v_cmp_gt_f64_e32 vcc, 0, v[2:3]
	v_cmp_gt_f64_e64 s[4:5], 0, v[0:1]
	ds_read2_b64 v[10:13], v5 offset1:1
	v_xor_b32_e32 v15, 0x80000000, v1
	v_xor_b32_e32 v17, 0x80000000, v3
	v_mov_b32_e32 v14, v0
	v_mov_b32_e32 v16, v2
	s_waitcnt lgkmcnt(0)
	v_xor_b32_e32 v19, 0x80000000, v13
	v_cndmask_b32_e32 v17, v3, v17, vcc
	v_cndmask_b32_e64 v15, v1, v15, s[4:5]
	v_cmp_gt_f64_e32 vcc, 0, v[12:13]
	v_cmp_gt_f64_e64 s[4:5], 0, v[10:11]
	v_add_f64 v[14:15], v[14:15], v[16:17]
	v_xor_b32_e32 v17, 0x80000000, v11
	v_mov_b32_e32 v16, v10
	v_mov_b32_e32 v18, v12
	v_add_u32_e32 v5, 16, v5
	v_cndmask_b32_e32 v19, v13, v19, vcc
	v_cndmask_b32_e64 v17, v11, v17, s[4:5]
	v_add_f64 v[16:17], v[16:17], v[18:19]
	v_mov_b32_e32 v18, s16
	s_add_i32 s16, s16, 1
	s_cmp_lg_u32 s64, s16
	v_cmp_lt_f64_e32 vcc, v[14:15], v[16:17]
	v_cndmask_b32_e32 v1, v1, v11, vcc
	v_cndmask_b32_e32 v0, v0, v10, vcc
	;; [unrolled: 1-line block ×5, first 2 shown]
	s_cbranch_scc1 .LBB120_525
.LBB120_526:
	s_waitcnt lgkmcnt(0)
	v_cmp_eq_f64_e32 vcc, 0, v[0:1]
	v_cmp_eq_f64_e64 s[4:5], 0, v[2:3]
	s_and_b64 s[4:5], vcc, s[4:5]
	s_and_saveexec_b64 s[16:17], s[4:5]
	s_xor_b64 s[4:5], exec, s[16:17]
; %bb.527:
	v_cmp_ne_u32_e32 vcc, 0, v41
	v_cndmask_b32_e32 v41, 22, v41, vcc
; %bb.528:
	s_andn2_saveexec_b64 s[4:5], s[4:5]
	s_cbranch_execz .LBB120_534
; %bb.529:
	v_cmp_ngt_f64_e64 s[16:17], |v[0:1]|, |v[2:3]|
	s_and_saveexec_b64 s[18:19], s[16:17]
	s_xor_b64 s[18:19], exec, s[18:19]
	s_cbranch_execz .LBB120_531
; %bb.530:
	v_div_scale_f64 v[10:11], s[16:17], v[2:3], v[2:3], v[0:1]
	v_rcp_f64_e32 v[12:13], v[10:11]
	v_fma_f64 v[14:15], -v[10:11], v[12:13], 1.0
	v_fma_f64 v[12:13], v[12:13], v[14:15], v[12:13]
	v_div_scale_f64 v[14:15], vcc, v[0:1], v[2:3], v[0:1]
	v_fma_f64 v[16:17], -v[10:11], v[12:13], 1.0
	v_fma_f64 v[12:13], v[12:13], v[16:17], v[12:13]
	v_mul_f64 v[16:17], v[14:15], v[12:13]
	v_fma_f64 v[10:11], -v[10:11], v[16:17], v[14:15]
	v_div_fmas_f64 v[10:11], v[10:11], v[12:13], v[16:17]
	v_div_fixup_f64 v[10:11], v[10:11], v[2:3], v[0:1]
	v_fma_f64 v[0:1], v[0:1], v[10:11], v[2:3]
	v_div_scale_f64 v[2:3], s[16:17], v[0:1], v[0:1], 1.0
	v_div_scale_f64 v[16:17], vcc, 1.0, v[0:1], 1.0
	v_rcp_f64_e32 v[12:13], v[2:3]
	v_fma_f64 v[14:15], -v[2:3], v[12:13], 1.0
	v_fma_f64 v[12:13], v[12:13], v[14:15], v[12:13]
	v_fma_f64 v[14:15], -v[2:3], v[12:13], 1.0
	v_fma_f64 v[12:13], v[12:13], v[14:15], v[12:13]
	v_mul_f64 v[14:15], v[16:17], v[12:13]
	v_fma_f64 v[2:3], -v[2:3], v[14:15], v[16:17]
	v_div_fmas_f64 v[2:3], v[2:3], v[12:13], v[14:15]
	v_div_fixup_f64 v[2:3], v[2:3], v[0:1], 1.0
	v_mul_f64 v[0:1], v[10:11], v[2:3]
	v_xor_b32_e32 v3, 0x80000000, v3
.LBB120_531:
	s_andn2_saveexec_b64 s[18:19], s[18:19]
	s_cbranch_execz .LBB120_533
; %bb.532:
	v_div_scale_f64 v[10:11], s[16:17], v[0:1], v[0:1], v[2:3]
	v_rcp_f64_e32 v[12:13], v[10:11]
	v_fma_f64 v[14:15], -v[10:11], v[12:13], 1.0
	v_fma_f64 v[12:13], v[12:13], v[14:15], v[12:13]
	v_div_scale_f64 v[14:15], vcc, v[2:3], v[0:1], v[2:3]
	v_fma_f64 v[16:17], -v[10:11], v[12:13], 1.0
	v_fma_f64 v[12:13], v[12:13], v[16:17], v[12:13]
	v_mul_f64 v[16:17], v[14:15], v[12:13]
	v_fma_f64 v[10:11], -v[10:11], v[16:17], v[14:15]
	v_div_fmas_f64 v[10:11], v[10:11], v[12:13], v[16:17]
	v_div_fixup_f64 v[10:11], v[10:11], v[0:1], v[2:3]
	v_fma_f64 v[0:1], v[2:3], v[10:11], v[0:1]
	v_div_scale_f64 v[2:3], s[16:17], v[0:1], v[0:1], 1.0
	v_div_scale_f64 v[16:17], vcc, 1.0, v[0:1], 1.0
	v_rcp_f64_e32 v[12:13], v[2:3]
	v_fma_f64 v[14:15], -v[2:3], v[12:13], 1.0
	v_fma_f64 v[12:13], v[12:13], v[14:15], v[12:13]
	v_fma_f64 v[14:15], -v[2:3], v[12:13], 1.0
	v_fma_f64 v[12:13], v[12:13], v[14:15], v[12:13]
	v_mul_f64 v[14:15], v[16:17], v[12:13]
	v_fma_f64 v[2:3], -v[2:3], v[14:15], v[16:17]
	v_div_fmas_f64 v[2:3], v[2:3], v[12:13], v[14:15]
	v_div_fixup_f64 v[0:1], v[2:3], v[0:1], 1.0
	v_mul_f64 v[2:3], v[10:11], -v[0:1]
.LBB120_533:
	s_or_b64 exec, exec, s[18:19]
.LBB120_534:
	s_or_b64 exec, exec, s[4:5]
	v_cmp_ne_u32_e32 vcc, v43, v4
	s_and_saveexec_b64 s[4:5], vcc
	s_xor_b64 s[4:5], exec, s[4:5]
	s_cbranch_execz .LBB120_540
; %bb.535:
	v_cmp_eq_u32_e32 vcc, 21, v43
	s_and_saveexec_b64 s[18:19], vcc
	s_cbranch_execz .LBB120_539
; %bb.536:
	v_cmp_ne_u32_e32 vcc, 21, v4
	s_xor_b64 s[16:17], s[22:23], -1
	s_and_b64 s[16:17], s[16:17], vcc
	s_and_saveexec_b64 s[24:25], s[16:17]
	s_cbranch_execz .LBB120_538
; %bb.537:
	v_ashrrev_i32_e32 v5, 31, v4
	v_lshlrev_b64 v[10:11], 2, v[4:5]
	v_add_co_u32_e32 v10, vcc, v8, v10
	v_addc_co_u32_e32 v11, vcc, v9, v11, vcc
	global_load_dword v5, v[10:11], off
	global_load_dword v12, v[8:9], off offset:84
	s_waitcnt vmcnt(1)
	global_store_dword v[8:9], v5, off offset:84
	s_waitcnt vmcnt(1)
	global_store_dword v[10:11], v12, off
.LBB120_538:
	s_or_b64 exec, exec, s[24:25]
	v_mov_b32_e32 v43, v4
	v_mov_b32_e32 v42, v4
.LBB120_539:
	s_or_b64 exec, exec, s[18:19]
.LBB120_540:
	s_andn2_saveexec_b64 s[4:5], s[4:5]
	s_cbranch_execz .LBB120_544
; %bb.541:
	s_movk_i32 s16, 0x160
.LBB120_542:                            ; =>This Inner Loop Header: Depth=1
	v_mov_b32_e32 v24, s16
	buffer_load_dword v4, v24, s[0:3], 0 offen
	buffer_load_dword v5, v24, s[0:3], 0 offen offset:4
	buffer_load_dword v10, v24, s[0:3], 0 offen offset:8
	;; [unrolled: 1-line block ×15, first 2 shown]
	v_add_u32_e32 v25, s16, v40
	s_addk_i32 s16, 0xd0
	s_cmpk_eq_i32 s16, 0x3d0
	s_waitcnt vmcnt(12)
	ds_write2_b64 v25, v[4:5], v[10:11] offset1:1
	s_waitcnt vmcnt(8)
	ds_write2_b64 v25, v[12:13], v[14:15] offset0:2 offset1:3
	s_waitcnt vmcnt(4)
	ds_write2_b64 v25, v[16:17], v[18:19] offset0:4 offset1:5
	;; [unrolled: 2-line block ×3, first 2 shown]
	buffer_load_dword v5, v24, s[0:3], 0 offen offset:76
	buffer_load_dword v4, v24, s[0:3], 0 offen offset:72
	buffer_load_dword v11, v24, s[0:3], 0 offen offset:68
	buffer_load_dword v10, v24, s[0:3], 0 offen offset:64
	s_waitcnt vmcnt(0)
	ds_write2_b64 v25, v[10:11], v[4:5] offset0:8 offset1:9
	buffer_load_dword v5, v24, s[0:3], 0 offen offset:92
	buffer_load_dword v4, v24, s[0:3], 0 offen offset:88
	buffer_load_dword v11, v24, s[0:3], 0 offen offset:84
	buffer_load_dword v10, v24, s[0:3], 0 offen offset:80
	s_waitcnt vmcnt(0)
	ds_write2_b64 v25, v[10:11], v[4:5] offset0:10 offset1:11
	;; [unrolled: 6-line block ×9, first 2 shown]
	s_cbranch_scc0 .LBB120_542
; %bb.543:
	v_mov_b32_e32 v43, 21
.LBB120_544:
	s_or_b64 exec, exec, s[4:5]
	v_cmp_lt_i32_e32 vcc, 21, v43
	s_waitcnt vmcnt(0) lgkmcnt(0)
	s_barrier
	s_and_saveexec_b64 s[4:5], vcc
	s_cbranch_execz .LBB120_547
; %bb.545:
	buffer_load_dword v4, off, s[0:3], 0 offset:344
	buffer_load_dword v5, off, s[0:3], 0 offset:348
	;; [unrolled: 1-line block ×4, first 2 shown]
	s_movk_i32 s16, 0x160
	s_waitcnt vmcnt(2)
	v_mul_f64 v[12:13], v[2:3], v[4:5]
	v_mul_f64 v[4:5], v[0:1], v[4:5]
	s_waitcnt vmcnt(0)
	v_fma_f64 v[0:1], v[0:1], v[10:11], -v[12:13]
	v_fma_f64 v[2:3], v[2:3], v[10:11], v[4:5]
	buffer_store_dword v0, off, s[0:3], 0 offset:336
	buffer_store_dword v1, off, s[0:3], 0 offset:340
	;; [unrolled: 1-line block ×4, first 2 shown]
.LBB120_546:                            ; =>This Inner Loop Header: Depth=1
	buffer_load_dword v4, off, s[0:3], 0 offset:344
	buffer_load_dword v5, off, s[0:3], 0 offset:348
	;; [unrolled: 1-line block ×4, first 2 shown]
	v_mov_b32_e32 v26, s16
	buffer_load_dword v16, v26, s[0:3], 0 offen
	buffer_load_dword v17, v26, s[0:3], 0 offen offset:4
	buffer_load_dword v18, v26, s[0:3], 0 offen offset:8
	buffer_load_dword v19, v26, s[0:3], 0 offen offset:12
	v_add_u32_e32 v27, s16, v40
	ds_read2_b64 v[0:3], v27 offset1:1
	buffer_load_dword v20, v26, s[0:3], 0 offen offset:16
	buffer_load_dword v21, v26, s[0:3], 0 offen offset:20
	;; [unrolled: 1-line block ×4, first 2 shown]
	ds_read2_b64 v[10:13], v27 offset0:2 offset1:3
	s_add_i32 s16, s16, 48
	s_cmpk_lg_i32 s16, 0x3d0
	s_waitcnt vmcnt(10) lgkmcnt(1)
	v_mul_f64 v[24:25], v[2:3], v[4:5]
	v_mul_f64 v[4:5], v[0:1], v[4:5]
	s_waitcnt vmcnt(8)
	v_fma_f64 v[0:1], v[0:1], v[14:15], -v[24:25]
	v_fma_f64 v[2:3], v[2:3], v[14:15], v[4:5]
	s_waitcnt vmcnt(6)
	v_add_f64 v[0:1], v[16:17], -v[0:1]
	s_waitcnt vmcnt(4)
	v_add_f64 v[2:3], v[18:19], -v[2:3]
	buffer_store_dword v1, v26, s[0:3], 0 offen offset:4
	buffer_store_dword v0, v26, s[0:3], 0 offen
	buffer_store_dword v3, v26, s[0:3], 0 offen offset:12
	buffer_store_dword v2, v26, s[0:3], 0 offen offset:8
	buffer_load_dword v1, off, s[0:3], 0 offset:348
	s_nop 0
	buffer_load_dword v0, off, s[0:3], 0 offset:344
	buffer_load_dword v3, off, s[0:3], 0 offset:340
	;; [unrolled: 1-line block ×3, first 2 shown]
	buffer_load_dword v4, v26, s[0:3], 0 offen offset:32
	buffer_load_dword v5, v26, s[0:3], 0 offen offset:36
	;; [unrolled: 1-line block ×4, first 2 shown]
	s_waitcnt vmcnt(6) lgkmcnt(0)
	v_mul_f64 v[16:17], v[12:13], v[0:1]
	v_mul_f64 v[0:1], v[10:11], v[0:1]
	s_waitcnt vmcnt(4)
	v_fma_f64 v[10:11], v[10:11], v[2:3], -v[16:17]
	v_fma_f64 v[0:1], v[12:13], v[2:3], v[0:1]
	v_add_f64 v[2:3], v[20:21], -v[10:11]
	v_add_f64 v[0:1], v[22:23], -v[0:1]
	buffer_store_dword v3, v26, s[0:3], 0 offen offset:20
	buffer_store_dword v2, v26, s[0:3], 0 offen offset:16
	;; [unrolled: 1-line block ×4, first 2 shown]
	buffer_load_dword v10, off, s[0:3], 0 offset:344
	buffer_load_dword v11, off, s[0:3], 0 offset:348
	;; [unrolled: 1-line block ×4, first 2 shown]
	ds_read2_b64 v[0:3], v27 offset0:4 offset1:5
	s_waitcnt vmcnt(2) lgkmcnt(0)
	v_mul_f64 v[16:17], v[2:3], v[10:11]
	v_mul_f64 v[10:11], v[0:1], v[10:11]
	s_waitcnt vmcnt(0)
	v_fma_f64 v[0:1], v[0:1], v[12:13], -v[16:17]
	v_fma_f64 v[2:3], v[2:3], v[12:13], v[10:11]
	v_add_f64 v[0:1], v[4:5], -v[0:1]
	v_add_f64 v[2:3], v[14:15], -v[2:3]
	buffer_store_dword v1, v26, s[0:3], 0 offen offset:36
	buffer_store_dword v0, v26, s[0:3], 0 offen offset:32
	;; [unrolled: 1-line block ×4, first 2 shown]
	s_cbranch_scc1 .LBB120_546
.LBB120_547:
	s_or_b64 exec, exec, s[4:5]
	v_mov_b32_e32 v3, s63
	s_waitcnt vmcnt(0)
	s_barrier
	buffer_load_dword v0, v3, s[0:3], 0 offen
	buffer_load_dword v1, v3, s[0:3], 0 offen offset:4
	buffer_load_dword v2, v3, s[0:3], 0 offen offset:8
	s_nop 0
	buffer_load_dword v3, v3, s[0:3], 0 offen offset:12
	v_lshl_add_u32 v4, v43, 4, v40
	s_cmp_lt_i32 s64, 24
	s_waitcnt vmcnt(0)
	ds_write2_b64 v4, v[0:1], v[2:3] offset1:1
	s_waitcnt lgkmcnt(0)
	s_barrier
	ds_read2_b64 v[0:3], v40 offset0:44 offset1:45
	v_mov_b32_e32 v4, 22
	s_cbranch_scc1 .LBB120_550
; %bb.548:
	v_add_u32_e32 v5, 0x170, v40
	s_mov_b32 s16, 23
	v_mov_b32_e32 v4, 22
.LBB120_549:                            ; =>This Inner Loop Header: Depth=1
	s_waitcnt lgkmcnt(0)
	v_cmp_gt_f64_e32 vcc, 0, v[2:3]
	v_cmp_gt_f64_e64 s[4:5], 0, v[0:1]
	ds_read2_b64 v[10:13], v5 offset1:1
	v_xor_b32_e32 v15, 0x80000000, v1
	v_xor_b32_e32 v17, 0x80000000, v3
	v_mov_b32_e32 v14, v0
	v_mov_b32_e32 v16, v2
	s_waitcnt lgkmcnt(0)
	v_xor_b32_e32 v19, 0x80000000, v13
	v_cndmask_b32_e32 v17, v3, v17, vcc
	v_cndmask_b32_e64 v15, v1, v15, s[4:5]
	v_cmp_gt_f64_e32 vcc, 0, v[12:13]
	v_cmp_gt_f64_e64 s[4:5], 0, v[10:11]
	v_add_f64 v[14:15], v[14:15], v[16:17]
	v_xor_b32_e32 v17, 0x80000000, v11
	v_mov_b32_e32 v16, v10
	v_mov_b32_e32 v18, v12
	v_add_u32_e32 v5, 16, v5
	v_cndmask_b32_e32 v19, v13, v19, vcc
	v_cndmask_b32_e64 v17, v11, v17, s[4:5]
	v_add_f64 v[16:17], v[16:17], v[18:19]
	v_mov_b32_e32 v18, s16
	s_add_i32 s16, s16, 1
	s_cmp_lg_u32 s64, s16
	v_cmp_lt_f64_e32 vcc, v[14:15], v[16:17]
	v_cndmask_b32_e32 v1, v1, v11, vcc
	v_cndmask_b32_e32 v0, v0, v10, vcc
	;; [unrolled: 1-line block ×5, first 2 shown]
	s_cbranch_scc1 .LBB120_549
.LBB120_550:
	s_waitcnt lgkmcnt(0)
	v_cmp_eq_f64_e32 vcc, 0, v[0:1]
	v_cmp_eq_f64_e64 s[4:5], 0, v[2:3]
	s_and_b64 s[4:5], vcc, s[4:5]
	s_and_saveexec_b64 s[16:17], s[4:5]
	s_xor_b64 s[4:5], exec, s[16:17]
; %bb.551:
	v_cmp_ne_u32_e32 vcc, 0, v41
	v_cndmask_b32_e32 v41, 23, v41, vcc
; %bb.552:
	s_andn2_saveexec_b64 s[4:5], s[4:5]
	s_cbranch_execz .LBB120_558
; %bb.553:
	v_cmp_ngt_f64_e64 s[16:17], |v[0:1]|, |v[2:3]|
	s_and_saveexec_b64 s[18:19], s[16:17]
	s_xor_b64 s[18:19], exec, s[18:19]
	s_cbranch_execz .LBB120_555
; %bb.554:
	v_div_scale_f64 v[10:11], s[16:17], v[2:3], v[2:3], v[0:1]
	v_rcp_f64_e32 v[12:13], v[10:11]
	v_fma_f64 v[14:15], -v[10:11], v[12:13], 1.0
	v_fma_f64 v[12:13], v[12:13], v[14:15], v[12:13]
	v_div_scale_f64 v[14:15], vcc, v[0:1], v[2:3], v[0:1]
	v_fma_f64 v[16:17], -v[10:11], v[12:13], 1.0
	v_fma_f64 v[12:13], v[12:13], v[16:17], v[12:13]
	v_mul_f64 v[16:17], v[14:15], v[12:13]
	v_fma_f64 v[10:11], -v[10:11], v[16:17], v[14:15]
	v_div_fmas_f64 v[10:11], v[10:11], v[12:13], v[16:17]
	v_div_fixup_f64 v[10:11], v[10:11], v[2:3], v[0:1]
	v_fma_f64 v[0:1], v[0:1], v[10:11], v[2:3]
	v_div_scale_f64 v[2:3], s[16:17], v[0:1], v[0:1], 1.0
	v_div_scale_f64 v[16:17], vcc, 1.0, v[0:1], 1.0
	v_rcp_f64_e32 v[12:13], v[2:3]
	v_fma_f64 v[14:15], -v[2:3], v[12:13], 1.0
	v_fma_f64 v[12:13], v[12:13], v[14:15], v[12:13]
	v_fma_f64 v[14:15], -v[2:3], v[12:13], 1.0
	v_fma_f64 v[12:13], v[12:13], v[14:15], v[12:13]
	v_mul_f64 v[14:15], v[16:17], v[12:13]
	v_fma_f64 v[2:3], -v[2:3], v[14:15], v[16:17]
	v_div_fmas_f64 v[2:3], v[2:3], v[12:13], v[14:15]
	v_div_fixup_f64 v[2:3], v[2:3], v[0:1], 1.0
	v_mul_f64 v[0:1], v[10:11], v[2:3]
	v_xor_b32_e32 v3, 0x80000000, v3
.LBB120_555:
	s_andn2_saveexec_b64 s[18:19], s[18:19]
	s_cbranch_execz .LBB120_557
; %bb.556:
	v_div_scale_f64 v[10:11], s[16:17], v[0:1], v[0:1], v[2:3]
	v_rcp_f64_e32 v[12:13], v[10:11]
	v_fma_f64 v[14:15], -v[10:11], v[12:13], 1.0
	v_fma_f64 v[12:13], v[12:13], v[14:15], v[12:13]
	v_div_scale_f64 v[14:15], vcc, v[2:3], v[0:1], v[2:3]
	v_fma_f64 v[16:17], -v[10:11], v[12:13], 1.0
	v_fma_f64 v[12:13], v[12:13], v[16:17], v[12:13]
	v_mul_f64 v[16:17], v[14:15], v[12:13]
	v_fma_f64 v[10:11], -v[10:11], v[16:17], v[14:15]
	v_div_fmas_f64 v[10:11], v[10:11], v[12:13], v[16:17]
	v_div_fixup_f64 v[10:11], v[10:11], v[0:1], v[2:3]
	v_fma_f64 v[0:1], v[2:3], v[10:11], v[0:1]
	v_div_scale_f64 v[2:3], s[16:17], v[0:1], v[0:1], 1.0
	v_div_scale_f64 v[16:17], vcc, 1.0, v[0:1], 1.0
	v_rcp_f64_e32 v[12:13], v[2:3]
	v_fma_f64 v[14:15], -v[2:3], v[12:13], 1.0
	v_fma_f64 v[12:13], v[12:13], v[14:15], v[12:13]
	v_fma_f64 v[14:15], -v[2:3], v[12:13], 1.0
	v_fma_f64 v[12:13], v[12:13], v[14:15], v[12:13]
	v_mul_f64 v[14:15], v[16:17], v[12:13]
	v_fma_f64 v[2:3], -v[2:3], v[14:15], v[16:17]
	v_div_fmas_f64 v[2:3], v[2:3], v[12:13], v[14:15]
	v_div_fixup_f64 v[0:1], v[2:3], v[0:1], 1.0
	v_mul_f64 v[2:3], v[10:11], -v[0:1]
.LBB120_557:
	s_or_b64 exec, exec, s[18:19]
.LBB120_558:
	s_or_b64 exec, exec, s[4:5]
	v_cmp_ne_u32_e32 vcc, v43, v4
	s_and_saveexec_b64 s[4:5], vcc
	s_xor_b64 s[4:5], exec, s[4:5]
	s_cbranch_execz .LBB120_564
; %bb.559:
	v_cmp_eq_u32_e32 vcc, 22, v43
	s_and_saveexec_b64 s[18:19], vcc
	s_cbranch_execz .LBB120_563
; %bb.560:
	v_cmp_ne_u32_e32 vcc, 22, v4
	s_xor_b64 s[16:17], s[22:23], -1
	s_and_b64 s[16:17], s[16:17], vcc
	s_and_saveexec_b64 s[24:25], s[16:17]
	s_cbranch_execz .LBB120_562
; %bb.561:
	v_ashrrev_i32_e32 v5, 31, v4
	v_lshlrev_b64 v[10:11], 2, v[4:5]
	v_add_co_u32_e32 v10, vcc, v8, v10
	v_addc_co_u32_e32 v11, vcc, v9, v11, vcc
	global_load_dword v5, v[10:11], off
	global_load_dword v12, v[8:9], off offset:88
	s_waitcnt vmcnt(1)
	global_store_dword v[8:9], v5, off offset:88
	s_waitcnt vmcnt(1)
	global_store_dword v[10:11], v12, off
.LBB120_562:
	s_or_b64 exec, exec, s[24:25]
	v_mov_b32_e32 v43, v4
	v_mov_b32_e32 v42, v4
.LBB120_563:
	s_or_b64 exec, exec, s[18:19]
.LBB120_564:
	s_andn2_saveexec_b64 s[4:5], s[4:5]
	s_cbranch_execz .LBB120_568
; %bb.565:
	s_movk_i32 s16, 0x170
.LBB120_566:                            ; =>This Inner Loop Header: Depth=1
	v_mov_b32_e32 v15, s16
	buffer_load_dword v4, v15, s[0:3], 0 offen
	buffer_load_dword v5, v15, s[0:3], 0 offen offset:4
	buffer_load_dword v10, v15, s[0:3], 0 offen offset:8
	;; [unrolled: 1-line block ×6, first 2 shown]
	s_nop 0
	buffer_load_dword v15, v15, s[0:3], 0 offen offset:28
	v_add_u32_e32 v16, s16, v40
	s_add_i32 s16, s16, 32
	s_cmpk_eq_i32 s16, 0x3d0
	s_waitcnt vmcnt(4)
	ds_write2_b64 v16, v[4:5], v[10:11] offset1:1
	s_waitcnt vmcnt(0)
	ds_write2_b64 v16, v[12:13], v[14:15] offset0:2 offset1:3
	s_cbranch_scc0 .LBB120_566
; %bb.567:
	v_mov_b32_e32 v43, 22
.LBB120_568:
	s_or_b64 exec, exec, s[4:5]
	v_cmp_lt_i32_e32 vcc, 22, v43
	s_waitcnt vmcnt(0) lgkmcnt(0)
	s_barrier
	s_and_saveexec_b64 s[4:5], vcc
	s_cbranch_execz .LBB120_571
; %bb.569:
	buffer_load_dword v4, off, s[0:3], 0 offset:360
	buffer_load_dword v5, off, s[0:3], 0 offset:364
	;; [unrolled: 1-line block ×4, first 2 shown]
	s_movk_i32 s16, 0x170
	s_waitcnt vmcnt(2)
	v_mul_f64 v[12:13], v[2:3], v[4:5]
	v_mul_f64 v[4:5], v[0:1], v[4:5]
	s_waitcnt vmcnt(0)
	v_fma_f64 v[0:1], v[0:1], v[10:11], -v[12:13]
	v_fma_f64 v[2:3], v[2:3], v[10:11], v[4:5]
	buffer_store_dword v0, off, s[0:3], 0 offset:352
	buffer_store_dword v1, off, s[0:3], 0 offset:356
	;; [unrolled: 1-line block ×4, first 2 shown]
.LBB120_570:                            ; =>This Inner Loop Header: Depth=1
	buffer_load_dword v4, off, s[0:3], 0 offset:360
	buffer_load_dword v5, off, s[0:3], 0 offset:364
	;; [unrolled: 1-line block ×4, first 2 shown]
	v_mov_b32_e32 v26, s16
	buffer_load_dword v16, v26, s[0:3], 0 offen
	buffer_load_dword v17, v26, s[0:3], 0 offen offset:4
	buffer_load_dword v18, v26, s[0:3], 0 offen offset:8
	;; [unrolled: 1-line block ×3, first 2 shown]
	v_add_u32_e32 v10, s16, v40
	ds_read2_b64 v[0:3], v10 offset1:1
	buffer_load_dword v20, v26, s[0:3], 0 offen offset:16
	buffer_load_dword v21, v26, s[0:3], 0 offen offset:20
	;; [unrolled: 1-line block ×4, first 2 shown]
	ds_read2_b64 v[10:13], v10 offset0:2 offset1:3
	s_add_i32 s16, s16, 32
	s_cmpk_lg_i32 s16, 0x3d0
	s_waitcnt vmcnt(10) lgkmcnt(1)
	v_mul_f64 v[24:25], v[2:3], v[4:5]
	v_mul_f64 v[4:5], v[0:1], v[4:5]
	s_waitcnt vmcnt(8)
	v_fma_f64 v[0:1], v[0:1], v[14:15], -v[24:25]
	v_fma_f64 v[2:3], v[2:3], v[14:15], v[4:5]
	s_waitcnt vmcnt(6)
	v_add_f64 v[0:1], v[16:17], -v[0:1]
	s_waitcnt vmcnt(4)
	v_add_f64 v[2:3], v[18:19], -v[2:3]
	buffer_store_dword v1, v26, s[0:3], 0 offen offset:4
	buffer_store_dword v0, v26, s[0:3], 0 offen
	buffer_store_dword v3, v26, s[0:3], 0 offen offset:12
	buffer_store_dword v2, v26, s[0:3], 0 offen offset:8
	buffer_load_dword v1, off, s[0:3], 0 offset:364
	s_nop 0
	buffer_load_dword v0, off, s[0:3], 0 offset:360
	buffer_load_dword v3, off, s[0:3], 0 offset:356
	;; [unrolled: 1-line block ×3, first 2 shown]
	s_waitcnt vmcnt(2) lgkmcnt(0)
	v_mul_f64 v[4:5], v[12:13], v[0:1]
	v_mul_f64 v[0:1], v[10:11], v[0:1]
	s_waitcnt vmcnt(0)
	v_fma_f64 v[4:5], v[10:11], v[2:3], -v[4:5]
	v_fma_f64 v[0:1], v[12:13], v[2:3], v[0:1]
	v_add_f64 v[2:3], v[20:21], -v[4:5]
	v_add_f64 v[0:1], v[22:23], -v[0:1]
	buffer_store_dword v3, v26, s[0:3], 0 offen offset:20
	buffer_store_dword v2, v26, s[0:3], 0 offen offset:16
	;; [unrolled: 1-line block ×4, first 2 shown]
	s_cbranch_scc1 .LBB120_570
.LBB120_571:
	s_or_b64 exec, exec, s[4:5]
	v_mov_b32_e32 v3, s47
	s_waitcnt vmcnt(0)
	s_barrier
	buffer_load_dword v0, v3, s[0:3], 0 offen
	buffer_load_dword v1, v3, s[0:3], 0 offen offset:4
	buffer_load_dword v2, v3, s[0:3], 0 offen offset:8
	s_nop 0
	buffer_load_dword v3, v3, s[0:3], 0 offen offset:12
	v_lshl_add_u32 v4, v43, 4, v40
	s_cmp_lt_i32 s64, 25
	s_waitcnt vmcnt(0)
	ds_write2_b64 v4, v[0:1], v[2:3] offset1:1
	s_waitcnt lgkmcnt(0)
	s_barrier
	ds_read2_b64 v[0:3], v40 offset0:46 offset1:47
	v_mov_b32_e32 v4, 23
	s_cbranch_scc1 .LBB120_574
; %bb.572:
	v_add_u32_e32 v5, 0x180, v40
	s_mov_b32 s16, 24
	v_mov_b32_e32 v4, 23
.LBB120_573:                            ; =>This Inner Loop Header: Depth=1
	s_waitcnt lgkmcnt(0)
	v_cmp_gt_f64_e32 vcc, 0, v[2:3]
	v_cmp_gt_f64_e64 s[4:5], 0, v[0:1]
	ds_read2_b64 v[10:13], v5 offset1:1
	v_xor_b32_e32 v15, 0x80000000, v1
	v_xor_b32_e32 v17, 0x80000000, v3
	v_mov_b32_e32 v14, v0
	v_mov_b32_e32 v16, v2
	s_waitcnt lgkmcnt(0)
	v_xor_b32_e32 v19, 0x80000000, v13
	v_cndmask_b32_e32 v17, v3, v17, vcc
	v_cndmask_b32_e64 v15, v1, v15, s[4:5]
	v_cmp_gt_f64_e32 vcc, 0, v[12:13]
	v_cmp_gt_f64_e64 s[4:5], 0, v[10:11]
	v_add_f64 v[14:15], v[14:15], v[16:17]
	v_xor_b32_e32 v17, 0x80000000, v11
	v_mov_b32_e32 v16, v10
	v_mov_b32_e32 v18, v12
	v_add_u32_e32 v5, 16, v5
	v_cndmask_b32_e32 v19, v13, v19, vcc
	v_cndmask_b32_e64 v17, v11, v17, s[4:5]
	v_add_f64 v[16:17], v[16:17], v[18:19]
	v_mov_b32_e32 v18, s16
	s_add_i32 s16, s16, 1
	s_cmp_lg_u32 s64, s16
	v_cmp_lt_f64_e32 vcc, v[14:15], v[16:17]
	v_cndmask_b32_e32 v1, v1, v11, vcc
	v_cndmask_b32_e32 v0, v0, v10, vcc
	;; [unrolled: 1-line block ×5, first 2 shown]
	s_cbranch_scc1 .LBB120_573
.LBB120_574:
	s_waitcnt lgkmcnt(0)
	v_cmp_eq_f64_e32 vcc, 0, v[0:1]
	v_cmp_eq_f64_e64 s[4:5], 0, v[2:3]
	s_and_b64 s[4:5], vcc, s[4:5]
	s_and_saveexec_b64 s[16:17], s[4:5]
	s_xor_b64 s[4:5], exec, s[16:17]
; %bb.575:
	v_cmp_ne_u32_e32 vcc, 0, v41
	v_cndmask_b32_e32 v41, 24, v41, vcc
; %bb.576:
	s_andn2_saveexec_b64 s[4:5], s[4:5]
	s_cbranch_execz .LBB120_582
; %bb.577:
	v_cmp_ngt_f64_e64 s[16:17], |v[0:1]|, |v[2:3]|
	s_and_saveexec_b64 s[18:19], s[16:17]
	s_xor_b64 s[18:19], exec, s[18:19]
	s_cbranch_execz .LBB120_579
; %bb.578:
	v_div_scale_f64 v[10:11], s[16:17], v[2:3], v[2:3], v[0:1]
	v_rcp_f64_e32 v[12:13], v[10:11]
	v_fma_f64 v[14:15], -v[10:11], v[12:13], 1.0
	v_fma_f64 v[12:13], v[12:13], v[14:15], v[12:13]
	v_div_scale_f64 v[14:15], vcc, v[0:1], v[2:3], v[0:1]
	v_fma_f64 v[16:17], -v[10:11], v[12:13], 1.0
	v_fma_f64 v[12:13], v[12:13], v[16:17], v[12:13]
	v_mul_f64 v[16:17], v[14:15], v[12:13]
	v_fma_f64 v[10:11], -v[10:11], v[16:17], v[14:15]
	v_div_fmas_f64 v[10:11], v[10:11], v[12:13], v[16:17]
	v_div_fixup_f64 v[10:11], v[10:11], v[2:3], v[0:1]
	v_fma_f64 v[0:1], v[0:1], v[10:11], v[2:3]
	v_div_scale_f64 v[2:3], s[16:17], v[0:1], v[0:1], 1.0
	v_div_scale_f64 v[16:17], vcc, 1.0, v[0:1], 1.0
	v_rcp_f64_e32 v[12:13], v[2:3]
	v_fma_f64 v[14:15], -v[2:3], v[12:13], 1.0
	v_fma_f64 v[12:13], v[12:13], v[14:15], v[12:13]
	v_fma_f64 v[14:15], -v[2:3], v[12:13], 1.0
	v_fma_f64 v[12:13], v[12:13], v[14:15], v[12:13]
	v_mul_f64 v[14:15], v[16:17], v[12:13]
	v_fma_f64 v[2:3], -v[2:3], v[14:15], v[16:17]
	v_div_fmas_f64 v[2:3], v[2:3], v[12:13], v[14:15]
	v_div_fixup_f64 v[2:3], v[2:3], v[0:1], 1.0
	v_mul_f64 v[0:1], v[10:11], v[2:3]
	v_xor_b32_e32 v3, 0x80000000, v3
.LBB120_579:
	s_andn2_saveexec_b64 s[18:19], s[18:19]
	s_cbranch_execz .LBB120_581
; %bb.580:
	v_div_scale_f64 v[10:11], s[16:17], v[0:1], v[0:1], v[2:3]
	v_rcp_f64_e32 v[12:13], v[10:11]
	v_fma_f64 v[14:15], -v[10:11], v[12:13], 1.0
	v_fma_f64 v[12:13], v[12:13], v[14:15], v[12:13]
	v_div_scale_f64 v[14:15], vcc, v[2:3], v[0:1], v[2:3]
	v_fma_f64 v[16:17], -v[10:11], v[12:13], 1.0
	v_fma_f64 v[12:13], v[12:13], v[16:17], v[12:13]
	v_mul_f64 v[16:17], v[14:15], v[12:13]
	v_fma_f64 v[10:11], -v[10:11], v[16:17], v[14:15]
	v_div_fmas_f64 v[10:11], v[10:11], v[12:13], v[16:17]
	v_div_fixup_f64 v[10:11], v[10:11], v[0:1], v[2:3]
	v_fma_f64 v[0:1], v[2:3], v[10:11], v[0:1]
	v_div_scale_f64 v[2:3], s[16:17], v[0:1], v[0:1], 1.0
	v_div_scale_f64 v[16:17], vcc, 1.0, v[0:1], 1.0
	v_rcp_f64_e32 v[12:13], v[2:3]
	v_fma_f64 v[14:15], -v[2:3], v[12:13], 1.0
	v_fma_f64 v[12:13], v[12:13], v[14:15], v[12:13]
	v_fma_f64 v[14:15], -v[2:3], v[12:13], 1.0
	v_fma_f64 v[12:13], v[12:13], v[14:15], v[12:13]
	v_mul_f64 v[14:15], v[16:17], v[12:13]
	v_fma_f64 v[2:3], -v[2:3], v[14:15], v[16:17]
	v_div_fmas_f64 v[2:3], v[2:3], v[12:13], v[14:15]
	v_div_fixup_f64 v[0:1], v[2:3], v[0:1], 1.0
	v_mul_f64 v[2:3], v[10:11], -v[0:1]
.LBB120_581:
	s_or_b64 exec, exec, s[18:19]
.LBB120_582:
	s_or_b64 exec, exec, s[4:5]
	v_cmp_ne_u32_e32 vcc, v43, v4
	s_and_saveexec_b64 s[4:5], vcc
	s_xor_b64 s[4:5], exec, s[4:5]
	s_cbranch_execz .LBB120_588
; %bb.583:
	v_cmp_eq_u32_e32 vcc, 23, v43
	s_and_saveexec_b64 s[18:19], vcc
	s_cbranch_execz .LBB120_587
; %bb.584:
	v_cmp_ne_u32_e32 vcc, 23, v4
	s_xor_b64 s[16:17], s[22:23], -1
	s_and_b64 s[16:17], s[16:17], vcc
	s_and_saveexec_b64 s[24:25], s[16:17]
	s_cbranch_execz .LBB120_586
; %bb.585:
	v_ashrrev_i32_e32 v5, 31, v4
	v_lshlrev_b64 v[10:11], 2, v[4:5]
	v_add_co_u32_e32 v10, vcc, v8, v10
	v_addc_co_u32_e32 v11, vcc, v9, v11, vcc
	global_load_dword v5, v[10:11], off
	global_load_dword v12, v[8:9], off offset:92
	s_waitcnt vmcnt(1)
	global_store_dword v[8:9], v5, off offset:92
	s_waitcnt vmcnt(1)
	global_store_dword v[10:11], v12, off
.LBB120_586:
	s_or_b64 exec, exec, s[24:25]
	v_mov_b32_e32 v43, v4
	v_mov_b32_e32 v42, v4
.LBB120_587:
	s_or_b64 exec, exec, s[18:19]
.LBB120_588:
	s_andn2_saveexec_b64 s[4:5], s[4:5]
	s_cbranch_execz .LBB120_594
; %bb.589:
	s_mov_b32 s16, 0
	v_add_u32_e32 v4, 0x180, v40
	s_branch .LBB120_591
.LBB120_590:                            ;   in Loop: Header=BB120_591 Depth=1
	s_andn2_b64 vcc, exec, s[18:19]
	s_cbranch_vccz .LBB120_593
.LBB120_591:                            ; =>This Inner Loop Header: Depth=1
	s_add_i32 s17, s62, s16
	v_mov_b32_e32 v5, s17
	buffer_load_dword v10, v5, s[0:3], 0 offen
	buffer_load_dword v11, v5, s[0:3], 0 offen offset:4
	buffer_load_dword v12, v5, s[0:3], 0 offen offset:8
	;; [unrolled: 1-line block ×19, first 2 shown]
	v_add_u32_e32 v5, s16, v4
	s_cmpk_eq_i32 s16, 0x200
	s_mov_b64 s[18:19], -1
	s_waitcnt vmcnt(16)
	ds_write2_b64 v5, v[10:11], v[12:13] offset1:1
	s_waitcnt vmcnt(12)
	ds_write2_b64 v5, v[14:15], v[16:17] offset0:2 offset1:3
	s_waitcnt vmcnt(8)
	ds_write2_b64 v5, v[18:19], v[20:21] offset0:4 offset1:5
	;; [unrolled: 2-line block ×4, first 2 shown]
	s_cbranch_scc1 .LBB120_590
; %bb.592:                              ;   in Loop: Header=BB120_591 Depth=1
	v_mov_b32_e32 v21, s17
	buffer_load_dword v10, v21, s[0:3], 0 offen offset:80
	buffer_load_dword v11, v21, s[0:3], 0 offen offset:84
	;; [unrolled: 1-line block ×11, first 2 shown]
	s_nop 0
	buffer_load_dword v21, v21, s[0:3], 0 offen offset:124
	s_addk_i32 s16, 0x80
	s_mov_b64 s[18:19], 0
	s_waitcnt vmcnt(8)
	ds_write2_b64 v5, v[10:11], v[12:13] offset0:10 offset1:11
	s_waitcnt vmcnt(4)
	ds_write2_b64 v5, v[14:15], v[16:17] offset0:12 offset1:13
	;; [unrolled: 2-line block ×3, first 2 shown]
	s_branch .LBB120_590
.LBB120_593:
	v_mov_b32_e32 v43, 23
.LBB120_594:
	s_or_b64 exec, exec, s[4:5]
	v_cmp_lt_i32_e32 vcc, 23, v43
	s_waitcnt vmcnt(0) lgkmcnt(0)
	s_barrier
	s_and_saveexec_b64 s[4:5], vcc
	s_cbranch_execz .LBB120_599
; %bb.595:
	buffer_load_dword v4, off, s[0:3], 0 offset:376
	buffer_load_dword v5, off, s[0:3], 0 offset:380
	;; [unrolled: 1-line block ×4, first 2 shown]
	s_movk_i32 s24, 0x180
	s_waitcnt vmcnt(2)
	v_mul_f64 v[12:13], v[2:3], v[4:5]
	v_mul_f64 v[4:5], v[0:1], v[4:5]
	s_waitcnt vmcnt(0)
	v_fma_f64 v[0:1], v[0:1], v[10:11], -v[12:13]
	v_fma_f64 v[2:3], v[2:3], v[10:11], v[4:5]
	buffer_store_dword v0, off, s[0:3], 0 offset:368
	buffer_store_dword v1, off, s[0:3], 0 offset:372
	;; [unrolled: 1-line block ×4, first 2 shown]
	s_branch .LBB120_597
.LBB120_596:                            ;   in Loop: Header=BB120_597 Depth=1
	s_andn2_b64 vcc, exec, s[18:19]
	s_cbranch_vccz .LBB120_599
.LBB120_597:                            ; =>This Inner Loop Header: Depth=1
	v_mov_b32_e32 v5, s24
	buffer_load_dword v14, v5, s[0:3], 0 offen
	buffer_load_dword v15, v5, s[0:3], 0 offen offset:4
	buffer_load_dword v16, v5, s[0:3], 0 offen offset:8
	;; [unrolled: 1-line block ×3, first 2 shown]
	v_add_u32_e32 v4, s24, v40
	ds_read2_b64 v[10:13], v4 offset1:1
	s_mov_b32 s16, s24
	s_cmpk_eq_i32 s24, 0x3c0
	s_mov_b64 s[18:19], -1
	s_waitcnt vmcnt(4) lgkmcnt(0)
	v_mul_f64 v[18:19], v[12:13], v[2:3]
	v_mul_f64 v[2:3], v[10:11], v[2:3]
	v_fma_f64 v[10:11], v[10:11], v[0:1], -v[18:19]
	v_fma_f64 v[0:1], v[12:13], v[0:1], v[2:3]
	s_waitcnt vmcnt(2)
	v_add_f64 v[2:3], v[14:15], -v[10:11]
	s_waitcnt vmcnt(0)
	v_add_f64 v[0:1], v[16:17], -v[0:1]
	buffer_store_dword v2, v5, s[0:3], 0 offen
	buffer_store_dword v3, v5, s[0:3], 0 offen offset:4
	buffer_store_dword v0, v5, s[0:3], 0 offen offset:8
	buffer_store_dword v1, v5, s[0:3], 0 offen offset:12
                                        ; implicit-def: $vgpr0_vgpr1
                                        ; implicit-def: $vgpr2_vgpr3
	s_cbranch_scc1 .LBB120_596
; %bb.598:                              ;   in Loop: Header=BB120_597 Depth=1
	buffer_load_dword v14, off, s[0:3], 0 offset:376
	buffer_load_dword v15, off, s[0:3], 0 offset:380
	;; [unrolled: 1-line block ×4, first 2 shown]
	v_mov_b32_e32 v24, s16
	buffer_load_dword v18, v24, s[0:3], 0 offen offset:16
	buffer_load_dword v19, v24, s[0:3], 0 offen offset:20
	;; [unrolled: 1-line block ×4, first 2 shown]
	ds_read2_b64 v[0:3], v4 offset0:2 offset1:3
	ds_read2_b64 v[10:13], v4 offset0:4 offset1:5
	s_add_i32 s24, s24, 64
	s_mov_b64 s[18:19], 0
	s_waitcnt vmcnt(6) lgkmcnt(1)
	v_mul_f64 v[22:23], v[2:3], v[14:15]
	v_mul_f64 v[14:15], v[0:1], v[14:15]
	s_waitcnt vmcnt(4)
	v_fma_f64 v[0:1], v[0:1], v[16:17], -v[22:23]
	v_fma_f64 v[2:3], v[2:3], v[16:17], v[14:15]
	s_waitcnt vmcnt(2)
	v_add_f64 v[0:1], v[18:19], -v[0:1]
	s_waitcnt vmcnt(0)
	v_add_f64 v[2:3], v[20:21], -v[2:3]
	buffer_store_dword v1, v24, s[0:3], 0 offen offset:20
	buffer_store_dword v0, v24, s[0:3], 0 offen offset:16
	;; [unrolled: 1-line block ×4, first 2 shown]
	buffer_load_dword v1, v24, s[0:3], 0 offen offset:36
	s_nop 0
	buffer_load_dword v2, v24, s[0:3], 0 offen offset:40
	buffer_load_dword v3, v24, s[0:3], 0 offen offset:44
	buffer_load_dword v15, off, s[0:3], 0 offset:380
	buffer_load_dword v14, off, s[0:3], 0 offset:376
	;; [unrolled: 1-line block ×4, first 2 shown]
	buffer_load_dword v0, v24, s[0:3], 0 offen offset:32
	s_waitcnt vmcnt(3) lgkmcnt(0)
	v_mul_f64 v[18:19], v[12:13], v[14:15]
	v_mul_f64 v[14:15], v[10:11], v[14:15]
	s_waitcnt vmcnt(1)
	v_fma_f64 v[10:11], v[10:11], v[16:17], -v[18:19]
	v_fma_f64 v[12:13], v[12:13], v[16:17], v[14:15]
	s_waitcnt vmcnt(0)
	v_add_f64 v[0:1], v[0:1], -v[10:11]
	v_add_f64 v[2:3], v[2:3], -v[12:13]
	buffer_store_dword v1, v24, s[0:3], 0 offen offset:36
	buffer_store_dword v0, v24, s[0:3], 0 offen offset:32
	;; [unrolled: 1-line block ×4, first 2 shown]
	buffer_load_dword v11, v24, s[0:3], 0 offen offset:52
	buffer_load_dword v12, v24, s[0:3], 0 offen offset:56
	;; [unrolled: 1-line block ×3, first 2 shown]
	buffer_load_dword v14, off, s[0:3], 0 offset:376
	buffer_load_dword v15, off, s[0:3], 0 offset:380
	;; [unrolled: 1-line block ×4, first 2 shown]
	buffer_load_dword v10, v24, s[0:3], 0 offen offset:48
	ds_read2_b64 v[0:3], v4 offset0:6 offset1:7
	s_waitcnt vmcnt(3) lgkmcnt(0)
	v_mul_f64 v[4:5], v[2:3], v[14:15]
	v_mul_f64 v[14:15], v[0:1], v[14:15]
	s_waitcnt vmcnt(1)
	v_fma_f64 v[0:1], v[0:1], v[16:17], -v[4:5]
	v_fma_f64 v[2:3], v[2:3], v[16:17], v[14:15]
	s_waitcnt vmcnt(0)
	v_add_f64 v[0:1], v[10:11], -v[0:1]
	v_add_f64 v[2:3], v[12:13], -v[2:3]
	buffer_store_dword v1, v24, s[0:3], 0 offen offset:52
	buffer_store_dword v0, v24, s[0:3], 0 offen offset:48
	;; [unrolled: 1-line block ×4, first 2 shown]
	buffer_load_dword v0, off, s[0:3], 0 offset:368
	s_nop 0
	buffer_load_dword v1, off, s[0:3], 0 offset:372
	buffer_load_dword v2, off, s[0:3], 0 offset:376
	;; [unrolled: 1-line block ×3, first 2 shown]
	s_branch .LBB120_596
.LBB120_599:
	s_or_b64 exec, exec, s[4:5]
	s_waitcnt vmcnt(0)
	v_mov_b32_e32 v3, s62
	s_barrier
	buffer_load_dword v0, v3, s[0:3], 0 offen
	buffer_load_dword v1, v3, s[0:3], 0 offen offset:4
	buffer_load_dword v2, v3, s[0:3], 0 offen offset:8
	s_nop 0
	buffer_load_dword v3, v3, s[0:3], 0 offen offset:12
	v_lshl_add_u32 v4, v43, 4, v40
	s_cmp_lt_i32 s64, 26
	s_waitcnt vmcnt(0)
	ds_write2_b64 v4, v[0:1], v[2:3] offset1:1
	s_waitcnt lgkmcnt(0)
	s_barrier
	ds_read2_b64 v[0:3], v40 offset0:48 offset1:49
	v_mov_b32_e32 v4, 24
	s_cbranch_scc1 .LBB120_602
; %bb.600:
	v_add_u32_e32 v5, 0x190, v40
	s_mov_b32 s16, 25
	v_mov_b32_e32 v4, 24
.LBB120_601:                            ; =>This Inner Loop Header: Depth=1
	s_waitcnt lgkmcnt(0)
	v_cmp_gt_f64_e32 vcc, 0, v[2:3]
	v_cmp_gt_f64_e64 s[4:5], 0, v[0:1]
	ds_read2_b64 v[10:13], v5 offset1:1
	v_xor_b32_e32 v15, 0x80000000, v1
	v_xor_b32_e32 v17, 0x80000000, v3
	v_mov_b32_e32 v14, v0
	v_mov_b32_e32 v16, v2
	s_waitcnt lgkmcnt(0)
	v_xor_b32_e32 v19, 0x80000000, v13
	v_cndmask_b32_e32 v17, v3, v17, vcc
	v_cndmask_b32_e64 v15, v1, v15, s[4:5]
	v_cmp_gt_f64_e32 vcc, 0, v[12:13]
	v_cmp_gt_f64_e64 s[4:5], 0, v[10:11]
	v_add_f64 v[14:15], v[14:15], v[16:17]
	v_xor_b32_e32 v17, 0x80000000, v11
	v_mov_b32_e32 v16, v10
	v_mov_b32_e32 v18, v12
	v_add_u32_e32 v5, 16, v5
	v_cndmask_b32_e32 v19, v13, v19, vcc
	v_cndmask_b32_e64 v17, v11, v17, s[4:5]
	v_add_f64 v[16:17], v[16:17], v[18:19]
	v_mov_b32_e32 v18, s16
	s_add_i32 s16, s16, 1
	s_cmp_lg_u32 s64, s16
	v_cmp_lt_f64_e32 vcc, v[14:15], v[16:17]
	v_cndmask_b32_e32 v1, v1, v11, vcc
	v_cndmask_b32_e32 v0, v0, v10, vcc
	;; [unrolled: 1-line block ×5, first 2 shown]
	s_cbranch_scc1 .LBB120_601
.LBB120_602:
	s_waitcnt lgkmcnt(0)
	v_cmp_eq_f64_e32 vcc, 0, v[0:1]
	v_cmp_eq_f64_e64 s[4:5], 0, v[2:3]
	s_and_b64 s[4:5], vcc, s[4:5]
	s_and_saveexec_b64 s[16:17], s[4:5]
	s_xor_b64 s[4:5], exec, s[16:17]
; %bb.603:
	v_cmp_ne_u32_e32 vcc, 0, v41
	v_cndmask_b32_e32 v41, 25, v41, vcc
; %bb.604:
	s_andn2_saveexec_b64 s[4:5], s[4:5]
	s_cbranch_execz .LBB120_610
; %bb.605:
	v_cmp_ngt_f64_e64 s[16:17], |v[0:1]|, |v[2:3]|
	s_and_saveexec_b64 s[18:19], s[16:17]
	s_xor_b64 s[18:19], exec, s[18:19]
	s_cbranch_execz .LBB120_607
; %bb.606:
	v_div_scale_f64 v[10:11], s[16:17], v[2:3], v[2:3], v[0:1]
	v_rcp_f64_e32 v[12:13], v[10:11]
	v_fma_f64 v[14:15], -v[10:11], v[12:13], 1.0
	v_fma_f64 v[12:13], v[12:13], v[14:15], v[12:13]
	v_div_scale_f64 v[14:15], vcc, v[0:1], v[2:3], v[0:1]
	v_fma_f64 v[16:17], -v[10:11], v[12:13], 1.0
	v_fma_f64 v[12:13], v[12:13], v[16:17], v[12:13]
	v_mul_f64 v[16:17], v[14:15], v[12:13]
	v_fma_f64 v[10:11], -v[10:11], v[16:17], v[14:15]
	v_div_fmas_f64 v[10:11], v[10:11], v[12:13], v[16:17]
	v_div_fixup_f64 v[10:11], v[10:11], v[2:3], v[0:1]
	v_fma_f64 v[0:1], v[0:1], v[10:11], v[2:3]
	v_div_scale_f64 v[2:3], s[16:17], v[0:1], v[0:1], 1.0
	v_div_scale_f64 v[16:17], vcc, 1.0, v[0:1], 1.0
	v_rcp_f64_e32 v[12:13], v[2:3]
	v_fma_f64 v[14:15], -v[2:3], v[12:13], 1.0
	v_fma_f64 v[12:13], v[12:13], v[14:15], v[12:13]
	v_fma_f64 v[14:15], -v[2:3], v[12:13], 1.0
	v_fma_f64 v[12:13], v[12:13], v[14:15], v[12:13]
	v_mul_f64 v[14:15], v[16:17], v[12:13]
	v_fma_f64 v[2:3], -v[2:3], v[14:15], v[16:17]
	v_div_fmas_f64 v[2:3], v[2:3], v[12:13], v[14:15]
	v_div_fixup_f64 v[2:3], v[2:3], v[0:1], 1.0
	v_mul_f64 v[0:1], v[10:11], v[2:3]
	v_xor_b32_e32 v3, 0x80000000, v3
.LBB120_607:
	s_andn2_saveexec_b64 s[18:19], s[18:19]
	s_cbranch_execz .LBB120_609
; %bb.608:
	v_div_scale_f64 v[10:11], s[16:17], v[0:1], v[0:1], v[2:3]
	v_rcp_f64_e32 v[12:13], v[10:11]
	v_fma_f64 v[14:15], -v[10:11], v[12:13], 1.0
	v_fma_f64 v[12:13], v[12:13], v[14:15], v[12:13]
	v_div_scale_f64 v[14:15], vcc, v[2:3], v[0:1], v[2:3]
	v_fma_f64 v[16:17], -v[10:11], v[12:13], 1.0
	v_fma_f64 v[12:13], v[12:13], v[16:17], v[12:13]
	v_mul_f64 v[16:17], v[14:15], v[12:13]
	v_fma_f64 v[10:11], -v[10:11], v[16:17], v[14:15]
	v_div_fmas_f64 v[10:11], v[10:11], v[12:13], v[16:17]
	v_div_fixup_f64 v[10:11], v[10:11], v[0:1], v[2:3]
	v_fma_f64 v[0:1], v[2:3], v[10:11], v[0:1]
	v_div_scale_f64 v[2:3], s[16:17], v[0:1], v[0:1], 1.0
	v_div_scale_f64 v[16:17], vcc, 1.0, v[0:1], 1.0
	v_rcp_f64_e32 v[12:13], v[2:3]
	v_fma_f64 v[14:15], -v[2:3], v[12:13], 1.0
	v_fma_f64 v[12:13], v[12:13], v[14:15], v[12:13]
	v_fma_f64 v[14:15], -v[2:3], v[12:13], 1.0
	v_fma_f64 v[12:13], v[12:13], v[14:15], v[12:13]
	v_mul_f64 v[14:15], v[16:17], v[12:13]
	v_fma_f64 v[2:3], -v[2:3], v[14:15], v[16:17]
	v_div_fmas_f64 v[2:3], v[2:3], v[12:13], v[14:15]
	v_div_fixup_f64 v[0:1], v[2:3], v[0:1], 1.0
	v_mul_f64 v[2:3], v[10:11], -v[0:1]
.LBB120_609:
	s_or_b64 exec, exec, s[18:19]
.LBB120_610:
	s_or_b64 exec, exec, s[4:5]
	v_cmp_ne_u32_e32 vcc, v43, v4
	s_and_saveexec_b64 s[4:5], vcc
	s_xor_b64 s[4:5], exec, s[4:5]
	s_cbranch_execz .LBB120_616
; %bb.611:
	v_cmp_eq_u32_e32 vcc, 24, v43
	s_and_saveexec_b64 s[18:19], vcc
	s_cbranch_execz .LBB120_615
; %bb.612:
	v_cmp_ne_u32_e32 vcc, 24, v4
	s_xor_b64 s[16:17], s[22:23], -1
	s_and_b64 s[16:17], s[16:17], vcc
	s_and_saveexec_b64 s[24:25], s[16:17]
	s_cbranch_execz .LBB120_614
; %bb.613:
	v_ashrrev_i32_e32 v5, 31, v4
	v_lshlrev_b64 v[10:11], 2, v[4:5]
	v_add_co_u32_e32 v10, vcc, v8, v10
	v_addc_co_u32_e32 v11, vcc, v9, v11, vcc
	global_load_dword v5, v[10:11], off
	global_load_dword v12, v[8:9], off offset:96
	s_waitcnt vmcnt(1)
	global_store_dword v[8:9], v5, off offset:96
	s_waitcnt vmcnt(1)
	global_store_dword v[10:11], v12, off
.LBB120_614:
	s_or_b64 exec, exec, s[24:25]
	v_mov_b32_e32 v43, v4
	v_mov_b32_e32 v42, v4
.LBB120_615:
	s_or_b64 exec, exec, s[18:19]
.LBB120_616:
	s_andn2_saveexec_b64 s[4:5], s[4:5]
	s_cbranch_execz .LBB120_618
; %bb.617:
	v_mov_b32_e32 v11, s61
	buffer_load_dword v4, v11, s[0:3], 0 offen
	buffer_load_dword v5, v11, s[0:3], 0 offen offset:4
	buffer_load_dword v10, v11, s[0:3], 0 offen offset:8
	s_nop 0
	buffer_load_dword v11, v11, s[0:3], 0 offen offset:12
	v_mov_b32_e32 v43, 24
	s_waitcnt vmcnt(0)
	ds_write2_b64 v40, v[4:5], v[10:11] offset0:50 offset1:51
	v_mov_b32_e32 v11, s60
	buffer_load_dword v4, v11, s[0:3], 0 offen
	buffer_load_dword v5, v11, s[0:3], 0 offen offset:4
	buffer_load_dword v10, v11, s[0:3], 0 offen offset:8
	s_nop 0
	buffer_load_dword v11, v11, s[0:3], 0 offen offset:12
	s_waitcnt vmcnt(0)
	ds_write2_b64 v40, v[4:5], v[10:11] offset0:52 offset1:53
	v_mov_b32_e32 v11, s59
	buffer_load_dword v4, v11, s[0:3], 0 offen
	buffer_load_dword v5, v11, s[0:3], 0 offen offset:4
	buffer_load_dword v10, v11, s[0:3], 0 offen offset:8
	s_nop 0
	buffer_load_dword v11, v11, s[0:3], 0 offen offset:12
	;; [unrolled: 8-line block ×35, first 2 shown]
	s_waitcnt vmcnt(0)
	ds_write2_b64 v40, v[4:5], v[10:11] offset0:120 offset1:121
.LBB120_618:
	s_or_b64 exec, exec, s[4:5]
	v_cmp_lt_i32_e32 vcc, 24, v43
	s_waitcnt vmcnt(0) lgkmcnt(0)
	s_barrier
	s_and_saveexec_b64 s[4:5], vcc
	s_cbranch_execz .LBB120_621
; %bb.619:
	buffer_load_dword v4, off, s[0:3], 0 offset:392
	buffer_load_dword v5, off, s[0:3], 0 offset:396
	;; [unrolled: 1-line block ×4, first 2 shown]
	s_movk_i32 s18, 0x190
	s_waitcnt vmcnt(2)
	v_mul_f64 v[12:13], v[2:3], v[4:5]
	v_mul_f64 v[4:5], v[0:1], v[4:5]
	s_waitcnt vmcnt(0)
	v_fma_f64 v[0:1], v[0:1], v[10:11], -v[12:13]
	v_fma_f64 v[2:3], v[2:3], v[10:11], v[4:5]
	buffer_store_dword v0, off, s[0:3], 0 offset:384
	buffer_store_dword v1, off, s[0:3], 0 offset:388
	;; [unrolled: 1-line block ×4, first 2 shown]
.LBB120_620:                            ; =>This Inner Loop Header: Depth=1
	buffer_load_dword v4, off, s[0:3], 0 offset:392
	buffer_load_dword v5, off, s[0:3], 0 offset:396
	;; [unrolled: 1-line block ×4, first 2 shown]
	v_mov_b32_e32 v26, s18
	buffer_load_dword v16, v26, s[0:3], 0 offen
	buffer_load_dword v17, v26, s[0:3], 0 offen offset:4
	buffer_load_dword v18, v26, s[0:3], 0 offen offset:8
	buffer_load_dword v19, v26, s[0:3], 0 offen offset:12
	v_add_u32_e32 v27, s18, v40
	ds_read2_b64 v[0:3], v27 offset1:1
	buffer_load_dword v20, v26, s[0:3], 0 offen offset:16
	buffer_load_dword v21, v26, s[0:3], 0 offen offset:20
	;; [unrolled: 1-line block ×4, first 2 shown]
	ds_read2_b64 v[10:13], v27 offset0:2 offset1:3
	s_addk_i32 s18, 0x60
	s_cmpk_lg_i32 s18, 0x3d0
	s_waitcnt vmcnt(10) lgkmcnt(1)
	v_mul_f64 v[24:25], v[2:3], v[4:5]
	v_mul_f64 v[4:5], v[0:1], v[4:5]
	s_waitcnt vmcnt(8)
	v_fma_f64 v[0:1], v[0:1], v[14:15], -v[24:25]
	v_fma_f64 v[2:3], v[2:3], v[14:15], v[4:5]
	s_waitcnt vmcnt(6)
	v_add_f64 v[0:1], v[16:17], -v[0:1]
	s_waitcnt vmcnt(4)
	v_add_f64 v[2:3], v[18:19], -v[2:3]
	buffer_store_dword v1, v26, s[0:3], 0 offen offset:4
	buffer_store_dword v0, v26, s[0:3], 0 offen
	buffer_store_dword v3, v26, s[0:3], 0 offen offset:12
	buffer_store_dword v2, v26, s[0:3], 0 offen offset:8
	buffer_load_dword v1, off, s[0:3], 0 offset:396
	s_nop 0
	buffer_load_dword v0, off, s[0:3], 0 offset:392
	buffer_load_dword v3, off, s[0:3], 0 offset:388
	buffer_load_dword v2, off, s[0:3], 0 offset:384
	buffer_load_dword v4, v26, s[0:3], 0 offen offset:32
	buffer_load_dword v5, v26, s[0:3], 0 offen offset:36
	;; [unrolled: 1-line block ×4, first 2 shown]
	s_waitcnt vmcnt(6) lgkmcnt(0)
	v_mul_f64 v[16:17], v[12:13], v[0:1]
	v_mul_f64 v[0:1], v[10:11], v[0:1]
	s_waitcnt vmcnt(4)
	v_fma_f64 v[10:11], v[10:11], v[2:3], -v[16:17]
	v_fma_f64 v[0:1], v[12:13], v[2:3], v[0:1]
	v_add_f64 v[2:3], v[20:21], -v[10:11]
	v_add_f64 v[0:1], v[22:23], -v[0:1]
	buffer_store_dword v3, v26, s[0:3], 0 offen offset:20
	buffer_store_dword v2, v26, s[0:3], 0 offen offset:16
	;; [unrolled: 1-line block ×4, first 2 shown]
	buffer_load_dword v16, off, s[0:3], 0 offset:392
	buffer_load_dword v17, off, s[0:3], 0 offset:396
	;; [unrolled: 1-line block ×4, first 2 shown]
	ds_read2_b64 v[0:3], v27 offset0:4 offset1:5
	ds_read2_b64 v[10:13], v27 offset0:6 offset1:7
	s_waitcnt vmcnt(2) lgkmcnt(1)
	v_mul_f64 v[20:21], v[2:3], v[16:17]
	v_mul_f64 v[16:17], v[0:1], v[16:17]
	s_waitcnt vmcnt(0)
	v_fma_f64 v[0:1], v[0:1], v[18:19], -v[20:21]
	v_fma_f64 v[2:3], v[2:3], v[18:19], v[16:17]
	v_add_f64 v[0:1], v[4:5], -v[0:1]
	v_add_f64 v[2:3], v[14:15], -v[2:3]
	buffer_store_dword v1, v26, s[0:3], 0 offen offset:36
	buffer_store_dword v0, v26, s[0:3], 0 offen offset:32
	;; [unrolled: 1-line block ×4, first 2 shown]
	buffer_load_dword v0, off, s[0:3], 0 offset:392
	s_nop 0
	buffer_load_dword v1, off, s[0:3], 0 offset:396
	buffer_load_dword v2, off, s[0:3], 0 offset:384
	buffer_load_dword v3, off, s[0:3], 0 offset:388
	buffer_load_dword v4, v26, s[0:3], 0 offen offset:48
	buffer_load_dword v5, v26, s[0:3], 0 offen offset:52
	;; [unrolled: 1-line block ×4, first 2 shown]
	s_waitcnt vmcnt(6) lgkmcnt(0)
	v_mul_f64 v[16:17], v[12:13], v[0:1]
	v_mul_f64 v[0:1], v[10:11], v[0:1]
	s_waitcnt vmcnt(4)
	v_fma_f64 v[10:11], v[10:11], v[2:3], -v[16:17]
	v_fma_f64 v[0:1], v[12:13], v[2:3], v[0:1]
	s_waitcnt vmcnt(2)
	v_add_f64 v[2:3], v[4:5], -v[10:11]
	s_waitcnt vmcnt(0)
	v_add_f64 v[0:1], v[14:15], -v[0:1]
	buffer_store_dword v3, v26, s[0:3], 0 offen offset:52
	buffer_store_dword v2, v26, s[0:3], 0 offen offset:48
	;; [unrolled: 1-line block ×4, first 2 shown]
	buffer_load_dword v4, off, s[0:3], 0 offset:392
	buffer_load_dword v5, off, s[0:3], 0 offset:396
	;; [unrolled: 1-line block ×4, first 2 shown]
	buffer_load_dword v16, v26, s[0:3], 0 offen offset:64
	buffer_load_dword v17, v26, s[0:3], 0 offen offset:68
	;; [unrolled: 1-line block ×4, first 2 shown]
	ds_read2_b64 v[0:3], v27 offset0:8 offset1:9
	ds_read2_b64 v[10:13], v27 offset0:10 offset1:11
	s_waitcnt vmcnt(6) lgkmcnt(1)
	v_mul_f64 v[20:21], v[2:3], v[4:5]
	v_mul_f64 v[4:5], v[0:1], v[4:5]
	s_waitcnt vmcnt(4)
	v_fma_f64 v[0:1], v[0:1], v[14:15], -v[20:21]
	v_fma_f64 v[2:3], v[2:3], v[14:15], v[4:5]
	s_waitcnt vmcnt(2)
	v_add_f64 v[0:1], v[16:17], -v[0:1]
	s_waitcnt vmcnt(0)
	v_add_f64 v[2:3], v[18:19], -v[2:3]
	buffer_store_dword v1, v26, s[0:3], 0 offen offset:68
	buffer_store_dword v0, v26, s[0:3], 0 offen offset:64
	;; [unrolled: 1-line block ×4, first 2 shown]
	buffer_load_dword v0, off, s[0:3], 0 offset:392
	s_nop 0
	buffer_load_dword v1, off, s[0:3], 0 offset:396
	buffer_load_dword v2, off, s[0:3], 0 offset:384
	;; [unrolled: 1-line block ×3, first 2 shown]
	buffer_load_dword v4, v26, s[0:3], 0 offen offset:80
	buffer_load_dword v5, v26, s[0:3], 0 offen offset:84
	;; [unrolled: 1-line block ×4, first 2 shown]
	s_waitcnt vmcnt(6) lgkmcnt(0)
	v_mul_f64 v[16:17], v[12:13], v[0:1]
	v_mul_f64 v[0:1], v[10:11], v[0:1]
	s_waitcnt vmcnt(4)
	v_fma_f64 v[10:11], v[10:11], v[2:3], -v[16:17]
	v_fma_f64 v[0:1], v[12:13], v[2:3], v[0:1]
	s_waitcnt vmcnt(2)
	v_add_f64 v[2:3], v[4:5], -v[10:11]
	s_waitcnt vmcnt(0)
	v_add_f64 v[0:1], v[14:15], -v[0:1]
	buffer_store_dword v3, v26, s[0:3], 0 offen offset:84
	buffer_store_dword v2, v26, s[0:3], 0 offen offset:80
	;; [unrolled: 1-line block ×4, first 2 shown]
	s_cbranch_scc1 .LBB120_620
.LBB120_621:
	s_or_b64 exec, exec, s[4:5]
	v_mov_b32_e32 v3, s61
	s_waitcnt vmcnt(0)
	s_barrier
	buffer_load_dword v0, v3, s[0:3], 0 offen
	buffer_load_dword v1, v3, s[0:3], 0 offen offset:4
	buffer_load_dword v2, v3, s[0:3], 0 offen offset:8
	s_nop 0
	buffer_load_dword v3, v3, s[0:3], 0 offen offset:12
	v_lshl_add_u32 v4, v43, 4, v40
	s_cmp_lt_i32 s64, 27
	s_waitcnt vmcnt(0)
	ds_write2_b64 v4, v[0:1], v[2:3] offset1:1
	s_waitcnt lgkmcnt(0)
	s_barrier
	ds_read2_b64 v[0:3], v40 offset0:50 offset1:51
	v_mov_b32_e32 v4, 25
	s_cbranch_scc1 .LBB120_624
; %bb.622:
	v_add_u32_e32 v5, 0x1a0, v40
	s_mov_b32 s16, 26
	v_mov_b32_e32 v4, 25
.LBB120_623:                            ; =>This Inner Loop Header: Depth=1
	s_waitcnt lgkmcnt(0)
	v_cmp_gt_f64_e32 vcc, 0, v[2:3]
	v_cmp_gt_f64_e64 s[4:5], 0, v[0:1]
	ds_read2_b64 v[10:13], v5 offset1:1
	v_xor_b32_e32 v15, 0x80000000, v1
	v_xor_b32_e32 v17, 0x80000000, v3
	v_mov_b32_e32 v14, v0
	v_mov_b32_e32 v16, v2
	s_waitcnt lgkmcnt(0)
	v_xor_b32_e32 v19, 0x80000000, v13
	v_cndmask_b32_e32 v17, v3, v17, vcc
	v_cndmask_b32_e64 v15, v1, v15, s[4:5]
	v_cmp_gt_f64_e32 vcc, 0, v[12:13]
	v_cmp_gt_f64_e64 s[4:5], 0, v[10:11]
	v_add_f64 v[14:15], v[14:15], v[16:17]
	v_xor_b32_e32 v17, 0x80000000, v11
	v_mov_b32_e32 v16, v10
	v_mov_b32_e32 v18, v12
	v_add_u32_e32 v5, 16, v5
	v_cndmask_b32_e32 v19, v13, v19, vcc
	v_cndmask_b32_e64 v17, v11, v17, s[4:5]
	v_add_f64 v[16:17], v[16:17], v[18:19]
	v_mov_b32_e32 v18, s16
	s_add_i32 s16, s16, 1
	s_cmp_lg_u32 s64, s16
	v_cmp_lt_f64_e32 vcc, v[14:15], v[16:17]
	v_cndmask_b32_e32 v1, v1, v11, vcc
	v_cndmask_b32_e32 v0, v0, v10, vcc
	;; [unrolled: 1-line block ×5, first 2 shown]
	s_cbranch_scc1 .LBB120_623
.LBB120_624:
	s_waitcnt lgkmcnt(0)
	v_cmp_eq_f64_e32 vcc, 0, v[0:1]
	v_cmp_eq_f64_e64 s[4:5], 0, v[2:3]
	s_and_b64 s[4:5], vcc, s[4:5]
	s_and_saveexec_b64 s[16:17], s[4:5]
	s_xor_b64 s[4:5], exec, s[16:17]
; %bb.625:
	v_cmp_ne_u32_e32 vcc, 0, v41
	v_cndmask_b32_e32 v41, 26, v41, vcc
; %bb.626:
	s_andn2_saveexec_b64 s[4:5], s[4:5]
	s_cbranch_execz .LBB120_632
; %bb.627:
	v_cmp_ngt_f64_e64 s[16:17], |v[0:1]|, |v[2:3]|
	s_and_saveexec_b64 s[18:19], s[16:17]
	s_xor_b64 s[18:19], exec, s[18:19]
	s_cbranch_execz .LBB120_629
; %bb.628:
	v_div_scale_f64 v[10:11], s[16:17], v[2:3], v[2:3], v[0:1]
	v_rcp_f64_e32 v[12:13], v[10:11]
	v_fma_f64 v[14:15], -v[10:11], v[12:13], 1.0
	v_fma_f64 v[12:13], v[12:13], v[14:15], v[12:13]
	v_div_scale_f64 v[14:15], vcc, v[0:1], v[2:3], v[0:1]
	v_fma_f64 v[16:17], -v[10:11], v[12:13], 1.0
	v_fma_f64 v[12:13], v[12:13], v[16:17], v[12:13]
	v_mul_f64 v[16:17], v[14:15], v[12:13]
	v_fma_f64 v[10:11], -v[10:11], v[16:17], v[14:15]
	v_div_fmas_f64 v[10:11], v[10:11], v[12:13], v[16:17]
	v_div_fixup_f64 v[10:11], v[10:11], v[2:3], v[0:1]
	v_fma_f64 v[0:1], v[0:1], v[10:11], v[2:3]
	v_div_scale_f64 v[2:3], s[16:17], v[0:1], v[0:1], 1.0
	v_div_scale_f64 v[16:17], vcc, 1.0, v[0:1], 1.0
	v_rcp_f64_e32 v[12:13], v[2:3]
	v_fma_f64 v[14:15], -v[2:3], v[12:13], 1.0
	v_fma_f64 v[12:13], v[12:13], v[14:15], v[12:13]
	v_fma_f64 v[14:15], -v[2:3], v[12:13], 1.0
	v_fma_f64 v[12:13], v[12:13], v[14:15], v[12:13]
	v_mul_f64 v[14:15], v[16:17], v[12:13]
	v_fma_f64 v[2:3], -v[2:3], v[14:15], v[16:17]
	v_div_fmas_f64 v[2:3], v[2:3], v[12:13], v[14:15]
	v_div_fixup_f64 v[2:3], v[2:3], v[0:1], 1.0
	v_mul_f64 v[0:1], v[10:11], v[2:3]
	v_xor_b32_e32 v3, 0x80000000, v3
.LBB120_629:
	s_andn2_saveexec_b64 s[18:19], s[18:19]
	s_cbranch_execz .LBB120_631
; %bb.630:
	v_div_scale_f64 v[10:11], s[16:17], v[0:1], v[0:1], v[2:3]
	v_rcp_f64_e32 v[12:13], v[10:11]
	v_fma_f64 v[14:15], -v[10:11], v[12:13], 1.0
	v_fma_f64 v[12:13], v[12:13], v[14:15], v[12:13]
	v_div_scale_f64 v[14:15], vcc, v[2:3], v[0:1], v[2:3]
	v_fma_f64 v[16:17], -v[10:11], v[12:13], 1.0
	v_fma_f64 v[12:13], v[12:13], v[16:17], v[12:13]
	v_mul_f64 v[16:17], v[14:15], v[12:13]
	v_fma_f64 v[10:11], -v[10:11], v[16:17], v[14:15]
	v_div_fmas_f64 v[10:11], v[10:11], v[12:13], v[16:17]
	v_div_fixup_f64 v[10:11], v[10:11], v[0:1], v[2:3]
	v_fma_f64 v[0:1], v[2:3], v[10:11], v[0:1]
	v_div_scale_f64 v[2:3], s[16:17], v[0:1], v[0:1], 1.0
	v_div_scale_f64 v[16:17], vcc, 1.0, v[0:1], 1.0
	v_rcp_f64_e32 v[12:13], v[2:3]
	v_fma_f64 v[14:15], -v[2:3], v[12:13], 1.0
	v_fma_f64 v[12:13], v[12:13], v[14:15], v[12:13]
	v_fma_f64 v[14:15], -v[2:3], v[12:13], 1.0
	v_fma_f64 v[12:13], v[12:13], v[14:15], v[12:13]
	v_mul_f64 v[14:15], v[16:17], v[12:13]
	v_fma_f64 v[2:3], -v[2:3], v[14:15], v[16:17]
	v_div_fmas_f64 v[2:3], v[2:3], v[12:13], v[14:15]
	v_div_fixup_f64 v[0:1], v[2:3], v[0:1], 1.0
	v_mul_f64 v[2:3], v[10:11], -v[0:1]
.LBB120_631:
	s_or_b64 exec, exec, s[18:19]
.LBB120_632:
	s_or_b64 exec, exec, s[4:5]
	v_cmp_ne_u32_e32 vcc, v43, v4
	s_and_saveexec_b64 s[4:5], vcc
	s_xor_b64 s[4:5], exec, s[4:5]
	s_cbranch_execz .LBB120_638
; %bb.633:
	v_cmp_eq_u32_e32 vcc, 25, v43
	s_and_saveexec_b64 s[18:19], vcc
	s_cbranch_execz .LBB120_637
; %bb.634:
	v_cmp_ne_u32_e32 vcc, 25, v4
	s_xor_b64 s[16:17], s[22:23], -1
	s_and_b64 s[16:17], s[16:17], vcc
	s_and_saveexec_b64 s[24:25], s[16:17]
	s_cbranch_execz .LBB120_636
; %bb.635:
	v_ashrrev_i32_e32 v5, 31, v4
	v_lshlrev_b64 v[10:11], 2, v[4:5]
	v_add_co_u32_e32 v10, vcc, v8, v10
	v_addc_co_u32_e32 v11, vcc, v9, v11, vcc
	global_load_dword v5, v[10:11], off
	global_load_dword v12, v[8:9], off offset:100
	s_waitcnt vmcnt(1)
	global_store_dword v[8:9], v5, off offset:100
	s_waitcnt vmcnt(1)
	global_store_dword v[10:11], v12, off
.LBB120_636:
	s_or_b64 exec, exec, s[24:25]
	v_mov_b32_e32 v43, v4
	v_mov_b32_e32 v42, v4
.LBB120_637:
	s_or_b64 exec, exec, s[18:19]
.LBB120_638:
	s_andn2_saveexec_b64 s[4:5], s[4:5]
	s_cbranch_execz .LBB120_640
; %bb.639:
	v_mov_b32_e32 v11, s60
	buffer_load_dword v4, v11, s[0:3], 0 offen
	buffer_load_dword v5, v11, s[0:3], 0 offen offset:4
	buffer_load_dword v10, v11, s[0:3], 0 offen offset:8
	s_nop 0
	buffer_load_dword v11, v11, s[0:3], 0 offen offset:12
	v_mov_b32_e32 v43, 25
	s_waitcnt vmcnt(0)
	ds_write2_b64 v40, v[4:5], v[10:11] offset0:52 offset1:53
	v_mov_b32_e32 v11, s59
	buffer_load_dword v4, v11, s[0:3], 0 offen
	buffer_load_dword v5, v11, s[0:3], 0 offen offset:4
	buffer_load_dword v10, v11, s[0:3], 0 offen offset:8
	s_nop 0
	buffer_load_dword v11, v11, s[0:3], 0 offen offset:12
	s_waitcnt vmcnt(0)
	ds_write2_b64 v40, v[4:5], v[10:11] offset0:54 offset1:55
	v_mov_b32_e32 v11, s58
	buffer_load_dword v4, v11, s[0:3], 0 offen
	buffer_load_dword v5, v11, s[0:3], 0 offen offset:4
	buffer_load_dword v10, v11, s[0:3], 0 offen offset:8
	s_nop 0
	buffer_load_dword v11, v11, s[0:3], 0 offen offset:12
	;; [unrolled: 8-line block ×34, first 2 shown]
	s_waitcnt vmcnt(0)
	ds_write2_b64 v40, v[4:5], v[10:11] offset0:120 offset1:121
.LBB120_640:
	s_or_b64 exec, exec, s[4:5]
	v_cmp_lt_i32_e32 vcc, 25, v43
	s_waitcnt vmcnt(0) lgkmcnt(0)
	s_barrier
	s_and_saveexec_b64 s[4:5], vcc
	s_cbranch_execz .LBB120_643
; %bb.641:
	buffer_load_dword v4, off, s[0:3], 0 offset:408
	buffer_load_dword v5, off, s[0:3], 0 offset:412
	buffer_load_dword v10, off, s[0:3], 0 offset:400
	buffer_load_dword v11, off, s[0:3], 0 offset:404
	s_movk_i32 s18, 0x1a0
	s_waitcnt vmcnt(2)
	v_mul_f64 v[12:13], v[2:3], v[4:5]
	v_mul_f64 v[4:5], v[0:1], v[4:5]
	s_waitcnt vmcnt(0)
	v_fma_f64 v[0:1], v[0:1], v[10:11], -v[12:13]
	v_fma_f64 v[2:3], v[2:3], v[10:11], v[4:5]
	buffer_store_dword v0, off, s[0:3], 0 offset:400
	buffer_store_dword v1, off, s[0:3], 0 offset:404
	;; [unrolled: 1-line block ×4, first 2 shown]
.LBB120_642:                            ; =>This Inner Loop Header: Depth=1
	buffer_load_dword v14, off, s[0:3], 0 offset:408
	buffer_load_dword v15, off, s[0:3], 0 offset:412
	buffer_load_dword v16, off, s[0:3], 0 offset:400
	buffer_load_dword v17, off, s[0:3], 0 offset:404
	v_mov_b32_e32 v0, s18
	buffer_load_dword v18, v0, s[0:3], 0 offen
	buffer_load_dword v19, v0, s[0:3], 0 offen offset:4
	buffer_load_dword v20, v0, s[0:3], 0 offen offset:8
	;; [unrolled: 1-line block ×3, first 2 shown]
	v_add_u32_e32 v5, s18, v40
	ds_read2_b64 v[1:4], v5 offset1:1
	buffer_load_dword v22, v0, s[0:3], 0 offen offset:16
	buffer_load_dword v23, v0, s[0:3], 0 offen offset:20
	;; [unrolled: 1-line block ×4, first 2 shown]
	ds_read2_b64 v[10:13], v5 offset0:2 offset1:3
	s_addk_i32 s18, 0x70
	s_cmpk_lg_i32 s18, 0x3d0
	s_waitcnt vmcnt(10) lgkmcnt(1)
	v_mul_f64 v[26:27], v[3:4], v[14:15]
	v_mul_f64 v[14:15], v[1:2], v[14:15]
	s_waitcnt vmcnt(8)
	v_fma_f64 v[1:2], v[1:2], v[16:17], -v[26:27]
	v_fma_f64 v[3:4], v[3:4], v[16:17], v[14:15]
	s_waitcnt vmcnt(6)
	v_add_f64 v[1:2], v[18:19], -v[1:2]
	s_waitcnt vmcnt(4)
	v_add_f64 v[3:4], v[20:21], -v[3:4]
	buffer_store_dword v2, v0, s[0:3], 0 offen offset:4
	buffer_store_dword v1, v0, s[0:3], 0 offen
	buffer_store_dword v4, v0, s[0:3], 0 offen offset:12
	buffer_store_dword v3, v0, s[0:3], 0 offen offset:8
	buffer_load_dword v2, off, s[0:3], 0 offset:412
	s_nop 0
	buffer_load_dword v1, off, s[0:3], 0 offset:408
	buffer_load_dword v4, off, s[0:3], 0 offset:404
	;; [unrolled: 1-line block ×3, first 2 shown]
	buffer_load_dword v14, v0, s[0:3], 0 offen offset:32
	buffer_load_dword v15, v0, s[0:3], 0 offen offset:36
	;; [unrolled: 1-line block ×4, first 2 shown]
	s_waitcnt vmcnt(6) lgkmcnt(0)
	v_mul_f64 v[18:19], v[12:13], v[1:2]
	v_mul_f64 v[1:2], v[10:11], v[1:2]
	s_waitcnt vmcnt(4)
	v_fma_f64 v[10:11], v[10:11], v[3:4], -v[18:19]
	v_fma_f64 v[1:2], v[12:13], v[3:4], v[1:2]
	v_add_f64 v[3:4], v[22:23], -v[10:11]
	v_add_f64 v[1:2], v[24:25], -v[1:2]
	buffer_store_dword v4, v0, s[0:3], 0 offen offset:20
	buffer_store_dword v3, v0, s[0:3], 0 offen offset:16
	;; [unrolled: 1-line block ×4, first 2 shown]
	buffer_load_dword v18, off, s[0:3], 0 offset:408
	buffer_load_dword v19, off, s[0:3], 0 offset:412
	;; [unrolled: 1-line block ×4, first 2 shown]
	ds_read2_b64 v[1:4], v5 offset0:4 offset1:5
	ds_read2_b64 v[10:13], v5 offset0:6 offset1:7
	s_waitcnt vmcnt(2) lgkmcnt(1)
	v_mul_f64 v[22:23], v[3:4], v[18:19]
	v_mul_f64 v[18:19], v[1:2], v[18:19]
	s_waitcnt vmcnt(0)
	v_fma_f64 v[1:2], v[1:2], v[20:21], -v[22:23]
	v_fma_f64 v[3:4], v[3:4], v[20:21], v[18:19]
	v_add_f64 v[1:2], v[14:15], -v[1:2]
	v_add_f64 v[3:4], v[16:17], -v[3:4]
	buffer_store_dword v2, v0, s[0:3], 0 offen offset:36
	buffer_store_dword v1, v0, s[0:3], 0 offen offset:32
	;; [unrolled: 1-line block ×4, first 2 shown]
	buffer_load_dword v1, off, s[0:3], 0 offset:408
	s_nop 0
	buffer_load_dword v2, off, s[0:3], 0 offset:412
	buffer_load_dword v3, off, s[0:3], 0 offset:400
	;; [unrolled: 1-line block ×3, first 2 shown]
	buffer_load_dword v14, v0, s[0:3], 0 offen offset:48
	buffer_load_dword v15, v0, s[0:3], 0 offen offset:52
	buffer_load_dword v16, v0, s[0:3], 0 offen offset:56
	buffer_load_dword v17, v0, s[0:3], 0 offen offset:60
	s_waitcnt vmcnt(6) lgkmcnt(0)
	v_mul_f64 v[18:19], v[12:13], v[1:2]
	v_mul_f64 v[1:2], v[10:11], v[1:2]
	s_waitcnt vmcnt(4)
	v_fma_f64 v[10:11], v[10:11], v[3:4], -v[18:19]
	v_fma_f64 v[1:2], v[12:13], v[3:4], v[1:2]
	s_waitcnt vmcnt(2)
	v_add_f64 v[3:4], v[14:15], -v[10:11]
	s_waitcnt vmcnt(0)
	v_add_f64 v[1:2], v[16:17], -v[1:2]
	buffer_store_dword v4, v0, s[0:3], 0 offen offset:52
	buffer_store_dword v3, v0, s[0:3], 0 offen offset:48
	;; [unrolled: 1-line block ×4, first 2 shown]
	buffer_load_dword v14, off, s[0:3], 0 offset:408
	buffer_load_dword v15, off, s[0:3], 0 offset:412
	;; [unrolled: 1-line block ×4, first 2 shown]
	buffer_load_dword v18, v0, s[0:3], 0 offen offset:64
	buffer_load_dword v19, v0, s[0:3], 0 offen offset:68
	;; [unrolled: 1-line block ×4, first 2 shown]
	ds_read2_b64 v[1:4], v5 offset0:8 offset1:9
	ds_read2_b64 v[10:13], v5 offset0:10 offset1:11
	s_waitcnt vmcnt(6) lgkmcnt(1)
	v_mul_f64 v[22:23], v[3:4], v[14:15]
	v_mul_f64 v[14:15], v[1:2], v[14:15]
	s_waitcnt vmcnt(4)
	v_fma_f64 v[1:2], v[1:2], v[16:17], -v[22:23]
	v_fma_f64 v[3:4], v[3:4], v[16:17], v[14:15]
	s_waitcnt vmcnt(2)
	v_add_f64 v[1:2], v[18:19], -v[1:2]
	s_waitcnt vmcnt(0)
	v_add_f64 v[3:4], v[20:21], -v[3:4]
	buffer_store_dword v2, v0, s[0:3], 0 offen offset:68
	buffer_store_dword v1, v0, s[0:3], 0 offen offset:64
	;; [unrolled: 1-line block ×4, first 2 shown]
	buffer_load_dword v1, off, s[0:3], 0 offset:408
	s_nop 0
	buffer_load_dword v2, off, s[0:3], 0 offset:412
	buffer_load_dword v3, off, s[0:3], 0 offset:400
	;; [unrolled: 1-line block ×3, first 2 shown]
	buffer_load_dword v14, v0, s[0:3], 0 offen offset:80
	buffer_load_dword v15, v0, s[0:3], 0 offen offset:84
	buffer_load_dword v16, v0, s[0:3], 0 offen offset:88
	buffer_load_dword v17, v0, s[0:3], 0 offen offset:92
	s_waitcnt vmcnt(6) lgkmcnt(0)
	v_mul_f64 v[18:19], v[12:13], v[1:2]
	v_mul_f64 v[1:2], v[10:11], v[1:2]
	s_waitcnt vmcnt(4)
	v_fma_f64 v[10:11], v[10:11], v[3:4], -v[18:19]
	v_fma_f64 v[1:2], v[12:13], v[3:4], v[1:2]
	s_waitcnt vmcnt(2)
	v_add_f64 v[3:4], v[14:15], -v[10:11]
	s_waitcnt vmcnt(0)
	v_add_f64 v[1:2], v[16:17], -v[1:2]
	buffer_store_dword v4, v0, s[0:3], 0 offen offset:84
	buffer_store_dword v3, v0, s[0:3], 0 offen offset:80
	buffer_store_dword v2, v0, s[0:3], 0 offen offset:92
	buffer_store_dword v1, v0, s[0:3], 0 offen offset:88
	buffer_load_dword v10, off, s[0:3], 0 offset:408
	buffer_load_dword v11, off, s[0:3], 0 offset:412
	;; [unrolled: 1-line block ×4, first 2 shown]
	buffer_load_dword v14, v0, s[0:3], 0 offen offset:96
	buffer_load_dword v15, v0, s[0:3], 0 offen offset:100
	;; [unrolled: 1-line block ×4, first 2 shown]
	ds_read2_b64 v[1:4], v5 offset0:12 offset1:13
	s_waitcnt vmcnt(6) lgkmcnt(0)
	v_mul_f64 v[18:19], v[3:4], v[10:11]
	v_mul_f64 v[10:11], v[1:2], v[10:11]
	s_waitcnt vmcnt(4)
	v_fma_f64 v[1:2], v[1:2], v[12:13], -v[18:19]
	v_fma_f64 v[3:4], v[3:4], v[12:13], v[10:11]
	s_waitcnt vmcnt(2)
	v_add_f64 v[1:2], v[14:15], -v[1:2]
	s_waitcnt vmcnt(0)
	v_add_f64 v[3:4], v[16:17], -v[3:4]
	buffer_store_dword v2, v0, s[0:3], 0 offen offset:100
	buffer_store_dword v1, v0, s[0:3], 0 offen offset:96
	;; [unrolled: 1-line block ×4, first 2 shown]
	s_cbranch_scc1 .LBB120_642
.LBB120_643:
	s_or_b64 exec, exec, s[4:5]
	v_mov_b32_e32 v3, s60
	s_waitcnt vmcnt(0)
	s_barrier
	buffer_load_dword v0, v3, s[0:3], 0 offen
	buffer_load_dword v1, v3, s[0:3], 0 offen offset:4
	buffer_load_dword v2, v3, s[0:3], 0 offen offset:8
	s_nop 0
	buffer_load_dword v3, v3, s[0:3], 0 offen offset:12
	v_lshl_add_u32 v4, v43, 4, v40
	s_cmp_lt_i32 s64, 28
	s_waitcnt vmcnt(0)
	ds_write2_b64 v4, v[0:1], v[2:3] offset1:1
	s_waitcnt lgkmcnt(0)
	s_barrier
	ds_read2_b64 v[0:3], v40 offset0:52 offset1:53
	v_mov_b32_e32 v4, 26
	s_cbranch_scc1 .LBB120_646
; %bb.644:
	v_add_u32_e32 v5, 0x1b0, v40
	s_mov_b32 s16, 27
	v_mov_b32_e32 v4, 26
.LBB120_645:                            ; =>This Inner Loop Header: Depth=1
	s_waitcnt lgkmcnt(0)
	v_cmp_gt_f64_e32 vcc, 0, v[2:3]
	v_cmp_gt_f64_e64 s[4:5], 0, v[0:1]
	ds_read2_b64 v[10:13], v5 offset1:1
	v_xor_b32_e32 v15, 0x80000000, v1
	v_xor_b32_e32 v17, 0x80000000, v3
	v_mov_b32_e32 v14, v0
	v_mov_b32_e32 v16, v2
	s_waitcnt lgkmcnt(0)
	v_xor_b32_e32 v19, 0x80000000, v13
	v_cndmask_b32_e32 v17, v3, v17, vcc
	v_cndmask_b32_e64 v15, v1, v15, s[4:5]
	v_cmp_gt_f64_e32 vcc, 0, v[12:13]
	v_cmp_gt_f64_e64 s[4:5], 0, v[10:11]
	v_add_f64 v[14:15], v[14:15], v[16:17]
	v_xor_b32_e32 v17, 0x80000000, v11
	v_mov_b32_e32 v16, v10
	v_mov_b32_e32 v18, v12
	v_add_u32_e32 v5, 16, v5
	v_cndmask_b32_e32 v19, v13, v19, vcc
	v_cndmask_b32_e64 v17, v11, v17, s[4:5]
	v_add_f64 v[16:17], v[16:17], v[18:19]
	v_mov_b32_e32 v18, s16
	s_add_i32 s16, s16, 1
	s_cmp_lg_u32 s64, s16
	v_cmp_lt_f64_e32 vcc, v[14:15], v[16:17]
	v_cndmask_b32_e32 v1, v1, v11, vcc
	v_cndmask_b32_e32 v0, v0, v10, vcc
	;; [unrolled: 1-line block ×5, first 2 shown]
	s_cbranch_scc1 .LBB120_645
.LBB120_646:
	s_waitcnt lgkmcnt(0)
	v_cmp_eq_f64_e32 vcc, 0, v[0:1]
	v_cmp_eq_f64_e64 s[4:5], 0, v[2:3]
	s_and_b64 s[4:5], vcc, s[4:5]
	s_and_saveexec_b64 s[16:17], s[4:5]
	s_xor_b64 s[4:5], exec, s[16:17]
; %bb.647:
	v_cmp_ne_u32_e32 vcc, 0, v41
	v_cndmask_b32_e32 v41, 27, v41, vcc
; %bb.648:
	s_andn2_saveexec_b64 s[4:5], s[4:5]
	s_cbranch_execz .LBB120_654
; %bb.649:
	v_cmp_ngt_f64_e64 s[16:17], |v[0:1]|, |v[2:3]|
	s_and_saveexec_b64 s[18:19], s[16:17]
	s_xor_b64 s[18:19], exec, s[18:19]
	s_cbranch_execz .LBB120_651
; %bb.650:
	v_div_scale_f64 v[10:11], s[16:17], v[2:3], v[2:3], v[0:1]
	v_rcp_f64_e32 v[12:13], v[10:11]
	v_fma_f64 v[14:15], -v[10:11], v[12:13], 1.0
	v_fma_f64 v[12:13], v[12:13], v[14:15], v[12:13]
	v_div_scale_f64 v[14:15], vcc, v[0:1], v[2:3], v[0:1]
	v_fma_f64 v[16:17], -v[10:11], v[12:13], 1.0
	v_fma_f64 v[12:13], v[12:13], v[16:17], v[12:13]
	v_mul_f64 v[16:17], v[14:15], v[12:13]
	v_fma_f64 v[10:11], -v[10:11], v[16:17], v[14:15]
	v_div_fmas_f64 v[10:11], v[10:11], v[12:13], v[16:17]
	v_div_fixup_f64 v[10:11], v[10:11], v[2:3], v[0:1]
	v_fma_f64 v[0:1], v[0:1], v[10:11], v[2:3]
	v_div_scale_f64 v[2:3], s[16:17], v[0:1], v[0:1], 1.0
	v_div_scale_f64 v[16:17], vcc, 1.0, v[0:1], 1.0
	v_rcp_f64_e32 v[12:13], v[2:3]
	v_fma_f64 v[14:15], -v[2:3], v[12:13], 1.0
	v_fma_f64 v[12:13], v[12:13], v[14:15], v[12:13]
	v_fma_f64 v[14:15], -v[2:3], v[12:13], 1.0
	v_fma_f64 v[12:13], v[12:13], v[14:15], v[12:13]
	v_mul_f64 v[14:15], v[16:17], v[12:13]
	v_fma_f64 v[2:3], -v[2:3], v[14:15], v[16:17]
	v_div_fmas_f64 v[2:3], v[2:3], v[12:13], v[14:15]
	v_div_fixup_f64 v[2:3], v[2:3], v[0:1], 1.0
	v_mul_f64 v[0:1], v[10:11], v[2:3]
	v_xor_b32_e32 v3, 0x80000000, v3
.LBB120_651:
	s_andn2_saveexec_b64 s[18:19], s[18:19]
	s_cbranch_execz .LBB120_653
; %bb.652:
	v_div_scale_f64 v[10:11], s[16:17], v[0:1], v[0:1], v[2:3]
	v_rcp_f64_e32 v[12:13], v[10:11]
	v_fma_f64 v[14:15], -v[10:11], v[12:13], 1.0
	v_fma_f64 v[12:13], v[12:13], v[14:15], v[12:13]
	v_div_scale_f64 v[14:15], vcc, v[2:3], v[0:1], v[2:3]
	v_fma_f64 v[16:17], -v[10:11], v[12:13], 1.0
	v_fma_f64 v[12:13], v[12:13], v[16:17], v[12:13]
	v_mul_f64 v[16:17], v[14:15], v[12:13]
	v_fma_f64 v[10:11], -v[10:11], v[16:17], v[14:15]
	v_div_fmas_f64 v[10:11], v[10:11], v[12:13], v[16:17]
	v_div_fixup_f64 v[10:11], v[10:11], v[0:1], v[2:3]
	v_fma_f64 v[0:1], v[2:3], v[10:11], v[0:1]
	v_div_scale_f64 v[2:3], s[16:17], v[0:1], v[0:1], 1.0
	v_div_scale_f64 v[16:17], vcc, 1.0, v[0:1], 1.0
	v_rcp_f64_e32 v[12:13], v[2:3]
	v_fma_f64 v[14:15], -v[2:3], v[12:13], 1.0
	v_fma_f64 v[12:13], v[12:13], v[14:15], v[12:13]
	v_fma_f64 v[14:15], -v[2:3], v[12:13], 1.0
	v_fma_f64 v[12:13], v[12:13], v[14:15], v[12:13]
	v_mul_f64 v[14:15], v[16:17], v[12:13]
	v_fma_f64 v[2:3], -v[2:3], v[14:15], v[16:17]
	v_div_fmas_f64 v[2:3], v[2:3], v[12:13], v[14:15]
	v_div_fixup_f64 v[0:1], v[2:3], v[0:1], 1.0
	v_mul_f64 v[2:3], v[10:11], -v[0:1]
.LBB120_653:
	s_or_b64 exec, exec, s[18:19]
.LBB120_654:
	s_or_b64 exec, exec, s[4:5]
	v_cmp_ne_u32_e32 vcc, v43, v4
	s_and_saveexec_b64 s[4:5], vcc
	s_xor_b64 s[4:5], exec, s[4:5]
	s_cbranch_execz .LBB120_660
; %bb.655:
	v_cmp_eq_u32_e32 vcc, 26, v43
	s_and_saveexec_b64 s[18:19], vcc
	s_cbranch_execz .LBB120_659
; %bb.656:
	v_cmp_ne_u32_e32 vcc, 26, v4
	s_xor_b64 s[16:17], s[22:23], -1
	s_and_b64 s[16:17], s[16:17], vcc
	s_and_saveexec_b64 s[24:25], s[16:17]
	s_cbranch_execz .LBB120_658
; %bb.657:
	v_ashrrev_i32_e32 v5, 31, v4
	v_lshlrev_b64 v[10:11], 2, v[4:5]
	v_add_co_u32_e32 v10, vcc, v8, v10
	v_addc_co_u32_e32 v11, vcc, v9, v11, vcc
	global_load_dword v5, v[10:11], off
	global_load_dword v12, v[8:9], off offset:104
	s_waitcnt vmcnt(1)
	global_store_dword v[8:9], v5, off offset:104
	s_waitcnt vmcnt(1)
	global_store_dword v[10:11], v12, off
.LBB120_658:
	s_or_b64 exec, exec, s[24:25]
	v_mov_b32_e32 v43, v4
	v_mov_b32_e32 v42, v4
.LBB120_659:
	s_or_b64 exec, exec, s[18:19]
.LBB120_660:
	s_andn2_saveexec_b64 s[4:5], s[4:5]
	s_cbranch_execz .LBB120_662
; %bb.661:
	v_mov_b32_e32 v11, s59
	buffer_load_dword v4, v11, s[0:3], 0 offen
	buffer_load_dword v5, v11, s[0:3], 0 offen offset:4
	buffer_load_dword v10, v11, s[0:3], 0 offen offset:8
	s_nop 0
	buffer_load_dword v11, v11, s[0:3], 0 offen offset:12
	v_mov_b32_e32 v43, 26
	s_waitcnt vmcnt(0)
	ds_write2_b64 v40, v[4:5], v[10:11] offset0:54 offset1:55
	v_mov_b32_e32 v11, s58
	buffer_load_dword v4, v11, s[0:3], 0 offen
	buffer_load_dword v5, v11, s[0:3], 0 offen offset:4
	buffer_load_dword v10, v11, s[0:3], 0 offen offset:8
	s_nop 0
	buffer_load_dword v11, v11, s[0:3], 0 offen offset:12
	s_waitcnt vmcnt(0)
	ds_write2_b64 v40, v[4:5], v[10:11] offset0:56 offset1:57
	v_mov_b32_e32 v11, s8
	buffer_load_dword v4, v11, s[0:3], 0 offen
	buffer_load_dword v5, v11, s[0:3], 0 offen offset:4
	buffer_load_dword v10, v11, s[0:3], 0 offen offset:8
	s_nop 0
	buffer_load_dword v11, v11, s[0:3], 0 offen offset:12
	;; [unrolled: 8-line block ×33, first 2 shown]
	s_waitcnt vmcnt(0)
	ds_write2_b64 v40, v[4:5], v[10:11] offset0:120 offset1:121
.LBB120_662:
	s_or_b64 exec, exec, s[4:5]
	v_cmp_lt_i32_e32 vcc, 26, v43
	s_waitcnt vmcnt(0) lgkmcnt(0)
	s_barrier
	s_and_saveexec_b64 s[4:5], vcc
	s_cbranch_execz .LBB120_665
; %bb.663:
	buffer_load_dword v4, off, s[0:3], 0 offset:424
	buffer_load_dword v5, off, s[0:3], 0 offset:428
	;; [unrolled: 1-line block ×4, first 2 shown]
	s_movk_i32 s16, 0x1b0
	s_waitcnt vmcnt(2)
	v_mul_f64 v[12:13], v[2:3], v[4:5]
	v_mul_f64 v[4:5], v[0:1], v[4:5]
	s_waitcnt vmcnt(0)
	v_fma_f64 v[0:1], v[0:1], v[10:11], -v[12:13]
	v_fma_f64 v[2:3], v[2:3], v[10:11], v[4:5]
	buffer_store_dword v0, off, s[0:3], 0 offset:416
	buffer_store_dword v1, off, s[0:3], 0 offset:420
	;; [unrolled: 1-line block ×4, first 2 shown]
.LBB120_664:                            ; =>This Inner Loop Header: Depth=1
	buffer_load_dword v4, off, s[0:3], 0 offset:424
	buffer_load_dword v5, off, s[0:3], 0 offset:428
	;; [unrolled: 1-line block ×4, first 2 shown]
	v_mov_b32_e32 v26, s16
	buffer_load_dword v16, v26, s[0:3], 0 offen
	buffer_load_dword v17, v26, s[0:3], 0 offen offset:4
	buffer_load_dword v18, v26, s[0:3], 0 offen offset:8
	;; [unrolled: 1-line block ×3, first 2 shown]
	v_add_u32_e32 v10, s16, v40
	ds_read2_b64 v[0:3], v10 offset1:1
	buffer_load_dword v20, v26, s[0:3], 0 offen offset:16
	buffer_load_dword v21, v26, s[0:3], 0 offen offset:20
	buffer_load_dword v22, v26, s[0:3], 0 offen offset:24
	buffer_load_dword v23, v26, s[0:3], 0 offen offset:28
	ds_read2_b64 v[10:13], v10 offset0:2 offset1:3
	s_add_i32 s16, s16, 32
	s_cmpk_lg_i32 s16, 0x3d0
	s_waitcnt vmcnt(10) lgkmcnt(1)
	v_mul_f64 v[24:25], v[2:3], v[4:5]
	v_mul_f64 v[4:5], v[0:1], v[4:5]
	s_waitcnt vmcnt(8)
	v_fma_f64 v[0:1], v[0:1], v[14:15], -v[24:25]
	v_fma_f64 v[2:3], v[2:3], v[14:15], v[4:5]
	s_waitcnt vmcnt(6)
	v_add_f64 v[0:1], v[16:17], -v[0:1]
	s_waitcnt vmcnt(4)
	v_add_f64 v[2:3], v[18:19], -v[2:3]
	buffer_store_dword v1, v26, s[0:3], 0 offen offset:4
	buffer_store_dword v0, v26, s[0:3], 0 offen
	buffer_store_dword v3, v26, s[0:3], 0 offen offset:12
	buffer_store_dword v2, v26, s[0:3], 0 offen offset:8
	buffer_load_dword v1, off, s[0:3], 0 offset:428
	s_nop 0
	buffer_load_dword v0, off, s[0:3], 0 offset:424
	buffer_load_dword v3, off, s[0:3], 0 offset:420
	;; [unrolled: 1-line block ×3, first 2 shown]
	s_waitcnt vmcnt(2) lgkmcnt(0)
	v_mul_f64 v[4:5], v[12:13], v[0:1]
	v_mul_f64 v[0:1], v[10:11], v[0:1]
	s_waitcnt vmcnt(0)
	v_fma_f64 v[4:5], v[10:11], v[2:3], -v[4:5]
	v_fma_f64 v[0:1], v[12:13], v[2:3], v[0:1]
	v_add_f64 v[2:3], v[20:21], -v[4:5]
	v_add_f64 v[0:1], v[22:23], -v[0:1]
	buffer_store_dword v3, v26, s[0:3], 0 offen offset:20
	buffer_store_dword v2, v26, s[0:3], 0 offen offset:16
	;; [unrolled: 1-line block ×4, first 2 shown]
	s_cbranch_scc1 .LBB120_664
.LBB120_665:
	s_or_b64 exec, exec, s[4:5]
	v_mov_b32_e32 v3, s59
	s_waitcnt vmcnt(0)
	s_barrier
	buffer_load_dword v0, v3, s[0:3], 0 offen
	buffer_load_dword v1, v3, s[0:3], 0 offen offset:4
	buffer_load_dword v2, v3, s[0:3], 0 offen offset:8
	s_nop 0
	buffer_load_dword v3, v3, s[0:3], 0 offen offset:12
	v_lshl_add_u32 v4, v43, 4, v40
	s_cmp_lt_i32 s64, 29
	s_waitcnt vmcnt(0)
	ds_write2_b64 v4, v[0:1], v[2:3] offset1:1
	s_waitcnt lgkmcnt(0)
	s_barrier
	ds_read2_b64 v[0:3], v40 offset0:54 offset1:55
	v_mov_b32_e32 v4, 27
	s_cbranch_scc1 .LBB120_668
; %bb.666:
	v_add_u32_e32 v5, 0x1c0, v40
	s_mov_b32 s16, 28
	v_mov_b32_e32 v4, 27
.LBB120_667:                            ; =>This Inner Loop Header: Depth=1
	s_waitcnt lgkmcnt(0)
	v_cmp_gt_f64_e32 vcc, 0, v[2:3]
	v_cmp_gt_f64_e64 s[4:5], 0, v[0:1]
	ds_read2_b64 v[10:13], v5 offset1:1
	v_xor_b32_e32 v15, 0x80000000, v1
	v_xor_b32_e32 v17, 0x80000000, v3
	v_mov_b32_e32 v14, v0
	v_mov_b32_e32 v16, v2
	s_waitcnt lgkmcnt(0)
	v_xor_b32_e32 v19, 0x80000000, v13
	v_cndmask_b32_e32 v17, v3, v17, vcc
	v_cndmask_b32_e64 v15, v1, v15, s[4:5]
	v_cmp_gt_f64_e32 vcc, 0, v[12:13]
	v_cmp_gt_f64_e64 s[4:5], 0, v[10:11]
	v_add_f64 v[14:15], v[14:15], v[16:17]
	v_xor_b32_e32 v17, 0x80000000, v11
	v_mov_b32_e32 v16, v10
	v_mov_b32_e32 v18, v12
	v_add_u32_e32 v5, 16, v5
	v_cndmask_b32_e32 v19, v13, v19, vcc
	v_cndmask_b32_e64 v17, v11, v17, s[4:5]
	v_add_f64 v[16:17], v[16:17], v[18:19]
	v_mov_b32_e32 v18, s16
	s_add_i32 s16, s16, 1
	s_cmp_lg_u32 s64, s16
	v_cmp_lt_f64_e32 vcc, v[14:15], v[16:17]
	v_cndmask_b32_e32 v1, v1, v11, vcc
	v_cndmask_b32_e32 v0, v0, v10, vcc
	;; [unrolled: 1-line block ×5, first 2 shown]
	s_cbranch_scc1 .LBB120_667
.LBB120_668:
	s_waitcnt lgkmcnt(0)
	v_cmp_eq_f64_e32 vcc, 0, v[0:1]
	v_cmp_eq_f64_e64 s[4:5], 0, v[2:3]
	s_and_b64 s[4:5], vcc, s[4:5]
	s_and_saveexec_b64 s[16:17], s[4:5]
	s_xor_b64 s[4:5], exec, s[16:17]
; %bb.669:
	v_cmp_ne_u32_e32 vcc, 0, v41
	v_cndmask_b32_e32 v41, 28, v41, vcc
; %bb.670:
	s_andn2_saveexec_b64 s[4:5], s[4:5]
	s_cbranch_execz .LBB120_676
; %bb.671:
	v_cmp_ngt_f64_e64 s[16:17], |v[0:1]|, |v[2:3]|
	s_and_saveexec_b64 s[18:19], s[16:17]
	s_xor_b64 s[18:19], exec, s[18:19]
	s_cbranch_execz .LBB120_673
; %bb.672:
	v_div_scale_f64 v[10:11], s[16:17], v[2:3], v[2:3], v[0:1]
	v_rcp_f64_e32 v[12:13], v[10:11]
	v_fma_f64 v[14:15], -v[10:11], v[12:13], 1.0
	v_fma_f64 v[12:13], v[12:13], v[14:15], v[12:13]
	v_div_scale_f64 v[14:15], vcc, v[0:1], v[2:3], v[0:1]
	v_fma_f64 v[16:17], -v[10:11], v[12:13], 1.0
	v_fma_f64 v[12:13], v[12:13], v[16:17], v[12:13]
	v_mul_f64 v[16:17], v[14:15], v[12:13]
	v_fma_f64 v[10:11], -v[10:11], v[16:17], v[14:15]
	v_div_fmas_f64 v[10:11], v[10:11], v[12:13], v[16:17]
	v_div_fixup_f64 v[10:11], v[10:11], v[2:3], v[0:1]
	v_fma_f64 v[0:1], v[0:1], v[10:11], v[2:3]
	v_div_scale_f64 v[2:3], s[16:17], v[0:1], v[0:1], 1.0
	v_div_scale_f64 v[16:17], vcc, 1.0, v[0:1], 1.0
	v_rcp_f64_e32 v[12:13], v[2:3]
	v_fma_f64 v[14:15], -v[2:3], v[12:13], 1.0
	v_fma_f64 v[12:13], v[12:13], v[14:15], v[12:13]
	v_fma_f64 v[14:15], -v[2:3], v[12:13], 1.0
	v_fma_f64 v[12:13], v[12:13], v[14:15], v[12:13]
	v_mul_f64 v[14:15], v[16:17], v[12:13]
	v_fma_f64 v[2:3], -v[2:3], v[14:15], v[16:17]
	v_div_fmas_f64 v[2:3], v[2:3], v[12:13], v[14:15]
	v_div_fixup_f64 v[2:3], v[2:3], v[0:1], 1.0
	v_mul_f64 v[0:1], v[10:11], v[2:3]
	v_xor_b32_e32 v3, 0x80000000, v3
.LBB120_673:
	s_andn2_saveexec_b64 s[18:19], s[18:19]
	s_cbranch_execz .LBB120_675
; %bb.674:
	v_div_scale_f64 v[10:11], s[16:17], v[0:1], v[0:1], v[2:3]
	v_rcp_f64_e32 v[12:13], v[10:11]
	v_fma_f64 v[14:15], -v[10:11], v[12:13], 1.0
	v_fma_f64 v[12:13], v[12:13], v[14:15], v[12:13]
	v_div_scale_f64 v[14:15], vcc, v[2:3], v[0:1], v[2:3]
	v_fma_f64 v[16:17], -v[10:11], v[12:13], 1.0
	v_fma_f64 v[12:13], v[12:13], v[16:17], v[12:13]
	v_mul_f64 v[16:17], v[14:15], v[12:13]
	v_fma_f64 v[10:11], -v[10:11], v[16:17], v[14:15]
	v_div_fmas_f64 v[10:11], v[10:11], v[12:13], v[16:17]
	v_div_fixup_f64 v[10:11], v[10:11], v[0:1], v[2:3]
	v_fma_f64 v[0:1], v[2:3], v[10:11], v[0:1]
	v_div_scale_f64 v[2:3], s[16:17], v[0:1], v[0:1], 1.0
	v_div_scale_f64 v[16:17], vcc, 1.0, v[0:1], 1.0
	v_rcp_f64_e32 v[12:13], v[2:3]
	v_fma_f64 v[14:15], -v[2:3], v[12:13], 1.0
	v_fma_f64 v[12:13], v[12:13], v[14:15], v[12:13]
	v_fma_f64 v[14:15], -v[2:3], v[12:13], 1.0
	v_fma_f64 v[12:13], v[12:13], v[14:15], v[12:13]
	v_mul_f64 v[14:15], v[16:17], v[12:13]
	v_fma_f64 v[2:3], -v[2:3], v[14:15], v[16:17]
	v_div_fmas_f64 v[2:3], v[2:3], v[12:13], v[14:15]
	v_div_fixup_f64 v[0:1], v[2:3], v[0:1], 1.0
	v_mul_f64 v[2:3], v[10:11], -v[0:1]
.LBB120_675:
	s_or_b64 exec, exec, s[18:19]
.LBB120_676:
	s_or_b64 exec, exec, s[4:5]
	v_cmp_ne_u32_e32 vcc, v43, v4
	s_and_saveexec_b64 s[4:5], vcc
	s_xor_b64 s[4:5], exec, s[4:5]
	s_cbranch_execz .LBB120_682
; %bb.677:
	v_cmp_eq_u32_e32 vcc, 27, v43
	s_and_saveexec_b64 s[18:19], vcc
	s_cbranch_execz .LBB120_681
; %bb.678:
	v_cmp_ne_u32_e32 vcc, 27, v4
	s_xor_b64 s[16:17], s[22:23], -1
	s_and_b64 s[16:17], s[16:17], vcc
	s_and_saveexec_b64 s[24:25], s[16:17]
	s_cbranch_execz .LBB120_680
; %bb.679:
	v_ashrrev_i32_e32 v5, 31, v4
	v_lshlrev_b64 v[10:11], 2, v[4:5]
	v_add_co_u32_e32 v10, vcc, v8, v10
	v_addc_co_u32_e32 v11, vcc, v9, v11, vcc
	global_load_dword v5, v[10:11], off
	global_load_dword v12, v[8:9], off offset:108
	s_waitcnt vmcnt(1)
	global_store_dword v[8:9], v5, off offset:108
	s_waitcnt vmcnt(1)
	global_store_dword v[10:11], v12, off
.LBB120_680:
	s_or_b64 exec, exec, s[24:25]
	v_mov_b32_e32 v43, v4
	v_mov_b32_e32 v42, v4
.LBB120_681:
	s_or_b64 exec, exec, s[18:19]
.LBB120_682:
	s_andn2_saveexec_b64 s[4:5], s[4:5]
	s_cbranch_execz .LBB120_684
; %bb.683:
	v_mov_b32_e32 v11, s58
	buffer_load_dword v4, v11, s[0:3], 0 offen
	buffer_load_dword v5, v11, s[0:3], 0 offen offset:4
	buffer_load_dword v10, v11, s[0:3], 0 offen offset:8
	s_nop 0
	buffer_load_dword v11, v11, s[0:3], 0 offen offset:12
	v_mov_b32_e32 v43, 27
	s_waitcnt vmcnt(0)
	ds_write2_b64 v40, v[4:5], v[10:11] offset0:56 offset1:57
	v_mov_b32_e32 v11, s8
	buffer_load_dword v4, v11, s[0:3], 0 offen
	buffer_load_dword v5, v11, s[0:3], 0 offen offset:4
	buffer_load_dword v10, v11, s[0:3], 0 offen offset:8
	s_nop 0
	buffer_load_dword v11, v11, s[0:3], 0 offen offset:12
	s_waitcnt vmcnt(0)
	ds_write2_b64 v40, v[4:5], v[10:11] offset0:58 offset1:59
	v_mov_b32_e32 v11, s56
	buffer_load_dword v4, v11, s[0:3], 0 offen
	buffer_load_dword v5, v11, s[0:3], 0 offen offset:4
	buffer_load_dword v10, v11, s[0:3], 0 offen offset:8
	s_nop 0
	buffer_load_dword v11, v11, s[0:3], 0 offen offset:12
	s_waitcnt vmcnt(0)
	ds_write2_b64 v40, v[4:5], v[10:11] offset0:60 offset1:61
	v_mov_b32_e32 v11, s55
	buffer_load_dword v4, v11, s[0:3], 0 offen
	buffer_load_dword v5, v11, s[0:3], 0 offen offset:4
	buffer_load_dword v10, v11, s[0:3], 0 offen offset:8
	s_nop 0
	buffer_load_dword v11, v11, s[0:3], 0 offen offset:12
	s_waitcnt vmcnt(0)
	ds_write2_b64 v40, v[4:5], v[10:11] offset0:62 offset1:63
	v_mov_b32_e32 v11, s54
	buffer_load_dword v4, v11, s[0:3], 0 offen
	buffer_load_dword v5, v11, s[0:3], 0 offen offset:4
	buffer_load_dword v10, v11, s[0:3], 0 offen offset:8
	s_nop 0
	buffer_load_dword v11, v11, s[0:3], 0 offen offset:12
	s_waitcnt vmcnt(0)
	ds_write2_b64 v40, v[4:5], v[10:11] offset0:64 offset1:65
	v_mov_b32_e32 v11, s53
	buffer_load_dword v4, v11, s[0:3], 0 offen
	buffer_load_dword v5, v11, s[0:3], 0 offen offset:4
	buffer_load_dword v10, v11, s[0:3], 0 offen offset:8
	s_nop 0
	buffer_load_dword v11, v11, s[0:3], 0 offen offset:12
	s_waitcnt vmcnt(0)
	ds_write2_b64 v40, v[4:5], v[10:11] offset0:66 offset1:67
	v_mov_b32_e32 v11, s52
	buffer_load_dword v4, v11, s[0:3], 0 offen
	buffer_load_dword v5, v11, s[0:3], 0 offen offset:4
	buffer_load_dword v10, v11, s[0:3], 0 offen offset:8
	s_nop 0
	buffer_load_dword v11, v11, s[0:3], 0 offen offset:12
	s_waitcnt vmcnt(0)
	ds_write2_b64 v40, v[4:5], v[10:11] offset0:68 offset1:69
	v_mov_b32_e32 v11, s51
	buffer_load_dword v4, v11, s[0:3], 0 offen
	buffer_load_dword v5, v11, s[0:3], 0 offen offset:4
	buffer_load_dword v10, v11, s[0:3], 0 offen offset:8
	s_nop 0
	buffer_load_dword v11, v11, s[0:3], 0 offen offset:12
	s_waitcnt vmcnt(0)
	ds_write2_b64 v40, v[4:5], v[10:11] offset0:70 offset1:71
	v_mov_b32_e32 v11, s50
	buffer_load_dword v4, v11, s[0:3], 0 offen
	buffer_load_dword v5, v11, s[0:3], 0 offen offset:4
	buffer_load_dword v10, v11, s[0:3], 0 offen offset:8
	s_nop 0
	buffer_load_dword v11, v11, s[0:3], 0 offen offset:12
	s_waitcnt vmcnt(0)
	ds_write2_b64 v40, v[4:5], v[10:11] offset0:72 offset1:73
	v_mov_b32_e32 v11, s49
	buffer_load_dword v4, v11, s[0:3], 0 offen
	buffer_load_dword v5, v11, s[0:3], 0 offen offset:4
	buffer_load_dword v10, v11, s[0:3], 0 offen offset:8
	s_nop 0
	buffer_load_dword v11, v11, s[0:3], 0 offen offset:12
	s_waitcnt vmcnt(0)
	ds_write2_b64 v40, v[4:5], v[10:11] offset0:74 offset1:75
	v_mov_b32_e32 v11, s48
	buffer_load_dword v4, v11, s[0:3], 0 offen
	buffer_load_dword v5, v11, s[0:3], 0 offen offset:4
	buffer_load_dword v10, v11, s[0:3], 0 offen offset:8
	s_nop 0
	buffer_load_dword v11, v11, s[0:3], 0 offen offset:12
	s_waitcnt vmcnt(0)
	ds_write2_b64 v40, v[4:5], v[10:11] offset0:76 offset1:77
	v_mov_b32_e32 v11, s46
	buffer_load_dword v4, v11, s[0:3], 0 offen
	buffer_load_dword v5, v11, s[0:3], 0 offen offset:4
	buffer_load_dword v10, v11, s[0:3], 0 offen offset:8
	s_nop 0
	buffer_load_dword v11, v11, s[0:3], 0 offen offset:12
	s_waitcnt vmcnt(0)
	ds_write2_b64 v40, v[4:5], v[10:11] offset0:78 offset1:79
	v_mov_b32_e32 v11, s45
	buffer_load_dword v4, v11, s[0:3], 0 offen
	buffer_load_dword v5, v11, s[0:3], 0 offen offset:4
	buffer_load_dword v10, v11, s[0:3], 0 offen offset:8
	s_nop 0
	buffer_load_dword v11, v11, s[0:3], 0 offen offset:12
	s_waitcnt vmcnt(0)
	ds_write2_b64 v40, v[4:5], v[10:11] offset0:80 offset1:81
	v_mov_b32_e32 v11, s44
	buffer_load_dword v4, v11, s[0:3], 0 offen
	buffer_load_dword v5, v11, s[0:3], 0 offen offset:4
	buffer_load_dword v10, v11, s[0:3], 0 offen offset:8
	s_nop 0
	buffer_load_dword v11, v11, s[0:3], 0 offen offset:12
	s_waitcnt vmcnt(0)
	ds_write2_b64 v40, v[4:5], v[10:11] offset0:82 offset1:83
	v_mov_b32_e32 v11, s43
	buffer_load_dword v4, v11, s[0:3], 0 offen
	buffer_load_dword v5, v11, s[0:3], 0 offen offset:4
	buffer_load_dword v10, v11, s[0:3], 0 offen offset:8
	s_nop 0
	buffer_load_dword v11, v11, s[0:3], 0 offen offset:12
	s_waitcnt vmcnt(0)
	ds_write2_b64 v40, v[4:5], v[10:11] offset0:84 offset1:85
	v_mov_b32_e32 v11, s42
	buffer_load_dword v4, v11, s[0:3], 0 offen
	buffer_load_dword v5, v11, s[0:3], 0 offen offset:4
	buffer_load_dword v10, v11, s[0:3], 0 offen offset:8
	s_nop 0
	buffer_load_dword v11, v11, s[0:3], 0 offen offset:12
	s_waitcnt vmcnt(0)
	ds_write2_b64 v40, v[4:5], v[10:11] offset0:86 offset1:87
	v_mov_b32_e32 v11, s41
	buffer_load_dword v4, v11, s[0:3], 0 offen
	buffer_load_dword v5, v11, s[0:3], 0 offen offset:4
	buffer_load_dword v10, v11, s[0:3], 0 offen offset:8
	s_nop 0
	buffer_load_dword v11, v11, s[0:3], 0 offen offset:12
	s_waitcnt vmcnt(0)
	ds_write2_b64 v40, v[4:5], v[10:11] offset0:88 offset1:89
	v_mov_b32_e32 v11, s40
	buffer_load_dword v4, v11, s[0:3], 0 offen
	buffer_load_dword v5, v11, s[0:3], 0 offen offset:4
	buffer_load_dword v10, v11, s[0:3], 0 offen offset:8
	s_nop 0
	buffer_load_dword v11, v11, s[0:3], 0 offen offset:12
	s_waitcnt vmcnt(0)
	ds_write2_b64 v40, v[4:5], v[10:11] offset0:90 offset1:91
	v_mov_b32_e32 v11, s39
	buffer_load_dword v4, v11, s[0:3], 0 offen
	buffer_load_dword v5, v11, s[0:3], 0 offen offset:4
	buffer_load_dword v10, v11, s[0:3], 0 offen offset:8
	s_nop 0
	buffer_load_dword v11, v11, s[0:3], 0 offen offset:12
	s_waitcnt vmcnt(0)
	ds_write2_b64 v40, v[4:5], v[10:11] offset0:92 offset1:93
	v_mov_b32_e32 v11, s38
	buffer_load_dword v4, v11, s[0:3], 0 offen
	buffer_load_dword v5, v11, s[0:3], 0 offen offset:4
	buffer_load_dword v10, v11, s[0:3], 0 offen offset:8
	s_nop 0
	buffer_load_dword v11, v11, s[0:3], 0 offen offset:12
	s_waitcnt vmcnt(0)
	ds_write2_b64 v40, v[4:5], v[10:11] offset0:94 offset1:95
	v_mov_b32_e32 v11, s37
	buffer_load_dword v4, v11, s[0:3], 0 offen
	buffer_load_dword v5, v11, s[0:3], 0 offen offset:4
	buffer_load_dword v10, v11, s[0:3], 0 offen offset:8
	s_nop 0
	buffer_load_dword v11, v11, s[0:3], 0 offen offset:12
	s_waitcnt vmcnt(0)
	ds_write2_b64 v40, v[4:5], v[10:11] offset0:96 offset1:97
	v_mov_b32_e32 v11, s36
	buffer_load_dword v4, v11, s[0:3], 0 offen
	buffer_load_dword v5, v11, s[0:3], 0 offen offset:4
	buffer_load_dword v10, v11, s[0:3], 0 offen offset:8
	s_nop 0
	buffer_load_dword v11, v11, s[0:3], 0 offen offset:12
	s_waitcnt vmcnt(0)
	ds_write2_b64 v40, v[4:5], v[10:11] offset0:98 offset1:99
	v_mov_b32_e32 v11, s35
	buffer_load_dword v4, v11, s[0:3], 0 offen
	buffer_load_dword v5, v11, s[0:3], 0 offen offset:4
	buffer_load_dword v10, v11, s[0:3], 0 offen offset:8
	s_nop 0
	buffer_load_dword v11, v11, s[0:3], 0 offen offset:12
	s_waitcnt vmcnt(0)
	ds_write2_b64 v40, v[4:5], v[10:11] offset0:100 offset1:101
	v_mov_b32_e32 v11, s34
	buffer_load_dword v4, v11, s[0:3], 0 offen
	buffer_load_dword v5, v11, s[0:3], 0 offen offset:4
	buffer_load_dword v10, v11, s[0:3], 0 offen offset:8
	s_nop 0
	buffer_load_dword v11, v11, s[0:3], 0 offen offset:12
	s_waitcnt vmcnt(0)
	ds_write2_b64 v40, v[4:5], v[10:11] offset0:102 offset1:103
	v_mov_b32_e32 v11, s33
	buffer_load_dword v4, v11, s[0:3], 0 offen
	buffer_load_dword v5, v11, s[0:3], 0 offen offset:4
	buffer_load_dword v10, v11, s[0:3], 0 offen offset:8
	s_nop 0
	buffer_load_dword v11, v11, s[0:3], 0 offen offset:12
	s_waitcnt vmcnt(0)
	ds_write2_b64 v40, v[4:5], v[10:11] offset0:104 offset1:105
	v_mov_b32_e32 v11, s31
	buffer_load_dword v4, v11, s[0:3], 0 offen
	buffer_load_dword v5, v11, s[0:3], 0 offen offset:4
	buffer_load_dword v10, v11, s[0:3], 0 offen offset:8
	s_nop 0
	buffer_load_dword v11, v11, s[0:3], 0 offen offset:12
	s_waitcnt vmcnt(0)
	ds_write2_b64 v40, v[4:5], v[10:11] offset0:106 offset1:107
	v_mov_b32_e32 v11, s30
	buffer_load_dword v4, v11, s[0:3], 0 offen
	buffer_load_dword v5, v11, s[0:3], 0 offen offset:4
	buffer_load_dword v10, v11, s[0:3], 0 offen offset:8
	s_nop 0
	buffer_load_dword v11, v11, s[0:3], 0 offen offset:12
	s_waitcnt vmcnt(0)
	ds_write2_b64 v40, v[4:5], v[10:11] offset0:108 offset1:109
	v_mov_b32_e32 v11, s29
	buffer_load_dword v4, v11, s[0:3], 0 offen
	buffer_load_dword v5, v11, s[0:3], 0 offen offset:4
	buffer_load_dword v10, v11, s[0:3], 0 offen offset:8
	s_nop 0
	buffer_load_dword v11, v11, s[0:3], 0 offen offset:12
	s_waitcnt vmcnt(0)
	ds_write2_b64 v40, v[4:5], v[10:11] offset0:110 offset1:111
	v_mov_b32_e32 v11, s28
	buffer_load_dword v4, v11, s[0:3], 0 offen
	buffer_load_dword v5, v11, s[0:3], 0 offen offset:4
	buffer_load_dword v10, v11, s[0:3], 0 offen offset:8
	s_nop 0
	buffer_load_dword v11, v11, s[0:3], 0 offen offset:12
	s_waitcnt vmcnt(0)
	ds_write2_b64 v40, v[4:5], v[10:11] offset0:112 offset1:113
	v_mov_b32_e32 v11, s27
	buffer_load_dword v4, v11, s[0:3], 0 offen
	buffer_load_dword v5, v11, s[0:3], 0 offen offset:4
	buffer_load_dword v10, v11, s[0:3], 0 offen offset:8
	s_nop 0
	buffer_load_dword v11, v11, s[0:3], 0 offen offset:12
	s_waitcnt vmcnt(0)
	ds_write2_b64 v40, v[4:5], v[10:11] offset0:114 offset1:115
	v_mov_b32_e32 v11, s26
	buffer_load_dword v4, v11, s[0:3], 0 offen
	buffer_load_dword v5, v11, s[0:3], 0 offen offset:4
	buffer_load_dword v10, v11, s[0:3], 0 offen offset:8
	s_nop 0
	buffer_load_dword v11, v11, s[0:3], 0 offen offset:12
	s_waitcnt vmcnt(0)
	ds_write2_b64 v40, v[4:5], v[10:11] offset0:116 offset1:117
	v_mov_b32_e32 v11, s20
	buffer_load_dword v4, v11, s[0:3], 0 offen
	buffer_load_dword v5, v11, s[0:3], 0 offen offset:4
	buffer_load_dword v10, v11, s[0:3], 0 offen offset:8
	s_nop 0
	buffer_load_dword v11, v11, s[0:3], 0 offen offset:12
	s_waitcnt vmcnt(0)
	ds_write2_b64 v40, v[4:5], v[10:11] offset0:118 offset1:119
	v_mov_b32_e32 v11, s7
	buffer_load_dword v4, v11, s[0:3], 0 offen
	buffer_load_dword v5, v11, s[0:3], 0 offen offset:4
	buffer_load_dword v10, v11, s[0:3], 0 offen offset:8
	s_nop 0
	buffer_load_dword v11, v11, s[0:3], 0 offen offset:12
	s_waitcnt vmcnt(0)
	ds_write2_b64 v40, v[4:5], v[10:11] offset0:120 offset1:121
.LBB120_684:
	s_or_b64 exec, exec, s[4:5]
	v_cmp_lt_i32_e32 vcc, 27, v43
	s_waitcnt vmcnt(0) lgkmcnt(0)
	s_barrier
	s_and_saveexec_b64 s[4:5], vcc
	s_cbranch_execz .LBB120_687
; %bb.685:
	buffer_load_dword v4, off, s[0:3], 0 offset:440
	buffer_load_dword v5, off, s[0:3], 0 offset:444
	;; [unrolled: 1-line block ×4, first 2 shown]
	s_movk_i32 s16, 0x1c0
	s_waitcnt vmcnt(2)
	v_mul_f64 v[12:13], v[2:3], v[4:5]
	v_mul_f64 v[4:5], v[0:1], v[4:5]
	s_waitcnt vmcnt(0)
	v_fma_f64 v[0:1], v[0:1], v[10:11], -v[12:13]
	v_fma_f64 v[2:3], v[2:3], v[10:11], v[4:5]
	buffer_store_dword v0, off, s[0:3], 0 offset:432
	buffer_store_dword v1, off, s[0:3], 0 offset:436
	;; [unrolled: 1-line block ×4, first 2 shown]
.LBB120_686:                            ; =>This Inner Loop Header: Depth=1
	buffer_load_dword v4, off, s[0:3], 0 offset:440
	buffer_load_dword v5, off, s[0:3], 0 offset:444
	;; [unrolled: 1-line block ×4, first 2 shown]
	v_mov_b32_e32 v26, s16
	buffer_load_dword v16, v26, s[0:3], 0 offen
	buffer_load_dword v17, v26, s[0:3], 0 offen offset:4
	buffer_load_dword v18, v26, s[0:3], 0 offen offset:8
	;; [unrolled: 1-line block ×3, first 2 shown]
	v_add_u32_e32 v27, s16, v40
	ds_read2_b64 v[0:3], v27 offset1:1
	buffer_load_dword v20, v26, s[0:3], 0 offen offset:16
	buffer_load_dword v21, v26, s[0:3], 0 offen offset:20
	;; [unrolled: 1-line block ×4, first 2 shown]
	ds_read2_b64 v[10:13], v27 offset0:2 offset1:3
	s_add_i32 s16, s16, 48
	s_cmpk_lg_i32 s16, 0x3d0
	s_waitcnt vmcnt(10) lgkmcnt(1)
	v_mul_f64 v[24:25], v[2:3], v[4:5]
	v_mul_f64 v[4:5], v[0:1], v[4:5]
	s_waitcnt vmcnt(8)
	v_fma_f64 v[0:1], v[0:1], v[14:15], -v[24:25]
	v_fma_f64 v[2:3], v[2:3], v[14:15], v[4:5]
	s_waitcnt vmcnt(6)
	v_add_f64 v[0:1], v[16:17], -v[0:1]
	s_waitcnt vmcnt(4)
	v_add_f64 v[2:3], v[18:19], -v[2:3]
	buffer_store_dword v1, v26, s[0:3], 0 offen offset:4
	buffer_store_dword v0, v26, s[0:3], 0 offen
	buffer_store_dword v3, v26, s[0:3], 0 offen offset:12
	buffer_store_dword v2, v26, s[0:3], 0 offen offset:8
	buffer_load_dword v1, off, s[0:3], 0 offset:444
	s_nop 0
	buffer_load_dword v0, off, s[0:3], 0 offset:440
	buffer_load_dword v3, off, s[0:3], 0 offset:436
	;; [unrolled: 1-line block ×3, first 2 shown]
	buffer_load_dword v4, v26, s[0:3], 0 offen offset:32
	buffer_load_dword v5, v26, s[0:3], 0 offen offset:36
	;; [unrolled: 1-line block ×4, first 2 shown]
	s_waitcnt vmcnt(6) lgkmcnt(0)
	v_mul_f64 v[16:17], v[12:13], v[0:1]
	v_mul_f64 v[0:1], v[10:11], v[0:1]
	s_waitcnt vmcnt(4)
	v_fma_f64 v[10:11], v[10:11], v[2:3], -v[16:17]
	v_fma_f64 v[0:1], v[12:13], v[2:3], v[0:1]
	v_add_f64 v[2:3], v[20:21], -v[10:11]
	v_add_f64 v[0:1], v[22:23], -v[0:1]
	buffer_store_dword v3, v26, s[0:3], 0 offen offset:20
	buffer_store_dword v2, v26, s[0:3], 0 offen offset:16
	;; [unrolled: 1-line block ×4, first 2 shown]
	buffer_load_dword v10, off, s[0:3], 0 offset:440
	buffer_load_dword v11, off, s[0:3], 0 offset:444
	;; [unrolled: 1-line block ×4, first 2 shown]
	ds_read2_b64 v[0:3], v27 offset0:4 offset1:5
	s_waitcnt vmcnt(2) lgkmcnt(0)
	v_mul_f64 v[16:17], v[2:3], v[10:11]
	v_mul_f64 v[10:11], v[0:1], v[10:11]
	s_waitcnt vmcnt(0)
	v_fma_f64 v[0:1], v[0:1], v[12:13], -v[16:17]
	v_fma_f64 v[2:3], v[2:3], v[12:13], v[10:11]
	v_add_f64 v[0:1], v[4:5], -v[0:1]
	v_add_f64 v[2:3], v[14:15], -v[2:3]
	buffer_store_dword v1, v26, s[0:3], 0 offen offset:36
	buffer_store_dword v0, v26, s[0:3], 0 offen offset:32
	buffer_store_dword v3, v26, s[0:3], 0 offen offset:44
	buffer_store_dword v2, v26, s[0:3], 0 offen offset:40
	s_cbranch_scc1 .LBB120_686
.LBB120_687:
	s_or_b64 exec, exec, s[4:5]
	v_mov_b32_e32 v3, s58
	s_waitcnt vmcnt(0)
	s_barrier
	buffer_load_dword v0, v3, s[0:3], 0 offen
	buffer_load_dword v1, v3, s[0:3], 0 offen offset:4
	buffer_load_dword v2, v3, s[0:3], 0 offen offset:8
	s_nop 0
	buffer_load_dword v3, v3, s[0:3], 0 offen offset:12
	v_lshl_add_u32 v4, v43, 4, v40
	s_cmp_lt_i32 s64, 30
	s_waitcnt vmcnt(0)
	ds_write2_b64 v4, v[0:1], v[2:3] offset1:1
	s_waitcnt lgkmcnt(0)
	s_barrier
	ds_read2_b64 v[0:3], v40 offset0:56 offset1:57
	v_mov_b32_e32 v4, 28
	s_cbranch_scc1 .LBB120_690
; %bb.688:
	v_add_u32_e32 v5, 0x1d0, v40
	s_mov_b32 s16, 29
	v_mov_b32_e32 v4, 28
.LBB120_689:                            ; =>This Inner Loop Header: Depth=1
	s_waitcnt lgkmcnt(0)
	v_cmp_gt_f64_e32 vcc, 0, v[2:3]
	v_cmp_gt_f64_e64 s[4:5], 0, v[0:1]
	ds_read2_b64 v[10:13], v5 offset1:1
	v_xor_b32_e32 v15, 0x80000000, v1
	v_xor_b32_e32 v17, 0x80000000, v3
	v_mov_b32_e32 v14, v0
	v_mov_b32_e32 v16, v2
	s_waitcnt lgkmcnt(0)
	v_xor_b32_e32 v19, 0x80000000, v13
	v_cndmask_b32_e32 v17, v3, v17, vcc
	v_cndmask_b32_e64 v15, v1, v15, s[4:5]
	v_cmp_gt_f64_e32 vcc, 0, v[12:13]
	v_cmp_gt_f64_e64 s[4:5], 0, v[10:11]
	v_add_f64 v[14:15], v[14:15], v[16:17]
	v_xor_b32_e32 v17, 0x80000000, v11
	v_mov_b32_e32 v16, v10
	v_mov_b32_e32 v18, v12
	v_add_u32_e32 v5, 16, v5
	v_cndmask_b32_e32 v19, v13, v19, vcc
	v_cndmask_b32_e64 v17, v11, v17, s[4:5]
	v_add_f64 v[16:17], v[16:17], v[18:19]
	v_mov_b32_e32 v18, s16
	s_add_i32 s16, s16, 1
	s_cmp_lg_u32 s64, s16
	v_cmp_lt_f64_e32 vcc, v[14:15], v[16:17]
	v_cndmask_b32_e32 v1, v1, v11, vcc
	v_cndmask_b32_e32 v0, v0, v10, vcc
	;; [unrolled: 1-line block ×5, first 2 shown]
	s_cbranch_scc1 .LBB120_689
.LBB120_690:
	s_waitcnt lgkmcnt(0)
	v_cmp_eq_f64_e32 vcc, 0, v[0:1]
	v_cmp_eq_f64_e64 s[4:5], 0, v[2:3]
	s_and_b64 s[4:5], vcc, s[4:5]
	s_and_saveexec_b64 s[16:17], s[4:5]
	s_xor_b64 s[4:5], exec, s[16:17]
; %bb.691:
	v_cmp_ne_u32_e32 vcc, 0, v41
	v_cndmask_b32_e32 v41, 29, v41, vcc
; %bb.692:
	s_andn2_saveexec_b64 s[4:5], s[4:5]
	s_cbranch_execz .LBB120_698
; %bb.693:
	v_cmp_ngt_f64_e64 s[16:17], |v[0:1]|, |v[2:3]|
	s_and_saveexec_b64 s[18:19], s[16:17]
	s_xor_b64 s[18:19], exec, s[18:19]
	s_cbranch_execz .LBB120_695
; %bb.694:
	v_div_scale_f64 v[10:11], s[16:17], v[2:3], v[2:3], v[0:1]
	v_rcp_f64_e32 v[12:13], v[10:11]
	v_fma_f64 v[14:15], -v[10:11], v[12:13], 1.0
	v_fma_f64 v[12:13], v[12:13], v[14:15], v[12:13]
	v_div_scale_f64 v[14:15], vcc, v[0:1], v[2:3], v[0:1]
	v_fma_f64 v[16:17], -v[10:11], v[12:13], 1.0
	v_fma_f64 v[12:13], v[12:13], v[16:17], v[12:13]
	v_mul_f64 v[16:17], v[14:15], v[12:13]
	v_fma_f64 v[10:11], -v[10:11], v[16:17], v[14:15]
	v_div_fmas_f64 v[10:11], v[10:11], v[12:13], v[16:17]
	v_div_fixup_f64 v[10:11], v[10:11], v[2:3], v[0:1]
	v_fma_f64 v[0:1], v[0:1], v[10:11], v[2:3]
	v_div_scale_f64 v[2:3], s[16:17], v[0:1], v[0:1], 1.0
	v_div_scale_f64 v[16:17], vcc, 1.0, v[0:1], 1.0
	v_rcp_f64_e32 v[12:13], v[2:3]
	v_fma_f64 v[14:15], -v[2:3], v[12:13], 1.0
	v_fma_f64 v[12:13], v[12:13], v[14:15], v[12:13]
	v_fma_f64 v[14:15], -v[2:3], v[12:13], 1.0
	v_fma_f64 v[12:13], v[12:13], v[14:15], v[12:13]
	v_mul_f64 v[14:15], v[16:17], v[12:13]
	v_fma_f64 v[2:3], -v[2:3], v[14:15], v[16:17]
	v_div_fmas_f64 v[2:3], v[2:3], v[12:13], v[14:15]
	v_div_fixup_f64 v[2:3], v[2:3], v[0:1], 1.0
	v_mul_f64 v[0:1], v[10:11], v[2:3]
	v_xor_b32_e32 v3, 0x80000000, v3
.LBB120_695:
	s_andn2_saveexec_b64 s[18:19], s[18:19]
	s_cbranch_execz .LBB120_697
; %bb.696:
	v_div_scale_f64 v[10:11], s[16:17], v[0:1], v[0:1], v[2:3]
	v_rcp_f64_e32 v[12:13], v[10:11]
	v_fma_f64 v[14:15], -v[10:11], v[12:13], 1.0
	v_fma_f64 v[12:13], v[12:13], v[14:15], v[12:13]
	v_div_scale_f64 v[14:15], vcc, v[2:3], v[0:1], v[2:3]
	v_fma_f64 v[16:17], -v[10:11], v[12:13], 1.0
	v_fma_f64 v[12:13], v[12:13], v[16:17], v[12:13]
	v_mul_f64 v[16:17], v[14:15], v[12:13]
	v_fma_f64 v[10:11], -v[10:11], v[16:17], v[14:15]
	v_div_fmas_f64 v[10:11], v[10:11], v[12:13], v[16:17]
	v_div_fixup_f64 v[10:11], v[10:11], v[0:1], v[2:3]
	v_fma_f64 v[0:1], v[2:3], v[10:11], v[0:1]
	v_div_scale_f64 v[2:3], s[16:17], v[0:1], v[0:1], 1.0
	v_div_scale_f64 v[16:17], vcc, 1.0, v[0:1], 1.0
	v_rcp_f64_e32 v[12:13], v[2:3]
	v_fma_f64 v[14:15], -v[2:3], v[12:13], 1.0
	v_fma_f64 v[12:13], v[12:13], v[14:15], v[12:13]
	v_fma_f64 v[14:15], -v[2:3], v[12:13], 1.0
	v_fma_f64 v[12:13], v[12:13], v[14:15], v[12:13]
	v_mul_f64 v[14:15], v[16:17], v[12:13]
	v_fma_f64 v[2:3], -v[2:3], v[14:15], v[16:17]
	v_div_fmas_f64 v[2:3], v[2:3], v[12:13], v[14:15]
	v_div_fixup_f64 v[0:1], v[2:3], v[0:1], 1.0
	v_mul_f64 v[2:3], v[10:11], -v[0:1]
.LBB120_697:
	s_or_b64 exec, exec, s[18:19]
.LBB120_698:
	s_or_b64 exec, exec, s[4:5]
	v_cmp_ne_u32_e32 vcc, v43, v4
	s_and_saveexec_b64 s[4:5], vcc
	s_xor_b64 s[4:5], exec, s[4:5]
	s_cbranch_execz .LBB120_704
; %bb.699:
	v_cmp_eq_u32_e32 vcc, 28, v43
	s_and_saveexec_b64 s[18:19], vcc
	s_cbranch_execz .LBB120_703
; %bb.700:
	v_cmp_ne_u32_e32 vcc, 28, v4
	s_xor_b64 s[16:17], s[22:23], -1
	s_and_b64 s[16:17], s[16:17], vcc
	s_and_saveexec_b64 s[24:25], s[16:17]
	s_cbranch_execz .LBB120_702
; %bb.701:
	v_ashrrev_i32_e32 v5, 31, v4
	v_lshlrev_b64 v[10:11], 2, v[4:5]
	v_add_co_u32_e32 v10, vcc, v8, v10
	v_addc_co_u32_e32 v11, vcc, v9, v11, vcc
	global_load_dword v5, v[10:11], off
	global_load_dword v12, v[8:9], off offset:112
	s_waitcnt vmcnt(1)
	global_store_dword v[8:9], v5, off offset:112
	s_waitcnt vmcnt(1)
	global_store_dword v[10:11], v12, off
.LBB120_702:
	s_or_b64 exec, exec, s[24:25]
	v_mov_b32_e32 v43, v4
	v_mov_b32_e32 v42, v4
.LBB120_703:
	s_or_b64 exec, exec, s[18:19]
.LBB120_704:
	s_andn2_saveexec_b64 s[4:5], s[4:5]
	s_cbranch_execz .LBB120_706
; %bb.705:
	v_mov_b32_e32 v11, s8
	buffer_load_dword v4, v11, s[0:3], 0 offen
	buffer_load_dword v5, v11, s[0:3], 0 offen offset:4
	buffer_load_dword v10, v11, s[0:3], 0 offen offset:8
	s_nop 0
	buffer_load_dword v11, v11, s[0:3], 0 offen offset:12
	v_mov_b32_e32 v43, 28
	s_waitcnt vmcnt(0)
	ds_write2_b64 v40, v[4:5], v[10:11] offset0:58 offset1:59
	v_mov_b32_e32 v11, s56
	buffer_load_dword v4, v11, s[0:3], 0 offen
	buffer_load_dword v5, v11, s[0:3], 0 offen offset:4
	buffer_load_dword v10, v11, s[0:3], 0 offen offset:8
	s_nop 0
	buffer_load_dword v11, v11, s[0:3], 0 offen offset:12
	s_waitcnt vmcnt(0)
	ds_write2_b64 v40, v[4:5], v[10:11] offset0:60 offset1:61
	v_mov_b32_e32 v11, s55
	buffer_load_dword v4, v11, s[0:3], 0 offen
	buffer_load_dword v5, v11, s[0:3], 0 offen offset:4
	buffer_load_dword v10, v11, s[0:3], 0 offen offset:8
	s_nop 0
	buffer_load_dword v11, v11, s[0:3], 0 offen offset:12
	s_waitcnt vmcnt(0)
	ds_write2_b64 v40, v[4:5], v[10:11] offset0:62 offset1:63
	v_mov_b32_e32 v11, s54
	buffer_load_dword v4, v11, s[0:3], 0 offen
	buffer_load_dword v5, v11, s[0:3], 0 offen offset:4
	buffer_load_dword v10, v11, s[0:3], 0 offen offset:8
	s_nop 0
	buffer_load_dword v11, v11, s[0:3], 0 offen offset:12
	s_waitcnt vmcnt(0)
	ds_write2_b64 v40, v[4:5], v[10:11] offset0:64 offset1:65
	v_mov_b32_e32 v11, s53
	buffer_load_dword v4, v11, s[0:3], 0 offen
	buffer_load_dword v5, v11, s[0:3], 0 offen offset:4
	buffer_load_dword v10, v11, s[0:3], 0 offen offset:8
	s_nop 0
	buffer_load_dword v11, v11, s[0:3], 0 offen offset:12
	s_waitcnt vmcnt(0)
	ds_write2_b64 v40, v[4:5], v[10:11] offset0:66 offset1:67
	v_mov_b32_e32 v11, s52
	buffer_load_dword v4, v11, s[0:3], 0 offen
	buffer_load_dword v5, v11, s[0:3], 0 offen offset:4
	buffer_load_dword v10, v11, s[0:3], 0 offen offset:8
	s_nop 0
	buffer_load_dword v11, v11, s[0:3], 0 offen offset:12
	s_waitcnt vmcnt(0)
	ds_write2_b64 v40, v[4:5], v[10:11] offset0:68 offset1:69
	v_mov_b32_e32 v11, s51
	buffer_load_dword v4, v11, s[0:3], 0 offen
	buffer_load_dword v5, v11, s[0:3], 0 offen offset:4
	buffer_load_dword v10, v11, s[0:3], 0 offen offset:8
	s_nop 0
	buffer_load_dword v11, v11, s[0:3], 0 offen offset:12
	s_waitcnt vmcnt(0)
	ds_write2_b64 v40, v[4:5], v[10:11] offset0:70 offset1:71
	v_mov_b32_e32 v11, s50
	buffer_load_dword v4, v11, s[0:3], 0 offen
	buffer_load_dword v5, v11, s[0:3], 0 offen offset:4
	buffer_load_dword v10, v11, s[0:3], 0 offen offset:8
	s_nop 0
	buffer_load_dword v11, v11, s[0:3], 0 offen offset:12
	s_waitcnt vmcnt(0)
	ds_write2_b64 v40, v[4:5], v[10:11] offset0:72 offset1:73
	v_mov_b32_e32 v11, s49
	buffer_load_dword v4, v11, s[0:3], 0 offen
	buffer_load_dword v5, v11, s[0:3], 0 offen offset:4
	buffer_load_dword v10, v11, s[0:3], 0 offen offset:8
	s_nop 0
	buffer_load_dword v11, v11, s[0:3], 0 offen offset:12
	s_waitcnt vmcnt(0)
	ds_write2_b64 v40, v[4:5], v[10:11] offset0:74 offset1:75
	v_mov_b32_e32 v11, s48
	buffer_load_dword v4, v11, s[0:3], 0 offen
	buffer_load_dword v5, v11, s[0:3], 0 offen offset:4
	buffer_load_dword v10, v11, s[0:3], 0 offen offset:8
	s_nop 0
	buffer_load_dword v11, v11, s[0:3], 0 offen offset:12
	s_waitcnt vmcnt(0)
	ds_write2_b64 v40, v[4:5], v[10:11] offset0:76 offset1:77
	v_mov_b32_e32 v11, s46
	buffer_load_dword v4, v11, s[0:3], 0 offen
	buffer_load_dword v5, v11, s[0:3], 0 offen offset:4
	buffer_load_dword v10, v11, s[0:3], 0 offen offset:8
	s_nop 0
	buffer_load_dword v11, v11, s[0:3], 0 offen offset:12
	s_waitcnt vmcnt(0)
	ds_write2_b64 v40, v[4:5], v[10:11] offset0:78 offset1:79
	v_mov_b32_e32 v11, s45
	buffer_load_dword v4, v11, s[0:3], 0 offen
	buffer_load_dword v5, v11, s[0:3], 0 offen offset:4
	buffer_load_dword v10, v11, s[0:3], 0 offen offset:8
	s_nop 0
	buffer_load_dword v11, v11, s[0:3], 0 offen offset:12
	s_waitcnt vmcnt(0)
	ds_write2_b64 v40, v[4:5], v[10:11] offset0:80 offset1:81
	v_mov_b32_e32 v11, s44
	buffer_load_dword v4, v11, s[0:3], 0 offen
	buffer_load_dword v5, v11, s[0:3], 0 offen offset:4
	buffer_load_dword v10, v11, s[0:3], 0 offen offset:8
	s_nop 0
	buffer_load_dword v11, v11, s[0:3], 0 offen offset:12
	s_waitcnt vmcnt(0)
	ds_write2_b64 v40, v[4:5], v[10:11] offset0:82 offset1:83
	v_mov_b32_e32 v11, s43
	buffer_load_dword v4, v11, s[0:3], 0 offen
	buffer_load_dword v5, v11, s[0:3], 0 offen offset:4
	buffer_load_dword v10, v11, s[0:3], 0 offen offset:8
	s_nop 0
	buffer_load_dword v11, v11, s[0:3], 0 offen offset:12
	s_waitcnt vmcnt(0)
	ds_write2_b64 v40, v[4:5], v[10:11] offset0:84 offset1:85
	v_mov_b32_e32 v11, s42
	buffer_load_dword v4, v11, s[0:3], 0 offen
	buffer_load_dword v5, v11, s[0:3], 0 offen offset:4
	buffer_load_dword v10, v11, s[0:3], 0 offen offset:8
	s_nop 0
	buffer_load_dword v11, v11, s[0:3], 0 offen offset:12
	s_waitcnt vmcnt(0)
	ds_write2_b64 v40, v[4:5], v[10:11] offset0:86 offset1:87
	v_mov_b32_e32 v11, s41
	buffer_load_dword v4, v11, s[0:3], 0 offen
	buffer_load_dword v5, v11, s[0:3], 0 offen offset:4
	buffer_load_dword v10, v11, s[0:3], 0 offen offset:8
	s_nop 0
	buffer_load_dword v11, v11, s[0:3], 0 offen offset:12
	s_waitcnt vmcnt(0)
	ds_write2_b64 v40, v[4:5], v[10:11] offset0:88 offset1:89
	v_mov_b32_e32 v11, s40
	buffer_load_dword v4, v11, s[0:3], 0 offen
	buffer_load_dword v5, v11, s[0:3], 0 offen offset:4
	buffer_load_dword v10, v11, s[0:3], 0 offen offset:8
	s_nop 0
	buffer_load_dword v11, v11, s[0:3], 0 offen offset:12
	s_waitcnt vmcnt(0)
	ds_write2_b64 v40, v[4:5], v[10:11] offset0:90 offset1:91
	v_mov_b32_e32 v11, s39
	buffer_load_dword v4, v11, s[0:3], 0 offen
	buffer_load_dword v5, v11, s[0:3], 0 offen offset:4
	buffer_load_dword v10, v11, s[0:3], 0 offen offset:8
	s_nop 0
	buffer_load_dword v11, v11, s[0:3], 0 offen offset:12
	s_waitcnt vmcnt(0)
	ds_write2_b64 v40, v[4:5], v[10:11] offset0:92 offset1:93
	v_mov_b32_e32 v11, s38
	buffer_load_dword v4, v11, s[0:3], 0 offen
	buffer_load_dword v5, v11, s[0:3], 0 offen offset:4
	buffer_load_dword v10, v11, s[0:3], 0 offen offset:8
	s_nop 0
	buffer_load_dword v11, v11, s[0:3], 0 offen offset:12
	s_waitcnt vmcnt(0)
	ds_write2_b64 v40, v[4:5], v[10:11] offset0:94 offset1:95
	v_mov_b32_e32 v11, s37
	buffer_load_dword v4, v11, s[0:3], 0 offen
	buffer_load_dword v5, v11, s[0:3], 0 offen offset:4
	buffer_load_dword v10, v11, s[0:3], 0 offen offset:8
	s_nop 0
	buffer_load_dword v11, v11, s[0:3], 0 offen offset:12
	s_waitcnt vmcnt(0)
	ds_write2_b64 v40, v[4:5], v[10:11] offset0:96 offset1:97
	v_mov_b32_e32 v11, s36
	buffer_load_dword v4, v11, s[0:3], 0 offen
	buffer_load_dword v5, v11, s[0:3], 0 offen offset:4
	buffer_load_dword v10, v11, s[0:3], 0 offen offset:8
	s_nop 0
	buffer_load_dword v11, v11, s[0:3], 0 offen offset:12
	s_waitcnt vmcnt(0)
	ds_write2_b64 v40, v[4:5], v[10:11] offset0:98 offset1:99
	v_mov_b32_e32 v11, s35
	buffer_load_dword v4, v11, s[0:3], 0 offen
	buffer_load_dword v5, v11, s[0:3], 0 offen offset:4
	buffer_load_dword v10, v11, s[0:3], 0 offen offset:8
	s_nop 0
	buffer_load_dword v11, v11, s[0:3], 0 offen offset:12
	s_waitcnt vmcnt(0)
	ds_write2_b64 v40, v[4:5], v[10:11] offset0:100 offset1:101
	v_mov_b32_e32 v11, s34
	buffer_load_dword v4, v11, s[0:3], 0 offen
	buffer_load_dword v5, v11, s[0:3], 0 offen offset:4
	buffer_load_dword v10, v11, s[0:3], 0 offen offset:8
	s_nop 0
	buffer_load_dword v11, v11, s[0:3], 0 offen offset:12
	s_waitcnt vmcnt(0)
	ds_write2_b64 v40, v[4:5], v[10:11] offset0:102 offset1:103
	v_mov_b32_e32 v11, s33
	buffer_load_dword v4, v11, s[0:3], 0 offen
	buffer_load_dword v5, v11, s[0:3], 0 offen offset:4
	buffer_load_dword v10, v11, s[0:3], 0 offen offset:8
	s_nop 0
	buffer_load_dword v11, v11, s[0:3], 0 offen offset:12
	s_waitcnt vmcnt(0)
	ds_write2_b64 v40, v[4:5], v[10:11] offset0:104 offset1:105
	v_mov_b32_e32 v11, s31
	buffer_load_dword v4, v11, s[0:3], 0 offen
	buffer_load_dword v5, v11, s[0:3], 0 offen offset:4
	buffer_load_dword v10, v11, s[0:3], 0 offen offset:8
	s_nop 0
	buffer_load_dword v11, v11, s[0:3], 0 offen offset:12
	s_waitcnt vmcnt(0)
	ds_write2_b64 v40, v[4:5], v[10:11] offset0:106 offset1:107
	v_mov_b32_e32 v11, s30
	buffer_load_dword v4, v11, s[0:3], 0 offen
	buffer_load_dword v5, v11, s[0:3], 0 offen offset:4
	buffer_load_dword v10, v11, s[0:3], 0 offen offset:8
	s_nop 0
	buffer_load_dword v11, v11, s[0:3], 0 offen offset:12
	s_waitcnt vmcnt(0)
	ds_write2_b64 v40, v[4:5], v[10:11] offset0:108 offset1:109
	v_mov_b32_e32 v11, s29
	buffer_load_dword v4, v11, s[0:3], 0 offen
	buffer_load_dword v5, v11, s[0:3], 0 offen offset:4
	buffer_load_dword v10, v11, s[0:3], 0 offen offset:8
	s_nop 0
	buffer_load_dword v11, v11, s[0:3], 0 offen offset:12
	s_waitcnt vmcnt(0)
	ds_write2_b64 v40, v[4:5], v[10:11] offset0:110 offset1:111
	v_mov_b32_e32 v11, s28
	buffer_load_dword v4, v11, s[0:3], 0 offen
	buffer_load_dword v5, v11, s[0:3], 0 offen offset:4
	buffer_load_dword v10, v11, s[0:3], 0 offen offset:8
	s_nop 0
	buffer_load_dword v11, v11, s[0:3], 0 offen offset:12
	s_waitcnt vmcnt(0)
	ds_write2_b64 v40, v[4:5], v[10:11] offset0:112 offset1:113
	v_mov_b32_e32 v11, s27
	buffer_load_dword v4, v11, s[0:3], 0 offen
	buffer_load_dword v5, v11, s[0:3], 0 offen offset:4
	buffer_load_dword v10, v11, s[0:3], 0 offen offset:8
	s_nop 0
	buffer_load_dword v11, v11, s[0:3], 0 offen offset:12
	s_waitcnt vmcnt(0)
	ds_write2_b64 v40, v[4:5], v[10:11] offset0:114 offset1:115
	v_mov_b32_e32 v11, s26
	buffer_load_dword v4, v11, s[0:3], 0 offen
	buffer_load_dword v5, v11, s[0:3], 0 offen offset:4
	buffer_load_dword v10, v11, s[0:3], 0 offen offset:8
	s_nop 0
	buffer_load_dword v11, v11, s[0:3], 0 offen offset:12
	s_waitcnt vmcnt(0)
	ds_write2_b64 v40, v[4:5], v[10:11] offset0:116 offset1:117
	v_mov_b32_e32 v11, s20
	buffer_load_dword v4, v11, s[0:3], 0 offen
	buffer_load_dword v5, v11, s[0:3], 0 offen offset:4
	buffer_load_dword v10, v11, s[0:3], 0 offen offset:8
	s_nop 0
	buffer_load_dword v11, v11, s[0:3], 0 offen offset:12
	s_waitcnt vmcnt(0)
	ds_write2_b64 v40, v[4:5], v[10:11] offset0:118 offset1:119
	v_mov_b32_e32 v11, s7
	buffer_load_dword v4, v11, s[0:3], 0 offen
	buffer_load_dword v5, v11, s[0:3], 0 offen offset:4
	buffer_load_dword v10, v11, s[0:3], 0 offen offset:8
	s_nop 0
	buffer_load_dword v11, v11, s[0:3], 0 offen offset:12
	s_waitcnt vmcnt(0)
	ds_write2_b64 v40, v[4:5], v[10:11] offset0:120 offset1:121
.LBB120_706:
	s_or_b64 exec, exec, s[4:5]
	v_cmp_lt_i32_e32 vcc, 28, v43
	s_waitcnt vmcnt(0) lgkmcnt(0)
	s_barrier
	s_and_saveexec_b64 s[4:5], vcc
	s_cbranch_execz .LBB120_709
; %bb.707:
	buffer_load_dword v4, off, s[0:3], 0 offset:456
	buffer_load_dword v5, off, s[0:3], 0 offset:460
	;; [unrolled: 1-line block ×4, first 2 shown]
	s_mov_b32 s18, 0
	s_waitcnt vmcnt(2)
	v_mul_f64 v[12:13], v[2:3], v[4:5]
	v_mul_f64 v[4:5], v[0:1], v[4:5]
	s_waitcnt vmcnt(0)
	v_fma_f64 v[0:1], v[0:1], v[10:11], -v[12:13]
	v_fma_f64 v[2:3], v[2:3], v[10:11], v[4:5]
	v_add_u32_e32 v4, 0x1d0, v40
	buffer_store_dword v0, off, s[0:3], 0 offset:448
	buffer_store_dword v1, off, s[0:3], 0 offset:452
	;; [unrolled: 1-line block ×4, first 2 shown]
.LBB120_708:                            ; =>This Inner Loop Header: Depth=1
	v_add_u32_e32 v5, s18, v4
	ds_read2_b64 v[10:13], v5 offset1:1
	v_mov_b32_e32 v30, s18
	s_add_i32 s18, s18, 64
	s_cmpk_lg_i32 s18, 0x200
	s_waitcnt lgkmcnt(0)
	v_mul_f64 v[14:15], v[12:13], v[2:3]
	v_fma_f64 v[14:15], v[10:11], v[0:1], -v[14:15]
	v_mul_f64 v[10:11], v[10:11], v[2:3]
	v_fma_f64 v[10:11], v[12:13], v[0:1], v[10:11]
	buffer_load_dword v12, v30, s[0:3], 0 offen offset:464
	buffer_load_dword v13, v30, s[0:3], 0 offen offset:468
	;; [unrolled: 1-line block ×16, first 2 shown]
	s_waitcnt vmcnt(14)
	v_add_f64 v[12:13], v[12:13], -v[14:15]
	s_waitcnt vmcnt(12)
	v_add_f64 v[10:11], v[16:17], -v[10:11]
	buffer_store_dword v12, v30, s[0:3], 0 offen offset:464
	buffer_store_dword v13, v30, s[0:3], 0 offen offset:468
	buffer_store_dword v10, v30, s[0:3], 0 offen offset:472
	buffer_store_dword v11, v30, s[0:3], 0 offen offset:476
	ds_read2_b64 v[10:13], v5 offset0:2 offset1:3
	s_waitcnt lgkmcnt(0)
	v_mul_f64 v[14:15], v[12:13], v[2:3]
	v_fma_f64 v[14:15], v[10:11], v[0:1], -v[14:15]
	v_mul_f64 v[10:11], v[10:11], v[2:3]
	v_fma_f64 v[10:11], v[12:13], v[0:1], v[10:11]
	s_waitcnt vmcnt(14)
	v_add_f64 v[12:13], v[18:19], -v[14:15]
	s_waitcnt vmcnt(12)
	v_add_f64 v[10:11], v[20:21], -v[10:11]
	buffer_store_dword v12, v30, s[0:3], 0 offen offset:480
	buffer_store_dword v13, v30, s[0:3], 0 offen offset:484
	buffer_store_dword v10, v30, s[0:3], 0 offen offset:488
	buffer_store_dword v11, v30, s[0:3], 0 offen offset:492
	ds_read2_b64 v[10:13], v5 offset0:4 offset1:5
	s_waitcnt lgkmcnt(0)
	v_mul_f64 v[14:15], v[12:13], v[2:3]
	v_fma_f64 v[14:15], v[10:11], v[0:1], -v[14:15]
	v_mul_f64 v[10:11], v[10:11], v[2:3]
	v_fma_f64 v[10:11], v[12:13], v[0:1], v[10:11]
	;; [unrolled: 14-line block ×3, first 2 shown]
	s_waitcnt vmcnt(14)
	v_add_f64 v[12:13], v[26:27], -v[14:15]
	s_waitcnt vmcnt(12)
	v_add_f64 v[10:11], v[28:29], -v[10:11]
	buffer_store_dword v13, v30, s[0:3], 0 offen offset:516
	buffer_store_dword v12, v30, s[0:3], 0 offen offset:512
	buffer_store_dword v10, v30, s[0:3], 0 offen offset:520
	buffer_store_dword v11, v30, s[0:3], 0 offen offset:524
	s_cbranch_scc1 .LBB120_708
.LBB120_709:
	s_or_b64 exec, exec, s[4:5]
	v_mov_b32_e32 v3, s8
	s_waitcnt vmcnt(0)
	s_barrier
	buffer_load_dword v0, v3, s[0:3], 0 offen
	buffer_load_dword v1, v3, s[0:3], 0 offen offset:4
	buffer_load_dword v2, v3, s[0:3], 0 offen offset:8
	s_nop 0
	buffer_load_dword v3, v3, s[0:3], 0 offen offset:12
	v_lshl_add_u32 v4, v43, 4, v40
	s_cmp_lt_i32 s64, 31
	s_waitcnt vmcnt(0)
	ds_write2_b64 v4, v[0:1], v[2:3] offset1:1
	s_waitcnt lgkmcnt(0)
	s_barrier
	ds_read2_b64 v[0:3], v40 offset0:58 offset1:59
	v_mov_b32_e32 v4, 29
	s_cbranch_scc1 .LBB120_712
; %bb.710:
	v_add_u32_e32 v5, 0x1e0, v40
	s_mov_b32 s16, 30
	v_mov_b32_e32 v4, 29
.LBB120_711:                            ; =>This Inner Loop Header: Depth=1
	s_waitcnt lgkmcnt(0)
	v_cmp_gt_f64_e32 vcc, 0, v[2:3]
	v_cmp_gt_f64_e64 s[4:5], 0, v[0:1]
	ds_read2_b64 v[10:13], v5 offset1:1
	v_xor_b32_e32 v15, 0x80000000, v1
	v_xor_b32_e32 v17, 0x80000000, v3
	v_mov_b32_e32 v14, v0
	v_mov_b32_e32 v16, v2
	s_waitcnt lgkmcnt(0)
	v_xor_b32_e32 v19, 0x80000000, v13
	v_cndmask_b32_e32 v17, v3, v17, vcc
	v_cndmask_b32_e64 v15, v1, v15, s[4:5]
	v_cmp_gt_f64_e32 vcc, 0, v[12:13]
	v_cmp_gt_f64_e64 s[4:5], 0, v[10:11]
	v_add_f64 v[14:15], v[14:15], v[16:17]
	v_xor_b32_e32 v17, 0x80000000, v11
	v_mov_b32_e32 v16, v10
	v_mov_b32_e32 v18, v12
	v_add_u32_e32 v5, 16, v5
	v_cndmask_b32_e32 v19, v13, v19, vcc
	v_cndmask_b32_e64 v17, v11, v17, s[4:5]
	v_add_f64 v[16:17], v[16:17], v[18:19]
	v_mov_b32_e32 v18, s16
	s_add_i32 s16, s16, 1
	s_cmp_lg_u32 s64, s16
	v_cmp_lt_f64_e32 vcc, v[14:15], v[16:17]
	v_cndmask_b32_e32 v1, v1, v11, vcc
	v_cndmask_b32_e32 v0, v0, v10, vcc
	;; [unrolled: 1-line block ×5, first 2 shown]
	s_cbranch_scc1 .LBB120_711
.LBB120_712:
	s_waitcnt lgkmcnt(0)
	v_cmp_eq_f64_e32 vcc, 0, v[0:1]
	v_cmp_eq_f64_e64 s[4:5], 0, v[2:3]
	s_and_b64 s[4:5], vcc, s[4:5]
	s_and_saveexec_b64 s[16:17], s[4:5]
	s_xor_b64 s[4:5], exec, s[16:17]
; %bb.713:
	v_cmp_ne_u32_e32 vcc, 0, v41
	v_cndmask_b32_e32 v41, 30, v41, vcc
; %bb.714:
	s_andn2_saveexec_b64 s[4:5], s[4:5]
	s_cbranch_execz .LBB120_720
; %bb.715:
	v_cmp_ngt_f64_e64 s[16:17], |v[0:1]|, |v[2:3]|
	s_and_saveexec_b64 s[18:19], s[16:17]
	s_xor_b64 s[18:19], exec, s[18:19]
	s_cbranch_execz .LBB120_717
; %bb.716:
	v_div_scale_f64 v[10:11], s[16:17], v[2:3], v[2:3], v[0:1]
	v_rcp_f64_e32 v[12:13], v[10:11]
	v_fma_f64 v[14:15], -v[10:11], v[12:13], 1.0
	v_fma_f64 v[12:13], v[12:13], v[14:15], v[12:13]
	v_div_scale_f64 v[14:15], vcc, v[0:1], v[2:3], v[0:1]
	v_fma_f64 v[16:17], -v[10:11], v[12:13], 1.0
	v_fma_f64 v[12:13], v[12:13], v[16:17], v[12:13]
	v_mul_f64 v[16:17], v[14:15], v[12:13]
	v_fma_f64 v[10:11], -v[10:11], v[16:17], v[14:15]
	v_div_fmas_f64 v[10:11], v[10:11], v[12:13], v[16:17]
	v_div_fixup_f64 v[10:11], v[10:11], v[2:3], v[0:1]
	v_fma_f64 v[0:1], v[0:1], v[10:11], v[2:3]
	v_div_scale_f64 v[2:3], s[16:17], v[0:1], v[0:1], 1.0
	v_div_scale_f64 v[16:17], vcc, 1.0, v[0:1], 1.0
	v_rcp_f64_e32 v[12:13], v[2:3]
	v_fma_f64 v[14:15], -v[2:3], v[12:13], 1.0
	v_fma_f64 v[12:13], v[12:13], v[14:15], v[12:13]
	v_fma_f64 v[14:15], -v[2:3], v[12:13], 1.0
	v_fma_f64 v[12:13], v[12:13], v[14:15], v[12:13]
	v_mul_f64 v[14:15], v[16:17], v[12:13]
	v_fma_f64 v[2:3], -v[2:3], v[14:15], v[16:17]
	v_div_fmas_f64 v[2:3], v[2:3], v[12:13], v[14:15]
	v_div_fixup_f64 v[2:3], v[2:3], v[0:1], 1.0
	v_mul_f64 v[0:1], v[10:11], v[2:3]
	v_xor_b32_e32 v3, 0x80000000, v3
.LBB120_717:
	s_andn2_saveexec_b64 s[18:19], s[18:19]
	s_cbranch_execz .LBB120_719
; %bb.718:
	v_div_scale_f64 v[10:11], s[16:17], v[0:1], v[0:1], v[2:3]
	v_rcp_f64_e32 v[12:13], v[10:11]
	v_fma_f64 v[14:15], -v[10:11], v[12:13], 1.0
	v_fma_f64 v[12:13], v[12:13], v[14:15], v[12:13]
	v_div_scale_f64 v[14:15], vcc, v[2:3], v[0:1], v[2:3]
	v_fma_f64 v[16:17], -v[10:11], v[12:13], 1.0
	v_fma_f64 v[12:13], v[12:13], v[16:17], v[12:13]
	v_mul_f64 v[16:17], v[14:15], v[12:13]
	v_fma_f64 v[10:11], -v[10:11], v[16:17], v[14:15]
	v_div_fmas_f64 v[10:11], v[10:11], v[12:13], v[16:17]
	v_div_fixup_f64 v[10:11], v[10:11], v[0:1], v[2:3]
	v_fma_f64 v[0:1], v[2:3], v[10:11], v[0:1]
	v_div_scale_f64 v[2:3], s[16:17], v[0:1], v[0:1], 1.0
	v_div_scale_f64 v[16:17], vcc, 1.0, v[0:1], 1.0
	v_rcp_f64_e32 v[12:13], v[2:3]
	v_fma_f64 v[14:15], -v[2:3], v[12:13], 1.0
	v_fma_f64 v[12:13], v[12:13], v[14:15], v[12:13]
	v_fma_f64 v[14:15], -v[2:3], v[12:13], 1.0
	v_fma_f64 v[12:13], v[12:13], v[14:15], v[12:13]
	v_mul_f64 v[14:15], v[16:17], v[12:13]
	v_fma_f64 v[2:3], -v[2:3], v[14:15], v[16:17]
	v_div_fmas_f64 v[2:3], v[2:3], v[12:13], v[14:15]
	v_div_fixup_f64 v[0:1], v[2:3], v[0:1], 1.0
	v_mul_f64 v[2:3], v[10:11], -v[0:1]
.LBB120_719:
	s_or_b64 exec, exec, s[18:19]
.LBB120_720:
	s_or_b64 exec, exec, s[4:5]
	v_cmp_ne_u32_e32 vcc, v43, v4
	s_and_saveexec_b64 s[4:5], vcc
	s_xor_b64 s[4:5], exec, s[4:5]
	s_cbranch_execz .LBB120_726
; %bb.721:
	v_cmp_eq_u32_e32 vcc, 29, v43
	s_and_saveexec_b64 s[18:19], vcc
	s_cbranch_execz .LBB120_725
; %bb.722:
	v_cmp_ne_u32_e32 vcc, 29, v4
	s_xor_b64 s[16:17], s[22:23], -1
	s_and_b64 s[16:17], s[16:17], vcc
	s_and_saveexec_b64 s[24:25], s[16:17]
	s_cbranch_execz .LBB120_724
; %bb.723:
	v_ashrrev_i32_e32 v5, 31, v4
	v_lshlrev_b64 v[10:11], 2, v[4:5]
	v_add_co_u32_e32 v10, vcc, v8, v10
	v_addc_co_u32_e32 v11, vcc, v9, v11, vcc
	global_load_dword v5, v[10:11], off
	global_load_dword v12, v[8:9], off offset:116
	s_waitcnt vmcnt(1)
	global_store_dword v[8:9], v5, off offset:116
	s_waitcnt vmcnt(1)
	global_store_dword v[10:11], v12, off
.LBB120_724:
	s_or_b64 exec, exec, s[24:25]
	v_mov_b32_e32 v43, v4
	v_mov_b32_e32 v42, v4
.LBB120_725:
	s_or_b64 exec, exec, s[18:19]
.LBB120_726:
	s_andn2_saveexec_b64 s[4:5], s[4:5]
	s_cbranch_execz .LBB120_728
; %bb.727:
	v_mov_b32_e32 v11, s56
	buffer_load_dword v4, v11, s[0:3], 0 offen
	buffer_load_dword v5, v11, s[0:3], 0 offen offset:4
	buffer_load_dword v10, v11, s[0:3], 0 offen offset:8
	s_nop 0
	buffer_load_dword v11, v11, s[0:3], 0 offen offset:12
	v_mov_b32_e32 v43, 29
	s_waitcnt vmcnt(0)
	ds_write2_b64 v40, v[4:5], v[10:11] offset0:60 offset1:61
	v_mov_b32_e32 v11, s55
	buffer_load_dword v4, v11, s[0:3], 0 offen
	buffer_load_dword v5, v11, s[0:3], 0 offen offset:4
	buffer_load_dword v10, v11, s[0:3], 0 offen offset:8
	s_nop 0
	buffer_load_dword v11, v11, s[0:3], 0 offen offset:12
	s_waitcnt vmcnt(0)
	ds_write2_b64 v40, v[4:5], v[10:11] offset0:62 offset1:63
	v_mov_b32_e32 v11, s54
	buffer_load_dword v4, v11, s[0:3], 0 offen
	buffer_load_dword v5, v11, s[0:3], 0 offen offset:4
	buffer_load_dword v10, v11, s[0:3], 0 offen offset:8
	s_nop 0
	buffer_load_dword v11, v11, s[0:3], 0 offen offset:12
	;; [unrolled: 8-line block ×30, first 2 shown]
	s_waitcnt vmcnt(0)
	ds_write2_b64 v40, v[4:5], v[10:11] offset0:120 offset1:121
.LBB120_728:
	s_or_b64 exec, exec, s[4:5]
	v_cmp_lt_i32_e32 vcc, 29, v43
	s_waitcnt vmcnt(0) lgkmcnt(0)
	s_barrier
	s_and_saveexec_b64 s[4:5], vcc
	s_cbranch_execz .LBB120_733
; %bb.729:
	buffer_load_dword v4, off, s[0:3], 0 offset:472
	buffer_load_dword v5, off, s[0:3], 0 offset:476
	;; [unrolled: 1-line block ×4, first 2 shown]
	s_mov_b32 s16, 0
	s_waitcnt vmcnt(2)
	v_mul_f64 v[12:13], v[2:3], v[4:5]
	v_mul_f64 v[4:5], v[0:1], v[4:5]
	s_waitcnt vmcnt(0)
	v_fma_f64 v[0:1], v[0:1], v[10:11], -v[12:13]
	v_fma_f64 v[2:3], v[2:3], v[10:11], v[4:5]
	v_add_u32_e32 v4, 0x1e0, v40
	buffer_store_dword v0, off, s[0:3], 0 offset:464
	buffer_store_dword v1, off, s[0:3], 0 offset:468
	;; [unrolled: 1-line block ×4, first 2 shown]
	s_branch .LBB120_731
.LBB120_730:                            ;   in Loop: Header=BB120_731 Depth=1
	s_andn2_b64 vcc, exec, s[18:19]
	s_cbranch_vccz .LBB120_733
.LBB120_731:                            ; =>This Inner Loop Header: Depth=1
	v_mov_b32_e32 v52, s16
	buffer_load_dword v22, v52, s[0:3], 0 offen offset:480
	buffer_load_dword v23, v52, s[0:3], 0 offen offset:484
	;; [unrolled: 1-line block ×12, first 2 shown]
	v_add_u32_e32 v5, s16, v4
	ds_read2_b64 v[10:13], v5 offset1:1
	ds_read2_b64 v[14:17], v5 offset0:2 offset1:3
	ds_read2_b64 v[18:21], v5 offset0:4 offset1:5
	s_mov_b32 s17, s16
	s_cmpk_eq_i32 s16, 0x1c0
	s_waitcnt lgkmcnt(2)
	v_mul_f64 v[34:35], v[12:13], v[2:3]
	v_mul_f64 v[36:37], v[10:11], v[2:3]
	s_waitcnt lgkmcnt(1)
	v_mul_f64 v[44:45], v[16:17], v[2:3]
	v_mul_f64 v[46:47], v[14:15], v[2:3]
	;; [unrolled: 3-line block ×3, first 2 shown]
	s_mov_b64 s[18:19], -1
	v_fma_f64 v[10:11], v[10:11], v[0:1], -v[34:35]
	v_fma_f64 v[12:13], v[12:13], v[0:1], v[36:37]
	v_fma_f64 v[14:15], v[14:15], v[0:1], -v[44:45]
	v_fma_f64 v[16:17], v[16:17], v[0:1], v[46:47]
	;; [unrolled: 2-line block ×3, first 2 shown]
	s_waitcnt vmcnt(10)
	v_add_f64 v[10:11], v[22:23], -v[10:11]
	s_waitcnt vmcnt(8)
	v_add_f64 v[12:13], v[24:25], -v[12:13]
	;; [unrolled: 2-line block ×6, first 2 shown]
	buffer_store_dword v10, v52, s[0:3], 0 offen offset:480
	buffer_store_dword v11, v52, s[0:3], 0 offen offset:484
	;; [unrolled: 1-line block ×12, first 2 shown]
	s_cbranch_scc1 .LBB120_730
; %bb.732:                              ;   in Loop: Header=BB120_731 Depth=1
	v_mov_b32_e32 v22, s17
	buffer_load_dword v14, v22, s[0:3], 0 offen offset:528
	buffer_load_dword v15, v22, s[0:3], 0 offen offset:532
	;; [unrolled: 1-line block ×4, first 2 shown]
	ds_read2_b64 v[10:13], v5 offset0:6 offset1:7
	s_add_i32 s16, s16, 64
	s_mov_b64 s[18:19], 0
	s_waitcnt lgkmcnt(0)
	v_mul_f64 v[18:19], v[12:13], v[2:3]
	v_mul_f64 v[20:21], v[10:11], v[2:3]
	v_fma_f64 v[10:11], v[10:11], v[0:1], -v[18:19]
	v_fma_f64 v[12:13], v[12:13], v[0:1], v[20:21]
	s_waitcnt vmcnt(2)
	v_add_f64 v[10:11], v[14:15], -v[10:11]
	s_waitcnt vmcnt(0)
	v_add_f64 v[12:13], v[16:17], -v[12:13]
	buffer_store_dword v10, v22, s[0:3], 0 offen offset:528
	buffer_store_dword v11, v22, s[0:3], 0 offen offset:532
	buffer_store_dword v12, v22, s[0:3], 0 offen offset:536
	buffer_store_dword v13, v22, s[0:3], 0 offen offset:540
	s_branch .LBB120_730
.LBB120_733:
	s_or_b64 exec, exec, s[4:5]
	v_mov_b32_e32 v3, s56
	s_waitcnt vmcnt(0)
	s_barrier
	buffer_load_dword v0, v3, s[0:3], 0 offen
	buffer_load_dword v1, v3, s[0:3], 0 offen offset:4
	buffer_load_dword v2, v3, s[0:3], 0 offen offset:8
	s_nop 0
	buffer_load_dword v3, v3, s[0:3], 0 offen offset:12
	v_lshl_add_u32 v4, v43, 4, v40
	s_cmp_lt_i32 s64, 32
	s_waitcnt vmcnt(0)
	ds_write2_b64 v4, v[0:1], v[2:3] offset1:1
	s_waitcnt lgkmcnt(0)
	s_barrier
	ds_read2_b64 v[0:3], v40 offset0:60 offset1:61
	v_mov_b32_e32 v4, 30
	s_cbranch_scc1 .LBB120_736
; %bb.734:
	v_add_u32_e32 v5, 0x1f0, v40
	s_mov_b32 s16, 31
	v_mov_b32_e32 v4, 30
.LBB120_735:                            ; =>This Inner Loop Header: Depth=1
	s_waitcnt lgkmcnt(0)
	v_cmp_gt_f64_e32 vcc, 0, v[2:3]
	v_cmp_gt_f64_e64 s[4:5], 0, v[0:1]
	ds_read2_b64 v[10:13], v5 offset1:1
	v_xor_b32_e32 v15, 0x80000000, v1
	v_xor_b32_e32 v17, 0x80000000, v3
	v_mov_b32_e32 v14, v0
	v_mov_b32_e32 v16, v2
	s_waitcnt lgkmcnt(0)
	v_xor_b32_e32 v19, 0x80000000, v13
	v_cndmask_b32_e32 v17, v3, v17, vcc
	v_cndmask_b32_e64 v15, v1, v15, s[4:5]
	v_cmp_gt_f64_e32 vcc, 0, v[12:13]
	v_cmp_gt_f64_e64 s[4:5], 0, v[10:11]
	v_add_f64 v[14:15], v[14:15], v[16:17]
	v_xor_b32_e32 v17, 0x80000000, v11
	v_mov_b32_e32 v16, v10
	v_mov_b32_e32 v18, v12
	v_add_u32_e32 v5, 16, v5
	v_cndmask_b32_e32 v19, v13, v19, vcc
	v_cndmask_b32_e64 v17, v11, v17, s[4:5]
	v_add_f64 v[16:17], v[16:17], v[18:19]
	v_mov_b32_e32 v18, s16
	s_add_i32 s16, s16, 1
	s_cmp_lg_u32 s64, s16
	v_cmp_lt_f64_e32 vcc, v[14:15], v[16:17]
	v_cndmask_b32_e32 v1, v1, v11, vcc
	v_cndmask_b32_e32 v0, v0, v10, vcc
	v_cndmask_b32_e32 v3, v3, v13, vcc
	v_cndmask_b32_e32 v2, v2, v12, vcc
	v_cndmask_b32_e32 v4, v4, v18, vcc
	s_cbranch_scc1 .LBB120_735
.LBB120_736:
	s_waitcnt lgkmcnt(0)
	v_cmp_eq_f64_e32 vcc, 0, v[0:1]
	v_cmp_eq_f64_e64 s[4:5], 0, v[2:3]
	s_and_b64 s[4:5], vcc, s[4:5]
	s_and_saveexec_b64 s[16:17], s[4:5]
	s_xor_b64 s[4:5], exec, s[16:17]
; %bb.737:
	v_cmp_ne_u32_e32 vcc, 0, v41
	v_cndmask_b32_e32 v41, 31, v41, vcc
; %bb.738:
	s_andn2_saveexec_b64 s[4:5], s[4:5]
	s_cbranch_execz .LBB120_744
; %bb.739:
	v_cmp_ngt_f64_e64 s[16:17], |v[0:1]|, |v[2:3]|
	s_and_saveexec_b64 s[18:19], s[16:17]
	s_xor_b64 s[18:19], exec, s[18:19]
	s_cbranch_execz .LBB120_741
; %bb.740:
	v_div_scale_f64 v[10:11], s[16:17], v[2:3], v[2:3], v[0:1]
	v_rcp_f64_e32 v[12:13], v[10:11]
	v_fma_f64 v[14:15], -v[10:11], v[12:13], 1.0
	v_fma_f64 v[12:13], v[12:13], v[14:15], v[12:13]
	v_div_scale_f64 v[14:15], vcc, v[0:1], v[2:3], v[0:1]
	v_fma_f64 v[16:17], -v[10:11], v[12:13], 1.0
	v_fma_f64 v[12:13], v[12:13], v[16:17], v[12:13]
	v_mul_f64 v[16:17], v[14:15], v[12:13]
	v_fma_f64 v[10:11], -v[10:11], v[16:17], v[14:15]
	v_div_fmas_f64 v[10:11], v[10:11], v[12:13], v[16:17]
	v_div_fixup_f64 v[10:11], v[10:11], v[2:3], v[0:1]
	v_fma_f64 v[0:1], v[0:1], v[10:11], v[2:3]
	v_div_scale_f64 v[2:3], s[16:17], v[0:1], v[0:1], 1.0
	v_div_scale_f64 v[16:17], vcc, 1.0, v[0:1], 1.0
	v_rcp_f64_e32 v[12:13], v[2:3]
	v_fma_f64 v[14:15], -v[2:3], v[12:13], 1.0
	v_fma_f64 v[12:13], v[12:13], v[14:15], v[12:13]
	v_fma_f64 v[14:15], -v[2:3], v[12:13], 1.0
	v_fma_f64 v[12:13], v[12:13], v[14:15], v[12:13]
	v_mul_f64 v[14:15], v[16:17], v[12:13]
	v_fma_f64 v[2:3], -v[2:3], v[14:15], v[16:17]
	v_div_fmas_f64 v[2:3], v[2:3], v[12:13], v[14:15]
	v_div_fixup_f64 v[2:3], v[2:3], v[0:1], 1.0
	v_mul_f64 v[0:1], v[10:11], v[2:3]
	v_xor_b32_e32 v3, 0x80000000, v3
.LBB120_741:
	s_andn2_saveexec_b64 s[18:19], s[18:19]
	s_cbranch_execz .LBB120_743
; %bb.742:
	v_div_scale_f64 v[10:11], s[16:17], v[0:1], v[0:1], v[2:3]
	v_rcp_f64_e32 v[12:13], v[10:11]
	v_fma_f64 v[14:15], -v[10:11], v[12:13], 1.0
	v_fma_f64 v[12:13], v[12:13], v[14:15], v[12:13]
	v_div_scale_f64 v[14:15], vcc, v[2:3], v[0:1], v[2:3]
	v_fma_f64 v[16:17], -v[10:11], v[12:13], 1.0
	v_fma_f64 v[12:13], v[12:13], v[16:17], v[12:13]
	v_mul_f64 v[16:17], v[14:15], v[12:13]
	v_fma_f64 v[10:11], -v[10:11], v[16:17], v[14:15]
	v_div_fmas_f64 v[10:11], v[10:11], v[12:13], v[16:17]
	v_div_fixup_f64 v[10:11], v[10:11], v[0:1], v[2:3]
	v_fma_f64 v[0:1], v[2:3], v[10:11], v[0:1]
	v_div_scale_f64 v[2:3], s[16:17], v[0:1], v[0:1], 1.0
	v_div_scale_f64 v[16:17], vcc, 1.0, v[0:1], 1.0
	v_rcp_f64_e32 v[12:13], v[2:3]
	v_fma_f64 v[14:15], -v[2:3], v[12:13], 1.0
	v_fma_f64 v[12:13], v[12:13], v[14:15], v[12:13]
	v_fma_f64 v[14:15], -v[2:3], v[12:13], 1.0
	v_fma_f64 v[12:13], v[12:13], v[14:15], v[12:13]
	v_mul_f64 v[14:15], v[16:17], v[12:13]
	v_fma_f64 v[2:3], -v[2:3], v[14:15], v[16:17]
	v_div_fmas_f64 v[2:3], v[2:3], v[12:13], v[14:15]
	v_div_fixup_f64 v[0:1], v[2:3], v[0:1], 1.0
	v_mul_f64 v[2:3], v[10:11], -v[0:1]
.LBB120_743:
	s_or_b64 exec, exec, s[18:19]
.LBB120_744:
	s_or_b64 exec, exec, s[4:5]
	v_cmp_ne_u32_e32 vcc, v43, v4
	s_and_saveexec_b64 s[4:5], vcc
	s_xor_b64 s[4:5], exec, s[4:5]
	s_cbranch_execz .LBB120_750
; %bb.745:
	v_cmp_eq_u32_e32 vcc, 30, v43
	s_and_saveexec_b64 s[18:19], vcc
	s_cbranch_execz .LBB120_749
; %bb.746:
	v_cmp_ne_u32_e32 vcc, 30, v4
	s_xor_b64 s[16:17], s[22:23], -1
	s_and_b64 s[16:17], s[16:17], vcc
	s_and_saveexec_b64 s[24:25], s[16:17]
	s_cbranch_execz .LBB120_748
; %bb.747:
	v_ashrrev_i32_e32 v5, 31, v4
	v_lshlrev_b64 v[10:11], 2, v[4:5]
	v_add_co_u32_e32 v10, vcc, v8, v10
	v_addc_co_u32_e32 v11, vcc, v9, v11, vcc
	global_load_dword v5, v[10:11], off
	global_load_dword v12, v[8:9], off offset:120
	s_waitcnt vmcnt(1)
	global_store_dword v[8:9], v5, off offset:120
	s_waitcnt vmcnt(1)
	global_store_dword v[10:11], v12, off
.LBB120_748:
	s_or_b64 exec, exec, s[24:25]
	v_mov_b32_e32 v43, v4
	v_mov_b32_e32 v42, v4
.LBB120_749:
	s_or_b64 exec, exec, s[18:19]
.LBB120_750:
	s_andn2_saveexec_b64 s[4:5], s[4:5]
	s_cbranch_execz .LBB120_752
; %bb.751:
	v_mov_b32_e32 v11, s55
	buffer_load_dword v4, v11, s[0:3], 0 offen
	buffer_load_dword v5, v11, s[0:3], 0 offen offset:4
	buffer_load_dword v10, v11, s[0:3], 0 offen offset:8
	s_nop 0
	buffer_load_dword v11, v11, s[0:3], 0 offen offset:12
	v_mov_b32_e32 v43, 30
	s_waitcnt vmcnt(0)
	ds_write2_b64 v40, v[4:5], v[10:11] offset0:62 offset1:63
	v_mov_b32_e32 v11, s54
	buffer_load_dword v4, v11, s[0:3], 0 offen
	buffer_load_dword v5, v11, s[0:3], 0 offen offset:4
	buffer_load_dword v10, v11, s[0:3], 0 offen offset:8
	s_nop 0
	buffer_load_dword v11, v11, s[0:3], 0 offen offset:12
	s_waitcnt vmcnt(0)
	ds_write2_b64 v40, v[4:5], v[10:11] offset0:64 offset1:65
	v_mov_b32_e32 v11, s53
	buffer_load_dword v4, v11, s[0:3], 0 offen
	buffer_load_dword v5, v11, s[0:3], 0 offen offset:4
	buffer_load_dword v10, v11, s[0:3], 0 offen offset:8
	s_nop 0
	buffer_load_dword v11, v11, s[0:3], 0 offen offset:12
	;; [unrolled: 8-line block ×29, first 2 shown]
	s_waitcnt vmcnt(0)
	ds_write2_b64 v40, v[4:5], v[10:11] offset0:120 offset1:121
.LBB120_752:
	s_or_b64 exec, exec, s[4:5]
	v_cmp_lt_i32_e32 vcc, 30, v43
	s_waitcnt vmcnt(0) lgkmcnt(0)
	s_barrier
	s_and_saveexec_b64 s[4:5], vcc
	s_cbranch_execz .LBB120_755
; %bb.753:
	buffer_load_dword v4, off, s[0:3], 0 offset:488
	buffer_load_dword v5, off, s[0:3], 0 offset:492
	;; [unrolled: 1-line block ×4, first 2 shown]
	s_mov_b32 s18, 0
	s_waitcnt vmcnt(2)
	v_mul_f64 v[12:13], v[2:3], v[4:5]
	v_mul_f64 v[4:5], v[0:1], v[4:5]
	s_waitcnt vmcnt(0)
	v_fma_f64 v[0:1], v[0:1], v[10:11], -v[12:13]
	v_fma_f64 v[2:3], v[2:3], v[10:11], v[4:5]
	v_add_u32_e32 v4, 0x1f0, v40
	buffer_store_dword v0, off, s[0:3], 0 offset:480
	buffer_store_dword v1, off, s[0:3], 0 offset:484
	;; [unrolled: 1-line block ×4, first 2 shown]
.LBB120_754:                            ; =>This Inner Loop Header: Depth=1
	v_add_u32_e32 v5, s18, v4
	ds_read2_b64 v[10:13], v5 offset1:1
	v_mov_b32_e32 v30, s18
	s_addk_i32 s18, 0x60
	s_cmpk_lg_i32 s18, 0x1e0
	s_waitcnt lgkmcnt(0)
	v_mul_f64 v[14:15], v[12:13], v[2:3]
	v_fma_f64 v[14:15], v[10:11], v[0:1], -v[14:15]
	v_mul_f64 v[10:11], v[10:11], v[2:3]
	v_fma_f64 v[10:11], v[12:13], v[0:1], v[10:11]
	buffer_load_dword v12, v30, s[0:3], 0 offen offset:496
	buffer_load_dword v13, v30, s[0:3], 0 offen offset:500
	;; [unrolled: 1-line block ×16, first 2 shown]
	s_waitcnt vmcnt(14)
	v_add_f64 v[12:13], v[12:13], -v[14:15]
	s_waitcnt vmcnt(12)
	v_add_f64 v[10:11], v[16:17], -v[10:11]
	buffer_store_dword v12, v30, s[0:3], 0 offen offset:496
	buffer_store_dword v13, v30, s[0:3], 0 offen offset:500
	buffer_store_dword v10, v30, s[0:3], 0 offen offset:504
	buffer_store_dword v11, v30, s[0:3], 0 offen offset:508
	ds_read2_b64 v[10:13], v5 offset0:2 offset1:3
	s_waitcnt lgkmcnt(0)
	v_mul_f64 v[14:15], v[12:13], v[2:3]
	v_fma_f64 v[14:15], v[10:11], v[0:1], -v[14:15]
	v_mul_f64 v[10:11], v[10:11], v[2:3]
	v_fma_f64 v[10:11], v[12:13], v[0:1], v[10:11]
	s_waitcnt vmcnt(14)
	v_add_f64 v[12:13], v[18:19], -v[14:15]
	s_waitcnt vmcnt(12)
	v_add_f64 v[10:11], v[20:21], -v[10:11]
	buffer_store_dword v12, v30, s[0:3], 0 offen offset:512
	buffer_store_dword v13, v30, s[0:3], 0 offen offset:516
	buffer_store_dword v10, v30, s[0:3], 0 offen offset:520
	buffer_store_dword v11, v30, s[0:3], 0 offen offset:524
	ds_read2_b64 v[10:13], v5 offset0:4 offset1:5
	s_waitcnt lgkmcnt(0)
	v_mul_f64 v[14:15], v[12:13], v[2:3]
	v_fma_f64 v[14:15], v[10:11], v[0:1], -v[14:15]
	v_mul_f64 v[10:11], v[10:11], v[2:3]
	v_fma_f64 v[10:11], v[12:13], v[0:1], v[10:11]
	s_waitcnt vmcnt(14)
	v_add_f64 v[12:13], v[22:23], -v[14:15]
	s_waitcnt vmcnt(12)
	v_add_f64 v[10:11], v[24:25], -v[10:11]
	buffer_store_dword v12, v30, s[0:3], 0 offen offset:528
	buffer_store_dword v13, v30, s[0:3], 0 offen offset:532
	buffer_store_dword v10, v30, s[0:3], 0 offen offset:536
	buffer_store_dword v11, v30, s[0:3], 0 offen offset:540
	ds_read2_b64 v[10:13], v5 offset0:6 offset1:7
	s_waitcnt lgkmcnt(0)
	v_mul_f64 v[14:15], v[12:13], v[2:3]
	v_fma_f64 v[14:15], v[10:11], v[0:1], -v[14:15]
	v_mul_f64 v[10:11], v[10:11], v[2:3]
	v_fma_f64 v[10:11], v[12:13], v[0:1], v[10:11]
	s_waitcnt vmcnt(14)
	v_add_f64 v[12:13], v[26:27], -v[14:15]
	s_waitcnt vmcnt(12)
	v_add_f64 v[10:11], v[28:29], -v[10:11]
	buffer_store_dword v13, v30, s[0:3], 0 offen offset:548
	buffer_store_dword v12, v30, s[0:3], 0 offen offset:544
	buffer_store_dword v10, v30, s[0:3], 0 offen offset:552
	buffer_store_dword v11, v30, s[0:3], 0 offen offset:556
	ds_read2_b64 v[10:13], v5 offset0:8 offset1:9
	s_waitcnt lgkmcnt(0)
	v_mul_f64 v[14:15], v[12:13], v[2:3]
	v_fma_f64 v[14:15], v[10:11], v[0:1], -v[14:15]
	v_mul_f64 v[10:11], v[10:11], v[2:3]
	v_fma_f64 v[10:11], v[12:13], v[0:1], v[10:11]
	buffer_load_dword v12, v30, s[0:3], 0 offen offset:560
	buffer_load_dword v13, v30, s[0:3], 0 offen offset:564
	;; [unrolled: 1-line block ×4, first 2 shown]
	s_waitcnt vmcnt(2)
	v_add_f64 v[12:13], v[12:13], -v[14:15]
	s_waitcnt vmcnt(0)
	v_add_f64 v[10:11], v[16:17], -v[10:11]
	buffer_store_dword v13, v30, s[0:3], 0 offen offset:564
	buffer_store_dword v12, v30, s[0:3], 0 offen offset:560
	;; [unrolled: 1-line block ×4, first 2 shown]
	ds_read2_b64 v[10:13], v5 offset0:10 offset1:11
	s_waitcnt lgkmcnt(0)
	v_mul_f64 v[14:15], v[12:13], v[2:3]
	v_fma_f64 v[14:15], v[10:11], v[0:1], -v[14:15]
	v_mul_f64 v[10:11], v[10:11], v[2:3]
	v_fma_f64 v[10:11], v[12:13], v[0:1], v[10:11]
	buffer_load_dword v12, v30, s[0:3], 0 offen offset:576
	buffer_load_dword v13, v30, s[0:3], 0 offen offset:580
	;; [unrolled: 1-line block ×4, first 2 shown]
	s_waitcnt vmcnt(2)
	v_add_f64 v[12:13], v[12:13], -v[14:15]
	s_waitcnt vmcnt(0)
	v_add_f64 v[10:11], v[16:17], -v[10:11]
	buffer_store_dword v13, v30, s[0:3], 0 offen offset:580
	buffer_store_dword v12, v30, s[0:3], 0 offen offset:576
	;; [unrolled: 1-line block ×4, first 2 shown]
	s_cbranch_scc1 .LBB120_754
.LBB120_755:
	s_or_b64 exec, exec, s[4:5]
	v_mov_b32_e32 v3, s55
	s_waitcnt vmcnt(0)
	s_barrier
	buffer_load_dword v0, v3, s[0:3], 0 offen
	buffer_load_dword v1, v3, s[0:3], 0 offen offset:4
	buffer_load_dword v2, v3, s[0:3], 0 offen offset:8
	s_nop 0
	buffer_load_dword v3, v3, s[0:3], 0 offen offset:12
	v_lshl_add_u32 v4, v43, 4, v40
	s_cmp_lt_i32 s64, 33
	s_waitcnt vmcnt(0)
	ds_write2_b64 v4, v[0:1], v[2:3] offset1:1
	s_waitcnt lgkmcnt(0)
	s_barrier
	ds_read2_b64 v[0:3], v40 offset0:62 offset1:63
	v_mov_b32_e32 v4, 31
	s_cbranch_scc1 .LBB120_758
; %bb.756:
	v_add_u32_e32 v5, 0x200, v40
	s_mov_b32 s16, 32
	v_mov_b32_e32 v4, 31
.LBB120_757:                            ; =>This Inner Loop Header: Depth=1
	s_waitcnt lgkmcnt(0)
	v_cmp_gt_f64_e32 vcc, 0, v[2:3]
	v_cmp_gt_f64_e64 s[4:5], 0, v[0:1]
	ds_read2_b64 v[10:13], v5 offset1:1
	v_xor_b32_e32 v15, 0x80000000, v1
	v_xor_b32_e32 v17, 0x80000000, v3
	v_mov_b32_e32 v14, v0
	v_mov_b32_e32 v16, v2
	s_waitcnt lgkmcnt(0)
	v_xor_b32_e32 v19, 0x80000000, v13
	v_cndmask_b32_e32 v17, v3, v17, vcc
	v_cndmask_b32_e64 v15, v1, v15, s[4:5]
	v_cmp_gt_f64_e32 vcc, 0, v[12:13]
	v_cmp_gt_f64_e64 s[4:5], 0, v[10:11]
	v_add_f64 v[14:15], v[14:15], v[16:17]
	v_xor_b32_e32 v17, 0x80000000, v11
	v_mov_b32_e32 v16, v10
	v_mov_b32_e32 v18, v12
	v_add_u32_e32 v5, 16, v5
	v_cndmask_b32_e32 v19, v13, v19, vcc
	v_cndmask_b32_e64 v17, v11, v17, s[4:5]
	v_add_f64 v[16:17], v[16:17], v[18:19]
	v_mov_b32_e32 v18, s16
	s_add_i32 s16, s16, 1
	s_cmp_lg_u32 s64, s16
	v_cmp_lt_f64_e32 vcc, v[14:15], v[16:17]
	v_cndmask_b32_e32 v1, v1, v11, vcc
	v_cndmask_b32_e32 v0, v0, v10, vcc
	;; [unrolled: 1-line block ×5, first 2 shown]
	s_cbranch_scc1 .LBB120_757
.LBB120_758:
	s_waitcnt lgkmcnt(0)
	v_cmp_eq_f64_e32 vcc, 0, v[0:1]
	v_cmp_eq_f64_e64 s[4:5], 0, v[2:3]
	s_and_b64 s[4:5], vcc, s[4:5]
	s_and_saveexec_b64 s[16:17], s[4:5]
	s_xor_b64 s[4:5], exec, s[16:17]
; %bb.759:
	v_cmp_ne_u32_e32 vcc, 0, v41
	v_cndmask_b32_e32 v41, 32, v41, vcc
; %bb.760:
	s_andn2_saveexec_b64 s[4:5], s[4:5]
	s_cbranch_execz .LBB120_766
; %bb.761:
	v_cmp_ngt_f64_e64 s[16:17], |v[0:1]|, |v[2:3]|
	s_and_saveexec_b64 s[18:19], s[16:17]
	s_xor_b64 s[18:19], exec, s[18:19]
	s_cbranch_execz .LBB120_763
; %bb.762:
	v_div_scale_f64 v[10:11], s[16:17], v[2:3], v[2:3], v[0:1]
	v_rcp_f64_e32 v[12:13], v[10:11]
	v_fma_f64 v[14:15], -v[10:11], v[12:13], 1.0
	v_fma_f64 v[12:13], v[12:13], v[14:15], v[12:13]
	v_div_scale_f64 v[14:15], vcc, v[0:1], v[2:3], v[0:1]
	v_fma_f64 v[16:17], -v[10:11], v[12:13], 1.0
	v_fma_f64 v[12:13], v[12:13], v[16:17], v[12:13]
	v_mul_f64 v[16:17], v[14:15], v[12:13]
	v_fma_f64 v[10:11], -v[10:11], v[16:17], v[14:15]
	v_div_fmas_f64 v[10:11], v[10:11], v[12:13], v[16:17]
	v_div_fixup_f64 v[10:11], v[10:11], v[2:3], v[0:1]
	v_fma_f64 v[0:1], v[0:1], v[10:11], v[2:3]
	v_div_scale_f64 v[2:3], s[16:17], v[0:1], v[0:1], 1.0
	v_div_scale_f64 v[16:17], vcc, 1.0, v[0:1], 1.0
	v_rcp_f64_e32 v[12:13], v[2:3]
	v_fma_f64 v[14:15], -v[2:3], v[12:13], 1.0
	v_fma_f64 v[12:13], v[12:13], v[14:15], v[12:13]
	v_fma_f64 v[14:15], -v[2:3], v[12:13], 1.0
	v_fma_f64 v[12:13], v[12:13], v[14:15], v[12:13]
	v_mul_f64 v[14:15], v[16:17], v[12:13]
	v_fma_f64 v[2:3], -v[2:3], v[14:15], v[16:17]
	v_div_fmas_f64 v[2:3], v[2:3], v[12:13], v[14:15]
	v_div_fixup_f64 v[2:3], v[2:3], v[0:1], 1.0
	v_mul_f64 v[0:1], v[10:11], v[2:3]
	v_xor_b32_e32 v3, 0x80000000, v3
.LBB120_763:
	s_andn2_saveexec_b64 s[18:19], s[18:19]
	s_cbranch_execz .LBB120_765
; %bb.764:
	v_div_scale_f64 v[10:11], s[16:17], v[0:1], v[0:1], v[2:3]
	v_rcp_f64_e32 v[12:13], v[10:11]
	v_fma_f64 v[14:15], -v[10:11], v[12:13], 1.0
	v_fma_f64 v[12:13], v[12:13], v[14:15], v[12:13]
	v_div_scale_f64 v[14:15], vcc, v[2:3], v[0:1], v[2:3]
	v_fma_f64 v[16:17], -v[10:11], v[12:13], 1.0
	v_fma_f64 v[12:13], v[12:13], v[16:17], v[12:13]
	v_mul_f64 v[16:17], v[14:15], v[12:13]
	v_fma_f64 v[10:11], -v[10:11], v[16:17], v[14:15]
	v_div_fmas_f64 v[10:11], v[10:11], v[12:13], v[16:17]
	v_div_fixup_f64 v[10:11], v[10:11], v[0:1], v[2:3]
	v_fma_f64 v[0:1], v[2:3], v[10:11], v[0:1]
	v_div_scale_f64 v[2:3], s[16:17], v[0:1], v[0:1], 1.0
	v_div_scale_f64 v[16:17], vcc, 1.0, v[0:1], 1.0
	v_rcp_f64_e32 v[12:13], v[2:3]
	v_fma_f64 v[14:15], -v[2:3], v[12:13], 1.0
	v_fma_f64 v[12:13], v[12:13], v[14:15], v[12:13]
	v_fma_f64 v[14:15], -v[2:3], v[12:13], 1.0
	v_fma_f64 v[12:13], v[12:13], v[14:15], v[12:13]
	v_mul_f64 v[14:15], v[16:17], v[12:13]
	v_fma_f64 v[2:3], -v[2:3], v[14:15], v[16:17]
	v_div_fmas_f64 v[2:3], v[2:3], v[12:13], v[14:15]
	v_div_fixup_f64 v[0:1], v[2:3], v[0:1], 1.0
	v_mul_f64 v[2:3], v[10:11], -v[0:1]
.LBB120_765:
	s_or_b64 exec, exec, s[18:19]
.LBB120_766:
	s_or_b64 exec, exec, s[4:5]
	v_cmp_ne_u32_e32 vcc, v43, v4
	s_and_saveexec_b64 s[4:5], vcc
	s_xor_b64 s[4:5], exec, s[4:5]
	s_cbranch_execz .LBB120_772
; %bb.767:
	v_cmp_eq_u32_e32 vcc, 31, v43
	s_and_saveexec_b64 s[18:19], vcc
	s_cbranch_execz .LBB120_771
; %bb.768:
	v_cmp_ne_u32_e32 vcc, 31, v4
	s_xor_b64 s[16:17], s[22:23], -1
	s_and_b64 s[16:17], s[16:17], vcc
	s_and_saveexec_b64 s[24:25], s[16:17]
	s_cbranch_execz .LBB120_770
; %bb.769:
	v_ashrrev_i32_e32 v5, 31, v4
	v_lshlrev_b64 v[10:11], 2, v[4:5]
	v_add_co_u32_e32 v10, vcc, v8, v10
	v_addc_co_u32_e32 v11, vcc, v9, v11, vcc
	global_load_dword v5, v[10:11], off
	global_load_dword v12, v[8:9], off offset:124
	s_waitcnt vmcnt(1)
	global_store_dword v[8:9], v5, off offset:124
	s_waitcnt vmcnt(1)
	global_store_dword v[10:11], v12, off
.LBB120_770:
	s_or_b64 exec, exec, s[24:25]
	v_mov_b32_e32 v43, v4
	v_mov_b32_e32 v42, v4
.LBB120_771:
	s_or_b64 exec, exec, s[18:19]
.LBB120_772:
	s_andn2_saveexec_b64 s[4:5], s[4:5]
	s_cbranch_execz .LBB120_774
; %bb.773:
	v_mov_b32_e32 v11, s54
	buffer_load_dword v4, v11, s[0:3], 0 offen
	buffer_load_dword v5, v11, s[0:3], 0 offen offset:4
	buffer_load_dword v10, v11, s[0:3], 0 offen offset:8
	s_nop 0
	buffer_load_dword v11, v11, s[0:3], 0 offen offset:12
	v_mov_b32_e32 v43, 31
	s_waitcnt vmcnt(0)
	ds_write2_b64 v40, v[4:5], v[10:11] offset0:64 offset1:65
	v_mov_b32_e32 v11, s53
	buffer_load_dword v4, v11, s[0:3], 0 offen
	buffer_load_dword v5, v11, s[0:3], 0 offen offset:4
	buffer_load_dword v10, v11, s[0:3], 0 offen offset:8
	s_nop 0
	buffer_load_dword v11, v11, s[0:3], 0 offen offset:12
	s_waitcnt vmcnt(0)
	ds_write2_b64 v40, v[4:5], v[10:11] offset0:66 offset1:67
	v_mov_b32_e32 v11, s52
	buffer_load_dword v4, v11, s[0:3], 0 offen
	buffer_load_dword v5, v11, s[0:3], 0 offen offset:4
	buffer_load_dword v10, v11, s[0:3], 0 offen offset:8
	s_nop 0
	buffer_load_dword v11, v11, s[0:3], 0 offen offset:12
	;; [unrolled: 8-line block ×28, first 2 shown]
	s_waitcnt vmcnt(0)
	ds_write2_b64 v40, v[4:5], v[10:11] offset0:120 offset1:121
.LBB120_774:
	s_or_b64 exec, exec, s[4:5]
	v_cmp_lt_i32_e32 vcc, 31, v43
	s_waitcnt vmcnt(0) lgkmcnt(0)
	s_barrier
	s_and_saveexec_b64 s[4:5], vcc
	s_cbranch_execz .LBB120_776
; %bb.775:
	buffer_load_dword v10, off, s[0:3], 0 offset:496
	buffer_load_dword v11, off, s[0:3], 0 offset:500
	;; [unrolled: 1-line block ×16, first 2 shown]
	s_waitcnt vmcnt(12)
	v_mul_f64 v[4:5], v[2:3], v[12:13]
	v_fma_f64 v[4:5], v[0:1], v[10:11], -v[4:5]
	v_mul_f64 v[0:1], v[0:1], v[12:13]
	v_fma_f64 v[10:11], v[2:3], v[10:11], v[0:1]
	buffer_store_dword v4, off, s[0:3], 0 offset:496
	buffer_store_dword v5, off, s[0:3], 0 offset:500
	buffer_store_dword v10, off, s[0:3], 0 offset:504
	buffer_store_dword v11, off, s[0:3], 0 offset:508
	ds_read2_b64 v[0:3], v40 offset0:64 offset1:65
	s_waitcnt lgkmcnt(0)
	v_mul_f64 v[12:13], v[2:3], v[10:11]
	v_fma_f64 v[12:13], v[0:1], v[4:5], -v[12:13]
	v_mul_f64 v[0:1], v[0:1], v[10:11]
	v_fma_f64 v[0:1], v[2:3], v[4:5], v[0:1]
	s_waitcnt vmcnt(14)
	v_add_f64 v[2:3], v[14:15], -v[12:13]
	s_waitcnt vmcnt(12)
	v_add_f64 v[0:1], v[16:17], -v[0:1]
	buffer_store_dword v2, off, s[0:3], 0 offset:512
	buffer_store_dword v3, off, s[0:3], 0 offset:516
	buffer_store_dword v0, off, s[0:3], 0 offset:520
	buffer_store_dword v1, off, s[0:3], 0 offset:524
	ds_read2_b64 v[0:3], v40 offset0:66 offset1:67
	s_waitcnt lgkmcnt(0)
	v_mul_f64 v[12:13], v[2:3], v[10:11]
	v_fma_f64 v[12:13], v[0:1], v[4:5], -v[12:13]
	v_mul_f64 v[0:1], v[0:1], v[10:11]
	v_fma_f64 v[0:1], v[2:3], v[4:5], v[0:1]
	s_waitcnt vmcnt(14)
	v_add_f64 v[2:3], v[18:19], -v[12:13]
	s_waitcnt vmcnt(12)
	v_add_f64 v[0:1], v[20:21], -v[0:1]
	;; [unrolled: 14-line block ×3, first 2 shown]
	buffer_store_dword v3, off, s[0:3], 0 offset:548
	buffer_store_dword v2, off, s[0:3], 0 offset:544
	buffer_store_dword v0, off, s[0:3], 0 offset:552
	buffer_store_dword v1, off, s[0:3], 0 offset:556
	ds_read2_b64 v[0:3], v40 offset0:70 offset1:71
	s_waitcnt lgkmcnt(0)
	v_mul_f64 v[12:13], v[2:3], v[10:11]
	v_fma_f64 v[12:13], v[0:1], v[4:5], -v[12:13]
	v_mul_f64 v[0:1], v[0:1], v[10:11]
	v_fma_f64 v[0:1], v[2:3], v[4:5], v[0:1]
	buffer_load_dword v2, off, s[0:3], 0 offset:560
	buffer_load_dword v3, off, s[0:3], 0 offset:564
	buffer_load_dword v14, off, s[0:3], 0 offset:568
	buffer_load_dword v15, off, s[0:3], 0 offset:572
	s_waitcnt vmcnt(2)
	v_add_f64 v[2:3], v[2:3], -v[12:13]
	s_waitcnt vmcnt(0)
	v_add_f64 v[0:1], v[14:15], -v[0:1]
	buffer_store_dword v3, off, s[0:3], 0 offset:564
	buffer_store_dword v2, off, s[0:3], 0 offset:560
	buffer_store_dword v1, off, s[0:3], 0 offset:572
	buffer_store_dword v0, off, s[0:3], 0 offset:568
	ds_read2_b64 v[0:3], v40 offset0:72 offset1:73
	s_waitcnt lgkmcnt(0)
	v_mul_f64 v[12:13], v[2:3], v[10:11]
	v_fma_f64 v[12:13], v[0:1], v[4:5], -v[12:13]
	v_mul_f64 v[0:1], v[0:1], v[10:11]
	v_fma_f64 v[0:1], v[2:3], v[4:5], v[0:1]
	buffer_load_dword v2, off, s[0:3], 0 offset:576
	buffer_load_dword v3, off, s[0:3], 0 offset:580
	buffer_load_dword v14, off, s[0:3], 0 offset:584
	buffer_load_dword v15, off, s[0:3], 0 offset:588
	s_waitcnt vmcnt(2)
	v_add_f64 v[2:3], v[2:3], -v[12:13]
	s_waitcnt vmcnt(0)
	v_add_f64 v[0:1], v[14:15], -v[0:1]
	buffer_store_dword v3, off, s[0:3], 0 offset:580
	buffer_store_dword v2, off, s[0:3], 0 offset:576
	buffer_store_dword v1, off, s[0:3], 0 offset:588
	buffer_store_dword v0, off, s[0:3], 0 offset:584
	ds_read2_b64 v[0:3], v40 offset0:74 offset1:75
	s_waitcnt lgkmcnt(0)
	v_mul_f64 v[12:13], v[2:3], v[10:11]
	v_fma_f64 v[12:13], v[0:1], v[4:5], -v[12:13]
	v_mul_f64 v[0:1], v[0:1], v[10:11]
	v_fma_f64 v[0:1], v[2:3], v[4:5], v[0:1]
	buffer_load_dword v2, off, s[0:3], 0 offset:592
	buffer_load_dword v3, off, s[0:3], 0 offset:596
	buffer_load_dword v4, off, s[0:3], 0 offset:600
	buffer_load_dword v5, off, s[0:3], 0 offset:604
	s_waitcnt vmcnt(2)
	v_add_f64 v[2:3], v[2:3], -v[12:13]
	s_waitcnt vmcnt(0)
	v_add_f64 v[0:1], v[4:5], -v[0:1]
	buffer_store_dword v3, off, s[0:3], 0 offset:596
	buffer_store_dword v2, off, s[0:3], 0 offset:592
	;; [unrolled: 1-line block ×4, first 2 shown]
	ds_read2_b64 v[2:5], v40 offset0:76 offset1:77
	buffer_load_dword v0, off, s[0:3], 0 offset:496
	buffer_load_dword v1, off, s[0:3], 0 offset:500
	;; [unrolled: 1-line block ×4, first 2 shown]
	s_waitcnt vmcnt(0) lgkmcnt(0)
	v_mul_f64 v[12:13], v[4:5], v[10:11]
	v_fma_f64 v[12:13], v[2:3], v[0:1], -v[12:13]
	v_mul_f64 v[2:3], v[2:3], v[10:11]
	v_fma_f64 v[2:3], v[4:5], v[0:1], v[2:3]
	buffer_load_dword v5, off, s[0:3], 0 offset:612
	buffer_load_dword v4, off, s[0:3], 0 offset:608
	s_waitcnt vmcnt(0)
	v_add_f64 v[4:5], v[4:5], -v[12:13]
	buffer_load_dword v13, off, s[0:3], 0 offset:620
	buffer_load_dword v12, off, s[0:3], 0 offset:616
	s_waitcnt vmcnt(0)
	v_add_f64 v[2:3], v[12:13], -v[2:3]
	buffer_store_dword v5, off, s[0:3], 0 offset:612
	buffer_store_dword v4, off, s[0:3], 0 offset:608
	buffer_store_dword v3, off, s[0:3], 0 offset:620
	buffer_store_dword v2, off, s[0:3], 0 offset:616
	ds_read2_b64 v[2:5], v40 offset0:78 offset1:79
	s_waitcnt lgkmcnt(0)
	v_mul_f64 v[12:13], v[4:5], v[10:11]
	v_fma_f64 v[12:13], v[2:3], v[0:1], -v[12:13]
	v_mul_f64 v[2:3], v[2:3], v[10:11]
	v_fma_f64 v[2:3], v[4:5], v[0:1], v[2:3]
	buffer_load_dword v4, off, s[0:3], 0 offset:624
	buffer_load_dword v5, off, s[0:3], 0 offset:628
	buffer_load_dword v14, off, s[0:3], 0 offset:632
	buffer_load_dword v15, off, s[0:3], 0 offset:636
	s_waitcnt vmcnt(2)
	v_add_f64 v[4:5], v[4:5], -v[12:13]
	s_waitcnt vmcnt(0)
	v_add_f64 v[2:3], v[14:15], -v[2:3]
	buffer_store_dword v5, off, s[0:3], 0 offset:628
	buffer_store_dword v4, off, s[0:3], 0 offset:624
	buffer_store_dword v3, off, s[0:3], 0 offset:636
	buffer_store_dword v2, off, s[0:3], 0 offset:632
	ds_read2_b64 v[2:5], v40 offset0:80 offset1:81
	s_waitcnt lgkmcnt(0)
	v_mul_f64 v[12:13], v[4:5], v[10:11]
	v_fma_f64 v[12:13], v[2:3], v[0:1], -v[12:13]
	v_mul_f64 v[2:3], v[2:3], v[10:11]
	v_fma_f64 v[2:3], v[4:5], v[0:1], v[2:3]
	buffer_load_dword v4, off, s[0:3], 0 offset:640
	buffer_load_dword v5, off, s[0:3], 0 offset:644
	buffer_load_dword v14, off, s[0:3], 0 offset:648
	buffer_load_dword v15, off, s[0:3], 0 offset:652
	s_waitcnt vmcnt(2)
	v_add_f64 v[4:5], v[4:5], -v[12:13]
	;; [unrolled: 18-line block ×5, first 2 shown]
	s_waitcnt vmcnt(0)
	v_add_f64 v[0:1], v[4:5], -v[0:1]
	buffer_store_dword v3, off, s[0:3], 0 offset:692
	buffer_store_dword v2, off, s[0:3], 0 offset:688
	;; [unrolled: 1-line block ×4, first 2 shown]
	ds_read2_b64 v[0:3], v40 offset0:88 offset1:89
	buffer_load_dword v4, off, s[0:3], 0 offset:496
	buffer_load_dword v5, off, s[0:3], 0 offset:500
	;; [unrolled: 1-line block ×4, first 2 shown]
	s_waitcnt vmcnt(0) lgkmcnt(0)
	v_mul_f64 v[12:13], v[2:3], v[10:11]
	v_fma_f64 v[12:13], v[0:1], v[4:5], -v[12:13]
	v_mul_f64 v[0:1], v[0:1], v[10:11]
	v_fma_f64 v[0:1], v[2:3], v[4:5], v[0:1]
	buffer_load_dword v3, off, s[0:3], 0 offset:708
	buffer_load_dword v2, off, s[0:3], 0 offset:704
	s_waitcnt vmcnt(0)
	v_add_f64 v[2:3], v[2:3], -v[12:13]
	buffer_load_dword v13, off, s[0:3], 0 offset:716
	buffer_load_dword v12, off, s[0:3], 0 offset:712
	s_waitcnt vmcnt(0)
	v_add_f64 v[0:1], v[12:13], -v[0:1]
	buffer_store_dword v3, off, s[0:3], 0 offset:708
	buffer_store_dword v2, off, s[0:3], 0 offset:704
	buffer_store_dword v1, off, s[0:3], 0 offset:716
	buffer_store_dword v0, off, s[0:3], 0 offset:712
	ds_read2_b64 v[0:3], v40 offset0:90 offset1:91
	s_waitcnt lgkmcnt(0)
	v_mul_f64 v[12:13], v[2:3], v[10:11]
	v_fma_f64 v[12:13], v[0:1], v[4:5], -v[12:13]
	v_mul_f64 v[0:1], v[0:1], v[10:11]
	v_fma_f64 v[0:1], v[2:3], v[4:5], v[0:1]
	buffer_load_dword v2, off, s[0:3], 0 offset:720
	buffer_load_dword v3, off, s[0:3], 0 offset:724
	buffer_load_dword v14, off, s[0:3], 0 offset:728
	buffer_load_dword v15, off, s[0:3], 0 offset:732
	s_waitcnt vmcnt(2)
	v_add_f64 v[2:3], v[2:3], -v[12:13]
	s_waitcnt vmcnt(0)
	v_add_f64 v[0:1], v[14:15], -v[0:1]
	buffer_store_dword v3, off, s[0:3], 0 offset:724
	buffer_store_dword v2, off, s[0:3], 0 offset:720
	buffer_store_dword v1, off, s[0:3], 0 offset:732
	buffer_store_dword v0, off, s[0:3], 0 offset:728
	ds_read2_b64 v[0:3], v40 offset0:92 offset1:93
	s_waitcnt lgkmcnt(0)
	v_mul_f64 v[12:13], v[2:3], v[10:11]
	v_fma_f64 v[12:13], v[0:1], v[4:5], -v[12:13]
	v_mul_f64 v[0:1], v[0:1], v[10:11]
	v_fma_f64 v[0:1], v[2:3], v[4:5], v[0:1]
	buffer_load_dword v2, off, s[0:3], 0 offset:736
	buffer_load_dword v3, off, s[0:3], 0 offset:740
	buffer_load_dword v14, off, s[0:3], 0 offset:744
	buffer_load_dword v15, off, s[0:3], 0 offset:748
	s_waitcnt vmcnt(2)
	v_add_f64 v[2:3], v[2:3], -v[12:13]
	;; [unrolled: 18-line block ×5, first 2 shown]
	s_waitcnt vmcnt(0)
	v_add_f64 v[0:1], v[4:5], -v[0:1]
	buffer_store_dword v3, off, s[0:3], 0 offset:788
	buffer_store_dword v2, off, s[0:3], 0 offset:784
	;; [unrolled: 1-line block ×4, first 2 shown]
	ds_read2_b64 v[0:3], v40 offset0:100 offset1:101
	buffer_load_dword v4, off, s[0:3], 0 offset:496
	buffer_load_dword v5, off, s[0:3], 0 offset:500
	;; [unrolled: 1-line block ×4, first 2 shown]
	s_waitcnt vmcnt(0) lgkmcnt(0)
	v_mul_f64 v[12:13], v[2:3], v[10:11]
	v_fma_f64 v[12:13], v[0:1], v[4:5], -v[12:13]
	v_mul_f64 v[0:1], v[0:1], v[10:11]
	v_fma_f64 v[0:1], v[2:3], v[4:5], v[0:1]
	buffer_load_dword v3, off, s[0:3], 0 offset:804
	buffer_load_dword v2, off, s[0:3], 0 offset:800
	s_waitcnt vmcnt(0)
	v_add_f64 v[2:3], v[2:3], -v[12:13]
	buffer_load_dword v13, off, s[0:3], 0 offset:812
	buffer_load_dword v12, off, s[0:3], 0 offset:808
	s_waitcnt vmcnt(0)
	v_add_f64 v[0:1], v[12:13], -v[0:1]
	buffer_store_dword v3, off, s[0:3], 0 offset:804
	buffer_store_dword v2, off, s[0:3], 0 offset:800
	buffer_store_dword v1, off, s[0:3], 0 offset:812
	buffer_store_dword v0, off, s[0:3], 0 offset:808
	ds_read2_b64 v[0:3], v40 offset0:102 offset1:103
	s_waitcnt lgkmcnt(0)
	v_mul_f64 v[12:13], v[2:3], v[10:11]
	v_fma_f64 v[12:13], v[0:1], v[4:5], -v[12:13]
	v_mul_f64 v[0:1], v[0:1], v[10:11]
	v_fma_f64 v[0:1], v[2:3], v[4:5], v[0:1]
	buffer_load_dword v2, off, s[0:3], 0 offset:816
	buffer_load_dword v3, off, s[0:3], 0 offset:820
	buffer_load_dword v14, off, s[0:3], 0 offset:824
	buffer_load_dword v15, off, s[0:3], 0 offset:828
	s_waitcnt vmcnt(2)
	v_add_f64 v[2:3], v[2:3], -v[12:13]
	s_waitcnt vmcnt(0)
	v_add_f64 v[0:1], v[14:15], -v[0:1]
	buffer_store_dword v3, off, s[0:3], 0 offset:820
	buffer_store_dword v2, off, s[0:3], 0 offset:816
	buffer_store_dword v1, off, s[0:3], 0 offset:828
	buffer_store_dword v0, off, s[0:3], 0 offset:824
	ds_read2_b64 v[0:3], v40 offset0:104 offset1:105
	s_waitcnt lgkmcnt(0)
	v_mul_f64 v[12:13], v[2:3], v[10:11]
	v_fma_f64 v[12:13], v[0:1], v[4:5], -v[12:13]
	v_mul_f64 v[0:1], v[0:1], v[10:11]
	v_fma_f64 v[0:1], v[2:3], v[4:5], v[0:1]
	buffer_load_dword v2, off, s[0:3], 0 offset:832
	buffer_load_dword v3, off, s[0:3], 0 offset:836
	buffer_load_dword v14, off, s[0:3], 0 offset:840
	buffer_load_dword v15, off, s[0:3], 0 offset:844
	s_waitcnt vmcnt(2)
	v_add_f64 v[2:3], v[2:3], -v[12:13]
	;; [unrolled: 18-line block ×5, first 2 shown]
	s_waitcnt vmcnt(0)
	v_add_f64 v[0:1], v[4:5], -v[0:1]
	buffer_store_dword v3, off, s[0:3], 0 offset:884
	buffer_store_dword v2, off, s[0:3], 0 offset:880
	;; [unrolled: 1-line block ×4, first 2 shown]
	ds_read2_b64 v[0:3], v40 offset0:112 offset1:113
	buffer_load_dword v4, off, s[0:3], 0 offset:496
	buffer_load_dword v5, off, s[0:3], 0 offset:500
	;; [unrolled: 1-line block ×4, first 2 shown]
	s_waitcnt vmcnt(0) lgkmcnt(0)
	v_mul_f64 v[12:13], v[2:3], v[10:11]
	v_fma_f64 v[12:13], v[0:1], v[4:5], -v[12:13]
	v_mul_f64 v[0:1], v[0:1], v[10:11]
	v_fma_f64 v[0:1], v[2:3], v[4:5], v[0:1]
	buffer_load_dword v3, off, s[0:3], 0 offset:900
	buffer_load_dword v2, off, s[0:3], 0 offset:896
	s_waitcnt vmcnt(0)
	v_add_f64 v[2:3], v[2:3], -v[12:13]
	buffer_load_dword v13, off, s[0:3], 0 offset:908
	buffer_load_dword v12, off, s[0:3], 0 offset:904
	s_waitcnt vmcnt(0)
	v_add_f64 v[0:1], v[12:13], -v[0:1]
	buffer_store_dword v3, off, s[0:3], 0 offset:900
	buffer_store_dword v2, off, s[0:3], 0 offset:896
	buffer_store_dword v1, off, s[0:3], 0 offset:908
	buffer_store_dword v0, off, s[0:3], 0 offset:904
	ds_read2_b64 v[0:3], v40 offset0:114 offset1:115
	s_waitcnt lgkmcnt(0)
	v_mul_f64 v[12:13], v[2:3], v[10:11]
	v_fma_f64 v[12:13], v[0:1], v[4:5], -v[12:13]
	v_mul_f64 v[0:1], v[0:1], v[10:11]
	v_fma_f64 v[0:1], v[2:3], v[4:5], v[0:1]
	buffer_load_dword v2, off, s[0:3], 0 offset:912
	buffer_load_dword v3, off, s[0:3], 0 offset:916
	buffer_load_dword v14, off, s[0:3], 0 offset:920
	buffer_load_dword v15, off, s[0:3], 0 offset:924
	s_waitcnt vmcnt(2)
	v_add_f64 v[2:3], v[2:3], -v[12:13]
	s_waitcnt vmcnt(0)
	v_add_f64 v[0:1], v[14:15], -v[0:1]
	buffer_store_dword v3, off, s[0:3], 0 offset:916
	buffer_store_dword v2, off, s[0:3], 0 offset:912
	buffer_store_dword v1, off, s[0:3], 0 offset:924
	buffer_store_dword v0, off, s[0:3], 0 offset:920
	ds_read2_b64 v[0:3], v40 offset0:116 offset1:117
	s_waitcnt lgkmcnt(0)
	v_mul_f64 v[12:13], v[2:3], v[10:11]
	v_fma_f64 v[12:13], v[0:1], v[4:5], -v[12:13]
	v_mul_f64 v[0:1], v[0:1], v[10:11]
	v_fma_f64 v[0:1], v[2:3], v[4:5], v[0:1]
	buffer_load_dword v2, off, s[0:3], 0 offset:928
	buffer_load_dword v3, off, s[0:3], 0 offset:932
	buffer_load_dword v14, off, s[0:3], 0 offset:936
	buffer_load_dword v15, off, s[0:3], 0 offset:940
	s_waitcnt vmcnt(2)
	v_add_f64 v[2:3], v[2:3], -v[12:13]
	s_waitcnt vmcnt(0)
	v_add_f64 v[0:1], v[14:15], -v[0:1]
	buffer_store_dword v3, off, s[0:3], 0 offset:932
	buffer_store_dword v2, off, s[0:3], 0 offset:928
	buffer_store_dword v1, off, s[0:3], 0 offset:940
	buffer_store_dword v0, off, s[0:3], 0 offset:936
	ds_read2_b64 v[0:3], v40 offset0:118 offset1:119
	s_waitcnt lgkmcnt(0)
	v_mul_f64 v[12:13], v[2:3], v[10:11]
	v_fma_f64 v[12:13], v[0:1], v[4:5], -v[12:13]
	v_mul_f64 v[0:1], v[0:1], v[10:11]
	v_fma_f64 v[0:1], v[2:3], v[4:5], v[0:1]
	buffer_load_dword v2, off, s[0:3], 0 offset:944
	buffer_load_dword v3, off, s[0:3], 0 offset:948
	buffer_load_dword v14, off, s[0:3], 0 offset:952
	buffer_load_dword v15, off, s[0:3], 0 offset:956
	s_waitcnt vmcnt(2)
	v_add_f64 v[2:3], v[2:3], -v[12:13]
	s_waitcnt vmcnt(0)
	v_add_f64 v[0:1], v[14:15], -v[0:1]
	buffer_store_dword v3, off, s[0:3], 0 offset:948
	buffer_store_dword v2, off, s[0:3], 0 offset:944
	buffer_store_dword v1, off, s[0:3], 0 offset:956
	buffer_store_dword v0, off, s[0:3], 0 offset:952
	ds_read2_b64 v[0:3], v40 offset0:120 offset1:121
	s_waitcnt lgkmcnt(0)
	v_mul_f64 v[12:13], v[2:3], v[10:11]
	v_fma_f64 v[12:13], v[0:1], v[4:5], -v[12:13]
	v_mul_f64 v[0:1], v[0:1], v[10:11]
	v_fma_f64 v[0:1], v[2:3], v[4:5], v[0:1]
	buffer_load_dword v2, off, s[0:3], 0 offset:960
	buffer_load_dword v3, off, s[0:3], 0 offset:964
	buffer_load_dword v4, off, s[0:3], 0 offset:968
	buffer_load_dword v5, off, s[0:3], 0 offset:972
	s_waitcnt vmcnt(2)
	v_add_f64 v[2:3], v[2:3], -v[12:13]
	s_waitcnt vmcnt(0)
	v_add_f64 v[0:1], v[4:5], -v[0:1]
	buffer_store_dword v3, off, s[0:3], 0 offset:964
	buffer_store_dword v2, off, s[0:3], 0 offset:960
	;; [unrolled: 1-line block ×4, first 2 shown]
.LBB120_776:
	s_or_b64 exec, exec, s[4:5]
	v_mov_b32_e32 v3, s54
	s_waitcnt vmcnt(0)
	s_barrier
	buffer_load_dword v0, v3, s[0:3], 0 offen
	buffer_load_dword v1, v3, s[0:3], 0 offen offset:4
	buffer_load_dword v2, v3, s[0:3], 0 offen offset:8
	s_nop 0
	buffer_load_dword v3, v3, s[0:3], 0 offen offset:12
	v_lshl_add_u32 v4, v43, 4, v40
	s_cmp_lt_i32 s64, 34
	s_waitcnt vmcnt(0)
	ds_write2_b64 v4, v[0:1], v[2:3] offset1:1
	s_waitcnt lgkmcnt(0)
	s_barrier
	ds_read2_b64 v[0:3], v40 offset0:64 offset1:65
	v_mov_b32_e32 v4, 32
	s_cbranch_scc1 .LBB120_779
; %bb.777:
	v_add_u32_e32 v5, 0x210, v40
	s_mov_b32 s16, 33
	v_mov_b32_e32 v4, 32
.LBB120_778:                            ; =>This Inner Loop Header: Depth=1
	s_waitcnt lgkmcnt(0)
	v_cmp_gt_f64_e32 vcc, 0, v[2:3]
	v_cmp_gt_f64_e64 s[4:5], 0, v[0:1]
	ds_read2_b64 v[10:13], v5 offset1:1
	v_xor_b32_e32 v15, 0x80000000, v1
	v_xor_b32_e32 v17, 0x80000000, v3
	v_mov_b32_e32 v14, v0
	v_mov_b32_e32 v16, v2
	s_waitcnt lgkmcnt(0)
	v_xor_b32_e32 v19, 0x80000000, v13
	v_cndmask_b32_e32 v17, v3, v17, vcc
	v_cndmask_b32_e64 v15, v1, v15, s[4:5]
	v_cmp_gt_f64_e32 vcc, 0, v[12:13]
	v_cmp_gt_f64_e64 s[4:5], 0, v[10:11]
	v_add_f64 v[14:15], v[14:15], v[16:17]
	v_xor_b32_e32 v17, 0x80000000, v11
	v_mov_b32_e32 v16, v10
	v_mov_b32_e32 v18, v12
	v_add_u32_e32 v5, 16, v5
	v_cndmask_b32_e32 v19, v13, v19, vcc
	v_cndmask_b32_e64 v17, v11, v17, s[4:5]
	v_add_f64 v[16:17], v[16:17], v[18:19]
	v_mov_b32_e32 v18, s16
	s_add_i32 s16, s16, 1
	s_cmp_lg_u32 s64, s16
	v_cmp_lt_f64_e32 vcc, v[14:15], v[16:17]
	v_cndmask_b32_e32 v1, v1, v11, vcc
	v_cndmask_b32_e32 v0, v0, v10, vcc
	;; [unrolled: 1-line block ×5, first 2 shown]
	s_cbranch_scc1 .LBB120_778
.LBB120_779:
	s_waitcnt lgkmcnt(0)
	v_cmp_eq_f64_e32 vcc, 0, v[0:1]
	v_cmp_eq_f64_e64 s[4:5], 0, v[2:3]
	s_and_b64 s[4:5], vcc, s[4:5]
	s_and_saveexec_b64 s[16:17], s[4:5]
	s_xor_b64 s[4:5], exec, s[16:17]
; %bb.780:
	v_cmp_ne_u32_e32 vcc, 0, v41
	v_cndmask_b32_e32 v41, 33, v41, vcc
; %bb.781:
	s_andn2_saveexec_b64 s[4:5], s[4:5]
	s_cbranch_execz .LBB120_787
; %bb.782:
	v_cmp_ngt_f64_e64 s[16:17], |v[0:1]|, |v[2:3]|
	s_and_saveexec_b64 s[18:19], s[16:17]
	s_xor_b64 s[18:19], exec, s[18:19]
	s_cbranch_execz .LBB120_784
; %bb.783:
	v_div_scale_f64 v[10:11], s[16:17], v[2:3], v[2:3], v[0:1]
	v_rcp_f64_e32 v[12:13], v[10:11]
	v_fma_f64 v[14:15], -v[10:11], v[12:13], 1.0
	v_fma_f64 v[12:13], v[12:13], v[14:15], v[12:13]
	v_div_scale_f64 v[14:15], vcc, v[0:1], v[2:3], v[0:1]
	v_fma_f64 v[16:17], -v[10:11], v[12:13], 1.0
	v_fma_f64 v[12:13], v[12:13], v[16:17], v[12:13]
	v_mul_f64 v[16:17], v[14:15], v[12:13]
	v_fma_f64 v[10:11], -v[10:11], v[16:17], v[14:15]
	v_div_fmas_f64 v[10:11], v[10:11], v[12:13], v[16:17]
	v_div_fixup_f64 v[10:11], v[10:11], v[2:3], v[0:1]
	v_fma_f64 v[0:1], v[0:1], v[10:11], v[2:3]
	v_div_scale_f64 v[2:3], s[16:17], v[0:1], v[0:1], 1.0
	v_div_scale_f64 v[16:17], vcc, 1.0, v[0:1], 1.0
	v_rcp_f64_e32 v[12:13], v[2:3]
	v_fma_f64 v[14:15], -v[2:3], v[12:13], 1.0
	v_fma_f64 v[12:13], v[12:13], v[14:15], v[12:13]
	v_fma_f64 v[14:15], -v[2:3], v[12:13], 1.0
	v_fma_f64 v[12:13], v[12:13], v[14:15], v[12:13]
	v_mul_f64 v[14:15], v[16:17], v[12:13]
	v_fma_f64 v[2:3], -v[2:3], v[14:15], v[16:17]
	v_div_fmas_f64 v[2:3], v[2:3], v[12:13], v[14:15]
	v_div_fixup_f64 v[2:3], v[2:3], v[0:1], 1.0
	v_mul_f64 v[0:1], v[10:11], v[2:3]
	v_xor_b32_e32 v3, 0x80000000, v3
.LBB120_784:
	s_andn2_saveexec_b64 s[18:19], s[18:19]
	s_cbranch_execz .LBB120_786
; %bb.785:
	v_div_scale_f64 v[10:11], s[16:17], v[0:1], v[0:1], v[2:3]
	v_rcp_f64_e32 v[12:13], v[10:11]
	v_fma_f64 v[14:15], -v[10:11], v[12:13], 1.0
	v_fma_f64 v[12:13], v[12:13], v[14:15], v[12:13]
	v_div_scale_f64 v[14:15], vcc, v[2:3], v[0:1], v[2:3]
	v_fma_f64 v[16:17], -v[10:11], v[12:13], 1.0
	v_fma_f64 v[12:13], v[12:13], v[16:17], v[12:13]
	v_mul_f64 v[16:17], v[14:15], v[12:13]
	v_fma_f64 v[10:11], -v[10:11], v[16:17], v[14:15]
	v_div_fmas_f64 v[10:11], v[10:11], v[12:13], v[16:17]
	v_div_fixup_f64 v[10:11], v[10:11], v[0:1], v[2:3]
	v_fma_f64 v[0:1], v[2:3], v[10:11], v[0:1]
	v_div_scale_f64 v[2:3], s[16:17], v[0:1], v[0:1], 1.0
	v_div_scale_f64 v[16:17], vcc, 1.0, v[0:1], 1.0
	v_rcp_f64_e32 v[12:13], v[2:3]
	v_fma_f64 v[14:15], -v[2:3], v[12:13], 1.0
	v_fma_f64 v[12:13], v[12:13], v[14:15], v[12:13]
	v_fma_f64 v[14:15], -v[2:3], v[12:13], 1.0
	v_fma_f64 v[12:13], v[12:13], v[14:15], v[12:13]
	v_mul_f64 v[14:15], v[16:17], v[12:13]
	v_fma_f64 v[2:3], -v[2:3], v[14:15], v[16:17]
	v_div_fmas_f64 v[2:3], v[2:3], v[12:13], v[14:15]
	v_div_fixup_f64 v[0:1], v[2:3], v[0:1], 1.0
	v_mul_f64 v[2:3], v[10:11], -v[0:1]
.LBB120_786:
	s_or_b64 exec, exec, s[18:19]
.LBB120_787:
	s_or_b64 exec, exec, s[4:5]
	v_cmp_ne_u32_e32 vcc, v43, v4
	s_and_saveexec_b64 s[4:5], vcc
	s_xor_b64 s[4:5], exec, s[4:5]
	s_cbranch_execz .LBB120_793
; %bb.788:
	v_cmp_eq_u32_e32 vcc, 32, v43
	s_and_saveexec_b64 s[18:19], vcc
	s_cbranch_execz .LBB120_792
; %bb.789:
	v_cmp_ne_u32_e32 vcc, 32, v4
	s_xor_b64 s[16:17], s[22:23], -1
	s_and_b64 s[16:17], s[16:17], vcc
	s_and_saveexec_b64 s[24:25], s[16:17]
	s_cbranch_execz .LBB120_791
; %bb.790:
	v_ashrrev_i32_e32 v5, 31, v4
	v_lshlrev_b64 v[10:11], 2, v[4:5]
	v_add_co_u32_e32 v10, vcc, v8, v10
	v_addc_co_u32_e32 v11, vcc, v9, v11, vcc
	global_load_dword v5, v[10:11], off
	global_load_dword v12, v[8:9], off offset:128
	s_waitcnt vmcnt(1)
	global_store_dword v[8:9], v5, off offset:128
	s_waitcnt vmcnt(1)
	global_store_dword v[10:11], v12, off
.LBB120_791:
	s_or_b64 exec, exec, s[24:25]
	v_mov_b32_e32 v43, v4
	v_mov_b32_e32 v42, v4
.LBB120_792:
	s_or_b64 exec, exec, s[18:19]
.LBB120_793:
	s_andn2_saveexec_b64 s[4:5], s[4:5]
	s_cbranch_execz .LBB120_795
; %bb.794:
	v_mov_b32_e32 v11, s53
	buffer_load_dword v4, v11, s[0:3], 0 offen
	buffer_load_dword v5, v11, s[0:3], 0 offen offset:4
	buffer_load_dword v10, v11, s[0:3], 0 offen offset:8
	s_nop 0
	buffer_load_dword v11, v11, s[0:3], 0 offen offset:12
	v_mov_b32_e32 v43, 32
	s_waitcnt vmcnt(0)
	ds_write2_b64 v40, v[4:5], v[10:11] offset0:66 offset1:67
	v_mov_b32_e32 v11, s52
	buffer_load_dword v4, v11, s[0:3], 0 offen
	buffer_load_dword v5, v11, s[0:3], 0 offen offset:4
	buffer_load_dword v10, v11, s[0:3], 0 offen offset:8
	s_nop 0
	buffer_load_dword v11, v11, s[0:3], 0 offen offset:12
	s_waitcnt vmcnt(0)
	ds_write2_b64 v40, v[4:5], v[10:11] offset0:68 offset1:69
	v_mov_b32_e32 v11, s51
	buffer_load_dword v4, v11, s[0:3], 0 offen
	buffer_load_dword v5, v11, s[0:3], 0 offen offset:4
	buffer_load_dword v10, v11, s[0:3], 0 offen offset:8
	s_nop 0
	buffer_load_dword v11, v11, s[0:3], 0 offen offset:12
	;; [unrolled: 8-line block ×27, first 2 shown]
	s_waitcnt vmcnt(0)
	ds_write2_b64 v40, v[4:5], v[10:11] offset0:120 offset1:121
.LBB120_795:
	s_or_b64 exec, exec, s[4:5]
	v_cmp_lt_i32_e32 vcc, 32, v43
	s_waitcnt vmcnt(0) lgkmcnt(0)
	s_barrier
	s_and_saveexec_b64 s[4:5], vcc
	s_cbranch_execz .LBB120_797
; %bb.796:
	buffer_load_dword v4, off, s[0:3], 0 offset:512
	buffer_load_dword v5, off, s[0:3], 0 offset:516
	;; [unrolled: 1-line block ×16, first 2 shown]
	s_waitcnt vmcnt(12)
	v_mul_f64 v[24:25], v[2:3], v[10:11]
	v_fma_f64 v[24:25], v[0:1], v[4:5], -v[24:25]
	v_mul_f64 v[0:1], v[0:1], v[10:11]
	v_fma_f64 v[4:5], v[2:3], v[4:5], v[0:1]
	buffer_store_dword v24, off, s[0:3], 0 offset:512
	buffer_store_dword v25, off, s[0:3], 0 offset:516
	buffer_store_dword v4, off, s[0:3], 0 offset:520
	buffer_store_dword v5, off, s[0:3], 0 offset:524
	ds_read2_b64 v[0:3], v40 offset0:66 offset1:67
	s_waitcnt lgkmcnt(0)
	v_mul_f64 v[10:11], v[2:3], v[4:5]
	v_fma_f64 v[10:11], v[0:1], v[24:25], -v[10:11]
	v_mul_f64 v[0:1], v[0:1], v[4:5]
	v_fma_f64 v[0:1], v[2:3], v[24:25], v[0:1]
	s_waitcnt vmcnt(14)
	v_add_f64 v[2:3], v[12:13], -v[10:11]
	s_waitcnt vmcnt(12)
	v_add_f64 v[0:1], v[14:15], -v[0:1]
	buffer_store_dword v2, off, s[0:3], 0 offset:528
	buffer_store_dword v3, off, s[0:3], 0 offset:532
	buffer_store_dword v0, off, s[0:3], 0 offset:536
	buffer_store_dword v1, off, s[0:3], 0 offset:540
	ds_read2_b64 v[0:3], v40 offset0:68 offset1:69
	s_waitcnt lgkmcnt(0)
	v_mul_f64 v[10:11], v[2:3], v[4:5]
	v_fma_f64 v[10:11], v[0:1], v[24:25], -v[10:11]
	v_mul_f64 v[0:1], v[0:1], v[4:5]
	v_fma_f64 v[0:1], v[2:3], v[24:25], v[0:1]
	s_waitcnt vmcnt(14)
	v_add_f64 v[2:3], v[16:17], -v[10:11]
	s_waitcnt vmcnt(12)
	v_add_f64 v[0:1], v[18:19], -v[0:1]
	;; [unrolled: 14-line block ×3, first 2 shown]
	buffer_store_dword v3, off, s[0:3], 0 offset:564
	buffer_store_dword v2, off, s[0:3], 0 offset:560
	buffer_store_dword v0, off, s[0:3], 0 offset:568
	buffer_store_dword v1, off, s[0:3], 0 offset:572
	ds_read2_b64 v[0:3], v40 offset0:72 offset1:73
	s_waitcnt lgkmcnt(0)
	v_mul_f64 v[10:11], v[2:3], v[4:5]
	v_fma_f64 v[10:11], v[0:1], v[24:25], -v[10:11]
	v_mul_f64 v[0:1], v[0:1], v[4:5]
	v_fma_f64 v[0:1], v[2:3], v[24:25], v[0:1]
	buffer_load_dword v2, off, s[0:3], 0 offset:576
	buffer_load_dword v3, off, s[0:3], 0 offset:580
	buffer_load_dword v12, off, s[0:3], 0 offset:584
	buffer_load_dword v13, off, s[0:3], 0 offset:588
	s_waitcnt vmcnt(2)
	v_add_f64 v[2:3], v[2:3], -v[10:11]
	s_waitcnt vmcnt(0)
	v_add_f64 v[0:1], v[12:13], -v[0:1]
	buffer_store_dword v3, off, s[0:3], 0 offset:580
	buffer_store_dword v2, off, s[0:3], 0 offset:576
	buffer_store_dword v1, off, s[0:3], 0 offset:588
	buffer_store_dword v0, off, s[0:3], 0 offset:584
	ds_read2_b64 v[0:3], v40 offset0:74 offset1:75
	s_waitcnt lgkmcnt(0)
	v_mul_f64 v[10:11], v[2:3], v[4:5]
	v_fma_f64 v[10:11], v[0:1], v[24:25], -v[10:11]
	v_mul_f64 v[0:1], v[0:1], v[4:5]
	v_fma_f64 v[0:1], v[2:3], v[24:25], v[0:1]
	buffer_load_dword v2, off, s[0:3], 0 offset:592
	buffer_load_dword v3, off, s[0:3], 0 offset:596
	buffer_load_dword v12, off, s[0:3], 0 offset:600
	buffer_load_dword v13, off, s[0:3], 0 offset:604
	s_waitcnt vmcnt(2)
	v_add_f64 v[2:3], v[2:3], -v[10:11]
	s_waitcnt vmcnt(0)
	v_add_f64 v[0:1], v[12:13], -v[0:1]
	;; [unrolled: 18-line block ×3, first 2 shown]
	buffer_store_dword v3, off, s[0:3], 0 offset:612
	buffer_store_dword v2, off, s[0:3], 0 offset:608
	buffer_store_dword v1, off, s[0:3], 0 offset:620
	buffer_store_dword v0, off, s[0:3], 0 offset:616
	ds_read2_b64 v[2:5], v40 offset0:78 offset1:79
	buffer_load_dword v0, off, s[0:3], 0 offset:512
	buffer_load_dword v1, off, s[0:3], 0 offset:516
	;; [unrolled: 1-line block ×4, first 2 shown]
	s_waitcnt vmcnt(0) lgkmcnt(0)
	v_mul_f64 v[12:13], v[4:5], v[10:11]
	v_fma_f64 v[12:13], v[2:3], v[0:1], -v[12:13]
	v_mul_f64 v[2:3], v[2:3], v[10:11]
	v_fma_f64 v[2:3], v[4:5], v[0:1], v[2:3]
	buffer_load_dword v5, off, s[0:3], 0 offset:628
	buffer_load_dword v4, off, s[0:3], 0 offset:624
	s_waitcnt vmcnt(0)
	v_add_f64 v[4:5], v[4:5], -v[12:13]
	buffer_load_dword v13, off, s[0:3], 0 offset:636
	buffer_load_dword v12, off, s[0:3], 0 offset:632
	s_waitcnt vmcnt(0)
	v_add_f64 v[2:3], v[12:13], -v[2:3]
	buffer_store_dword v5, off, s[0:3], 0 offset:628
	buffer_store_dword v4, off, s[0:3], 0 offset:624
	buffer_store_dword v3, off, s[0:3], 0 offset:636
	buffer_store_dword v2, off, s[0:3], 0 offset:632
	ds_read2_b64 v[2:5], v40 offset0:80 offset1:81
	s_waitcnt lgkmcnt(0)
	v_mul_f64 v[12:13], v[4:5], v[10:11]
	v_fma_f64 v[12:13], v[2:3], v[0:1], -v[12:13]
	v_mul_f64 v[2:3], v[2:3], v[10:11]
	v_fma_f64 v[2:3], v[4:5], v[0:1], v[2:3]
	buffer_load_dword v4, off, s[0:3], 0 offset:640
	buffer_load_dword v5, off, s[0:3], 0 offset:644
	buffer_load_dword v14, off, s[0:3], 0 offset:648
	buffer_load_dword v15, off, s[0:3], 0 offset:652
	s_waitcnt vmcnt(2)
	v_add_f64 v[4:5], v[4:5], -v[12:13]
	s_waitcnt vmcnt(0)
	v_add_f64 v[2:3], v[14:15], -v[2:3]
	buffer_store_dword v5, off, s[0:3], 0 offset:644
	buffer_store_dword v4, off, s[0:3], 0 offset:640
	buffer_store_dword v3, off, s[0:3], 0 offset:652
	buffer_store_dword v2, off, s[0:3], 0 offset:648
	ds_read2_b64 v[2:5], v40 offset0:82 offset1:83
	s_waitcnt lgkmcnt(0)
	v_mul_f64 v[12:13], v[4:5], v[10:11]
	v_fma_f64 v[12:13], v[2:3], v[0:1], -v[12:13]
	v_mul_f64 v[2:3], v[2:3], v[10:11]
	v_fma_f64 v[2:3], v[4:5], v[0:1], v[2:3]
	buffer_load_dword v4, off, s[0:3], 0 offset:656
	buffer_load_dword v5, off, s[0:3], 0 offset:660
	buffer_load_dword v14, off, s[0:3], 0 offset:664
	buffer_load_dword v15, off, s[0:3], 0 offset:668
	s_waitcnt vmcnt(2)
	v_add_f64 v[4:5], v[4:5], -v[12:13]
	;; [unrolled: 18-line block ×5, first 2 shown]
	s_waitcnt vmcnt(0)
	v_add_f64 v[0:1], v[4:5], -v[0:1]
	buffer_store_dword v3, off, s[0:3], 0 offset:708
	buffer_store_dword v2, off, s[0:3], 0 offset:704
	;; [unrolled: 1-line block ×4, first 2 shown]
	ds_read2_b64 v[0:3], v40 offset0:90 offset1:91
	buffer_load_dword v4, off, s[0:3], 0 offset:512
	buffer_load_dword v5, off, s[0:3], 0 offset:516
	;; [unrolled: 1-line block ×4, first 2 shown]
	s_waitcnt vmcnt(0) lgkmcnt(0)
	v_mul_f64 v[12:13], v[2:3], v[10:11]
	v_fma_f64 v[12:13], v[0:1], v[4:5], -v[12:13]
	v_mul_f64 v[0:1], v[0:1], v[10:11]
	v_fma_f64 v[0:1], v[2:3], v[4:5], v[0:1]
	buffer_load_dword v3, off, s[0:3], 0 offset:724
	buffer_load_dword v2, off, s[0:3], 0 offset:720
	s_waitcnt vmcnt(0)
	v_add_f64 v[2:3], v[2:3], -v[12:13]
	buffer_load_dword v13, off, s[0:3], 0 offset:732
	buffer_load_dword v12, off, s[0:3], 0 offset:728
	s_waitcnt vmcnt(0)
	v_add_f64 v[0:1], v[12:13], -v[0:1]
	buffer_store_dword v3, off, s[0:3], 0 offset:724
	buffer_store_dword v2, off, s[0:3], 0 offset:720
	buffer_store_dword v1, off, s[0:3], 0 offset:732
	buffer_store_dword v0, off, s[0:3], 0 offset:728
	ds_read2_b64 v[0:3], v40 offset0:92 offset1:93
	s_waitcnt lgkmcnt(0)
	v_mul_f64 v[12:13], v[2:3], v[10:11]
	v_fma_f64 v[12:13], v[0:1], v[4:5], -v[12:13]
	v_mul_f64 v[0:1], v[0:1], v[10:11]
	v_fma_f64 v[0:1], v[2:3], v[4:5], v[0:1]
	buffer_load_dword v2, off, s[0:3], 0 offset:736
	buffer_load_dword v3, off, s[0:3], 0 offset:740
	buffer_load_dword v14, off, s[0:3], 0 offset:744
	buffer_load_dword v15, off, s[0:3], 0 offset:748
	s_waitcnt vmcnt(2)
	v_add_f64 v[2:3], v[2:3], -v[12:13]
	s_waitcnt vmcnt(0)
	v_add_f64 v[0:1], v[14:15], -v[0:1]
	buffer_store_dword v3, off, s[0:3], 0 offset:740
	buffer_store_dword v2, off, s[0:3], 0 offset:736
	buffer_store_dword v1, off, s[0:3], 0 offset:748
	buffer_store_dword v0, off, s[0:3], 0 offset:744
	ds_read2_b64 v[0:3], v40 offset0:94 offset1:95
	s_waitcnt lgkmcnt(0)
	v_mul_f64 v[12:13], v[2:3], v[10:11]
	v_fma_f64 v[12:13], v[0:1], v[4:5], -v[12:13]
	v_mul_f64 v[0:1], v[0:1], v[10:11]
	v_fma_f64 v[0:1], v[2:3], v[4:5], v[0:1]
	buffer_load_dword v2, off, s[0:3], 0 offset:752
	buffer_load_dword v3, off, s[0:3], 0 offset:756
	buffer_load_dword v14, off, s[0:3], 0 offset:760
	buffer_load_dword v15, off, s[0:3], 0 offset:764
	s_waitcnt vmcnt(2)
	v_add_f64 v[2:3], v[2:3], -v[12:13]
	;; [unrolled: 18-line block ×5, first 2 shown]
	s_waitcnt vmcnt(0)
	v_add_f64 v[0:1], v[4:5], -v[0:1]
	buffer_store_dword v3, off, s[0:3], 0 offset:804
	buffer_store_dword v2, off, s[0:3], 0 offset:800
	;; [unrolled: 1-line block ×4, first 2 shown]
	ds_read2_b64 v[0:3], v40 offset0:102 offset1:103
	buffer_load_dword v4, off, s[0:3], 0 offset:512
	buffer_load_dword v5, off, s[0:3], 0 offset:516
	;; [unrolled: 1-line block ×4, first 2 shown]
	s_waitcnt vmcnt(0) lgkmcnt(0)
	v_mul_f64 v[12:13], v[2:3], v[10:11]
	v_fma_f64 v[12:13], v[0:1], v[4:5], -v[12:13]
	v_mul_f64 v[0:1], v[0:1], v[10:11]
	v_fma_f64 v[0:1], v[2:3], v[4:5], v[0:1]
	buffer_load_dword v3, off, s[0:3], 0 offset:820
	buffer_load_dword v2, off, s[0:3], 0 offset:816
	s_waitcnt vmcnt(0)
	v_add_f64 v[2:3], v[2:3], -v[12:13]
	buffer_load_dword v13, off, s[0:3], 0 offset:828
	buffer_load_dword v12, off, s[0:3], 0 offset:824
	s_waitcnt vmcnt(0)
	v_add_f64 v[0:1], v[12:13], -v[0:1]
	buffer_store_dword v3, off, s[0:3], 0 offset:820
	buffer_store_dword v2, off, s[0:3], 0 offset:816
	buffer_store_dword v1, off, s[0:3], 0 offset:828
	buffer_store_dword v0, off, s[0:3], 0 offset:824
	ds_read2_b64 v[0:3], v40 offset0:104 offset1:105
	s_waitcnt lgkmcnt(0)
	v_mul_f64 v[12:13], v[2:3], v[10:11]
	v_fma_f64 v[12:13], v[0:1], v[4:5], -v[12:13]
	v_mul_f64 v[0:1], v[0:1], v[10:11]
	v_fma_f64 v[0:1], v[2:3], v[4:5], v[0:1]
	buffer_load_dword v2, off, s[0:3], 0 offset:832
	buffer_load_dword v3, off, s[0:3], 0 offset:836
	buffer_load_dword v14, off, s[0:3], 0 offset:840
	buffer_load_dword v15, off, s[0:3], 0 offset:844
	s_waitcnt vmcnt(2)
	v_add_f64 v[2:3], v[2:3], -v[12:13]
	s_waitcnt vmcnt(0)
	v_add_f64 v[0:1], v[14:15], -v[0:1]
	buffer_store_dword v3, off, s[0:3], 0 offset:836
	buffer_store_dword v2, off, s[0:3], 0 offset:832
	buffer_store_dword v1, off, s[0:3], 0 offset:844
	buffer_store_dword v0, off, s[0:3], 0 offset:840
	ds_read2_b64 v[0:3], v40 offset0:106 offset1:107
	s_waitcnt lgkmcnt(0)
	v_mul_f64 v[12:13], v[2:3], v[10:11]
	v_fma_f64 v[12:13], v[0:1], v[4:5], -v[12:13]
	v_mul_f64 v[0:1], v[0:1], v[10:11]
	v_fma_f64 v[0:1], v[2:3], v[4:5], v[0:1]
	buffer_load_dword v2, off, s[0:3], 0 offset:848
	buffer_load_dword v3, off, s[0:3], 0 offset:852
	buffer_load_dword v14, off, s[0:3], 0 offset:856
	buffer_load_dword v15, off, s[0:3], 0 offset:860
	s_waitcnt vmcnt(2)
	v_add_f64 v[2:3], v[2:3], -v[12:13]
	;; [unrolled: 18-line block ×5, first 2 shown]
	s_waitcnt vmcnt(0)
	v_add_f64 v[0:1], v[4:5], -v[0:1]
	buffer_store_dword v3, off, s[0:3], 0 offset:900
	buffer_store_dword v2, off, s[0:3], 0 offset:896
	;; [unrolled: 1-line block ×4, first 2 shown]
	ds_read2_b64 v[0:3], v40 offset0:114 offset1:115
	buffer_load_dword v4, off, s[0:3], 0 offset:512
	buffer_load_dword v5, off, s[0:3], 0 offset:516
	;; [unrolled: 1-line block ×4, first 2 shown]
	s_waitcnt vmcnt(0) lgkmcnt(0)
	v_mul_f64 v[12:13], v[2:3], v[10:11]
	v_fma_f64 v[12:13], v[0:1], v[4:5], -v[12:13]
	v_mul_f64 v[0:1], v[0:1], v[10:11]
	v_fma_f64 v[0:1], v[2:3], v[4:5], v[0:1]
	buffer_load_dword v3, off, s[0:3], 0 offset:916
	buffer_load_dword v2, off, s[0:3], 0 offset:912
	s_waitcnt vmcnt(0)
	v_add_f64 v[2:3], v[2:3], -v[12:13]
	buffer_load_dword v13, off, s[0:3], 0 offset:924
	buffer_load_dword v12, off, s[0:3], 0 offset:920
	s_waitcnt vmcnt(0)
	v_add_f64 v[0:1], v[12:13], -v[0:1]
	buffer_store_dword v3, off, s[0:3], 0 offset:916
	buffer_store_dword v2, off, s[0:3], 0 offset:912
	buffer_store_dword v1, off, s[0:3], 0 offset:924
	buffer_store_dword v0, off, s[0:3], 0 offset:920
	ds_read2_b64 v[0:3], v40 offset0:116 offset1:117
	s_waitcnt lgkmcnt(0)
	v_mul_f64 v[12:13], v[2:3], v[10:11]
	v_fma_f64 v[12:13], v[0:1], v[4:5], -v[12:13]
	v_mul_f64 v[0:1], v[0:1], v[10:11]
	v_fma_f64 v[0:1], v[2:3], v[4:5], v[0:1]
	buffer_load_dword v2, off, s[0:3], 0 offset:928
	buffer_load_dword v3, off, s[0:3], 0 offset:932
	buffer_load_dword v14, off, s[0:3], 0 offset:936
	buffer_load_dword v15, off, s[0:3], 0 offset:940
	s_waitcnt vmcnt(2)
	v_add_f64 v[2:3], v[2:3], -v[12:13]
	s_waitcnt vmcnt(0)
	v_add_f64 v[0:1], v[14:15], -v[0:1]
	buffer_store_dword v3, off, s[0:3], 0 offset:932
	buffer_store_dword v2, off, s[0:3], 0 offset:928
	buffer_store_dword v1, off, s[0:3], 0 offset:940
	buffer_store_dword v0, off, s[0:3], 0 offset:936
	ds_read2_b64 v[0:3], v40 offset0:118 offset1:119
	s_waitcnt lgkmcnt(0)
	v_mul_f64 v[12:13], v[2:3], v[10:11]
	v_fma_f64 v[12:13], v[0:1], v[4:5], -v[12:13]
	v_mul_f64 v[0:1], v[0:1], v[10:11]
	v_fma_f64 v[0:1], v[2:3], v[4:5], v[0:1]
	buffer_load_dword v2, off, s[0:3], 0 offset:944
	buffer_load_dword v3, off, s[0:3], 0 offset:948
	buffer_load_dword v14, off, s[0:3], 0 offset:952
	buffer_load_dword v15, off, s[0:3], 0 offset:956
	s_waitcnt vmcnt(2)
	v_add_f64 v[2:3], v[2:3], -v[12:13]
	s_waitcnt vmcnt(0)
	v_add_f64 v[0:1], v[14:15], -v[0:1]
	buffer_store_dword v3, off, s[0:3], 0 offset:948
	buffer_store_dword v2, off, s[0:3], 0 offset:944
	buffer_store_dword v1, off, s[0:3], 0 offset:956
	buffer_store_dword v0, off, s[0:3], 0 offset:952
	ds_read2_b64 v[0:3], v40 offset0:120 offset1:121
	s_waitcnt lgkmcnt(0)
	v_mul_f64 v[12:13], v[2:3], v[10:11]
	v_fma_f64 v[12:13], v[0:1], v[4:5], -v[12:13]
	v_mul_f64 v[0:1], v[0:1], v[10:11]
	v_fma_f64 v[0:1], v[2:3], v[4:5], v[0:1]
	buffer_load_dword v2, off, s[0:3], 0 offset:960
	buffer_load_dword v3, off, s[0:3], 0 offset:964
	buffer_load_dword v4, off, s[0:3], 0 offset:968
	buffer_load_dword v5, off, s[0:3], 0 offset:972
	s_waitcnt vmcnt(2)
	v_add_f64 v[2:3], v[2:3], -v[12:13]
	s_waitcnt vmcnt(0)
	v_add_f64 v[0:1], v[4:5], -v[0:1]
	buffer_store_dword v3, off, s[0:3], 0 offset:964
	buffer_store_dword v2, off, s[0:3], 0 offset:960
	buffer_store_dword v1, off, s[0:3], 0 offset:972
	buffer_store_dword v0, off, s[0:3], 0 offset:968
.LBB120_797:
	s_or_b64 exec, exec, s[4:5]
	v_mov_b32_e32 v3, s53
	s_waitcnt vmcnt(0)
	s_barrier
	buffer_load_dword v0, v3, s[0:3], 0 offen
	buffer_load_dword v1, v3, s[0:3], 0 offen offset:4
	buffer_load_dword v2, v3, s[0:3], 0 offen offset:8
	s_nop 0
	buffer_load_dword v3, v3, s[0:3], 0 offen offset:12
	v_lshl_add_u32 v4, v43, 4, v40
	s_cmp_lt_i32 s64, 35
	s_waitcnt vmcnt(0)
	ds_write2_b64 v4, v[0:1], v[2:3] offset1:1
	s_waitcnt lgkmcnt(0)
	s_barrier
	ds_read2_b64 v[0:3], v40 offset0:66 offset1:67
	v_mov_b32_e32 v4, 33
	s_cbranch_scc1 .LBB120_800
; %bb.798:
	v_add_u32_e32 v5, 0x220, v40
	s_mov_b32 s16, 34
	v_mov_b32_e32 v4, 33
.LBB120_799:                            ; =>This Inner Loop Header: Depth=1
	s_waitcnt lgkmcnt(0)
	v_cmp_gt_f64_e32 vcc, 0, v[2:3]
	v_cmp_gt_f64_e64 s[4:5], 0, v[0:1]
	ds_read2_b64 v[10:13], v5 offset1:1
	v_xor_b32_e32 v15, 0x80000000, v1
	v_xor_b32_e32 v17, 0x80000000, v3
	v_mov_b32_e32 v14, v0
	v_mov_b32_e32 v16, v2
	s_waitcnt lgkmcnt(0)
	v_xor_b32_e32 v19, 0x80000000, v13
	v_cndmask_b32_e32 v17, v3, v17, vcc
	v_cndmask_b32_e64 v15, v1, v15, s[4:5]
	v_cmp_gt_f64_e32 vcc, 0, v[12:13]
	v_cmp_gt_f64_e64 s[4:5], 0, v[10:11]
	v_add_f64 v[14:15], v[14:15], v[16:17]
	v_xor_b32_e32 v17, 0x80000000, v11
	v_mov_b32_e32 v16, v10
	v_mov_b32_e32 v18, v12
	v_add_u32_e32 v5, 16, v5
	v_cndmask_b32_e32 v19, v13, v19, vcc
	v_cndmask_b32_e64 v17, v11, v17, s[4:5]
	v_add_f64 v[16:17], v[16:17], v[18:19]
	v_mov_b32_e32 v18, s16
	s_add_i32 s16, s16, 1
	s_cmp_lg_u32 s64, s16
	v_cmp_lt_f64_e32 vcc, v[14:15], v[16:17]
	v_cndmask_b32_e32 v1, v1, v11, vcc
	v_cndmask_b32_e32 v0, v0, v10, vcc
	;; [unrolled: 1-line block ×5, first 2 shown]
	s_cbranch_scc1 .LBB120_799
.LBB120_800:
	s_waitcnt lgkmcnt(0)
	v_cmp_eq_f64_e32 vcc, 0, v[0:1]
	v_cmp_eq_f64_e64 s[4:5], 0, v[2:3]
	s_and_b64 s[4:5], vcc, s[4:5]
	s_and_saveexec_b64 s[16:17], s[4:5]
	s_xor_b64 s[4:5], exec, s[16:17]
; %bb.801:
	v_cmp_ne_u32_e32 vcc, 0, v41
	v_cndmask_b32_e32 v41, 34, v41, vcc
; %bb.802:
	s_andn2_saveexec_b64 s[4:5], s[4:5]
	s_cbranch_execz .LBB120_808
; %bb.803:
	v_cmp_ngt_f64_e64 s[16:17], |v[0:1]|, |v[2:3]|
	s_and_saveexec_b64 s[18:19], s[16:17]
	s_xor_b64 s[18:19], exec, s[18:19]
	s_cbranch_execz .LBB120_805
; %bb.804:
	v_div_scale_f64 v[10:11], s[16:17], v[2:3], v[2:3], v[0:1]
	v_rcp_f64_e32 v[12:13], v[10:11]
	v_fma_f64 v[14:15], -v[10:11], v[12:13], 1.0
	v_fma_f64 v[12:13], v[12:13], v[14:15], v[12:13]
	v_div_scale_f64 v[14:15], vcc, v[0:1], v[2:3], v[0:1]
	v_fma_f64 v[16:17], -v[10:11], v[12:13], 1.0
	v_fma_f64 v[12:13], v[12:13], v[16:17], v[12:13]
	v_mul_f64 v[16:17], v[14:15], v[12:13]
	v_fma_f64 v[10:11], -v[10:11], v[16:17], v[14:15]
	v_div_fmas_f64 v[10:11], v[10:11], v[12:13], v[16:17]
	v_div_fixup_f64 v[10:11], v[10:11], v[2:3], v[0:1]
	v_fma_f64 v[0:1], v[0:1], v[10:11], v[2:3]
	v_div_scale_f64 v[2:3], s[16:17], v[0:1], v[0:1], 1.0
	v_div_scale_f64 v[16:17], vcc, 1.0, v[0:1], 1.0
	v_rcp_f64_e32 v[12:13], v[2:3]
	v_fma_f64 v[14:15], -v[2:3], v[12:13], 1.0
	v_fma_f64 v[12:13], v[12:13], v[14:15], v[12:13]
	v_fma_f64 v[14:15], -v[2:3], v[12:13], 1.0
	v_fma_f64 v[12:13], v[12:13], v[14:15], v[12:13]
	v_mul_f64 v[14:15], v[16:17], v[12:13]
	v_fma_f64 v[2:3], -v[2:3], v[14:15], v[16:17]
	v_div_fmas_f64 v[2:3], v[2:3], v[12:13], v[14:15]
	v_div_fixup_f64 v[2:3], v[2:3], v[0:1], 1.0
	v_mul_f64 v[0:1], v[10:11], v[2:3]
	v_xor_b32_e32 v3, 0x80000000, v3
.LBB120_805:
	s_andn2_saveexec_b64 s[18:19], s[18:19]
	s_cbranch_execz .LBB120_807
; %bb.806:
	v_div_scale_f64 v[10:11], s[16:17], v[0:1], v[0:1], v[2:3]
	v_rcp_f64_e32 v[12:13], v[10:11]
	v_fma_f64 v[14:15], -v[10:11], v[12:13], 1.0
	v_fma_f64 v[12:13], v[12:13], v[14:15], v[12:13]
	v_div_scale_f64 v[14:15], vcc, v[2:3], v[0:1], v[2:3]
	v_fma_f64 v[16:17], -v[10:11], v[12:13], 1.0
	v_fma_f64 v[12:13], v[12:13], v[16:17], v[12:13]
	v_mul_f64 v[16:17], v[14:15], v[12:13]
	v_fma_f64 v[10:11], -v[10:11], v[16:17], v[14:15]
	v_div_fmas_f64 v[10:11], v[10:11], v[12:13], v[16:17]
	v_div_fixup_f64 v[10:11], v[10:11], v[0:1], v[2:3]
	v_fma_f64 v[0:1], v[2:3], v[10:11], v[0:1]
	v_div_scale_f64 v[2:3], s[16:17], v[0:1], v[0:1], 1.0
	v_div_scale_f64 v[16:17], vcc, 1.0, v[0:1], 1.0
	v_rcp_f64_e32 v[12:13], v[2:3]
	v_fma_f64 v[14:15], -v[2:3], v[12:13], 1.0
	v_fma_f64 v[12:13], v[12:13], v[14:15], v[12:13]
	v_fma_f64 v[14:15], -v[2:3], v[12:13], 1.0
	v_fma_f64 v[12:13], v[12:13], v[14:15], v[12:13]
	v_mul_f64 v[14:15], v[16:17], v[12:13]
	v_fma_f64 v[2:3], -v[2:3], v[14:15], v[16:17]
	v_div_fmas_f64 v[2:3], v[2:3], v[12:13], v[14:15]
	v_div_fixup_f64 v[0:1], v[2:3], v[0:1], 1.0
	v_mul_f64 v[2:3], v[10:11], -v[0:1]
.LBB120_807:
	s_or_b64 exec, exec, s[18:19]
.LBB120_808:
	s_or_b64 exec, exec, s[4:5]
	v_cmp_ne_u32_e32 vcc, v43, v4
	s_and_saveexec_b64 s[4:5], vcc
	s_xor_b64 s[4:5], exec, s[4:5]
	s_cbranch_execz .LBB120_814
; %bb.809:
	v_cmp_eq_u32_e32 vcc, 33, v43
	s_and_saveexec_b64 s[18:19], vcc
	s_cbranch_execz .LBB120_813
; %bb.810:
	v_cmp_ne_u32_e32 vcc, 33, v4
	s_xor_b64 s[16:17], s[22:23], -1
	s_and_b64 s[16:17], s[16:17], vcc
	s_and_saveexec_b64 s[24:25], s[16:17]
	s_cbranch_execz .LBB120_812
; %bb.811:
	v_ashrrev_i32_e32 v5, 31, v4
	v_lshlrev_b64 v[10:11], 2, v[4:5]
	v_add_co_u32_e32 v10, vcc, v8, v10
	v_addc_co_u32_e32 v11, vcc, v9, v11, vcc
	global_load_dword v5, v[10:11], off
	global_load_dword v12, v[8:9], off offset:132
	s_waitcnt vmcnt(1)
	global_store_dword v[8:9], v5, off offset:132
	s_waitcnt vmcnt(1)
	global_store_dword v[10:11], v12, off
.LBB120_812:
	s_or_b64 exec, exec, s[24:25]
	v_mov_b32_e32 v43, v4
	v_mov_b32_e32 v42, v4
.LBB120_813:
	s_or_b64 exec, exec, s[18:19]
.LBB120_814:
	s_andn2_saveexec_b64 s[4:5], s[4:5]
	s_cbranch_execz .LBB120_816
; %bb.815:
	v_mov_b32_e32 v11, s52
	buffer_load_dword v4, v11, s[0:3], 0 offen
	buffer_load_dword v5, v11, s[0:3], 0 offen offset:4
	buffer_load_dword v10, v11, s[0:3], 0 offen offset:8
	s_nop 0
	buffer_load_dword v11, v11, s[0:3], 0 offen offset:12
	v_mov_b32_e32 v43, 33
	s_waitcnt vmcnt(0)
	ds_write2_b64 v40, v[4:5], v[10:11] offset0:68 offset1:69
	v_mov_b32_e32 v11, s51
	buffer_load_dword v4, v11, s[0:3], 0 offen
	buffer_load_dword v5, v11, s[0:3], 0 offen offset:4
	buffer_load_dword v10, v11, s[0:3], 0 offen offset:8
	s_nop 0
	buffer_load_dword v11, v11, s[0:3], 0 offen offset:12
	s_waitcnt vmcnt(0)
	ds_write2_b64 v40, v[4:5], v[10:11] offset0:70 offset1:71
	v_mov_b32_e32 v11, s50
	buffer_load_dword v4, v11, s[0:3], 0 offen
	buffer_load_dword v5, v11, s[0:3], 0 offen offset:4
	buffer_load_dword v10, v11, s[0:3], 0 offen offset:8
	s_nop 0
	buffer_load_dword v11, v11, s[0:3], 0 offen offset:12
	;; [unrolled: 8-line block ×26, first 2 shown]
	s_waitcnt vmcnt(0)
	ds_write2_b64 v40, v[4:5], v[10:11] offset0:120 offset1:121
.LBB120_816:
	s_or_b64 exec, exec, s[4:5]
	v_cmp_lt_i32_e32 vcc, 33, v43
	s_waitcnt vmcnt(0) lgkmcnt(0)
	s_barrier
	s_and_saveexec_b64 s[4:5], vcc
	s_cbranch_execz .LBB120_818
; %bb.817:
	buffer_load_dword v4, off, s[0:3], 0 offset:528
	buffer_load_dword v5, off, s[0:3], 0 offset:532
	buffer_load_dword v10, off, s[0:3], 0 offset:536
	buffer_load_dword v11, off, s[0:3], 0 offset:540
	buffer_load_dword v12, off, s[0:3], 0 offset:544
	buffer_load_dword v13, off, s[0:3], 0 offset:548
	buffer_load_dword v14, off, s[0:3], 0 offset:552
	buffer_load_dword v15, off, s[0:3], 0 offset:556
	buffer_load_dword v16, off, s[0:3], 0 offset:560
	buffer_load_dword v17, off, s[0:3], 0 offset:564
	buffer_load_dword v18, off, s[0:3], 0 offset:568
	buffer_load_dword v19, off, s[0:3], 0 offset:572
	buffer_load_dword v20, off, s[0:3], 0 offset:576
	buffer_load_dword v21, off, s[0:3], 0 offset:580
	buffer_load_dword v22, off, s[0:3], 0 offset:584
	buffer_load_dword v23, off, s[0:3], 0 offset:588
	s_waitcnt vmcnt(12)
	v_mul_f64 v[24:25], v[2:3], v[10:11]
	v_fma_f64 v[24:25], v[0:1], v[4:5], -v[24:25]
	v_mul_f64 v[0:1], v[0:1], v[10:11]
	v_fma_f64 v[4:5], v[2:3], v[4:5], v[0:1]
	buffer_store_dword v24, off, s[0:3], 0 offset:528
	buffer_store_dword v25, off, s[0:3], 0 offset:532
	buffer_store_dword v4, off, s[0:3], 0 offset:536
	buffer_store_dword v5, off, s[0:3], 0 offset:540
	ds_read2_b64 v[0:3], v40 offset0:68 offset1:69
	s_waitcnt lgkmcnt(0)
	v_mul_f64 v[10:11], v[2:3], v[4:5]
	v_fma_f64 v[10:11], v[0:1], v[24:25], -v[10:11]
	v_mul_f64 v[0:1], v[0:1], v[4:5]
	v_fma_f64 v[0:1], v[2:3], v[24:25], v[0:1]
	s_waitcnt vmcnt(14)
	v_add_f64 v[2:3], v[12:13], -v[10:11]
	s_waitcnt vmcnt(12)
	v_add_f64 v[0:1], v[14:15], -v[0:1]
	buffer_store_dword v2, off, s[0:3], 0 offset:544
	buffer_store_dword v3, off, s[0:3], 0 offset:548
	buffer_store_dword v0, off, s[0:3], 0 offset:552
	buffer_store_dword v1, off, s[0:3], 0 offset:556
	ds_read2_b64 v[0:3], v40 offset0:70 offset1:71
	s_waitcnt lgkmcnt(0)
	v_mul_f64 v[10:11], v[2:3], v[4:5]
	v_fma_f64 v[10:11], v[0:1], v[24:25], -v[10:11]
	v_mul_f64 v[0:1], v[0:1], v[4:5]
	v_fma_f64 v[0:1], v[2:3], v[24:25], v[0:1]
	s_waitcnt vmcnt(14)
	v_add_f64 v[2:3], v[16:17], -v[10:11]
	s_waitcnt vmcnt(12)
	v_add_f64 v[0:1], v[18:19], -v[0:1]
	;; [unrolled: 14-line block ×3, first 2 shown]
	buffer_store_dword v3, off, s[0:3], 0 offset:580
	buffer_store_dword v2, off, s[0:3], 0 offset:576
	buffer_store_dword v0, off, s[0:3], 0 offset:584
	buffer_store_dword v1, off, s[0:3], 0 offset:588
	ds_read2_b64 v[0:3], v40 offset0:74 offset1:75
	s_waitcnt lgkmcnt(0)
	v_mul_f64 v[10:11], v[2:3], v[4:5]
	v_fma_f64 v[10:11], v[0:1], v[24:25], -v[10:11]
	v_mul_f64 v[0:1], v[0:1], v[4:5]
	v_fma_f64 v[0:1], v[2:3], v[24:25], v[0:1]
	buffer_load_dword v2, off, s[0:3], 0 offset:592
	buffer_load_dword v3, off, s[0:3], 0 offset:596
	buffer_load_dword v12, off, s[0:3], 0 offset:600
	buffer_load_dword v13, off, s[0:3], 0 offset:604
	s_waitcnt vmcnt(2)
	v_add_f64 v[2:3], v[2:3], -v[10:11]
	s_waitcnt vmcnt(0)
	v_add_f64 v[0:1], v[12:13], -v[0:1]
	buffer_store_dword v3, off, s[0:3], 0 offset:596
	buffer_store_dword v2, off, s[0:3], 0 offset:592
	buffer_store_dword v1, off, s[0:3], 0 offset:604
	buffer_store_dword v0, off, s[0:3], 0 offset:600
	ds_read2_b64 v[0:3], v40 offset0:76 offset1:77
	s_waitcnt lgkmcnt(0)
	v_mul_f64 v[10:11], v[2:3], v[4:5]
	v_fma_f64 v[10:11], v[0:1], v[24:25], -v[10:11]
	v_mul_f64 v[0:1], v[0:1], v[4:5]
	v_fma_f64 v[0:1], v[2:3], v[24:25], v[0:1]
	buffer_load_dword v2, off, s[0:3], 0 offset:608
	buffer_load_dword v3, off, s[0:3], 0 offset:612
	buffer_load_dword v12, off, s[0:3], 0 offset:616
	buffer_load_dword v13, off, s[0:3], 0 offset:620
	s_waitcnt vmcnt(2)
	v_add_f64 v[2:3], v[2:3], -v[10:11]
	s_waitcnt vmcnt(0)
	v_add_f64 v[0:1], v[12:13], -v[0:1]
	;; [unrolled: 18-line block ×3, first 2 shown]
	buffer_store_dword v3, off, s[0:3], 0 offset:628
	buffer_store_dword v2, off, s[0:3], 0 offset:624
	;; [unrolled: 1-line block ×4, first 2 shown]
	ds_read2_b64 v[2:5], v40 offset0:80 offset1:81
	buffer_load_dword v0, off, s[0:3], 0 offset:528
	buffer_load_dword v1, off, s[0:3], 0 offset:532
	;; [unrolled: 1-line block ×4, first 2 shown]
	s_waitcnt vmcnt(0) lgkmcnt(0)
	v_mul_f64 v[12:13], v[4:5], v[10:11]
	v_fma_f64 v[12:13], v[2:3], v[0:1], -v[12:13]
	v_mul_f64 v[2:3], v[2:3], v[10:11]
	v_fma_f64 v[2:3], v[4:5], v[0:1], v[2:3]
	buffer_load_dword v5, off, s[0:3], 0 offset:644
	buffer_load_dword v4, off, s[0:3], 0 offset:640
	s_waitcnt vmcnt(0)
	v_add_f64 v[4:5], v[4:5], -v[12:13]
	buffer_load_dword v13, off, s[0:3], 0 offset:652
	buffer_load_dword v12, off, s[0:3], 0 offset:648
	s_waitcnt vmcnt(0)
	v_add_f64 v[2:3], v[12:13], -v[2:3]
	buffer_store_dword v5, off, s[0:3], 0 offset:644
	buffer_store_dword v4, off, s[0:3], 0 offset:640
	buffer_store_dword v3, off, s[0:3], 0 offset:652
	buffer_store_dword v2, off, s[0:3], 0 offset:648
	ds_read2_b64 v[2:5], v40 offset0:82 offset1:83
	s_waitcnt lgkmcnt(0)
	v_mul_f64 v[12:13], v[4:5], v[10:11]
	v_fma_f64 v[12:13], v[2:3], v[0:1], -v[12:13]
	v_mul_f64 v[2:3], v[2:3], v[10:11]
	v_fma_f64 v[2:3], v[4:5], v[0:1], v[2:3]
	buffer_load_dword v4, off, s[0:3], 0 offset:656
	buffer_load_dword v5, off, s[0:3], 0 offset:660
	buffer_load_dword v14, off, s[0:3], 0 offset:664
	buffer_load_dword v15, off, s[0:3], 0 offset:668
	s_waitcnt vmcnt(2)
	v_add_f64 v[4:5], v[4:5], -v[12:13]
	s_waitcnt vmcnt(0)
	v_add_f64 v[2:3], v[14:15], -v[2:3]
	buffer_store_dword v5, off, s[0:3], 0 offset:660
	buffer_store_dword v4, off, s[0:3], 0 offset:656
	buffer_store_dword v3, off, s[0:3], 0 offset:668
	buffer_store_dword v2, off, s[0:3], 0 offset:664
	ds_read2_b64 v[2:5], v40 offset0:84 offset1:85
	s_waitcnt lgkmcnt(0)
	v_mul_f64 v[12:13], v[4:5], v[10:11]
	v_fma_f64 v[12:13], v[2:3], v[0:1], -v[12:13]
	v_mul_f64 v[2:3], v[2:3], v[10:11]
	v_fma_f64 v[2:3], v[4:5], v[0:1], v[2:3]
	buffer_load_dword v4, off, s[0:3], 0 offset:672
	buffer_load_dword v5, off, s[0:3], 0 offset:676
	buffer_load_dword v14, off, s[0:3], 0 offset:680
	buffer_load_dword v15, off, s[0:3], 0 offset:684
	s_waitcnt vmcnt(2)
	v_add_f64 v[4:5], v[4:5], -v[12:13]
	;; [unrolled: 18-line block ×5, first 2 shown]
	s_waitcnt vmcnt(0)
	v_add_f64 v[0:1], v[4:5], -v[0:1]
	buffer_store_dword v3, off, s[0:3], 0 offset:724
	buffer_store_dword v2, off, s[0:3], 0 offset:720
	;; [unrolled: 1-line block ×4, first 2 shown]
	ds_read2_b64 v[0:3], v40 offset0:92 offset1:93
	buffer_load_dword v4, off, s[0:3], 0 offset:528
	buffer_load_dword v5, off, s[0:3], 0 offset:532
	;; [unrolled: 1-line block ×4, first 2 shown]
	s_waitcnt vmcnt(0) lgkmcnt(0)
	v_mul_f64 v[12:13], v[2:3], v[10:11]
	v_fma_f64 v[12:13], v[0:1], v[4:5], -v[12:13]
	v_mul_f64 v[0:1], v[0:1], v[10:11]
	v_fma_f64 v[0:1], v[2:3], v[4:5], v[0:1]
	buffer_load_dword v3, off, s[0:3], 0 offset:740
	buffer_load_dword v2, off, s[0:3], 0 offset:736
	s_waitcnt vmcnt(0)
	v_add_f64 v[2:3], v[2:3], -v[12:13]
	buffer_load_dword v13, off, s[0:3], 0 offset:748
	buffer_load_dword v12, off, s[0:3], 0 offset:744
	s_waitcnt vmcnt(0)
	v_add_f64 v[0:1], v[12:13], -v[0:1]
	buffer_store_dword v3, off, s[0:3], 0 offset:740
	buffer_store_dword v2, off, s[0:3], 0 offset:736
	buffer_store_dword v1, off, s[0:3], 0 offset:748
	buffer_store_dword v0, off, s[0:3], 0 offset:744
	ds_read2_b64 v[0:3], v40 offset0:94 offset1:95
	s_waitcnt lgkmcnt(0)
	v_mul_f64 v[12:13], v[2:3], v[10:11]
	v_fma_f64 v[12:13], v[0:1], v[4:5], -v[12:13]
	v_mul_f64 v[0:1], v[0:1], v[10:11]
	v_fma_f64 v[0:1], v[2:3], v[4:5], v[0:1]
	buffer_load_dword v2, off, s[0:3], 0 offset:752
	buffer_load_dword v3, off, s[0:3], 0 offset:756
	buffer_load_dword v14, off, s[0:3], 0 offset:760
	buffer_load_dword v15, off, s[0:3], 0 offset:764
	s_waitcnt vmcnt(2)
	v_add_f64 v[2:3], v[2:3], -v[12:13]
	s_waitcnt vmcnt(0)
	v_add_f64 v[0:1], v[14:15], -v[0:1]
	buffer_store_dword v3, off, s[0:3], 0 offset:756
	buffer_store_dword v2, off, s[0:3], 0 offset:752
	buffer_store_dword v1, off, s[0:3], 0 offset:764
	buffer_store_dword v0, off, s[0:3], 0 offset:760
	ds_read2_b64 v[0:3], v40 offset0:96 offset1:97
	s_waitcnt lgkmcnt(0)
	v_mul_f64 v[12:13], v[2:3], v[10:11]
	v_fma_f64 v[12:13], v[0:1], v[4:5], -v[12:13]
	v_mul_f64 v[0:1], v[0:1], v[10:11]
	v_fma_f64 v[0:1], v[2:3], v[4:5], v[0:1]
	buffer_load_dword v2, off, s[0:3], 0 offset:768
	buffer_load_dword v3, off, s[0:3], 0 offset:772
	buffer_load_dword v14, off, s[0:3], 0 offset:776
	buffer_load_dword v15, off, s[0:3], 0 offset:780
	s_waitcnt vmcnt(2)
	v_add_f64 v[2:3], v[2:3], -v[12:13]
	;; [unrolled: 18-line block ×5, first 2 shown]
	s_waitcnt vmcnt(0)
	v_add_f64 v[0:1], v[4:5], -v[0:1]
	buffer_store_dword v3, off, s[0:3], 0 offset:820
	buffer_store_dword v2, off, s[0:3], 0 offset:816
	;; [unrolled: 1-line block ×4, first 2 shown]
	ds_read2_b64 v[0:3], v40 offset0:104 offset1:105
	buffer_load_dword v4, off, s[0:3], 0 offset:528
	buffer_load_dword v5, off, s[0:3], 0 offset:532
	;; [unrolled: 1-line block ×4, first 2 shown]
	s_waitcnt vmcnt(0) lgkmcnt(0)
	v_mul_f64 v[12:13], v[2:3], v[10:11]
	v_fma_f64 v[12:13], v[0:1], v[4:5], -v[12:13]
	v_mul_f64 v[0:1], v[0:1], v[10:11]
	v_fma_f64 v[0:1], v[2:3], v[4:5], v[0:1]
	buffer_load_dword v3, off, s[0:3], 0 offset:836
	buffer_load_dword v2, off, s[0:3], 0 offset:832
	s_waitcnt vmcnt(0)
	v_add_f64 v[2:3], v[2:3], -v[12:13]
	buffer_load_dword v13, off, s[0:3], 0 offset:844
	buffer_load_dword v12, off, s[0:3], 0 offset:840
	s_waitcnt vmcnt(0)
	v_add_f64 v[0:1], v[12:13], -v[0:1]
	buffer_store_dword v3, off, s[0:3], 0 offset:836
	buffer_store_dword v2, off, s[0:3], 0 offset:832
	buffer_store_dword v1, off, s[0:3], 0 offset:844
	buffer_store_dword v0, off, s[0:3], 0 offset:840
	ds_read2_b64 v[0:3], v40 offset0:106 offset1:107
	s_waitcnt lgkmcnt(0)
	v_mul_f64 v[12:13], v[2:3], v[10:11]
	v_fma_f64 v[12:13], v[0:1], v[4:5], -v[12:13]
	v_mul_f64 v[0:1], v[0:1], v[10:11]
	v_fma_f64 v[0:1], v[2:3], v[4:5], v[0:1]
	buffer_load_dword v2, off, s[0:3], 0 offset:848
	buffer_load_dword v3, off, s[0:3], 0 offset:852
	buffer_load_dword v14, off, s[0:3], 0 offset:856
	buffer_load_dword v15, off, s[0:3], 0 offset:860
	s_waitcnt vmcnt(2)
	v_add_f64 v[2:3], v[2:3], -v[12:13]
	s_waitcnt vmcnt(0)
	v_add_f64 v[0:1], v[14:15], -v[0:1]
	buffer_store_dword v3, off, s[0:3], 0 offset:852
	buffer_store_dword v2, off, s[0:3], 0 offset:848
	buffer_store_dword v1, off, s[0:3], 0 offset:860
	buffer_store_dword v0, off, s[0:3], 0 offset:856
	ds_read2_b64 v[0:3], v40 offset0:108 offset1:109
	s_waitcnt lgkmcnt(0)
	v_mul_f64 v[12:13], v[2:3], v[10:11]
	v_fma_f64 v[12:13], v[0:1], v[4:5], -v[12:13]
	v_mul_f64 v[0:1], v[0:1], v[10:11]
	v_fma_f64 v[0:1], v[2:3], v[4:5], v[0:1]
	buffer_load_dword v2, off, s[0:3], 0 offset:864
	buffer_load_dword v3, off, s[0:3], 0 offset:868
	buffer_load_dword v14, off, s[0:3], 0 offset:872
	buffer_load_dword v15, off, s[0:3], 0 offset:876
	s_waitcnt vmcnt(2)
	v_add_f64 v[2:3], v[2:3], -v[12:13]
	;; [unrolled: 18-line block ×5, first 2 shown]
	s_waitcnt vmcnt(0)
	v_add_f64 v[0:1], v[4:5], -v[0:1]
	buffer_store_dword v3, off, s[0:3], 0 offset:916
	buffer_store_dword v2, off, s[0:3], 0 offset:912
	;; [unrolled: 1-line block ×4, first 2 shown]
	ds_read2_b64 v[0:3], v40 offset0:116 offset1:117
	buffer_load_dword v4, off, s[0:3], 0 offset:528
	buffer_load_dword v5, off, s[0:3], 0 offset:532
	;; [unrolled: 1-line block ×4, first 2 shown]
	s_waitcnt vmcnt(0) lgkmcnt(0)
	v_mul_f64 v[12:13], v[2:3], v[10:11]
	v_fma_f64 v[12:13], v[0:1], v[4:5], -v[12:13]
	v_mul_f64 v[0:1], v[0:1], v[10:11]
	v_fma_f64 v[0:1], v[2:3], v[4:5], v[0:1]
	buffer_load_dword v3, off, s[0:3], 0 offset:932
	buffer_load_dword v2, off, s[0:3], 0 offset:928
	s_waitcnt vmcnt(0)
	v_add_f64 v[2:3], v[2:3], -v[12:13]
	buffer_load_dword v13, off, s[0:3], 0 offset:940
	buffer_load_dword v12, off, s[0:3], 0 offset:936
	s_waitcnt vmcnt(0)
	v_add_f64 v[0:1], v[12:13], -v[0:1]
	buffer_store_dword v3, off, s[0:3], 0 offset:932
	buffer_store_dword v2, off, s[0:3], 0 offset:928
	;; [unrolled: 1-line block ×4, first 2 shown]
	ds_read2_b64 v[0:3], v40 offset0:118 offset1:119
	s_waitcnt lgkmcnt(0)
	v_mul_f64 v[12:13], v[2:3], v[10:11]
	v_fma_f64 v[12:13], v[0:1], v[4:5], -v[12:13]
	v_mul_f64 v[0:1], v[0:1], v[10:11]
	v_fma_f64 v[0:1], v[2:3], v[4:5], v[0:1]
	buffer_load_dword v2, off, s[0:3], 0 offset:944
	buffer_load_dword v3, off, s[0:3], 0 offset:948
	;; [unrolled: 1-line block ×4, first 2 shown]
	s_waitcnt vmcnt(2)
	v_add_f64 v[2:3], v[2:3], -v[12:13]
	s_waitcnt vmcnt(0)
	v_add_f64 v[0:1], v[14:15], -v[0:1]
	buffer_store_dword v3, off, s[0:3], 0 offset:948
	buffer_store_dword v2, off, s[0:3], 0 offset:944
	;; [unrolled: 1-line block ×4, first 2 shown]
	ds_read2_b64 v[0:3], v40 offset0:120 offset1:121
	s_waitcnt lgkmcnt(0)
	v_mul_f64 v[12:13], v[2:3], v[10:11]
	v_fma_f64 v[12:13], v[0:1], v[4:5], -v[12:13]
	v_mul_f64 v[0:1], v[0:1], v[10:11]
	v_fma_f64 v[0:1], v[2:3], v[4:5], v[0:1]
	buffer_load_dword v2, off, s[0:3], 0 offset:960
	buffer_load_dword v3, off, s[0:3], 0 offset:964
	;; [unrolled: 1-line block ×4, first 2 shown]
	s_waitcnt vmcnt(2)
	v_add_f64 v[2:3], v[2:3], -v[12:13]
	s_waitcnt vmcnt(0)
	v_add_f64 v[0:1], v[4:5], -v[0:1]
	buffer_store_dword v3, off, s[0:3], 0 offset:964
	buffer_store_dword v2, off, s[0:3], 0 offset:960
	;; [unrolled: 1-line block ×4, first 2 shown]
.LBB120_818:
	s_or_b64 exec, exec, s[4:5]
	v_mov_b32_e32 v3, s52
	s_waitcnt vmcnt(0)
	s_barrier
	buffer_load_dword v0, v3, s[0:3], 0 offen
	buffer_load_dword v1, v3, s[0:3], 0 offen offset:4
	buffer_load_dword v2, v3, s[0:3], 0 offen offset:8
	s_nop 0
	buffer_load_dword v3, v3, s[0:3], 0 offen offset:12
	v_lshl_add_u32 v4, v43, 4, v40
	s_cmp_lt_i32 s64, 36
	s_waitcnt vmcnt(0)
	ds_write2_b64 v4, v[0:1], v[2:3] offset1:1
	s_waitcnt lgkmcnt(0)
	s_barrier
	ds_read2_b64 v[0:3], v40 offset0:68 offset1:69
	v_mov_b32_e32 v4, 34
	s_cbranch_scc1 .LBB120_821
; %bb.819:
	v_add_u32_e32 v5, 0x230, v40
	s_mov_b32 s16, 35
	v_mov_b32_e32 v4, 34
.LBB120_820:                            ; =>This Inner Loop Header: Depth=1
	s_waitcnt lgkmcnt(0)
	v_cmp_gt_f64_e32 vcc, 0, v[2:3]
	v_cmp_gt_f64_e64 s[4:5], 0, v[0:1]
	ds_read2_b64 v[10:13], v5 offset1:1
	v_xor_b32_e32 v15, 0x80000000, v1
	v_xor_b32_e32 v17, 0x80000000, v3
	v_mov_b32_e32 v14, v0
	v_mov_b32_e32 v16, v2
	s_waitcnt lgkmcnt(0)
	v_xor_b32_e32 v19, 0x80000000, v13
	v_cndmask_b32_e32 v17, v3, v17, vcc
	v_cndmask_b32_e64 v15, v1, v15, s[4:5]
	v_cmp_gt_f64_e32 vcc, 0, v[12:13]
	v_cmp_gt_f64_e64 s[4:5], 0, v[10:11]
	v_add_f64 v[14:15], v[14:15], v[16:17]
	v_xor_b32_e32 v17, 0x80000000, v11
	v_mov_b32_e32 v16, v10
	v_mov_b32_e32 v18, v12
	v_add_u32_e32 v5, 16, v5
	v_cndmask_b32_e32 v19, v13, v19, vcc
	v_cndmask_b32_e64 v17, v11, v17, s[4:5]
	v_add_f64 v[16:17], v[16:17], v[18:19]
	v_mov_b32_e32 v18, s16
	s_add_i32 s16, s16, 1
	s_cmp_lg_u32 s64, s16
	v_cmp_lt_f64_e32 vcc, v[14:15], v[16:17]
	v_cndmask_b32_e32 v1, v1, v11, vcc
	v_cndmask_b32_e32 v0, v0, v10, vcc
	;; [unrolled: 1-line block ×5, first 2 shown]
	s_cbranch_scc1 .LBB120_820
.LBB120_821:
	s_waitcnt lgkmcnt(0)
	v_cmp_eq_f64_e32 vcc, 0, v[0:1]
	v_cmp_eq_f64_e64 s[4:5], 0, v[2:3]
	s_and_b64 s[4:5], vcc, s[4:5]
	s_and_saveexec_b64 s[16:17], s[4:5]
	s_xor_b64 s[4:5], exec, s[16:17]
; %bb.822:
	v_cmp_ne_u32_e32 vcc, 0, v41
	v_cndmask_b32_e32 v41, 35, v41, vcc
; %bb.823:
	s_andn2_saveexec_b64 s[4:5], s[4:5]
	s_cbranch_execz .LBB120_829
; %bb.824:
	v_cmp_ngt_f64_e64 s[16:17], |v[0:1]|, |v[2:3]|
	s_and_saveexec_b64 s[18:19], s[16:17]
	s_xor_b64 s[18:19], exec, s[18:19]
	s_cbranch_execz .LBB120_826
; %bb.825:
	v_div_scale_f64 v[10:11], s[16:17], v[2:3], v[2:3], v[0:1]
	v_rcp_f64_e32 v[12:13], v[10:11]
	v_fma_f64 v[14:15], -v[10:11], v[12:13], 1.0
	v_fma_f64 v[12:13], v[12:13], v[14:15], v[12:13]
	v_div_scale_f64 v[14:15], vcc, v[0:1], v[2:3], v[0:1]
	v_fma_f64 v[16:17], -v[10:11], v[12:13], 1.0
	v_fma_f64 v[12:13], v[12:13], v[16:17], v[12:13]
	v_mul_f64 v[16:17], v[14:15], v[12:13]
	v_fma_f64 v[10:11], -v[10:11], v[16:17], v[14:15]
	v_div_fmas_f64 v[10:11], v[10:11], v[12:13], v[16:17]
	v_div_fixup_f64 v[10:11], v[10:11], v[2:3], v[0:1]
	v_fma_f64 v[0:1], v[0:1], v[10:11], v[2:3]
	v_div_scale_f64 v[2:3], s[16:17], v[0:1], v[0:1], 1.0
	v_div_scale_f64 v[16:17], vcc, 1.0, v[0:1], 1.0
	v_rcp_f64_e32 v[12:13], v[2:3]
	v_fma_f64 v[14:15], -v[2:3], v[12:13], 1.0
	v_fma_f64 v[12:13], v[12:13], v[14:15], v[12:13]
	v_fma_f64 v[14:15], -v[2:3], v[12:13], 1.0
	v_fma_f64 v[12:13], v[12:13], v[14:15], v[12:13]
	v_mul_f64 v[14:15], v[16:17], v[12:13]
	v_fma_f64 v[2:3], -v[2:3], v[14:15], v[16:17]
	v_div_fmas_f64 v[2:3], v[2:3], v[12:13], v[14:15]
	v_div_fixup_f64 v[2:3], v[2:3], v[0:1], 1.0
	v_mul_f64 v[0:1], v[10:11], v[2:3]
	v_xor_b32_e32 v3, 0x80000000, v3
.LBB120_826:
	s_andn2_saveexec_b64 s[18:19], s[18:19]
	s_cbranch_execz .LBB120_828
; %bb.827:
	v_div_scale_f64 v[10:11], s[16:17], v[0:1], v[0:1], v[2:3]
	v_rcp_f64_e32 v[12:13], v[10:11]
	v_fma_f64 v[14:15], -v[10:11], v[12:13], 1.0
	v_fma_f64 v[12:13], v[12:13], v[14:15], v[12:13]
	v_div_scale_f64 v[14:15], vcc, v[2:3], v[0:1], v[2:3]
	v_fma_f64 v[16:17], -v[10:11], v[12:13], 1.0
	v_fma_f64 v[12:13], v[12:13], v[16:17], v[12:13]
	v_mul_f64 v[16:17], v[14:15], v[12:13]
	v_fma_f64 v[10:11], -v[10:11], v[16:17], v[14:15]
	v_div_fmas_f64 v[10:11], v[10:11], v[12:13], v[16:17]
	v_div_fixup_f64 v[10:11], v[10:11], v[0:1], v[2:3]
	v_fma_f64 v[0:1], v[2:3], v[10:11], v[0:1]
	v_div_scale_f64 v[2:3], s[16:17], v[0:1], v[0:1], 1.0
	v_div_scale_f64 v[16:17], vcc, 1.0, v[0:1], 1.0
	v_rcp_f64_e32 v[12:13], v[2:3]
	v_fma_f64 v[14:15], -v[2:3], v[12:13], 1.0
	v_fma_f64 v[12:13], v[12:13], v[14:15], v[12:13]
	v_fma_f64 v[14:15], -v[2:3], v[12:13], 1.0
	v_fma_f64 v[12:13], v[12:13], v[14:15], v[12:13]
	v_mul_f64 v[14:15], v[16:17], v[12:13]
	v_fma_f64 v[2:3], -v[2:3], v[14:15], v[16:17]
	v_div_fmas_f64 v[2:3], v[2:3], v[12:13], v[14:15]
	v_div_fixup_f64 v[0:1], v[2:3], v[0:1], 1.0
	v_mul_f64 v[2:3], v[10:11], -v[0:1]
.LBB120_828:
	s_or_b64 exec, exec, s[18:19]
.LBB120_829:
	s_or_b64 exec, exec, s[4:5]
	v_cmp_ne_u32_e32 vcc, v43, v4
	s_and_saveexec_b64 s[4:5], vcc
	s_xor_b64 s[4:5], exec, s[4:5]
	s_cbranch_execz .LBB120_835
; %bb.830:
	v_cmp_eq_u32_e32 vcc, 34, v43
	s_and_saveexec_b64 s[18:19], vcc
	s_cbranch_execz .LBB120_834
; %bb.831:
	v_cmp_ne_u32_e32 vcc, 34, v4
	s_xor_b64 s[16:17], s[22:23], -1
	s_and_b64 s[16:17], s[16:17], vcc
	s_and_saveexec_b64 s[24:25], s[16:17]
	s_cbranch_execz .LBB120_833
; %bb.832:
	v_ashrrev_i32_e32 v5, 31, v4
	v_lshlrev_b64 v[10:11], 2, v[4:5]
	v_add_co_u32_e32 v10, vcc, v8, v10
	v_addc_co_u32_e32 v11, vcc, v9, v11, vcc
	global_load_dword v5, v[10:11], off
	global_load_dword v12, v[8:9], off offset:136
	s_waitcnt vmcnt(1)
	global_store_dword v[8:9], v5, off offset:136
	s_waitcnt vmcnt(1)
	global_store_dword v[10:11], v12, off
.LBB120_833:
	s_or_b64 exec, exec, s[24:25]
	v_mov_b32_e32 v43, v4
	v_mov_b32_e32 v42, v4
.LBB120_834:
	s_or_b64 exec, exec, s[18:19]
.LBB120_835:
	s_andn2_saveexec_b64 s[4:5], s[4:5]
	s_cbranch_execz .LBB120_837
; %bb.836:
	v_mov_b32_e32 v11, s51
	buffer_load_dword v4, v11, s[0:3], 0 offen
	buffer_load_dword v5, v11, s[0:3], 0 offen offset:4
	buffer_load_dword v10, v11, s[0:3], 0 offen offset:8
	s_nop 0
	buffer_load_dword v11, v11, s[0:3], 0 offen offset:12
	v_mov_b32_e32 v43, 34
	s_waitcnt vmcnt(0)
	ds_write2_b64 v40, v[4:5], v[10:11] offset0:70 offset1:71
	v_mov_b32_e32 v11, s50
	buffer_load_dword v4, v11, s[0:3], 0 offen
	buffer_load_dword v5, v11, s[0:3], 0 offen offset:4
	buffer_load_dword v10, v11, s[0:3], 0 offen offset:8
	s_nop 0
	buffer_load_dword v11, v11, s[0:3], 0 offen offset:12
	s_waitcnt vmcnt(0)
	ds_write2_b64 v40, v[4:5], v[10:11] offset0:72 offset1:73
	v_mov_b32_e32 v11, s49
	buffer_load_dword v4, v11, s[0:3], 0 offen
	buffer_load_dword v5, v11, s[0:3], 0 offen offset:4
	buffer_load_dword v10, v11, s[0:3], 0 offen offset:8
	s_nop 0
	buffer_load_dword v11, v11, s[0:3], 0 offen offset:12
	;; [unrolled: 8-line block ×25, first 2 shown]
	s_waitcnt vmcnt(0)
	ds_write2_b64 v40, v[4:5], v[10:11] offset0:120 offset1:121
.LBB120_837:
	s_or_b64 exec, exec, s[4:5]
	v_cmp_lt_i32_e32 vcc, 34, v43
	s_waitcnt vmcnt(0) lgkmcnt(0)
	s_barrier
	s_and_saveexec_b64 s[4:5], vcc
	s_cbranch_execz .LBB120_839
; %bb.838:
	buffer_load_dword v10, off, s[0:3], 0 offset:544
	buffer_load_dword v11, off, s[0:3], 0 offset:548
	;; [unrolled: 1-line block ×16, first 2 shown]
	s_waitcnt vmcnt(12)
	v_mul_f64 v[4:5], v[2:3], v[12:13]
	v_fma_f64 v[4:5], v[0:1], v[10:11], -v[4:5]
	v_mul_f64 v[0:1], v[0:1], v[12:13]
	v_fma_f64 v[0:1], v[2:3], v[10:11], v[0:1]
	buffer_store_dword v4, off, s[0:3], 0 offset:544
	buffer_store_dword v5, off, s[0:3], 0 offset:548
	buffer_store_dword v0, off, s[0:3], 0 offset:552
	buffer_store_dword v1, off, s[0:3], 0 offset:556
	ds_read2_b64 v[10:13], v40 offset0:70 offset1:71
	s_waitcnt lgkmcnt(0)
	v_mul_f64 v[2:3], v[12:13], v[0:1]
	v_fma_f64 v[2:3], v[10:11], v[4:5], -v[2:3]
	v_mul_f64 v[10:11], v[10:11], v[0:1]
	s_waitcnt vmcnt(14)
	v_add_f64 v[2:3], v[14:15], -v[2:3]
	v_fma_f64 v[10:11], v[12:13], v[4:5], v[10:11]
	s_waitcnt vmcnt(12)
	v_add_f64 v[10:11], v[16:17], -v[10:11]
	buffer_store_dword v2, off, s[0:3], 0 offset:560
	buffer_store_dword v3, off, s[0:3], 0 offset:564
	buffer_store_dword v10, off, s[0:3], 0 offset:568
	buffer_store_dword v11, off, s[0:3], 0 offset:572
	ds_read2_b64 v[10:13], v40 offset0:72 offset1:73
	s_waitcnt lgkmcnt(0)
	v_mul_f64 v[2:3], v[12:13], v[0:1]
	v_fma_f64 v[2:3], v[10:11], v[4:5], -v[2:3]
	v_mul_f64 v[10:11], v[10:11], v[0:1]
	s_waitcnt vmcnt(14)
	v_add_f64 v[2:3], v[18:19], -v[2:3]
	v_fma_f64 v[10:11], v[12:13], v[4:5], v[10:11]
	s_waitcnt vmcnt(12)
	v_add_f64 v[10:11], v[20:21], -v[10:11]
	buffer_store_dword v2, off, s[0:3], 0 offset:576
	buffer_store_dword v3, off, s[0:3], 0 offset:580
	buffer_store_dword v10, off, s[0:3], 0 offset:584
	buffer_store_dword v11, off, s[0:3], 0 offset:588
	ds_read2_b64 v[10:13], v40 offset0:74 offset1:75
	s_waitcnt lgkmcnt(0)
	v_mul_f64 v[2:3], v[12:13], v[0:1]
	v_fma_f64 v[2:3], v[10:11], v[4:5], -v[2:3]
	v_mul_f64 v[10:11], v[10:11], v[0:1]
	s_waitcnt vmcnt(14)
	v_add_f64 v[2:3], v[22:23], -v[2:3]
	v_fma_f64 v[10:11], v[12:13], v[4:5], v[10:11]
	s_waitcnt vmcnt(12)
	v_add_f64 v[10:11], v[24:25], -v[10:11]
	buffer_store_dword v3, off, s[0:3], 0 offset:596
	buffer_store_dword v2, off, s[0:3], 0 offset:592
	;; [unrolled: 1-line block ×4, first 2 shown]
	ds_read2_b64 v[10:13], v40 offset0:76 offset1:77
	s_waitcnt lgkmcnt(0)
	v_mul_f64 v[2:3], v[12:13], v[0:1]
	v_fma_f64 v[2:3], v[10:11], v[4:5], -v[2:3]
	v_mul_f64 v[10:11], v[10:11], v[0:1]
	v_fma_f64 v[10:11], v[12:13], v[4:5], v[10:11]
	buffer_load_dword v12, off, s[0:3], 0 offset:608
	buffer_load_dword v13, off, s[0:3], 0 offset:612
	;; [unrolled: 1-line block ×4, first 2 shown]
	s_waitcnt vmcnt(2)
	v_add_f64 v[2:3], v[12:13], -v[2:3]
	s_waitcnt vmcnt(0)
	v_add_f64 v[10:11], v[14:15], -v[10:11]
	buffer_store_dword v3, off, s[0:3], 0 offset:612
	buffer_store_dword v2, off, s[0:3], 0 offset:608
	;; [unrolled: 1-line block ×4, first 2 shown]
	ds_read2_b64 v[10:13], v40 offset0:78 offset1:79
	s_waitcnt lgkmcnt(0)
	v_mul_f64 v[2:3], v[12:13], v[0:1]
	v_fma_f64 v[2:3], v[10:11], v[4:5], -v[2:3]
	v_mul_f64 v[10:11], v[10:11], v[0:1]
	v_fma_f64 v[10:11], v[12:13], v[4:5], v[10:11]
	buffer_load_dword v12, off, s[0:3], 0 offset:624
	buffer_load_dword v13, off, s[0:3], 0 offset:628
	;; [unrolled: 1-line block ×4, first 2 shown]
	s_waitcnt vmcnt(2)
	v_add_f64 v[2:3], v[12:13], -v[2:3]
	s_waitcnt vmcnt(0)
	v_add_f64 v[10:11], v[14:15], -v[10:11]
	buffer_store_dword v3, off, s[0:3], 0 offset:628
	buffer_store_dword v2, off, s[0:3], 0 offset:624
	buffer_store_dword v11, off, s[0:3], 0 offset:636
	buffer_store_dword v10, off, s[0:3], 0 offset:632
	ds_read2_b64 v[10:13], v40 offset0:80 offset1:81
	s_waitcnt lgkmcnt(0)
	v_mul_f64 v[2:3], v[12:13], v[0:1]
	v_mul_f64 v[0:1], v[10:11], v[0:1]
	v_fma_f64 v[2:3], v[10:11], v[4:5], -v[2:3]
	v_fma_f64 v[0:1], v[12:13], v[4:5], v[0:1]
	buffer_load_dword v4, off, s[0:3], 0 offset:640
	buffer_load_dword v5, off, s[0:3], 0 offset:644
	;; [unrolled: 1-line block ×4, first 2 shown]
	s_waitcnt vmcnt(2)
	v_add_f64 v[2:3], v[4:5], -v[2:3]
	s_waitcnt vmcnt(0)
	v_add_f64 v[0:1], v[10:11], -v[0:1]
	buffer_store_dword v3, off, s[0:3], 0 offset:644
	buffer_store_dword v2, off, s[0:3], 0 offset:640
	;; [unrolled: 1-line block ×4, first 2 shown]
	ds_read2_b64 v[0:3], v40 offset0:82 offset1:83
	buffer_load_dword v4, off, s[0:3], 0 offset:544
	buffer_load_dword v5, off, s[0:3], 0 offset:548
	;; [unrolled: 1-line block ×4, first 2 shown]
	s_waitcnt vmcnt(0) lgkmcnt(0)
	v_mul_f64 v[12:13], v[2:3], v[10:11]
	v_fma_f64 v[12:13], v[0:1], v[4:5], -v[12:13]
	v_mul_f64 v[0:1], v[0:1], v[10:11]
	v_fma_f64 v[0:1], v[2:3], v[4:5], v[0:1]
	buffer_load_dword v3, off, s[0:3], 0 offset:660
	buffer_load_dword v2, off, s[0:3], 0 offset:656
	s_waitcnt vmcnt(0)
	v_add_f64 v[2:3], v[2:3], -v[12:13]
	buffer_load_dword v13, off, s[0:3], 0 offset:668
	buffer_load_dword v12, off, s[0:3], 0 offset:664
	s_waitcnt vmcnt(0)
	v_add_f64 v[0:1], v[12:13], -v[0:1]
	buffer_store_dword v3, off, s[0:3], 0 offset:660
	buffer_store_dword v2, off, s[0:3], 0 offset:656
	buffer_store_dword v1, off, s[0:3], 0 offset:668
	buffer_store_dword v0, off, s[0:3], 0 offset:664
	ds_read2_b64 v[0:3], v40 offset0:84 offset1:85
	s_waitcnt lgkmcnt(0)
	v_mul_f64 v[12:13], v[2:3], v[10:11]
	v_fma_f64 v[12:13], v[0:1], v[4:5], -v[12:13]
	v_mul_f64 v[0:1], v[0:1], v[10:11]
	v_fma_f64 v[0:1], v[2:3], v[4:5], v[0:1]
	buffer_load_dword v2, off, s[0:3], 0 offset:672
	buffer_load_dword v3, off, s[0:3], 0 offset:676
	buffer_load_dword v14, off, s[0:3], 0 offset:680
	buffer_load_dword v15, off, s[0:3], 0 offset:684
	s_waitcnt vmcnt(2)
	v_add_f64 v[2:3], v[2:3], -v[12:13]
	s_waitcnt vmcnt(0)
	v_add_f64 v[0:1], v[14:15], -v[0:1]
	buffer_store_dword v3, off, s[0:3], 0 offset:676
	buffer_store_dword v2, off, s[0:3], 0 offset:672
	buffer_store_dword v1, off, s[0:3], 0 offset:684
	buffer_store_dword v0, off, s[0:3], 0 offset:680
	ds_read2_b64 v[0:3], v40 offset0:86 offset1:87
	s_waitcnt lgkmcnt(0)
	v_mul_f64 v[12:13], v[2:3], v[10:11]
	v_fma_f64 v[12:13], v[0:1], v[4:5], -v[12:13]
	v_mul_f64 v[0:1], v[0:1], v[10:11]
	v_fma_f64 v[0:1], v[2:3], v[4:5], v[0:1]
	buffer_load_dword v2, off, s[0:3], 0 offset:688
	buffer_load_dword v3, off, s[0:3], 0 offset:692
	buffer_load_dword v14, off, s[0:3], 0 offset:696
	buffer_load_dword v15, off, s[0:3], 0 offset:700
	s_waitcnt vmcnt(2)
	v_add_f64 v[2:3], v[2:3], -v[12:13]
	s_waitcnt vmcnt(0)
	v_add_f64 v[0:1], v[14:15], -v[0:1]
	buffer_store_dword v3, off, s[0:3], 0 offset:692
	buffer_store_dword v2, off, s[0:3], 0 offset:688
	buffer_store_dword v1, off, s[0:3], 0 offset:700
	buffer_store_dword v0, off, s[0:3], 0 offset:696
	ds_read2_b64 v[0:3], v40 offset0:88 offset1:89
	s_waitcnt lgkmcnt(0)
	v_mul_f64 v[12:13], v[2:3], v[10:11]
	v_fma_f64 v[12:13], v[0:1], v[4:5], -v[12:13]
	v_mul_f64 v[0:1], v[0:1], v[10:11]
	v_fma_f64 v[0:1], v[2:3], v[4:5], v[0:1]
	buffer_load_dword v2, off, s[0:3], 0 offset:704
	buffer_load_dword v3, off, s[0:3], 0 offset:708
	buffer_load_dword v14, off, s[0:3], 0 offset:712
	buffer_load_dword v15, off, s[0:3], 0 offset:716
	s_waitcnt vmcnt(2)
	v_add_f64 v[2:3], v[2:3], -v[12:13]
	s_waitcnt vmcnt(0)
	v_add_f64 v[0:1], v[14:15], -v[0:1]
	buffer_store_dword v3, off, s[0:3], 0 offset:708
	buffer_store_dword v2, off, s[0:3], 0 offset:704
	buffer_store_dword v1, off, s[0:3], 0 offset:716
	buffer_store_dword v0, off, s[0:3], 0 offset:712
	ds_read2_b64 v[0:3], v40 offset0:90 offset1:91
	s_waitcnt lgkmcnt(0)
	v_mul_f64 v[12:13], v[2:3], v[10:11]
	v_fma_f64 v[12:13], v[0:1], v[4:5], -v[12:13]
	v_mul_f64 v[0:1], v[0:1], v[10:11]
	v_fma_f64 v[0:1], v[2:3], v[4:5], v[0:1]
	buffer_load_dword v2, off, s[0:3], 0 offset:720
	buffer_load_dword v3, off, s[0:3], 0 offset:724
	buffer_load_dword v14, off, s[0:3], 0 offset:728
	buffer_load_dword v15, off, s[0:3], 0 offset:732
	s_waitcnt vmcnt(2)
	v_add_f64 v[2:3], v[2:3], -v[12:13]
	s_waitcnt vmcnt(0)
	v_add_f64 v[0:1], v[14:15], -v[0:1]
	buffer_store_dword v3, off, s[0:3], 0 offset:724
	buffer_store_dword v2, off, s[0:3], 0 offset:720
	buffer_store_dword v1, off, s[0:3], 0 offset:732
	buffer_store_dword v0, off, s[0:3], 0 offset:728
	ds_read2_b64 v[0:3], v40 offset0:92 offset1:93
	s_waitcnt lgkmcnt(0)
	v_mul_f64 v[12:13], v[2:3], v[10:11]
	v_fma_f64 v[12:13], v[0:1], v[4:5], -v[12:13]
	v_mul_f64 v[0:1], v[0:1], v[10:11]
	v_fma_f64 v[0:1], v[2:3], v[4:5], v[0:1]
	buffer_load_dword v2, off, s[0:3], 0 offset:736
	buffer_load_dword v3, off, s[0:3], 0 offset:740
	buffer_load_dword v4, off, s[0:3], 0 offset:744
	buffer_load_dword v5, off, s[0:3], 0 offset:748
	s_waitcnt vmcnt(2)
	v_add_f64 v[2:3], v[2:3], -v[12:13]
	s_waitcnt vmcnt(0)
	v_add_f64 v[0:1], v[4:5], -v[0:1]
	buffer_store_dword v3, off, s[0:3], 0 offset:740
	buffer_store_dword v2, off, s[0:3], 0 offset:736
	;; [unrolled: 1-line block ×4, first 2 shown]
	ds_read2_b64 v[0:3], v40 offset0:94 offset1:95
	buffer_load_dword v4, off, s[0:3], 0 offset:544
	buffer_load_dword v5, off, s[0:3], 0 offset:548
	buffer_load_dword v10, off, s[0:3], 0 offset:552
	buffer_load_dword v11, off, s[0:3], 0 offset:556
	s_waitcnt vmcnt(0) lgkmcnt(0)
	v_mul_f64 v[12:13], v[2:3], v[10:11]
	v_fma_f64 v[12:13], v[0:1], v[4:5], -v[12:13]
	v_mul_f64 v[0:1], v[0:1], v[10:11]
	v_fma_f64 v[0:1], v[2:3], v[4:5], v[0:1]
	buffer_load_dword v3, off, s[0:3], 0 offset:756
	buffer_load_dword v2, off, s[0:3], 0 offset:752
	s_waitcnt vmcnt(0)
	v_add_f64 v[2:3], v[2:3], -v[12:13]
	buffer_load_dword v13, off, s[0:3], 0 offset:764
	buffer_load_dword v12, off, s[0:3], 0 offset:760
	s_waitcnt vmcnt(0)
	v_add_f64 v[0:1], v[12:13], -v[0:1]
	buffer_store_dword v3, off, s[0:3], 0 offset:756
	buffer_store_dword v2, off, s[0:3], 0 offset:752
	buffer_store_dword v1, off, s[0:3], 0 offset:764
	buffer_store_dword v0, off, s[0:3], 0 offset:760
	ds_read2_b64 v[0:3], v40 offset0:96 offset1:97
	s_waitcnt lgkmcnt(0)
	v_mul_f64 v[12:13], v[2:3], v[10:11]
	v_fma_f64 v[12:13], v[0:1], v[4:5], -v[12:13]
	v_mul_f64 v[0:1], v[0:1], v[10:11]
	v_fma_f64 v[0:1], v[2:3], v[4:5], v[0:1]
	buffer_load_dword v2, off, s[0:3], 0 offset:768
	buffer_load_dword v3, off, s[0:3], 0 offset:772
	buffer_load_dword v14, off, s[0:3], 0 offset:776
	buffer_load_dword v15, off, s[0:3], 0 offset:780
	s_waitcnt vmcnt(2)
	v_add_f64 v[2:3], v[2:3], -v[12:13]
	s_waitcnt vmcnt(0)
	v_add_f64 v[0:1], v[14:15], -v[0:1]
	buffer_store_dword v3, off, s[0:3], 0 offset:772
	buffer_store_dword v2, off, s[0:3], 0 offset:768
	buffer_store_dword v1, off, s[0:3], 0 offset:780
	buffer_store_dword v0, off, s[0:3], 0 offset:776
	ds_read2_b64 v[0:3], v40 offset0:98 offset1:99
	s_waitcnt lgkmcnt(0)
	v_mul_f64 v[12:13], v[2:3], v[10:11]
	v_fma_f64 v[12:13], v[0:1], v[4:5], -v[12:13]
	v_mul_f64 v[0:1], v[0:1], v[10:11]
	v_fma_f64 v[0:1], v[2:3], v[4:5], v[0:1]
	buffer_load_dword v2, off, s[0:3], 0 offset:784
	buffer_load_dword v3, off, s[0:3], 0 offset:788
	buffer_load_dword v14, off, s[0:3], 0 offset:792
	buffer_load_dword v15, off, s[0:3], 0 offset:796
	s_waitcnt vmcnt(2)
	v_add_f64 v[2:3], v[2:3], -v[12:13]
	;; [unrolled: 18-line block ×5, first 2 shown]
	s_waitcnt vmcnt(0)
	v_add_f64 v[0:1], v[4:5], -v[0:1]
	buffer_store_dword v3, off, s[0:3], 0 offset:836
	buffer_store_dword v2, off, s[0:3], 0 offset:832
	;; [unrolled: 1-line block ×4, first 2 shown]
	ds_read2_b64 v[2:5], v40 offset0:106 offset1:107
	buffer_load_dword v0, off, s[0:3], 0 offset:544
	buffer_load_dword v1, off, s[0:3], 0 offset:548
	;; [unrolled: 1-line block ×4, first 2 shown]
	s_waitcnt vmcnt(0) lgkmcnt(0)
	v_mul_f64 v[12:13], v[4:5], v[10:11]
	v_fma_f64 v[12:13], v[2:3], v[0:1], -v[12:13]
	v_mul_f64 v[2:3], v[2:3], v[10:11]
	v_fma_f64 v[2:3], v[4:5], v[0:1], v[2:3]
	buffer_load_dword v5, off, s[0:3], 0 offset:852
	buffer_load_dword v4, off, s[0:3], 0 offset:848
	s_waitcnt vmcnt(0)
	v_add_f64 v[4:5], v[4:5], -v[12:13]
	buffer_load_dword v13, off, s[0:3], 0 offset:860
	buffer_load_dword v12, off, s[0:3], 0 offset:856
	s_waitcnt vmcnt(0)
	v_add_f64 v[2:3], v[12:13], -v[2:3]
	buffer_store_dword v5, off, s[0:3], 0 offset:852
	buffer_store_dword v4, off, s[0:3], 0 offset:848
	buffer_store_dword v3, off, s[0:3], 0 offset:860
	buffer_store_dword v2, off, s[0:3], 0 offset:856
	ds_read2_b64 v[2:5], v40 offset0:108 offset1:109
	s_waitcnt lgkmcnt(0)
	v_mul_f64 v[12:13], v[4:5], v[10:11]
	v_fma_f64 v[12:13], v[2:3], v[0:1], -v[12:13]
	v_mul_f64 v[2:3], v[2:3], v[10:11]
	v_fma_f64 v[2:3], v[4:5], v[0:1], v[2:3]
	buffer_load_dword v4, off, s[0:3], 0 offset:864
	buffer_load_dword v5, off, s[0:3], 0 offset:868
	buffer_load_dword v14, off, s[0:3], 0 offset:872
	buffer_load_dword v15, off, s[0:3], 0 offset:876
	s_waitcnt vmcnt(2)
	v_add_f64 v[4:5], v[4:5], -v[12:13]
	s_waitcnt vmcnt(0)
	v_add_f64 v[2:3], v[14:15], -v[2:3]
	buffer_store_dword v5, off, s[0:3], 0 offset:868
	buffer_store_dword v4, off, s[0:3], 0 offset:864
	buffer_store_dword v3, off, s[0:3], 0 offset:876
	buffer_store_dword v2, off, s[0:3], 0 offset:872
	ds_read2_b64 v[2:5], v40 offset0:110 offset1:111
	s_waitcnt lgkmcnt(0)
	v_mul_f64 v[12:13], v[4:5], v[10:11]
	v_fma_f64 v[12:13], v[2:3], v[0:1], -v[12:13]
	v_mul_f64 v[2:3], v[2:3], v[10:11]
	v_fma_f64 v[2:3], v[4:5], v[0:1], v[2:3]
	buffer_load_dword v4, off, s[0:3], 0 offset:880
	buffer_load_dword v5, off, s[0:3], 0 offset:884
	buffer_load_dword v14, off, s[0:3], 0 offset:888
	buffer_load_dword v15, off, s[0:3], 0 offset:892
	s_waitcnt vmcnt(2)
	v_add_f64 v[4:5], v[4:5], -v[12:13]
	;; [unrolled: 18-line block ×5, first 2 shown]
	s_waitcnt vmcnt(0)
	v_add_f64 v[0:1], v[4:5], -v[0:1]
	buffer_store_dword v3, off, s[0:3], 0 offset:932
	buffer_store_dword v2, off, s[0:3], 0 offset:928
	;; [unrolled: 1-line block ×4, first 2 shown]
	ds_read2_b64 v[12:15], v40 offset0:118 offset1:119
	buffer_load_dword v0, off, s[0:3], 0 offset:544
	buffer_load_dword v1, off, s[0:3], 0 offset:548
	;; [unrolled: 1-line block ×4, first 2 shown]
	s_waitcnt vmcnt(0) lgkmcnt(0)
	v_mul_f64 v[4:5], v[14:15], v[2:3]
	v_fma_f64 v[10:11], v[12:13], v[0:1], -v[4:5]
	v_mul_f64 v[4:5], v[12:13], v[2:3]
	buffer_load_dword v13, off, s[0:3], 0 offset:948
	buffer_load_dword v12, off, s[0:3], 0 offset:944
	v_fma_f64 v[4:5], v[14:15], v[0:1], v[4:5]
	s_waitcnt vmcnt(0)
	v_add_f64 v[10:11], v[12:13], -v[10:11]
	buffer_load_dword v13, off, s[0:3], 0 offset:956
	buffer_load_dword v12, off, s[0:3], 0 offset:952
	s_waitcnt vmcnt(0)
	v_add_f64 v[4:5], v[12:13], -v[4:5]
	buffer_store_dword v11, off, s[0:3], 0 offset:948
	buffer_store_dword v10, off, s[0:3], 0 offset:944
	buffer_store_dword v5, off, s[0:3], 0 offset:956
	buffer_store_dword v4, off, s[0:3], 0 offset:952
	ds_read2_b64 v[10:13], v40 offset0:120 offset1:121
	s_waitcnt lgkmcnt(0)
	v_mul_f64 v[4:5], v[12:13], v[2:3]
	v_mul_f64 v[2:3], v[10:11], v[2:3]
	v_fma_f64 v[4:5], v[10:11], v[0:1], -v[4:5]
	v_fma_f64 v[0:1], v[12:13], v[0:1], v[2:3]
	buffer_load_dword v2, off, s[0:3], 0 offset:960
	buffer_load_dword v3, off, s[0:3], 0 offset:964
	;; [unrolled: 1-line block ×4, first 2 shown]
	s_waitcnt vmcnt(2)
	v_add_f64 v[2:3], v[2:3], -v[4:5]
	s_waitcnt vmcnt(0)
	v_add_f64 v[0:1], v[10:11], -v[0:1]
	buffer_store_dword v3, off, s[0:3], 0 offset:964
	buffer_store_dword v2, off, s[0:3], 0 offset:960
	;; [unrolled: 1-line block ×4, first 2 shown]
.LBB120_839:
	s_or_b64 exec, exec, s[4:5]
	v_mov_b32_e32 v3, s51
	s_waitcnt vmcnt(0)
	s_barrier
	buffer_load_dword v0, v3, s[0:3], 0 offen
	buffer_load_dword v1, v3, s[0:3], 0 offen offset:4
	buffer_load_dword v2, v3, s[0:3], 0 offen offset:8
	s_nop 0
	buffer_load_dword v3, v3, s[0:3], 0 offen offset:12
	v_lshl_add_u32 v4, v43, 4, v40
	s_cmp_lt_i32 s64, 37
	s_waitcnt vmcnt(0)
	ds_write2_b64 v4, v[0:1], v[2:3] offset1:1
	s_waitcnt lgkmcnt(0)
	s_barrier
	ds_read2_b64 v[0:3], v40 offset0:70 offset1:71
	v_mov_b32_e32 v4, 35
	s_cbranch_scc1 .LBB120_842
; %bb.840:
	v_add_u32_e32 v5, 0x240, v40
	s_mov_b32 s16, 36
	v_mov_b32_e32 v4, 35
.LBB120_841:                            ; =>This Inner Loop Header: Depth=1
	s_waitcnt lgkmcnt(0)
	v_cmp_gt_f64_e32 vcc, 0, v[2:3]
	v_cmp_gt_f64_e64 s[4:5], 0, v[0:1]
	ds_read2_b64 v[10:13], v5 offset1:1
	v_xor_b32_e32 v15, 0x80000000, v1
	v_xor_b32_e32 v17, 0x80000000, v3
	v_mov_b32_e32 v14, v0
	v_mov_b32_e32 v16, v2
	s_waitcnt lgkmcnt(0)
	v_xor_b32_e32 v19, 0x80000000, v13
	v_cndmask_b32_e32 v17, v3, v17, vcc
	v_cndmask_b32_e64 v15, v1, v15, s[4:5]
	v_cmp_gt_f64_e32 vcc, 0, v[12:13]
	v_cmp_gt_f64_e64 s[4:5], 0, v[10:11]
	v_add_f64 v[14:15], v[14:15], v[16:17]
	v_xor_b32_e32 v17, 0x80000000, v11
	v_mov_b32_e32 v16, v10
	v_mov_b32_e32 v18, v12
	v_add_u32_e32 v5, 16, v5
	v_cndmask_b32_e32 v19, v13, v19, vcc
	v_cndmask_b32_e64 v17, v11, v17, s[4:5]
	v_add_f64 v[16:17], v[16:17], v[18:19]
	v_mov_b32_e32 v18, s16
	s_add_i32 s16, s16, 1
	s_cmp_lg_u32 s64, s16
	v_cmp_lt_f64_e32 vcc, v[14:15], v[16:17]
	v_cndmask_b32_e32 v1, v1, v11, vcc
	v_cndmask_b32_e32 v0, v0, v10, vcc
	;; [unrolled: 1-line block ×5, first 2 shown]
	s_cbranch_scc1 .LBB120_841
.LBB120_842:
	s_waitcnt lgkmcnt(0)
	v_cmp_eq_f64_e32 vcc, 0, v[0:1]
	v_cmp_eq_f64_e64 s[4:5], 0, v[2:3]
	s_and_b64 s[4:5], vcc, s[4:5]
	s_and_saveexec_b64 s[16:17], s[4:5]
	s_xor_b64 s[4:5], exec, s[16:17]
; %bb.843:
	v_cmp_ne_u32_e32 vcc, 0, v41
	v_cndmask_b32_e32 v41, 36, v41, vcc
; %bb.844:
	s_andn2_saveexec_b64 s[4:5], s[4:5]
	s_cbranch_execz .LBB120_850
; %bb.845:
	v_cmp_ngt_f64_e64 s[16:17], |v[0:1]|, |v[2:3]|
	s_and_saveexec_b64 s[18:19], s[16:17]
	s_xor_b64 s[18:19], exec, s[18:19]
	s_cbranch_execz .LBB120_847
; %bb.846:
	v_div_scale_f64 v[10:11], s[16:17], v[2:3], v[2:3], v[0:1]
	v_rcp_f64_e32 v[12:13], v[10:11]
	v_fma_f64 v[14:15], -v[10:11], v[12:13], 1.0
	v_fma_f64 v[12:13], v[12:13], v[14:15], v[12:13]
	v_div_scale_f64 v[14:15], vcc, v[0:1], v[2:3], v[0:1]
	v_fma_f64 v[16:17], -v[10:11], v[12:13], 1.0
	v_fma_f64 v[12:13], v[12:13], v[16:17], v[12:13]
	v_mul_f64 v[16:17], v[14:15], v[12:13]
	v_fma_f64 v[10:11], -v[10:11], v[16:17], v[14:15]
	v_div_fmas_f64 v[10:11], v[10:11], v[12:13], v[16:17]
	v_div_fixup_f64 v[10:11], v[10:11], v[2:3], v[0:1]
	v_fma_f64 v[0:1], v[0:1], v[10:11], v[2:3]
	v_div_scale_f64 v[2:3], s[16:17], v[0:1], v[0:1], 1.0
	v_div_scale_f64 v[16:17], vcc, 1.0, v[0:1], 1.0
	v_rcp_f64_e32 v[12:13], v[2:3]
	v_fma_f64 v[14:15], -v[2:3], v[12:13], 1.0
	v_fma_f64 v[12:13], v[12:13], v[14:15], v[12:13]
	v_fma_f64 v[14:15], -v[2:3], v[12:13], 1.0
	v_fma_f64 v[12:13], v[12:13], v[14:15], v[12:13]
	v_mul_f64 v[14:15], v[16:17], v[12:13]
	v_fma_f64 v[2:3], -v[2:3], v[14:15], v[16:17]
	v_div_fmas_f64 v[2:3], v[2:3], v[12:13], v[14:15]
	v_div_fixup_f64 v[2:3], v[2:3], v[0:1], 1.0
	v_mul_f64 v[0:1], v[10:11], v[2:3]
	v_xor_b32_e32 v3, 0x80000000, v3
.LBB120_847:
	s_andn2_saveexec_b64 s[18:19], s[18:19]
	s_cbranch_execz .LBB120_849
; %bb.848:
	v_div_scale_f64 v[10:11], s[16:17], v[0:1], v[0:1], v[2:3]
	v_rcp_f64_e32 v[12:13], v[10:11]
	v_fma_f64 v[14:15], -v[10:11], v[12:13], 1.0
	v_fma_f64 v[12:13], v[12:13], v[14:15], v[12:13]
	v_div_scale_f64 v[14:15], vcc, v[2:3], v[0:1], v[2:3]
	v_fma_f64 v[16:17], -v[10:11], v[12:13], 1.0
	v_fma_f64 v[12:13], v[12:13], v[16:17], v[12:13]
	v_mul_f64 v[16:17], v[14:15], v[12:13]
	v_fma_f64 v[10:11], -v[10:11], v[16:17], v[14:15]
	v_div_fmas_f64 v[10:11], v[10:11], v[12:13], v[16:17]
	v_div_fixup_f64 v[10:11], v[10:11], v[0:1], v[2:3]
	v_fma_f64 v[0:1], v[2:3], v[10:11], v[0:1]
	v_div_scale_f64 v[2:3], s[16:17], v[0:1], v[0:1], 1.0
	v_div_scale_f64 v[16:17], vcc, 1.0, v[0:1], 1.0
	v_rcp_f64_e32 v[12:13], v[2:3]
	v_fma_f64 v[14:15], -v[2:3], v[12:13], 1.0
	v_fma_f64 v[12:13], v[12:13], v[14:15], v[12:13]
	v_fma_f64 v[14:15], -v[2:3], v[12:13], 1.0
	v_fma_f64 v[12:13], v[12:13], v[14:15], v[12:13]
	v_mul_f64 v[14:15], v[16:17], v[12:13]
	v_fma_f64 v[2:3], -v[2:3], v[14:15], v[16:17]
	v_div_fmas_f64 v[2:3], v[2:3], v[12:13], v[14:15]
	v_div_fixup_f64 v[0:1], v[2:3], v[0:1], 1.0
	v_mul_f64 v[2:3], v[10:11], -v[0:1]
.LBB120_849:
	s_or_b64 exec, exec, s[18:19]
.LBB120_850:
	s_or_b64 exec, exec, s[4:5]
	v_cmp_ne_u32_e32 vcc, v43, v4
	s_and_saveexec_b64 s[4:5], vcc
	s_xor_b64 s[4:5], exec, s[4:5]
	s_cbranch_execz .LBB120_856
; %bb.851:
	v_cmp_eq_u32_e32 vcc, 35, v43
	s_and_saveexec_b64 s[18:19], vcc
	s_cbranch_execz .LBB120_855
; %bb.852:
	v_cmp_ne_u32_e32 vcc, 35, v4
	s_xor_b64 s[16:17], s[22:23], -1
	s_and_b64 s[16:17], s[16:17], vcc
	s_and_saveexec_b64 s[24:25], s[16:17]
	s_cbranch_execz .LBB120_854
; %bb.853:
	v_ashrrev_i32_e32 v5, 31, v4
	v_lshlrev_b64 v[10:11], 2, v[4:5]
	v_add_co_u32_e32 v10, vcc, v8, v10
	v_addc_co_u32_e32 v11, vcc, v9, v11, vcc
	global_load_dword v5, v[10:11], off
	global_load_dword v12, v[8:9], off offset:140
	s_waitcnt vmcnt(1)
	global_store_dword v[8:9], v5, off offset:140
	s_waitcnt vmcnt(1)
	global_store_dword v[10:11], v12, off
.LBB120_854:
	s_or_b64 exec, exec, s[24:25]
	v_mov_b32_e32 v43, v4
	v_mov_b32_e32 v42, v4
.LBB120_855:
	s_or_b64 exec, exec, s[18:19]
.LBB120_856:
	s_andn2_saveexec_b64 s[4:5], s[4:5]
	s_cbranch_execz .LBB120_858
; %bb.857:
	v_mov_b32_e32 v11, s50
	buffer_load_dword v4, v11, s[0:3], 0 offen
	buffer_load_dword v5, v11, s[0:3], 0 offen offset:4
	buffer_load_dword v10, v11, s[0:3], 0 offen offset:8
	s_nop 0
	buffer_load_dword v11, v11, s[0:3], 0 offen offset:12
	v_mov_b32_e32 v43, 35
	s_waitcnt vmcnt(0)
	ds_write2_b64 v40, v[4:5], v[10:11] offset0:72 offset1:73
	v_mov_b32_e32 v11, s49
	buffer_load_dword v4, v11, s[0:3], 0 offen
	buffer_load_dword v5, v11, s[0:3], 0 offen offset:4
	buffer_load_dword v10, v11, s[0:3], 0 offen offset:8
	s_nop 0
	buffer_load_dword v11, v11, s[0:3], 0 offen offset:12
	s_waitcnt vmcnt(0)
	ds_write2_b64 v40, v[4:5], v[10:11] offset0:74 offset1:75
	v_mov_b32_e32 v11, s48
	buffer_load_dword v4, v11, s[0:3], 0 offen
	buffer_load_dword v5, v11, s[0:3], 0 offen offset:4
	buffer_load_dword v10, v11, s[0:3], 0 offen offset:8
	s_nop 0
	buffer_load_dword v11, v11, s[0:3], 0 offen offset:12
	;; [unrolled: 8-line block ×24, first 2 shown]
	s_waitcnt vmcnt(0)
	ds_write2_b64 v40, v[4:5], v[10:11] offset0:120 offset1:121
.LBB120_858:
	s_or_b64 exec, exec, s[4:5]
	v_cmp_lt_i32_e32 vcc, 35, v43
	s_waitcnt vmcnt(0) lgkmcnt(0)
	s_barrier
	s_and_saveexec_b64 s[4:5], vcc
	s_cbranch_execz .LBB120_860
; %bb.859:
	buffer_load_dword v10, off, s[0:3], 0 offset:560
	buffer_load_dword v11, off, s[0:3], 0 offset:564
	;; [unrolled: 1-line block ×16, first 2 shown]
	s_waitcnt vmcnt(12)
	v_mul_f64 v[4:5], v[2:3], v[12:13]
	v_fma_f64 v[4:5], v[0:1], v[10:11], -v[4:5]
	v_mul_f64 v[0:1], v[0:1], v[12:13]
	v_fma_f64 v[10:11], v[2:3], v[10:11], v[0:1]
	buffer_store_dword v4, off, s[0:3], 0 offset:560
	buffer_store_dword v5, off, s[0:3], 0 offset:564
	buffer_store_dword v10, off, s[0:3], 0 offset:568
	buffer_store_dword v11, off, s[0:3], 0 offset:572
	ds_read2_b64 v[0:3], v40 offset0:72 offset1:73
	s_waitcnt lgkmcnt(0)
	v_mul_f64 v[12:13], v[2:3], v[10:11]
	v_fma_f64 v[12:13], v[0:1], v[4:5], -v[12:13]
	v_mul_f64 v[0:1], v[0:1], v[10:11]
	v_fma_f64 v[0:1], v[2:3], v[4:5], v[0:1]
	s_waitcnt vmcnt(14)
	v_add_f64 v[2:3], v[14:15], -v[12:13]
	s_waitcnt vmcnt(12)
	v_add_f64 v[0:1], v[16:17], -v[0:1]
	buffer_store_dword v2, off, s[0:3], 0 offset:576
	buffer_store_dword v3, off, s[0:3], 0 offset:580
	buffer_store_dword v0, off, s[0:3], 0 offset:584
	buffer_store_dword v1, off, s[0:3], 0 offset:588
	ds_read2_b64 v[0:3], v40 offset0:74 offset1:75
	s_waitcnt lgkmcnt(0)
	v_mul_f64 v[12:13], v[2:3], v[10:11]
	v_fma_f64 v[12:13], v[0:1], v[4:5], -v[12:13]
	v_mul_f64 v[0:1], v[0:1], v[10:11]
	v_fma_f64 v[0:1], v[2:3], v[4:5], v[0:1]
	s_waitcnt vmcnt(14)
	v_add_f64 v[2:3], v[18:19], -v[12:13]
	s_waitcnt vmcnt(12)
	v_add_f64 v[0:1], v[20:21], -v[0:1]
	;; [unrolled: 14-line block ×3, first 2 shown]
	buffer_store_dword v3, off, s[0:3], 0 offset:612
	buffer_store_dword v2, off, s[0:3], 0 offset:608
	buffer_store_dword v0, off, s[0:3], 0 offset:616
	buffer_store_dword v1, off, s[0:3], 0 offset:620
	ds_read2_b64 v[0:3], v40 offset0:78 offset1:79
	s_waitcnt lgkmcnt(0)
	v_mul_f64 v[12:13], v[2:3], v[10:11]
	v_fma_f64 v[12:13], v[0:1], v[4:5], -v[12:13]
	v_mul_f64 v[0:1], v[0:1], v[10:11]
	v_fma_f64 v[0:1], v[2:3], v[4:5], v[0:1]
	buffer_load_dword v2, off, s[0:3], 0 offset:624
	buffer_load_dword v3, off, s[0:3], 0 offset:628
	buffer_load_dword v14, off, s[0:3], 0 offset:632
	buffer_load_dword v15, off, s[0:3], 0 offset:636
	s_waitcnt vmcnt(2)
	v_add_f64 v[2:3], v[2:3], -v[12:13]
	s_waitcnt vmcnt(0)
	v_add_f64 v[0:1], v[14:15], -v[0:1]
	buffer_store_dword v3, off, s[0:3], 0 offset:628
	buffer_store_dword v2, off, s[0:3], 0 offset:624
	buffer_store_dword v1, off, s[0:3], 0 offset:636
	buffer_store_dword v0, off, s[0:3], 0 offset:632
	ds_read2_b64 v[0:3], v40 offset0:80 offset1:81
	s_waitcnt lgkmcnt(0)
	v_mul_f64 v[12:13], v[2:3], v[10:11]
	v_fma_f64 v[12:13], v[0:1], v[4:5], -v[12:13]
	v_mul_f64 v[0:1], v[0:1], v[10:11]
	v_fma_f64 v[0:1], v[2:3], v[4:5], v[0:1]
	buffer_load_dword v2, off, s[0:3], 0 offset:640
	buffer_load_dword v3, off, s[0:3], 0 offset:644
	buffer_load_dword v14, off, s[0:3], 0 offset:648
	buffer_load_dword v15, off, s[0:3], 0 offset:652
	s_waitcnt vmcnt(2)
	v_add_f64 v[2:3], v[2:3], -v[12:13]
	s_waitcnt vmcnt(0)
	v_add_f64 v[0:1], v[14:15], -v[0:1]
	;; [unrolled: 18-line block ×3, first 2 shown]
	buffer_store_dword v3, off, s[0:3], 0 offset:660
	buffer_store_dword v2, off, s[0:3], 0 offset:656
	;; [unrolled: 1-line block ×4, first 2 shown]
	ds_read2_b64 v[2:5], v40 offset0:84 offset1:85
	buffer_load_dword v0, off, s[0:3], 0 offset:560
	buffer_load_dword v1, off, s[0:3], 0 offset:564
	;; [unrolled: 1-line block ×4, first 2 shown]
	s_waitcnt vmcnt(0) lgkmcnt(0)
	v_mul_f64 v[12:13], v[4:5], v[10:11]
	v_fma_f64 v[12:13], v[2:3], v[0:1], -v[12:13]
	v_mul_f64 v[2:3], v[2:3], v[10:11]
	v_fma_f64 v[2:3], v[4:5], v[0:1], v[2:3]
	buffer_load_dword v5, off, s[0:3], 0 offset:676
	buffer_load_dword v4, off, s[0:3], 0 offset:672
	s_waitcnt vmcnt(0)
	v_add_f64 v[4:5], v[4:5], -v[12:13]
	buffer_load_dword v13, off, s[0:3], 0 offset:684
	buffer_load_dword v12, off, s[0:3], 0 offset:680
	s_waitcnt vmcnt(0)
	v_add_f64 v[2:3], v[12:13], -v[2:3]
	buffer_store_dword v5, off, s[0:3], 0 offset:676
	buffer_store_dword v4, off, s[0:3], 0 offset:672
	buffer_store_dword v3, off, s[0:3], 0 offset:684
	buffer_store_dword v2, off, s[0:3], 0 offset:680
	ds_read2_b64 v[2:5], v40 offset0:86 offset1:87
	s_waitcnt lgkmcnt(0)
	v_mul_f64 v[12:13], v[4:5], v[10:11]
	v_fma_f64 v[12:13], v[2:3], v[0:1], -v[12:13]
	v_mul_f64 v[2:3], v[2:3], v[10:11]
	v_fma_f64 v[2:3], v[4:5], v[0:1], v[2:3]
	buffer_load_dword v4, off, s[0:3], 0 offset:688
	buffer_load_dword v5, off, s[0:3], 0 offset:692
	buffer_load_dword v14, off, s[0:3], 0 offset:696
	buffer_load_dword v15, off, s[0:3], 0 offset:700
	s_waitcnt vmcnt(2)
	v_add_f64 v[4:5], v[4:5], -v[12:13]
	s_waitcnt vmcnt(0)
	v_add_f64 v[2:3], v[14:15], -v[2:3]
	buffer_store_dword v5, off, s[0:3], 0 offset:692
	buffer_store_dword v4, off, s[0:3], 0 offset:688
	buffer_store_dword v3, off, s[0:3], 0 offset:700
	buffer_store_dword v2, off, s[0:3], 0 offset:696
	ds_read2_b64 v[2:5], v40 offset0:88 offset1:89
	s_waitcnt lgkmcnt(0)
	v_mul_f64 v[12:13], v[4:5], v[10:11]
	v_fma_f64 v[12:13], v[2:3], v[0:1], -v[12:13]
	v_mul_f64 v[2:3], v[2:3], v[10:11]
	v_fma_f64 v[2:3], v[4:5], v[0:1], v[2:3]
	buffer_load_dword v4, off, s[0:3], 0 offset:704
	buffer_load_dword v5, off, s[0:3], 0 offset:708
	buffer_load_dword v14, off, s[0:3], 0 offset:712
	buffer_load_dword v15, off, s[0:3], 0 offset:716
	s_waitcnt vmcnt(2)
	v_add_f64 v[4:5], v[4:5], -v[12:13]
	;; [unrolled: 18-line block ×5, first 2 shown]
	s_waitcnt vmcnt(0)
	v_add_f64 v[0:1], v[4:5], -v[0:1]
	buffer_store_dword v3, off, s[0:3], 0 offset:756
	buffer_store_dword v2, off, s[0:3], 0 offset:752
	;; [unrolled: 1-line block ×4, first 2 shown]
	ds_read2_b64 v[0:3], v40 offset0:96 offset1:97
	buffer_load_dword v4, off, s[0:3], 0 offset:560
	buffer_load_dword v5, off, s[0:3], 0 offset:564
	;; [unrolled: 1-line block ×4, first 2 shown]
	s_waitcnt vmcnt(0) lgkmcnt(0)
	v_mul_f64 v[12:13], v[2:3], v[10:11]
	v_fma_f64 v[12:13], v[0:1], v[4:5], -v[12:13]
	v_mul_f64 v[0:1], v[0:1], v[10:11]
	v_fma_f64 v[0:1], v[2:3], v[4:5], v[0:1]
	buffer_load_dword v3, off, s[0:3], 0 offset:772
	buffer_load_dword v2, off, s[0:3], 0 offset:768
	s_waitcnt vmcnt(0)
	v_add_f64 v[2:3], v[2:3], -v[12:13]
	buffer_load_dword v13, off, s[0:3], 0 offset:780
	buffer_load_dword v12, off, s[0:3], 0 offset:776
	s_waitcnt vmcnt(0)
	v_add_f64 v[0:1], v[12:13], -v[0:1]
	buffer_store_dword v3, off, s[0:3], 0 offset:772
	buffer_store_dword v2, off, s[0:3], 0 offset:768
	buffer_store_dword v1, off, s[0:3], 0 offset:780
	buffer_store_dword v0, off, s[0:3], 0 offset:776
	ds_read2_b64 v[0:3], v40 offset0:98 offset1:99
	s_waitcnt lgkmcnt(0)
	v_mul_f64 v[12:13], v[2:3], v[10:11]
	v_fma_f64 v[12:13], v[0:1], v[4:5], -v[12:13]
	v_mul_f64 v[0:1], v[0:1], v[10:11]
	v_fma_f64 v[0:1], v[2:3], v[4:5], v[0:1]
	buffer_load_dword v2, off, s[0:3], 0 offset:784
	buffer_load_dword v3, off, s[0:3], 0 offset:788
	buffer_load_dword v14, off, s[0:3], 0 offset:792
	buffer_load_dword v15, off, s[0:3], 0 offset:796
	s_waitcnt vmcnt(2)
	v_add_f64 v[2:3], v[2:3], -v[12:13]
	s_waitcnt vmcnt(0)
	v_add_f64 v[0:1], v[14:15], -v[0:1]
	buffer_store_dword v3, off, s[0:3], 0 offset:788
	buffer_store_dword v2, off, s[0:3], 0 offset:784
	buffer_store_dword v1, off, s[0:3], 0 offset:796
	buffer_store_dword v0, off, s[0:3], 0 offset:792
	ds_read2_b64 v[0:3], v40 offset0:100 offset1:101
	s_waitcnt lgkmcnt(0)
	v_mul_f64 v[12:13], v[2:3], v[10:11]
	v_fma_f64 v[12:13], v[0:1], v[4:5], -v[12:13]
	v_mul_f64 v[0:1], v[0:1], v[10:11]
	v_fma_f64 v[0:1], v[2:3], v[4:5], v[0:1]
	buffer_load_dword v2, off, s[0:3], 0 offset:800
	buffer_load_dword v3, off, s[0:3], 0 offset:804
	buffer_load_dword v14, off, s[0:3], 0 offset:808
	buffer_load_dword v15, off, s[0:3], 0 offset:812
	s_waitcnt vmcnt(2)
	v_add_f64 v[2:3], v[2:3], -v[12:13]
	s_waitcnt vmcnt(0)
	v_add_f64 v[0:1], v[14:15], -v[0:1]
	buffer_store_dword v3, off, s[0:3], 0 offset:804
	buffer_store_dword v2, off, s[0:3], 0 offset:800
	buffer_store_dword v1, off, s[0:3], 0 offset:812
	buffer_store_dword v0, off, s[0:3], 0 offset:808
	ds_read2_b64 v[0:3], v40 offset0:102 offset1:103
	s_waitcnt lgkmcnt(0)
	v_mul_f64 v[12:13], v[2:3], v[10:11]
	v_fma_f64 v[12:13], v[0:1], v[4:5], -v[12:13]
	v_mul_f64 v[0:1], v[0:1], v[10:11]
	v_fma_f64 v[0:1], v[2:3], v[4:5], v[0:1]
	buffer_load_dword v2, off, s[0:3], 0 offset:816
	buffer_load_dword v3, off, s[0:3], 0 offset:820
	buffer_load_dword v14, off, s[0:3], 0 offset:824
	buffer_load_dword v15, off, s[0:3], 0 offset:828
	s_waitcnt vmcnt(2)
	v_add_f64 v[2:3], v[2:3], -v[12:13]
	s_waitcnt vmcnt(0)
	v_add_f64 v[0:1], v[14:15], -v[0:1]
	buffer_store_dword v3, off, s[0:3], 0 offset:820
	buffer_store_dword v2, off, s[0:3], 0 offset:816
	buffer_store_dword v1, off, s[0:3], 0 offset:828
	buffer_store_dword v0, off, s[0:3], 0 offset:824
	ds_read2_b64 v[0:3], v40 offset0:104 offset1:105
	s_waitcnt lgkmcnt(0)
	v_mul_f64 v[12:13], v[2:3], v[10:11]
	v_fma_f64 v[12:13], v[0:1], v[4:5], -v[12:13]
	v_mul_f64 v[0:1], v[0:1], v[10:11]
	v_fma_f64 v[0:1], v[2:3], v[4:5], v[0:1]
	buffer_load_dword v2, off, s[0:3], 0 offset:832
	buffer_load_dword v3, off, s[0:3], 0 offset:836
	buffer_load_dword v14, off, s[0:3], 0 offset:840
	buffer_load_dword v15, off, s[0:3], 0 offset:844
	s_waitcnt vmcnt(2)
	v_add_f64 v[2:3], v[2:3], -v[12:13]
	s_waitcnt vmcnt(0)
	v_add_f64 v[0:1], v[14:15], -v[0:1]
	buffer_store_dword v3, off, s[0:3], 0 offset:836
	buffer_store_dword v2, off, s[0:3], 0 offset:832
	buffer_store_dword v1, off, s[0:3], 0 offset:844
	buffer_store_dword v0, off, s[0:3], 0 offset:840
	ds_read2_b64 v[0:3], v40 offset0:106 offset1:107
	s_waitcnt lgkmcnt(0)
	v_mul_f64 v[12:13], v[2:3], v[10:11]
	v_fma_f64 v[12:13], v[0:1], v[4:5], -v[12:13]
	v_mul_f64 v[0:1], v[0:1], v[10:11]
	v_fma_f64 v[0:1], v[2:3], v[4:5], v[0:1]
	buffer_load_dword v2, off, s[0:3], 0 offset:848
	buffer_load_dword v3, off, s[0:3], 0 offset:852
	buffer_load_dword v4, off, s[0:3], 0 offset:856
	buffer_load_dword v5, off, s[0:3], 0 offset:860
	s_waitcnt vmcnt(2)
	v_add_f64 v[2:3], v[2:3], -v[12:13]
	s_waitcnt vmcnt(0)
	v_add_f64 v[0:1], v[4:5], -v[0:1]
	buffer_store_dword v3, off, s[0:3], 0 offset:852
	buffer_store_dword v2, off, s[0:3], 0 offset:848
	;; [unrolled: 1-line block ×4, first 2 shown]
	ds_read2_b64 v[0:3], v40 offset0:108 offset1:109
	buffer_load_dword v4, off, s[0:3], 0 offset:560
	buffer_load_dword v5, off, s[0:3], 0 offset:564
	buffer_load_dword v10, off, s[0:3], 0 offset:568
	buffer_load_dword v11, off, s[0:3], 0 offset:572
	s_waitcnt vmcnt(0) lgkmcnt(0)
	v_mul_f64 v[12:13], v[2:3], v[10:11]
	v_fma_f64 v[12:13], v[0:1], v[4:5], -v[12:13]
	v_mul_f64 v[0:1], v[0:1], v[10:11]
	v_fma_f64 v[0:1], v[2:3], v[4:5], v[0:1]
	buffer_load_dword v3, off, s[0:3], 0 offset:868
	buffer_load_dword v2, off, s[0:3], 0 offset:864
	s_waitcnt vmcnt(0)
	v_add_f64 v[2:3], v[2:3], -v[12:13]
	buffer_load_dword v13, off, s[0:3], 0 offset:876
	buffer_load_dword v12, off, s[0:3], 0 offset:872
	s_waitcnt vmcnt(0)
	v_add_f64 v[0:1], v[12:13], -v[0:1]
	buffer_store_dword v3, off, s[0:3], 0 offset:868
	buffer_store_dword v2, off, s[0:3], 0 offset:864
	buffer_store_dword v1, off, s[0:3], 0 offset:876
	buffer_store_dword v0, off, s[0:3], 0 offset:872
	ds_read2_b64 v[0:3], v40 offset0:110 offset1:111
	s_waitcnt lgkmcnt(0)
	v_mul_f64 v[12:13], v[2:3], v[10:11]
	v_fma_f64 v[12:13], v[0:1], v[4:5], -v[12:13]
	v_mul_f64 v[0:1], v[0:1], v[10:11]
	v_fma_f64 v[0:1], v[2:3], v[4:5], v[0:1]
	buffer_load_dword v2, off, s[0:3], 0 offset:880
	buffer_load_dword v3, off, s[0:3], 0 offset:884
	buffer_load_dword v14, off, s[0:3], 0 offset:888
	buffer_load_dword v15, off, s[0:3], 0 offset:892
	s_waitcnt vmcnt(2)
	v_add_f64 v[2:3], v[2:3], -v[12:13]
	s_waitcnt vmcnt(0)
	v_add_f64 v[0:1], v[14:15], -v[0:1]
	buffer_store_dword v3, off, s[0:3], 0 offset:884
	buffer_store_dword v2, off, s[0:3], 0 offset:880
	buffer_store_dword v1, off, s[0:3], 0 offset:892
	buffer_store_dword v0, off, s[0:3], 0 offset:888
	ds_read2_b64 v[0:3], v40 offset0:112 offset1:113
	s_waitcnt lgkmcnt(0)
	v_mul_f64 v[12:13], v[2:3], v[10:11]
	v_fma_f64 v[12:13], v[0:1], v[4:5], -v[12:13]
	v_mul_f64 v[0:1], v[0:1], v[10:11]
	v_fma_f64 v[0:1], v[2:3], v[4:5], v[0:1]
	buffer_load_dword v2, off, s[0:3], 0 offset:896
	buffer_load_dword v3, off, s[0:3], 0 offset:900
	buffer_load_dword v14, off, s[0:3], 0 offset:904
	buffer_load_dword v15, off, s[0:3], 0 offset:908
	s_waitcnt vmcnt(2)
	v_add_f64 v[2:3], v[2:3], -v[12:13]
	s_waitcnt vmcnt(0)
	v_add_f64 v[0:1], v[14:15], -v[0:1]
	buffer_store_dword v3, off, s[0:3], 0 offset:900
	buffer_store_dword v2, off, s[0:3], 0 offset:896
	buffer_store_dword v1, off, s[0:3], 0 offset:908
	buffer_store_dword v0, off, s[0:3], 0 offset:904
	ds_read2_b64 v[0:3], v40 offset0:114 offset1:115
	s_waitcnt lgkmcnt(0)
	v_mul_f64 v[12:13], v[2:3], v[10:11]
	v_fma_f64 v[12:13], v[0:1], v[4:5], -v[12:13]
	v_mul_f64 v[0:1], v[0:1], v[10:11]
	v_fma_f64 v[0:1], v[2:3], v[4:5], v[0:1]
	buffer_load_dword v2, off, s[0:3], 0 offset:912
	buffer_load_dword v3, off, s[0:3], 0 offset:916
	buffer_load_dword v14, off, s[0:3], 0 offset:920
	buffer_load_dword v15, off, s[0:3], 0 offset:924
	s_waitcnt vmcnt(2)
	v_add_f64 v[2:3], v[2:3], -v[12:13]
	s_waitcnt vmcnt(0)
	v_add_f64 v[0:1], v[14:15], -v[0:1]
	buffer_store_dword v3, off, s[0:3], 0 offset:916
	buffer_store_dword v2, off, s[0:3], 0 offset:912
	buffer_store_dword v1, off, s[0:3], 0 offset:924
	buffer_store_dword v0, off, s[0:3], 0 offset:920
	ds_read2_b64 v[0:3], v40 offset0:116 offset1:117
	s_waitcnt lgkmcnt(0)
	v_mul_f64 v[12:13], v[2:3], v[10:11]
	v_fma_f64 v[12:13], v[0:1], v[4:5], -v[12:13]
	v_mul_f64 v[0:1], v[0:1], v[10:11]
	v_fma_f64 v[0:1], v[2:3], v[4:5], v[0:1]
	buffer_load_dword v2, off, s[0:3], 0 offset:928
	buffer_load_dword v3, off, s[0:3], 0 offset:932
	buffer_load_dword v14, off, s[0:3], 0 offset:936
	buffer_load_dword v15, off, s[0:3], 0 offset:940
	s_waitcnt vmcnt(2)
	v_add_f64 v[2:3], v[2:3], -v[12:13]
	s_waitcnt vmcnt(0)
	v_add_f64 v[0:1], v[14:15], -v[0:1]
	buffer_store_dword v3, off, s[0:3], 0 offset:932
	buffer_store_dword v2, off, s[0:3], 0 offset:928
	buffer_store_dword v1, off, s[0:3], 0 offset:940
	buffer_store_dword v0, off, s[0:3], 0 offset:936
	ds_read2_b64 v[0:3], v40 offset0:118 offset1:119
	s_waitcnt lgkmcnt(0)
	v_mul_f64 v[12:13], v[2:3], v[10:11]
	v_fma_f64 v[12:13], v[0:1], v[4:5], -v[12:13]
	v_mul_f64 v[0:1], v[0:1], v[10:11]
	v_fma_f64 v[0:1], v[2:3], v[4:5], v[0:1]
	buffer_load_dword v2, off, s[0:3], 0 offset:944
	buffer_load_dword v3, off, s[0:3], 0 offset:948
	buffer_load_dword v4, off, s[0:3], 0 offset:952
	buffer_load_dword v5, off, s[0:3], 0 offset:956
	s_waitcnt vmcnt(2)
	v_add_f64 v[2:3], v[2:3], -v[12:13]
	s_waitcnt vmcnt(0)
	v_add_f64 v[0:1], v[4:5], -v[0:1]
	buffer_store_dword v3, off, s[0:3], 0 offset:948
	buffer_store_dword v2, off, s[0:3], 0 offset:944
	;; [unrolled: 1-line block ×4, first 2 shown]
	ds_read2_b64 v[0:3], v40 offset0:120 offset1:121
	buffer_load_dword v10, off, s[0:3], 0 offset:560
	buffer_load_dword v11, off, s[0:3], 0 offset:564
	;; [unrolled: 1-line block ×4, first 2 shown]
	s_waitcnt vmcnt(0) lgkmcnt(0)
	v_mul_f64 v[4:5], v[2:3], v[12:13]
	v_fma_f64 v[4:5], v[0:1], v[10:11], -v[4:5]
	v_mul_f64 v[0:1], v[0:1], v[12:13]
	v_fma_f64 v[0:1], v[2:3], v[10:11], v[0:1]
	buffer_load_dword v3, off, s[0:3], 0 offset:964
	buffer_load_dword v2, off, s[0:3], 0 offset:960
	s_waitcnt vmcnt(0)
	v_add_f64 v[2:3], v[2:3], -v[4:5]
	buffer_load_dword v5, off, s[0:3], 0 offset:972
	buffer_load_dword v4, off, s[0:3], 0 offset:968
	s_waitcnt vmcnt(0)
	v_add_f64 v[0:1], v[4:5], -v[0:1]
	buffer_store_dword v3, off, s[0:3], 0 offset:964
	buffer_store_dword v2, off, s[0:3], 0 offset:960
	;; [unrolled: 1-line block ×4, first 2 shown]
.LBB120_860:
	s_or_b64 exec, exec, s[4:5]
	v_mov_b32_e32 v3, s50
	s_waitcnt vmcnt(0)
	s_barrier
	buffer_load_dword v0, v3, s[0:3], 0 offen
	buffer_load_dword v1, v3, s[0:3], 0 offen offset:4
	buffer_load_dword v2, v3, s[0:3], 0 offen offset:8
	s_nop 0
	buffer_load_dword v3, v3, s[0:3], 0 offen offset:12
	v_lshl_add_u32 v4, v43, 4, v40
	s_cmp_lt_i32 s64, 38
	s_waitcnt vmcnt(0)
	ds_write2_b64 v4, v[0:1], v[2:3] offset1:1
	s_waitcnt lgkmcnt(0)
	s_barrier
	ds_read2_b64 v[0:3], v40 offset0:72 offset1:73
	v_mov_b32_e32 v4, 36
	s_cbranch_scc1 .LBB120_863
; %bb.861:
	v_add_u32_e32 v5, 0x250, v40
	s_mov_b32 s16, 37
	v_mov_b32_e32 v4, 36
.LBB120_862:                            ; =>This Inner Loop Header: Depth=1
	s_waitcnt lgkmcnt(0)
	v_cmp_gt_f64_e32 vcc, 0, v[2:3]
	v_cmp_gt_f64_e64 s[4:5], 0, v[0:1]
	ds_read2_b64 v[10:13], v5 offset1:1
	v_xor_b32_e32 v15, 0x80000000, v1
	v_xor_b32_e32 v17, 0x80000000, v3
	v_mov_b32_e32 v14, v0
	v_mov_b32_e32 v16, v2
	s_waitcnt lgkmcnt(0)
	v_xor_b32_e32 v19, 0x80000000, v13
	v_cndmask_b32_e32 v17, v3, v17, vcc
	v_cndmask_b32_e64 v15, v1, v15, s[4:5]
	v_cmp_gt_f64_e32 vcc, 0, v[12:13]
	v_cmp_gt_f64_e64 s[4:5], 0, v[10:11]
	v_add_f64 v[14:15], v[14:15], v[16:17]
	v_xor_b32_e32 v17, 0x80000000, v11
	v_mov_b32_e32 v16, v10
	v_mov_b32_e32 v18, v12
	v_add_u32_e32 v5, 16, v5
	v_cndmask_b32_e32 v19, v13, v19, vcc
	v_cndmask_b32_e64 v17, v11, v17, s[4:5]
	v_add_f64 v[16:17], v[16:17], v[18:19]
	v_mov_b32_e32 v18, s16
	s_add_i32 s16, s16, 1
	s_cmp_lg_u32 s64, s16
	v_cmp_lt_f64_e32 vcc, v[14:15], v[16:17]
	v_cndmask_b32_e32 v1, v1, v11, vcc
	v_cndmask_b32_e32 v0, v0, v10, vcc
	;; [unrolled: 1-line block ×5, first 2 shown]
	s_cbranch_scc1 .LBB120_862
.LBB120_863:
	s_waitcnt lgkmcnt(0)
	v_cmp_eq_f64_e32 vcc, 0, v[0:1]
	v_cmp_eq_f64_e64 s[4:5], 0, v[2:3]
	s_and_b64 s[4:5], vcc, s[4:5]
	s_and_saveexec_b64 s[16:17], s[4:5]
	s_xor_b64 s[4:5], exec, s[16:17]
; %bb.864:
	v_cmp_ne_u32_e32 vcc, 0, v41
	v_cndmask_b32_e32 v41, 37, v41, vcc
; %bb.865:
	s_andn2_saveexec_b64 s[4:5], s[4:5]
	s_cbranch_execz .LBB120_871
; %bb.866:
	v_cmp_ngt_f64_e64 s[16:17], |v[0:1]|, |v[2:3]|
	s_and_saveexec_b64 s[18:19], s[16:17]
	s_xor_b64 s[18:19], exec, s[18:19]
	s_cbranch_execz .LBB120_868
; %bb.867:
	v_div_scale_f64 v[10:11], s[16:17], v[2:3], v[2:3], v[0:1]
	v_rcp_f64_e32 v[12:13], v[10:11]
	v_fma_f64 v[14:15], -v[10:11], v[12:13], 1.0
	v_fma_f64 v[12:13], v[12:13], v[14:15], v[12:13]
	v_div_scale_f64 v[14:15], vcc, v[0:1], v[2:3], v[0:1]
	v_fma_f64 v[16:17], -v[10:11], v[12:13], 1.0
	v_fma_f64 v[12:13], v[12:13], v[16:17], v[12:13]
	v_mul_f64 v[16:17], v[14:15], v[12:13]
	v_fma_f64 v[10:11], -v[10:11], v[16:17], v[14:15]
	v_div_fmas_f64 v[10:11], v[10:11], v[12:13], v[16:17]
	v_div_fixup_f64 v[10:11], v[10:11], v[2:3], v[0:1]
	v_fma_f64 v[0:1], v[0:1], v[10:11], v[2:3]
	v_div_scale_f64 v[2:3], s[16:17], v[0:1], v[0:1], 1.0
	v_div_scale_f64 v[16:17], vcc, 1.0, v[0:1], 1.0
	v_rcp_f64_e32 v[12:13], v[2:3]
	v_fma_f64 v[14:15], -v[2:3], v[12:13], 1.0
	v_fma_f64 v[12:13], v[12:13], v[14:15], v[12:13]
	v_fma_f64 v[14:15], -v[2:3], v[12:13], 1.0
	v_fma_f64 v[12:13], v[12:13], v[14:15], v[12:13]
	v_mul_f64 v[14:15], v[16:17], v[12:13]
	v_fma_f64 v[2:3], -v[2:3], v[14:15], v[16:17]
	v_div_fmas_f64 v[2:3], v[2:3], v[12:13], v[14:15]
	v_div_fixup_f64 v[2:3], v[2:3], v[0:1], 1.0
	v_mul_f64 v[0:1], v[10:11], v[2:3]
	v_xor_b32_e32 v3, 0x80000000, v3
.LBB120_868:
	s_andn2_saveexec_b64 s[18:19], s[18:19]
	s_cbranch_execz .LBB120_870
; %bb.869:
	v_div_scale_f64 v[10:11], s[16:17], v[0:1], v[0:1], v[2:3]
	v_rcp_f64_e32 v[12:13], v[10:11]
	v_fma_f64 v[14:15], -v[10:11], v[12:13], 1.0
	v_fma_f64 v[12:13], v[12:13], v[14:15], v[12:13]
	v_div_scale_f64 v[14:15], vcc, v[2:3], v[0:1], v[2:3]
	v_fma_f64 v[16:17], -v[10:11], v[12:13], 1.0
	v_fma_f64 v[12:13], v[12:13], v[16:17], v[12:13]
	v_mul_f64 v[16:17], v[14:15], v[12:13]
	v_fma_f64 v[10:11], -v[10:11], v[16:17], v[14:15]
	v_div_fmas_f64 v[10:11], v[10:11], v[12:13], v[16:17]
	v_div_fixup_f64 v[10:11], v[10:11], v[0:1], v[2:3]
	v_fma_f64 v[0:1], v[2:3], v[10:11], v[0:1]
	v_div_scale_f64 v[2:3], s[16:17], v[0:1], v[0:1], 1.0
	v_div_scale_f64 v[16:17], vcc, 1.0, v[0:1], 1.0
	v_rcp_f64_e32 v[12:13], v[2:3]
	v_fma_f64 v[14:15], -v[2:3], v[12:13], 1.0
	v_fma_f64 v[12:13], v[12:13], v[14:15], v[12:13]
	v_fma_f64 v[14:15], -v[2:3], v[12:13], 1.0
	v_fma_f64 v[12:13], v[12:13], v[14:15], v[12:13]
	v_mul_f64 v[14:15], v[16:17], v[12:13]
	v_fma_f64 v[2:3], -v[2:3], v[14:15], v[16:17]
	v_div_fmas_f64 v[2:3], v[2:3], v[12:13], v[14:15]
	v_div_fixup_f64 v[0:1], v[2:3], v[0:1], 1.0
	v_mul_f64 v[2:3], v[10:11], -v[0:1]
.LBB120_870:
	s_or_b64 exec, exec, s[18:19]
.LBB120_871:
	s_or_b64 exec, exec, s[4:5]
	v_cmp_ne_u32_e32 vcc, v43, v4
	s_and_saveexec_b64 s[4:5], vcc
	s_xor_b64 s[4:5], exec, s[4:5]
	s_cbranch_execz .LBB120_877
; %bb.872:
	v_cmp_eq_u32_e32 vcc, 36, v43
	s_and_saveexec_b64 s[18:19], vcc
	s_cbranch_execz .LBB120_876
; %bb.873:
	v_cmp_ne_u32_e32 vcc, 36, v4
	s_xor_b64 s[16:17], s[22:23], -1
	s_and_b64 s[16:17], s[16:17], vcc
	s_and_saveexec_b64 s[24:25], s[16:17]
	s_cbranch_execz .LBB120_875
; %bb.874:
	v_ashrrev_i32_e32 v5, 31, v4
	v_lshlrev_b64 v[10:11], 2, v[4:5]
	v_add_co_u32_e32 v10, vcc, v8, v10
	v_addc_co_u32_e32 v11, vcc, v9, v11, vcc
	global_load_dword v5, v[10:11], off
	global_load_dword v12, v[8:9], off offset:144
	s_waitcnt vmcnt(1)
	global_store_dword v[8:9], v5, off offset:144
	s_waitcnt vmcnt(1)
	global_store_dword v[10:11], v12, off
.LBB120_875:
	s_or_b64 exec, exec, s[24:25]
	v_mov_b32_e32 v43, v4
	v_mov_b32_e32 v42, v4
.LBB120_876:
	s_or_b64 exec, exec, s[18:19]
.LBB120_877:
	s_andn2_saveexec_b64 s[4:5], s[4:5]
	s_cbranch_execz .LBB120_879
; %bb.878:
	v_mov_b32_e32 v11, s49
	buffer_load_dword v4, v11, s[0:3], 0 offen
	buffer_load_dword v5, v11, s[0:3], 0 offen offset:4
	buffer_load_dword v10, v11, s[0:3], 0 offen offset:8
	s_nop 0
	buffer_load_dword v11, v11, s[0:3], 0 offen offset:12
	v_mov_b32_e32 v43, 36
	s_waitcnt vmcnt(0)
	ds_write2_b64 v40, v[4:5], v[10:11] offset0:74 offset1:75
	v_mov_b32_e32 v11, s48
	buffer_load_dword v4, v11, s[0:3], 0 offen
	buffer_load_dword v5, v11, s[0:3], 0 offen offset:4
	buffer_load_dword v10, v11, s[0:3], 0 offen offset:8
	s_nop 0
	buffer_load_dword v11, v11, s[0:3], 0 offen offset:12
	s_waitcnt vmcnt(0)
	ds_write2_b64 v40, v[4:5], v[10:11] offset0:76 offset1:77
	v_mov_b32_e32 v11, s46
	buffer_load_dword v4, v11, s[0:3], 0 offen
	buffer_load_dword v5, v11, s[0:3], 0 offen offset:4
	buffer_load_dword v10, v11, s[0:3], 0 offen offset:8
	s_nop 0
	buffer_load_dword v11, v11, s[0:3], 0 offen offset:12
	;; [unrolled: 8-line block ×23, first 2 shown]
	s_waitcnt vmcnt(0)
	ds_write2_b64 v40, v[4:5], v[10:11] offset0:120 offset1:121
.LBB120_879:
	s_or_b64 exec, exec, s[4:5]
	v_cmp_lt_i32_e32 vcc, 36, v43
	s_waitcnt vmcnt(0) lgkmcnt(0)
	s_barrier
	s_and_saveexec_b64 s[4:5], vcc
	s_cbranch_execz .LBB120_881
; %bb.880:
	buffer_load_dword v4, off, s[0:3], 0 offset:576
	buffer_load_dword v5, off, s[0:3], 0 offset:580
	;; [unrolled: 1-line block ×16, first 2 shown]
	s_waitcnt vmcnt(12)
	v_mul_f64 v[24:25], v[2:3], v[10:11]
	v_fma_f64 v[24:25], v[0:1], v[4:5], -v[24:25]
	v_mul_f64 v[0:1], v[0:1], v[10:11]
	v_fma_f64 v[4:5], v[2:3], v[4:5], v[0:1]
	buffer_store_dword v24, off, s[0:3], 0 offset:576
	buffer_store_dword v25, off, s[0:3], 0 offset:580
	buffer_store_dword v4, off, s[0:3], 0 offset:584
	buffer_store_dword v5, off, s[0:3], 0 offset:588
	ds_read2_b64 v[0:3], v40 offset0:74 offset1:75
	s_waitcnt lgkmcnt(0)
	v_mul_f64 v[10:11], v[2:3], v[4:5]
	v_fma_f64 v[10:11], v[0:1], v[24:25], -v[10:11]
	v_mul_f64 v[0:1], v[0:1], v[4:5]
	v_fma_f64 v[0:1], v[2:3], v[24:25], v[0:1]
	s_waitcnt vmcnt(14)
	v_add_f64 v[2:3], v[12:13], -v[10:11]
	s_waitcnt vmcnt(12)
	v_add_f64 v[0:1], v[14:15], -v[0:1]
	buffer_store_dword v2, off, s[0:3], 0 offset:592
	buffer_store_dword v3, off, s[0:3], 0 offset:596
	buffer_store_dword v0, off, s[0:3], 0 offset:600
	buffer_store_dword v1, off, s[0:3], 0 offset:604
	ds_read2_b64 v[0:3], v40 offset0:76 offset1:77
	s_waitcnt lgkmcnt(0)
	v_mul_f64 v[10:11], v[2:3], v[4:5]
	v_fma_f64 v[10:11], v[0:1], v[24:25], -v[10:11]
	v_mul_f64 v[0:1], v[0:1], v[4:5]
	v_fma_f64 v[0:1], v[2:3], v[24:25], v[0:1]
	s_waitcnt vmcnt(14)
	v_add_f64 v[2:3], v[16:17], -v[10:11]
	s_waitcnt vmcnt(12)
	v_add_f64 v[0:1], v[18:19], -v[0:1]
	;; [unrolled: 14-line block ×3, first 2 shown]
	buffer_store_dword v3, off, s[0:3], 0 offset:628
	buffer_store_dword v2, off, s[0:3], 0 offset:624
	buffer_store_dword v0, off, s[0:3], 0 offset:632
	buffer_store_dword v1, off, s[0:3], 0 offset:636
	ds_read2_b64 v[0:3], v40 offset0:80 offset1:81
	s_waitcnt lgkmcnt(0)
	v_mul_f64 v[10:11], v[2:3], v[4:5]
	v_fma_f64 v[10:11], v[0:1], v[24:25], -v[10:11]
	v_mul_f64 v[0:1], v[0:1], v[4:5]
	v_fma_f64 v[0:1], v[2:3], v[24:25], v[0:1]
	buffer_load_dword v2, off, s[0:3], 0 offset:640
	buffer_load_dword v3, off, s[0:3], 0 offset:644
	buffer_load_dword v12, off, s[0:3], 0 offset:648
	buffer_load_dword v13, off, s[0:3], 0 offset:652
	s_waitcnt vmcnt(2)
	v_add_f64 v[2:3], v[2:3], -v[10:11]
	s_waitcnt vmcnt(0)
	v_add_f64 v[0:1], v[12:13], -v[0:1]
	buffer_store_dword v3, off, s[0:3], 0 offset:644
	buffer_store_dword v2, off, s[0:3], 0 offset:640
	buffer_store_dword v1, off, s[0:3], 0 offset:652
	buffer_store_dword v0, off, s[0:3], 0 offset:648
	ds_read2_b64 v[0:3], v40 offset0:82 offset1:83
	s_waitcnt lgkmcnt(0)
	v_mul_f64 v[10:11], v[2:3], v[4:5]
	v_fma_f64 v[10:11], v[0:1], v[24:25], -v[10:11]
	v_mul_f64 v[0:1], v[0:1], v[4:5]
	v_fma_f64 v[0:1], v[2:3], v[24:25], v[0:1]
	buffer_load_dword v2, off, s[0:3], 0 offset:656
	buffer_load_dword v3, off, s[0:3], 0 offset:660
	buffer_load_dword v12, off, s[0:3], 0 offset:664
	buffer_load_dword v13, off, s[0:3], 0 offset:668
	s_waitcnt vmcnt(2)
	v_add_f64 v[2:3], v[2:3], -v[10:11]
	s_waitcnt vmcnt(0)
	v_add_f64 v[0:1], v[12:13], -v[0:1]
	;; [unrolled: 18-line block ×3, first 2 shown]
	buffer_store_dword v3, off, s[0:3], 0 offset:676
	buffer_store_dword v2, off, s[0:3], 0 offset:672
	;; [unrolled: 1-line block ×4, first 2 shown]
	ds_read2_b64 v[0:3], v40 offset0:86 offset1:87
	buffer_load_dword v4, off, s[0:3], 0 offset:576
	buffer_load_dword v5, off, s[0:3], 0 offset:580
	;; [unrolled: 1-line block ×4, first 2 shown]
	s_waitcnt vmcnt(0) lgkmcnt(0)
	v_mul_f64 v[12:13], v[2:3], v[10:11]
	v_fma_f64 v[12:13], v[0:1], v[4:5], -v[12:13]
	v_mul_f64 v[0:1], v[0:1], v[10:11]
	v_fma_f64 v[0:1], v[2:3], v[4:5], v[0:1]
	buffer_load_dword v3, off, s[0:3], 0 offset:692
	buffer_load_dword v2, off, s[0:3], 0 offset:688
	s_waitcnt vmcnt(0)
	v_add_f64 v[2:3], v[2:3], -v[12:13]
	buffer_load_dword v13, off, s[0:3], 0 offset:700
	buffer_load_dword v12, off, s[0:3], 0 offset:696
	s_waitcnt vmcnt(0)
	v_add_f64 v[0:1], v[12:13], -v[0:1]
	buffer_store_dword v3, off, s[0:3], 0 offset:692
	buffer_store_dword v2, off, s[0:3], 0 offset:688
	buffer_store_dword v1, off, s[0:3], 0 offset:700
	buffer_store_dword v0, off, s[0:3], 0 offset:696
	ds_read2_b64 v[0:3], v40 offset0:88 offset1:89
	s_waitcnt lgkmcnt(0)
	v_mul_f64 v[12:13], v[2:3], v[10:11]
	v_fma_f64 v[12:13], v[0:1], v[4:5], -v[12:13]
	v_mul_f64 v[0:1], v[0:1], v[10:11]
	v_fma_f64 v[0:1], v[2:3], v[4:5], v[0:1]
	buffer_load_dword v2, off, s[0:3], 0 offset:704
	buffer_load_dword v3, off, s[0:3], 0 offset:708
	buffer_load_dword v14, off, s[0:3], 0 offset:712
	buffer_load_dword v15, off, s[0:3], 0 offset:716
	s_waitcnt vmcnt(2)
	v_add_f64 v[2:3], v[2:3], -v[12:13]
	s_waitcnt vmcnt(0)
	v_add_f64 v[0:1], v[14:15], -v[0:1]
	buffer_store_dword v3, off, s[0:3], 0 offset:708
	buffer_store_dword v2, off, s[0:3], 0 offset:704
	buffer_store_dword v1, off, s[0:3], 0 offset:716
	buffer_store_dword v0, off, s[0:3], 0 offset:712
	ds_read2_b64 v[0:3], v40 offset0:90 offset1:91
	s_waitcnt lgkmcnt(0)
	v_mul_f64 v[12:13], v[2:3], v[10:11]
	v_fma_f64 v[12:13], v[0:1], v[4:5], -v[12:13]
	v_mul_f64 v[0:1], v[0:1], v[10:11]
	v_fma_f64 v[0:1], v[2:3], v[4:5], v[0:1]
	buffer_load_dword v2, off, s[0:3], 0 offset:720
	buffer_load_dword v3, off, s[0:3], 0 offset:724
	buffer_load_dword v14, off, s[0:3], 0 offset:728
	buffer_load_dword v15, off, s[0:3], 0 offset:732
	s_waitcnt vmcnt(2)
	v_add_f64 v[2:3], v[2:3], -v[12:13]
	;; [unrolled: 18-line block ×5, first 2 shown]
	s_waitcnt vmcnt(0)
	v_add_f64 v[0:1], v[4:5], -v[0:1]
	buffer_store_dword v3, off, s[0:3], 0 offset:772
	buffer_store_dword v2, off, s[0:3], 0 offset:768
	;; [unrolled: 1-line block ×4, first 2 shown]
	ds_read2_b64 v[0:3], v40 offset0:98 offset1:99
	buffer_load_dword v4, off, s[0:3], 0 offset:576
	buffer_load_dword v5, off, s[0:3], 0 offset:580
	;; [unrolled: 1-line block ×4, first 2 shown]
	s_waitcnt vmcnt(0) lgkmcnt(0)
	v_mul_f64 v[12:13], v[2:3], v[10:11]
	v_fma_f64 v[12:13], v[0:1], v[4:5], -v[12:13]
	v_mul_f64 v[0:1], v[0:1], v[10:11]
	v_fma_f64 v[0:1], v[2:3], v[4:5], v[0:1]
	buffer_load_dword v3, off, s[0:3], 0 offset:788
	buffer_load_dword v2, off, s[0:3], 0 offset:784
	s_waitcnt vmcnt(0)
	v_add_f64 v[2:3], v[2:3], -v[12:13]
	buffer_load_dword v13, off, s[0:3], 0 offset:796
	buffer_load_dword v12, off, s[0:3], 0 offset:792
	s_waitcnt vmcnt(0)
	v_add_f64 v[0:1], v[12:13], -v[0:1]
	buffer_store_dword v3, off, s[0:3], 0 offset:788
	buffer_store_dword v2, off, s[0:3], 0 offset:784
	buffer_store_dword v1, off, s[0:3], 0 offset:796
	buffer_store_dword v0, off, s[0:3], 0 offset:792
	ds_read2_b64 v[0:3], v40 offset0:100 offset1:101
	s_waitcnt lgkmcnt(0)
	v_mul_f64 v[12:13], v[2:3], v[10:11]
	v_fma_f64 v[12:13], v[0:1], v[4:5], -v[12:13]
	v_mul_f64 v[0:1], v[0:1], v[10:11]
	v_fma_f64 v[0:1], v[2:3], v[4:5], v[0:1]
	buffer_load_dword v2, off, s[0:3], 0 offset:800
	buffer_load_dword v3, off, s[0:3], 0 offset:804
	buffer_load_dword v14, off, s[0:3], 0 offset:808
	buffer_load_dword v15, off, s[0:3], 0 offset:812
	s_waitcnt vmcnt(2)
	v_add_f64 v[2:3], v[2:3], -v[12:13]
	s_waitcnt vmcnt(0)
	v_add_f64 v[0:1], v[14:15], -v[0:1]
	buffer_store_dword v3, off, s[0:3], 0 offset:804
	buffer_store_dword v2, off, s[0:3], 0 offset:800
	buffer_store_dword v1, off, s[0:3], 0 offset:812
	buffer_store_dword v0, off, s[0:3], 0 offset:808
	ds_read2_b64 v[0:3], v40 offset0:102 offset1:103
	s_waitcnt lgkmcnt(0)
	v_mul_f64 v[12:13], v[2:3], v[10:11]
	v_fma_f64 v[12:13], v[0:1], v[4:5], -v[12:13]
	v_mul_f64 v[0:1], v[0:1], v[10:11]
	v_fma_f64 v[0:1], v[2:3], v[4:5], v[0:1]
	buffer_load_dword v2, off, s[0:3], 0 offset:816
	buffer_load_dword v3, off, s[0:3], 0 offset:820
	buffer_load_dword v14, off, s[0:3], 0 offset:824
	buffer_load_dword v15, off, s[0:3], 0 offset:828
	s_waitcnt vmcnt(2)
	v_add_f64 v[2:3], v[2:3], -v[12:13]
	;; [unrolled: 18-line block ×5, first 2 shown]
	s_waitcnt vmcnt(0)
	v_add_f64 v[0:1], v[4:5], -v[0:1]
	buffer_store_dword v3, off, s[0:3], 0 offset:868
	buffer_store_dword v2, off, s[0:3], 0 offset:864
	;; [unrolled: 1-line block ×4, first 2 shown]
	ds_read2_b64 v[0:3], v40 offset0:110 offset1:111
	buffer_load_dword v4, off, s[0:3], 0 offset:576
	buffer_load_dword v5, off, s[0:3], 0 offset:580
	;; [unrolled: 1-line block ×4, first 2 shown]
	s_waitcnt vmcnt(0) lgkmcnt(0)
	v_mul_f64 v[12:13], v[2:3], v[10:11]
	v_fma_f64 v[12:13], v[0:1], v[4:5], -v[12:13]
	v_mul_f64 v[0:1], v[0:1], v[10:11]
	v_fma_f64 v[0:1], v[2:3], v[4:5], v[0:1]
	buffer_load_dword v3, off, s[0:3], 0 offset:884
	buffer_load_dword v2, off, s[0:3], 0 offset:880
	s_waitcnt vmcnt(0)
	v_add_f64 v[2:3], v[2:3], -v[12:13]
	buffer_load_dword v13, off, s[0:3], 0 offset:892
	buffer_load_dword v12, off, s[0:3], 0 offset:888
	s_waitcnt vmcnt(0)
	v_add_f64 v[0:1], v[12:13], -v[0:1]
	buffer_store_dword v3, off, s[0:3], 0 offset:884
	buffer_store_dword v2, off, s[0:3], 0 offset:880
	buffer_store_dword v1, off, s[0:3], 0 offset:892
	buffer_store_dword v0, off, s[0:3], 0 offset:888
	ds_read2_b64 v[0:3], v40 offset0:112 offset1:113
	s_waitcnt lgkmcnt(0)
	v_mul_f64 v[12:13], v[2:3], v[10:11]
	v_fma_f64 v[12:13], v[0:1], v[4:5], -v[12:13]
	v_mul_f64 v[0:1], v[0:1], v[10:11]
	v_fma_f64 v[0:1], v[2:3], v[4:5], v[0:1]
	buffer_load_dword v2, off, s[0:3], 0 offset:896
	buffer_load_dword v3, off, s[0:3], 0 offset:900
	buffer_load_dword v14, off, s[0:3], 0 offset:904
	buffer_load_dword v15, off, s[0:3], 0 offset:908
	s_waitcnt vmcnt(2)
	v_add_f64 v[2:3], v[2:3], -v[12:13]
	s_waitcnt vmcnt(0)
	v_add_f64 v[0:1], v[14:15], -v[0:1]
	buffer_store_dword v3, off, s[0:3], 0 offset:900
	buffer_store_dword v2, off, s[0:3], 0 offset:896
	buffer_store_dword v1, off, s[0:3], 0 offset:908
	buffer_store_dword v0, off, s[0:3], 0 offset:904
	ds_read2_b64 v[0:3], v40 offset0:114 offset1:115
	s_waitcnt lgkmcnt(0)
	v_mul_f64 v[12:13], v[2:3], v[10:11]
	v_fma_f64 v[12:13], v[0:1], v[4:5], -v[12:13]
	v_mul_f64 v[0:1], v[0:1], v[10:11]
	v_fma_f64 v[0:1], v[2:3], v[4:5], v[0:1]
	buffer_load_dword v2, off, s[0:3], 0 offset:912
	buffer_load_dword v3, off, s[0:3], 0 offset:916
	buffer_load_dword v14, off, s[0:3], 0 offset:920
	buffer_load_dword v15, off, s[0:3], 0 offset:924
	s_waitcnt vmcnt(2)
	v_add_f64 v[2:3], v[2:3], -v[12:13]
	;; [unrolled: 18-line block ×5, first 2 shown]
	s_waitcnt vmcnt(0)
	v_add_f64 v[0:1], v[4:5], -v[0:1]
	buffer_store_dword v3, off, s[0:3], 0 offset:964
	buffer_store_dword v2, off, s[0:3], 0 offset:960
	;; [unrolled: 1-line block ×4, first 2 shown]
.LBB120_881:
	s_or_b64 exec, exec, s[4:5]
	v_mov_b32_e32 v3, s49
	s_waitcnt vmcnt(0)
	s_barrier
	buffer_load_dword v0, v3, s[0:3], 0 offen
	buffer_load_dword v1, v3, s[0:3], 0 offen offset:4
	buffer_load_dword v2, v3, s[0:3], 0 offen offset:8
	s_nop 0
	buffer_load_dword v3, v3, s[0:3], 0 offen offset:12
	v_lshl_add_u32 v4, v43, 4, v40
	s_cmp_lt_i32 s64, 39
	s_waitcnt vmcnt(0)
	ds_write2_b64 v4, v[0:1], v[2:3] offset1:1
	s_waitcnt lgkmcnt(0)
	s_barrier
	ds_read2_b64 v[0:3], v40 offset0:74 offset1:75
	v_mov_b32_e32 v4, 37
	s_cbranch_scc1 .LBB120_884
; %bb.882:
	v_add_u32_e32 v5, 0x260, v40
	s_mov_b32 s16, 38
	v_mov_b32_e32 v4, 37
.LBB120_883:                            ; =>This Inner Loop Header: Depth=1
	s_waitcnt lgkmcnt(0)
	v_cmp_gt_f64_e32 vcc, 0, v[2:3]
	v_cmp_gt_f64_e64 s[4:5], 0, v[0:1]
	ds_read2_b64 v[10:13], v5 offset1:1
	v_xor_b32_e32 v15, 0x80000000, v1
	v_xor_b32_e32 v17, 0x80000000, v3
	v_mov_b32_e32 v14, v0
	v_mov_b32_e32 v16, v2
	s_waitcnt lgkmcnt(0)
	v_xor_b32_e32 v19, 0x80000000, v13
	v_cndmask_b32_e32 v17, v3, v17, vcc
	v_cndmask_b32_e64 v15, v1, v15, s[4:5]
	v_cmp_gt_f64_e32 vcc, 0, v[12:13]
	v_cmp_gt_f64_e64 s[4:5], 0, v[10:11]
	v_add_f64 v[14:15], v[14:15], v[16:17]
	v_xor_b32_e32 v17, 0x80000000, v11
	v_mov_b32_e32 v16, v10
	v_mov_b32_e32 v18, v12
	v_add_u32_e32 v5, 16, v5
	v_cndmask_b32_e32 v19, v13, v19, vcc
	v_cndmask_b32_e64 v17, v11, v17, s[4:5]
	v_add_f64 v[16:17], v[16:17], v[18:19]
	v_mov_b32_e32 v18, s16
	s_add_i32 s16, s16, 1
	s_cmp_lg_u32 s64, s16
	v_cmp_lt_f64_e32 vcc, v[14:15], v[16:17]
	v_cndmask_b32_e32 v1, v1, v11, vcc
	v_cndmask_b32_e32 v0, v0, v10, vcc
	;; [unrolled: 1-line block ×5, first 2 shown]
	s_cbranch_scc1 .LBB120_883
.LBB120_884:
	s_waitcnt lgkmcnt(0)
	v_cmp_eq_f64_e32 vcc, 0, v[0:1]
	v_cmp_eq_f64_e64 s[4:5], 0, v[2:3]
	s_and_b64 s[4:5], vcc, s[4:5]
	s_and_saveexec_b64 s[16:17], s[4:5]
	s_xor_b64 s[4:5], exec, s[16:17]
; %bb.885:
	v_cmp_ne_u32_e32 vcc, 0, v41
	v_cndmask_b32_e32 v41, 38, v41, vcc
; %bb.886:
	s_andn2_saveexec_b64 s[4:5], s[4:5]
	s_cbranch_execz .LBB120_892
; %bb.887:
	v_cmp_ngt_f64_e64 s[16:17], |v[0:1]|, |v[2:3]|
	s_and_saveexec_b64 s[18:19], s[16:17]
	s_xor_b64 s[18:19], exec, s[18:19]
	s_cbranch_execz .LBB120_889
; %bb.888:
	v_div_scale_f64 v[10:11], s[16:17], v[2:3], v[2:3], v[0:1]
	v_rcp_f64_e32 v[12:13], v[10:11]
	v_fma_f64 v[14:15], -v[10:11], v[12:13], 1.0
	v_fma_f64 v[12:13], v[12:13], v[14:15], v[12:13]
	v_div_scale_f64 v[14:15], vcc, v[0:1], v[2:3], v[0:1]
	v_fma_f64 v[16:17], -v[10:11], v[12:13], 1.0
	v_fma_f64 v[12:13], v[12:13], v[16:17], v[12:13]
	v_mul_f64 v[16:17], v[14:15], v[12:13]
	v_fma_f64 v[10:11], -v[10:11], v[16:17], v[14:15]
	v_div_fmas_f64 v[10:11], v[10:11], v[12:13], v[16:17]
	v_div_fixup_f64 v[10:11], v[10:11], v[2:3], v[0:1]
	v_fma_f64 v[0:1], v[0:1], v[10:11], v[2:3]
	v_div_scale_f64 v[2:3], s[16:17], v[0:1], v[0:1], 1.0
	v_div_scale_f64 v[16:17], vcc, 1.0, v[0:1], 1.0
	v_rcp_f64_e32 v[12:13], v[2:3]
	v_fma_f64 v[14:15], -v[2:3], v[12:13], 1.0
	v_fma_f64 v[12:13], v[12:13], v[14:15], v[12:13]
	v_fma_f64 v[14:15], -v[2:3], v[12:13], 1.0
	v_fma_f64 v[12:13], v[12:13], v[14:15], v[12:13]
	v_mul_f64 v[14:15], v[16:17], v[12:13]
	v_fma_f64 v[2:3], -v[2:3], v[14:15], v[16:17]
	v_div_fmas_f64 v[2:3], v[2:3], v[12:13], v[14:15]
	v_div_fixup_f64 v[2:3], v[2:3], v[0:1], 1.0
	v_mul_f64 v[0:1], v[10:11], v[2:3]
	v_xor_b32_e32 v3, 0x80000000, v3
.LBB120_889:
	s_andn2_saveexec_b64 s[18:19], s[18:19]
	s_cbranch_execz .LBB120_891
; %bb.890:
	v_div_scale_f64 v[10:11], s[16:17], v[0:1], v[0:1], v[2:3]
	v_rcp_f64_e32 v[12:13], v[10:11]
	v_fma_f64 v[14:15], -v[10:11], v[12:13], 1.0
	v_fma_f64 v[12:13], v[12:13], v[14:15], v[12:13]
	v_div_scale_f64 v[14:15], vcc, v[2:3], v[0:1], v[2:3]
	v_fma_f64 v[16:17], -v[10:11], v[12:13], 1.0
	v_fma_f64 v[12:13], v[12:13], v[16:17], v[12:13]
	v_mul_f64 v[16:17], v[14:15], v[12:13]
	v_fma_f64 v[10:11], -v[10:11], v[16:17], v[14:15]
	v_div_fmas_f64 v[10:11], v[10:11], v[12:13], v[16:17]
	v_div_fixup_f64 v[10:11], v[10:11], v[0:1], v[2:3]
	v_fma_f64 v[0:1], v[2:3], v[10:11], v[0:1]
	v_div_scale_f64 v[2:3], s[16:17], v[0:1], v[0:1], 1.0
	v_div_scale_f64 v[16:17], vcc, 1.0, v[0:1], 1.0
	v_rcp_f64_e32 v[12:13], v[2:3]
	v_fma_f64 v[14:15], -v[2:3], v[12:13], 1.0
	v_fma_f64 v[12:13], v[12:13], v[14:15], v[12:13]
	v_fma_f64 v[14:15], -v[2:3], v[12:13], 1.0
	v_fma_f64 v[12:13], v[12:13], v[14:15], v[12:13]
	v_mul_f64 v[14:15], v[16:17], v[12:13]
	v_fma_f64 v[2:3], -v[2:3], v[14:15], v[16:17]
	v_div_fmas_f64 v[2:3], v[2:3], v[12:13], v[14:15]
	v_div_fixup_f64 v[0:1], v[2:3], v[0:1], 1.0
	v_mul_f64 v[2:3], v[10:11], -v[0:1]
.LBB120_891:
	s_or_b64 exec, exec, s[18:19]
.LBB120_892:
	s_or_b64 exec, exec, s[4:5]
	v_cmp_ne_u32_e32 vcc, v43, v4
	s_and_saveexec_b64 s[4:5], vcc
	s_xor_b64 s[4:5], exec, s[4:5]
	s_cbranch_execz .LBB120_898
; %bb.893:
	v_cmp_eq_u32_e32 vcc, 37, v43
	s_and_saveexec_b64 s[18:19], vcc
	s_cbranch_execz .LBB120_897
; %bb.894:
	v_cmp_ne_u32_e32 vcc, 37, v4
	s_xor_b64 s[16:17], s[22:23], -1
	s_and_b64 s[16:17], s[16:17], vcc
	s_and_saveexec_b64 s[24:25], s[16:17]
	s_cbranch_execz .LBB120_896
; %bb.895:
	v_ashrrev_i32_e32 v5, 31, v4
	v_lshlrev_b64 v[10:11], 2, v[4:5]
	v_add_co_u32_e32 v10, vcc, v8, v10
	v_addc_co_u32_e32 v11, vcc, v9, v11, vcc
	global_load_dword v5, v[10:11], off
	global_load_dword v12, v[8:9], off offset:148
	s_waitcnt vmcnt(1)
	global_store_dword v[8:9], v5, off offset:148
	s_waitcnt vmcnt(1)
	global_store_dword v[10:11], v12, off
.LBB120_896:
	s_or_b64 exec, exec, s[24:25]
	v_mov_b32_e32 v43, v4
	v_mov_b32_e32 v42, v4
.LBB120_897:
	s_or_b64 exec, exec, s[18:19]
.LBB120_898:
	s_andn2_saveexec_b64 s[4:5], s[4:5]
	s_cbranch_execz .LBB120_900
; %bb.899:
	v_mov_b32_e32 v11, s48
	buffer_load_dword v4, v11, s[0:3], 0 offen
	buffer_load_dword v5, v11, s[0:3], 0 offen offset:4
	buffer_load_dword v10, v11, s[0:3], 0 offen offset:8
	s_nop 0
	buffer_load_dword v11, v11, s[0:3], 0 offen offset:12
	v_mov_b32_e32 v43, 37
	s_waitcnt vmcnt(0)
	ds_write2_b64 v40, v[4:5], v[10:11] offset0:76 offset1:77
	v_mov_b32_e32 v11, s46
	buffer_load_dword v4, v11, s[0:3], 0 offen
	buffer_load_dword v5, v11, s[0:3], 0 offen offset:4
	buffer_load_dword v10, v11, s[0:3], 0 offen offset:8
	s_nop 0
	buffer_load_dword v11, v11, s[0:3], 0 offen offset:12
	s_waitcnt vmcnt(0)
	ds_write2_b64 v40, v[4:5], v[10:11] offset0:78 offset1:79
	v_mov_b32_e32 v11, s45
	buffer_load_dword v4, v11, s[0:3], 0 offen
	buffer_load_dword v5, v11, s[0:3], 0 offen offset:4
	buffer_load_dword v10, v11, s[0:3], 0 offen offset:8
	s_nop 0
	buffer_load_dword v11, v11, s[0:3], 0 offen offset:12
	;; [unrolled: 8-line block ×22, first 2 shown]
	s_waitcnt vmcnt(0)
	ds_write2_b64 v40, v[4:5], v[10:11] offset0:120 offset1:121
.LBB120_900:
	s_or_b64 exec, exec, s[4:5]
	v_cmp_lt_i32_e32 vcc, 37, v43
	s_waitcnt vmcnt(0) lgkmcnt(0)
	s_barrier
	s_and_saveexec_b64 s[4:5], vcc
	s_cbranch_execz .LBB120_902
; %bb.901:
	buffer_load_dword v4, off, s[0:3], 0 offset:592
	buffer_load_dword v5, off, s[0:3], 0 offset:596
	;; [unrolled: 1-line block ×16, first 2 shown]
	s_waitcnt vmcnt(12)
	v_mul_f64 v[24:25], v[2:3], v[10:11]
	v_fma_f64 v[24:25], v[0:1], v[4:5], -v[24:25]
	v_mul_f64 v[0:1], v[0:1], v[10:11]
	v_fma_f64 v[4:5], v[2:3], v[4:5], v[0:1]
	buffer_store_dword v24, off, s[0:3], 0 offset:592
	buffer_store_dword v25, off, s[0:3], 0 offset:596
	buffer_store_dword v4, off, s[0:3], 0 offset:600
	buffer_store_dword v5, off, s[0:3], 0 offset:604
	ds_read2_b64 v[0:3], v40 offset0:76 offset1:77
	s_waitcnt lgkmcnt(0)
	v_mul_f64 v[10:11], v[2:3], v[4:5]
	v_fma_f64 v[10:11], v[0:1], v[24:25], -v[10:11]
	v_mul_f64 v[0:1], v[0:1], v[4:5]
	v_fma_f64 v[0:1], v[2:3], v[24:25], v[0:1]
	s_waitcnt vmcnt(14)
	v_add_f64 v[2:3], v[12:13], -v[10:11]
	s_waitcnt vmcnt(12)
	v_add_f64 v[0:1], v[14:15], -v[0:1]
	buffer_store_dword v2, off, s[0:3], 0 offset:608
	buffer_store_dword v3, off, s[0:3], 0 offset:612
	buffer_store_dword v0, off, s[0:3], 0 offset:616
	buffer_store_dword v1, off, s[0:3], 0 offset:620
	ds_read2_b64 v[0:3], v40 offset0:78 offset1:79
	s_waitcnt lgkmcnt(0)
	v_mul_f64 v[10:11], v[2:3], v[4:5]
	v_fma_f64 v[10:11], v[0:1], v[24:25], -v[10:11]
	v_mul_f64 v[0:1], v[0:1], v[4:5]
	v_fma_f64 v[0:1], v[2:3], v[24:25], v[0:1]
	s_waitcnt vmcnt(14)
	v_add_f64 v[2:3], v[16:17], -v[10:11]
	s_waitcnt vmcnt(12)
	v_add_f64 v[0:1], v[18:19], -v[0:1]
	;; [unrolled: 14-line block ×3, first 2 shown]
	buffer_store_dword v3, off, s[0:3], 0 offset:644
	buffer_store_dword v2, off, s[0:3], 0 offset:640
	buffer_store_dword v0, off, s[0:3], 0 offset:648
	buffer_store_dword v1, off, s[0:3], 0 offset:652
	ds_read2_b64 v[0:3], v40 offset0:82 offset1:83
	s_waitcnt lgkmcnt(0)
	v_mul_f64 v[10:11], v[2:3], v[4:5]
	v_fma_f64 v[10:11], v[0:1], v[24:25], -v[10:11]
	v_mul_f64 v[0:1], v[0:1], v[4:5]
	v_fma_f64 v[0:1], v[2:3], v[24:25], v[0:1]
	buffer_load_dword v2, off, s[0:3], 0 offset:656
	buffer_load_dword v3, off, s[0:3], 0 offset:660
	buffer_load_dword v12, off, s[0:3], 0 offset:664
	buffer_load_dword v13, off, s[0:3], 0 offset:668
	s_waitcnt vmcnt(2)
	v_add_f64 v[2:3], v[2:3], -v[10:11]
	s_waitcnt vmcnt(0)
	v_add_f64 v[0:1], v[12:13], -v[0:1]
	buffer_store_dword v3, off, s[0:3], 0 offset:660
	buffer_store_dword v2, off, s[0:3], 0 offset:656
	buffer_store_dword v1, off, s[0:3], 0 offset:668
	buffer_store_dword v0, off, s[0:3], 0 offset:664
	ds_read2_b64 v[0:3], v40 offset0:84 offset1:85
	s_waitcnt lgkmcnt(0)
	v_mul_f64 v[10:11], v[2:3], v[4:5]
	v_fma_f64 v[10:11], v[0:1], v[24:25], -v[10:11]
	v_mul_f64 v[0:1], v[0:1], v[4:5]
	v_fma_f64 v[0:1], v[2:3], v[24:25], v[0:1]
	buffer_load_dword v2, off, s[0:3], 0 offset:672
	buffer_load_dword v3, off, s[0:3], 0 offset:676
	buffer_load_dword v12, off, s[0:3], 0 offset:680
	buffer_load_dword v13, off, s[0:3], 0 offset:684
	s_waitcnt vmcnt(2)
	v_add_f64 v[2:3], v[2:3], -v[10:11]
	s_waitcnt vmcnt(0)
	v_add_f64 v[0:1], v[12:13], -v[0:1]
	;; [unrolled: 18-line block ×3, first 2 shown]
	buffer_store_dword v3, off, s[0:3], 0 offset:692
	buffer_store_dword v2, off, s[0:3], 0 offset:688
	buffer_store_dword v1, off, s[0:3], 0 offset:700
	buffer_store_dword v0, off, s[0:3], 0 offset:696
	ds_read2_b64 v[0:3], v40 offset0:88 offset1:89
	buffer_load_dword v4, off, s[0:3], 0 offset:592
	buffer_load_dword v5, off, s[0:3], 0 offset:596
	;; [unrolled: 1-line block ×4, first 2 shown]
	s_waitcnt vmcnt(0) lgkmcnt(0)
	v_mul_f64 v[12:13], v[2:3], v[10:11]
	v_fma_f64 v[12:13], v[0:1], v[4:5], -v[12:13]
	v_mul_f64 v[0:1], v[0:1], v[10:11]
	v_fma_f64 v[0:1], v[2:3], v[4:5], v[0:1]
	buffer_load_dword v3, off, s[0:3], 0 offset:708
	buffer_load_dword v2, off, s[0:3], 0 offset:704
	s_waitcnt vmcnt(0)
	v_add_f64 v[2:3], v[2:3], -v[12:13]
	buffer_load_dword v13, off, s[0:3], 0 offset:716
	buffer_load_dword v12, off, s[0:3], 0 offset:712
	s_waitcnt vmcnt(0)
	v_add_f64 v[0:1], v[12:13], -v[0:1]
	buffer_store_dword v3, off, s[0:3], 0 offset:708
	buffer_store_dword v2, off, s[0:3], 0 offset:704
	buffer_store_dword v1, off, s[0:3], 0 offset:716
	buffer_store_dword v0, off, s[0:3], 0 offset:712
	ds_read2_b64 v[0:3], v40 offset0:90 offset1:91
	s_waitcnt lgkmcnt(0)
	v_mul_f64 v[12:13], v[2:3], v[10:11]
	v_fma_f64 v[12:13], v[0:1], v[4:5], -v[12:13]
	v_mul_f64 v[0:1], v[0:1], v[10:11]
	v_fma_f64 v[0:1], v[2:3], v[4:5], v[0:1]
	buffer_load_dword v2, off, s[0:3], 0 offset:720
	buffer_load_dword v3, off, s[0:3], 0 offset:724
	buffer_load_dword v14, off, s[0:3], 0 offset:728
	buffer_load_dword v15, off, s[0:3], 0 offset:732
	s_waitcnt vmcnt(2)
	v_add_f64 v[2:3], v[2:3], -v[12:13]
	s_waitcnt vmcnt(0)
	v_add_f64 v[0:1], v[14:15], -v[0:1]
	buffer_store_dword v3, off, s[0:3], 0 offset:724
	buffer_store_dword v2, off, s[0:3], 0 offset:720
	buffer_store_dword v1, off, s[0:3], 0 offset:732
	buffer_store_dword v0, off, s[0:3], 0 offset:728
	ds_read2_b64 v[0:3], v40 offset0:92 offset1:93
	s_waitcnt lgkmcnt(0)
	v_mul_f64 v[12:13], v[2:3], v[10:11]
	v_fma_f64 v[12:13], v[0:1], v[4:5], -v[12:13]
	v_mul_f64 v[0:1], v[0:1], v[10:11]
	v_fma_f64 v[0:1], v[2:3], v[4:5], v[0:1]
	buffer_load_dword v2, off, s[0:3], 0 offset:736
	buffer_load_dword v3, off, s[0:3], 0 offset:740
	buffer_load_dword v14, off, s[0:3], 0 offset:744
	buffer_load_dword v15, off, s[0:3], 0 offset:748
	s_waitcnt vmcnt(2)
	v_add_f64 v[2:3], v[2:3], -v[12:13]
	;; [unrolled: 18-line block ×5, first 2 shown]
	s_waitcnt vmcnt(0)
	v_add_f64 v[0:1], v[4:5], -v[0:1]
	buffer_store_dword v3, off, s[0:3], 0 offset:788
	buffer_store_dword v2, off, s[0:3], 0 offset:784
	;; [unrolled: 1-line block ×4, first 2 shown]
	ds_read2_b64 v[0:3], v40 offset0:100 offset1:101
	buffer_load_dword v4, off, s[0:3], 0 offset:592
	buffer_load_dword v5, off, s[0:3], 0 offset:596
	;; [unrolled: 1-line block ×4, first 2 shown]
	s_waitcnt vmcnt(0) lgkmcnt(0)
	v_mul_f64 v[12:13], v[2:3], v[10:11]
	v_fma_f64 v[12:13], v[0:1], v[4:5], -v[12:13]
	v_mul_f64 v[0:1], v[0:1], v[10:11]
	v_fma_f64 v[0:1], v[2:3], v[4:5], v[0:1]
	buffer_load_dword v3, off, s[0:3], 0 offset:804
	buffer_load_dword v2, off, s[0:3], 0 offset:800
	s_waitcnt vmcnt(0)
	v_add_f64 v[2:3], v[2:3], -v[12:13]
	buffer_load_dword v13, off, s[0:3], 0 offset:812
	buffer_load_dword v12, off, s[0:3], 0 offset:808
	s_waitcnt vmcnt(0)
	v_add_f64 v[0:1], v[12:13], -v[0:1]
	buffer_store_dword v3, off, s[0:3], 0 offset:804
	buffer_store_dword v2, off, s[0:3], 0 offset:800
	buffer_store_dword v1, off, s[0:3], 0 offset:812
	buffer_store_dword v0, off, s[0:3], 0 offset:808
	ds_read2_b64 v[0:3], v40 offset0:102 offset1:103
	s_waitcnt lgkmcnt(0)
	v_mul_f64 v[12:13], v[2:3], v[10:11]
	v_fma_f64 v[12:13], v[0:1], v[4:5], -v[12:13]
	v_mul_f64 v[0:1], v[0:1], v[10:11]
	v_fma_f64 v[0:1], v[2:3], v[4:5], v[0:1]
	buffer_load_dword v2, off, s[0:3], 0 offset:816
	buffer_load_dword v3, off, s[0:3], 0 offset:820
	buffer_load_dword v14, off, s[0:3], 0 offset:824
	buffer_load_dword v15, off, s[0:3], 0 offset:828
	s_waitcnt vmcnt(2)
	v_add_f64 v[2:3], v[2:3], -v[12:13]
	s_waitcnt vmcnt(0)
	v_add_f64 v[0:1], v[14:15], -v[0:1]
	buffer_store_dword v3, off, s[0:3], 0 offset:820
	buffer_store_dword v2, off, s[0:3], 0 offset:816
	buffer_store_dword v1, off, s[0:3], 0 offset:828
	buffer_store_dword v0, off, s[0:3], 0 offset:824
	ds_read2_b64 v[0:3], v40 offset0:104 offset1:105
	s_waitcnt lgkmcnt(0)
	v_mul_f64 v[12:13], v[2:3], v[10:11]
	v_fma_f64 v[12:13], v[0:1], v[4:5], -v[12:13]
	v_mul_f64 v[0:1], v[0:1], v[10:11]
	v_fma_f64 v[0:1], v[2:3], v[4:5], v[0:1]
	buffer_load_dword v2, off, s[0:3], 0 offset:832
	buffer_load_dword v3, off, s[0:3], 0 offset:836
	buffer_load_dword v14, off, s[0:3], 0 offset:840
	buffer_load_dword v15, off, s[0:3], 0 offset:844
	s_waitcnt vmcnt(2)
	v_add_f64 v[2:3], v[2:3], -v[12:13]
	;; [unrolled: 18-line block ×5, first 2 shown]
	s_waitcnt vmcnt(0)
	v_add_f64 v[0:1], v[4:5], -v[0:1]
	buffer_store_dword v3, off, s[0:3], 0 offset:884
	buffer_store_dword v2, off, s[0:3], 0 offset:880
	;; [unrolled: 1-line block ×4, first 2 shown]
	ds_read2_b64 v[0:3], v40 offset0:112 offset1:113
	buffer_load_dword v4, off, s[0:3], 0 offset:592
	buffer_load_dword v5, off, s[0:3], 0 offset:596
	;; [unrolled: 1-line block ×4, first 2 shown]
	s_waitcnt vmcnt(0) lgkmcnt(0)
	v_mul_f64 v[12:13], v[2:3], v[10:11]
	v_fma_f64 v[12:13], v[0:1], v[4:5], -v[12:13]
	v_mul_f64 v[0:1], v[0:1], v[10:11]
	v_fma_f64 v[0:1], v[2:3], v[4:5], v[0:1]
	buffer_load_dword v3, off, s[0:3], 0 offset:900
	buffer_load_dword v2, off, s[0:3], 0 offset:896
	s_waitcnt vmcnt(0)
	v_add_f64 v[2:3], v[2:3], -v[12:13]
	buffer_load_dword v13, off, s[0:3], 0 offset:908
	buffer_load_dword v12, off, s[0:3], 0 offset:904
	s_waitcnt vmcnt(0)
	v_add_f64 v[0:1], v[12:13], -v[0:1]
	buffer_store_dword v3, off, s[0:3], 0 offset:900
	buffer_store_dword v2, off, s[0:3], 0 offset:896
	buffer_store_dword v1, off, s[0:3], 0 offset:908
	buffer_store_dword v0, off, s[0:3], 0 offset:904
	ds_read2_b64 v[0:3], v40 offset0:114 offset1:115
	s_waitcnt lgkmcnt(0)
	v_mul_f64 v[12:13], v[2:3], v[10:11]
	v_fma_f64 v[12:13], v[0:1], v[4:5], -v[12:13]
	v_mul_f64 v[0:1], v[0:1], v[10:11]
	v_fma_f64 v[0:1], v[2:3], v[4:5], v[0:1]
	buffer_load_dword v2, off, s[0:3], 0 offset:912
	buffer_load_dword v3, off, s[0:3], 0 offset:916
	buffer_load_dword v14, off, s[0:3], 0 offset:920
	buffer_load_dword v15, off, s[0:3], 0 offset:924
	s_waitcnt vmcnt(2)
	v_add_f64 v[2:3], v[2:3], -v[12:13]
	s_waitcnt vmcnt(0)
	v_add_f64 v[0:1], v[14:15], -v[0:1]
	buffer_store_dword v3, off, s[0:3], 0 offset:916
	buffer_store_dword v2, off, s[0:3], 0 offset:912
	buffer_store_dword v1, off, s[0:3], 0 offset:924
	buffer_store_dword v0, off, s[0:3], 0 offset:920
	ds_read2_b64 v[0:3], v40 offset0:116 offset1:117
	s_waitcnt lgkmcnt(0)
	v_mul_f64 v[12:13], v[2:3], v[10:11]
	v_fma_f64 v[12:13], v[0:1], v[4:5], -v[12:13]
	v_mul_f64 v[0:1], v[0:1], v[10:11]
	v_fma_f64 v[0:1], v[2:3], v[4:5], v[0:1]
	buffer_load_dword v2, off, s[0:3], 0 offset:928
	buffer_load_dword v3, off, s[0:3], 0 offset:932
	buffer_load_dword v14, off, s[0:3], 0 offset:936
	buffer_load_dword v15, off, s[0:3], 0 offset:940
	s_waitcnt vmcnt(2)
	v_add_f64 v[2:3], v[2:3], -v[12:13]
	;; [unrolled: 18-line block ×4, first 2 shown]
	s_waitcnt vmcnt(0)
	v_add_f64 v[0:1], v[4:5], -v[0:1]
	buffer_store_dword v3, off, s[0:3], 0 offset:964
	buffer_store_dword v2, off, s[0:3], 0 offset:960
	;; [unrolled: 1-line block ×4, first 2 shown]
.LBB120_902:
	s_or_b64 exec, exec, s[4:5]
	v_mov_b32_e32 v3, s48
	s_waitcnt vmcnt(0)
	s_barrier
	buffer_load_dword v0, v3, s[0:3], 0 offen
	buffer_load_dword v1, v3, s[0:3], 0 offen offset:4
	buffer_load_dword v2, v3, s[0:3], 0 offen offset:8
	s_nop 0
	buffer_load_dword v3, v3, s[0:3], 0 offen offset:12
	v_lshl_add_u32 v4, v43, 4, v40
	s_cmp_lt_i32 s64, 40
	s_waitcnt vmcnt(0)
	ds_write2_b64 v4, v[0:1], v[2:3] offset1:1
	s_waitcnt lgkmcnt(0)
	s_barrier
	ds_read2_b64 v[0:3], v40 offset0:76 offset1:77
	v_mov_b32_e32 v4, 38
	s_cbranch_scc1 .LBB120_905
; %bb.903:
	v_add_u32_e32 v5, 0x270, v40
	s_mov_b32 s16, 39
	v_mov_b32_e32 v4, 38
.LBB120_904:                            ; =>This Inner Loop Header: Depth=1
	s_waitcnt lgkmcnt(0)
	v_cmp_gt_f64_e32 vcc, 0, v[2:3]
	v_cmp_gt_f64_e64 s[4:5], 0, v[0:1]
	ds_read2_b64 v[10:13], v5 offset1:1
	v_xor_b32_e32 v15, 0x80000000, v1
	v_xor_b32_e32 v17, 0x80000000, v3
	v_mov_b32_e32 v14, v0
	v_mov_b32_e32 v16, v2
	s_waitcnt lgkmcnt(0)
	v_xor_b32_e32 v19, 0x80000000, v13
	v_cndmask_b32_e32 v17, v3, v17, vcc
	v_cndmask_b32_e64 v15, v1, v15, s[4:5]
	v_cmp_gt_f64_e32 vcc, 0, v[12:13]
	v_cmp_gt_f64_e64 s[4:5], 0, v[10:11]
	v_add_f64 v[14:15], v[14:15], v[16:17]
	v_xor_b32_e32 v17, 0x80000000, v11
	v_mov_b32_e32 v16, v10
	v_mov_b32_e32 v18, v12
	v_add_u32_e32 v5, 16, v5
	v_cndmask_b32_e32 v19, v13, v19, vcc
	v_cndmask_b32_e64 v17, v11, v17, s[4:5]
	v_add_f64 v[16:17], v[16:17], v[18:19]
	v_mov_b32_e32 v18, s16
	s_add_i32 s16, s16, 1
	s_cmp_lg_u32 s64, s16
	v_cmp_lt_f64_e32 vcc, v[14:15], v[16:17]
	v_cndmask_b32_e32 v1, v1, v11, vcc
	v_cndmask_b32_e32 v0, v0, v10, vcc
	;; [unrolled: 1-line block ×5, first 2 shown]
	s_cbranch_scc1 .LBB120_904
.LBB120_905:
	s_waitcnt lgkmcnt(0)
	v_cmp_eq_f64_e32 vcc, 0, v[0:1]
	v_cmp_eq_f64_e64 s[4:5], 0, v[2:3]
	s_and_b64 s[4:5], vcc, s[4:5]
	s_and_saveexec_b64 s[16:17], s[4:5]
	s_xor_b64 s[4:5], exec, s[16:17]
; %bb.906:
	v_cmp_ne_u32_e32 vcc, 0, v41
	v_cndmask_b32_e32 v41, 39, v41, vcc
; %bb.907:
	s_andn2_saveexec_b64 s[4:5], s[4:5]
	s_cbranch_execz .LBB120_913
; %bb.908:
	v_cmp_ngt_f64_e64 s[16:17], |v[0:1]|, |v[2:3]|
	s_and_saveexec_b64 s[18:19], s[16:17]
	s_xor_b64 s[18:19], exec, s[18:19]
	s_cbranch_execz .LBB120_910
; %bb.909:
	v_div_scale_f64 v[10:11], s[16:17], v[2:3], v[2:3], v[0:1]
	v_rcp_f64_e32 v[12:13], v[10:11]
	v_fma_f64 v[14:15], -v[10:11], v[12:13], 1.0
	v_fma_f64 v[12:13], v[12:13], v[14:15], v[12:13]
	v_div_scale_f64 v[14:15], vcc, v[0:1], v[2:3], v[0:1]
	v_fma_f64 v[16:17], -v[10:11], v[12:13], 1.0
	v_fma_f64 v[12:13], v[12:13], v[16:17], v[12:13]
	v_mul_f64 v[16:17], v[14:15], v[12:13]
	v_fma_f64 v[10:11], -v[10:11], v[16:17], v[14:15]
	v_div_fmas_f64 v[10:11], v[10:11], v[12:13], v[16:17]
	v_div_fixup_f64 v[10:11], v[10:11], v[2:3], v[0:1]
	v_fma_f64 v[0:1], v[0:1], v[10:11], v[2:3]
	v_div_scale_f64 v[2:3], s[16:17], v[0:1], v[0:1], 1.0
	v_div_scale_f64 v[16:17], vcc, 1.0, v[0:1], 1.0
	v_rcp_f64_e32 v[12:13], v[2:3]
	v_fma_f64 v[14:15], -v[2:3], v[12:13], 1.0
	v_fma_f64 v[12:13], v[12:13], v[14:15], v[12:13]
	v_fma_f64 v[14:15], -v[2:3], v[12:13], 1.0
	v_fma_f64 v[12:13], v[12:13], v[14:15], v[12:13]
	v_mul_f64 v[14:15], v[16:17], v[12:13]
	v_fma_f64 v[2:3], -v[2:3], v[14:15], v[16:17]
	v_div_fmas_f64 v[2:3], v[2:3], v[12:13], v[14:15]
	v_div_fixup_f64 v[2:3], v[2:3], v[0:1], 1.0
	v_mul_f64 v[0:1], v[10:11], v[2:3]
	v_xor_b32_e32 v3, 0x80000000, v3
.LBB120_910:
	s_andn2_saveexec_b64 s[18:19], s[18:19]
	s_cbranch_execz .LBB120_912
; %bb.911:
	v_div_scale_f64 v[10:11], s[16:17], v[0:1], v[0:1], v[2:3]
	v_rcp_f64_e32 v[12:13], v[10:11]
	v_fma_f64 v[14:15], -v[10:11], v[12:13], 1.0
	v_fma_f64 v[12:13], v[12:13], v[14:15], v[12:13]
	v_div_scale_f64 v[14:15], vcc, v[2:3], v[0:1], v[2:3]
	v_fma_f64 v[16:17], -v[10:11], v[12:13], 1.0
	v_fma_f64 v[12:13], v[12:13], v[16:17], v[12:13]
	v_mul_f64 v[16:17], v[14:15], v[12:13]
	v_fma_f64 v[10:11], -v[10:11], v[16:17], v[14:15]
	v_div_fmas_f64 v[10:11], v[10:11], v[12:13], v[16:17]
	v_div_fixup_f64 v[10:11], v[10:11], v[0:1], v[2:3]
	v_fma_f64 v[0:1], v[2:3], v[10:11], v[0:1]
	v_div_scale_f64 v[2:3], s[16:17], v[0:1], v[0:1], 1.0
	v_div_scale_f64 v[16:17], vcc, 1.0, v[0:1], 1.0
	v_rcp_f64_e32 v[12:13], v[2:3]
	v_fma_f64 v[14:15], -v[2:3], v[12:13], 1.0
	v_fma_f64 v[12:13], v[12:13], v[14:15], v[12:13]
	v_fma_f64 v[14:15], -v[2:3], v[12:13], 1.0
	v_fma_f64 v[12:13], v[12:13], v[14:15], v[12:13]
	v_mul_f64 v[14:15], v[16:17], v[12:13]
	v_fma_f64 v[2:3], -v[2:3], v[14:15], v[16:17]
	v_div_fmas_f64 v[2:3], v[2:3], v[12:13], v[14:15]
	v_div_fixup_f64 v[0:1], v[2:3], v[0:1], 1.0
	v_mul_f64 v[2:3], v[10:11], -v[0:1]
.LBB120_912:
	s_or_b64 exec, exec, s[18:19]
.LBB120_913:
	s_or_b64 exec, exec, s[4:5]
	v_cmp_ne_u32_e32 vcc, v43, v4
	s_and_saveexec_b64 s[4:5], vcc
	s_xor_b64 s[4:5], exec, s[4:5]
	s_cbranch_execz .LBB120_919
; %bb.914:
	v_cmp_eq_u32_e32 vcc, 38, v43
	s_and_saveexec_b64 s[18:19], vcc
	s_cbranch_execz .LBB120_918
; %bb.915:
	v_cmp_ne_u32_e32 vcc, 38, v4
	s_xor_b64 s[16:17], s[22:23], -1
	s_and_b64 s[16:17], s[16:17], vcc
	s_and_saveexec_b64 s[24:25], s[16:17]
	s_cbranch_execz .LBB120_917
; %bb.916:
	v_ashrrev_i32_e32 v5, 31, v4
	v_lshlrev_b64 v[10:11], 2, v[4:5]
	v_add_co_u32_e32 v10, vcc, v8, v10
	v_addc_co_u32_e32 v11, vcc, v9, v11, vcc
	global_load_dword v5, v[10:11], off
	global_load_dword v12, v[8:9], off offset:152
	s_waitcnt vmcnt(1)
	global_store_dword v[8:9], v5, off offset:152
	s_waitcnt vmcnt(1)
	global_store_dword v[10:11], v12, off
.LBB120_917:
	s_or_b64 exec, exec, s[24:25]
	v_mov_b32_e32 v43, v4
	v_mov_b32_e32 v42, v4
.LBB120_918:
	s_or_b64 exec, exec, s[18:19]
.LBB120_919:
	s_andn2_saveexec_b64 s[4:5], s[4:5]
	s_cbranch_execz .LBB120_921
; %bb.920:
	v_mov_b32_e32 v11, s46
	buffer_load_dword v4, v11, s[0:3], 0 offen
	buffer_load_dword v5, v11, s[0:3], 0 offen offset:4
	buffer_load_dword v10, v11, s[0:3], 0 offen offset:8
	s_nop 0
	buffer_load_dword v11, v11, s[0:3], 0 offen offset:12
	v_mov_b32_e32 v43, 38
	s_waitcnt vmcnt(0)
	ds_write2_b64 v40, v[4:5], v[10:11] offset0:78 offset1:79
	v_mov_b32_e32 v11, s45
	buffer_load_dword v4, v11, s[0:3], 0 offen
	buffer_load_dword v5, v11, s[0:3], 0 offen offset:4
	buffer_load_dword v10, v11, s[0:3], 0 offen offset:8
	s_nop 0
	buffer_load_dword v11, v11, s[0:3], 0 offen offset:12
	s_waitcnt vmcnt(0)
	ds_write2_b64 v40, v[4:5], v[10:11] offset0:80 offset1:81
	v_mov_b32_e32 v11, s44
	buffer_load_dword v4, v11, s[0:3], 0 offen
	buffer_load_dword v5, v11, s[0:3], 0 offen offset:4
	buffer_load_dword v10, v11, s[0:3], 0 offen offset:8
	s_nop 0
	buffer_load_dword v11, v11, s[0:3], 0 offen offset:12
	;; [unrolled: 8-line block ×21, first 2 shown]
	s_waitcnt vmcnt(0)
	ds_write2_b64 v40, v[4:5], v[10:11] offset0:120 offset1:121
.LBB120_921:
	s_or_b64 exec, exec, s[4:5]
	v_cmp_lt_i32_e32 vcc, 38, v43
	s_waitcnt vmcnt(0) lgkmcnt(0)
	s_barrier
	s_and_saveexec_b64 s[4:5], vcc
	s_cbranch_execz .LBB120_923
; %bb.922:
	buffer_load_dword v4, off, s[0:3], 0 offset:608
	buffer_load_dword v5, off, s[0:3], 0 offset:612
	;; [unrolled: 1-line block ×16, first 2 shown]
	s_waitcnt vmcnt(12)
	v_mul_f64 v[24:25], v[2:3], v[10:11]
	v_fma_f64 v[24:25], v[0:1], v[4:5], -v[24:25]
	v_mul_f64 v[0:1], v[0:1], v[10:11]
	v_fma_f64 v[4:5], v[2:3], v[4:5], v[0:1]
	buffer_store_dword v24, off, s[0:3], 0 offset:608
	buffer_store_dword v25, off, s[0:3], 0 offset:612
	buffer_store_dword v4, off, s[0:3], 0 offset:616
	buffer_store_dword v5, off, s[0:3], 0 offset:620
	ds_read2_b64 v[0:3], v40 offset0:78 offset1:79
	s_waitcnt lgkmcnt(0)
	v_mul_f64 v[10:11], v[2:3], v[4:5]
	v_fma_f64 v[10:11], v[0:1], v[24:25], -v[10:11]
	v_mul_f64 v[0:1], v[0:1], v[4:5]
	v_fma_f64 v[0:1], v[2:3], v[24:25], v[0:1]
	s_waitcnt vmcnt(14)
	v_add_f64 v[2:3], v[12:13], -v[10:11]
	s_waitcnt vmcnt(12)
	v_add_f64 v[0:1], v[14:15], -v[0:1]
	buffer_store_dword v2, off, s[0:3], 0 offset:624
	buffer_store_dword v3, off, s[0:3], 0 offset:628
	buffer_store_dword v0, off, s[0:3], 0 offset:632
	buffer_store_dword v1, off, s[0:3], 0 offset:636
	ds_read2_b64 v[0:3], v40 offset0:80 offset1:81
	s_waitcnt lgkmcnt(0)
	v_mul_f64 v[10:11], v[2:3], v[4:5]
	v_fma_f64 v[10:11], v[0:1], v[24:25], -v[10:11]
	v_mul_f64 v[0:1], v[0:1], v[4:5]
	v_fma_f64 v[0:1], v[2:3], v[24:25], v[0:1]
	s_waitcnt vmcnt(14)
	v_add_f64 v[2:3], v[16:17], -v[10:11]
	s_waitcnt vmcnt(12)
	v_add_f64 v[0:1], v[18:19], -v[0:1]
	;; [unrolled: 14-line block ×3, first 2 shown]
	buffer_store_dword v3, off, s[0:3], 0 offset:660
	buffer_store_dword v2, off, s[0:3], 0 offset:656
	buffer_store_dword v0, off, s[0:3], 0 offset:664
	buffer_store_dword v1, off, s[0:3], 0 offset:668
	ds_read2_b64 v[0:3], v40 offset0:84 offset1:85
	s_waitcnt lgkmcnt(0)
	v_mul_f64 v[10:11], v[2:3], v[4:5]
	v_fma_f64 v[10:11], v[0:1], v[24:25], -v[10:11]
	v_mul_f64 v[0:1], v[0:1], v[4:5]
	v_fma_f64 v[0:1], v[2:3], v[24:25], v[0:1]
	buffer_load_dword v2, off, s[0:3], 0 offset:672
	buffer_load_dword v3, off, s[0:3], 0 offset:676
	buffer_load_dword v12, off, s[0:3], 0 offset:680
	buffer_load_dword v13, off, s[0:3], 0 offset:684
	s_waitcnt vmcnt(2)
	v_add_f64 v[2:3], v[2:3], -v[10:11]
	s_waitcnt vmcnt(0)
	v_add_f64 v[0:1], v[12:13], -v[0:1]
	buffer_store_dword v3, off, s[0:3], 0 offset:676
	buffer_store_dword v2, off, s[0:3], 0 offset:672
	buffer_store_dword v1, off, s[0:3], 0 offset:684
	buffer_store_dword v0, off, s[0:3], 0 offset:680
	ds_read2_b64 v[0:3], v40 offset0:86 offset1:87
	s_waitcnt lgkmcnt(0)
	v_mul_f64 v[10:11], v[2:3], v[4:5]
	v_fma_f64 v[10:11], v[0:1], v[24:25], -v[10:11]
	v_mul_f64 v[0:1], v[0:1], v[4:5]
	v_fma_f64 v[0:1], v[2:3], v[24:25], v[0:1]
	buffer_load_dword v2, off, s[0:3], 0 offset:688
	buffer_load_dword v3, off, s[0:3], 0 offset:692
	buffer_load_dword v12, off, s[0:3], 0 offset:696
	buffer_load_dword v13, off, s[0:3], 0 offset:700
	s_waitcnt vmcnt(2)
	v_add_f64 v[2:3], v[2:3], -v[10:11]
	s_waitcnt vmcnt(0)
	v_add_f64 v[0:1], v[12:13], -v[0:1]
	;; [unrolled: 18-line block ×3, first 2 shown]
	buffer_store_dword v3, off, s[0:3], 0 offset:708
	buffer_store_dword v2, off, s[0:3], 0 offset:704
	;; [unrolled: 1-line block ×4, first 2 shown]
	ds_read2_b64 v[0:3], v40 offset0:90 offset1:91
	buffer_load_dword v4, off, s[0:3], 0 offset:608
	buffer_load_dword v5, off, s[0:3], 0 offset:612
	;; [unrolled: 1-line block ×4, first 2 shown]
	s_waitcnt vmcnt(0) lgkmcnt(0)
	v_mul_f64 v[12:13], v[2:3], v[10:11]
	v_fma_f64 v[12:13], v[0:1], v[4:5], -v[12:13]
	v_mul_f64 v[0:1], v[0:1], v[10:11]
	v_fma_f64 v[0:1], v[2:3], v[4:5], v[0:1]
	buffer_load_dword v3, off, s[0:3], 0 offset:724
	buffer_load_dword v2, off, s[0:3], 0 offset:720
	s_waitcnt vmcnt(0)
	v_add_f64 v[2:3], v[2:3], -v[12:13]
	buffer_load_dword v13, off, s[0:3], 0 offset:732
	buffer_load_dword v12, off, s[0:3], 0 offset:728
	s_waitcnt vmcnt(0)
	v_add_f64 v[0:1], v[12:13], -v[0:1]
	buffer_store_dword v3, off, s[0:3], 0 offset:724
	buffer_store_dword v2, off, s[0:3], 0 offset:720
	buffer_store_dword v1, off, s[0:3], 0 offset:732
	buffer_store_dword v0, off, s[0:3], 0 offset:728
	ds_read2_b64 v[0:3], v40 offset0:92 offset1:93
	s_waitcnt lgkmcnt(0)
	v_mul_f64 v[12:13], v[2:3], v[10:11]
	v_fma_f64 v[12:13], v[0:1], v[4:5], -v[12:13]
	v_mul_f64 v[0:1], v[0:1], v[10:11]
	v_fma_f64 v[0:1], v[2:3], v[4:5], v[0:1]
	buffer_load_dword v2, off, s[0:3], 0 offset:736
	buffer_load_dword v3, off, s[0:3], 0 offset:740
	buffer_load_dword v14, off, s[0:3], 0 offset:744
	buffer_load_dword v15, off, s[0:3], 0 offset:748
	s_waitcnt vmcnt(2)
	v_add_f64 v[2:3], v[2:3], -v[12:13]
	s_waitcnt vmcnt(0)
	v_add_f64 v[0:1], v[14:15], -v[0:1]
	buffer_store_dword v3, off, s[0:3], 0 offset:740
	buffer_store_dword v2, off, s[0:3], 0 offset:736
	buffer_store_dword v1, off, s[0:3], 0 offset:748
	buffer_store_dword v0, off, s[0:3], 0 offset:744
	ds_read2_b64 v[0:3], v40 offset0:94 offset1:95
	s_waitcnt lgkmcnt(0)
	v_mul_f64 v[12:13], v[2:3], v[10:11]
	v_fma_f64 v[12:13], v[0:1], v[4:5], -v[12:13]
	v_mul_f64 v[0:1], v[0:1], v[10:11]
	v_fma_f64 v[0:1], v[2:3], v[4:5], v[0:1]
	buffer_load_dword v2, off, s[0:3], 0 offset:752
	buffer_load_dword v3, off, s[0:3], 0 offset:756
	buffer_load_dword v14, off, s[0:3], 0 offset:760
	buffer_load_dword v15, off, s[0:3], 0 offset:764
	s_waitcnt vmcnt(2)
	v_add_f64 v[2:3], v[2:3], -v[12:13]
	;; [unrolled: 18-line block ×5, first 2 shown]
	s_waitcnt vmcnt(0)
	v_add_f64 v[0:1], v[4:5], -v[0:1]
	buffer_store_dword v3, off, s[0:3], 0 offset:804
	buffer_store_dword v2, off, s[0:3], 0 offset:800
	buffer_store_dword v1, off, s[0:3], 0 offset:812
	buffer_store_dword v0, off, s[0:3], 0 offset:808
	ds_read2_b64 v[0:3], v40 offset0:102 offset1:103
	buffer_load_dword v4, off, s[0:3], 0 offset:608
	buffer_load_dword v5, off, s[0:3], 0 offset:612
	;; [unrolled: 1-line block ×4, first 2 shown]
	s_waitcnt vmcnt(0) lgkmcnt(0)
	v_mul_f64 v[12:13], v[2:3], v[10:11]
	v_fma_f64 v[12:13], v[0:1], v[4:5], -v[12:13]
	v_mul_f64 v[0:1], v[0:1], v[10:11]
	v_fma_f64 v[0:1], v[2:3], v[4:5], v[0:1]
	buffer_load_dword v3, off, s[0:3], 0 offset:820
	buffer_load_dword v2, off, s[0:3], 0 offset:816
	s_waitcnt vmcnt(0)
	v_add_f64 v[2:3], v[2:3], -v[12:13]
	buffer_load_dword v13, off, s[0:3], 0 offset:828
	buffer_load_dword v12, off, s[0:3], 0 offset:824
	s_waitcnt vmcnt(0)
	v_add_f64 v[0:1], v[12:13], -v[0:1]
	buffer_store_dword v3, off, s[0:3], 0 offset:820
	buffer_store_dword v2, off, s[0:3], 0 offset:816
	buffer_store_dword v1, off, s[0:3], 0 offset:828
	buffer_store_dword v0, off, s[0:3], 0 offset:824
	ds_read2_b64 v[0:3], v40 offset0:104 offset1:105
	s_waitcnt lgkmcnt(0)
	v_mul_f64 v[12:13], v[2:3], v[10:11]
	v_fma_f64 v[12:13], v[0:1], v[4:5], -v[12:13]
	v_mul_f64 v[0:1], v[0:1], v[10:11]
	v_fma_f64 v[0:1], v[2:3], v[4:5], v[0:1]
	buffer_load_dword v2, off, s[0:3], 0 offset:832
	buffer_load_dword v3, off, s[0:3], 0 offset:836
	buffer_load_dword v14, off, s[0:3], 0 offset:840
	buffer_load_dword v15, off, s[0:3], 0 offset:844
	s_waitcnt vmcnt(2)
	v_add_f64 v[2:3], v[2:3], -v[12:13]
	s_waitcnt vmcnt(0)
	v_add_f64 v[0:1], v[14:15], -v[0:1]
	buffer_store_dword v3, off, s[0:3], 0 offset:836
	buffer_store_dword v2, off, s[0:3], 0 offset:832
	buffer_store_dword v1, off, s[0:3], 0 offset:844
	buffer_store_dword v0, off, s[0:3], 0 offset:840
	ds_read2_b64 v[0:3], v40 offset0:106 offset1:107
	s_waitcnt lgkmcnt(0)
	v_mul_f64 v[12:13], v[2:3], v[10:11]
	v_fma_f64 v[12:13], v[0:1], v[4:5], -v[12:13]
	v_mul_f64 v[0:1], v[0:1], v[10:11]
	v_fma_f64 v[0:1], v[2:3], v[4:5], v[0:1]
	buffer_load_dword v2, off, s[0:3], 0 offset:848
	buffer_load_dword v3, off, s[0:3], 0 offset:852
	buffer_load_dword v14, off, s[0:3], 0 offset:856
	buffer_load_dword v15, off, s[0:3], 0 offset:860
	s_waitcnt vmcnt(2)
	v_add_f64 v[2:3], v[2:3], -v[12:13]
	;; [unrolled: 18-line block ×5, first 2 shown]
	s_waitcnt vmcnt(0)
	v_add_f64 v[0:1], v[4:5], -v[0:1]
	buffer_store_dword v3, off, s[0:3], 0 offset:900
	buffer_store_dword v2, off, s[0:3], 0 offset:896
	;; [unrolled: 1-line block ×4, first 2 shown]
	ds_read2_b64 v[0:3], v40 offset0:114 offset1:115
	buffer_load_dword v4, off, s[0:3], 0 offset:608
	buffer_load_dword v5, off, s[0:3], 0 offset:612
	;; [unrolled: 1-line block ×4, first 2 shown]
	s_waitcnt vmcnt(0) lgkmcnt(0)
	v_mul_f64 v[12:13], v[2:3], v[10:11]
	v_fma_f64 v[12:13], v[0:1], v[4:5], -v[12:13]
	v_mul_f64 v[0:1], v[0:1], v[10:11]
	v_fma_f64 v[0:1], v[2:3], v[4:5], v[0:1]
	buffer_load_dword v3, off, s[0:3], 0 offset:916
	buffer_load_dword v2, off, s[0:3], 0 offset:912
	s_waitcnt vmcnt(0)
	v_add_f64 v[2:3], v[2:3], -v[12:13]
	buffer_load_dword v13, off, s[0:3], 0 offset:924
	buffer_load_dword v12, off, s[0:3], 0 offset:920
	s_waitcnt vmcnt(0)
	v_add_f64 v[0:1], v[12:13], -v[0:1]
	buffer_store_dword v3, off, s[0:3], 0 offset:916
	buffer_store_dword v2, off, s[0:3], 0 offset:912
	buffer_store_dword v1, off, s[0:3], 0 offset:924
	buffer_store_dword v0, off, s[0:3], 0 offset:920
	ds_read2_b64 v[0:3], v40 offset0:116 offset1:117
	s_waitcnt lgkmcnt(0)
	v_mul_f64 v[12:13], v[2:3], v[10:11]
	v_fma_f64 v[12:13], v[0:1], v[4:5], -v[12:13]
	v_mul_f64 v[0:1], v[0:1], v[10:11]
	v_fma_f64 v[0:1], v[2:3], v[4:5], v[0:1]
	buffer_load_dword v2, off, s[0:3], 0 offset:928
	buffer_load_dword v3, off, s[0:3], 0 offset:932
	buffer_load_dword v14, off, s[0:3], 0 offset:936
	buffer_load_dword v15, off, s[0:3], 0 offset:940
	s_waitcnt vmcnt(2)
	v_add_f64 v[2:3], v[2:3], -v[12:13]
	s_waitcnt vmcnt(0)
	v_add_f64 v[0:1], v[14:15], -v[0:1]
	buffer_store_dword v3, off, s[0:3], 0 offset:932
	buffer_store_dword v2, off, s[0:3], 0 offset:928
	buffer_store_dword v1, off, s[0:3], 0 offset:940
	buffer_store_dword v0, off, s[0:3], 0 offset:936
	ds_read2_b64 v[0:3], v40 offset0:118 offset1:119
	s_waitcnt lgkmcnt(0)
	v_mul_f64 v[12:13], v[2:3], v[10:11]
	v_fma_f64 v[12:13], v[0:1], v[4:5], -v[12:13]
	v_mul_f64 v[0:1], v[0:1], v[10:11]
	v_fma_f64 v[0:1], v[2:3], v[4:5], v[0:1]
	buffer_load_dword v2, off, s[0:3], 0 offset:944
	buffer_load_dword v3, off, s[0:3], 0 offset:948
	buffer_load_dword v14, off, s[0:3], 0 offset:952
	buffer_load_dword v15, off, s[0:3], 0 offset:956
	s_waitcnt vmcnt(2)
	v_add_f64 v[2:3], v[2:3], -v[12:13]
	;; [unrolled: 18-line block ×3, first 2 shown]
	s_waitcnt vmcnt(0)
	v_add_f64 v[0:1], v[4:5], -v[0:1]
	buffer_store_dword v3, off, s[0:3], 0 offset:964
	buffer_store_dword v2, off, s[0:3], 0 offset:960
	;; [unrolled: 1-line block ×4, first 2 shown]
.LBB120_923:
	s_or_b64 exec, exec, s[4:5]
	v_mov_b32_e32 v3, s46
	s_waitcnt vmcnt(0)
	s_barrier
	buffer_load_dword v0, v3, s[0:3], 0 offen
	buffer_load_dword v1, v3, s[0:3], 0 offen offset:4
	buffer_load_dword v2, v3, s[0:3], 0 offen offset:8
	s_nop 0
	buffer_load_dword v3, v3, s[0:3], 0 offen offset:12
	v_lshl_add_u32 v4, v43, 4, v40
	s_cmp_lt_i32 s64, 41
	s_waitcnt vmcnt(0)
	ds_write2_b64 v4, v[0:1], v[2:3] offset1:1
	s_waitcnt lgkmcnt(0)
	s_barrier
	ds_read2_b64 v[0:3], v40 offset0:78 offset1:79
	v_mov_b32_e32 v4, 39
	s_cbranch_scc1 .LBB120_926
; %bb.924:
	v_add_u32_e32 v5, 0x280, v40
	s_mov_b32 s16, 40
	v_mov_b32_e32 v4, 39
.LBB120_925:                            ; =>This Inner Loop Header: Depth=1
	s_waitcnt lgkmcnt(0)
	v_cmp_gt_f64_e32 vcc, 0, v[2:3]
	v_cmp_gt_f64_e64 s[4:5], 0, v[0:1]
	ds_read2_b64 v[10:13], v5 offset1:1
	v_xor_b32_e32 v15, 0x80000000, v1
	v_xor_b32_e32 v17, 0x80000000, v3
	v_mov_b32_e32 v14, v0
	v_mov_b32_e32 v16, v2
	s_waitcnt lgkmcnt(0)
	v_xor_b32_e32 v19, 0x80000000, v13
	v_cndmask_b32_e32 v17, v3, v17, vcc
	v_cndmask_b32_e64 v15, v1, v15, s[4:5]
	v_cmp_gt_f64_e32 vcc, 0, v[12:13]
	v_cmp_gt_f64_e64 s[4:5], 0, v[10:11]
	v_add_f64 v[14:15], v[14:15], v[16:17]
	v_xor_b32_e32 v17, 0x80000000, v11
	v_mov_b32_e32 v16, v10
	v_mov_b32_e32 v18, v12
	v_add_u32_e32 v5, 16, v5
	v_cndmask_b32_e32 v19, v13, v19, vcc
	v_cndmask_b32_e64 v17, v11, v17, s[4:5]
	v_add_f64 v[16:17], v[16:17], v[18:19]
	v_mov_b32_e32 v18, s16
	s_add_i32 s16, s16, 1
	s_cmp_lg_u32 s64, s16
	v_cmp_lt_f64_e32 vcc, v[14:15], v[16:17]
	v_cndmask_b32_e32 v1, v1, v11, vcc
	v_cndmask_b32_e32 v0, v0, v10, vcc
	;; [unrolled: 1-line block ×5, first 2 shown]
	s_cbranch_scc1 .LBB120_925
.LBB120_926:
	s_waitcnt lgkmcnt(0)
	v_cmp_eq_f64_e32 vcc, 0, v[0:1]
	v_cmp_eq_f64_e64 s[4:5], 0, v[2:3]
	s_and_b64 s[4:5], vcc, s[4:5]
	s_and_saveexec_b64 s[16:17], s[4:5]
	s_xor_b64 s[4:5], exec, s[16:17]
; %bb.927:
	v_cmp_ne_u32_e32 vcc, 0, v41
	v_cndmask_b32_e32 v41, 40, v41, vcc
; %bb.928:
	s_andn2_saveexec_b64 s[4:5], s[4:5]
	s_cbranch_execz .LBB120_934
; %bb.929:
	v_cmp_ngt_f64_e64 s[16:17], |v[0:1]|, |v[2:3]|
	s_and_saveexec_b64 s[18:19], s[16:17]
	s_xor_b64 s[18:19], exec, s[18:19]
	s_cbranch_execz .LBB120_931
; %bb.930:
	v_div_scale_f64 v[10:11], s[16:17], v[2:3], v[2:3], v[0:1]
	v_rcp_f64_e32 v[12:13], v[10:11]
	v_fma_f64 v[14:15], -v[10:11], v[12:13], 1.0
	v_fma_f64 v[12:13], v[12:13], v[14:15], v[12:13]
	v_div_scale_f64 v[14:15], vcc, v[0:1], v[2:3], v[0:1]
	v_fma_f64 v[16:17], -v[10:11], v[12:13], 1.0
	v_fma_f64 v[12:13], v[12:13], v[16:17], v[12:13]
	v_mul_f64 v[16:17], v[14:15], v[12:13]
	v_fma_f64 v[10:11], -v[10:11], v[16:17], v[14:15]
	v_div_fmas_f64 v[10:11], v[10:11], v[12:13], v[16:17]
	v_div_fixup_f64 v[10:11], v[10:11], v[2:3], v[0:1]
	v_fma_f64 v[0:1], v[0:1], v[10:11], v[2:3]
	v_div_scale_f64 v[2:3], s[16:17], v[0:1], v[0:1], 1.0
	v_div_scale_f64 v[16:17], vcc, 1.0, v[0:1], 1.0
	v_rcp_f64_e32 v[12:13], v[2:3]
	v_fma_f64 v[14:15], -v[2:3], v[12:13], 1.0
	v_fma_f64 v[12:13], v[12:13], v[14:15], v[12:13]
	v_fma_f64 v[14:15], -v[2:3], v[12:13], 1.0
	v_fma_f64 v[12:13], v[12:13], v[14:15], v[12:13]
	v_mul_f64 v[14:15], v[16:17], v[12:13]
	v_fma_f64 v[2:3], -v[2:3], v[14:15], v[16:17]
	v_div_fmas_f64 v[2:3], v[2:3], v[12:13], v[14:15]
	v_div_fixup_f64 v[2:3], v[2:3], v[0:1], 1.0
	v_mul_f64 v[0:1], v[10:11], v[2:3]
	v_xor_b32_e32 v3, 0x80000000, v3
.LBB120_931:
	s_andn2_saveexec_b64 s[18:19], s[18:19]
	s_cbranch_execz .LBB120_933
; %bb.932:
	v_div_scale_f64 v[10:11], s[16:17], v[0:1], v[0:1], v[2:3]
	v_rcp_f64_e32 v[12:13], v[10:11]
	v_fma_f64 v[14:15], -v[10:11], v[12:13], 1.0
	v_fma_f64 v[12:13], v[12:13], v[14:15], v[12:13]
	v_div_scale_f64 v[14:15], vcc, v[2:3], v[0:1], v[2:3]
	v_fma_f64 v[16:17], -v[10:11], v[12:13], 1.0
	v_fma_f64 v[12:13], v[12:13], v[16:17], v[12:13]
	v_mul_f64 v[16:17], v[14:15], v[12:13]
	v_fma_f64 v[10:11], -v[10:11], v[16:17], v[14:15]
	v_div_fmas_f64 v[10:11], v[10:11], v[12:13], v[16:17]
	v_div_fixup_f64 v[10:11], v[10:11], v[0:1], v[2:3]
	v_fma_f64 v[0:1], v[2:3], v[10:11], v[0:1]
	v_div_scale_f64 v[2:3], s[16:17], v[0:1], v[0:1], 1.0
	v_div_scale_f64 v[16:17], vcc, 1.0, v[0:1], 1.0
	v_rcp_f64_e32 v[12:13], v[2:3]
	v_fma_f64 v[14:15], -v[2:3], v[12:13], 1.0
	v_fma_f64 v[12:13], v[12:13], v[14:15], v[12:13]
	v_fma_f64 v[14:15], -v[2:3], v[12:13], 1.0
	v_fma_f64 v[12:13], v[12:13], v[14:15], v[12:13]
	v_mul_f64 v[14:15], v[16:17], v[12:13]
	v_fma_f64 v[2:3], -v[2:3], v[14:15], v[16:17]
	v_div_fmas_f64 v[2:3], v[2:3], v[12:13], v[14:15]
	v_div_fixup_f64 v[0:1], v[2:3], v[0:1], 1.0
	v_mul_f64 v[2:3], v[10:11], -v[0:1]
.LBB120_933:
	s_or_b64 exec, exec, s[18:19]
.LBB120_934:
	s_or_b64 exec, exec, s[4:5]
	v_cmp_ne_u32_e32 vcc, v43, v4
	s_and_saveexec_b64 s[4:5], vcc
	s_xor_b64 s[4:5], exec, s[4:5]
	s_cbranch_execz .LBB120_940
; %bb.935:
	v_cmp_eq_u32_e32 vcc, 39, v43
	s_and_saveexec_b64 s[18:19], vcc
	s_cbranch_execz .LBB120_939
; %bb.936:
	v_cmp_ne_u32_e32 vcc, 39, v4
	s_xor_b64 s[16:17], s[22:23], -1
	s_and_b64 s[16:17], s[16:17], vcc
	s_and_saveexec_b64 s[24:25], s[16:17]
	s_cbranch_execz .LBB120_938
; %bb.937:
	v_ashrrev_i32_e32 v5, 31, v4
	v_lshlrev_b64 v[10:11], 2, v[4:5]
	v_add_co_u32_e32 v10, vcc, v8, v10
	v_addc_co_u32_e32 v11, vcc, v9, v11, vcc
	global_load_dword v5, v[10:11], off
	global_load_dword v12, v[8:9], off offset:156
	s_waitcnt vmcnt(1)
	global_store_dword v[8:9], v5, off offset:156
	s_waitcnt vmcnt(1)
	global_store_dword v[10:11], v12, off
.LBB120_938:
	s_or_b64 exec, exec, s[24:25]
	v_mov_b32_e32 v43, v4
	v_mov_b32_e32 v42, v4
.LBB120_939:
	s_or_b64 exec, exec, s[18:19]
.LBB120_940:
	s_andn2_saveexec_b64 s[4:5], s[4:5]
	s_cbranch_execz .LBB120_942
; %bb.941:
	v_mov_b32_e32 v11, s45
	buffer_load_dword v4, v11, s[0:3], 0 offen
	buffer_load_dword v5, v11, s[0:3], 0 offen offset:4
	buffer_load_dword v10, v11, s[0:3], 0 offen offset:8
	s_nop 0
	buffer_load_dword v11, v11, s[0:3], 0 offen offset:12
	v_mov_b32_e32 v43, 39
	s_waitcnt vmcnt(0)
	ds_write2_b64 v40, v[4:5], v[10:11] offset0:80 offset1:81
	v_mov_b32_e32 v11, s44
	buffer_load_dword v4, v11, s[0:3], 0 offen
	buffer_load_dword v5, v11, s[0:3], 0 offen offset:4
	buffer_load_dword v10, v11, s[0:3], 0 offen offset:8
	s_nop 0
	buffer_load_dword v11, v11, s[0:3], 0 offen offset:12
	s_waitcnt vmcnt(0)
	ds_write2_b64 v40, v[4:5], v[10:11] offset0:82 offset1:83
	v_mov_b32_e32 v11, s43
	buffer_load_dword v4, v11, s[0:3], 0 offen
	buffer_load_dword v5, v11, s[0:3], 0 offen offset:4
	buffer_load_dword v10, v11, s[0:3], 0 offen offset:8
	s_nop 0
	buffer_load_dword v11, v11, s[0:3], 0 offen offset:12
	;; [unrolled: 8-line block ×20, first 2 shown]
	s_waitcnt vmcnt(0)
	ds_write2_b64 v40, v[4:5], v[10:11] offset0:120 offset1:121
.LBB120_942:
	s_or_b64 exec, exec, s[4:5]
	v_cmp_lt_i32_e32 vcc, 39, v43
	s_waitcnt vmcnt(0) lgkmcnt(0)
	s_barrier
	s_and_saveexec_b64 s[4:5], vcc
	s_cbranch_execz .LBB120_944
; %bb.943:
	buffer_load_dword v4, off, s[0:3], 0 offset:624
	buffer_load_dword v5, off, s[0:3], 0 offset:628
	;; [unrolled: 1-line block ×16, first 2 shown]
	s_waitcnt vmcnt(12)
	v_mul_f64 v[24:25], v[2:3], v[10:11]
	v_fma_f64 v[24:25], v[0:1], v[4:5], -v[24:25]
	v_mul_f64 v[0:1], v[0:1], v[10:11]
	v_fma_f64 v[4:5], v[2:3], v[4:5], v[0:1]
	buffer_store_dword v24, off, s[0:3], 0 offset:624
	buffer_store_dword v25, off, s[0:3], 0 offset:628
	buffer_store_dword v4, off, s[0:3], 0 offset:632
	buffer_store_dword v5, off, s[0:3], 0 offset:636
	ds_read2_b64 v[0:3], v40 offset0:80 offset1:81
	s_waitcnt lgkmcnt(0)
	v_mul_f64 v[10:11], v[2:3], v[4:5]
	v_fma_f64 v[10:11], v[0:1], v[24:25], -v[10:11]
	v_mul_f64 v[0:1], v[0:1], v[4:5]
	v_fma_f64 v[0:1], v[2:3], v[24:25], v[0:1]
	s_waitcnt vmcnt(14)
	v_add_f64 v[2:3], v[12:13], -v[10:11]
	s_waitcnt vmcnt(12)
	v_add_f64 v[0:1], v[14:15], -v[0:1]
	buffer_store_dword v2, off, s[0:3], 0 offset:640
	buffer_store_dword v3, off, s[0:3], 0 offset:644
	buffer_store_dword v0, off, s[0:3], 0 offset:648
	buffer_store_dword v1, off, s[0:3], 0 offset:652
	ds_read2_b64 v[0:3], v40 offset0:82 offset1:83
	s_waitcnt lgkmcnt(0)
	v_mul_f64 v[10:11], v[2:3], v[4:5]
	v_fma_f64 v[10:11], v[0:1], v[24:25], -v[10:11]
	v_mul_f64 v[0:1], v[0:1], v[4:5]
	v_fma_f64 v[0:1], v[2:3], v[24:25], v[0:1]
	s_waitcnt vmcnt(14)
	v_add_f64 v[2:3], v[16:17], -v[10:11]
	s_waitcnt vmcnt(12)
	v_add_f64 v[0:1], v[18:19], -v[0:1]
	;; [unrolled: 14-line block ×3, first 2 shown]
	buffer_store_dword v3, off, s[0:3], 0 offset:676
	buffer_store_dword v2, off, s[0:3], 0 offset:672
	buffer_store_dword v0, off, s[0:3], 0 offset:680
	buffer_store_dword v1, off, s[0:3], 0 offset:684
	ds_read2_b64 v[0:3], v40 offset0:86 offset1:87
	s_waitcnt lgkmcnt(0)
	v_mul_f64 v[10:11], v[2:3], v[4:5]
	v_fma_f64 v[10:11], v[0:1], v[24:25], -v[10:11]
	v_mul_f64 v[0:1], v[0:1], v[4:5]
	v_fma_f64 v[0:1], v[2:3], v[24:25], v[0:1]
	buffer_load_dword v2, off, s[0:3], 0 offset:688
	buffer_load_dword v3, off, s[0:3], 0 offset:692
	buffer_load_dword v12, off, s[0:3], 0 offset:696
	buffer_load_dword v13, off, s[0:3], 0 offset:700
	s_waitcnt vmcnt(2)
	v_add_f64 v[2:3], v[2:3], -v[10:11]
	s_waitcnt vmcnt(0)
	v_add_f64 v[0:1], v[12:13], -v[0:1]
	buffer_store_dword v3, off, s[0:3], 0 offset:692
	buffer_store_dword v2, off, s[0:3], 0 offset:688
	buffer_store_dword v1, off, s[0:3], 0 offset:700
	buffer_store_dword v0, off, s[0:3], 0 offset:696
	ds_read2_b64 v[0:3], v40 offset0:88 offset1:89
	s_waitcnt lgkmcnt(0)
	v_mul_f64 v[10:11], v[2:3], v[4:5]
	v_fma_f64 v[10:11], v[0:1], v[24:25], -v[10:11]
	v_mul_f64 v[0:1], v[0:1], v[4:5]
	v_fma_f64 v[0:1], v[2:3], v[24:25], v[0:1]
	buffer_load_dword v2, off, s[0:3], 0 offset:704
	buffer_load_dword v3, off, s[0:3], 0 offset:708
	buffer_load_dword v12, off, s[0:3], 0 offset:712
	buffer_load_dword v13, off, s[0:3], 0 offset:716
	s_waitcnt vmcnt(2)
	v_add_f64 v[2:3], v[2:3], -v[10:11]
	s_waitcnt vmcnt(0)
	v_add_f64 v[0:1], v[12:13], -v[0:1]
	;; [unrolled: 18-line block ×3, first 2 shown]
	buffer_store_dword v3, off, s[0:3], 0 offset:724
	buffer_store_dword v2, off, s[0:3], 0 offset:720
	buffer_store_dword v1, off, s[0:3], 0 offset:732
	buffer_store_dword v0, off, s[0:3], 0 offset:728
	ds_read2_b64 v[0:3], v40 offset0:92 offset1:93
	buffer_load_dword v4, off, s[0:3], 0 offset:624
	buffer_load_dword v5, off, s[0:3], 0 offset:628
	;; [unrolled: 1-line block ×4, first 2 shown]
	s_waitcnt vmcnt(0) lgkmcnt(0)
	v_mul_f64 v[12:13], v[2:3], v[10:11]
	v_fma_f64 v[12:13], v[0:1], v[4:5], -v[12:13]
	v_mul_f64 v[0:1], v[0:1], v[10:11]
	v_fma_f64 v[0:1], v[2:3], v[4:5], v[0:1]
	buffer_load_dword v3, off, s[0:3], 0 offset:740
	buffer_load_dword v2, off, s[0:3], 0 offset:736
	s_waitcnt vmcnt(0)
	v_add_f64 v[2:3], v[2:3], -v[12:13]
	buffer_load_dword v13, off, s[0:3], 0 offset:748
	buffer_load_dword v12, off, s[0:3], 0 offset:744
	s_waitcnt vmcnt(0)
	v_add_f64 v[0:1], v[12:13], -v[0:1]
	buffer_store_dword v3, off, s[0:3], 0 offset:740
	buffer_store_dword v2, off, s[0:3], 0 offset:736
	buffer_store_dword v1, off, s[0:3], 0 offset:748
	buffer_store_dword v0, off, s[0:3], 0 offset:744
	ds_read2_b64 v[0:3], v40 offset0:94 offset1:95
	s_waitcnt lgkmcnt(0)
	v_mul_f64 v[12:13], v[2:3], v[10:11]
	v_fma_f64 v[12:13], v[0:1], v[4:5], -v[12:13]
	v_mul_f64 v[0:1], v[0:1], v[10:11]
	v_fma_f64 v[0:1], v[2:3], v[4:5], v[0:1]
	buffer_load_dword v2, off, s[0:3], 0 offset:752
	buffer_load_dword v3, off, s[0:3], 0 offset:756
	buffer_load_dword v14, off, s[0:3], 0 offset:760
	buffer_load_dword v15, off, s[0:3], 0 offset:764
	s_waitcnt vmcnt(2)
	v_add_f64 v[2:3], v[2:3], -v[12:13]
	s_waitcnt vmcnt(0)
	v_add_f64 v[0:1], v[14:15], -v[0:1]
	buffer_store_dword v3, off, s[0:3], 0 offset:756
	buffer_store_dword v2, off, s[0:3], 0 offset:752
	buffer_store_dword v1, off, s[0:3], 0 offset:764
	buffer_store_dword v0, off, s[0:3], 0 offset:760
	ds_read2_b64 v[0:3], v40 offset0:96 offset1:97
	s_waitcnt lgkmcnt(0)
	v_mul_f64 v[12:13], v[2:3], v[10:11]
	v_fma_f64 v[12:13], v[0:1], v[4:5], -v[12:13]
	v_mul_f64 v[0:1], v[0:1], v[10:11]
	v_fma_f64 v[0:1], v[2:3], v[4:5], v[0:1]
	buffer_load_dword v2, off, s[0:3], 0 offset:768
	buffer_load_dword v3, off, s[0:3], 0 offset:772
	buffer_load_dword v14, off, s[0:3], 0 offset:776
	buffer_load_dword v15, off, s[0:3], 0 offset:780
	s_waitcnt vmcnt(2)
	v_add_f64 v[2:3], v[2:3], -v[12:13]
	;; [unrolled: 18-line block ×5, first 2 shown]
	s_waitcnt vmcnt(0)
	v_add_f64 v[0:1], v[4:5], -v[0:1]
	buffer_store_dword v3, off, s[0:3], 0 offset:820
	buffer_store_dword v2, off, s[0:3], 0 offset:816
	;; [unrolled: 1-line block ×4, first 2 shown]
	ds_read2_b64 v[0:3], v40 offset0:104 offset1:105
	buffer_load_dword v4, off, s[0:3], 0 offset:624
	buffer_load_dword v5, off, s[0:3], 0 offset:628
	;; [unrolled: 1-line block ×4, first 2 shown]
	s_waitcnt vmcnt(0) lgkmcnt(0)
	v_mul_f64 v[12:13], v[2:3], v[10:11]
	v_fma_f64 v[12:13], v[0:1], v[4:5], -v[12:13]
	v_mul_f64 v[0:1], v[0:1], v[10:11]
	v_fma_f64 v[0:1], v[2:3], v[4:5], v[0:1]
	buffer_load_dword v3, off, s[0:3], 0 offset:836
	buffer_load_dword v2, off, s[0:3], 0 offset:832
	s_waitcnt vmcnt(0)
	v_add_f64 v[2:3], v[2:3], -v[12:13]
	buffer_load_dword v13, off, s[0:3], 0 offset:844
	buffer_load_dword v12, off, s[0:3], 0 offset:840
	s_waitcnt vmcnt(0)
	v_add_f64 v[0:1], v[12:13], -v[0:1]
	buffer_store_dword v3, off, s[0:3], 0 offset:836
	buffer_store_dword v2, off, s[0:3], 0 offset:832
	buffer_store_dword v1, off, s[0:3], 0 offset:844
	buffer_store_dword v0, off, s[0:3], 0 offset:840
	ds_read2_b64 v[0:3], v40 offset0:106 offset1:107
	s_waitcnt lgkmcnt(0)
	v_mul_f64 v[12:13], v[2:3], v[10:11]
	v_fma_f64 v[12:13], v[0:1], v[4:5], -v[12:13]
	v_mul_f64 v[0:1], v[0:1], v[10:11]
	v_fma_f64 v[0:1], v[2:3], v[4:5], v[0:1]
	buffer_load_dword v2, off, s[0:3], 0 offset:848
	buffer_load_dword v3, off, s[0:3], 0 offset:852
	buffer_load_dword v14, off, s[0:3], 0 offset:856
	buffer_load_dword v15, off, s[0:3], 0 offset:860
	s_waitcnt vmcnt(2)
	v_add_f64 v[2:3], v[2:3], -v[12:13]
	s_waitcnt vmcnt(0)
	v_add_f64 v[0:1], v[14:15], -v[0:1]
	buffer_store_dword v3, off, s[0:3], 0 offset:852
	buffer_store_dword v2, off, s[0:3], 0 offset:848
	buffer_store_dword v1, off, s[0:3], 0 offset:860
	buffer_store_dword v0, off, s[0:3], 0 offset:856
	ds_read2_b64 v[0:3], v40 offset0:108 offset1:109
	s_waitcnt lgkmcnt(0)
	v_mul_f64 v[12:13], v[2:3], v[10:11]
	v_fma_f64 v[12:13], v[0:1], v[4:5], -v[12:13]
	v_mul_f64 v[0:1], v[0:1], v[10:11]
	v_fma_f64 v[0:1], v[2:3], v[4:5], v[0:1]
	buffer_load_dword v2, off, s[0:3], 0 offset:864
	buffer_load_dword v3, off, s[0:3], 0 offset:868
	buffer_load_dword v14, off, s[0:3], 0 offset:872
	buffer_load_dword v15, off, s[0:3], 0 offset:876
	s_waitcnt vmcnt(2)
	v_add_f64 v[2:3], v[2:3], -v[12:13]
	;; [unrolled: 18-line block ×5, first 2 shown]
	s_waitcnt vmcnt(0)
	v_add_f64 v[0:1], v[4:5], -v[0:1]
	buffer_store_dword v3, off, s[0:3], 0 offset:916
	buffer_store_dword v2, off, s[0:3], 0 offset:912
	;; [unrolled: 1-line block ×4, first 2 shown]
	ds_read2_b64 v[0:3], v40 offset0:116 offset1:117
	buffer_load_dword v4, off, s[0:3], 0 offset:624
	buffer_load_dword v5, off, s[0:3], 0 offset:628
	;; [unrolled: 1-line block ×4, first 2 shown]
	s_waitcnt vmcnt(0) lgkmcnt(0)
	v_mul_f64 v[12:13], v[2:3], v[10:11]
	v_fma_f64 v[12:13], v[0:1], v[4:5], -v[12:13]
	v_mul_f64 v[0:1], v[0:1], v[10:11]
	v_fma_f64 v[0:1], v[2:3], v[4:5], v[0:1]
	buffer_load_dword v3, off, s[0:3], 0 offset:932
	buffer_load_dword v2, off, s[0:3], 0 offset:928
	s_waitcnt vmcnt(0)
	v_add_f64 v[2:3], v[2:3], -v[12:13]
	buffer_load_dword v13, off, s[0:3], 0 offset:940
	buffer_load_dword v12, off, s[0:3], 0 offset:936
	s_waitcnt vmcnt(0)
	v_add_f64 v[0:1], v[12:13], -v[0:1]
	buffer_store_dword v3, off, s[0:3], 0 offset:932
	buffer_store_dword v2, off, s[0:3], 0 offset:928
	;; [unrolled: 1-line block ×4, first 2 shown]
	ds_read2_b64 v[0:3], v40 offset0:118 offset1:119
	s_waitcnt lgkmcnt(0)
	v_mul_f64 v[12:13], v[2:3], v[10:11]
	v_fma_f64 v[12:13], v[0:1], v[4:5], -v[12:13]
	v_mul_f64 v[0:1], v[0:1], v[10:11]
	v_fma_f64 v[0:1], v[2:3], v[4:5], v[0:1]
	buffer_load_dword v2, off, s[0:3], 0 offset:944
	buffer_load_dword v3, off, s[0:3], 0 offset:948
	;; [unrolled: 1-line block ×4, first 2 shown]
	s_waitcnt vmcnt(2)
	v_add_f64 v[2:3], v[2:3], -v[12:13]
	s_waitcnt vmcnt(0)
	v_add_f64 v[0:1], v[14:15], -v[0:1]
	buffer_store_dword v3, off, s[0:3], 0 offset:948
	buffer_store_dword v2, off, s[0:3], 0 offset:944
	;; [unrolled: 1-line block ×4, first 2 shown]
	ds_read2_b64 v[0:3], v40 offset0:120 offset1:121
	s_waitcnt lgkmcnt(0)
	v_mul_f64 v[12:13], v[2:3], v[10:11]
	v_fma_f64 v[12:13], v[0:1], v[4:5], -v[12:13]
	v_mul_f64 v[0:1], v[0:1], v[10:11]
	v_fma_f64 v[0:1], v[2:3], v[4:5], v[0:1]
	buffer_load_dword v2, off, s[0:3], 0 offset:960
	buffer_load_dword v3, off, s[0:3], 0 offset:964
	;; [unrolled: 1-line block ×4, first 2 shown]
	s_waitcnt vmcnt(2)
	v_add_f64 v[2:3], v[2:3], -v[12:13]
	s_waitcnt vmcnt(0)
	v_add_f64 v[0:1], v[4:5], -v[0:1]
	buffer_store_dword v3, off, s[0:3], 0 offset:964
	buffer_store_dword v2, off, s[0:3], 0 offset:960
	;; [unrolled: 1-line block ×4, first 2 shown]
.LBB120_944:
	s_or_b64 exec, exec, s[4:5]
	v_mov_b32_e32 v3, s45
	s_waitcnt vmcnt(0)
	s_barrier
	buffer_load_dword v0, v3, s[0:3], 0 offen
	buffer_load_dword v1, v3, s[0:3], 0 offen offset:4
	buffer_load_dword v2, v3, s[0:3], 0 offen offset:8
	s_nop 0
	buffer_load_dword v3, v3, s[0:3], 0 offen offset:12
	v_lshl_add_u32 v4, v43, 4, v40
	s_cmp_lt_i32 s64, 42
	s_waitcnt vmcnt(0)
	ds_write2_b64 v4, v[0:1], v[2:3] offset1:1
	s_waitcnt lgkmcnt(0)
	s_barrier
	ds_read2_b64 v[0:3], v40 offset0:80 offset1:81
	v_mov_b32_e32 v4, 40
	s_cbranch_scc1 .LBB120_947
; %bb.945:
	v_add_u32_e32 v5, 0x290, v40
	s_mov_b32 s16, 41
	v_mov_b32_e32 v4, 40
.LBB120_946:                            ; =>This Inner Loop Header: Depth=1
	s_waitcnt lgkmcnt(0)
	v_cmp_gt_f64_e32 vcc, 0, v[2:3]
	v_cmp_gt_f64_e64 s[4:5], 0, v[0:1]
	ds_read2_b64 v[10:13], v5 offset1:1
	v_xor_b32_e32 v15, 0x80000000, v1
	v_xor_b32_e32 v17, 0x80000000, v3
	v_mov_b32_e32 v14, v0
	v_mov_b32_e32 v16, v2
	s_waitcnt lgkmcnt(0)
	v_xor_b32_e32 v19, 0x80000000, v13
	v_cndmask_b32_e32 v17, v3, v17, vcc
	v_cndmask_b32_e64 v15, v1, v15, s[4:5]
	v_cmp_gt_f64_e32 vcc, 0, v[12:13]
	v_cmp_gt_f64_e64 s[4:5], 0, v[10:11]
	v_add_f64 v[14:15], v[14:15], v[16:17]
	v_xor_b32_e32 v17, 0x80000000, v11
	v_mov_b32_e32 v16, v10
	v_mov_b32_e32 v18, v12
	v_add_u32_e32 v5, 16, v5
	v_cndmask_b32_e32 v19, v13, v19, vcc
	v_cndmask_b32_e64 v17, v11, v17, s[4:5]
	v_add_f64 v[16:17], v[16:17], v[18:19]
	v_mov_b32_e32 v18, s16
	s_add_i32 s16, s16, 1
	s_cmp_lg_u32 s64, s16
	v_cmp_lt_f64_e32 vcc, v[14:15], v[16:17]
	v_cndmask_b32_e32 v1, v1, v11, vcc
	v_cndmask_b32_e32 v0, v0, v10, vcc
	;; [unrolled: 1-line block ×5, first 2 shown]
	s_cbranch_scc1 .LBB120_946
.LBB120_947:
	s_waitcnt lgkmcnt(0)
	v_cmp_eq_f64_e32 vcc, 0, v[0:1]
	v_cmp_eq_f64_e64 s[4:5], 0, v[2:3]
	s_and_b64 s[4:5], vcc, s[4:5]
	s_and_saveexec_b64 s[16:17], s[4:5]
	s_xor_b64 s[4:5], exec, s[16:17]
; %bb.948:
	v_cmp_ne_u32_e32 vcc, 0, v41
	v_cndmask_b32_e32 v41, 41, v41, vcc
; %bb.949:
	s_andn2_saveexec_b64 s[4:5], s[4:5]
	s_cbranch_execz .LBB120_955
; %bb.950:
	v_cmp_ngt_f64_e64 s[16:17], |v[0:1]|, |v[2:3]|
	s_and_saveexec_b64 s[18:19], s[16:17]
	s_xor_b64 s[18:19], exec, s[18:19]
	s_cbranch_execz .LBB120_952
; %bb.951:
	v_div_scale_f64 v[10:11], s[16:17], v[2:3], v[2:3], v[0:1]
	v_rcp_f64_e32 v[12:13], v[10:11]
	v_fma_f64 v[14:15], -v[10:11], v[12:13], 1.0
	v_fma_f64 v[12:13], v[12:13], v[14:15], v[12:13]
	v_div_scale_f64 v[14:15], vcc, v[0:1], v[2:3], v[0:1]
	v_fma_f64 v[16:17], -v[10:11], v[12:13], 1.0
	v_fma_f64 v[12:13], v[12:13], v[16:17], v[12:13]
	v_mul_f64 v[16:17], v[14:15], v[12:13]
	v_fma_f64 v[10:11], -v[10:11], v[16:17], v[14:15]
	v_div_fmas_f64 v[10:11], v[10:11], v[12:13], v[16:17]
	v_div_fixup_f64 v[10:11], v[10:11], v[2:3], v[0:1]
	v_fma_f64 v[0:1], v[0:1], v[10:11], v[2:3]
	v_div_scale_f64 v[2:3], s[16:17], v[0:1], v[0:1], 1.0
	v_div_scale_f64 v[16:17], vcc, 1.0, v[0:1], 1.0
	v_rcp_f64_e32 v[12:13], v[2:3]
	v_fma_f64 v[14:15], -v[2:3], v[12:13], 1.0
	v_fma_f64 v[12:13], v[12:13], v[14:15], v[12:13]
	v_fma_f64 v[14:15], -v[2:3], v[12:13], 1.0
	v_fma_f64 v[12:13], v[12:13], v[14:15], v[12:13]
	v_mul_f64 v[14:15], v[16:17], v[12:13]
	v_fma_f64 v[2:3], -v[2:3], v[14:15], v[16:17]
	v_div_fmas_f64 v[2:3], v[2:3], v[12:13], v[14:15]
	v_div_fixup_f64 v[2:3], v[2:3], v[0:1], 1.0
	v_mul_f64 v[0:1], v[10:11], v[2:3]
	v_xor_b32_e32 v3, 0x80000000, v3
.LBB120_952:
	s_andn2_saveexec_b64 s[18:19], s[18:19]
	s_cbranch_execz .LBB120_954
; %bb.953:
	v_div_scale_f64 v[10:11], s[16:17], v[0:1], v[0:1], v[2:3]
	v_rcp_f64_e32 v[12:13], v[10:11]
	v_fma_f64 v[14:15], -v[10:11], v[12:13], 1.0
	v_fma_f64 v[12:13], v[12:13], v[14:15], v[12:13]
	v_div_scale_f64 v[14:15], vcc, v[2:3], v[0:1], v[2:3]
	v_fma_f64 v[16:17], -v[10:11], v[12:13], 1.0
	v_fma_f64 v[12:13], v[12:13], v[16:17], v[12:13]
	v_mul_f64 v[16:17], v[14:15], v[12:13]
	v_fma_f64 v[10:11], -v[10:11], v[16:17], v[14:15]
	v_div_fmas_f64 v[10:11], v[10:11], v[12:13], v[16:17]
	v_div_fixup_f64 v[10:11], v[10:11], v[0:1], v[2:3]
	v_fma_f64 v[0:1], v[2:3], v[10:11], v[0:1]
	v_div_scale_f64 v[2:3], s[16:17], v[0:1], v[0:1], 1.0
	v_div_scale_f64 v[16:17], vcc, 1.0, v[0:1], 1.0
	v_rcp_f64_e32 v[12:13], v[2:3]
	v_fma_f64 v[14:15], -v[2:3], v[12:13], 1.0
	v_fma_f64 v[12:13], v[12:13], v[14:15], v[12:13]
	v_fma_f64 v[14:15], -v[2:3], v[12:13], 1.0
	v_fma_f64 v[12:13], v[12:13], v[14:15], v[12:13]
	v_mul_f64 v[14:15], v[16:17], v[12:13]
	v_fma_f64 v[2:3], -v[2:3], v[14:15], v[16:17]
	v_div_fmas_f64 v[2:3], v[2:3], v[12:13], v[14:15]
	v_div_fixup_f64 v[0:1], v[2:3], v[0:1], 1.0
	v_mul_f64 v[2:3], v[10:11], -v[0:1]
.LBB120_954:
	s_or_b64 exec, exec, s[18:19]
.LBB120_955:
	s_or_b64 exec, exec, s[4:5]
	v_cmp_ne_u32_e32 vcc, v43, v4
	s_and_saveexec_b64 s[4:5], vcc
	s_xor_b64 s[4:5], exec, s[4:5]
	s_cbranch_execz .LBB120_961
; %bb.956:
	v_cmp_eq_u32_e32 vcc, 40, v43
	s_and_saveexec_b64 s[18:19], vcc
	s_cbranch_execz .LBB120_960
; %bb.957:
	v_cmp_ne_u32_e32 vcc, 40, v4
	s_xor_b64 s[16:17], s[22:23], -1
	s_and_b64 s[16:17], s[16:17], vcc
	s_and_saveexec_b64 s[24:25], s[16:17]
	s_cbranch_execz .LBB120_959
; %bb.958:
	v_ashrrev_i32_e32 v5, 31, v4
	v_lshlrev_b64 v[10:11], 2, v[4:5]
	v_add_co_u32_e32 v10, vcc, v8, v10
	v_addc_co_u32_e32 v11, vcc, v9, v11, vcc
	global_load_dword v5, v[10:11], off
	global_load_dword v12, v[8:9], off offset:160
	s_waitcnt vmcnt(1)
	global_store_dword v[8:9], v5, off offset:160
	s_waitcnt vmcnt(1)
	global_store_dword v[10:11], v12, off
.LBB120_959:
	s_or_b64 exec, exec, s[24:25]
	v_mov_b32_e32 v43, v4
	v_mov_b32_e32 v42, v4
.LBB120_960:
	s_or_b64 exec, exec, s[18:19]
.LBB120_961:
	s_andn2_saveexec_b64 s[4:5], s[4:5]
	s_cbranch_execz .LBB120_963
; %bb.962:
	v_mov_b32_e32 v11, s44
	buffer_load_dword v4, v11, s[0:3], 0 offen
	buffer_load_dword v5, v11, s[0:3], 0 offen offset:4
	buffer_load_dword v10, v11, s[0:3], 0 offen offset:8
	s_nop 0
	buffer_load_dword v11, v11, s[0:3], 0 offen offset:12
	v_mov_b32_e32 v43, 40
	s_waitcnt vmcnt(0)
	ds_write2_b64 v40, v[4:5], v[10:11] offset0:82 offset1:83
	v_mov_b32_e32 v11, s43
	buffer_load_dword v4, v11, s[0:3], 0 offen
	buffer_load_dword v5, v11, s[0:3], 0 offen offset:4
	buffer_load_dword v10, v11, s[0:3], 0 offen offset:8
	s_nop 0
	buffer_load_dword v11, v11, s[0:3], 0 offen offset:12
	s_waitcnt vmcnt(0)
	ds_write2_b64 v40, v[4:5], v[10:11] offset0:84 offset1:85
	v_mov_b32_e32 v11, s42
	buffer_load_dword v4, v11, s[0:3], 0 offen
	buffer_load_dword v5, v11, s[0:3], 0 offen offset:4
	buffer_load_dword v10, v11, s[0:3], 0 offen offset:8
	s_nop 0
	buffer_load_dword v11, v11, s[0:3], 0 offen offset:12
	s_waitcnt vmcnt(0)
	ds_write2_b64 v40, v[4:5], v[10:11] offset0:86 offset1:87
	v_mov_b32_e32 v11, s41
	buffer_load_dword v4, v11, s[0:3], 0 offen
	buffer_load_dword v5, v11, s[0:3], 0 offen offset:4
	buffer_load_dword v10, v11, s[0:3], 0 offen offset:8
	s_nop 0
	buffer_load_dword v11, v11, s[0:3], 0 offen offset:12
	s_waitcnt vmcnt(0)
	ds_write2_b64 v40, v[4:5], v[10:11] offset0:88 offset1:89
	v_mov_b32_e32 v11, s40
	buffer_load_dword v4, v11, s[0:3], 0 offen
	buffer_load_dword v5, v11, s[0:3], 0 offen offset:4
	buffer_load_dword v10, v11, s[0:3], 0 offen offset:8
	s_nop 0
	buffer_load_dword v11, v11, s[0:3], 0 offen offset:12
	s_waitcnt vmcnt(0)
	ds_write2_b64 v40, v[4:5], v[10:11] offset0:90 offset1:91
	v_mov_b32_e32 v11, s39
	buffer_load_dword v4, v11, s[0:3], 0 offen
	buffer_load_dword v5, v11, s[0:3], 0 offen offset:4
	buffer_load_dword v10, v11, s[0:3], 0 offen offset:8
	s_nop 0
	buffer_load_dword v11, v11, s[0:3], 0 offen offset:12
	s_waitcnt vmcnt(0)
	ds_write2_b64 v40, v[4:5], v[10:11] offset0:92 offset1:93
	v_mov_b32_e32 v11, s38
	buffer_load_dword v4, v11, s[0:3], 0 offen
	buffer_load_dword v5, v11, s[0:3], 0 offen offset:4
	buffer_load_dword v10, v11, s[0:3], 0 offen offset:8
	s_nop 0
	buffer_load_dword v11, v11, s[0:3], 0 offen offset:12
	s_waitcnt vmcnt(0)
	ds_write2_b64 v40, v[4:5], v[10:11] offset0:94 offset1:95
	v_mov_b32_e32 v11, s37
	buffer_load_dword v4, v11, s[0:3], 0 offen
	buffer_load_dword v5, v11, s[0:3], 0 offen offset:4
	buffer_load_dword v10, v11, s[0:3], 0 offen offset:8
	s_nop 0
	buffer_load_dword v11, v11, s[0:3], 0 offen offset:12
	s_waitcnt vmcnt(0)
	ds_write2_b64 v40, v[4:5], v[10:11] offset0:96 offset1:97
	v_mov_b32_e32 v11, s36
	buffer_load_dword v4, v11, s[0:3], 0 offen
	buffer_load_dword v5, v11, s[0:3], 0 offen offset:4
	buffer_load_dword v10, v11, s[0:3], 0 offen offset:8
	s_nop 0
	buffer_load_dword v11, v11, s[0:3], 0 offen offset:12
	s_waitcnt vmcnt(0)
	ds_write2_b64 v40, v[4:5], v[10:11] offset0:98 offset1:99
	v_mov_b32_e32 v11, s35
	buffer_load_dword v4, v11, s[0:3], 0 offen
	buffer_load_dword v5, v11, s[0:3], 0 offen offset:4
	buffer_load_dword v10, v11, s[0:3], 0 offen offset:8
	s_nop 0
	buffer_load_dword v11, v11, s[0:3], 0 offen offset:12
	s_waitcnt vmcnt(0)
	ds_write2_b64 v40, v[4:5], v[10:11] offset0:100 offset1:101
	v_mov_b32_e32 v11, s34
	buffer_load_dword v4, v11, s[0:3], 0 offen
	buffer_load_dword v5, v11, s[0:3], 0 offen offset:4
	buffer_load_dword v10, v11, s[0:3], 0 offen offset:8
	s_nop 0
	buffer_load_dword v11, v11, s[0:3], 0 offen offset:12
	s_waitcnt vmcnt(0)
	ds_write2_b64 v40, v[4:5], v[10:11] offset0:102 offset1:103
	v_mov_b32_e32 v11, s33
	buffer_load_dword v4, v11, s[0:3], 0 offen
	buffer_load_dword v5, v11, s[0:3], 0 offen offset:4
	buffer_load_dword v10, v11, s[0:3], 0 offen offset:8
	s_nop 0
	buffer_load_dword v11, v11, s[0:3], 0 offen offset:12
	s_waitcnt vmcnt(0)
	ds_write2_b64 v40, v[4:5], v[10:11] offset0:104 offset1:105
	v_mov_b32_e32 v11, s31
	buffer_load_dword v4, v11, s[0:3], 0 offen
	buffer_load_dword v5, v11, s[0:3], 0 offen offset:4
	buffer_load_dword v10, v11, s[0:3], 0 offen offset:8
	s_nop 0
	buffer_load_dword v11, v11, s[0:3], 0 offen offset:12
	s_waitcnt vmcnt(0)
	ds_write2_b64 v40, v[4:5], v[10:11] offset0:106 offset1:107
	v_mov_b32_e32 v11, s30
	buffer_load_dword v4, v11, s[0:3], 0 offen
	buffer_load_dword v5, v11, s[0:3], 0 offen offset:4
	buffer_load_dword v10, v11, s[0:3], 0 offen offset:8
	s_nop 0
	buffer_load_dword v11, v11, s[0:3], 0 offen offset:12
	s_waitcnt vmcnt(0)
	ds_write2_b64 v40, v[4:5], v[10:11] offset0:108 offset1:109
	v_mov_b32_e32 v11, s29
	buffer_load_dword v4, v11, s[0:3], 0 offen
	buffer_load_dword v5, v11, s[0:3], 0 offen offset:4
	buffer_load_dword v10, v11, s[0:3], 0 offen offset:8
	s_nop 0
	buffer_load_dword v11, v11, s[0:3], 0 offen offset:12
	s_waitcnt vmcnt(0)
	ds_write2_b64 v40, v[4:5], v[10:11] offset0:110 offset1:111
	v_mov_b32_e32 v11, s28
	buffer_load_dword v4, v11, s[0:3], 0 offen
	buffer_load_dword v5, v11, s[0:3], 0 offen offset:4
	buffer_load_dword v10, v11, s[0:3], 0 offen offset:8
	s_nop 0
	buffer_load_dword v11, v11, s[0:3], 0 offen offset:12
	s_waitcnt vmcnt(0)
	ds_write2_b64 v40, v[4:5], v[10:11] offset0:112 offset1:113
	v_mov_b32_e32 v11, s27
	buffer_load_dword v4, v11, s[0:3], 0 offen
	buffer_load_dword v5, v11, s[0:3], 0 offen offset:4
	buffer_load_dword v10, v11, s[0:3], 0 offen offset:8
	s_nop 0
	buffer_load_dword v11, v11, s[0:3], 0 offen offset:12
	s_waitcnt vmcnt(0)
	ds_write2_b64 v40, v[4:5], v[10:11] offset0:114 offset1:115
	v_mov_b32_e32 v11, s26
	buffer_load_dword v4, v11, s[0:3], 0 offen
	buffer_load_dword v5, v11, s[0:3], 0 offen offset:4
	buffer_load_dword v10, v11, s[0:3], 0 offen offset:8
	s_nop 0
	buffer_load_dword v11, v11, s[0:3], 0 offen offset:12
	s_waitcnt vmcnt(0)
	ds_write2_b64 v40, v[4:5], v[10:11] offset0:116 offset1:117
	v_mov_b32_e32 v11, s20
	buffer_load_dword v4, v11, s[0:3], 0 offen
	buffer_load_dword v5, v11, s[0:3], 0 offen offset:4
	buffer_load_dword v10, v11, s[0:3], 0 offen offset:8
	s_nop 0
	buffer_load_dword v11, v11, s[0:3], 0 offen offset:12
	s_waitcnt vmcnt(0)
	ds_write2_b64 v40, v[4:5], v[10:11] offset0:118 offset1:119
	v_mov_b32_e32 v11, s7
	buffer_load_dword v4, v11, s[0:3], 0 offen
	buffer_load_dword v5, v11, s[0:3], 0 offen offset:4
	buffer_load_dword v10, v11, s[0:3], 0 offen offset:8
	s_nop 0
	buffer_load_dword v11, v11, s[0:3], 0 offen offset:12
	s_waitcnt vmcnt(0)
	ds_write2_b64 v40, v[4:5], v[10:11] offset0:120 offset1:121
.LBB120_963:
	s_or_b64 exec, exec, s[4:5]
	v_cmp_lt_i32_e32 vcc, 40, v43
	s_waitcnt vmcnt(0) lgkmcnt(0)
	s_barrier
	s_and_saveexec_b64 s[4:5], vcc
	s_cbranch_execz .LBB120_965
; %bb.964:
	buffer_load_dword v4, off, s[0:3], 0 offset:640
	buffer_load_dword v5, off, s[0:3], 0 offset:644
	;; [unrolled: 1-line block ×16, first 2 shown]
	s_waitcnt vmcnt(12)
	v_mul_f64 v[24:25], v[2:3], v[10:11]
	v_fma_f64 v[24:25], v[0:1], v[4:5], -v[24:25]
	v_mul_f64 v[0:1], v[0:1], v[10:11]
	v_fma_f64 v[4:5], v[2:3], v[4:5], v[0:1]
	buffer_store_dword v24, off, s[0:3], 0 offset:640
	buffer_store_dword v25, off, s[0:3], 0 offset:644
	buffer_store_dword v4, off, s[0:3], 0 offset:648
	buffer_store_dword v5, off, s[0:3], 0 offset:652
	ds_read2_b64 v[0:3], v40 offset0:82 offset1:83
	s_waitcnt lgkmcnt(0)
	v_mul_f64 v[10:11], v[2:3], v[4:5]
	v_fma_f64 v[10:11], v[0:1], v[24:25], -v[10:11]
	v_mul_f64 v[0:1], v[0:1], v[4:5]
	v_fma_f64 v[0:1], v[2:3], v[24:25], v[0:1]
	s_waitcnt vmcnt(14)
	v_add_f64 v[2:3], v[12:13], -v[10:11]
	s_waitcnt vmcnt(12)
	v_add_f64 v[0:1], v[14:15], -v[0:1]
	buffer_store_dword v2, off, s[0:3], 0 offset:656
	buffer_store_dword v3, off, s[0:3], 0 offset:660
	buffer_store_dword v0, off, s[0:3], 0 offset:664
	buffer_store_dword v1, off, s[0:3], 0 offset:668
	ds_read2_b64 v[0:3], v40 offset0:84 offset1:85
	s_waitcnt lgkmcnt(0)
	v_mul_f64 v[10:11], v[2:3], v[4:5]
	v_fma_f64 v[10:11], v[0:1], v[24:25], -v[10:11]
	v_mul_f64 v[0:1], v[0:1], v[4:5]
	v_fma_f64 v[0:1], v[2:3], v[24:25], v[0:1]
	s_waitcnt vmcnt(14)
	v_add_f64 v[2:3], v[16:17], -v[10:11]
	s_waitcnt vmcnt(12)
	v_add_f64 v[0:1], v[18:19], -v[0:1]
	;; [unrolled: 14-line block ×3, first 2 shown]
	buffer_store_dword v3, off, s[0:3], 0 offset:692
	buffer_store_dword v2, off, s[0:3], 0 offset:688
	buffer_store_dword v0, off, s[0:3], 0 offset:696
	buffer_store_dword v1, off, s[0:3], 0 offset:700
	ds_read2_b64 v[0:3], v40 offset0:88 offset1:89
	s_waitcnt lgkmcnt(0)
	v_mul_f64 v[10:11], v[2:3], v[4:5]
	v_fma_f64 v[10:11], v[0:1], v[24:25], -v[10:11]
	v_mul_f64 v[0:1], v[0:1], v[4:5]
	v_fma_f64 v[0:1], v[2:3], v[24:25], v[0:1]
	buffer_load_dword v2, off, s[0:3], 0 offset:704
	buffer_load_dword v3, off, s[0:3], 0 offset:708
	buffer_load_dword v12, off, s[0:3], 0 offset:712
	buffer_load_dword v13, off, s[0:3], 0 offset:716
	s_waitcnt vmcnt(2)
	v_add_f64 v[2:3], v[2:3], -v[10:11]
	s_waitcnt vmcnt(0)
	v_add_f64 v[0:1], v[12:13], -v[0:1]
	buffer_store_dword v3, off, s[0:3], 0 offset:708
	buffer_store_dword v2, off, s[0:3], 0 offset:704
	buffer_store_dword v1, off, s[0:3], 0 offset:716
	buffer_store_dword v0, off, s[0:3], 0 offset:712
	ds_read2_b64 v[0:3], v40 offset0:90 offset1:91
	s_waitcnt lgkmcnt(0)
	v_mul_f64 v[10:11], v[2:3], v[4:5]
	v_fma_f64 v[10:11], v[0:1], v[24:25], -v[10:11]
	v_mul_f64 v[0:1], v[0:1], v[4:5]
	v_fma_f64 v[0:1], v[2:3], v[24:25], v[0:1]
	buffer_load_dword v2, off, s[0:3], 0 offset:720
	buffer_load_dword v3, off, s[0:3], 0 offset:724
	buffer_load_dword v12, off, s[0:3], 0 offset:728
	buffer_load_dword v13, off, s[0:3], 0 offset:732
	s_waitcnt vmcnt(2)
	v_add_f64 v[2:3], v[2:3], -v[10:11]
	s_waitcnt vmcnt(0)
	v_add_f64 v[0:1], v[12:13], -v[0:1]
	;; [unrolled: 18-line block ×3, first 2 shown]
	buffer_store_dword v3, off, s[0:3], 0 offset:740
	buffer_store_dword v2, off, s[0:3], 0 offset:736
	;; [unrolled: 1-line block ×4, first 2 shown]
	ds_read2_b64 v[0:3], v40 offset0:94 offset1:95
	buffer_load_dword v4, off, s[0:3], 0 offset:640
	buffer_load_dword v5, off, s[0:3], 0 offset:644
	;; [unrolled: 1-line block ×4, first 2 shown]
	s_waitcnt vmcnt(0) lgkmcnt(0)
	v_mul_f64 v[12:13], v[2:3], v[10:11]
	v_fma_f64 v[12:13], v[0:1], v[4:5], -v[12:13]
	v_mul_f64 v[0:1], v[0:1], v[10:11]
	v_fma_f64 v[0:1], v[2:3], v[4:5], v[0:1]
	buffer_load_dword v3, off, s[0:3], 0 offset:756
	buffer_load_dword v2, off, s[0:3], 0 offset:752
	s_waitcnt vmcnt(0)
	v_add_f64 v[2:3], v[2:3], -v[12:13]
	buffer_load_dword v13, off, s[0:3], 0 offset:764
	buffer_load_dword v12, off, s[0:3], 0 offset:760
	s_waitcnt vmcnt(0)
	v_add_f64 v[0:1], v[12:13], -v[0:1]
	buffer_store_dword v3, off, s[0:3], 0 offset:756
	buffer_store_dword v2, off, s[0:3], 0 offset:752
	buffer_store_dword v1, off, s[0:3], 0 offset:764
	buffer_store_dword v0, off, s[0:3], 0 offset:760
	ds_read2_b64 v[0:3], v40 offset0:96 offset1:97
	s_waitcnt lgkmcnt(0)
	v_mul_f64 v[12:13], v[2:3], v[10:11]
	v_fma_f64 v[12:13], v[0:1], v[4:5], -v[12:13]
	v_mul_f64 v[0:1], v[0:1], v[10:11]
	v_fma_f64 v[0:1], v[2:3], v[4:5], v[0:1]
	buffer_load_dword v2, off, s[0:3], 0 offset:768
	buffer_load_dword v3, off, s[0:3], 0 offset:772
	buffer_load_dword v14, off, s[0:3], 0 offset:776
	buffer_load_dword v15, off, s[0:3], 0 offset:780
	s_waitcnt vmcnt(2)
	v_add_f64 v[2:3], v[2:3], -v[12:13]
	s_waitcnt vmcnt(0)
	v_add_f64 v[0:1], v[14:15], -v[0:1]
	buffer_store_dword v3, off, s[0:3], 0 offset:772
	buffer_store_dword v2, off, s[0:3], 0 offset:768
	buffer_store_dword v1, off, s[0:3], 0 offset:780
	buffer_store_dword v0, off, s[0:3], 0 offset:776
	ds_read2_b64 v[0:3], v40 offset0:98 offset1:99
	s_waitcnt lgkmcnt(0)
	v_mul_f64 v[12:13], v[2:3], v[10:11]
	v_fma_f64 v[12:13], v[0:1], v[4:5], -v[12:13]
	v_mul_f64 v[0:1], v[0:1], v[10:11]
	v_fma_f64 v[0:1], v[2:3], v[4:5], v[0:1]
	buffer_load_dword v2, off, s[0:3], 0 offset:784
	buffer_load_dword v3, off, s[0:3], 0 offset:788
	buffer_load_dword v14, off, s[0:3], 0 offset:792
	buffer_load_dword v15, off, s[0:3], 0 offset:796
	s_waitcnt vmcnt(2)
	v_add_f64 v[2:3], v[2:3], -v[12:13]
	;; [unrolled: 18-line block ×5, first 2 shown]
	s_waitcnt vmcnt(0)
	v_add_f64 v[0:1], v[4:5], -v[0:1]
	buffer_store_dword v3, off, s[0:3], 0 offset:836
	buffer_store_dword v2, off, s[0:3], 0 offset:832
	;; [unrolled: 1-line block ×4, first 2 shown]
	ds_read2_b64 v[0:3], v40 offset0:106 offset1:107
	buffer_load_dword v4, off, s[0:3], 0 offset:640
	buffer_load_dword v5, off, s[0:3], 0 offset:644
	;; [unrolled: 1-line block ×4, first 2 shown]
	s_waitcnt vmcnt(0) lgkmcnt(0)
	v_mul_f64 v[12:13], v[2:3], v[10:11]
	v_fma_f64 v[12:13], v[0:1], v[4:5], -v[12:13]
	v_mul_f64 v[0:1], v[0:1], v[10:11]
	v_fma_f64 v[0:1], v[2:3], v[4:5], v[0:1]
	buffer_load_dword v3, off, s[0:3], 0 offset:852
	buffer_load_dword v2, off, s[0:3], 0 offset:848
	s_waitcnt vmcnt(0)
	v_add_f64 v[2:3], v[2:3], -v[12:13]
	buffer_load_dword v13, off, s[0:3], 0 offset:860
	buffer_load_dword v12, off, s[0:3], 0 offset:856
	s_waitcnt vmcnt(0)
	v_add_f64 v[0:1], v[12:13], -v[0:1]
	buffer_store_dword v3, off, s[0:3], 0 offset:852
	buffer_store_dword v2, off, s[0:3], 0 offset:848
	buffer_store_dword v1, off, s[0:3], 0 offset:860
	buffer_store_dword v0, off, s[0:3], 0 offset:856
	ds_read2_b64 v[0:3], v40 offset0:108 offset1:109
	s_waitcnt lgkmcnt(0)
	v_mul_f64 v[12:13], v[2:3], v[10:11]
	v_fma_f64 v[12:13], v[0:1], v[4:5], -v[12:13]
	v_mul_f64 v[0:1], v[0:1], v[10:11]
	v_fma_f64 v[0:1], v[2:3], v[4:5], v[0:1]
	buffer_load_dword v2, off, s[0:3], 0 offset:864
	buffer_load_dword v3, off, s[0:3], 0 offset:868
	buffer_load_dword v14, off, s[0:3], 0 offset:872
	buffer_load_dword v15, off, s[0:3], 0 offset:876
	s_waitcnt vmcnt(2)
	v_add_f64 v[2:3], v[2:3], -v[12:13]
	s_waitcnt vmcnt(0)
	v_add_f64 v[0:1], v[14:15], -v[0:1]
	buffer_store_dword v3, off, s[0:3], 0 offset:868
	buffer_store_dword v2, off, s[0:3], 0 offset:864
	buffer_store_dword v1, off, s[0:3], 0 offset:876
	buffer_store_dword v0, off, s[0:3], 0 offset:872
	ds_read2_b64 v[0:3], v40 offset0:110 offset1:111
	s_waitcnt lgkmcnt(0)
	v_mul_f64 v[12:13], v[2:3], v[10:11]
	v_fma_f64 v[12:13], v[0:1], v[4:5], -v[12:13]
	v_mul_f64 v[0:1], v[0:1], v[10:11]
	v_fma_f64 v[0:1], v[2:3], v[4:5], v[0:1]
	buffer_load_dword v2, off, s[0:3], 0 offset:880
	buffer_load_dword v3, off, s[0:3], 0 offset:884
	buffer_load_dword v14, off, s[0:3], 0 offset:888
	buffer_load_dword v15, off, s[0:3], 0 offset:892
	s_waitcnt vmcnt(2)
	v_add_f64 v[2:3], v[2:3], -v[12:13]
	;; [unrolled: 18-line block ×5, first 2 shown]
	s_waitcnt vmcnt(0)
	v_add_f64 v[0:1], v[4:5], -v[0:1]
	buffer_store_dword v3, off, s[0:3], 0 offset:932
	buffer_store_dword v2, off, s[0:3], 0 offset:928
	;; [unrolled: 1-line block ×4, first 2 shown]
	ds_read2_b64 v[0:3], v40 offset0:118 offset1:119
	buffer_load_dword v4, off, s[0:3], 0 offset:640
	buffer_load_dword v5, off, s[0:3], 0 offset:644
	;; [unrolled: 1-line block ×4, first 2 shown]
	s_waitcnt vmcnt(0) lgkmcnt(0)
	v_mul_f64 v[12:13], v[2:3], v[10:11]
	v_fma_f64 v[12:13], v[0:1], v[4:5], -v[12:13]
	v_mul_f64 v[0:1], v[0:1], v[10:11]
	v_fma_f64 v[0:1], v[2:3], v[4:5], v[0:1]
	buffer_load_dword v3, off, s[0:3], 0 offset:948
	buffer_load_dword v2, off, s[0:3], 0 offset:944
	s_waitcnt vmcnt(0)
	v_add_f64 v[2:3], v[2:3], -v[12:13]
	buffer_load_dword v13, off, s[0:3], 0 offset:956
	buffer_load_dword v12, off, s[0:3], 0 offset:952
	s_waitcnt vmcnt(0)
	v_add_f64 v[0:1], v[12:13], -v[0:1]
	buffer_store_dword v3, off, s[0:3], 0 offset:948
	buffer_store_dword v2, off, s[0:3], 0 offset:944
	;; [unrolled: 1-line block ×4, first 2 shown]
	ds_read2_b64 v[0:3], v40 offset0:120 offset1:121
	s_waitcnt lgkmcnt(0)
	v_mul_f64 v[12:13], v[2:3], v[10:11]
	v_fma_f64 v[12:13], v[0:1], v[4:5], -v[12:13]
	v_mul_f64 v[0:1], v[0:1], v[10:11]
	v_fma_f64 v[0:1], v[2:3], v[4:5], v[0:1]
	buffer_load_dword v2, off, s[0:3], 0 offset:960
	buffer_load_dword v3, off, s[0:3], 0 offset:964
	;; [unrolled: 1-line block ×4, first 2 shown]
	s_waitcnt vmcnt(2)
	v_add_f64 v[2:3], v[2:3], -v[12:13]
	s_waitcnt vmcnt(0)
	v_add_f64 v[0:1], v[4:5], -v[0:1]
	buffer_store_dword v3, off, s[0:3], 0 offset:964
	buffer_store_dword v2, off, s[0:3], 0 offset:960
	;; [unrolled: 1-line block ×4, first 2 shown]
.LBB120_965:
	s_or_b64 exec, exec, s[4:5]
	v_mov_b32_e32 v3, s44
	s_waitcnt vmcnt(0)
	s_barrier
	buffer_load_dword v0, v3, s[0:3], 0 offen
	buffer_load_dword v1, v3, s[0:3], 0 offen offset:4
	buffer_load_dword v2, v3, s[0:3], 0 offen offset:8
	s_nop 0
	buffer_load_dword v3, v3, s[0:3], 0 offen offset:12
	v_lshl_add_u32 v4, v43, 4, v40
	s_cmp_lt_i32 s64, 43
	s_waitcnt vmcnt(0)
	ds_write2_b64 v4, v[0:1], v[2:3] offset1:1
	s_waitcnt lgkmcnt(0)
	s_barrier
	ds_read2_b64 v[0:3], v40 offset0:82 offset1:83
	v_mov_b32_e32 v4, 41
	s_cbranch_scc1 .LBB120_968
; %bb.966:
	v_add_u32_e32 v5, 0x2a0, v40
	s_mov_b32 s16, 42
	v_mov_b32_e32 v4, 41
.LBB120_967:                            ; =>This Inner Loop Header: Depth=1
	s_waitcnt lgkmcnt(0)
	v_cmp_gt_f64_e32 vcc, 0, v[2:3]
	v_cmp_gt_f64_e64 s[4:5], 0, v[0:1]
	ds_read2_b64 v[10:13], v5 offset1:1
	v_xor_b32_e32 v15, 0x80000000, v1
	v_xor_b32_e32 v17, 0x80000000, v3
	v_mov_b32_e32 v14, v0
	v_mov_b32_e32 v16, v2
	s_waitcnt lgkmcnt(0)
	v_xor_b32_e32 v19, 0x80000000, v13
	v_cndmask_b32_e32 v17, v3, v17, vcc
	v_cndmask_b32_e64 v15, v1, v15, s[4:5]
	v_cmp_gt_f64_e32 vcc, 0, v[12:13]
	v_cmp_gt_f64_e64 s[4:5], 0, v[10:11]
	v_add_f64 v[14:15], v[14:15], v[16:17]
	v_xor_b32_e32 v17, 0x80000000, v11
	v_mov_b32_e32 v16, v10
	v_mov_b32_e32 v18, v12
	v_add_u32_e32 v5, 16, v5
	v_cndmask_b32_e32 v19, v13, v19, vcc
	v_cndmask_b32_e64 v17, v11, v17, s[4:5]
	v_add_f64 v[16:17], v[16:17], v[18:19]
	v_mov_b32_e32 v18, s16
	s_add_i32 s16, s16, 1
	s_cmp_lg_u32 s64, s16
	v_cmp_lt_f64_e32 vcc, v[14:15], v[16:17]
	v_cndmask_b32_e32 v1, v1, v11, vcc
	v_cndmask_b32_e32 v0, v0, v10, vcc
	;; [unrolled: 1-line block ×5, first 2 shown]
	s_cbranch_scc1 .LBB120_967
.LBB120_968:
	s_waitcnt lgkmcnt(0)
	v_cmp_eq_f64_e32 vcc, 0, v[0:1]
	v_cmp_eq_f64_e64 s[4:5], 0, v[2:3]
	s_and_b64 s[4:5], vcc, s[4:5]
	s_and_saveexec_b64 s[16:17], s[4:5]
	s_xor_b64 s[4:5], exec, s[16:17]
; %bb.969:
	v_cmp_ne_u32_e32 vcc, 0, v41
	v_cndmask_b32_e32 v41, 42, v41, vcc
; %bb.970:
	s_andn2_saveexec_b64 s[4:5], s[4:5]
	s_cbranch_execz .LBB120_976
; %bb.971:
	v_cmp_ngt_f64_e64 s[16:17], |v[0:1]|, |v[2:3]|
	s_and_saveexec_b64 s[18:19], s[16:17]
	s_xor_b64 s[18:19], exec, s[18:19]
	s_cbranch_execz .LBB120_973
; %bb.972:
	v_div_scale_f64 v[10:11], s[16:17], v[2:3], v[2:3], v[0:1]
	v_rcp_f64_e32 v[12:13], v[10:11]
	v_fma_f64 v[14:15], -v[10:11], v[12:13], 1.0
	v_fma_f64 v[12:13], v[12:13], v[14:15], v[12:13]
	v_div_scale_f64 v[14:15], vcc, v[0:1], v[2:3], v[0:1]
	v_fma_f64 v[16:17], -v[10:11], v[12:13], 1.0
	v_fma_f64 v[12:13], v[12:13], v[16:17], v[12:13]
	v_mul_f64 v[16:17], v[14:15], v[12:13]
	v_fma_f64 v[10:11], -v[10:11], v[16:17], v[14:15]
	v_div_fmas_f64 v[10:11], v[10:11], v[12:13], v[16:17]
	v_div_fixup_f64 v[10:11], v[10:11], v[2:3], v[0:1]
	v_fma_f64 v[0:1], v[0:1], v[10:11], v[2:3]
	v_div_scale_f64 v[2:3], s[16:17], v[0:1], v[0:1], 1.0
	v_div_scale_f64 v[16:17], vcc, 1.0, v[0:1], 1.0
	v_rcp_f64_e32 v[12:13], v[2:3]
	v_fma_f64 v[14:15], -v[2:3], v[12:13], 1.0
	v_fma_f64 v[12:13], v[12:13], v[14:15], v[12:13]
	v_fma_f64 v[14:15], -v[2:3], v[12:13], 1.0
	v_fma_f64 v[12:13], v[12:13], v[14:15], v[12:13]
	v_mul_f64 v[14:15], v[16:17], v[12:13]
	v_fma_f64 v[2:3], -v[2:3], v[14:15], v[16:17]
	v_div_fmas_f64 v[2:3], v[2:3], v[12:13], v[14:15]
	v_div_fixup_f64 v[2:3], v[2:3], v[0:1], 1.0
	v_mul_f64 v[0:1], v[10:11], v[2:3]
	v_xor_b32_e32 v3, 0x80000000, v3
.LBB120_973:
	s_andn2_saveexec_b64 s[18:19], s[18:19]
	s_cbranch_execz .LBB120_975
; %bb.974:
	v_div_scale_f64 v[10:11], s[16:17], v[0:1], v[0:1], v[2:3]
	v_rcp_f64_e32 v[12:13], v[10:11]
	v_fma_f64 v[14:15], -v[10:11], v[12:13], 1.0
	v_fma_f64 v[12:13], v[12:13], v[14:15], v[12:13]
	v_div_scale_f64 v[14:15], vcc, v[2:3], v[0:1], v[2:3]
	v_fma_f64 v[16:17], -v[10:11], v[12:13], 1.0
	v_fma_f64 v[12:13], v[12:13], v[16:17], v[12:13]
	v_mul_f64 v[16:17], v[14:15], v[12:13]
	v_fma_f64 v[10:11], -v[10:11], v[16:17], v[14:15]
	v_div_fmas_f64 v[10:11], v[10:11], v[12:13], v[16:17]
	v_div_fixup_f64 v[10:11], v[10:11], v[0:1], v[2:3]
	v_fma_f64 v[0:1], v[2:3], v[10:11], v[0:1]
	v_div_scale_f64 v[2:3], s[16:17], v[0:1], v[0:1], 1.0
	v_div_scale_f64 v[16:17], vcc, 1.0, v[0:1], 1.0
	v_rcp_f64_e32 v[12:13], v[2:3]
	v_fma_f64 v[14:15], -v[2:3], v[12:13], 1.0
	v_fma_f64 v[12:13], v[12:13], v[14:15], v[12:13]
	v_fma_f64 v[14:15], -v[2:3], v[12:13], 1.0
	v_fma_f64 v[12:13], v[12:13], v[14:15], v[12:13]
	v_mul_f64 v[14:15], v[16:17], v[12:13]
	v_fma_f64 v[2:3], -v[2:3], v[14:15], v[16:17]
	v_div_fmas_f64 v[2:3], v[2:3], v[12:13], v[14:15]
	v_div_fixup_f64 v[0:1], v[2:3], v[0:1], 1.0
	v_mul_f64 v[2:3], v[10:11], -v[0:1]
.LBB120_975:
	s_or_b64 exec, exec, s[18:19]
.LBB120_976:
	s_or_b64 exec, exec, s[4:5]
	v_cmp_ne_u32_e32 vcc, v43, v4
	s_and_saveexec_b64 s[4:5], vcc
	s_xor_b64 s[4:5], exec, s[4:5]
	s_cbranch_execz .LBB120_982
; %bb.977:
	v_cmp_eq_u32_e32 vcc, 41, v43
	s_and_saveexec_b64 s[18:19], vcc
	s_cbranch_execz .LBB120_981
; %bb.978:
	v_cmp_ne_u32_e32 vcc, 41, v4
	s_xor_b64 s[16:17], s[22:23], -1
	s_and_b64 s[16:17], s[16:17], vcc
	s_and_saveexec_b64 s[24:25], s[16:17]
	s_cbranch_execz .LBB120_980
; %bb.979:
	v_ashrrev_i32_e32 v5, 31, v4
	v_lshlrev_b64 v[10:11], 2, v[4:5]
	v_add_co_u32_e32 v10, vcc, v8, v10
	v_addc_co_u32_e32 v11, vcc, v9, v11, vcc
	global_load_dword v5, v[10:11], off
	global_load_dword v12, v[8:9], off offset:164
	s_waitcnt vmcnt(1)
	global_store_dword v[8:9], v5, off offset:164
	s_waitcnt vmcnt(1)
	global_store_dword v[10:11], v12, off
.LBB120_980:
	s_or_b64 exec, exec, s[24:25]
	v_mov_b32_e32 v43, v4
	v_mov_b32_e32 v42, v4
.LBB120_981:
	s_or_b64 exec, exec, s[18:19]
.LBB120_982:
	s_andn2_saveexec_b64 s[4:5], s[4:5]
	s_cbranch_execz .LBB120_984
; %bb.983:
	v_mov_b32_e32 v11, s43
	buffer_load_dword v4, v11, s[0:3], 0 offen
	buffer_load_dword v5, v11, s[0:3], 0 offen offset:4
	buffer_load_dword v10, v11, s[0:3], 0 offen offset:8
	s_nop 0
	buffer_load_dword v11, v11, s[0:3], 0 offen offset:12
	v_mov_b32_e32 v43, 41
	s_waitcnt vmcnt(0)
	ds_write2_b64 v40, v[4:5], v[10:11] offset0:84 offset1:85
	v_mov_b32_e32 v11, s42
	buffer_load_dword v4, v11, s[0:3], 0 offen
	buffer_load_dword v5, v11, s[0:3], 0 offen offset:4
	buffer_load_dword v10, v11, s[0:3], 0 offen offset:8
	s_nop 0
	buffer_load_dword v11, v11, s[0:3], 0 offen offset:12
	s_waitcnt vmcnt(0)
	ds_write2_b64 v40, v[4:5], v[10:11] offset0:86 offset1:87
	v_mov_b32_e32 v11, s41
	buffer_load_dword v4, v11, s[0:3], 0 offen
	buffer_load_dword v5, v11, s[0:3], 0 offen offset:4
	buffer_load_dword v10, v11, s[0:3], 0 offen offset:8
	s_nop 0
	buffer_load_dword v11, v11, s[0:3], 0 offen offset:12
	;; [unrolled: 8-line block ×18, first 2 shown]
	s_waitcnt vmcnt(0)
	ds_write2_b64 v40, v[4:5], v[10:11] offset0:120 offset1:121
.LBB120_984:
	s_or_b64 exec, exec, s[4:5]
	v_cmp_lt_i32_e32 vcc, 41, v43
	s_waitcnt vmcnt(0) lgkmcnt(0)
	s_barrier
	s_and_saveexec_b64 s[4:5], vcc
	s_cbranch_execz .LBB120_986
; %bb.985:
	buffer_load_dword v4, off, s[0:3], 0 offset:656
	buffer_load_dword v5, off, s[0:3], 0 offset:660
	;; [unrolled: 1-line block ×16, first 2 shown]
	s_waitcnt vmcnt(12)
	v_mul_f64 v[24:25], v[2:3], v[10:11]
	v_fma_f64 v[24:25], v[0:1], v[4:5], -v[24:25]
	v_mul_f64 v[0:1], v[0:1], v[10:11]
	v_fma_f64 v[4:5], v[2:3], v[4:5], v[0:1]
	buffer_store_dword v24, off, s[0:3], 0 offset:656
	buffer_store_dword v25, off, s[0:3], 0 offset:660
	buffer_store_dword v4, off, s[0:3], 0 offset:664
	buffer_store_dword v5, off, s[0:3], 0 offset:668
	ds_read2_b64 v[0:3], v40 offset0:84 offset1:85
	s_waitcnt lgkmcnt(0)
	v_mul_f64 v[10:11], v[2:3], v[4:5]
	v_fma_f64 v[10:11], v[0:1], v[24:25], -v[10:11]
	v_mul_f64 v[0:1], v[0:1], v[4:5]
	v_fma_f64 v[0:1], v[2:3], v[24:25], v[0:1]
	s_waitcnt vmcnt(14)
	v_add_f64 v[2:3], v[12:13], -v[10:11]
	s_waitcnt vmcnt(12)
	v_add_f64 v[0:1], v[14:15], -v[0:1]
	buffer_store_dword v2, off, s[0:3], 0 offset:672
	buffer_store_dword v3, off, s[0:3], 0 offset:676
	buffer_store_dword v0, off, s[0:3], 0 offset:680
	buffer_store_dword v1, off, s[0:3], 0 offset:684
	ds_read2_b64 v[0:3], v40 offset0:86 offset1:87
	s_waitcnt lgkmcnt(0)
	v_mul_f64 v[10:11], v[2:3], v[4:5]
	v_fma_f64 v[10:11], v[0:1], v[24:25], -v[10:11]
	v_mul_f64 v[0:1], v[0:1], v[4:5]
	v_fma_f64 v[0:1], v[2:3], v[24:25], v[0:1]
	s_waitcnt vmcnt(14)
	v_add_f64 v[2:3], v[16:17], -v[10:11]
	s_waitcnt vmcnt(12)
	v_add_f64 v[0:1], v[18:19], -v[0:1]
	;; [unrolled: 14-line block ×3, first 2 shown]
	buffer_store_dword v3, off, s[0:3], 0 offset:708
	buffer_store_dword v2, off, s[0:3], 0 offset:704
	buffer_store_dword v0, off, s[0:3], 0 offset:712
	buffer_store_dword v1, off, s[0:3], 0 offset:716
	ds_read2_b64 v[0:3], v40 offset0:90 offset1:91
	s_waitcnt lgkmcnt(0)
	v_mul_f64 v[10:11], v[2:3], v[4:5]
	v_fma_f64 v[10:11], v[0:1], v[24:25], -v[10:11]
	v_mul_f64 v[0:1], v[0:1], v[4:5]
	v_fma_f64 v[0:1], v[2:3], v[24:25], v[0:1]
	buffer_load_dword v2, off, s[0:3], 0 offset:720
	buffer_load_dword v3, off, s[0:3], 0 offset:724
	buffer_load_dword v12, off, s[0:3], 0 offset:728
	buffer_load_dword v13, off, s[0:3], 0 offset:732
	s_waitcnt vmcnt(2)
	v_add_f64 v[2:3], v[2:3], -v[10:11]
	s_waitcnt vmcnt(0)
	v_add_f64 v[0:1], v[12:13], -v[0:1]
	buffer_store_dword v3, off, s[0:3], 0 offset:724
	buffer_store_dword v2, off, s[0:3], 0 offset:720
	buffer_store_dword v1, off, s[0:3], 0 offset:732
	buffer_store_dword v0, off, s[0:3], 0 offset:728
	ds_read2_b64 v[0:3], v40 offset0:92 offset1:93
	s_waitcnt lgkmcnt(0)
	v_mul_f64 v[10:11], v[2:3], v[4:5]
	v_fma_f64 v[10:11], v[0:1], v[24:25], -v[10:11]
	v_mul_f64 v[0:1], v[0:1], v[4:5]
	v_fma_f64 v[0:1], v[2:3], v[24:25], v[0:1]
	buffer_load_dword v2, off, s[0:3], 0 offset:736
	buffer_load_dword v3, off, s[0:3], 0 offset:740
	buffer_load_dword v12, off, s[0:3], 0 offset:744
	buffer_load_dword v13, off, s[0:3], 0 offset:748
	s_waitcnt vmcnt(2)
	v_add_f64 v[2:3], v[2:3], -v[10:11]
	s_waitcnt vmcnt(0)
	v_add_f64 v[0:1], v[12:13], -v[0:1]
	;; [unrolled: 18-line block ×3, first 2 shown]
	buffer_store_dword v3, off, s[0:3], 0 offset:756
	buffer_store_dword v2, off, s[0:3], 0 offset:752
	;; [unrolled: 1-line block ×4, first 2 shown]
	ds_read2_b64 v[0:3], v40 offset0:96 offset1:97
	buffer_load_dword v4, off, s[0:3], 0 offset:656
	buffer_load_dword v5, off, s[0:3], 0 offset:660
	;; [unrolled: 1-line block ×4, first 2 shown]
	s_waitcnt vmcnt(0) lgkmcnt(0)
	v_mul_f64 v[12:13], v[2:3], v[10:11]
	v_fma_f64 v[12:13], v[0:1], v[4:5], -v[12:13]
	v_mul_f64 v[0:1], v[0:1], v[10:11]
	v_fma_f64 v[0:1], v[2:3], v[4:5], v[0:1]
	buffer_load_dword v3, off, s[0:3], 0 offset:772
	buffer_load_dword v2, off, s[0:3], 0 offset:768
	s_waitcnt vmcnt(0)
	v_add_f64 v[2:3], v[2:3], -v[12:13]
	buffer_load_dword v13, off, s[0:3], 0 offset:780
	buffer_load_dword v12, off, s[0:3], 0 offset:776
	s_waitcnt vmcnt(0)
	v_add_f64 v[0:1], v[12:13], -v[0:1]
	buffer_store_dword v3, off, s[0:3], 0 offset:772
	buffer_store_dword v2, off, s[0:3], 0 offset:768
	buffer_store_dword v1, off, s[0:3], 0 offset:780
	buffer_store_dword v0, off, s[0:3], 0 offset:776
	ds_read2_b64 v[0:3], v40 offset0:98 offset1:99
	s_waitcnt lgkmcnt(0)
	v_mul_f64 v[12:13], v[2:3], v[10:11]
	v_fma_f64 v[12:13], v[0:1], v[4:5], -v[12:13]
	v_mul_f64 v[0:1], v[0:1], v[10:11]
	v_fma_f64 v[0:1], v[2:3], v[4:5], v[0:1]
	buffer_load_dword v2, off, s[0:3], 0 offset:784
	buffer_load_dword v3, off, s[0:3], 0 offset:788
	buffer_load_dword v14, off, s[0:3], 0 offset:792
	buffer_load_dword v15, off, s[0:3], 0 offset:796
	s_waitcnt vmcnt(2)
	v_add_f64 v[2:3], v[2:3], -v[12:13]
	s_waitcnt vmcnt(0)
	v_add_f64 v[0:1], v[14:15], -v[0:1]
	buffer_store_dword v3, off, s[0:3], 0 offset:788
	buffer_store_dword v2, off, s[0:3], 0 offset:784
	buffer_store_dword v1, off, s[0:3], 0 offset:796
	buffer_store_dword v0, off, s[0:3], 0 offset:792
	ds_read2_b64 v[0:3], v40 offset0:100 offset1:101
	s_waitcnt lgkmcnt(0)
	v_mul_f64 v[12:13], v[2:3], v[10:11]
	v_fma_f64 v[12:13], v[0:1], v[4:5], -v[12:13]
	v_mul_f64 v[0:1], v[0:1], v[10:11]
	v_fma_f64 v[0:1], v[2:3], v[4:5], v[0:1]
	buffer_load_dword v2, off, s[0:3], 0 offset:800
	buffer_load_dword v3, off, s[0:3], 0 offset:804
	buffer_load_dword v14, off, s[0:3], 0 offset:808
	buffer_load_dword v15, off, s[0:3], 0 offset:812
	s_waitcnt vmcnt(2)
	v_add_f64 v[2:3], v[2:3], -v[12:13]
	;; [unrolled: 18-line block ×5, first 2 shown]
	s_waitcnt vmcnt(0)
	v_add_f64 v[0:1], v[4:5], -v[0:1]
	buffer_store_dword v3, off, s[0:3], 0 offset:852
	buffer_store_dword v2, off, s[0:3], 0 offset:848
	;; [unrolled: 1-line block ×4, first 2 shown]
	ds_read2_b64 v[0:3], v40 offset0:108 offset1:109
	buffer_load_dword v4, off, s[0:3], 0 offset:656
	buffer_load_dword v5, off, s[0:3], 0 offset:660
	;; [unrolled: 1-line block ×4, first 2 shown]
	s_waitcnt vmcnt(0) lgkmcnt(0)
	v_mul_f64 v[12:13], v[2:3], v[10:11]
	v_fma_f64 v[12:13], v[0:1], v[4:5], -v[12:13]
	v_mul_f64 v[0:1], v[0:1], v[10:11]
	v_fma_f64 v[0:1], v[2:3], v[4:5], v[0:1]
	buffer_load_dword v3, off, s[0:3], 0 offset:868
	buffer_load_dword v2, off, s[0:3], 0 offset:864
	s_waitcnt vmcnt(0)
	v_add_f64 v[2:3], v[2:3], -v[12:13]
	buffer_load_dword v13, off, s[0:3], 0 offset:876
	buffer_load_dword v12, off, s[0:3], 0 offset:872
	s_waitcnt vmcnt(0)
	v_add_f64 v[0:1], v[12:13], -v[0:1]
	buffer_store_dword v3, off, s[0:3], 0 offset:868
	buffer_store_dword v2, off, s[0:3], 0 offset:864
	buffer_store_dword v1, off, s[0:3], 0 offset:876
	buffer_store_dword v0, off, s[0:3], 0 offset:872
	ds_read2_b64 v[0:3], v40 offset0:110 offset1:111
	s_waitcnt lgkmcnt(0)
	v_mul_f64 v[12:13], v[2:3], v[10:11]
	v_fma_f64 v[12:13], v[0:1], v[4:5], -v[12:13]
	v_mul_f64 v[0:1], v[0:1], v[10:11]
	v_fma_f64 v[0:1], v[2:3], v[4:5], v[0:1]
	buffer_load_dword v2, off, s[0:3], 0 offset:880
	buffer_load_dword v3, off, s[0:3], 0 offset:884
	buffer_load_dword v14, off, s[0:3], 0 offset:888
	buffer_load_dword v15, off, s[0:3], 0 offset:892
	s_waitcnt vmcnt(2)
	v_add_f64 v[2:3], v[2:3], -v[12:13]
	s_waitcnt vmcnt(0)
	v_add_f64 v[0:1], v[14:15], -v[0:1]
	buffer_store_dword v3, off, s[0:3], 0 offset:884
	buffer_store_dword v2, off, s[0:3], 0 offset:880
	buffer_store_dword v1, off, s[0:3], 0 offset:892
	buffer_store_dword v0, off, s[0:3], 0 offset:888
	ds_read2_b64 v[0:3], v40 offset0:112 offset1:113
	s_waitcnt lgkmcnt(0)
	v_mul_f64 v[12:13], v[2:3], v[10:11]
	v_fma_f64 v[12:13], v[0:1], v[4:5], -v[12:13]
	v_mul_f64 v[0:1], v[0:1], v[10:11]
	v_fma_f64 v[0:1], v[2:3], v[4:5], v[0:1]
	buffer_load_dword v2, off, s[0:3], 0 offset:896
	buffer_load_dword v3, off, s[0:3], 0 offset:900
	buffer_load_dword v14, off, s[0:3], 0 offset:904
	buffer_load_dword v15, off, s[0:3], 0 offset:908
	s_waitcnt vmcnt(2)
	v_add_f64 v[2:3], v[2:3], -v[12:13]
	;; [unrolled: 18-line block ×5, first 2 shown]
	s_waitcnt vmcnt(0)
	v_add_f64 v[0:1], v[4:5], -v[0:1]
	buffer_store_dword v3, off, s[0:3], 0 offset:948
	buffer_store_dword v2, off, s[0:3], 0 offset:944
	;; [unrolled: 1-line block ×4, first 2 shown]
	ds_read2_b64 v[0:3], v40 offset0:120 offset1:121
	buffer_load_dword v4, off, s[0:3], 0 offset:656
	buffer_load_dword v5, off, s[0:3], 0 offset:660
	;; [unrolled: 1-line block ×4, first 2 shown]
	s_waitcnt vmcnt(0) lgkmcnt(0)
	v_mul_f64 v[12:13], v[2:3], v[10:11]
	v_fma_f64 v[12:13], v[0:1], v[4:5], -v[12:13]
	v_mul_f64 v[0:1], v[0:1], v[10:11]
	v_fma_f64 v[0:1], v[2:3], v[4:5], v[0:1]
	buffer_load_dword v3, off, s[0:3], 0 offset:964
	buffer_load_dword v2, off, s[0:3], 0 offset:960
	;; [unrolled: 1-line block ×4, first 2 shown]
	s_waitcnt vmcnt(2)
	v_add_f64 v[2:3], v[2:3], -v[12:13]
	s_waitcnt vmcnt(0)
	v_add_f64 v[0:1], v[4:5], -v[0:1]
	buffer_store_dword v3, off, s[0:3], 0 offset:964
	buffer_store_dword v2, off, s[0:3], 0 offset:960
	;; [unrolled: 1-line block ×4, first 2 shown]
.LBB120_986:
	s_or_b64 exec, exec, s[4:5]
	v_mov_b32_e32 v3, s43
	s_waitcnt vmcnt(0)
	s_barrier
	buffer_load_dword v0, v3, s[0:3], 0 offen
	buffer_load_dword v1, v3, s[0:3], 0 offen offset:4
	buffer_load_dword v2, v3, s[0:3], 0 offen offset:8
	s_nop 0
	buffer_load_dword v3, v3, s[0:3], 0 offen offset:12
	v_lshl_add_u32 v4, v43, 4, v40
	s_cmp_lt_i32 s64, 44
	s_waitcnt vmcnt(0)
	ds_write2_b64 v4, v[0:1], v[2:3] offset1:1
	s_waitcnt lgkmcnt(0)
	s_barrier
	ds_read2_b64 v[0:3], v40 offset0:84 offset1:85
	v_mov_b32_e32 v4, 42
	s_cbranch_scc1 .LBB120_989
; %bb.987:
	v_add_u32_e32 v5, 0x2b0, v40
	s_mov_b32 s16, 43
	v_mov_b32_e32 v4, 42
.LBB120_988:                            ; =>This Inner Loop Header: Depth=1
	s_waitcnt lgkmcnt(0)
	v_cmp_gt_f64_e32 vcc, 0, v[2:3]
	v_cmp_gt_f64_e64 s[4:5], 0, v[0:1]
	ds_read2_b64 v[10:13], v5 offset1:1
	v_xor_b32_e32 v15, 0x80000000, v1
	v_xor_b32_e32 v17, 0x80000000, v3
	v_mov_b32_e32 v14, v0
	v_mov_b32_e32 v16, v2
	s_waitcnt lgkmcnt(0)
	v_xor_b32_e32 v19, 0x80000000, v13
	v_cndmask_b32_e32 v17, v3, v17, vcc
	v_cndmask_b32_e64 v15, v1, v15, s[4:5]
	v_cmp_gt_f64_e32 vcc, 0, v[12:13]
	v_cmp_gt_f64_e64 s[4:5], 0, v[10:11]
	v_add_f64 v[14:15], v[14:15], v[16:17]
	v_xor_b32_e32 v17, 0x80000000, v11
	v_mov_b32_e32 v16, v10
	v_mov_b32_e32 v18, v12
	v_add_u32_e32 v5, 16, v5
	v_cndmask_b32_e32 v19, v13, v19, vcc
	v_cndmask_b32_e64 v17, v11, v17, s[4:5]
	v_add_f64 v[16:17], v[16:17], v[18:19]
	v_mov_b32_e32 v18, s16
	s_add_i32 s16, s16, 1
	s_cmp_lg_u32 s64, s16
	v_cmp_lt_f64_e32 vcc, v[14:15], v[16:17]
	v_cndmask_b32_e32 v1, v1, v11, vcc
	v_cndmask_b32_e32 v0, v0, v10, vcc
	;; [unrolled: 1-line block ×5, first 2 shown]
	s_cbranch_scc1 .LBB120_988
.LBB120_989:
	s_waitcnt lgkmcnt(0)
	v_cmp_eq_f64_e32 vcc, 0, v[0:1]
	v_cmp_eq_f64_e64 s[4:5], 0, v[2:3]
	s_and_b64 s[4:5], vcc, s[4:5]
	s_and_saveexec_b64 s[16:17], s[4:5]
	s_xor_b64 s[4:5], exec, s[16:17]
; %bb.990:
	v_cmp_ne_u32_e32 vcc, 0, v41
	v_cndmask_b32_e32 v41, 43, v41, vcc
; %bb.991:
	s_andn2_saveexec_b64 s[4:5], s[4:5]
	s_cbranch_execz .LBB120_997
; %bb.992:
	v_cmp_ngt_f64_e64 s[16:17], |v[0:1]|, |v[2:3]|
	s_and_saveexec_b64 s[18:19], s[16:17]
	s_xor_b64 s[18:19], exec, s[18:19]
	s_cbranch_execz .LBB120_994
; %bb.993:
	v_div_scale_f64 v[10:11], s[16:17], v[2:3], v[2:3], v[0:1]
	v_rcp_f64_e32 v[12:13], v[10:11]
	v_fma_f64 v[14:15], -v[10:11], v[12:13], 1.0
	v_fma_f64 v[12:13], v[12:13], v[14:15], v[12:13]
	v_div_scale_f64 v[14:15], vcc, v[0:1], v[2:3], v[0:1]
	v_fma_f64 v[16:17], -v[10:11], v[12:13], 1.0
	v_fma_f64 v[12:13], v[12:13], v[16:17], v[12:13]
	v_mul_f64 v[16:17], v[14:15], v[12:13]
	v_fma_f64 v[10:11], -v[10:11], v[16:17], v[14:15]
	v_div_fmas_f64 v[10:11], v[10:11], v[12:13], v[16:17]
	v_div_fixup_f64 v[10:11], v[10:11], v[2:3], v[0:1]
	v_fma_f64 v[0:1], v[0:1], v[10:11], v[2:3]
	v_div_scale_f64 v[2:3], s[16:17], v[0:1], v[0:1], 1.0
	v_div_scale_f64 v[16:17], vcc, 1.0, v[0:1], 1.0
	v_rcp_f64_e32 v[12:13], v[2:3]
	v_fma_f64 v[14:15], -v[2:3], v[12:13], 1.0
	v_fma_f64 v[12:13], v[12:13], v[14:15], v[12:13]
	v_fma_f64 v[14:15], -v[2:3], v[12:13], 1.0
	v_fma_f64 v[12:13], v[12:13], v[14:15], v[12:13]
	v_mul_f64 v[14:15], v[16:17], v[12:13]
	v_fma_f64 v[2:3], -v[2:3], v[14:15], v[16:17]
	v_div_fmas_f64 v[2:3], v[2:3], v[12:13], v[14:15]
	v_div_fixup_f64 v[2:3], v[2:3], v[0:1], 1.0
	v_mul_f64 v[0:1], v[10:11], v[2:3]
	v_xor_b32_e32 v3, 0x80000000, v3
.LBB120_994:
	s_andn2_saveexec_b64 s[18:19], s[18:19]
	s_cbranch_execz .LBB120_996
; %bb.995:
	v_div_scale_f64 v[10:11], s[16:17], v[0:1], v[0:1], v[2:3]
	v_rcp_f64_e32 v[12:13], v[10:11]
	v_fma_f64 v[14:15], -v[10:11], v[12:13], 1.0
	v_fma_f64 v[12:13], v[12:13], v[14:15], v[12:13]
	v_div_scale_f64 v[14:15], vcc, v[2:3], v[0:1], v[2:3]
	v_fma_f64 v[16:17], -v[10:11], v[12:13], 1.0
	v_fma_f64 v[12:13], v[12:13], v[16:17], v[12:13]
	v_mul_f64 v[16:17], v[14:15], v[12:13]
	v_fma_f64 v[10:11], -v[10:11], v[16:17], v[14:15]
	v_div_fmas_f64 v[10:11], v[10:11], v[12:13], v[16:17]
	v_div_fixup_f64 v[10:11], v[10:11], v[0:1], v[2:3]
	v_fma_f64 v[0:1], v[2:3], v[10:11], v[0:1]
	v_div_scale_f64 v[2:3], s[16:17], v[0:1], v[0:1], 1.0
	v_div_scale_f64 v[16:17], vcc, 1.0, v[0:1], 1.0
	v_rcp_f64_e32 v[12:13], v[2:3]
	v_fma_f64 v[14:15], -v[2:3], v[12:13], 1.0
	v_fma_f64 v[12:13], v[12:13], v[14:15], v[12:13]
	v_fma_f64 v[14:15], -v[2:3], v[12:13], 1.0
	v_fma_f64 v[12:13], v[12:13], v[14:15], v[12:13]
	v_mul_f64 v[14:15], v[16:17], v[12:13]
	v_fma_f64 v[2:3], -v[2:3], v[14:15], v[16:17]
	v_div_fmas_f64 v[2:3], v[2:3], v[12:13], v[14:15]
	v_div_fixup_f64 v[0:1], v[2:3], v[0:1], 1.0
	v_mul_f64 v[2:3], v[10:11], -v[0:1]
.LBB120_996:
	s_or_b64 exec, exec, s[18:19]
.LBB120_997:
	s_or_b64 exec, exec, s[4:5]
	v_cmp_ne_u32_e32 vcc, v43, v4
	s_and_saveexec_b64 s[4:5], vcc
	s_xor_b64 s[4:5], exec, s[4:5]
	s_cbranch_execz .LBB120_1003
; %bb.998:
	v_cmp_eq_u32_e32 vcc, 42, v43
	s_and_saveexec_b64 s[18:19], vcc
	s_cbranch_execz .LBB120_1002
; %bb.999:
	v_cmp_ne_u32_e32 vcc, 42, v4
	s_xor_b64 s[16:17], s[22:23], -1
	s_and_b64 s[16:17], s[16:17], vcc
	s_and_saveexec_b64 s[24:25], s[16:17]
	s_cbranch_execz .LBB120_1001
; %bb.1000:
	v_ashrrev_i32_e32 v5, 31, v4
	v_lshlrev_b64 v[10:11], 2, v[4:5]
	v_add_co_u32_e32 v10, vcc, v8, v10
	v_addc_co_u32_e32 v11, vcc, v9, v11, vcc
	global_load_dword v5, v[10:11], off
	global_load_dword v12, v[8:9], off offset:168
	s_waitcnt vmcnt(1)
	global_store_dword v[8:9], v5, off offset:168
	s_waitcnt vmcnt(1)
	global_store_dword v[10:11], v12, off
.LBB120_1001:
	s_or_b64 exec, exec, s[24:25]
	v_mov_b32_e32 v43, v4
	v_mov_b32_e32 v42, v4
.LBB120_1002:
	s_or_b64 exec, exec, s[18:19]
.LBB120_1003:
	s_andn2_saveexec_b64 s[4:5], s[4:5]
	s_cbranch_execz .LBB120_1005
; %bb.1004:
	v_mov_b32_e32 v11, s42
	buffer_load_dword v4, v11, s[0:3], 0 offen
	buffer_load_dword v5, v11, s[0:3], 0 offen offset:4
	buffer_load_dword v10, v11, s[0:3], 0 offen offset:8
	s_nop 0
	buffer_load_dword v11, v11, s[0:3], 0 offen offset:12
	v_mov_b32_e32 v43, 42
	s_waitcnt vmcnt(0)
	ds_write2_b64 v40, v[4:5], v[10:11] offset0:86 offset1:87
	v_mov_b32_e32 v11, s41
	buffer_load_dword v4, v11, s[0:3], 0 offen
	buffer_load_dword v5, v11, s[0:3], 0 offen offset:4
	buffer_load_dword v10, v11, s[0:3], 0 offen offset:8
	s_nop 0
	buffer_load_dword v11, v11, s[0:3], 0 offen offset:12
	s_waitcnt vmcnt(0)
	ds_write2_b64 v40, v[4:5], v[10:11] offset0:88 offset1:89
	v_mov_b32_e32 v11, s40
	buffer_load_dword v4, v11, s[0:3], 0 offen
	buffer_load_dword v5, v11, s[0:3], 0 offen offset:4
	buffer_load_dword v10, v11, s[0:3], 0 offen offset:8
	s_nop 0
	buffer_load_dword v11, v11, s[0:3], 0 offen offset:12
	;; [unrolled: 8-line block ×17, first 2 shown]
	s_waitcnt vmcnt(0)
	ds_write2_b64 v40, v[4:5], v[10:11] offset0:120 offset1:121
.LBB120_1005:
	s_or_b64 exec, exec, s[4:5]
	v_cmp_lt_i32_e32 vcc, 42, v43
	s_waitcnt vmcnt(0) lgkmcnt(0)
	s_barrier
	s_and_saveexec_b64 s[4:5], vcc
	s_cbranch_execz .LBB120_1007
; %bb.1006:
	buffer_load_dword v4, off, s[0:3], 0 offset:672
	buffer_load_dword v5, off, s[0:3], 0 offset:676
	buffer_load_dword v10, off, s[0:3], 0 offset:680
	buffer_load_dword v11, off, s[0:3], 0 offset:684
	buffer_load_dword v12, off, s[0:3], 0 offset:688
	buffer_load_dword v13, off, s[0:3], 0 offset:692
	buffer_load_dword v14, off, s[0:3], 0 offset:696
	buffer_load_dword v15, off, s[0:3], 0 offset:700
	buffer_load_dword v16, off, s[0:3], 0 offset:704
	buffer_load_dword v17, off, s[0:3], 0 offset:708
	buffer_load_dword v18, off, s[0:3], 0 offset:712
	buffer_load_dword v19, off, s[0:3], 0 offset:716
	buffer_load_dword v20, off, s[0:3], 0 offset:720
	buffer_load_dword v21, off, s[0:3], 0 offset:724
	buffer_load_dword v22, off, s[0:3], 0 offset:728
	buffer_load_dword v23, off, s[0:3], 0 offset:732
	s_waitcnt vmcnt(12)
	v_mul_f64 v[24:25], v[2:3], v[10:11]
	v_fma_f64 v[24:25], v[0:1], v[4:5], -v[24:25]
	v_mul_f64 v[0:1], v[0:1], v[10:11]
	v_fma_f64 v[4:5], v[2:3], v[4:5], v[0:1]
	buffer_store_dword v24, off, s[0:3], 0 offset:672
	buffer_store_dword v25, off, s[0:3], 0 offset:676
	buffer_store_dword v4, off, s[0:3], 0 offset:680
	buffer_store_dword v5, off, s[0:3], 0 offset:684
	ds_read2_b64 v[0:3], v40 offset0:86 offset1:87
	s_waitcnt lgkmcnt(0)
	v_mul_f64 v[10:11], v[2:3], v[4:5]
	v_fma_f64 v[10:11], v[0:1], v[24:25], -v[10:11]
	v_mul_f64 v[0:1], v[0:1], v[4:5]
	v_fma_f64 v[0:1], v[2:3], v[24:25], v[0:1]
	s_waitcnt vmcnt(14)
	v_add_f64 v[2:3], v[12:13], -v[10:11]
	s_waitcnt vmcnt(12)
	v_add_f64 v[0:1], v[14:15], -v[0:1]
	buffer_store_dword v2, off, s[0:3], 0 offset:688
	buffer_store_dword v3, off, s[0:3], 0 offset:692
	buffer_store_dword v0, off, s[0:3], 0 offset:696
	buffer_store_dword v1, off, s[0:3], 0 offset:700
	ds_read2_b64 v[0:3], v40 offset0:88 offset1:89
	s_waitcnt lgkmcnt(0)
	v_mul_f64 v[10:11], v[2:3], v[4:5]
	v_fma_f64 v[10:11], v[0:1], v[24:25], -v[10:11]
	v_mul_f64 v[0:1], v[0:1], v[4:5]
	v_fma_f64 v[0:1], v[2:3], v[24:25], v[0:1]
	s_waitcnt vmcnt(14)
	v_add_f64 v[2:3], v[16:17], -v[10:11]
	s_waitcnt vmcnt(12)
	v_add_f64 v[0:1], v[18:19], -v[0:1]
	;; [unrolled: 14-line block ×3, first 2 shown]
	buffer_store_dword v3, off, s[0:3], 0 offset:724
	buffer_store_dword v2, off, s[0:3], 0 offset:720
	buffer_store_dword v0, off, s[0:3], 0 offset:728
	buffer_store_dword v1, off, s[0:3], 0 offset:732
	ds_read2_b64 v[0:3], v40 offset0:92 offset1:93
	s_waitcnt lgkmcnt(0)
	v_mul_f64 v[10:11], v[2:3], v[4:5]
	v_fma_f64 v[10:11], v[0:1], v[24:25], -v[10:11]
	v_mul_f64 v[0:1], v[0:1], v[4:5]
	v_fma_f64 v[0:1], v[2:3], v[24:25], v[0:1]
	buffer_load_dword v2, off, s[0:3], 0 offset:736
	buffer_load_dword v3, off, s[0:3], 0 offset:740
	buffer_load_dword v12, off, s[0:3], 0 offset:744
	buffer_load_dword v13, off, s[0:3], 0 offset:748
	s_waitcnt vmcnt(2)
	v_add_f64 v[2:3], v[2:3], -v[10:11]
	s_waitcnt vmcnt(0)
	v_add_f64 v[0:1], v[12:13], -v[0:1]
	buffer_store_dword v3, off, s[0:3], 0 offset:740
	buffer_store_dword v2, off, s[0:3], 0 offset:736
	buffer_store_dword v1, off, s[0:3], 0 offset:748
	buffer_store_dword v0, off, s[0:3], 0 offset:744
	ds_read2_b64 v[0:3], v40 offset0:94 offset1:95
	s_waitcnt lgkmcnt(0)
	v_mul_f64 v[10:11], v[2:3], v[4:5]
	v_fma_f64 v[10:11], v[0:1], v[24:25], -v[10:11]
	v_mul_f64 v[0:1], v[0:1], v[4:5]
	v_fma_f64 v[0:1], v[2:3], v[24:25], v[0:1]
	buffer_load_dword v2, off, s[0:3], 0 offset:752
	buffer_load_dword v3, off, s[0:3], 0 offset:756
	buffer_load_dword v12, off, s[0:3], 0 offset:760
	buffer_load_dword v13, off, s[0:3], 0 offset:764
	s_waitcnt vmcnt(2)
	v_add_f64 v[2:3], v[2:3], -v[10:11]
	s_waitcnt vmcnt(0)
	v_add_f64 v[0:1], v[12:13], -v[0:1]
	;; [unrolled: 18-line block ×3, first 2 shown]
	buffer_store_dword v3, off, s[0:3], 0 offset:772
	buffer_store_dword v2, off, s[0:3], 0 offset:768
	;; [unrolled: 1-line block ×4, first 2 shown]
	ds_read2_b64 v[10:13], v40 offset0:98 offset1:99
	buffer_load_dword v0, off, s[0:3], 0 offset:672
	buffer_load_dword v1, off, s[0:3], 0 offset:676
	;; [unrolled: 1-line block ×4, first 2 shown]
	s_waitcnt vmcnt(0) lgkmcnt(0)
	v_mul_f64 v[4:5], v[12:13], v[2:3]
	v_fma_f64 v[4:5], v[10:11], v[0:1], -v[4:5]
	v_mul_f64 v[10:11], v[10:11], v[2:3]
	v_fma_f64 v[10:11], v[12:13], v[0:1], v[10:11]
	buffer_load_dword v13, off, s[0:3], 0 offset:788
	buffer_load_dword v12, off, s[0:3], 0 offset:784
	s_waitcnt vmcnt(0)
	v_add_f64 v[4:5], v[12:13], -v[4:5]
	buffer_load_dword v13, off, s[0:3], 0 offset:796
	buffer_load_dword v12, off, s[0:3], 0 offset:792
	s_waitcnt vmcnt(0)
	v_add_f64 v[10:11], v[12:13], -v[10:11]
	buffer_store_dword v5, off, s[0:3], 0 offset:788
	buffer_store_dword v4, off, s[0:3], 0 offset:784
	buffer_store_dword v11, off, s[0:3], 0 offset:796
	buffer_store_dword v10, off, s[0:3], 0 offset:792
	ds_read2_b64 v[10:13], v40 offset0:100 offset1:101
	s_waitcnt lgkmcnt(0)
	v_mul_f64 v[4:5], v[12:13], v[2:3]
	v_fma_f64 v[4:5], v[10:11], v[0:1], -v[4:5]
	v_mul_f64 v[10:11], v[10:11], v[2:3]
	v_fma_f64 v[10:11], v[12:13], v[0:1], v[10:11]
	buffer_load_dword v12, off, s[0:3], 0 offset:800
	buffer_load_dword v13, off, s[0:3], 0 offset:804
	buffer_load_dword v14, off, s[0:3], 0 offset:808
	buffer_load_dword v15, off, s[0:3], 0 offset:812
	s_waitcnt vmcnt(2)
	v_add_f64 v[4:5], v[12:13], -v[4:5]
	s_waitcnt vmcnt(0)
	v_add_f64 v[10:11], v[14:15], -v[10:11]
	buffer_store_dword v5, off, s[0:3], 0 offset:804
	buffer_store_dword v4, off, s[0:3], 0 offset:800
	buffer_store_dword v11, off, s[0:3], 0 offset:812
	buffer_store_dword v10, off, s[0:3], 0 offset:808
	ds_read2_b64 v[10:13], v40 offset0:102 offset1:103
	s_waitcnt lgkmcnt(0)
	v_mul_f64 v[4:5], v[12:13], v[2:3]
	v_fma_f64 v[4:5], v[10:11], v[0:1], -v[4:5]
	v_mul_f64 v[10:11], v[10:11], v[2:3]
	v_fma_f64 v[10:11], v[12:13], v[0:1], v[10:11]
	buffer_load_dword v12, off, s[0:3], 0 offset:816
	buffer_load_dword v13, off, s[0:3], 0 offset:820
	buffer_load_dword v14, off, s[0:3], 0 offset:824
	buffer_load_dword v15, off, s[0:3], 0 offset:828
	s_waitcnt vmcnt(2)
	v_add_f64 v[4:5], v[12:13], -v[4:5]
	;; [unrolled: 18-line block ×4, first 2 shown]
	s_waitcnt vmcnt(0)
	v_add_f64 v[10:11], v[14:15], -v[10:11]
	buffer_store_dword v5, off, s[0:3], 0 offset:852
	buffer_store_dword v4, off, s[0:3], 0 offset:848
	;; [unrolled: 1-line block ×4, first 2 shown]
	ds_read2_b64 v[10:13], v40 offset0:108 offset1:109
	s_waitcnt lgkmcnt(0)
	v_mul_f64 v[4:5], v[12:13], v[2:3]
	v_mul_f64 v[2:3], v[10:11], v[2:3]
	v_fma_f64 v[4:5], v[10:11], v[0:1], -v[4:5]
	v_fma_f64 v[0:1], v[12:13], v[0:1], v[2:3]
	buffer_load_dword v2, off, s[0:3], 0 offset:864
	buffer_load_dword v3, off, s[0:3], 0 offset:868
	;; [unrolled: 1-line block ×4, first 2 shown]
	s_waitcnt vmcnt(2)
	v_add_f64 v[2:3], v[2:3], -v[4:5]
	s_waitcnt vmcnt(0)
	v_add_f64 v[0:1], v[10:11], -v[0:1]
	buffer_store_dword v3, off, s[0:3], 0 offset:868
	buffer_store_dword v2, off, s[0:3], 0 offset:864
	;; [unrolled: 1-line block ×4, first 2 shown]
	ds_read2_b64 v[10:13], v40 offset0:110 offset1:111
	buffer_load_dword v0, off, s[0:3], 0 offset:672
	buffer_load_dword v1, off, s[0:3], 0 offset:676
	;; [unrolled: 1-line block ×4, first 2 shown]
	s_waitcnt vmcnt(0) lgkmcnt(0)
	v_mul_f64 v[4:5], v[12:13], v[2:3]
	v_fma_f64 v[4:5], v[10:11], v[0:1], -v[4:5]
	v_mul_f64 v[10:11], v[10:11], v[2:3]
	v_fma_f64 v[10:11], v[12:13], v[0:1], v[10:11]
	buffer_load_dword v13, off, s[0:3], 0 offset:884
	buffer_load_dword v12, off, s[0:3], 0 offset:880
	s_waitcnt vmcnt(0)
	v_add_f64 v[4:5], v[12:13], -v[4:5]
	buffer_load_dword v13, off, s[0:3], 0 offset:892
	buffer_load_dword v12, off, s[0:3], 0 offset:888
	s_waitcnt vmcnt(0)
	v_add_f64 v[10:11], v[12:13], -v[10:11]
	buffer_store_dword v5, off, s[0:3], 0 offset:884
	buffer_store_dword v4, off, s[0:3], 0 offset:880
	buffer_store_dword v11, off, s[0:3], 0 offset:892
	buffer_store_dword v10, off, s[0:3], 0 offset:888
	ds_read2_b64 v[10:13], v40 offset0:112 offset1:113
	s_waitcnt lgkmcnt(0)
	v_mul_f64 v[4:5], v[12:13], v[2:3]
	v_fma_f64 v[4:5], v[10:11], v[0:1], -v[4:5]
	v_mul_f64 v[10:11], v[10:11], v[2:3]
	v_fma_f64 v[10:11], v[12:13], v[0:1], v[10:11]
	buffer_load_dword v12, off, s[0:3], 0 offset:896
	buffer_load_dword v13, off, s[0:3], 0 offset:900
	buffer_load_dword v14, off, s[0:3], 0 offset:904
	buffer_load_dword v15, off, s[0:3], 0 offset:908
	s_waitcnt vmcnt(2)
	v_add_f64 v[4:5], v[12:13], -v[4:5]
	s_waitcnt vmcnt(0)
	v_add_f64 v[10:11], v[14:15], -v[10:11]
	buffer_store_dword v5, off, s[0:3], 0 offset:900
	buffer_store_dword v4, off, s[0:3], 0 offset:896
	buffer_store_dword v11, off, s[0:3], 0 offset:908
	buffer_store_dword v10, off, s[0:3], 0 offset:904
	ds_read2_b64 v[10:13], v40 offset0:114 offset1:115
	s_waitcnt lgkmcnt(0)
	v_mul_f64 v[4:5], v[12:13], v[2:3]
	v_fma_f64 v[4:5], v[10:11], v[0:1], -v[4:5]
	v_mul_f64 v[10:11], v[10:11], v[2:3]
	v_fma_f64 v[10:11], v[12:13], v[0:1], v[10:11]
	buffer_load_dword v12, off, s[0:3], 0 offset:912
	buffer_load_dword v13, off, s[0:3], 0 offset:916
	buffer_load_dword v14, off, s[0:3], 0 offset:920
	buffer_load_dword v15, off, s[0:3], 0 offset:924
	s_waitcnt vmcnt(2)
	v_add_f64 v[4:5], v[12:13], -v[4:5]
	;; [unrolled: 18-line block ×4, first 2 shown]
	s_waitcnt vmcnt(0)
	v_add_f64 v[10:11], v[14:15], -v[10:11]
	buffer_store_dword v5, off, s[0:3], 0 offset:948
	buffer_store_dword v4, off, s[0:3], 0 offset:944
	;; [unrolled: 1-line block ×4, first 2 shown]
	ds_read2_b64 v[10:13], v40 offset0:120 offset1:121
	s_waitcnt lgkmcnt(0)
	v_mul_f64 v[4:5], v[12:13], v[2:3]
	v_mul_f64 v[2:3], v[10:11], v[2:3]
	v_fma_f64 v[4:5], v[10:11], v[0:1], -v[4:5]
	v_fma_f64 v[0:1], v[12:13], v[0:1], v[2:3]
	buffer_load_dword v2, off, s[0:3], 0 offset:960
	buffer_load_dword v3, off, s[0:3], 0 offset:964
	;; [unrolled: 1-line block ×4, first 2 shown]
	s_waitcnt vmcnt(2)
	v_add_f64 v[2:3], v[2:3], -v[4:5]
	s_waitcnt vmcnt(0)
	v_add_f64 v[0:1], v[10:11], -v[0:1]
	buffer_store_dword v3, off, s[0:3], 0 offset:964
	buffer_store_dword v2, off, s[0:3], 0 offset:960
	;; [unrolled: 1-line block ×4, first 2 shown]
.LBB120_1007:
	s_or_b64 exec, exec, s[4:5]
	v_mov_b32_e32 v3, s42
	s_waitcnt vmcnt(0)
	s_barrier
	buffer_load_dword v0, v3, s[0:3], 0 offen
	buffer_load_dword v1, v3, s[0:3], 0 offen offset:4
	buffer_load_dword v2, v3, s[0:3], 0 offen offset:8
	s_nop 0
	buffer_load_dword v3, v3, s[0:3], 0 offen offset:12
	v_lshl_add_u32 v4, v43, 4, v40
	s_cmp_lt_i32 s64, 45
	s_waitcnt vmcnt(0)
	ds_write2_b64 v4, v[0:1], v[2:3] offset1:1
	s_waitcnt lgkmcnt(0)
	s_barrier
	ds_read2_b64 v[0:3], v40 offset0:86 offset1:87
	v_mov_b32_e32 v4, 43
	s_cbranch_scc1 .LBB120_1010
; %bb.1008:
	v_add_u32_e32 v5, 0x2c0, v40
	s_mov_b32 s16, 44
	v_mov_b32_e32 v4, 43
.LBB120_1009:                           ; =>This Inner Loop Header: Depth=1
	s_waitcnt lgkmcnt(0)
	v_cmp_gt_f64_e32 vcc, 0, v[2:3]
	v_cmp_gt_f64_e64 s[4:5], 0, v[0:1]
	ds_read2_b64 v[10:13], v5 offset1:1
	v_xor_b32_e32 v15, 0x80000000, v1
	v_xor_b32_e32 v17, 0x80000000, v3
	v_mov_b32_e32 v14, v0
	v_mov_b32_e32 v16, v2
	s_waitcnt lgkmcnt(0)
	v_xor_b32_e32 v19, 0x80000000, v13
	v_cndmask_b32_e32 v17, v3, v17, vcc
	v_cndmask_b32_e64 v15, v1, v15, s[4:5]
	v_cmp_gt_f64_e32 vcc, 0, v[12:13]
	v_cmp_gt_f64_e64 s[4:5], 0, v[10:11]
	v_add_f64 v[14:15], v[14:15], v[16:17]
	v_xor_b32_e32 v17, 0x80000000, v11
	v_mov_b32_e32 v16, v10
	v_mov_b32_e32 v18, v12
	v_add_u32_e32 v5, 16, v5
	v_cndmask_b32_e32 v19, v13, v19, vcc
	v_cndmask_b32_e64 v17, v11, v17, s[4:5]
	v_add_f64 v[16:17], v[16:17], v[18:19]
	v_mov_b32_e32 v18, s16
	s_add_i32 s16, s16, 1
	s_cmp_lg_u32 s64, s16
	v_cmp_lt_f64_e32 vcc, v[14:15], v[16:17]
	v_cndmask_b32_e32 v1, v1, v11, vcc
	v_cndmask_b32_e32 v0, v0, v10, vcc
	;; [unrolled: 1-line block ×5, first 2 shown]
	s_cbranch_scc1 .LBB120_1009
.LBB120_1010:
	s_waitcnt lgkmcnt(0)
	v_cmp_eq_f64_e32 vcc, 0, v[0:1]
	v_cmp_eq_f64_e64 s[4:5], 0, v[2:3]
	s_and_b64 s[4:5], vcc, s[4:5]
	s_and_saveexec_b64 s[16:17], s[4:5]
	s_xor_b64 s[4:5], exec, s[16:17]
; %bb.1011:
	v_cmp_ne_u32_e32 vcc, 0, v41
	v_cndmask_b32_e32 v41, 44, v41, vcc
; %bb.1012:
	s_andn2_saveexec_b64 s[4:5], s[4:5]
	s_cbranch_execz .LBB120_1018
; %bb.1013:
	v_cmp_ngt_f64_e64 s[16:17], |v[0:1]|, |v[2:3]|
	s_and_saveexec_b64 s[18:19], s[16:17]
	s_xor_b64 s[18:19], exec, s[18:19]
	s_cbranch_execz .LBB120_1015
; %bb.1014:
	v_div_scale_f64 v[10:11], s[16:17], v[2:3], v[2:3], v[0:1]
	v_rcp_f64_e32 v[12:13], v[10:11]
	v_fma_f64 v[14:15], -v[10:11], v[12:13], 1.0
	v_fma_f64 v[12:13], v[12:13], v[14:15], v[12:13]
	v_div_scale_f64 v[14:15], vcc, v[0:1], v[2:3], v[0:1]
	v_fma_f64 v[16:17], -v[10:11], v[12:13], 1.0
	v_fma_f64 v[12:13], v[12:13], v[16:17], v[12:13]
	v_mul_f64 v[16:17], v[14:15], v[12:13]
	v_fma_f64 v[10:11], -v[10:11], v[16:17], v[14:15]
	v_div_fmas_f64 v[10:11], v[10:11], v[12:13], v[16:17]
	v_div_fixup_f64 v[10:11], v[10:11], v[2:3], v[0:1]
	v_fma_f64 v[0:1], v[0:1], v[10:11], v[2:3]
	v_div_scale_f64 v[2:3], s[16:17], v[0:1], v[0:1], 1.0
	v_div_scale_f64 v[16:17], vcc, 1.0, v[0:1], 1.0
	v_rcp_f64_e32 v[12:13], v[2:3]
	v_fma_f64 v[14:15], -v[2:3], v[12:13], 1.0
	v_fma_f64 v[12:13], v[12:13], v[14:15], v[12:13]
	v_fma_f64 v[14:15], -v[2:3], v[12:13], 1.0
	v_fma_f64 v[12:13], v[12:13], v[14:15], v[12:13]
	v_mul_f64 v[14:15], v[16:17], v[12:13]
	v_fma_f64 v[2:3], -v[2:3], v[14:15], v[16:17]
	v_div_fmas_f64 v[2:3], v[2:3], v[12:13], v[14:15]
	v_div_fixup_f64 v[2:3], v[2:3], v[0:1], 1.0
	v_mul_f64 v[0:1], v[10:11], v[2:3]
	v_xor_b32_e32 v3, 0x80000000, v3
.LBB120_1015:
	s_andn2_saveexec_b64 s[18:19], s[18:19]
	s_cbranch_execz .LBB120_1017
; %bb.1016:
	v_div_scale_f64 v[10:11], s[16:17], v[0:1], v[0:1], v[2:3]
	v_rcp_f64_e32 v[12:13], v[10:11]
	v_fma_f64 v[14:15], -v[10:11], v[12:13], 1.0
	v_fma_f64 v[12:13], v[12:13], v[14:15], v[12:13]
	v_div_scale_f64 v[14:15], vcc, v[2:3], v[0:1], v[2:3]
	v_fma_f64 v[16:17], -v[10:11], v[12:13], 1.0
	v_fma_f64 v[12:13], v[12:13], v[16:17], v[12:13]
	v_mul_f64 v[16:17], v[14:15], v[12:13]
	v_fma_f64 v[10:11], -v[10:11], v[16:17], v[14:15]
	v_div_fmas_f64 v[10:11], v[10:11], v[12:13], v[16:17]
	v_div_fixup_f64 v[10:11], v[10:11], v[0:1], v[2:3]
	v_fma_f64 v[0:1], v[2:3], v[10:11], v[0:1]
	v_div_scale_f64 v[2:3], s[16:17], v[0:1], v[0:1], 1.0
	v_div_scale_f64 v[16:17], vcc, 1.0, v[0:1], 1.0
	v_rcp_f64_e32 v[12:13], v[2:3]
	v_fma_f64 v[14:15], -v[2:3], v[12:13], 1.0
	v_fma_f64 v[12:13], v[12:13], v[14:15], v[12:13]
	v_fma_f64 v[14:15], -v[2:3], v[12:13], 1.0
	v_fma_f64 v[12:13], v[12:13], v[14:15], v[12:13]
	v_mul_f64 v[14:15], v[16:17], v[12:13]
	v_fma_f64 v[2:3], -v[2:3], v[14:15], v[16:17]
	v_div_fmas_f64 v[2:3], v[2:3], v[12:13], v[14:15]
	v_div_fixup_f64 v[0:1], v[2:3], v[0:1], 1.0
	v_mul_f64 v[2:3], v[10:11], -v[0:1]
.LBB120_1017:
	s_or_b64 exec, exec, s[18:19]
.LBB120_1018:
	s_or_b64 exec, exec, s[4:5]
	v_cmp_ne_u32_e32 vcc, v43, v4
	s_and_saveexec_b64 s[4:5], vcc
	s_xor_b64 s[4:5], exec, s[4:5]
	s_cbranch_execz .LBB120_1024
; %bb.1019:
	v_cmp_eq_u32_e32 vcc, 43, v43
	s_and_saveexec_b64 s[18:19], vcc
	s_cbranch_execz .LBB120_1023
; %bb.1020:
	v_cmp_ne_u32_e32 vcc, 43, v4
	s_xor_b64 s[16:17], s[22:23], -1
	s_and_b64 s[16:17], s[16:17], vcc
	s_and_saveexec_b64 s[24:25], s[16:17]
	s_cbranch_execz .LBB120_1022
; %bb.1021:
	v_ashrrev_i32_e32 v5, 31, v4
	v_lshlrev_b64 v[10:11], 2, v[4:5]
	v_add_co_u32_e32 v10, vcc, v8, v10
	v_addc_co_u32_e32 v11, vcc, v9, v11, vcc
	global_load_dword v5, v[10:11], off
	global_load_dword v12, v[8:9], off offset:172
	s_waitcnt vmcnt(1)
	global_store_dword v[8:9], v5, off offset:172
	s_waitcnt vmcnt(1)
	global_store_dword v[10:11], v12, off
.LBB120_1022:
	s_or_b64 exec, exec, s[24:25]
	v_mov_b32_e32 v43, v4
	v_mov_b32_e32 v42, v4
.LBB120_1023:
	s_or_b64 exec, exec, s[18:19]
.LBB120_1024:
	s_andn2_saveexec_b64 s[4:5], s[4:5]
	s_cbranch_execz .LBB120_1026
; %bb.1025:
	v_mov_b32_e32 v11, s41
	buffer_load_dword v4, v11, s[0:3], 0 offen
	buffer_load_dword v5, v11, s[0:3], 0 offen offset:4
	buffer_load_dword v10, v11, s[0:3], 0 offen offset:8
	s_nop 0
	buffer_load_dword v11, v11, s[0:3], 0 offen offset:12
	v_mov_b32_e32 v43, 43
	s_waitcnt vmcnt(0)
	ds_write2_b64 v40, v[4:5], v[10:11] offset0:88 offset1:89
	v_mov_b32_e32 v11, s40
	buffer_load_dword v4, v11, s[0:3], 0 offen
	buffer_load_dword v5, v11, s[0:3], 0 offen offset:4
	buffer_load_dword v10, v11, s[0:3], 0 offen offset:8
	s_nop 0
	buffer_load_dword v11, v11, s[0:3], 0 offen offset:12
	s_waitcnt vmcnt(0)
	ds_write2_b64 v40, v[4:5], v[10:11] offset0:90 offset1:91
	v_mov_b32_e32 v11, s39
	buffer_load_dword v4, v11, s[0:3], 0 offen
	buffer_load_dword v5, v11, s[0:3], 0 offen offset:4
	buffer_load_dword v10, v11, s[0:3], 0 offen offset:8
	s_nop 0
	buffer_load_dword v11, v11, s[0:3], 0 offen offset:12
	;; [unrolled: 8-line block ×16, first 2 shown]
	s_waitcnt vmcnt(0)
	ds_write2_b64 v40, v[4:5], v[10:11] offset0:120 offset1:121
.LBB120_1026:
	s_or_b64 exec, exec, s[4:5]
	v_cmp_lt_i32_e32 vcc, 43, v43
	s_waitcnt vmcnt(0) lgkmcnt(0)
	s_barrier
	s_and_saveexec_b64 s[4:5], vcc
	s_cbranch_execz .LBB120_1028
; %bb.1027:
	buffer_load_dword v10, off, s[0:3], 0 offset:688
	buffer_load_dword v11, off, s[0:3], 0 offset:692
	;; [unrolled: 1-line block ×16, first 2 shown]
	s_waitcnt vmcnt(12)
	v_mul_f64 v[4:5], v[2:3], v[12:13]
	v_fma_f64 v[4:5], v[0:1], v[10:11], -v[4:5]
	v_mul_f64 v[0:1], v[0:1], v[12:13]
	v_fma_f64 v[10:11], v[2:3], v[10:11], v[0:1]
	buffer_store_dword v4, off, s[0:3], 0 offset:688
	buffer_store_dword v5, off, s[0:3], 0 offset:692
	buffer_store_dword v10, off, s[0:3], 0 offset:696
	buffer_store_dword v11, off, s[0:3], 0 offset:700
	ds_read2_b64 v[0:3], v40 offset0:88 offset1:89
	s_waitcnt lgkmcnt(0)
	v_mul_f64 v[12:13], v[2:3], v[10:11]
	v_fma_f64 v[12:13], v[0:1], v[4:5], -v[12:13]
	v_mul_f64 v[0:1], v[0:1], v[10:11]
	v_fma_f64 v[0:1], v[2:3], v[4:5], v[0:1]
	s_waitcnt vmcnt(14)
	v_add_f64 v[2:3], v[14:15], -v[12:13]
	s_waitcnt vmcnt(12)
	v_add_f64 v[0:1], v[16:17], -v[0:1]
	buffer_store_dword v2, off, s[0:3], 0 offset:704
	buffer_store_dword v3, off, s[0:3], 0 offset:708
	buffer_store_dword v0, off, s[0:3], 0 offset:712
	buffer_store_dword v1, off, s[0:3], 0 offset:716
	ds_read2_b64 v[0:3], v40 offset0:90 offset1:91
	s_waitcnt lgkmcnt(0)
	v_mul_f64 v[12:13], v[2:3], v[10:11]
	v_fma_f64 v[12:13], v[0:1], v[4:5], -v[12:13]
	v_mul_f64 v[0:1], v[0:1], v[10:11]
	v_fma_f64 v[0:1], v[2:3], v[4:5], v[0:1]
	s_waitcnt vmcnt(14)
	v_add_f64 v[2:3], v[18:19], -v[12:13]
	s_waitcnt vmcnt(12)
	v_add_f64 v[0:1], v[20:21], -v[0:1]
	;; [unrolled: 14-line block ×3, first 2 shown]
	buffer_store_dword v3, off, s[0:3], 0 offset:740
	buffer_store_dword v2, off, s[0:3], 0 offset:736
	buffer_store_dword v0, off, s[0:3], 0 offset:744
	buffer_store_dword v1, off, s[0:3], 0 offset:748
	ds_read2_b64 v[0:3], v40 offset0:94 offset1:95
	s_waitcnt lgkmcnt(0)
	v_mul_f64 v[12:13], v[2:3], v[10:11]
	v_fma_f64 v[12:13], v[0:1], v[4:5], -v[12:13]
	v_mul_f64 v[0:1], v[0:1], v[10:11]
	v_fma_f64 v[0:1], v[2:3], v[4:5], v[0:1]
	buffer_load_dword v2, off, s[0:3], 0 offset:752
	buffer_load_dword v3, off, s[0:3], 0 offset:756
	buffer_load_dword v14, off, s[0:3], 0 offset:760
	buffer_load_dword v15, off, s[0:3], 0 offset:764
	s_waitcnt vmcnt(2)
	v_add_f64 v[2:3], v[2:3], -v[12:13]
	s_waitcnt vmcnt(0)
	v_add_f64 v[0:1], v[14:15], -v[0:1]
	buffer_store_dword v3, off, s[0:3], 0 offset:756
	buffer_store_dword v2, off, s[0:3], 0 offset:752
	buffer_store_dword v1, off, s[0:3], 0 offset:764
	buffer_store_dword v0, off, s[0:3], 0 offset:760
	ds_read2_b64 v[0:3], v40 offset0:96 offset1:97
	s_waitcnt lgkmcnt(0)
	v_mul_f64 v[12:13], v[2:3], v[10:11]
	v_fma_f64 v[12:13], v[0:1], v[4:5], -v[12:13]
	v_mul_f64 v[0:1], v[0:1], v[10:11]
	v_fma_f64 v[0:1], v[2:3], v[4:5], v[0:1]
	buffer_load_dword v2, off, s[0:3], 0 offset:768
	buffer_load_dword v3, off, s[0:3], 0 offset:772
	buffer_load_dword v14, off, s[0:3], 0 offset:776
	buffer_load_dword v15, off, s[0:3], 0 offset:780
	s_waitcnt vmcnt(2)
	v_add_f64 v[2:3], v[2:3], -v[12:13]
	s_waitcnt vmcnt(0)
	v_add_f64 v[0:1], v[14:15], -v[0:1]
	;; [unrolled: 18-line block ×3, first 2 shown]
	buffer_store_dword v3, off, s[0:3], 0 offset:788
	buffer_store_dword v2, off, s[0:3], 0 offset:784
	;; [unrolled: 1-line block ×4, first 2 shown]
	ds_read2_b64 v[2:5], v40 offset0:100 offset1:101
	buffer_load_dword v0, off, s[0:3], 0 offset:688
	buffer_load_dword v1, off, s[0:3], 0 offset:692
	;; [unrolled: 1-line block ×4, first 2 shown]
	s_waitcnt vmcnt(0) lgkmcnt(0)
	v_mul_f64 v[12:13], v[4:5], v[10:11]
	v_fma_f64 v[12:13], v[2:3], v[0:1], -v[12:13]
	v_mul_f64 v[2:3], v[2:3], v[10:11]
	v_fma_f64 v[2:3], v[4:5], v[0:1], v[2:3]
	buffer_load_dword v5, off, s[0:3], 0 offset:804
	buffer_load_dword v4, off, s[0:3], 0 offset:800
	s_waitcnt vmcnt(0)
	v_add_f64 v[4:5], v[4:5], -v[12:13]
	buffer_load_dword v13, off, s[0:3], 0 offset:812
	buffer_load_dword v12, off, s[0:3], 0 offset:808
	s_waitcnt vmcnt(0)
	v_add_f64 v[2:3], v[12:13], -v[2:3]
	buffer_store_dword v5, off, s[0:3], 0 offset:804
	buffer_store_dword v4, off, s[0:3], 0 offset:800
	buffer_store_dword v3, off, s[0:3], 0 offset:812
	buffer_store_dword v2, off, s[0:3], 0 offset:808
	ds_read2_b64 v[2:5], v40 offset0:102 offset1:103
	s_waitcnt lgkmcnt(0)
	v_mul_f64 v[12:13], v[4:5], v[10:11]
	v_fma_f64 v[12:13], v[2:3], v[0:1], -v[12:13]
	v_mul_f64 v[2:3], v[2:3], v[10:11]
	v_fma_f64 v[2:3], v[4:5], v[0:1], v[2:3]
	buffer_load_dword v4, off, s[0:3], 0 offset:816
	buffer_load_dword v5, off, s[0:3], 0 offset:820
	buffer_load_dword v14, off, s[0:3], 0 offset:824
	buffer_load_dword v15, off, s[0:3], 0 offset:828
	s_waitcnt vmcnt(2)
	v_add_f64 v[4:5], v[4:5], -v[12:13]
	s_waitcnt vmcnt(0)
	v_add_f64 v[2:3], v[14:15], -v[2:3]
	buffer_store_dword v5, off, s[0:3], 0 offset:820
	buffer_store_dword v4, off, s[0:3], 0 offset:816
	buffer_store_dword v3, off, s[0:3], 0 offset:828
	buffer_store_dword v2, off, s[0:3], 0 offset:824
	ds_read2_b64 v[2:5], v40 offset0:104 offset1:105
	s_waitcnt lgkmcnt(0)
	v_mul_f64 v[12:13], v[4:5], v[10:11]
	v_fma_f64 v[12:13], v[2:3], v[0:1], -v[12:13]
	v_mul_f64 v[2:3], v[2:3], v[10:11]
	v_fma_f64 v[2:3], v[4:5], v[0:1], v[2:3]
	buffer_load_dword v4, off, s[0:3], 0 offset:832
	buffer_load_dword v5, off, s[0:3], 0 offset:836
	buffer_load_dword v14, off, s[0:3], 0 offset:840
	buffer_load_dword v15, off, s[0:3], 0 offset:844
	s_waitcnt vmcnt(2)
	v_add_f64 v[4:5], v[4:5], -v[12:13]
	;; [unrolled: 18-line block ×5, first 2 shown]
	s_waitcnt vmcnt(0)
	v_add_f64 v[0:1], v[4:5], -v[0:1]
	buffer_store_dword v3, off, s[0:3], 0 offset:884
	buffer_store_dword v2, off, s[0:3], 0 offset:880
	;; [unrolled: 1-line block ×4, first 2 shown]
	ds_read2_b64 v[10:13], v40 offset0:112 offset1:113
	buffer_load_dword v0, off, s[0:3], 0 offset:688
	buffer_load_dword v1, off, s[0:3], 0 offset:692
	buffer_load_dword v2, off, s[0:3], 0 offset:696
	buffer_load_dword v3, off, s[0:3], 0 offset:700
	s_waitcnt vmcnt(0) lgkmcnt(0)
	v_mul_f64 v[4:5], v[12:13], v[2:3]
	v_fma_f64 v[4:5], v[10:11], v[0:1], -v[4:5]
	v_mul_f64 v[10:11], v[10:11], v[2:3]
	v_fma_f64 v[10:11], v[12:13], v[0:1], v[10:11]
	buffer_load_dword v13, off, s[0:3], 0 offset:900
	buffer_load_dword v12, off, s[0:3], 0 offset:896
	s_waitcnt vmcnt(0)
	v_add_f64 v[4:5], v[12:13], -v[4:5]
	buffer_load_dword v13, off, s[0:3], 0 offset:908
	buffer_load_dword v12, off, s[0:3], 0 offset:904
	s_waitcnt vmcnt(0)
	v_add_f64 v[10:11], v[12:13], -v[10:11]
	buffer_store_dword v5, off, s[0:3], 0 offset:900
	buffer_store_dword v4, off, s[0:3], 0 offset:896
	buffer_store_dword v11, off, s[0:3], 0 offset:908
	buffer_store_dword v10, off, s[0:3], 0 offset:904
	ds_read2_b64 v[10:13], v40 offset0:114 offset1:115
	s_waitcnt lgkmcnt(0)
	v_mul_f64 v[4:5], v[12:13], v[2:3]
	v_fma_f64 v[4:5], v[10:11], v[0:1], -v[4:5]
	v_mul_f64 v[10:11], v[10:11], v[2:3]
	v_fma_f64 v[10:11], v[12:13], v[0:1], v[10:11]
	buffer_load_dword v12, off, s[0:3], 0 offset:912
	buffer_load_dword v13, off, s[0:3], 0 offset:916
	buffer_load_dword v14, off, s[0:3], 0 offset:920
	buffer_load_dword v15, off, s[0:3], 0 offset:924
	s_waitcnt vmcnt(2)
	v_add_f64 v[4:5], v[12:13], -v[4:5]
	s_waitcnt vmcnt(0)
	v_add_f64 v[10:11], v[14:15], -v[10:11]
	buffer_store_dword v5, off, s[0:3], 0 offset:916
	buffer_store_dword v4, off, s[0:3], 0 offset:912
	buffer_store_dword v11, off, s[0:3], 0 offset:924
	buffer_store_dword v10, off, s[0:3], 0 offset:920
	ds_read2_b64 v[10:13], v40 offset0:116 offset1:117
	s_waitcnt lgkmcnt(0)
	v_mul_f64 v[4:5], v[12:13], v[2:3]
	v_fma_f64 v[4:5], v[10:11], v[0:1], -v[4:5]
	v_mul_f64 v[10:11], v[10:11], v[2:3]
	v_fma_f64 v[10:11], v[12:13], v[0:1], v[10:11]
	buffer_load_dword v12, off, s[0:3], 0 offset:928
	buffer_load_dword v13, off, s[0:3], 0 offset:932
	buffer_load_dword v14, off, s[0:3], 0 offset:936
	buffer_load_dword v15, off, s[0:3], 0 offset:940
	s_waitcnt vmcnt(2)
	v_add_f64 v[4:5], v[12:13], -v[4:5]
	;; [unrolled: 18-line block ×3, first 2 shown]
	s_waitcnt vmcnt(0)
	v_add_f64 v[10:11], v[14:15], -v[10:11]
	buffer_store_dword v5, off, s[0:3], 0 offset:948
	buffer_store_dword v4, off, s[0:3], 0 offset:944
	;; [unrolled: 1-line block ×4, first 2 shown]
	ds_read2_b64 v[10:13], v40 offset0:120 offset1:121
	s_waitcnt lgkmcnt(0)
	v_mul_f64 v[4:5], v[12:13], v[2:3]
	v_mul_f64 v[2:3], v[10:11], v[2:3]
	v_fma_f64 v[4:5], v[10:11], v[0:1], -v[4:5]
	v_fma_f64 v[0:1], v[12:13], v[0:1], v[2:3]
	buffer_load_dword v2, off, s[0:3], 0 offset:960
	buffer_load_dword v3, off, s[0:3], 0 offset:964
	;; [unrolled: 1-line block ×4, first 2 shown]
	s_waitcnt vmcnt(2)
	v_add_f64 v[2:3], v[2:3], -v[4:5]
	s_waitcnt vmcnt(0)
	v_add_f64 v[0:1], v[10:11], -v[0:1]
	buffer_store_dword v3, off, s[0:3], 0 offset:964
	buffer_store_dword v2, off, s[0:3], 0 offset:960
	;; [unrolled: 1-line block ×4, first 2 shown]
.LBB120_1028:
	s_or_b64 exec, exec, s[4:5]
	v_mov_b32_e32 v3, s41
	s_waitcnt vmcnt(0)
	s_barrier
	buffer_load_dword v0, v3, s[0:3], 0 offen
	buffer_load_dword v1, v3, s[0:3], 0 offen offset:4
	buffer_load_dword v2, v3, s[0:3], 0 offen offset:8
	s_nop 0
	buffer_load_dword v3, v3, s[0:3], 0 offen offset:12
	v_lshl_add_u32 v4, v43, 4, v40
	s_cmp_lt_i32 s64, 46
	s_waitcnt vmcnt(0)
	ds_write2_b64 v4, v[0:1], v[2:3] offset1:1
	s_waitcnt lgkmcnt(0)
	s_barrier
	ds_read2_b64 v[0:3], v40 offset0:88 offset1:89
	v_mov_b32_e32 v4, 44
	s_cbranch_scc1 .LBB120_1031
; %bb.1029:
	v_add_u32_e32 v5, 0x2d0, v40
	s_mov_b32 s16, 45
	v_mov_b32_e32 v4, 44
.LBB120_1030:                           ; =>This Inner Loop Header: Depth=1
	s_waitcnt lgkmcnt(0)
	v_cmp_gt_f64_e32 vcc, 0, v[2:3]
	v_cmp_gt_f64_e64 s[4:5], 0, v[0:1]
	ds_read2_b64 v[10:13], v5 offset1:1
	v_xor_b32_e32 v15, 0x80000000, v1
	v_xor_b32_e32 v17, 0x80000000, v3
	v_mov_b32_e32 v14, v0
	v_mov_b32_e32 v16, v2
	s_waitcnt lgkmcnt(0)
	v_xor_b32_e32 v19, 0x80000000, v13
	v_cndmask_b32_e32 v17, v3, v17, vcc
	v_cndmask_b32_e64 v15, v1, v15, s[4:5]
	v_cmp_gt_f64_e32 vcc, 0, v[12:13]
	v_cmp_gt_f64_e64 s[4:5], 0, v[10:11]
	v_add_f64 v[14:15], v[14:15], v[16:17]
	v_xor_b32_e32 v17, 0x80000000, v11
	v_mov_b32_e32 v16, v10
	v_mov_b32_e32 v18, v12
	v_add_u32_e32 v5, 16, v5
	v_cndmask_b32_e32 v19, v13, v19, vcc
	v_cndmask_b32_e64 v17, v11, v17, s[4:5]
	v_add_f64 v[16:17], v[16:17], v[18:19]
	v_mov_b32_e32 v18, s16
	s_add_i32 s16, s16, 1
	s_cmp_lg_u32 s64, s16
	v_cmp_lt_f64_e32 vcc, v[14:15], v[16:17]
	v_cndmask_b32_e32 v1, v1, v11, vcc
	v_cndmask_b32_e32 v0, v0, v10, vcc
	;; [unrolled: 1-line block ×5, first 2 shown]
	s_cbranch_scc1 .LBB120_1030
.LBB120_1031:
	s_waitcnt lgkmcnt(0)
	v_cmp_eq_f64_e32 vcc, 0, v[0:1]
	v_cmp_eq_f64_e64 s[4:5], 0, v[2:3]
	s_and_b64 s[4:5], vcc, s[4:5]
	s_and_saveexec_b64 s[16:17], s[4:5]
	s_xor_b64 s[4:5], exec, s[16:17]
; %bb.1032:
	v_cmp_ne_u32_e32 vcc, 0, v41
	v_cndmask_b32_e32 v41, 45, v41, vcc
; %bb.1033:
	s_andn2_saveexec_b64 s[4:5], s[4:5]
	s_cbranch_execz .LBB120_1039
; %bb.1034:
	v_cmp_ngt_f64_e64 s[16:17], |v[0:1]|, |v[2:3]|
	s_and_saveexec_b64 s[18:19], s[16:17]
	s_xor_b64 s[18:19], exec, s[18:19]
	s_cbranch_execz .LBB120_1036
; %bb.1035:
	v_div_scale_f64 v[10:11], s[16:17], v[2:3], v[2:3], v[0:1]
	v_rcp_f64_e32 v[12:13], v[10:11]
	v_fma_f64 v[14:15], -v[10:11], v[12:13], 1.0
	v_fma_f64 v[12:13], v[12:13], v[14:15], v[12:13]
	v_div_scale_f64 v[14:15], vcc, v[0:1], v[2:3], v[0:1]
	v_fma_f64 v[16:17], -v[10:11], v[12:13], 1.0
	v_fma_f64 v[12:13], v[12:13], v[16:17], v[12:13]
	v_mul_f64 v[16:17], v[14:15], v[12:13]
	v_fma_f64 v[10:11], -v[10:11], v[16:17], v[14:15]
	v_div_fmas_f64 v[10:11], v[10:11], v[12:13], v[16:17]
	v_div_fixup_f64 v[10:11], v[10:11], v[2:3], v[0:1]
	v_fma_f64 v[0:1], v[0:1], v[10:11], v[2:3]
	v_div_scale_f64 v[2:3], s[16:17], v[0:1], v[0:1], 1.0
	v_div_scale_f64 v[16:17], vcc, 1.0, v[0:1], 1.0
	v_rcp_f64_e32 v[12:13], v[2:3]
	v_fma_f64 v[14:15], -v[2:3], v[12:13], 1.0
	v_fma_f64 v[12:13], v[12:13], v[14:15], v[12:13]
	v_fma_f64 v[14:15], -v[2:3], v[12:13], 1.0
	v_fma_f64 v[12:13], v[12:13], v[14:15], v[12:13]
	v_mul_f64 v[14:15], v[16:17], v[12:13]
	v_fma_f64 v[2:3], -v[2:3], v[14:15], v[16:17]
	v_div_fmas_f64 v[2:3], v[2:3], v[12:13], v[14:15]
	v_div_fixup_f64 v[2:3], v[2:3], v[0:1], 1.0
	v_mul_f64 v[0:1], v[10:11], v[2:3]
	v_xor_b32_e32 v3, 0x80000000, v3
.LBB120_1036:
	s_andn2_saveexec_b64 s[18:19], s[18:19]
	s_cbranch_execz .LBB120_1038
; %bb.1037:
	v_div_scale_f64 v[10:11], s[16:17], v[0:1], v[0:1], v[2:3]
	v_rcp_f64_e32 v[12:13], v[10:11]
	v_fma_f64 v[14:15], -v[10:11], v[12:13], 1.0
	v_fma_f64 v[12:13], v[12:13], v[14:15], v[12:13]
	v_div_scale_f64 v[14:15], vcc, v[2:3], v[0:1], v[2:3]
	v_fma_f64 v[16:17], -v[10:11], v[12:13], 1.0
	v_fma_f64 v[12:13], v[12:13], v[16:17], v[12:13]
	v_mul_f64 v[16:17], v[14:15], v[12:13]
	v_fma_f64 v[10:11], -v[10:11], v[16:17], v[14:15]
	v_div_fmas_f64 v[10:11], v[10:11], v[12:13], v[16:17]
	v_div_fixup_f64 v[10:11], v[10:11], v[0:1], v[2:3]
	v_fma_f64 v[0:1], v[2:3], v[10:11], v[0:1]
	v_div_scale_f64 v[2:3], s[16:17], v[0:1], v[0:1], 1.0
	v_div_scale_f64 v[16:17], vcc, 1.0, v[0:1], 1.0
	v_rcp_f64_e32 v[12:13], v[2:3]
	v_fma_f64 v[14:15], -v[2:3], v[12:13], 1.0
	v_fma_f64 v[12:13], v[12:13], v[14:15], v[12:13]
	v_fma_f64 v[14:15], -v[2:3], v[12:13], 1.0
	v_fma_f64 v[12:13], v[12:13], v[14:15], v[12:13]
	v_mul_f64 v[14:15], v[16:17], v[12:13]
	v_fma_f64 v[2:3], -v[2:3], v[14:15], v[16:17]
	v_div_fmas_f64 v[2:3], v[2:3], v[12:13], v[14:15]
	v_div_fixup_f64 v[0:1], v[2:3], v[0:1], 1.0
	v_mul_f64 v[2:3], v[10:11], -v[0:1]
.LBB120_1038:
	s_or_b64 exec, exec, s[18:19]
.LBB120_1039:
	s_or_b64 exec, exec, s[4:5]
	v_cmp_ne_u32_e32 vcc, v43, v4
	s_and_saveexec_b64 s[4:5], vcc
	s_xor_b64 s[4:5], exec, s[4:5]
	s_cbranch_execz .LBB120_1045
; %bb.1040:
	v_cmp_eq_u32_e32 vcc, 44, v43
	s_and_saveexec_b64 s[18:19], vcc
	s_cbranch_execz .LBB120_1044
; %bb.1041:
	v_cmp_ne_u32_e32 vcc, 44, v4
	s_xor_b64 s[16:17], s[22:23], -1
	s_and_b64 s[16:17], s[16:17], vcc
	s_and_saveexec_b64 s[24:25], s[16:17]
	s_cbranch_execz .LBB120_1043
; %bb.1042:
	v_ashrrev_i32_e32 v5, 31, v4
	v_lshlrev_b64 v[10:11], 2, v[4:5]
	v_add_co_u32_e32 v10, vcc, v8, v10
	v_addc_co_u32_e32 v11, vcc, v9, v11, vcc
	global_load_dword v5, v[10:11], off
	global_load_dword v12, v[8:9], off offset:176
	s_waitcnt vmcnt(1)
	global_store_dword v[8:9], v5, off offset:176
	s_waitcnt vmcnt(1)
	global_store_dword v[10:11], v12, off
.LBB120_1043:
	s_or_b64 exec, exec, s[24:25]
	v_mov_b32_e32 v43, v4
	v_mov_b32_e32 v42, v4
.LBB120_1044:
	s_or_b64 exec, exec, s[18:19]
.LBB120_1045:
	s_andn2_saveexec_b64 s[4:5], s[4:5]
	s_cbranch_execz .LBB120_1047
; %bb.1046:
	v_mov_b32_e32 v11, s40
	buffer_load_dword v4, v11, s[0:3], 0 offen
	buffer_load_dword v5, v11, s[0:3], 0 offen offset:4
	buffer_load_dword v10, v11, s[0:3], 0 offen offset:8
	s_nop 0
	buffer_load_dword v11, v11, s[0:3], 0 offen offset:12
	v_mov_b32_e32 v43, 44
	s_waitcnt vmcnt(0)
	ds_write2_b64 v40, v[4:5], v[10:11] offset0:90 offset1:91
	v_mov_b32_e32 v11, s39
	buffer_load_dword v4, v11, s[0:3], 0 offen
	buffer_load_dword v5, v11, s[0:3], 0 offen offset:4
	buffer_load_dword v10, v11, s[0:3], 0 offen offset:8
	s_nop 0
	buffer_load_dword v11, v11, s[0:3], 0 offen offset:12
	s_waitcnt vmcnt(0)
	ds_write2_b64 v40, v[4:5], v[10:11] offset0:92 offset1:93
	v_mov_b32_e32 v11, s38
	buffer_load_dword v4, v11, s[0:3], 0 offen
	buffer_load_dword v5, v11, s[0:3], 0 offen offset:4
	buffer_load_dword v10, v11, s[0:3], 0 offen offset:8
	s_nop 0
	buffer_load_dword v11, v11, s[0:3], 0 offen offset:12
	;; [unrolled: 8-line block ×15, first 2 shown]
	s_waitcnt vmcnt(0)
	ds_write2_b64 v40, v[4:5], v[10:11] offset0:120 offset1:121
.LBB120_1047:
	s_or_b64 exec, exec, s[4:5]
	v_cmp_lt_i32_e32 vcc, 44, v43
	s_waitcnt vmcnt(0) lgkmcnt(0)
	s_barrier
	s_and_saveexec_b64 s[4:5], vcc
	s_cbranch_execz .LBB120_1049
; %bb.1048:
	buffer_load_dword v10, off, s[0:3], 0 offset:704
	buffer_load_dword v11, off, s[0:3], 0 offset:708
	;; [unrolled: 1-line block ×16, first 2 shown]
	s_waitcnt vmcnt(12)
	v_mul_f64 v[4:5], v[2:3], v[12:13]
	v_fma_f64 v[4:5], v[0:1], v[10:11], -v[4:5]
	v_mul_f64 v[0:1], v[0:1], v[12:13]
	v_fma_f64 v[10:11], v[2:3], v[10:11], v[0:1]
	buffer_store_dword v4, off, s[0:3], 0 offset:704
	buffer_store_dword v5, off, s[0:3], 0 offset:708
	buffer_store_dword v10, off, s[0:3], 0 offset:712
	buffer_store_dword v11, off, s[0:3], 0 offset:716
	ds_read2_b64 v[0:3], v40 offset0:90 offset1:91
	s_waitcnt lgkmcnt(0)
	v_mul_f64 v[12:13], v[2:3], v[10:11]
	v_fma_f64 v[12:13], v[0:1], v[4:5], -v[12:13]
	v_mul_f64 v[0:1], v[0:1], v[10:11]
	v_fma_f64 v[0:1], v[2:3], v[4:5], v[0:1]
	s_waitcnt vmcnt(14)
	v_add_f64 v[2:3], v[14:15], -v[12:13]
	s_waitcnt vmcnt(12)
	v_add_f64 v[0:1], v[16:17], -v[0:1]
	buffer_store_dword v2, off, s[0:3], 0 offset:720
	buffer_store_dword v3, off, s[0:3], 0 offset:724
	buffer_store_dword v0, off, s[0:3], 0 offset:728
	buffer_store_dword v1, off, s[0:3], 0 offset:732
	ds_read2_b64 v[0:3], v40 offset0:92 offset1:93
	s_waitcnt lgkmcnt(0)
	v_mul_f64 v[12:13], v[2:3], v[10:11]
	v_fma_f64 v[12:13], v[0:1], v[4:5], -v[12:13]
	v_mul_f64 v[0:1], v[0:1], v[10:11]
	v_fma_f64 v[0:1], v[2:3], v[4:5], v[0:1]
	s_waitcnt vmcnt(14)
	v_add_f64 v[2:3], v[18:19], -v[12:13]
	s_waitcnt vmcnt(12)
	v_add_f64 v[0:1], v[20:21], -v[0:1]
	;; [unrolled: 14-line block ×3, first 2 shown]
	buffer_store_dword v3, off, s[0:3], 0 offset:756
	buffer_store_dword v2, off, s[0:3], 0 offset:752
	buffer_store_dword v0, off, s[0:3], 0 offset:760
	buffer_store_dword v1, off, s[0:3], 0 offset:764
	ds_read2_b64 v[0:3], v40 offset0:96 offset1:97
	s_waitcnt lgkmcnt(0)
	v_mul_f64 v[12:13], v[2:3], v[10:11]
	v_fma_f64 v[12:13], v[0:1], v[4:5], -v[12:13]
	v_mul_f64 v[0:1], v[0:1], v[10:11]
	v_fma_f64 v[0:1], v[2:3], v[4:5], v[0:1]
	buffer_load_dword v2, off, s[0:3], 0 offset:768
	buffer_load_dword v3, off, s[0:3], 0 offset:772
	buffer_load_dword v14, off, s[0:3], 0 offset:776
	buffer_load_dword v15, off, s[0:3], 0 offset:780
	s_waitcnt vmcnt(2)
	v_add_f64 v[2:3], v[2:3], -v[12:13]
	s_waitcnt vmcnt(0)
	v_add_f64 v[0:1], v[14:15], -v[0:1]
	buffer_store_dword v3, off, s[0:3], 0 offset:772
	buffer_store_dword v2, off, s[0:3], 0 offset:768
	buffer_store_dword v1, off, s[0:3], 0 offset:780
	buffer_store_dword v0, off, s[0:3], 0 offset:776
	ds_read2_b64 v[0:3], v40 offset0:98 offset1:99
	s_waitcnt lgkmcnt(0)
	v_mul_f64 v[12:13], v[2:3], v[10:11]
	v_fma_f64 v[12:13], v[0:1], v[4:5], -v[12:13]
	v_mul_f64 v[0:1], v[0:1], v[10:11]
	v_fma_f64 v[0:1], v[2:3], v[4:5], v[0:1]
	buffer_load_dword v2, off, s[0:3], 0 offset:784
	buffer_load_dword v3, off, s[0:3], 0 offset:788
	buffer_load_dword v14, off, s[0:3], 0 offset:792
	buffer_load_dword v15, off, s[0:3], 0 offset:796
	s_waitcnt vmcnt(2)
	v_add_f64 v[2:3], v[2:3], -v[12:13]
	s_waitcnt vmcnt(0)
	v_add_f64 v[0:1], v[14:15], -v[0:1]
	;; [unrolled: 18-line block ×3, first 2 shown]
	buffer_store_dword v3, off, s[0:3], 0 offset:804
	buffer_store_dword v2, off, s[0:3], 0 offset:800
	;; [unrolled: 1-line block ×4, first 2 shown]
	ds_read2_b64 v[2:5], v40 offset0:102 offset1:103
	buffer_load_dword v0, off, s[0:3], 0 offset:704
	buffer_load_dword v1, off, s[0:3], 0 offset:708
	buffer_load_dword v10, off, s[0:3], 0 offset:712
	buffer_load_dword v11, off, s[0:3], 0 offset:716
	s_waitcnt vmcnt(0) lgkmcnt(0)
	v_mul_f64 v[12:13], v[4:5], v[10:11]
	v_fma_f64 v[12:13], v[2:3], v[0:1], -v[12:13]
	v_mul_f64 v[2:3], v[2:3], v[10:11]
	v_fma_f64 v[2:3], v[4:5], v[0:1], v[2:3]
	buffer_load_dword v5, off, s[0:3], 0 offset:820
	buffer_load_dword v4, off, s[0:3], 0 offset:816
	s_waitcnt vmcnt(0)
	v_add_f64 v[4:5], v[4:5], -v[12:13]
	buffer_load_dword v13, off, s[0:3], 0 offset:828
	buffer_load_dword v12, off, s[0:3], 0 offset:824
	s_waitcnt vmcnt(0)
	v_add_f64 v[2:3], v[12:13], -v[2:3]
	buffer_store_dword v5, off, s[0:3], 0 offset:820
	buffer_store_dword v4, off, s[0:3], 0 offset:816
	buffer_store_dword v3, off, s[0:3], 0 offset:828
	buffer_store_dword v2, off, s[0:3], 0 offset:824
	ds_read2_b64 v[2:5], v40 offset0:104 offset1:105
	s_waitcnt lgkmcnt(0)
	v_mul_f64 v[12:13], v[4:5], v[10:11]
	v_fma_f64 v[12:13], v[2:3], v[0:1], -v[12:13]
	v_mul_f64 v[2:3], v[2:3], v[10:11]
	v_fma_f64 v[2:3], v[4:5], v[0:1], v[2:3]
	buffer_load_dword v4, off, s[0:3], 0 offset:832
	buffer_load_dword v5, off, s[0:3], 0 offset:836
	buffer_load_dword v14, off, s[0:3], 0 offset:840
	buffer_load_dword v15, off, s[0:3], 0 offset:844
	s_waitcnt vmcnt(2)
	v_add_f64 v[4:5], v[4:5], -v[12:13]
	s_waitcnt vmcnt(0)
	v_add_f64 v[2:3], v[14:15], -v[2:3]
	buffer_store_dword v5, off, s[0:3], 0 offset:836
	buffer_store_dword v4, off, s[0:3], 0 offset:832
	buffer_store_dword v3, off, s[0:3], 0 offset:844
	buffer_store_dword v2, off, s[0:3], 0 offset:840
	ds_read2_b64 v[2:5], v40 offset0:106 offset1:107
	s_waitcnt lgkmcnt(0)
	v_mul_f64 v[12:13], v[4:5], v[10:11]
	v_fma_f64 v[12:13], v[2:3], v[0:1], -v[12:13]
	v_mul_f64 v[2:3], v[2:3], v[10:11]
	v_fma_f64 v[2:3], v[4:5], v[0:1], v[2:3]
	buffer_load_dword v4, off, s[0:3], 0 offset:848
	buffer_load_dword v5, off, s[0:3], 0 offset:852
	buffer_load_dword v14, off, s[0:3], 0 offset:856
	buffer_load_dword v15, off, s[0:3], 0 offset:860
	s_waitcnt vmcnt(2)
	v_add_f64 v[4:5], v[4:5], -v[12:13]
	;; [unrolled: 18-line block ×5, first 2 shown]
	s_waitcnt vmcnt(0)
	v_add_f64 v[0:1], v[4:5], -v[0:1]
	buffer_store_dword v3, off, s[0:3], 0 offset:900
	buffer_store_dword v2, off, s[0:3], 0 offset:896
	buffer_store_dword v1, off, s[0:3], 0 offset:908
	buffer_store_dword v0, off, s[0:3], 0 offset:904
	ds_read2_b64 v[10:13], v40 offset0:114 offset1:115
	buffer_load_dword v0, off, s[0:3], 0 offset:704
	buffer_load_dword v1, off, s[0:3], 0 offset:708
	;; [unrolled: 1-line block ×4, first 2 shown]
	s_waitcnt vmcnt(0) lgkmcnt(0)
	v_mul_f64 v[4:5], v[12:13], v[2:3]
	v_fma_f64 v[4:5], v[10:11], v[0:1], -v[4:5]
	v_mul_f64 v[10:11], v[10:11], v[2:3]
	v_fma_f64 v[10:11], v[12:13], v[0:1], v[10:11]
	buffer_load_dword v13, off, s[0:3], 0 offset:916
	buffer_load_dword v12, off, s[0:3], 0 offset:912
	s_waitcnt vmcnt(0)
	v_add_f64 v[4:5], v[12:13], -v[4:5]
	buffer_load_dword v13, off, s[0:3], 0 offset:924
	buffer_load_dword v12, off, s[0:3], 0 offset:920
	s_waitcnt vmcnt(0)
	v_add_f64 v[10:11], v[12:13], -v[10:11]
	buffer_store_dword v5, off, s[0:3], 0 offset:916
	buffer_store_dword v4, off, s[0:3], 0 offset:912
	buffer_store_dword v11, off, s[0:3], 0 offset:924
	buffer_store_dword v10, off, s[0:3], 0 offset:920
	ds_read2_b64 v[10:13], v40 offset0:116 offset1:117
	s_waitcnt lgkmcnt(0)
	v_mul_f64 v[4:5], v[12:13], v[2:3]
	v_fma_f64 v[4:5], v[10:11], v[0:1], -v[4:5]
	v_mul_f64 v[10:11], v[10:11], v[2:3]
	v_fma_f64 v[10:11], v[12:13], v[0:1], v[10:11]
	buffer_load_dword v12, off, s[0:3], 0 offset:928
	buffer_load_dword v13, off, s[0:3], 0 offset:932
	;; [unrolled: 1-line block ×4, first 2 shown]
	s_waitcnt vmcnt(2)
	v_add_f64 v[4:5], v[12:13], -v[4:5]
	s_waitcnt vmcnt(0)
	v_add_f64 v[10:11], v[14:15], -v[10:11]
	buffer_store_dword v5, off, s[0:3], 0 offset:932
	buffer_store_dword v4, off, s[0:3], 0 offset:928
	;; [unrolled: 1-line block ×4, first 2 shown]
	ds_read2_b64 v[10:13], v40 offset0:118 offset1:119
	s_waitcnt lgkmcnt(0)
	v_mul_f64 v[4:5], v[12:13], v[2:3]
	v_fma_f64 v[4:5], v[10:11], v[0:1], -v[4:5]
	v_mul_f64 v[10:11], v[10:11], v[2:3]
	v_fma_f64 v[10:11], v[12:13], v[0:1], v[10:11]
	buffer_load_dword v12, off, s[0:3], 0 offset:944
	buffer_load_dword v13, off, s[0:3], 0 offset:948
	;; [unrolled: 1-line block ×4, first 2 shown]
	s_waitcnt vmcnt(2)
	v_add_f64 v[4:5], v[12:13], -v[4:5]
	s_waitcnt vmcnt(0)
	v_add_f64 v[10:11], v[14:15], -v[10:11]
	buffer_store_dword v5, off, s[0:3], 0 offset:948
	buffer_store_dword v4, off, s[0:3], 0 offset:944
	;; [unrolled: 1-line block ×4, first 2 shown]
	ds_read2_b64 v[10:13], v40 offset0:120 offset1:121
	s_waitcnt lgkmcnt(0)
	v_mul_f64 v[4:5], v[12:13], v[2:3]
	v_mul_f64 v[2:3], v[10:11], v[2:3]
	v_fma_f64 v[4:5], v[10:11], v[0:1], -v[4:5]
	v_fma_f64 v[0:1], v[12:13], v[0:1], v[2:3]
	buffer_load_dword v2, off, s[0:3], 0 offset:960
	buffer_load_dword v3, off, s[0:3], 0 offset:964
	;; [unrolled: 1-line block ×4, first 2 shown]
	s_waitcnt vmcnt(2)
	v_add_f64 v[2:3], v[2:3], -v[4:5]
	s_waitcnt vmcnt(0)
	v_add_f64 v[0:1], v[10:11], -v[0:1]
	buffer_store_dword v3, off, s[0:3], 0 offset:964
	buffer_store_dword v2, off, s[0:3], 0 offset:960
	;; [unrolled: 1-line block ×4, first 2 shown]
.LBB120_1049:
	s_or_b64 exec, exec, s[4:5]
	v_mov_b32_e32 v3, s40
	s_waitcnt vmcnt(0)
	s_barrier
	buffer_load_dword v0, v3, s[0:3], 0 offen
	buffer_load_dword v1, v3, s[0:3], 0 offen offset:4
	buffer_load_dword v2, v3, s[0:3], 0 offen offset:8
	s_nop 0
	buffer_load_dword v3, v3, s[0:3], 0 offen offset:12
	v_lshl_add_u32 v4, v43, 4, v40
	s_cmp_lt_i32 s64, 47
	s_waitcnt vmcnt(0)
	ds_write2_b64 v4, v[0:1], v[2:3] offset1:1
	s_waitcnt lgkmcnt(0)
	s_barrier
	ds_read2_b64 v[0:3], v40 offset0:90 offset1:91
	v_mov_b32_e32 v4, 45
	s_cbranch_scc1 .LBB120_1052
; %bb.1050:
	v_add_u32_e32 v5, 0x2e0, v40
	s_mov_b32 s16, 46
	v_mov_b32_e32 v4, 45
.LBB120_1051:                           ; =>This Inner Loop Header: Depth=1
	s_waitcnt lgkmcnt(0)
	v_cmp_gt_f64_e32 vcc, 0, v[2:3]
	v_cmp_gt_f64_e64 s[4:5], 0, v[0:1]
	ds_read2_b64 v[10:13], v5 offset1:1
	v_xor_b32_e32 v15, 0x80000000, v1
	v_xor_b32_e32 v17, 0x80000000, v3
	v_mov_b32_e32 v14, v0
	v_mov_b32_e32 v16, v2
	s_waitcnt lgkmcnt(0)
	v_xor_b32_e32 v19, 0x80000000, v13
	v_cndmask_b32_e32 v17, v3, v17, vcc
	v_cndmask_b32_e64 v15, v1, v15, s[4:5]
	v_cmp_gt_f64_e32 vcc, 0, v[12:13]
	v_cmp_gt_f64_e64 s[4:5], 0, v[10:11]
	v_add_f64 v[14:15], v[14:15], v[16:17]
	v_xor_b32_e32 v17, 0x80000000, v11
	v_mov_b32_e32 v16, v10
	v_mov_b32_e32 v18, v12
	v_add_u32_e32 v5, 16, v5
	v_cndmask_b32_e32 v19, v13, v19, vcc
	v_cndmask_b32_e64 v17, v11, v17, s[4:5]
	v_add_f64 v[16:17], v[16:17], v[18:19]
	v_mov_b32_e32 v18, s16
	s_add_i32 s16, s16, 1
	s_cmp_lg_u32 s64, s16
	v_cmp_lt_f64_e32 vcc, v[14:15], v[16:17]
	v_cndmask_b32_e32 v1, v1, v11, vcc
	v_cndmask_b32_e32 v0, v0, v10, vcc
	;; [unrolled: 1-line block ×5, first 2 shown]
	s_cbranch_scc1 .LBB120_1051
.LBB120_1052:
	s_waitcnt lgkmcnt(0)
	v_cmp_eq_f64_e32 vcc, 0, v[0:1]
	v_cmp_eq_f64_e64 s[4:5], 0, v[2:3]
	s_and_b64 s[4:5], vcc, s[4:5]
	s_and_saveexec_b64 s[16:17], s[4:5]
	s_xor_b64 s[4:5], exec, s[16:17]
; %bb.1053:
	v_cmp_ne_u32_e32 vcc, 0, v41
	v_cndmask_b32_e32 v41, 46, v41, vcc
; %bb.1054:
	s_andn2_saveexec_b64 s[4:5], s[4:5]
	s_cbranch_execz .LBB120_1060
; %bb.1055:
	v_cmp_ngt_f64_e64 s[16:17], |v[0:1]|, |v[2:3]|
	s_and_saveexec_b64 s[18:19], s[16:17]
	s_xor_b64 s[18:19], exec, s[18:19]
	s_cbranch_execz .LBB120_1057
; %bb.1056:
	v_div_scale_f64 v[10:11], s[16:17], v[2:3], v[2:3], v[0:1]
	v_rcp_f64_e32 v[12:13], v[10:11]
	v_fma_f64 v[14:15], -v[10:11], v[12:13], 1.0
	v_fma_f64 v[12:13], v[12:13], v[14:15], v[12:13]
	v_div_scale_f64 v[14:15], vcc, v[0:1], v[2:3], v[0:1]
	v_fma_f64 v[16:17], -v[10:11], v[12:13], 1.0
	v_fma_f64 v[12:13], v[12:13], v[16:17], v[12:13]
	v_mul_f64 v[16:17], v[14:15], v[12:13]
	v_fma_f64 v[10:11], -v[10:11], v[16:17], v[14:15]
	v_div_fmas_f64 v[10:11], v[10:11], v[12:13], v[16:17]
	v_div_fixup_f64 v[10:11], v[10:11], v[2:3], v[0:1]
	v_fma_f64 v[0:1], v[0:1], v[10:11], v[2:3]
	v_div_scale_f64 v[2:3], s[16:17], v[0:1], v[0:1], 1.0
	v_div_scale_f64 v[16:17], vcc, 1.0, v[0:1], 1.0
	v_rcp_f64_e32 v[12:13], v[2:3]
	v_fma_f64 v[14:15], -v[2:3], v[12:13], 1.0
	v_fma_f64 v[12:13], v[12:13], v[14:15], v[12:13]
	v_fma_f64 v[14:15], -v[2:3], v[12:13], 1.0
	v_fma_f64 v[12:13], v[12:13], v[14:15], v[12:13]
	v_mul_f64 v[14:15], v[16:17], v[12:13]
	v_fma_f64 v[2:3], -v[2:3], v[14:15], v[16:17]
	v_div_fmas_f64 v[2:3], v[2:3], v[12:13], v[14:15]
	v_div_fixup_f64 v[2:3], v[2:3], v[0:1], 1.0
	v_mul_f64 v[0:1], v[10:11], v[2:3]
	v_xor_b32_e32 v3, 0x80000000, v3
.LBB120_1057:
	s_andn2_saveexec_b64 s[18:19], s[18:19]
	s_cbranch_execz .LBB120_1059
; %bb.1058:
	v_div_scale_f64 v[10:11], s[16:17], v[0:1], v[0:1], v[2:3]
	v_rcp_f64_e32 v[12:13], v[10:11]
	v_fma_f64 v[14:15], -v[10:11], v[12:13], 1.0
	v_fma_f64 v[12:13], v[12:13], v[14:15], v[12:13]
	v_div_scale_f64 v[14:15], vcc, v[2:3], v[0:1], v[2:3]
	v_fma_f64 v[16:17], -v[10:11], v[12:13], 1.0
	v_fma_f64 v[12:13], v[12:13], v[16:17], v[12:13]
	v_mul_f64 v[16:17], v[14:15], v[12:13]
	v_fma_f64 v[10:11], -v[10:11], v[16:17], v[14:15]
	v_div_fmas_f64 v[10:11], v[10:11], v[12:13], v[16:17]
	v_div_fixup_f64 v[10:11], v[10:11], v[0:1], v[2:3]
	v_fma_f64 v[0:1], v[2:3], v[10:11], v[0:1]
	v_div_scale_f64 v[2:3], s[16:17], v[0:1], v[0:1], 1.0
	v_div_scale_f64 v[16:17], vcc, 1.0, v[0:1], 1.0
	v_rcp_f64_e32 v[12:13], v[2:3]
	v_fma_f64 v[14:15], -v[2:3], v[12:13], 1.0
	v_fma_f64 v[12:13], v[12:13], v[14:15], v[12:13]
	v_fma_f64 v[14:15], -v[2:3], v[12:13], 1.0
	v_fma_f64 v[12:13], v[12:13], v[14:15], v[12:13]
	v_mul_f64 v[14:15], v[16:17], v[12:13]
	v_fma_f64 v[2:3], -v[2:3], v[14:15], v[16:17]
	v_div_fmas_f64 v[2:3], v[2:3], v[12:13], v[14:15]
	v_div_fixup_f64 v[0:1], v[2:3], v[0:1], 1.0
	v_mul_f64 v[2:3], v[10:11], -v[0:1]
.LBB120_1059:
	s_or_b64 exec, exec, s[18:19]
.LBB120_1060:
	s_or_b64 exec, exec, s[4:5]
	v_cmp_ne_u32_e32 vcc, v43, v4
	s_and_saveexec_b64 s[4:5], vcc
	s_xor_b64 s[4:5], exec, s[4:5]
	s_cbranch_execz .LBB120_1066
; %bb.1061:
	v_cmp_eq_u32_e32 vcc, 45, v43
	s_and_saveexec_b64 s[18:19], vcc
	s_cbranch_execz .LBB120_1065
; %bb.1062:
	v_cmp_ne_u32_e32 vcc, 45, v4
	s_xor_b64 s[16:17], s[22:23], -1
	s_and_b64 s[16:17], s[16:17], vcc
	s_and_saveexec_b64 s[24:25], s[16:17]
	s_cbranch_execz .LBB120_1064
; %bb.1063:
	v_ashrrev_i32_e32 v5, 31, v4
	v_lshlrev_b64 v[10:11], 2, v[4:5]
	v_add_co_u32_e32 v10, vcc, v8, v10
	v_addc_co_u32_e32 v11, vcc, v9, v11, vcc
	global_load_dword v5, v[10:11], off
	global_load_dword v12, v[8:9], off offset:180
	s_waitcnt vmcnt(1)
	global_store_dword v[8:9], v5, off offset:180
	s_waitcnt vmcnt(1)
	global_store_dword v[10:11], v12, off
.LBB120_1064:
	s_or_b64 exec, exec, s[24:25]
	v_mov_b32_e32 v43, v4
	v_mov_b32_e32 v42, v4
.LBB120_1065:
	s_or_b64 exec, exec, s[18:19]
.LBB120_1066:
	s_andn2_saveexec_b64 s[4:5], s[4:5]
	s_cbranch_execz .LBB120_1068
; %bb.1067:
	v_mov_b32_e32 v11, s39
	buffer_load_dword v4, v11, s[0:3], 0 offen
	buffer_load_dword v5, v11, s[0:3], 0 offen offset:4
	buffer_load_dword v10, v11, s[0:3], 0 offen offset:8
	s_nop 0
	buffer_load_dword v11, v11, s[0:3], 0 offen offset:12
	v_mov_b32_e32 v43, 45
	s_waitcnt vmcnt(0)
	ds_write2_b64 v40, v[4:5], v[10:11] offset0:92 offset1:93
	v_mov_b32_e32 v11, s38
	buffer_load_dword v4, v11, s[0:3], 0 offen
	buffer_load_dword v5, v11, s[0:3], 0 offen offset:4
	buffer_load_dword v10, v11, s[0:3], 0 offen offset:8
	s_nop 0
	buffer_load_dword v11, v11, s[0:3], 0 offen offset:12
	s_waitcnt vmcnt(0)
	ds_write2_b64 v40, v[4:5], v[10:11] offset0:94 offset1:95
	v_mov_b32_e32 v11, s37
	buffer_load_dword v4, v11, s[0:3], 0 offen
	buffer_load_dword v5, v11, s[0:3], 0 offen offset:4
	buffer_load_dword v10, v11, s[0:3], 0 offen offset:8
	s_nop 0
	buffer_load_dword v11, v11, s[0:3], 0 offen offset:12
	;; [unrolled: 8-line block ×14, first 2 shown]
	s_waitcnt vmcnt(0)
	ds_write2_b64 v40, v[4:5], v[10:11] offset0:120 offset1:121
.LBB120_1068:
	s_or_b64 exec, exec, s[4:5]
	v_cmp_lt_i32_e32 vcc, 45, v43
	s_waitcnt vmcnt(0) lgkmcnt(0)
	s_barrier
	s_and_saveexec_b64 s[4:5], vcc
	s_cbranch_execz .LBB120_1070
; %bb.1069:
	buffer_load_dword v4, off, s[0:3], 0 offset:720
	buffer_load_dword v5, off, s[0:3], 0 offset:724
	buffer_load_dword v10, off, s[0:3], 0 offset:728
	buffer_load_dword v11, off, s[0:3], 0 offset:732
	buffer_load_dword v12, off, s[0:3], 0 offset:736
	buffer_load_dword v13, off, s[0:3], 0 offset:740
	buffer_load_dword v14, off, s[0:3], 0 offset:744
	buffer_load_dword v15, off, s[0:3], 0 offset:748
	buffer_load_dword v16, off, s[0:3], 0 offset:752
	buffer_load_dword v17, off, s[0:3], 0 offset:756
	buffer_load_dword v18, off, s[0:3], 0 offset:760
	buffer_load_dword v19, off, s[0:3], 0 offset:764
	buffer_load_dword v20, off, s[0:3], 0 offset:768
	buffer_load_dword v21, off, s[0:3], 0 offset:772
	buffer_load_dword v22, off, s[0:3], 0 offset:776
	buffer_load_dword v23, off, s[0:3], 0 offset:780
	s_waitcnt vmcnt(12)
	v_mul_f64 v[24:25], v[2:3], v[10:11]
	v_fma_f64 v[24:25], v[0:1], v[4:5], -v[24:25]
	v_mul_f64 v[0:1], v[0:1], v[10:11]
	v_fma_f64 v[4:5], v[2:3], v[4:5], v[0:1]
	buffer_store_dword v24, off, s[0:3], 0 offset:720
	buffer_store_dword v25, off, s[0:3], 0 offset:724
	buffer_store_dword v4, off, s[0:3], 0 offset:728
	buffer_store_dword v5, off, s[0:3], 0 offset:732
	ds_read2_b64 v[0:3], v40 offset0:92 offset1:93
	s_waitcnt lgkmcnt(0)
	v_mul_f64 v[10:11], v[2:3], v[4:5]
	v_fma_f64 v[10:11], v[0:1], v[24:25], -v[10:11]
	v_mul_f64 v[0:1], v[0:1], v[4:5]
	v_fma_f64 v[0:1], v[2:3], v[24:25], v[0:1]
	s_waitcnt vmcnt(14)
	v_add_f64 v[2:3], v[12:13], -v[10:11]
	s_waitcnt vmcnt(12)
	v_add_f64 v[0:1], v[14:15], -v[0:1]
	buffer_store_dword v2, off, s[0:3], 0 offset:736
	buffer_store_dword v3, off, s[0:3], 0 offset:740
	buffer_store_dword v0, off, s[0:3], 0 offset:744
	buffer_store_dword v1, off, s[0:3], 0 offset:748
	ds_read2_b64 v[0:3], v40 offset0:94 offset1:95
	s_waitcnt lgkmcnt(0)
	v_mul_f64 v[10:11], v[2:3], v[4:5]
	v_fma_f64 v[10:11], v[0:1], v[24:25], -v[10:11]
	v_mul_f64 v[0:1], v[0:1], v[4:5]
	v_fma_f64 v[0:1], v[2:3], v[24:25], v[0:1]
	s_waitcnt vmcnt(14)
	v_add_f64 v[2:3], v[16:17], -v[10:11]
	s_waitcnt vmcnt(12)
	v_add_f64 v[0:1], v[18:19], -v[0:1]
	buffer_store_dword v2, off, s[0:3], 0 offset:752
	buffer_store_dword v3, off, s[0:3], 0 offset:756
	buffer_store_dword v0, off, s[0:3], 0 offset:760
	buffer_store_dword v1, off, s[0:3], 0 offset:764
	ds_read2_b64 v[0:3], v40 offset0:96 offset1:97
	s_waitcnt lgkmcnt(0)
	v_mul_f64 v[10:11], v[2:3], v[4:5]
	v_fma_f64 v[10:11], v[0:1], v[24:25], -v[10:11]
	v_mul_f64 v[0:1], v[0:1], v[4:5]
	v_fma_f64 v[0:1], v[2:3], v[24:25], v[0:1]
	s_waitcnt vmcnt(14)
	v_add_f64 v[2:3], v[20:21], -v[10:11]
	s_waitcnt vmcnt(12)
	v_add_f64 v[0:1], v[22:23], -v[0:1]
	buffer_store_dword v3, off, s[0:3], 0 offset:772
	buffer_store_dword v2, off, s[0:3], 0 offset:768
	buffer_store_dword v0, off, s[0:3], 0 offset:776
	buffer_store_dword v1, off, s[0:3], 0 offset:780
	ds_read2_b64 v[0:3], v40 offset0:98 offset1:99
	s_waitcnt lgkmcnt(0)
	v_mul_f64 v[10:11], v[2:3], v[4:5]
	v_fma_f64 v[10:11], v[0:1], v[24:25], -v[10:11]
	v_mul_f64 v[0:1], v[0:1], v[4:5]
	v_fma_f64 v[0:1], v[2:3], v[24:25], v[0:1]
	buffer_load_dword v2, off, s[0:3], 0 offset:784
	buffer_load_dword v3, off, s[0:3], 0 offset:788
	buffer_load_dword v12, off, s[0:3], 0 offset:792
	buffer_load_dword v13, off, s[0:3], 0 offset:796
	s_waitcnt vmcnt(2)
	v_add_f64 v[2:3], v[2:3], -v[10:11]
	s_waitcnt vmcnt(0)
	v_add_f64 v[0:1], v[12:13], -v[0:1]
	buffer_store_dword v3, off, s[0:3], 0 offset:788
	buffer_store_dword v2, off, s[0:3], 0 offset:784
	buffer_store_dword v1, off, s[0:3], 0 offset:796
	buffer_store_dword v0, off, s[0:3], 0 offset:792
	ds_read2_b64 v[0:3], v40 offset0:100 offset1:101
	s_waitcnt lgkmcnt(0)
	v_mul_f64 v[10:11], v[2:3], v[4:5]
	v_fma_f64 v[10:11], v[0:1], v[24:25], -v[10:11]
	v_mul_f64 v[0:1], v[0:1], v[4:5]
	v_fma_f64 v[0:1], v[2:3], v[24:25], v[0:1]
	buffer_load_dword v2, off, s[0:3], 0 offset:800
	buffer_load_dword v3, off, s[0:3], 0 offset:804
	buffer_load_dword v12, off, s[0:3], 0 offset:808
	buffer_load_dword v13, off, s[0:3], 0 offset:812
	s_waitcnt vmcnt(2)
	v_add_f64 v[2:3], v[2:3], -v[10:11]
	s_waitcnt vmcnt(0)
	v_add_f64 v[0:1], v[12:13], -v[0:1]
	;; [unrolled: 18-line block ×3, first 2 shown]
	buffer_store_dword v3, off, s[0:3], 0 offset:820
	buffer_store_dword v2, off, s[0:3], 0 offset:816
	;; [unrolled: 1-line block ×4, first 2 shown]
	ds_read2_b64 v[10:13], v40 offset0:104 offset1:105
	buffer_load_dword v0, off, s[0:3], 0 offset:720
	buffer_load_dword v1, off, s[0:3], 0 offset:724
	;; [unrolled: 1-line block ×4, first 2 shown]
	s_waitcnt vmcnt(0) lgkmcnt(0)
	v_mul_f64 v[4:5], v[12:13], v[2:3]
	v_fma_f64 v[4:5], v[10:11], v[0:1], -v[4:5]
	v_mul_f64 v[10:11], v[10:11], v[2:3]
	v_fma_f64 v[10:11], v[12:13], v[0:1], v[10:11]
	buffer_load_dword v13, off, s[0:3], 0 offset:836
	buffer_load_dword v12, off, s[0:3], 0 offset:832
	s_waitcnt vmcnt(0)
	v_add_f64 v[4:5], v[12:13], -v[4:5]
	buffer_load_dword v13, off, s[0:3], 0 offset:844
	buffer_load_dword v12, off, s[0:3], 0 offset:840
	s_waitcnt vmcnt(0)
	v_add_f64 v[10:11], v[12:13], -v[10:11]
	buffer_store_dword v5, off, s[0:3], 0 offset:836
	buffer_store_dword v4, off, s[0:3], 0 offset:832
	buffer_store_dword v11, off, s[0:3], 0 offset:844
	buffer_store_dword v10, off, s[0:3], 0 offset:840
	ds_read2_b64 v[10:13], v40 offset0:106 offset1:107
	s_waitcnt lgkmcnt(0)
	v_mul_f64 v[4:5], v[12:13], v[2:3]
	v_fma_f64 v[4:5], v[10:11], v[0:1], -v[4:5]
	v_mul_f64 v[10:11], v[10:11], v[2:3]
	v_fma_f64 v[10:11], v[12:13], v[0:1], v[10:11]
	buffer_load_dword v12, off, s[0:3], 0 offset:848
	buffer_load_dword v13, off, s[0:3], 0 offset:852
	buffer_load_dword v14, off, s[0:3], 0 offset:856
	buffer_load_dword v15, off, s[0:3], 0 offset:860
	s_waitcnt vmcnt(2)
	v_add_f64 v[4:5], v[12:13], -v[4:5]
	s_waitcnt vmcnt(0)
	v_add_f64 v[10:11], v[14:15], -v[10:11]
	buffer_store_dword v5, off, s[0:3], 0 offset:852
	buffer_store_dword v4, off, s[0:3], 0 offset:848
	buffer_store_dword v11, off, s[0:3], 0 offset:860
	buffer_store_dword v10, off, s[0:3], 0 offset:856
	ds_read2_b64 v[10:13], v40 offset0:108 offset1:109
	s_waitcnt lgkmcnt(0)
	v_mul_f64 v[4:5], v[12:13], v[2:3]
	v_fma_f64 v[4:5], v[10:11], v[0:1], -v[4:5]
	v_mul_f64 v[10:11], v[10:11], v[2:3]
	v_fma_f64 v[10:11], v[12:13], v[0:1], v[10:11]
	buffer_load_dword v12, off, s[0:3], 0 offset:864
	buffer_load_dword v13, off, s[0:3], 0 offset:868
	buffer_load_dword v14, off, s[0:3], 0 offset:872
	buffer_load_dword v15, off, s[0:3], 0 offset:876
	s_waitcnt vmcnt(2)
	v_add_f64 v[4:5], v[12:13], -v[4:5]
	;; [unrolled: 18-line block ×4, first 2 shown]
	s_waitcnt vmcnt(0)
	v_add_f64 v[10:11], v[14:15], -v[10:11]
	buffer_store_dword v5, off, s[0:3], 0 offset:900
	buffer_store_dword v4, off, s[0:3], 0 offset:896
	;; [unrolled: 1-line block ×4, first 2 shown]
	ds_read2_b64 v[10:13], v40 offset0:114 offset1:115
	s_waitcnt lgkmcnt(0)
	v_mul_f64 v[4:5], v[12:13], v[2:3]
	v_mul_f64 v[2:3], v[10:11], v[2:3]
	v_fma_f64 v[4:5], v[10:11], v[0:1], -v[4:5]
	v_fma_f64 v[0:1], v[12:13], v[0:1], v[2:3]
	buffer_load_dword v2, off, s[0:3], 0 offset:912
	buffer_load_dword v3, off, s[0:3], 0 offset:916
	;; [unrolled: 1-line block ×4, first 2 shown]
	s_waitcnt vmcnt(2)
	v_add_f64 v[2:3], v[2:3], -v[4:5]
	s_waitcnt vmcnt(0)
	v_add_f64 v[0:1], v[10:11], -v[0:1]
	buffer_store_dword v3, off, s[0:3], 0 offset:916
	buffer_store_dword v2, off, s[0:3], 0 offset:912
	;; [unrolled: 1-line block ×4, first 2 shown]
	ds_read2_b64 v[10:13], v40 offset0:116 offset1:117
	buffer_load_dword v0, off, s[0:3], 0 offset:720
	buffer_load_dword v1, off, s[0:3], 0 offset:724
	;; [unrolled: 1-line block ×4, first 2 shown]
	s_waitcnt vmcnt(0) lgkmcnt(0)
	v_mul_f64 v[4:5], v[12:13], v[2:3]
	v_fma_f64 v[4:5], v[10:11], v[0:1], -v[4:5]
	v_mul_f64 v[10:11], v[10:11], v[2:3]
	v_fma_f64 v[10:11], v[12:13], v[0:1], v[10:11]
	buffer_load_dword v13, off, s[0:3], 0 offset:932
	buffer_load_dword v12, off, s[0:3], 0 offset:928
	s_waitcnt vmcnt(0)
	v_add_f64 v[4:5], v[12:13], -v[4:5]
	buffer_load_dword v13, off, s[0:3], 0 offset:940
	buffer_load_dword v12, off, s[0:3], 0 offset:936
	s_waitcnt vmcnt(0)
	v_add_f64 v[10:11], v[12:13], -v[10:11]
	buffer_store_dword v5, off, s[0:3], 0 offset:932
	buffer_store_dword v4, off, s[0:3], 0 offset:928
	;; [unrolled: 1-line block ×4, first 2 shown]
	ds_read2_b64 v[10:13], v40 offset0:118 offset1:119
	s_waitcnt lgkmcnt(0)
	v_mul_f64 v[4:5], v[12:13], v[2:3]
	v_fma_f64 v[4:5], v[10:11], v[0:1], -v[4:5]
	v_mul_f64 v[10:11], v[10:11], v[2:3]
	v_fma_f64 v[10:11], v[12:13], v[0:1], v[10:11]
	buffer_load_dword v12, off, s[0:3], 0 offset:944
	buffer_load_dword v13, off, s[0:3], 0 offset:948
	;; [unrolled: 1-line block ×4, first 2 shown]
	s_waitcnt vmcnt(2)
	v_add_f64 v[4:5], v[12:13], -v[4:5]
	s_waitcnt vmcnt(0)
	v_add_f64 v[10:11], v[14:15], -v[10:11]
	buffer_store_dword v5, off, s[0:3], 0 offset:948
	buffer_store_dword v4, off, s[0:3], 0 offset:944
	;; [unrolled: 1-line block ×4, first 2 shown]
	ds_read2_b64 v[10:13], v40 offset0:120 offset1:121
	s_waitcnt lgkmcnt(0)
	v_mul_f64 v[4:5], v[12:13], v[2:3]
	v_mul_f64 v[2:3], v[10:11], v[2:3]
	v_fma_f64 v[4:5], v[10:11], v[0:1], -v[4:5]
	v_fma_f64 v[0:1], v[12:13], v[0:1], v[2:3]
	buffer_load_dword v2, off, s[0:3], 0 offset:960
	buffer_load_dword v3, off, s[0:3], 0 offset:964
	;; [unrolled: 1-line block ×4, first 2 shown]
	s_waitcnt vmcnt(2)
	v_add_f64 v[2:3], v[2:3], -v[4:5]
	s_waitcnt vmcnt(0)
	v_add_f64 v[0:1], v[10:11], -v[0:1]
	buffer_store_dword v3, off, s[0:3], 0 offset:964
	buffer_store_dword v2, off, s[0:3], 0 offset:960
	;; [unrolled: 1-line block ×4, first 2 shown]
.LBB120_1070:
	s_or_b64 exec, exec, s[4:5]
	v_mov_b32_e32 v3, s39
	s_waitcnt vmcnt(0)
	s_barrier
	buffer_load_dword v0, v3, s[0:3], 0 offen
	buffer_load_dword v1, v3, s[0:3], 0 offen offset:4
	buffer_load_dword v2, v3, s[0:3], 0 offen offset:8
	s_nop 0
	buffer_load_dword v3, v3, s[0:3], 0 offen offset:12
	v_lshl_add_u32 v4, v43, 4, v40
	s_cmp_lt_i32 s64, 48
	s_waitcnt vmcnt(0)
	ds_write2_b64 v4, v[0:1], v[2:3] offset1:1
	s_waitcnt lgkmcnt(0)
	s_barrier
	ds_read2_b64 v[0:3], v40 offset0:92 offset1:93
	v_mov_b32_e32 v4, 46
	s_cbranch_scc1 .LBB120_1073
; %bb.1071:
	v_add_u32_e32 v5, 0x2f0, v40
	s_mov_b32 s16, 47
	v_mov_b32_e32 v4, 46
.LBB120_1072:                           ; =>This Inner Loop Header: Depth=1
	s_waitcnt lgkmcnt(0)
	v_cmp_gt_f64_e32 vcc, 0, v[2:3]
	v_cmp_gt_f64_e64 s[4:5], 0, v[0:1]
	ds_read2_b64 v[10:13], v5 offset1:1
	v_xor_b32_e32 v15, 0x80000000, v1
	v_xor_b32_e32 v17, 0x80000000, v3
	v_mov_b32_e32 v14, v0
	v_mov_b32_e32 v16, v2
	s_waitcnt lgkmcnt(0)
	v_xor_b32_e32 v19, 0x80000000, v13
	v_cndmask_b32_e32 v17, v3, v17, vcc
	v_cndmask_b32_e64 v15, v1, v15, s[4:5]
	v_cmp_gt_f64_e32 vcc, 0, v[12:13]
	v_cmp_gt_f64_e64 s[4:5], 0, v[10:11]
	v_add_f64 v[14:15], v[14:15], v[16:17]
	v_xor_b32_e32 v17, 0x80000000, v11
	v_mov_b32_e32 v16, v10
	v_mov_b32_e32 v18, v12
	v_add_u32_e32 v5, 16, v5
	v_cndmask_b32_e32 v19, v13, v19, vcc
	v_cndmask_b32_e64 v17, v11, v17, s[4:5]
	v_add_f64 v[16:17], v[16:17], v[18:19]
	v_mov_b32_e32 v18, s16
	s_add_i32 s16, s16, 1
	s_cmp_lg_u32 s64, s16
	v_cmp_lt_f64_e32 vcc, v[14:15], v[16:17]
	v_cndmask_b32_e32 v1, v1, v11, vcc
	v_cndmask_b32_e32 v0, v0, v10, vcc
	;; [unrolled: 1-line block ×5, first 2 shown]
	s_cbranch_scc1 .LBB120_1072
.LBB120_1073:
	s_waitcnt lgkmcnt(0)
	v_cmp_eq_f64_e32 vcc, 0, v[0:1]
	v_cmp_eq_f64_e64 s[4:5], 0, v[2:3]
	s_and_b64 s[4:5], vcc, s[4:5]
	s_and_saveexec_b64 s[16:17], s[4:5]
	s_xor_b64 s[4:5], exec, s[16:17]
; %bb.1074:
	v_cmp_ne_u32_e32 vcc, 0, v41
	v_cndmask_b32_e32 v41, 47, v41, vcc
; %bb.1075:
	s_andn2_saveexec_b64 s[4:5], s[4:5]
	s_cbranch_execz .LBB120_1081
; %bb.1076:
	v_cmp_ngt_f64_e64 s[16:17], |v[0:1]|, |v[2:3]|
	s_and_saveexec_b64 s[18:19], s[16:17]
	s_xor_b64 s[18:19], exec, s[18:19]
	s_cbranch_execz .LBB120_1078
; %bb.1077:
	v_div_scale_f64 v[10:11], s[16:17], v[2:3], v[2:3], v[0:1]
	v_rcp_f64_e32 v[12:13], v[10:11]
	v_fma_f64 v[14:15], -v[10:11], v[12:13], 1.0
	v_fma_f64 v[12:13], v[12:13], v[14:15], v[12:13]
	v_div_scale_f64 v[14:15], vcc, v[0:1], v[2:3], v[0:1]
	v_fma_f64 v[16:17], -v[10:11], v[12:13], 1.0
	v_fma_f64 v[12:13], v[12:13], v[16:17], v[12:13]
	v_mul_f64 v[16:17], v[14:15], v[12:13]
	v_fma_f64 v[10:11], -v[10:11], v[16:17], v[14:15]
	v_div_fmas_f64 v[10:11], v[10:11], v[12:13], v[16:17]
	v_div_fixup_f64 v[10:11], v[10:11], v[2:3], v[0:1]
	v_fma_f64 v[0:1], v[0:1], v[10:11], v[2:3]
	v_div_scale_f64 v[2:3], s[16:17], v[0:1], v[0:1], 1.0
	v_div_scale_f64 v[16:17], vcc, 1.0, v[0:1], 1.0
	v_rcp_f64_e32 v[12:13], v[2:3]
	v_fma_f64 v[14:15], -v[2:3], v[12:13], 1.0
	v_fma_f64 v[12:13], v[12:13], v[14:15], v[12:13]
	v_fma_f64 v[14:15], -v[2:3], v[12:13], 1.0
	v_fma_f64 v[12:13], v[12:13], v[14:15], v[12:13]
	v_mul_f64 v[14:15], v[16:17], v[12:13]
	v_fma_f64 v[2:3], -v[2:3], v[14:15], v[16:17]
	v_div_fmas_f64 v[2:3], v[2:3], v[12:13], v[14:15]
	v_div_fixup_f64 v[2:3], v[2:3], v[0:1], 1.0
	v_mul_f64 v[0:1], v[10:11], v[2:3]
	v_xor_b32_e32 v3, 0x80000000, v3
.LBB120_1078:
	s_andn2_saveexec_b64 s[18:19], s[18:19]
	s_cbranch_execz .LBB120_1080
; %bb.1079:
	v_div_scale_f64 v[10:11], s[16:17], v[0:1], v[0:1], v[2:3]
	v_rcp_f64_e32 v[12:13], v[10:11]
	v_fma_f64 v[14:15], -v[10:11], v[12:13], 1.0
	v_fma_f64 v[12:13], v[12:13], v[14:15], v[12:13]
	v_div_scale_f64 v[14:15], vcc, v[2:3], v[0:1], v[2:3]
	v_fma_f64 v[16:17], -v[10:11], v[12:13], 1.0
	v_fma_f64 v[12:13], v[12:13], v[16:17], v[12:13]
	v_mul_f64 v[16:17], v[14:15], v[12:13]
	v_fma_f64 v[10:11], -v[10:11], v[16:17], v[14:15]
	v_div_fmas_f64 v[10:11], v[10:11], v[12:13], v[16:17]
	v_div_fixup_f64 v[10:11], v[10:11], v[0:1], v[2:3]
	v_fma_f64 v[0:1], v[2:3], v[10:11], v[0:1]
	v_div_scale_f64 v[2:3], s[16:17], v[0:1], v[0:1], 1.0
	v_div_scale_f64 v[16:17], vcc, 1.0, v[0:1], 1.0
	v_rcp_f64_e32 v[12:13], v[2:3]
	v_fma_f64 v[14:15], -v[2:3], v[12:13], 1.0
	v_fma_f64 v[12:13], v[12:13], v[14:15], v[12:13]
	v_fma_f64 v[14:15], -v[2:3], v[12:13], 1.0
	v_fma_f64 v[12:13], v[12:13], v[14:15], v[12:13]
	v_mul_f64 v[14:15], v[16:17], v[12:13]
	v_fma_f64 v[2:3], -v[2:3], v[14:15], v[16:17]
	v_div_fmas_f64 v[2:3], v[2:3], v[12:13], v[14:15]
	v_div_fixup_f64 v[0:1], v[2:3], v[0:1], 1.0
	v_mul_f64 v[2:3], v[10:11], -v[0:1]
.LBB120_1080:
	s_or_b64 exec, exec, s[18:19]
.LBB120_1081:
	s_or_b64 exec, exec, s[4:5]
	v_cmp_ne_u32_e32 vcc, v43, v4
	s_and_saveexec_b64 s[4:5], vcc
	s_xor_b64 s[4:5], exec, s[4:5]
	s_cbranch_execz .LBB120_1087
; %bb.1082:
	v_cmp_eq_u32_e32 vcc, 46, v43
	s_and_saveexec_b64 s[18:19], vcc
	s_cbranch_execz .LBB120_1086
; %bb.1083:
	v_cmp_ne_u32_e32 vcc, 46, v4
	s_xor_b64 s[16:17], s[22:23], -1
	s_and_b64 s[16:17], s[16:17], vcc
	s_and_saveexec_b64 s[24:25], s[16:17]
	s_cbranch_execz .LBB120_1085
; %bb.1084:
	v_ashrrev_i32_e32 v5, 31, v4
	v_lshlrev_b64 v[10:11], 2, v[4:5]
	v_add_co_u32_e32 v10, vcc, v8, v10
	v_addc_co_u32_e32 v11, vcc, v9, v11, vcc
	global_load_dword v5, v[10:11], off
	global_load_dword v12, v[8:9], off offset:184
	s_waitcnt vmcnt(1)
	global_store_dword v[8:9], v5, off offset:184
	s_waitcnt vmcnt(1)
	global_store_dword v[10:11], v12, off
.LBB120_1085:
	s_or_b64 exec, exec, s[24:25]
	v_mov_b32_e32 v43, v4
	v_mov_b32_e32 v42, v4
.LBB120_1086:
	s_or_b64 exec, exec, s[18:19]
.LBB120_1087:
	s_andn2_saveexec_b64 s[4:5], s[4:5]
	s_cbranch_execz .LBB120_1089
; %bb.1088:
	v_mov_b32_e32 v11, s38
	buffer_load_dword v4, v11, s[0:3], 0 offen
	buffer_load_dword v5, v11, s[0:3], 0 offen offset:4
	buffer_load_dword v10, v11, s[0:3], 0 offen offset:8
	s_nop 0
	buffer_load_dword v11, v11, s[0:3], 0 offen offset:12
	v_mov_b32_e32 v43, 46
	s_waitcnt vmcnt(0)
	ds_write2_b64 v40, v[4:5], v[10:11] offset0:94 offset1:95
	v_mov_b32_e32 v11, s37
	buffer_load_dword v4, v11, s[0:3], 0 offen
	buffer_load_dword v5, v11, s[0:3], 0 offen offset:4
	buffer_load_dword v10, v11, s[0:3], 0 offen offset:8
	s_nop 0
	buffer_load_dword v11, v11, s[0:3], 0 offen offset:12
	s_waitcnt vmcnt(0)
	ds_write2_b64 v40, v[4:5], v[10:11] offset0:96 offset1:97
	v_mov_b32_e32 v11, s36
	buffer_load_dword v4, v11, s[0:3], 0 offen
	buffer_load_dword v5, v11, s[0:3], 0 offen offset:4
	buffer_load_dword v10, v11, s[0:3], 0 offen offset:8
	s_nop 0
	buffer_load_dword v11, v11, s[0:3], 0 offen offset:12
	;; [unrolled: 8-line block ×13, first 2 shown]
	s_waitcnt vmcnt(0)
	ds_write2_b64 v40, v[4:5], v[10:11] offset0:120 offset1:121
.LBB120_1089:
	s_or_b64 exec, exec, s[4:5]
	v_cmp_lt_i32_e32 vcc, 46, v43
	s_waitcnt vmcnt(0) lgkmcnt(0)
	s_barrier
	s_and_saveexec_b64 s[4:5], vcc
	s_cbranch_execz .LBB120_1091
; %bb.1090:
	buffer_load_dword v4, off, s[0:3], 0 offset:736
	buffer_load_dword v5, off, s[0:3], 0 offset:740
	;; [unrolled: 1-line block ×16, first 2 shown]
	s_waitcnt vmcnt(12)
	v_mul_f64 v[24:25], v[2:3], v[10:11]
	v_fma_f64 v[24:25], v[0:1], v[4:5], -v[24:25]
	v_mul_f64 v[0:1], v[0:1], v[10:11]
	v_fma_f64 v[4:5], v[2:3], v[4:5], v[0:1]
	buffer_store_dword v24, off, s[0:3], 0 offset:736
	buffer_store_dword v25, off, s[0:3], 0 offset:740
	buffer_store_dword v4, off, s[0:3], 0 offset:744
	buffer_store_dword v5, off, s[0:3], 0 offset:748
	ds_read2_b64 v[0:3], v40 offset0:94 offset1:95
	s_waitcnt lgkmcnt(0)
	v_mul_f64 v[10:11], v[2:3], v[4:5]
	v_fma_f64 v[10:11], v[0:1], v[24:25], -v[10:11]
	v_mul_f64 v[0:1], v[0:1], v[4:5]
	v_fma_f64 v[0:1], v[2:3], v[24:25], v[0:1]
	s_waitcnt vmcnt(14)
	v_add_f64 v[2:3], v[12:13], -v[10:11]
	s_waitcnt vmcnt(12)
	v_add_f64 v[0:1], v[14:15], -v[0:1]
	buffer_store_dword v2, off, s[0:3], 0 offset:752
	buffer_store_dword v3, off, s[0:3], 0 offset:756
	buffer_store_dword v0, off, s[0:3], 0 offset:760
	buffer_store_dword v1, off, s[0:3], 0 offset:764
	ds_read2_b64 v[0:3], v40 offset0:96 offset1:97
	s_waitcnt lgkmcnt(0)
	v_mul_f64 v[10:11], v[2:3], v[4:5]
	v_fma_f64 v[10:11], v[0:1], v[24:25], -v[10:11]
	v_mul_f64 v[0:1], v[0:1], v[4:5]
	v_fma_f64 v[0:1], v[2:3], v[24:25], v[0:1]
	s_waitcnt vmcnt(14)
	v_add_f64 v[2:3], v[16:17], -v[10:11]
	s_waitcnt vmcnt(12)
	v_add_f64 v[0:1], v[18:19], -v[0:1]
	;; [unrolled: 14-line block ×3, first 2 shown]
	buffer_store_dword v3, off, s[0:3], 0 offset:788
	buffer_store_dword v2, off, s[0:3], 0 offset:784
	buffer_store_dword v0, off, s[0:3], 0 offset:792
	buffer_store_dword v1, off, s[0:3], 0 offset:796
	ds_read2_b64 v[0:3], v40 offset0:100 offset1:101
	s_waitcnt lgkmcnt(0)
	v_mul_f64 v[10:11], v[2:3], v[4:5]
	v_fma_f64 v[10:11], v[0:1], v[24:25], -v[10:11]
	v_mul_f64 v[0:1], v[0:1], v[4:5]
	v_fma_f64 v[0:1], v[2:3], v[24:25], v[0:1]
	buffer_load_dword v2, off, s[0:3], 0 offset:800
	buffer_load_dword v3, off, s[0:3], 0 offset:804
	buffer_load_dword v12, off, s[0:3], 0 offset:808
	buffer_load_dword v13, off, s[0:3], 0 offset:812
	s_waitcnt vmcnt(2)
	v_add_f64 v[2:3], v[2:3], -v[10:11]
	s_waitcnt vmcnt(0)
	v_add_f64 v[0:1], v[12:13], -v[0:1]
	buffer_store_dword v3, off, s[0:3], 0 offset:804
	buffer_store_dword v2, off, s[0:3], 0 offset:800
	buffer_store_dword v1, off, s[0:3], 0 offset:812
	buffer_store_dword v0, off, s[0:3], 0 offset:808
	ds_read2_b64 v[0:3], v40 offset0:102 offset1:103
	s_waitcnt lgkmcnt(0)
	v_mul_f64 v[10:11], v[2:3], v[4:5]
	v_fma_f64 v[10:11], v[0:1], v[24:25], -v[10:11]
	v_mul_f64 v[0:1], v[0:1], v[4:5]
	v_fma_f64 v[0:1], v[2:3], v[24:25], v[0:1]
	buffer_load_dword v2, off, s[0:3], 0 offset:816
	buffer_load_dword v3, off, s[0:3], 0 offset:820
	buffer_load_dword v12, off, s[0:3], 0 offset:824
	buffer_load_dword v13, off, s[0:3], 0 offset:828
	s_waitcnt vmcnt(2)
	v_add_f64 v[2:3], v[2:3], -v[10:11]
	s_waitcnt vmcnt(0)
	v_add_f64 v[0:1], v[12:13], -v[0:1]
	;; [unrolled: 18-line block ×3, first 2 shown]
	buffer_store_dword v3, off, s[0:3], 0 offset:836
	buffer_store_dword v2, off, s[0:3], 0 offset:832
	;; [unrolled: 1-line block ×4, first 2 shown]
	ds_read2_b64 v[10:13], v40 offset0:106 offset1:107
	buffer_load_dword v0, off, s[0:3], 0 offset:736
	buffer_load_dword v1, off, s[0:3], 0 offset:740
	;; [unrolled: 1-line block ×4, first 2 shown]
	s_waitcnt vmcnt(0) lgkmcnt(0)
	v_mul_f64 v[4:5], v[12:13], v[2:3]
	v_fma_f64 v[4:5], v[10:11], v[0:1], -v[4:5]
	v_mul_f64 v[10:11], v[10:11], v[2:3]
	v_fma_f64 v[10:11], v[12:13], v[0:1], v[10:11]
	buffer_load_dword v13, off, s[0:3], 0 offset:852
	buffer_load_dword v12, off, s[0:3], 0 offset:848
	s_waitcnt vmcnt(0)
	v_add_f64 v[4:5], v[12:13], -v[4:5]
	buffer_load_dword v13, off, s[0:3], 0 offset:860
	buffer_load_dword v12, off, s[0:3], 0 offset:856
	s_waitcnt vmcnt(0)
	v_add_f64 v[10:11], v[12:13], -v[10:11]
	buffer_store_dword v5, off, s[0:3], 0 offset:852
	buffer_store_dword v4, off, s[0:3], 0 offset:848
	buffer_store_dword v11, off, s[0:3], 0 offset:860
	buffer_store_dword v10, off, s[0:3], 0 offset:856
	ds_read2_b64 v[10:13], v40 offset0:108 offset1:109
	s_waitcnt lgkmcnt(0)
	v_mul_f64 v[4:5], v[12:13], v[2:3]
	v_fma_f64 v[4:5], v[10:11], v[0:1], -v[4:5]
	v_mul_f64 v[10:11], v[10:11], v[2:3]
	v_fma_f64 v[10:11], v[12:13], v[0:1], v[10:11]
	buffer_load_dword v12, off, s[0:3], 0 offset:864
	buffer_load_dword v13, off, s[0:3], 0 offset:868
	buffer_load_dword v14, off, s[0:3], 0 offset:872
	buffer_load_dword v15, off, s[0:3], 0 offset:876
	s_waitcnt vmcnt(2)
	v_add_f64 v[4:5], v[12:13], -v[4:5]
	s_waitcnt vmcnt(0)
	v_add_f64 v[10:11], v[14:15], -v[10:11]
	buffer_store_dword v5, off, s[0:3], 0 offset:868
	buffer_store_dword v4, off, s[0:3], 0 offset:864
	buffer_store_dword v11, off, s[0:3], 0 offset:876
	buffer_store_dword v10, off, s[0:3], 0 offset:872
	ds_read2_b64 v[10:13], v40 offset0:110 offset1:111
	s_waitcnt lgkmcnt(0)
	v_mul_f64 v[4:5], v[12:13], v[2:3]
	v_fma_f64 v[4:5], v[10:11], v[0:1], -v[4:5]
	v_mul_f64 v[10:11], v[10:11], v[2:3]
	v_fma_f64 v[10:11], v[12:13], v[0:1], v[10:11]
	buffer_load_dword v12, off, s[0:3], 0 offset:880
	buffer_load_dword v13, off, s[0:3], 0 offset:884
	buffer_load_dword v14, off, s[0:3], 0 offset:888
	buffer_load_dword v15, off, s[0:3], 0 offset:892
	s_waitcnt vmcnt(2)
	v_add_f64 v[4:5], v[12:13], -v[4:5]
	;; [unrolled: 18-line block ×4, first 2 shown]
	s_waitcnt vmcnt(0)
	v_add_f64 v[10:11], v[14:15], -v[10:11]
	buffer_store_dword v5, off, s[0:3], 0 offset:916
	buffer_store_dword v4, off, s[0:3], 0 offset:912
	;; [unrolled: 1-line block ×4, first 2 shown]
	ds_read2_b64 v[10:13], v40 offset0:116 offset1:117
	s_waitcnt lgkmcnt(0)
	v_mul_f64 v[4:5], v[12:13], v[2:3]
	v_mul_f64 v[2:3], v[10:11], v[2:3]
	v_fma_f64 v[4:5], v[10:11], v[0:1], -v[4:5]
	v_fma_f64 v[0:1], v[12:13], v[0:1], v[2:3]
	buffer_load_dword v2, off, s[0:3], 0 offset:928
	buffer_load_dword v3, off, s[0:3], 0 offset:932
	;; [unrolled: 1-line block ×4, first 2 shown]
	s_waitcnt vmcnt(2)
	v_add_f64 v[2:3], v[2:3], -v[4:5]
	s_waitcnt vmcnt(0)
	v_add_f64 v[0:1], v[10:11], -v[0:1]
	buffer_store_dword v3, off, s[0:3], 0 offset:932
	buffer_store_dword v2, off, s[0:3], 0 offset:928
	;; [unrolled: 1-line block ×4, first 2 shown]
	ds_read2_b64 v[0:3], v40 offset0:118 offset1:119
	buffer_load_dword v4, off, s[0:3], 0 offset:736
	buffer_load_dword v5, off, s[0:3], 0 offset:740
	;; [unrolled: 1-line block ×4, first 2 shown]
	s_waitcnt vmcnt(0) lgkmcnt(0)
	v_mul_f64 v[12:13], v[2:3], v[10:11]
	v_fma_f64 v[12:13], v[0:1], v[4:5], -v[12:13]
	v_mul_f64 v[0:1], v[0:1], v[10:11]
	v_fma_f64 v[0:1], v[2:3], v[4:5], v[0:1]
	buffer_load_dword v3, off, s[0:3], 0 offset:948
	buffer_load_dword v2, off, s[0:3], 0 offset:944
	s_waitcnt vmcnt(0)
	v_add_f64 v[2:3], v[2:3], -v[12:13]
	buffer_load_dword v13, off, s[0:3], 0 offset:956
	buffer_load_dword v12, off, s[0:3], 0 offset:952
	s_waitcnt vmcnt(0)
	v_add_f64 v[0:1], v[12:13], -v[0:1]
	buffer_store_dword v3, off, s[0:3], 0 offset:948
	buffer_store_dword v2, off, s[0:3], 0 offset:944
	buffer_store_dword v1, off, s[0:3], 0 offset:956
	buffer_store_dword v0, off, s[0:3], 0 offset:952
	ds_read2_b64 v[0:3], v40 offset0:120 offset1:121
	s_waitcnt lgkmcnt(0)
	v_mul_f64 v[12:13], v[2:3], v[10:11]
	v_fma_f64 v[12:13], v[0:1], v[4:5], -v[12:13]
	v_mul_f64 v[0:1], v[0:1], v[10:11]
	v_fma_f64 v[0:1], v[2:3], v[4:5], v[0:1]
	buffer_load_dword v2, off, s[0:3], 0 offset:960
	buffer_load_dword v3, off, s[0:3], 0 offset:964
	;; [unrolled: 1-line block ×4, first 2 shown]
	s_waitcnt vmcnt(2)
	v_add_f64 v[2:3], v[2:3], -v[12:13]
	s_waitcnt vmcnt(0)
	v_add_f64 v[0:1], v[4:5], -v[0:1]
	buffer_store_dword v3, off, s[0:3], 0 offset:964
	buffer_store_dword v2, off, s[0:3], 0 offset:960
	;; [unrolled: 1-line block ×4, first 2 shown]
.LBB120_1091:
	s_or_b64 exec, exec, s[4:5]
	v_mov_b32_e32 v3, s38
	s_waitcnt vmcnt(0)
	s_barrier
	buffer_load_dword v0, v3, s[0:3], 0 offen
	buffer_load_dword v1, v3, s[0:3], 0 offen offset:4
	buffer_load_dword v2, v3, s[0:3], 0 offen offset:8
	s_nop 0
	buffer_load_dword v3, v3, s[0:3], 0 offen offset:12
	v_lshl_add_u32 v4, v43, 4, v40
	s_cmp_lt_i32 s64, 49
	s_waitcnt vmcnt(0)
	ds_write2_b64 v4, v[0:1], v[2:3] offset1:1
	s_waitcnt lgkmcnt(0)
	s_barrier
	ds_read2_b64 v[0:3], v40 offset0:94 offset1:95
	v_mov_b32_e32 v4, 47
	s_cbranch_scc1 .LBB120_1094
; %bb.1092:
	v_add_u32_e32 v5, 0x300, v40
	s_mov_b32 s16, 48
	v_mov_b32_e32 v4, 47
.LBB120_1093:                           ; =>This Inner Loop Header: Depth=1
	s_waitcnt lgkmcnt(0)
	v_cmp_gt_f64_e32 vcc, 0, v[2:3]
	v_cmp_gt_f64_e64 s[4:5], 0, v[0:1]
	ds_read2_b64 v[10:13], v5 offset1:1
	v_xor_b32_e32 v15, 0x80000000, v1
	v_xor_b32_e32 v17, 0x80000000, v3
	v_mov_b32_e32 v14, v0
	v_mov_b32_e32 v16, v2
	s_waitcnt lgkmcnt(0)
	v_xor_b32_e32 v19, 0x80000000, v13
	v_cndmask_b32_e32 v17, v3, v17, vcc
	v_cndmask_b32_e64 v15, v1, v15, s[4:5]
	v_cmp_gt_f64_e32 vcc, 0, v[12:13]
	v_cmp_gt_f64_e64 s[4:5], 0, v[10:11]
	v_add_f64 v[14:15], v[14:15], v[16:17]
	v_xor_b32_e32 v17, 0x80000000, v11
	v_mov_b32_e32 v16, v10
	v_mov_b32_e32 v18, v12
	v_add_u32_e32 v5, 16, v5
	v_cndmask_b32_e32 v19, v13, v19, vcc
	v_cndmask_b32_e64 v17, v11, v17, s[4:5]
	v_add_f64 v[16:17], v[16:17], v[18:19]
	v_mov_b32_e32 v18, s16
	s_add_i32 s16, s16, 1
	s_cmp_lg_u32 s64, s16
	v_cmp_lt_f64_e32 vcc, v[14:15], v[16:17]
	v_cndmask_b32_e32 v1, v1, v11, vcc
	v_cndmask_b32_e32 v0, v0, v10, vcc
	;; [unrolled: 1-line block ×5, first 2 shown]
	s_cbranch_scc1 .LBB120_1093
.LBB120_1094:
	s_waitcnt lgkmcnt(0)
	v_cmp_eq_f64_e32 vcc, 0, v[0:1]
	v_cmp_eq_f64_e64 s[4:5], 0, v[2:3]
	s_and_b64 s[4:5], vcc, s[4:5]
	s_and_saveexec_b64 s[16:17], s[4:5]
	s_xor_b64 s[4:5], exec, s[16:17]
; %bb.1095:
	v_cmp_ne_u32_e32 vcc, 0, v41
	v_cndmask_b32_e32 v41, 48, v41, vcc
; %bb.1096:
	s_andn2_saveexec_b64 s[4:5], s[4:5]
	s_cbranch_execz .LBB120_1102
; %bb.1097:
	v_cmp_ngt_f64_e64 s[16:17], |v[0:1]|, |v[2:3]|
	s_and_saveexec_b64 s[18:19], s[16:17]
	s_xor_b64 s[18:19], exec, s[18:19]
	s_cbranch_execz .LBB120_1099
; %bb.1098:
	v_div_scale_f64 v[10:11], s[16:17], v[2:3], v[2:3], v[0:1]
	v_rcp_f64_e32 v[12:13], v[10:11]
	v_fma_f64 v[14:15], -v[10:11], v[12:13], 1.0
	v_fma_f64 v[12:13], v[12:13], v[14:15], v[12:13]
	v_div_scale_f64 v[14:15], vcc, v[0:1], v[2:3], v[0:1]
	v_fma_f64 v[16:17], -v[10:11], v[12:13], 1.0
	v_fma_f64 v[12:13], v[12:13], v[16:17], v[12:13]
	v_mul_f64 v[16:17], v[14:15], v[12:13]
	v_fma_f64 v[10:11], -v[10:11], v[16:17], v[14:15]
	v_div_fmas_f64 v[10:11], v[10:11], v[12:13], v[16:17]
	v_div_fixup_f64 v[10:11], v[10:11], v[2:3], v[0:1]
	v_fma_f64 v[0:1], v[0:1], v[10:11], v[2:3]
	v_div_scale_f64 v[2:3], s[16:17], v[0:1], v[0:1], 1.0
	v_div_scale_f64 v[16:17], vcc, 1.0, v[0:1], 1.0
	v_rcp_f64_e32 v[12:13], v[2:3]
	v_fma_f64 v[14:15], -v[2:3], v[12:13], 1.0
	v_fma_f64 v[12:13], v[12:13], v[14:15], v[12:13]
	v_fma_f64 v[14:15], -v[2:3], v[12:13], 1.0
	v_fma_f64 v[12:13], v[12:13], v[14:15], v[12:13]
	v_mul_f64 v[14:15], v[16:17], v[12:13]
	v_fma_f64 v[2:3], -v[2:3], v[14:15], v[16:17]
	v_div_fmas_f64 v[2:3], v[2:3], v[12:13], v[14:15]
	v_div_fixup_f64 v[2:3], v[2:3], v[0:1], 1.0
	v_mul_f64 v[0:1], v[10:11], v[2:3]
	v_xor_b32_e32 v3, 0x80000000, v3
.LBB120_1099:
	s_andn2_saveexec_b64 s[18:19], s[18:19]
	s_cbranch_execz .LBB120_1101
; %bb.1100:
	v_div_scale_f64 v[10:11], s[16:17], v[0:1], v[0:1], v[2:3]
	v_rcp_f64_e32 v[12:13], v[10:11]
	v_fma_f64 v[14:15], -v[10:11], v[12:13], 1.0
	v_fma_f64 v[12:13], v[12:13], v[14:15], v[12:13]
	v_div_scale_f64 v[14:15], vcc, v[2:3], v[0:1], v[2:3]
	v_fma_f64 v[16:17], -v[10:11], v[12:13], 1.0
	v_fma_f64 v[12:13], v[12:13], v[16:17], v[12:13]
	v_mul_f64 v[16:17], v[14:15], v[12:13]
	v_fma_f64 v[10:11], -v[10:11], v[16:17], v[14:15]
	v_div_fmas_f64 v[10:11], v[10:11], v[12:13], v[16:17]
	v_div_fixup_f64 v[10:11], v[10:11], v[0:1], v[2:3]
	v_fma_f64 v[0:1], v[2:3], v[10:11], v[0:1]
	v_div_scale_f64 v[2:3], s[16:17], v[0:1], v[0:1], 1.0
	v_div_scale_f64 v[16:17], vcc, 1.0, v[0:1], 1.0
	v_rcp_f64_e32 v[12:13], v[2:3]
	v_fma_f64 v[14:15], -v[2:3], v[12:13], 1.0
	v_fma_f64 v[12:13], v[12:13], v[14:15], v[12:13]
	v_fma_f64 v[14:15], -v[2:3], v[12:13], 1.0
	v_fma_f64 v[12:13], v[12:13], v[14:15], v[12:13]
	v_mul_f64 v[14:15], v[16:17], v[12:13]
	v_fma_f64 v[2:3], -v[2:3], v[14:15], v[16:17]
	v_div_fmas_f64 v[2:3], v[2:3], v[12:13], v[14:15]
	v_div_fixup_f64 v[0:1], v[2:3], v[0:1], 1.0
	v_mul_f64 v[2:3], v[10:11], -v[0:1]
.LBB120_1101:
	s_or_b64 exec, exec, s[18:19]
.LBB120_1102:
	s_or_b64 exec, exec, s[4:5]
	v_cmp_ne_u32_e32 vcc, v43, v4
	s_and_saveexec_b64 s[4:5], vcc
	s_xor_b64 s[4:5], exec, s[4:5]
	s_cbranch_execz .LBB120_1108
; %bb.1103:
	v_cmp_eq_u32_e32 vcc, 47, v43
	s_and_saveexec_b64 s[18:19], vcc
	s_cbranch_execz .LBB120_1107
; %bb.1104:
	v_cmp_ne_u32_e32 vcc, 47, v4
	s_xor_b64 s[16:17], s[22:23], -1
	s_and_b64 s[16:17], s[16:17], vcc
	s_and_saveexec_b64 s[24:25], s[16:17]
	s_cbranch_execz .LBB120_1106
; %bb.1105:
	v_ashrrev_i32_e32 v5, 31, v4
	v_lshlrev_b64 v[10:11], 2, v[4:5]
	v_add_co_u32_e32 v10, vcc, v8, v10
	v_addc_co_u32_e32 v11, vcc, v9, v11, vcc
	global_load_dword v5, v[10:11], off
	global_load_dword v12, v[8:9], off offset:188
	s_waitcnt vmcnt(1)
	global_store_dword v[8:9], v5, off offset:188
	s_waitcnt vmcnt(1)
	global_store_dword v[10:11], v12, off
.LBB120_1106:
	s_or_b64 exec, exec, s[24:25]
	v_mov_b32_e32 v43, v4
	v_mov_b32_e32 v42, v4
.LBB120_1107:
	s_or_b64 exec, exec, s[18:19]
.LBB120_1108:
	s_andn2_saveexec_b64 s[4:5], s[4:5]
	s_cbranch_execz .LBB120_1110
; %bb.1109:
	v_mov_b32_e32 v11, s37
	buffer_load_dword v4, v11, s[0:3], 0 offen
	buffer_load_dword v5, v11, s[0:3], 0 offen offset:4
	buffer_load_dword v10, v11, s[0:3], 0 offen offset:8
	s_nop 0
	buffer_load_dword v11, v11, s[0:3], 0 offen offset:12
	v_mov_b32_e32 v43, 47
	s_waitcnt vmcnt(0)
	ds_write2_b64 v40, v[4:5], v[10:11] offset0:96 offset1:97
	v_mov_b32_e32 v11, s36
	buffer_load_dword v4, v11, s[0:3], 0 offen
	buffer_load_dword v5, v11, s[0:3], 0 offen offset:4
	buffer_load_dword v10, v11, s[0:3], 0 offen offset:8
	s_nop 0
	buffer_load_dword v11, v11, s[0:3], 0 offen offset:12
	s_waitcnt vmcnt(0)
	ds_write2_b64 v40, v[4:5], v[10:11] offset0:98 offset1:99
	v_mov_b32_e32 v11, s35
	buffer_load_dword v4, v11, s[0:3], 0 offen
	buffer_load_dword v5, v11, s[0:3], 0 offen offset:4
	buffer_load_dword v10, v11, s[0:3], 0 offen offset:8
	s_nop 0
	buffer_load_dword v11, v11, s[0:3], 0 offen offset:12
	;; [unrolled: 8-line block ×12, first 2 shown]
	s_waitcnt vmcnt(0)
	ds_write2_b64 v40, v[4:5], v[10:11] offset0:120 offset1:121
.LBB120_1110:
	s_or_b64 exec, exec, s[4:5]
	v_cmp_lt_i32_e32 vcc, 47, v43
	s_waitcnt vmcnt(0) lgkmcnt(0)
	s_barrier
	s_and_saveexec_b64 s[4:5], vcc
	s_cbranch_execz .LBB120_1112
; %bb.1111:
	buffer_load_dword v10, off, s[0:3], 0 offset:752
	buffer_load_dword v11, off, s[0:3], 0 offset:756
	buffer_load_dword v12, off, s[0:3], 0 offset:760
	buffer_load_dword v13, off, s[0:3], 0 offset:764
	buffer_load_dword v14, off, s[0:3], 0 offset:768
	buffer_load_dword v15, off, s[0:3], 0 offset:772
	buffer_load_dword v16, off, s[0:3], 0 offset:776
	buffer_load_dword v17, off, s[0:3], 0 offset:780
	buffer_load_dword v18, off, s[0:3], 0 offset:784
	buffer_load_dword v19, off, s[0:3], 0 offset:788
	buffer_load_dword v20, off, s[0:3], 0 offset:792
	buffer_load_dword v21, off, s[0:3], 0 offset:796
	buffer_load_dword v22, off, s[0:3], 0 offset:800
	buffer_load_dword v23, off, s[0:3], 0 offset:804
	buffer_load_dword v24, off, s[0:3], 0 offset:808
	buffer_load_dword v25, off, s[0:3], 0 offset:812
	s_waitcnt vmcnt(12)
	v_mul_f64 v[4:5], v[2:3], v[12:13]
	v_fma_f64 v[4:5], v[0:1], v[10:11], -v[4:5]
	v_mul_f64 v[0:1], v[0:1], v[12:13]
	v_fma_f64 v[10:11], v[2:3], v[10:11], v[0:1]
	buffer_store_dword v4, off, s[0:3], 0 offset:752
	buffer_store_dword v5, off, s[0:3], 0 offset:756
	buffer_store_dword v10, off, s[0:3], 0 offset:760
	buffer_store_dword v11, off, s[0:3], 0 offset:764
	ds_read2_b64 v[0:3], v40 offset0:96 offset1:97
	s_waitcnt lgkmcnt(0)
	v_mul_f64 v[12:13], v[2:3], v[10:11]
	v_fma_f64 v[12:13], v[0:1], v[4:5], -v[12:13]
	v_mul_f64 v[0:1], v[0:1], v[10:11]
	v_fma_f64 v[0:1], v[2:3], v[4:5], v[0:1]
	s_waitcnt vmcnt(14)
	v_add_f64 v[2:3], v[14:15], -v[12:13]
	s_waitcnt vmcnt(12)
	v_add_f64 v[0:1], v[16:17], -v[0:1]
	buffer_store_dword v2, off, s[0:3], 0 offset:768
	buffer_store_dword v3, off, s[0:3], 0 offset:772
	buffer_store_dword v0, off, s[0:3], 0 offset:776
	buffer_store_dword v1, off, s[0:3], 0 offset:780
	ds_read2_b64 v[0:3], v40 offset0:98 offset1:99
	s_waitcnt lgkmcnt(0)
	v_mul_f64 v[12:13], v[2:3], v[10:11]
	v_fma_f64 v[12:13], v[0:1], v[4:5], -v[12:13]
	v_mul_f64 v[0:1], v[0:1], v[10:11]
	v_fma_f64 v[0:1], v[2:3], v[4:5], v[0:1]
	s_waitcnt vmcnt(14)
	v_add_f64 v[2:3], v[18:19], -v[12:13]
	s_waitcnt vmcnt(12)
	v_add_f64 v[0:1], v[20:21], -v[0:1]
	;; [unrolled: 14-line block ×3, first 2 shown]
	buffer_store_dword v3, off, s[0:3], 0 offset:804
	buffer_store_dword v2, off, s[0:3], 0 offset:800
	buffer_store_dword v0, off, s[0:3], 0 offset:808
	buffer_store_dword v1, off, s[0:3], 0 offset:812
	ds_read2_b64 v[0:3], v40 offset0:102 offset1:103
	s_waitcnt lgkmcnt(0)
	v_mul_f64 v[12:13], v[2:3], v[10:11]
	v_fma_f64 v[12:13], v[0:1], v[4:5], -v[12:13]
	v_mul_f64 v[0:1], v[0:1], v[10:11]
	v_fma_f64 v[0:1], v[2:3], v[4:5], v[0:1]
	buffer_load_dword v2, off, s[0:3], 0 offset:816
	buffer_load_dword v3, off, s[0:3], 0 offset:820
	buffer_load_dword v14, off, s[0:3], 0 offset:824
	buffer_load_dword v15, off, s[0:3], 0 offset:828
	s_waitcnt vmcnt(2)
	v_add_f64 v[2:3], v[2:3], -v[12:13]
	s_waitcnt vmcnt(0)
	v_add_f64 v[0:1], v[14:15], -v[0:1]
	buffer_store_dword v3, off, s[0:3], 0 offset:820
	buffer_store_dword v2, off, s[0:3], 0 offset:816
	buffer_store_dword v1, off, s[0:3], 0 offset:828
	buffer_store_dword v0, off, s[0:3], 0 offset:824
	ds_read2_b64 v[0:3], v40 offset0:104 offset1:105
	s_waitcnt lgkmcnt(0)
	v_mul_f64 v[12:13], v[2:3], v[10:11]
	v_fma_f64 v[12:13], v[0:1], v[4:5], -v[12:13]
	v_mul_f64 v[0:1], v[0:1], v[10:11]
	v_fma_f64 v[0:1], v[2:3], v[4:5], v[0:1]
	buffer_load_dword v2, off, s[0:3], 0 offset:832
	buffer_load_dword v3, off, s[0:3], 0 offset:836
	buffer_load_dword v14, off, s[0:3], 0 offset:840
	buffer_load_dword v15, off, s[0:3], 0 offset:844
	s_waitcnt vmcnt(2)
	v_add_f64 v[2:3], v[2:3], -v[12:13]
	s_waitcnt vmcnt(0)
	v_add_f64 v[0:1], v[14:15], -v[0:1]
	;; [unrolled: 18-line block ×3, first 2 shown]
	buffer_store_dword v3, off, s[0:3], 0 offset:852
	buffer_store_dword v2, off, s[0:3], 0 offset:848
	;; [unrolled: 1-line block ×4, first 2 shown]
	ds_read2_b64 v[0:3], v40 offset0:108 offset1:109
	buffer_load_dword v4, off, s[0:3], 0 offset:752
	buffer_load_dword v5, off, s[0:3], 0 offset:756
	buffer_load_dword v10, off, s[0:3], 0 offset:760
	buffer_load_dword v11, off, s[0:3], 0 offset:764
	s_waitcnt vmcnt(0) lgkmcnt(0)
	v_mul_f64 v[12:13], v[2:3], v[10:11]
	v_fma_f64 v[12:13], v[0:1], v[4:5], -v[12:13]
	v_mul_f64 v[0:1], v[0:1], v[10:11]
	v_fma_f64 v[0:1], v[2:3], v[4:5], v[0:1]
	buffer_load_dword v3, off, s[0:3], 0 offset:868
	buffer_load_dword v2, off, s[0:3], 0 offset:864
	s_waitcnt vmcnt(0)
	v_add_f64 v[2:3], v[2:3], -v[12:13]
	buffer_load_dword v13, off, s[0:3], 0 offset:876
	buffer_load_dword v12, off, s[0:3], 0 offset:872
	s_waitcnt vmcnt(0)
	v_add_f64 v[0:1], v[12:13], -v[0:1]
	buffer_store_dword v3, off, s[0:3], 0 offset:868
	buffer_store_dword v2, off, s[0:3], 0 offset:864
	buffer_store_dword v1, off, s[0:3], 0 offset:876
	buffer_store_dword v0, off, s[0:3], 0 offset:872
	ds_read2_b64 v[0:3], v40 offset0:110 offset1:111
	s_waitcnt lgkmcnt(0)
	v_mul_f64 v[12:13], v[2:3], v[10:11]
	v_fma_f64 v[12:13], v[0:1], v[4:5], -v[12:13]
	v_mul_f64 v[0:1], v[0:1], v[10:11]
	v_fma_f64 v[0:1], v[2:3], v[4:5], v[0:1]
	buffer_load_dword v2, off, s[0:3], 0 offset:880
	buffer_load_dword v3, off, s[0:3], 0 offset:884
	buffer_load_dword v14, off, s[0:3], 0 offset:888
	buffer_load_dword v15, off, s[0:3], 0 offset:892
	s_waitcnt vmcnt(2)
	v_add_f64 v[2:3], v[2:3], -v[12:13]
	s_waitcnt vmcnt(0)
	v_add_f64 v[0:1], v[14:15], -v[0:1]
	buffer_store_dword v3, off, s[0:3], 0 offset:884
	buffer_store_dword v2, off, s[0:3], 0 offset:880
	buffer_store_dword v1, off, s[0:3], 0 offset:892
	buffer_store_dword v0, off, s[0:3], 0 offset:888
	ds_read2_b64 v[0:3], v40 offset0:112 offset1:113
	s_waitcnt lgkmcnt(0)
	v_mul_f64 v[12:13], v[2:3], v[10:11]
	v_fma_f64 v[12:13], v[0:1], v[4:5], -v[12:13]
	v_mul_f64 v[0:1], v[0:1], v[10:11]
	v_fma_f64 v[0:1], v[2:3], v[4:5], v[0:1]
	buffer_load_dword v2, off, s[0:3], 0 offset:896
	buffer_load_dword v3, off, s[0:3], 0 offset:900
	buffer_load_dword v14, off, s[0:3], 0 offset:904
	buffer_load_dword v15, off, s[0:3], 0 offset:908
	s_waitcnt vmcnt(2)
	v_add_f64 v[2:3], v[2:3], -v[12:13]
	s_waitcnt vmcnt(0)
	v_add_f64 v[0:1], v[14:15], -v[0:1]
	buffer_store_dword v3, off, s[0:3], 0 offset:900
	buffer_store_dword v2, off, s[0:3], 0 offset:896
	buffer_store_dword v1, off, s[0:3], 0 offset:908
	buffer_store_dword v0, off, s[0:3], 0 offset:904
	ds_read2_b64 v[0:3], v40 offset0:114 offset1:115
	s_waitcnt lgkmcnt(0)
	v_mul_f64 v[12:13], v[2:3], v[10:11]
	v_fma_f64 v[12:13], v[0:1], v[4:5], -v[12:13]
	v_mul_f64 v[0:1], v[0:1], v[10:11]
	v_fma_f64 v[0:1], v[2:3], v[4:5], v[0:1]
	buffer_load_dword v2, off, s[0:3], 0 offset:912
	buffer_load_dword v3, off, s[0:3], 0 offset:916
	buffer_load_dword v14, off, s[0:3], 0 offset:920
	buffer_load_dword v15, off, s[0:3], 0 offset:924
	s_waitcnt vmcnt(2)
	v_add_f64 v[2:3], v[2:3], -v[12:13]
	s_waitcnt vmcnt(0)
	v_add_f64 v[0:1], v[14:15], -v[0:1]
	buffer_store_dword v3, off, s[0:3], 0 offset:916
	buffer_store_dword v2, off, s[0:3], 0 offset:912
	buffer_store_dword v1, off, s[0:3], 0 offset:924
	buffer_store_dword v0, off, s[0:3], 0 offset:920
	ds_read2_b64 v[0:3], v40 offset0:116 offset1:117
	s_waitcnt lgkmcnt(0)
	v_mul_f64 v[12:13], v[2:3], v[10:11]
	v_fma_f64 v[12:13], v[0:1], v[4:5], -v[12:13]
	v_mul_f64 v[0:1], v[0:1], v[10:11]
	v_fma_f64 v[0:1], v[2:3], v[4:5], v[0:1]
	buffer_load_dword v2, off, s[0:3], 0 offset:928
	buffer_load_dword v3, off, s[0:3], 0 offset:932
	buffer_load_dword v14, off, s[0:3], 0 offset:936
	buffer_load_dword v15, off, s[0:3], 0 offset:940
	s_waitcnt vmcnt(2)
	v_add_f64 v[2:3], v[2:3], -v[12:13]
	s_waitcnt vmcnt(0)
	v_add_f64 v[0:1], v[14:15], -v[0:1]
	buffer_store_dword v3, off, s[0:3], 0 offset:932
	buffer_store_dword v2, off, s[0:3], 0 offset:928
	buffer_store_dword v1, off, s[0:3], 0 offset:940
	buffer_store_dword v0, off, s[0:3], 0 offset:936
	ds_read2_b64 v[0:3], v40 offset0:118 offset1:119
	s_waitcnt lgkmcnt(0)
	v_mul_f64 v[12:13], v[2:3], v[10:11]
	v_fma_f64 v[12:13], v[0:1], v[4:5], -v[12:13]
	v_mul_f64 v[0:1], v[0:1], v[10:11]
	v_fma_f64 v[0:1], v[2:3], v[4:5], v[0:1]
	buffer_load_dword v2, off, s[0:3], 0 offset:944
	buffer_load_dword v3, off, s[0:3], 0 offset:948
	buffer_load_dword v4, off, s[0:3], 0 offset:952
	buffer_load_dword v5, off, s[0:3], 0 offset:956
	s_waitcnt vmcnt(2)
	v_add_f64 v[2:3], v[2:3], -v[12:13]
	s_waitcnt vmcnt(0)
	v_add_f64 v[0:1], v[4:5], -v[0:1]
	buffer_store_dword v3, off, s[0:3], 0 offset:948
	buffer_store_dword v2, off, s[0:3], 0 offset:944
	;; [unrolled: 1-line block ×4, first 2 shown]
	ds_read2_b64 v[0:3], v40 offset0:120 offset1:121
	buffer_load_dword v4, off, s[0:3], 0 offset:752
	buffer_load_dword v5, off, s[0:3], 0 offset:756
	;; [unrolled: 1-line block ×4, first 2 shown]
	s_waitcnt vmcnt(0) lgkmcnt(0)
	v_mul_f64 v[12:13], v[2:3], v[10:11]
	v_fma_f64 v[12:13], v[0:1], v[4:5], -v[12:13]
	v_mul_f64 v[0:1], v[0:1], v[10:11]
	v_fma_f64 v[0:1], v[2:3], v[4:5], v[0:1]
	buffer_load_dword v3, off, s[0:3], 0 offset:964
	buffer_load_dword v2, off, s[0:3], 0 offset:960
	;; [unrolled: 1-line block ×4, first 2 shown]
	s_waitcnt vmcnt(2)
	v_add_f64 v[2:3], v[2:3], -v[12:13]
	s_waitcnt vmcnt(0)
	v_add_f64 v[0:1], v[4:5], -v[0:1]
	buffer_store_dword v3, off, s[0:3], 0 offset:964
	buffer_store_dword v2, off, s[0:3], 0 offset:960
	;; [unrolled: 1-line block ×4, first 2 shown]
.LBB120_1112:
	s_or_b64 exec, exec, s[4:5]
	v_mov_b32_e32 v3, s37
	s_waitcnt vmcnt(0)
	s_barrier
	buffer_load_dword v0, v3, s[0:3], 0 offen
	buffer_load_dword v1, v3, s[0:3], 0 offen offset:4
	buffer_load_dword v2, v3, s[0:3], 0 offen offset:8
	s_nop 0
	buffer_load_dword v3, v3, s[0:3], 0 offen offset:12
	v_lshl_add_u32 v4, v43, 4, v40
	s_cmp_lt_i32 s64, 50
	s_waitcnt vmcnt(0)
	ds_write2_b64 v4, v[0:1], v[2:3] offset1:1
	s_waitcnt lgkmcnt(0)
	s_barrier
	ds_read2_b64 v[0:3], v40 offset0:96 offset1:97
	v_mov_b32_e32 v4, 48
	s_cbranch_scc1 .LBB120_1115
; %bb.1113:
	v_add_u32_e32 v5, 0x310, v40
	s_mov_b32 s16, 49
	v_mov_b32_e32 v4, 48
.LBB120_1114:                           ; =>This Inner Loop Header: Depth=1
	s_waitcnt lgkmcnt(0)
	v_cmp_gt_f64_e32 vcc, 0, v[2:3]
	v_cmp_gt_f64_e64 s[4:5], 0, v[0:1]
	ds_read2_b64 v[10:13], v5 offset1:1
	v_xor_b32_e32 v15, 0x80000000, v1
	v_xor_b32_e32 v17, 0x80000000, v3
	v_mov_b32_e32 v14, v0
	v_mov_b32_e32 v16, v2
	s_waitcnt lgkmcnt(0)
	v_xor_b32_e32 v19, 0x80000000, v13
	v_cndmask_b32_e32 v17, v3, v17, vcc
	v_cndmask_b32_e64 v15, v1, v15, s[4:5]
	v_cmp_gt_f64_e32 vcc, 0, v[12:13]
	v_cmp_gt_f64_e64 s[4:5], 0, v[10:11]
	v_add_f64 v[14:15], v[14:15], v[16:17]
	v_xor_b32_e32 v17, 0x80000000, v11
	v_mov_b32_e32 v16, v10
	v_mov_b32_e32 v18, v12
	v_add_u32_e32 v5, 16, v5
	v_cndmask_b32_e32 v19, v13, v19, vcc
	v_cndmask_b32_e64 v17, v11, v17, s[4:5]
	v_add_f64 v[16:17], v[16:17], v[18:19]
	v_mov_b32_e32 v18, s16
	s_add_i32 s16, s16, 1
	s_cmp_lg_u32 s64, s16
	v_cmp_lt_f64_e32 vcc, v[14:15], v[16:17]
	v_cndmask_b32_e32 v1, v1, v11, vcc
	v_cndmask_b32_e32 v0, v0, v10, vcc
	;; [unrolled: 1-line block ×5, first 2 shown]
	s_cbranch_scc1 .LBB120_1114
.LBB120_1115:
	s_waitcnt lgkmcnt(0)
	v_cmp_eq_f64_e32 vcc, 0, v[0:1]
	v_cmp_eq_f64_e64 s[4:5], 0, v[2:3]
	s_and_b64 s[4:5], vcc, s[4:5]
	s_and_saveexec_b64 s[16:17], s[4:5]
	s_xor_b64 s[4:5], exec, s[16:17]
; %bb.1116:
	v_cmp_ne_u32_e32 vcc, 0, v41
	v_cndmask_b32_e32 v41, 49, v41, vcc
; %bb.1117:
	s_andn2_saveexec_b64 s[4:5], s[4:5]
	s_cbranch_execz .LBB120_1123
; %bb.1118:
	v_cmp_ngt_f64_e64 s[16:17], |v[0:1]|, |v[2:3]|
	s_and_saveexec_b64 s[18:19], s[16:17]
	s_xor_b64 s[18:19], exec, s[18:19]
	s_cbranch_execz .LBB120_1120
; %bb.1119:
	v_div_scale_f64 v[10:11], s[16:17], v[2:3], v[2:3], v[0:1]
	v_rcp_f64_e32 v[12:13], v[10:11]
	v_fma_f64 v[14:15], -v[10:11], v[12:13], 1.0
	v_fma_f64 v[12:13], v[12:13], v[14:15], v[12:13]
	v_div_scale_f64 v[14:15], vcc, v[0:1], v[2:3], v[0:1]
	v_fma_f64 v[16:17], -v[10:11], v[12:13], 1.0
	v_fma_f64 v[12:13], v[12:13], v[16:17], v[12:13]
	v_mul_f64 v[16:17], v[14:15], v[12:13]
	v_fma_f64 v[10:11], -v[10:11], v[16:17], v[14:15]
	v_div_fmas_f64 v[10:11], v[10:11], v[12:13], v[16:17]
	v_div_fixup_f64 v[10:11], v[10:11], v[2:3], v[0:1]
	v_fma_f64 v[0:1], v[0:1], v[10:11], v[2:3]
	v_div_scale_f64 v[2:3], s[16:17], v[0:1], v[0:1], 1.0
	v_div_scale_f64 v[16:17], vcc, 1.0, v[0:1], 1.0
	v_rcp_f64_e32 v[12:13], v[2:3]
	v_fma_f64 v[14:15], -v[2:3], v[12:13], 1.0
	v_fma_f64 v[12:13], v[12:13], v[14:15], v[12:13]
	v_fma_f64 v[14:15], -v[2:3], v[12:13], 1.0
	v_fma_f64 v[12:13], v[12:13], v[14:15], v[12:13]
	v_mul_f64 v[14:15], v[16:17], v[12:13]
	v_fma_f64 v[2:3], -v[2:3], v[14:15], v[16:17]
	v_div_fmas_f64 v[2:3], v[2:3], v[12:13], v[14:15]
	v_div_fixup_f64 v[2:3], v[2:3], v[0:1], 1.0
	v_mul_f64 v[0:1], v[10:11], v[2:3]
	v_xor_b32_e32 v3, 0x80000000, v3
.LBB120_1120:
	s_andn2_saveexec_b64 s[18:19], s[18:19]
	s_cbranch_execz .LBB120_1122
; %bb.1121:
	v_div_scale_f64 v[10:11], s[16:17], v[0:1], v[0:1], v[2:3]
	v_rcp_f64_e32 v[12:13], v[10:11]
	v_fma_f64 v[14:15], -v[10:11], v[12:13], 1.0
	v_fma_f64 v[12:13], v[12:13], v[14:15], v[12:13]
	v_div_scale_f64 v[14:15], vcc, v[2:3], v[0:1], v[2:3]
	v_fma_f64 v[16:17], -v[10:11], v[12:13], 1.0
	v_fma_f64 v[12:13], v[12:13], v[16:17], v[12:13]
	v_mul_f64 v[16:17], v[14:15], v[12:13]
	v_fma_f64 v[10:11], -v[10:11], v[16:17], v[14:15]
	v_div_fmas_f64 v[10:11], v[10:11], v[12:13], v[16:17]
	v_div_fixup_f64 v[10:11], v[10:11], v[0:1], v[2:3]
	v_fma_f64 v[0:1], v[2:3], v[10:11], v[0:1]
	v_div_scale_f64 v[2:3], s[16:17], v[0:1], v[0:1], 1.0
	v_div_scale_f64 v[16:17], vcc, 1.0, v[0:1], 1.0
	v_rcp_f64_e32 v[12:13], v[2:3]
	v_fma_f64 v[14:15], -v[2:3], v[12:13], 1.0
	v_fma_f64 v[12:13], v[12:13], v[14:15], v[12:13]
	v_fma_f64 v[14:15], -v[2:3], v[12:13], 1.0
	v_fma_f64 v[12:13], v[12:13], v[14:15], v[12:13]
	v_mul_f64 v[14:15], v[16:17], v[12:13]
	v_fma_f64 v[2:3], -v[2:3], v[14:15], v[16:17]
	v_div_fmas_f64 v[2:3], v[2:3], v[12:13], v[14:15]
	v_div_fixup_f64 v[0:1], v[2:3], v[0:1], 1.0
	v_mul_f64 v[2:3], v[10:11], -v[0:1]
.LBB120_1122:
	s_or_b64 exec, exec, s[18:19]
.LBB120_1123:
	s_or_b64 exec, exec, s[4:5]
	v_cmp_ne_u32_e32 vcc, v43, v4
	s_and_saveexec_b64 s[4:5], vcc
	s_xor_b64 s[4:5], exec, s[4:5]
	s_cbranch_execz .LBB120_1129
; %bb.1124:
	v_cmp_eq_u32_e32 vcc, 48, v43
	s_and_saveexec_b64 s[18:19], vcc
	s_cbranch_execz .LBB120_1128
; %bb.1125:
	v_cmp_ne_u32_e32 vcc, 48, v4
	s_xor_b64 s[16:17], s[22:23], -1
	s_and_b64 s[16:17], s[16:17], vcc
	s_and_saveexec_b64 s[24:25], s[16:17]
	s_cbranch_execz .LBB120_1127
; %bb.1126:
	v_ashrrev_i32_e32 v5, 31, v4
	v_lshlrev_b64 v[10:11], 2, v[4:5]
	v_add_co_u32_e32 v10, vcc, v8, v10
	v_addc_co_u32_e32 v11, vcc, v9, v11, vcc
	global_load_dword v5, v[10:11], off
	global_load_dword v12, v[8:9], off offset:192
	s_waitcnt vmcnt(1)
	global_store_dword v[8:9], v5, off offset:192
	s_waitcnt vmcnt(1)
	global_store_dword v[10:11], v12, off
.LBB120_1127:
	s_or_b64 exec, exec, s[24:25]
	v_mov_b32_e32 v43, v4
	v_mov_b32_e32 v42, v4
.LBB120_1128:
	s_or_b64 exec, exec, s[18:19]
.LBB120_1129:
	s_andn2_saveexec_b64 s[4:5], s[4:5]
	s_cbranch_execz .LBB120_1131
; %bb.1130:
	v_mov_b32_e32 v11, s36
	v_mov_b32_e32 v15, s35
	;; [unrolled: 1-line block ×12, first 2 shown]
	buffer_load_dword v4, v11, s[0:3], 0 offen
	buffer_load_dword v5, v11, s[0:3], 0 offen offset:4
	buffer_load_dword v10, v11, s[0:3], 0 offen offset:8
	s_nop 0
	buffer_load_dword v11, v11, s[0:3], 0 offen offset:12
	s_nop 0
	buffer_load_dword v12, v15, s[0:3], 0 offen
	buffer_load_dword v13, v15, s[0:3], 0 offen offset:4
	buffer_load_dword v14, v15, s[0:3], 0 offen offset:8
	s_nop 0
	buffer_load_dword v15, v15, s[0:3], 0 offen offset:12
	s_nop 0
	;; [unrolled: 6-line block ×11, first 2 shown]
	buffer_load_dword v57, v60, s[0:3], 0 offen
	buffer_load_dword v58, v60, s[0:3], 0 offen offset:4
	buffer_load_dword v59, v60, s[0:3], 0 offen offset:8
	s_nop 0
	buffer_load_dword v60, v60, s[0:3], 0 offen offset:12
	s_waitcnt vmcnt(44)
	ds_write2_b64 v40, v[4:5], v[10:11] offset0:98 offset1:99
	s_waitcnt vmcnt(40)
	ds_write2_b64 v40, v[12:13], v[14:15] offset0:100 offset1:101
	;; [unrolled: 2-line block ×12, first 2 shown]
	v_mov_b32_e32 v43, 48
.LBB120_1131:
	s_or_b64 exec, exec, s[4:5]
	v_cmp_lt_i32_e32 vcc, 48, v43
	s_waitcnt vmcnt(0) lgkmcnt(0)
	s_barrier
	s_and_saveexec_b64 s[4:5], vcc
	s_cbranch_execz .LBB120_1133
; %bb.1132:
	buffer_load_dword v4, off, s[0:3], 0 offset:768
	buffer_load_dword v5, off, s[0:3], 0 offset:772
	buffer_load_dword v10, off, s[0:3], 0 offset:776
	buffer_load_dword v11, off, s[0:3], 0 offset:780
	buffer_load_dword v12, off, s[0:3], 0 offset:784
	buffer_load_dword v13, off, s[0:3], 0 offset:788
	buffer_load_dword v14, off, s[0:3], 0 offset:792
	buffer_load_dword v15, off, s[0:3], 0 offset:796
	buffer_load_dword v16, off, s[0:3], 0 offset:800
	buffer_load_dword v17, off, s[0:3], 0 offset:804
	buffer_load_dword v18, off, s[0:3], 0 offset:808
	buffer_load_dword v19, off, s[0:3], 0 offset:812
	buffer_load_dword v20, off, s[0:3], 0 offset:816
	buffer_load_dword v21, off, s[0:3], 0 offset:820
	buffer_load_dword v22, off, s[0:3], 0 offset:824
	buffer_load_dword v23, off, s[0:3], 0 offset:828
	s_waitcnt vmcnt(12)
	v_mul_f64 v[24:25], v[2:3], v[10:11]
	v_fma_f64 v[24:25], v[0:1], v[4:5], -v[24:25]
	v_mul_f64 v[0:1], v[0:1], v[10:11]
	v_fma_f64 v[4:5], v[2:3], v[4:5], v[0:1]
	buffer_store_dword v24, off, s[0:3], 0 offset:768
	buffer_store_dword v25, off, s[0:3], 0 offset:772
	buffer_store_dword v4, off, s[0:3], 0 offset:776
	buffer_store_dword v5, off, s[0:3], 0 offset:780
	ds_read2_b64 v[0:3], v40 offset0:98 offset1:99
	s_waitcnt lgkmcnt(0)
	v_mul_f64 v[10:11], v[2:3], v[4:5]
	v_fma_f64 v[10:11], v[0:1], v[24:25], -v[10:11]
	v_mul_f64 v[0:1], v[0:1], v[4:5]
	v_fma_f64 v[0:1], v[2:3], v[24:25], v[0:1]
	s_waitcnt vmcnt(14)
	v_add_f64 v[2:3], v[12:13], -v[10:11]
	s_waitcnt vmcnt(12)
	v_add_f64 v[0:1], v[14:15], -v[0:1]
	buffer_store_dword v2, off, s[0:3], 0 offset:784
	buffer_store_dword v3, off, s[0:3], 0 offset:788
	buffer_store_dword v0, off, s[0:3], 0 offset:792
	buffer_store_dword v1, off, s[0:3], 0 offset:796
	ds_read2_b64 v[0:3], v40 offset0:100 offset1:101
	s_waitcnt lgkmcnt(0)
	v_mul_f64 v[10:11], v[2:3], v[4:5]
	v_fma_f64 v[10:11], v[0:1], v[24:25], -v[10:11]
	v_mul_f64 v[0:1], v[0:1], v[4:5]
	v_fma_f64 v[0:1], v[2:3], v[24:25], v[0:1]
	s_waitcnt vmcnt(14)
	v_add_f64 v[2:3], v[16:17], -v[10:11]
	s_waitcnt vmcnt(12)
	v_add_f64 v[0:1], v[18:19], -v[0:1]
	;; [unrolled: 14-line block ×3, first 2 shown]
	buffer_store_dword v3, off, s[0:3], 0 offset:820
	buffer_store_dword v2, off, s[0:3], 0 offset:816
	buffer_store_dword v0, off, s[0:3], 0 offset:824
	buffer_store_dword v1, off, s[0:3], 0 offset:828
	ds_read2_b64 v[0:3], v40 offset0:104 offset1:105
	s_waitcnt lgkmcnt(0)
	v_mul_f64 v[10:11], v[2:3], v[4:5]
	v_fma_f64 v[10:11], v[0:1], v[24:25], -v[10:11]
	v_mul_f64 v[0:1], v[0:1], v[4:5]
	v_fma_f64 v[0:1], v[2:3], v[24:25], v[0:1]
	buffer_load_dword v2, off, s[0:3], 0 offset:832
	buffer_load_dword v3, off, s[0:3], 0 offset:836
	buffer_load_dword v12, off, s[0:3], 0 offset:840
	buffer_load_dword v13, off, s[0:3], 0 offset:844
	s_waitcnt vmcnt(2)
	v_add_f64 v[2:3], v[2:3], -v[10:11]
	s_waitcnt vmcnt(0)
	v_add_f64 v[0:1], v[12:13], -v[0:1]
	buffer_store_dword v3, off, s[0:3], 0 offset:836
	buffer_store_dword v2, off, s[0:3], 0 offset:832
	buffer_store_dword v1, off, s[0:3], 0 offset:844
	buffer_store_dword v0, off, s[0:3], 0 offset:840
	ds_read2_b64 v[0:3], v40 offset0:106 offset1:107
	s_waitcnt lgkmcnt(0)
	v_mul_f64 v[10:11], v[2:3], v[4:5]
	v_fma_f64 v[10:11], v[0:1], v[24:25], -v[10:11]
	v_mul_f64 v[0:1], v[0:1], v[4:5]
	v_fma_f64 v[0:1], v[2:3], v[24:25], v[0:1]
	buffer_load_dword v2, off, s[0:3], 0 offset:848
	buffer_load_dword v3, off, s[0:3], 0 offset:852
	buffer_load_dword v12, off, s[0:3], 0 offset:856
	buffer_load_dword v13, off, s[0:3], 0 offset:860
	s_waitcnt vmcnt(2)
	v_add_f64 v[2:3], v[2:3], -v[10:11]
	s_waitcnt vmcnt(0)
	v_add_f64 v[0:1], v[12:13], -v[0:1]
	;; [unrolled: 18-line block ×3, first 2 shown]
	buffer_store_dword v3, off, s[0:3], 0 offset:868
	buffer_store_dword v2, off, s[0:3], 0 offset:864
	;; [unrolled: 1-line block ×4, first 2 shown]
	ds_read2_b64 v[10:13], v40 offset0:110 offset1:111
	buffer_load_dword v0, off, s[0:3], 0 offset:768
	buffer_load_dword v1, off, s[0:3], 0 offset:772
	;; [unrolled: 1-line block ×4, first 2 shown]
	s_waitcnt vmcnt(0) lgkmcnt(0)
	v_mul_f64 v[4:5], v[12:13], v[2:3]
	v_fma_f64 v[4:5], v[10:11], v[0:1], -v[4:5]
	v_mul_f64 v[10:11], v[10:11], v[2:3]
	v_fma_f64 v[10:11], v[12:13], v[0:1], v[10:11]
	buffer_load_dword v13, off, s[0:3], 0 offset:884
	buffer_load_dword v12, off, s[0:3], 0 offset:880
	s_waitcnt vmcnt(0)
	v_add_f64 v[4:5], v[12:13], -v[4:5]
	buffer_load_dword v13, off, s[0:3], 0 offset:892
	buffer_load_dword v12, off, s[0:3], 0 offset:888
	s_waitcnt vmcnt(0)
	v_add_f64 v[10:11], v[12:13], -v[10:11]
	buffer_store_dword v5, off, s[0:3], 0 offset:884
	buffer_store_dword v4, off, s[0:3], 0 offset:880
	buffer_store_dword v11, off, s[0:3], 0 offset:892
	buffer_store_dword v10, off, s[0:3], 0 offset:888
	ds_read2_b64 v[10:13], v40 offset0:112 offset1:113
	s_waitcnt lgkmcnt(0)
	v_mul_f64 v[4:5], v[12:13], v[2:3]
	v_fma_f64 v[4:5], v[10:11], v[0:1], -v[4:5]
	v_mul_f64 v[10:11], v[10:11], v[2:3]
	v_fma_f64 v[10:11], v[12:13], v[0:1], v[10:11]
	buffer_load_dword v12, off, s[0:3], 0 offset:896
	buffer_load_dword v13, off, s[0:3], 0 offset:900
	buffer_load_dword v14, off, s[0:3], 0 offset:904
	buffer_load_dword v15, off, s[0:3], 0 offset:908
	s_waitcnt vmcnt(2)
	v_add_f64 v[4:5], v[12:13], -v[4:5]
	s_waitcnt vmcnt(0)
	v_add_f64 v[10:11], v[14:15], -v[10:11]
	buffer_store_dword v5, off, s[0:3], 0 offset:900
	buffer_store_dword v4, off, s[0:3], 0 offset:896
	buffer_store_dword v11, off, s[0:3], 0 offset:908
	buffer_store_dword v10, off, s[0:3], 0 offset:904
	ds_read2_b64 v[10:13], v40 offset0:114 offset1:115
	s_waitcnt lgkmcnt(0)
	v_mul_f64 v[4:5], v[12:13], v[2:3]
	v_fma_f64 v[4:5], v[10:11], v[0:1], -v[4:5]
	v_mul_f64 v[10:11], v[10:11], v[2:3]
	v_fma_f64 v[10:11], v[12:13], v[0:1], v[10:11]
	buffer_load_dword v12, off, s[0:3], 0 offset:912
	buffer_load_dword v13, off, s[0:3], 0 offset:916
	buffer_load_dword v14, off, s[0:3], 0 offset:920
	buffer_load_dword v15, off, s[0:3], 0 offset:924
	s_waitcnt vmcnt(2)
	v_add_f64 v[4:5], v[12:13], -v[4:5]
	s_waitcnt vmcnt(0)
	v_add_f64 v[10:11], v[14:15], -v[10:11]
	buffer_store_dword v5, off, s[0:3], 0 offset:916
	buffer_store_dword v4, off, s[0:3], 0 offset:912
	buffer_store_dword v11, off, s[0:3], 0 offset:924
	buffer_store_dword v10, off, s[0:3], 0 offset:920
	ds_read2_b64 v[10:13], v40 offset0:116 offset1:117
	s_waitcnt lgkmcnt(0)
	v_mul_f64 v[4:5], v[12:13], v[2:3]
	v_fma_f64 v[4:5], v[10:11], v[0:1], -v[4:5]
	v_mul_f64 v[10:11], v[10:11], v[2:3]
	v_fma_f64 v[10:11], v[12:13], v[0:1], v[10:11]
	buffer_load_dword v12, off, s[0:3], 0 offset:928
	buffer_load_dword v13, off, s[0:3], 0 offset:932
	buffer_load_dword v14, off, s[0:3], 0 offset:936
	buffer_load_dword v15, off, s[0:3], 0 offset:940
	s_waitcnt vmcnt(2)
	v_add_f64 v[4:5], v[12:13], -v[4:5]
	s_waitcnt vmcnt(0)
	v_add_f64 v[10:11], v[14:15], -v[10:11]
	buffer_store_dword v5, off, s[0:3], 0 offset:932
	buffer_store_dword v4, off, s[0:3], 0 offset:928
	buffer_store_dword v11, off, s[0:3], 0 offset:940
	buffer_store_dword v10, off, s[0:3], 0 offset:936
	ds_read2_b64 v[10:13], v40 offset0:118 offset1:119
	s_waitcnt lgkmcnt(0)
	v_mul_f64 v[4:5], v[12:13], v[2:3]
	v_fma_f64 v[4:5], v[10:11], v[0:1], -v[4:5]
	v_mul_f64 v[10:11], v[10:11], v[2:3]
	v_fma_f64 v[10:11], v[12:13], v[0:1], v[10:11]
	buffer_load_dword v12, off, s[0:3], 0 offset:944
	buffer_load_dword v13, off, s[0:3], 0 offset:948
	buffer_load_dword v14, off, s[0:3], 0 offset:952
	buffer_load_dword v15, off, s[0:3], 0 offset:956
	s_waitcnt vmcnt(2)
	v_add_f64 v[4:5], v[12:13], -v[4:5]
	s_waitcnt vmcnt(0)
	v_add_f64 v[10:11], v[14:15], -v[10:11]
	buffer_store_dword v5, off, s[0:3], 0 offset:948
	buffer_store_dword v4, off, s[0:3], 0 offset:944
	;; [unrolled: 1-line block ×4, first 2 shown]
	ds_read2_b64 v[10:13], v40 offset0:120 offset1:121
	s_waitcnt lgkmcnt(0)
	v_mul_f64 v[4:5], v[12:13], v[2:3]
	v_mul_f64 v[2:3], v[10:11], v[2:3]
	v_fma_f64 v[4:5], v[10:11], v[0:1], -v[4:5]
	v_fma_f64 v[0:1], v[12:13], v[0:1], v[2:3]
	buffer_load_dword v2, off, s[0:3], 0 offset:960
	buffer_load_dword v3, off, s[0:3], 0 offset:964
	;; [unrolled: 1-line block ×4, first 2 shown]
	s_waitcnt vmcnt(2)
	v_add_f64 v[2:3], v[2:3], -v[4:5]
	s_waitcnt vmcnt(0)
	v_add_f64 v[0:1], v[10:11], -v[0:1]
	buffer_store_dword v3, off, s[0:3], 0 offset:964
	buffer_store_dword v2, off, s[0:3], 0 offset:960
	;; [unrolled: 1-line block ×4, first 2 shown]
.LBB120_1133:
	s_or_b64 exec, exec, s[4:5]
	v_mov_b32_e32 v3, s36
	s_waitcnt vmcnt(0)
	s_barrier
	buffer_load_dword v0, v3, s[0:3], 0 offen
	buffer_load_dword v1, v3, s[0:3], 0 offen offset:4
	buffer_load_dword v2, v3, s[0:3], 0 offen offset:8
	s_nop 0
	buffer_load_dword v3, v3, s[0:3], 0 offen offset:12
	v_lshl_add_u32 v4, v43, 4, v40
	s_cmp_lt_i32 s64, 51
	s_waitcnt vmcnt(0)
	ds_write2_b64 v4, v[0:1], v[2:3] offset1:1
	s_waitcnt lgkmcnt(0)
	s_barrier
	ds_read2_b64 v[0:3], v40 offset0:98 offset1:99
	v_mov_b32_e32 v4, 49
	s_cbranch_scc1 .LBB120_1136
; %bb.1134:
	v_add_u32_e32 v5, 0x320, v40
	s_mov_b32 s16, 50
	v_mov_b32_e32 v4, 49
.LBB120_1135:                           ; =>This Inner Loop Header: Depth=1
	s_waitcnt lgkmcnt(0)
	v_cmp_gt_f64_e32 vcc, 0, v[2:3]
	v_cmp_gt_f64_e64 s[4:5], 0, v[0:1]
	ds_read2_b64 v[10:13], v5 offset1:1
	v_xor_b32_e32 v15, 0x80000000, v1
	v_xor_b32_e32 v17, 0x80000000, v3
	v_mov_b32_e32 v14, v0
	v_mov_b32_e32 v16, v2
	s_waitcnt lgkmcnt(0)
	v_xor_b32_e32 v19, 0x80000000, v13
	v_cndmask_b32_e32 v17, v3, v17, vcc
	v_cndmask_b32_e64 v15, v1, v15, s[4:5]
	v_cmp_gt_f64_e32 vcc, 0, v[12:13]
	v_cmp_gt_f64_e64 s[4:5], 0, v[10:11]
	v_add_f64 v[14:15], v[14:15], v[16:17]
	v_xor_b32_e32 v17, 0x80000000, v11
	v_mov_b32_e32 v16, v10
	v_mov_b32_e32 v18, v12
	v_add_u32_e32 v5, 16, v5
	v_cndmask_b32_e32 v19, v13, v19, vcc
	v_cndmask_b32_e64 v17, v11, v17, s[4:5]
	v_add_f64 v[16:17], v[16:17], v[18:19]
	v_mov_b32_e32 v18, s16
	s_add_i32 s16, s16, 1
	s_cmp_lg_u32 s64, s16
	v_cmp_lt_f64_e32 vcc, v[14:15], v[16:17]
	v_cndmask_b32_e32 v1, v1, v11, vcc
	v_cndmask_b32_e32 v0, v0, v10, vcc
	;; [unrolled: 1-line block ×5, first 2 shown]
	s_cbranch_scc1 .LBB120_1135
.LBB120_1136:
	s_waitcnt lgkmcnt(0)
	v_cmp_eq_f64_e32 vcc, 0, v[0:1]
	v_cmp_eq_f64_e64 s[4:5], 0, v[2:3]
	s_and_b64 s[4:5], vcc, s[4:5]
	s_and_saveexec_b64 s[16:17], s[4:5]
	s_xor_b64 s[4:5], exec, s[16:17]
; %bb.1137:
	v_cmp_ne_u32_e32 vcc, 0, v41
	v_cndmask_b32_e32 v41, 50, v41, vcc
; %bb.1138:
	s_andn2_saveexec_b64 s[4:5], s[4:5]
	s_cbranch_execz .LBB120_1144
; %bb.1139:
	v_cmp_ngt_f64_e64 s[16:17], |v[0:1]|, |v[2:3]|
	s_and_saveexec_b64 s[18:19], s[16:17]
	s_xor_b64 s[18:19], exec, s[18:19]
	s_cbranch_execz .LBB120_1141
; %bb.1140:
	v_div_scale_f64 v[10:11], s[16:17], v[2:3], v[2:3], v[0:1]
	v_rcp_f64_e32 v[12:13], v[10:11]
	v_fma_f64 v[14:15], -v[10:11], v[12:13], 1.0
	v_fma_f64 v[12:13], v[12:13], v[14:15], v[12:13]
	v_div_scale_f64 v[14:15], vcc, v[0:1], v[2:3], v[0:1]
	v_fma_f64 v[16:17], -v[10:11], v[12:13], 1.0
	v_fma_f64 v[12:13], v[12:13], v[16:17], v[12:13]
	v_mul_f64 v[16:17], v[14:15], v[12:13]
	v_fma_f64 v[10:11], -v[10:11], v[16:17], v[14:15]
	v_div_fmas_f64 v[10:11], v[10:11], v[12:13], v[16:17]
	v_div_fixup_f64 v[10:11], v[10:11], v[2:3], v[0:1]
	v_fma_f64 v[0:1], v[0:1], v[10:11], v[2:3]
	v_div_scale_f64 v[2:3], s[16:17], v[0:1], v[0:1], 1.0
	v_div_scale_f64 v[16:17], vcc, 1.0, v[0:1], 1.0
	v_rcp_f64_e32 v[12:13], v[2:3]
	v_fma_f64 v[14:15], -v[2:3], v[12:13], 1.0
	v_fma_f64 v[12:13], v[12:13], v[14:15], v[12:13]
	v_fma_f64 v[14:15], -v[2:3], v[12:13], 1.0
	v_fma_f64 v[12:13], v[12:13], v[14:15], v[12:13]
	v_mul_f64 v[14:15], v[16:17], v[12:13]
	v_fma_f64 v[2:3], -v[2:3], v[14:15], v[16:17]
	v_div_fmas_f64 v[2:3], v[2:3], v[12:13], v[14:15]
	v_div_fixup_f64 v[2:3], v[2:3], v[0:1], 1.0
	v_mul_f64 v[0:1], v[10:11], v[2:3]
	v_xor_b32_e32 v3, 0x80000000, v3
.LBB120_1141:
	s_andn2_saveexec_b64 s[18:19], s[18:19]
	s_cbranch_execz .LBB120_1143
; %bb.1142:
	v_div_scale_f64 v[10:11], s[16:17], v[0:1], v[0:1], v[2:3]
	v_rcp_f64_e32 v[12:13], v[10:11]
	v_fma_f64 v[14:15], -v[10:11], v[12:13], 1.0
	v_fma_f64 v[12:13], v[12:13], v[14:15], v[12:13]
	v_div_scale_f64 v[14:15], vcc, v[2:3], v[0:1], v[2:3]
	v_fma_f64 v[16:17], -v[10:11], v[12:13], 1.0
	v_fma_f64 v[12:13], v[12:13], v[16:17], v[12:13]
	v_mul_f64 v[16:17], v[14:15], v[12:13]
	v_fma_f64 v[10:11], -v[10:11], v[16:17], v[14:15]
	v_div_fmas_f64 v[10:11], v[10:11], v[12:13], v[16:17]
	v_div_fixup_f64 v[10:11], v[10:11], v[0:1], v[2:3]
	v_fma_f64 v[0:1], v[2:3], v[10:11], v[0:1]
	v_div_scale_f64 v[2:3], s[16:17], v[0:1], v[0:1], 1.0
	v_div_scale_f64 v[16:17], vcc, 1.0, v[0:1], 1.0
	v_rcp_f64_e32 v[12:13], v[2:3]
	v_fma_f64 v[14:15], -v[2:3], v[12:13], 1.0
	v_fma_f64 v[12:13], v[12:13], v[14:15], v[12:13]
	v_fma_f64 v[14:15], -v[2:3], v[12:13], 1.0
	v_fma_f64 v[12:13], v[12:13], v[14:15], v[12:13]
	v_mul_f64 v[14:15], v[16:17], v[12:13]
	v_fma_f64 v[2:3], -v[2:3], v[14:15], v[16:17]
	v_div_fmas_f64 v[2:3], v[2:3], v[12:13], v[14:15]
	v_div_fixup_f64 v[0:1], v[2:3], v[0:1], 1.0
	v_mul_f64 v[2:3], v[10:11], -v[0:1]
.LBB120_1143:
	s_or_b64 exec, exec, s[18:19]
.LBB120_1144:
	s_or_b64 exec, exec, s[4:5]
	v_cmp_ne_u32_e32 vcc, v43, v4
	s_and_saveexec_b64 s[4:5], vcc
	s_xor_b64 s[4:5], exec, s[4:5]
	s_cbranch_execz .LBB120_1150
; %bb.1145:
	v_cmp_eq_u32_e32 vcc, 49, v43
	s_and_saveexec_b64 s[18:19], vcc
	s_cbranch_execz .LBB120_1149
; %bb.1146:
	v_cmp_ne_u32_e32 vcc, 49, v4
	s_xor_b64 s[16:17], s[22:23], -1
	s_and_b64 s[16:17], s[16:17], vcc
	s_and_saveexec_b64 s[24:25], s[16:17]
	s_cbranch_execz .LBB120_1148
; %bb.1147:
	v_ashrrev_i32_e32 v5, 31, v4
	v_lshlrev_b64 v[10:11], 2, v[4:5]
	v_add_co_u32_e32 v10, vcc, v8, v10
	v_addc_co_u32_e32 v11, vcc, v9, v11, vcc
	global_load_dword v5, v[10:11], off
	global_load_dword v12, v[8:9], off offset:196
	s_waitcnt vmcnt(1)
	global_store_dword v[8:9], v5, off offset:196
	s_waitcnt vmcnt(1)
	global_store_dword v[10:11], v12, off
.LBB120_1148:
	s_or_b64 exec, exec, s[24:25]
	v_mov_b32_e32 v43, v4
	v_mov_b32_e32 v42, v4
.LBB120_1149:
	s_or_b64 exec, exec, s[18:19]
.LBB120_1150:
	s_andn2_saveexec_b64 s[4:5], s[4:5]
	s_cbranch_execz .LBB120_1152
; %bb.1151:
	v_mov_b32_e32 v11, s35
	v_mov_b32_e32 v15, s34
	;; [unrolled: 1-line block ×11, first 2 shown]
	buffer_load_dword v4, v11, s[0:3], 0 offen
	buffer_load_dword v5, v11, s[0:3], 0 offen offset:4
	buffer_load_dword v10, v11, s[0:3], 0 offen offset:8
	s_nop 0
	buffer_load_dword v11, v11, s[0:3], 0 offen offset:12
	s_nop 0
	buffer_load_dword v12, v15, s[0:3], 0 offen
	buffer_load_dword v13, v15, s[0:3], 0 offen offset:4
	buffer_load_dword v14, v15, s[0:3], 0 offen offset:8
	s_nop 0
	buffer_load_dword v15, v15, s[0:3], 0 offen offset:12
	s_nop 0
	;; [unrolled: 6-line block ×10, first 2 shown]
	buffer_load_dword v53, v56, s[0:3], 0 offen
	buffer_load_dword v54, v56, s[0:3], 0 offen offset:4
	buffer_load_dword v55, v56, s[0:3], 0 offen offset:8
	s_nop 0
	buffer_load_dword v56, v56, s[0:3], 0 offen offset:12
	s_waitcnt vmcnt(40)
	ds_write2_b64 v40, v[4:5], v[10:11] offset0:100 offset1:101
	s_waitcnt vmcnt(36)
	ds_write2_b64 v40, v[12:13], v[14:15] offset0:102 offset1:103
	;; [unrolled: 2-line block ×11, first 2 shown]
	v_mov_b32_e32 v43, 49
.LBB120_1152:
	s_or_b64 exec, exec, s[4:5]
	v_cmp_lt_i32_e32 vcc, 49, v43
	s_waitcnt vmcnt(0) lgkmcnt(0)
	s_barrier
	s_and_saveexec_b64 s[4:5], vcc
	s_cbranch_execz .LBB120_1154
; %bb.1153:
	buffer_load_dword v4, off, s[0:3], 0 offset:784
	buffer_load_dword v5, off, s[0:3], 0 offset:788
	;; [unrolled: 1-line block ×16, first 2 shown]
	s_waitcnt vmcnt(12)
	v_mul_f64 v[24:25], v[2:3], v[10:11]
	v_fma_f64 v[24:25], v[0:1], v[4:5], -v[24:25]
	v_mul_f64 v[0:1], v[0:1], v[10:11]
	v_fma_f64 v[4:5], v[2:3], v[4:5], v[0:1]
	buffer_store_dword v24, off, s[0:3], 0 offset:784
	buffer_store_dword v25, off, s[0:3], 0 offset:788
	buffer_store_dword v4, off, s[0:3], 0 offset:792
	buffer_store_dword v5, off, s[0:3], 0 offset:796
	ds_read2_b64 v[0:3], v40 offset0:100 offset1:101
	s_waitcnt lgkmcnt(0)
	v_mul_f64 v[10:11], v[2:3], v[4:5]
	v_fma_f64 v[10:11], v[0:1], v[24:25], -v[10:11]
	v_mul_f64 v[0:1], v[0:1], v[4:5]
	v_fma_f64 v[0:1], v[2:3], v[24:25], v[0:1]
	s_waitcnt vmcnt(14)
	v_add_f64 v[2:3], v[12:13], -v[10:11]
	s_waitcnt vmcnt(12)
	v_add_f64 v[0:1], v[14:15], -v[0:1]
	buffer_store_dword v2, off, s[0:3], 0 offset:800
	buffer_store_dword v3, off, s[0:3], 0 offset:804
	buffer_store_dword v0, off, s[0:3], 0 offset:808
	buffer_store_dword v1, off, s[0:3], 0 offset:812
	ds_read2_b64 v[0:3], v40 offset0:102 offset1:103
	s_waitcnt lgkmcnt(0)
	v_mul_f64 v[10:11], v[2:3], v[4:5]
	v_fma_f64 v[10:11], v[0:1], v[24:25], -v[10:11]
	v_mul_f64 v[0:1], v[0:1], v[4:5]
	v_fma_f64 v[0:1], v[2:3], v[24:25], v[0:1]
	s_waitcnt vmcnt(14)
	v_add_f64 v[2:3], v[16:17], -v[10:11]
	s_waitcnt vmcnt(12)
	v_add_f64 v[0:1], v[18:19], -v[0:1]
	;; [unrolled: 14-line block ×3, first 2 shown]
	buffer_store_dword v3, off, s[0:3], 0 offset:836
	buffer_store_dword v2, off, s[0:3], 0 offset:832
	buffer_store_dword v0, off, s[0:3], 0 offset:840
	buffer_store_dword v1, off, s[0:3], 0 offset:844
	ds_read2_b64 v[0:3], v40 offset0:106 offset1:107
	s_waitcnt lgkmcnt(0)
	v_mul_f64 v[10:11], v[2:3], v[4:5]
	v_fma_f64 v[10:11], v[0:1], v[24:25], -v[10:11]
	v_mul_f64 v[0:1], v[0:1], v[4:5]
	v_fma_f64 v[0:1], v[2:3], v[24:25], v[0:1]
	buffer_load_dword v2, off, s[0:3], 0 offset:848
	buffer_load_dword v3, off, s[0:3], 0 offset:852
	buffer_load_dword v12, off, s[0:3], 0 offset:856
	buffer_load_dword v13, off, s[0:3], 0 offset:860
	s_waitcnt vmcnt(2)
	v_add_f64 v[2:3], v[2:3], -v[10:11]
	s_waitcnt vmcnt(0)
	v_add_f64 v[0:1], v[12:13], -v[0:1]
	buffer_store_dword v3, off, s[0:3], 0 offset:852
	buffer_store_dword v2, off, s[0:3], 0 offset:848
	buffer_store_dword v1, off, s[0:3], 0 offset:860
	buffer_store_dword v0, off, s[0:3], 0 offset:856
	ds_read2_b64 v[0:3], v40 offset0:108 offset1:109
	s_waitcnt lgkmcnt(0)
	v_mul_f64 v[10:11], v[2:3], v[4:5]
	v_fma_f64 v[10:11], v[0:1], v[24:25], -v[10:11]
	v_mul_f64 v[0:1], v[0:1], v[4:5]
	v_fma_f64 v[0:1], v[2:3], v[24:25], v[0:1]
	buffer_load_dword v2, off, s[0:3], 0 offset:864
	buffer_load_dword v3, off, s[0:3], 0 offset:868
	buffer_load_dword v12, off, s[0:3], 0 offset:872
	buffer_load_dword v13, off, s[0:3], 0 offset:876
	s_waitcnt vmcnt(2)
	v_add_f64 v[2:3], v[2:3], -v[10:11]
	s_waitcnt vmcnt(0)
	v_add_f64 v[0:1], v[12:13], -v[0:1]
	;; [unrolled: 18-line block ×3, first 2 shown]
	buffer_store_dword v3, off, s[0:3], 0 offset:884
	buffer_store_dword v2, off, s[0:3], 0 offset:880
	;; [unrolled: 1-line block ×4, first 2 shown]
	ds_read2_b64 v[0:3], v40 offset0:112 offset1:113
	buffer_load_dword v4, off, s[0:3], 0 offset:784
	buffer_load_dword v5, off, s[0:3], 0 offset:788
	;; [unrolled: 1-line block ×4, first 2 shown]
	s_waitcnt vmcnt(0) lgkmcnt(0)
	v_mul_f64 v[12:13], v[2:3], v[10:11]
	v_fma_f64 v[12:13], v[0:1], v[4:5], -v[12:13]
	v_mul_f64 v[0:1], v[0:1], v[10:11]
	v_fma_f64 v[0:1], v[2:3], v[4:5], v[0:1]
	buffer_load_dword v3, off, s[0:3], 0 offset:900
	buffer_load_dword v2, off, s[0:3], 0 offset:896
	s_waitcnt vmcnt(0)
	v_add_f64 v[2:3], v[2:3], -v[12:13]
	buffer_load_dword v13, off, s[0:3], 0 offset:908
	buffer_load_dword v12, off, s[0:3], 0 offset:904
	s_waitcnt vmcnt(0)
	v_add_f64 v[0:1], v[12:13], -v[0:1]
	buffer_store_dword v3, off, s[0:3], 0 offset:900
	buffer_store_dword v2, off, s[0:3], 0 offset:896
	buffer_store_dword v1, off, s[0:3], 0 offset:908
	buffer_store_dword v0, off, s[0:3], 0 offset:904
	ds_read2_b64 v[0:3], v40 offset0:114 offset1:115
	s_waitcnt lgkmcnt(0)
	v_mul_f64 v[12:13], v[2:3], v[10:11]
	v_fma_f64 v[12:13], v[0:1], v[4:5], -v[12:13]
	v_mul_f64 v[0:1], v[0:1], v[10:11]
	v_fma_f64 v[0:1], v[2:3], v[4:5], v[0:1]
	buffer_load_dword v2, off, s[0:3], 0 offset:912
	buffer_load_dword v3, off, s[0:3], 0 offset:916
	buffer_load_dword v14, off, s[0:3], 0 offset:920
	buffer_load_dword v15, off, s[0:3], 0 offset:924
	s_waitcnt vmcnt(2)
	v_add_f64 v[2:3], v[2:3], -v[12:13]
	s_waitcnt vmcnt(0)
	v_add_f64 v[0:1], v[14:15], -v[0:1]
	buffer_store_dword v3, off, s[0:3], 0 offset:916
	buffer_store_dword v2, off, s[0:3], 0 offset:912
	buffer_store_dword v1, off, s[0:3], 0 offset:924
	buffer_store_dword v0, off, s[0:3], 0 offset:920
	ds_read2_b64 v[0:3], v40 offset0:116 offset1:117
	s_waitcnt lgkmcnt(0)
	v_mul_f64 v[12:13], v[2:3], v[10:11]
	v_fma_f64 v[12:13], v[0:1], v[4:5], -v[12:13]
	v_mul_f64 v[0:1], v[0:1], v[10:11]
	v_fma_f64 v[0:1], v[2:3], v[4:5], v[0:1]
	buffer_load_dword v2, off, s[0:3], 0 offset:928
	buffer_load_dword v3, off, s[0:3], 0 offset:932
	buffer_load_dword v14, off, s[0:3], 0 offset:936
	buffer_load_dword v15, off, s[0:3], 0 offset:940
	s_waitcnt vmcnt(2)
	v_add_f64 v[2:3], v[2:3], -v[12:13]
	;; [unrolled: 18-line block ×4, first 2 shown]
	s_waitcnt vmcnt(0)
	v_add_f64 v[0:1], v[4:5], -v[0:1]
	buffer_store_dword v3, off, s[0:3], 0 offset:964
	buffer_store_dword v2, off, s[0:3], 0 offset:960
	;; [unrolled: 1-line block ×4, first 2 shown]
.LBB120_1154:
	s_or_b64 exec, exec, s[4:5]
	v_mov_b32_e32 v3, s35
	s_waitcnt vmcnt(0)
	s_barrier
	buffer_load_dword v0, v3, s[0:3], 0 offen
	buffer_load_dword v1, v3, s[0:3], 0 offen offset:4
	buffer_load_dword v2, v3, s[0:3], 0 offen offset:8
	s_nop 0
	buffer_load_dword v3, v3, s[0:3], 0 offen offset:12
	v_lshl_add_u32 v4, v43, 4, v40
	s_cmp_lt_i32 s64, 52
	s_waitcnt vmcnt(0)
	ds_write2_b64 v4, v[0:1], v[2:3] offset1:1
	s_waitcnt lgkmcnt(0)
	s_barrier
	ds_read2_b64 v[0:3], v40 offset0:100 offset1:101
	v_mov_b32_e32 v4, 50
	s_cbranch_scc1 .LBB120_1157
; %bb.1155:
	v_add_u32_e32 v5, 0x330, v40
	s_mov_b32 s16, 51
	v_mov_b32_e32 v4, 50
.LBB120_1156:                           ; =>This Inner Loop Header: Depth=1
	s_waitcnt lgkmcnt(0)
	v_cmp_gt_f64_e32 vcc, 0, v[2:3]
	v_cmp_gt_f64_e64 s[4:5], 0, v[0:1]
	ds_read2_b64 v[10:13], v5 offset1:1
	v_xor_b32_e32 v15, 0x80000000, v1
	v_xor_b32_e32 v17, 0x80000000, v3
	v_mov_b32_e32 v14, v0
	v_mov_b32_e32 v16, v2
	s_waitcnt lgkmcnt(0)
	v_xor_b32_e32 v19, 0x80000000, v13
	v_cndmask_b32_e32 v17, v3, v17, vcc
	v_cndmask_b32_e64 v15, v1, v15, s[4:5]
	v_cmp_gt_f64_e32 vcc, 0, v[12:13]
	v_cmp_gt_f64_e64 s[4:5], 0, v[10:11]
	v_add_f64 v[14:15], v[14:15], v[16:17]
	v_xor_b32_e32 v17, 0x80000000, v11
	v_mov_b32_e32 v16, v10
	v_mov_b32_e32 v18, v12
	v_add_u32_e32 v5, 16, v5
	v_cndmask_b32_e32 v19, v13, v19, vcc
	v_cndmask_b32_e64 v17, v11, v17, s[4:5]
	v_add_f64 v[16:17], v[16:17], v[18:19]
	v_mov_b32_e32 v18, s16
	s_add_i32 s16, s16, 1
	s_cmp_lg_u32 s64, s16
	v_cmp_lt_f64_e32 vcc, v[14:15], v[16:17]
	v_cndmask_b32_e32 v1, v1, v11, vcc
	v_cndmask_b32_e32 v0, v0, v10, vcc
	v_cndmask_b32_e32 v3, v3, v13, vcc
	v_cndmask_b32_e32 v2, v2, v12, vcc
	v_cndmask_b32_e32 v4, v4, v18, vcc
	s_cbranch_scc1 .LBB120_1156
.LBB120_1157:
	s_waitcnt lgkmcnt(0)
	v_cmp_eq_f64_e32 vcc, 0, v[0:1]
	v_cmp_eq_f64_e64 s[4:5], 0, v[2:3]
	s_and_b64 s[4:5], vcc, s[4:5]
	s_and_saveexec_b64 s[16:17], s[4:5]
	s_xor_b64 s[4:5], exec, s[16:17]
; %bb.1158:
	v_cmp_ne_u32_e32 vcc, 0, v41
	v_cndmask_b32_e32 v41, 51, v41, vcc
; %bb.1159:
	s_andn2_saveexec_b64 s[4:5], s[4:5]
	s_cbranch_execz .LBB120_1165
; %bb.1160:
	v_cmp_ngt_f64_e64 s[16:17], |v[0:1]|, |v[2:3]|
	s_and_saveexec_b64 s[18:19], s[16:17]
	s_xor_b64 s[18:19], exec, s[18:19]
	s_cbranch_execz .LBB120_1162
; %bb.1161:
	v_div_scale_f64 v[10:11], s[16:17], v[2:3], v[2:3], v[0:1]
	v_rcp_f64_e32 v[12:13], v[10:11]
	v_fma_f64 v[14:15], -v[10:11], v[12:13], 1.0
	v_fma_f64 v[12:13], v[12:13], v[14:15], v[12:13]
	v_div_scale_f64 v[14:15], vcc, v[0:1], v[2:3], v[0:1]
	v_fma_f64 v[16:17], -v[10:11], v[12:13], 1.0
	v_fma_f64 v[12:13], v[12:13], v[16:17], v[12:13]
	v_mul_f64 v[16:17], v[14:15], v[12:13]
	v_fma_f64 v[10:11], -v[10:11], v[16:17], v[14:15]
	v_div_fmas_f64 v[10:11], v[10:11], v[12:13], v[16:17]
	v_div_fixup_f64 v[10:11], v[10:11], v[2:3], v[0:1]
	v_fma_f64 v[0:1], v[0:1], v[10:11], v[2:3]
	v_div_scale_f64 v[2:3], s[16:17], v[0:1], v[0:1], 1.0
	v_div_scale_f64 v[16:17], vcc, 1.0, v[0:1], 1.0
	v_rcp_f64_e32 v[12:13], v[2:3]
	v_fma_f64 v[14:15], -v[2:3], v[12:13], 1.0
	v_fma_f64 v[12:13], v[12:13], v[14:15], v[12:13]
	v_fma_f64 v[14:15], -v[2:3], v[12:13], 1.0
	v_fma_f64 v[12:13], v[12:13], v[14:15], v[12:13]
	v_mul_f64 v[14:15], v[16:17], v[12:13]
	v_fma_f64 v[2:3], -v[2:3], v[14:15], v[16:17]
	v_div_fmas_f64 v[2:3], v[2:3], v[12:13], v[14:15]
	v_div_fixup_f64 v[2:3], v[2:3], v[0:1], 1.0
	v_mul_f64 v[0:1], v[10:11], v[2:3]
	v_xor_b32_e32 v3, 0x80000000, v3
.LBB120_1162:
	s_andn2_saveexec_b64 s[18:19], s[18:19]
	s_cbranch_execz .LBB120_1164
; %bb.1163:
	v_div_scale_f64 v[10:11], s[16:17], v[0:1], v[0:1], v[2:3]
	v_rcp_f64_e32 v[12:13], v[10:11]
	v_fma_f64 v[14:15], -v[10:11], v[12:13], 1.0
	v_fma_f64 v[12:13], v[12:13], v[14:15], v[12:13]
	v_div_scale_f64 v[14:15], vcc, v[2:3], v[0:1], v[2:3]
	v_fma_f64 v[16:17], -v[10:11], v[12:13], 1.0
	v_fma_f64 v[12:13], v[12:13], v[16:17], v[12:13]
	v_mul_f64 v[16:17], v[14:15], v[12:13]
	v_fma_f64 v[10:11], -v[10:11], v[16:17], v[14:15]
	v_div_fmas_f64 v[10:11], v[10:11], v[12:13], v[16:17]
	v_div_fixup_f64 v[10:11], v[10:11], v[0:1], v[2:3]
	v_fma_f64 v[0:1], v[2:3], v[10:11], v[0:1]
	v_div_scale_f64 v[2:3], s[16:17], v[0:1], v[0:1], 1.0
	v_div_scale_f64 v[16:17], vcc, 1.0, v[0:1], 1.0
	v_rcp_f64_e32 v[12:13], v[2:3]
	v_fma_f64 v[14:15], -v[2:3], v[12:13], 1.0
	v_fma_f64 v[12:13], v[12:13], v[14:15], v[12:13]
	v_fma_f64 v[14:15], -v[2:3], v[12:13], 1.0
	v_fma_f64 v[12:13], v[12:13], v[14:15], v[12:13]
	v_mul_f64 v[14:15], v[16:17], v[12:13]
	v_fma_f64 v[2:3], -v[2:3], v[14:15], v[16:17]
	v_div_fmas_f64 v[2:3], v[2:3], v[12:13], v[14:15]
	v_div_fixup_f64 v[0:1], v[2:3], v[0:1], 1.0
	v_mul_f64 v[2:3], v[10:11], -v[0:1]
.LBB120_1164:
	s_or_b64 exec, exec, s[18:19]
.LBB120_1165:
	s_or_b64 exec, exec, s[4:5]
	v_cmp_ne_u32_e32 vcc, v43, v4
	s_and_saveexec_b64 s[4:5], vcc
	s_xor_b64 s[4:5], exec, s[4:5]
	s_cbranch_execz .LBB120_1171
; %bb.1166:
	v_cmp_eq_u32_e32 vcc, 50, v43
	s_and_saveexec_b64 s[18:19], vcc
	s_cbranch_execz .LBB120_1170
; %bb.1167:
	v_cmp_ne_u32_e32 vcc, 50, v4
	s_xor_b64 s[16:17], s[22:23], -1
	s_and_b64 s[16:17], s[16:17], vcc
	s_and_saveexec_b64 s[24:25], s[16:17]
	s_cbranch_execz .LBB120_1169
; %bb.1168:
	v_ashrrev_i32_e32 v5, 31, v4
	v_lshlrev_b64 v[10:11], 2, v[4:5]
	v_add_co_u32_e32 v10, vcc, v8, v10
	v_addc_co_u32_e32 v11, vcc, v9, v11, vcc
	global_load_dword v5, v[10:11], off
	global_load_dword v12, v[8:9], off offset:200
	s_waitcnt vmcnt(1)
	global_store_dword v[8:9], v5, off offset:200
	s_waitcnt vmcnt(1)
	global_store_dword v[10:11], v12, off
.LBB120_1169:
	s_or_b64 exec, exec, s[24:25]
	v_mov_b32_e32 v43, v4
	v_mov_b32_e32 v42, v4
.LBB120_1170:
	s_or_b64 exec, exec, s[18:19]
.LBB120_1171:
	s_andn2_saveexec_b64 s[4:5], s[4:5]
	s_cbranch_execz .LBB120_1173
; %bb.1172:
	v_mov_b32_e32 v11, s34
	v_mov_b32_e32 v15, s33
	;; [unrolled: 1-line block ×10, first 2 shown]
	buffer_load_dword v4, v11, s[0:3], 0 offen
	buffer_load_dword v5, v11, s[0:3], 0 offen offset:4
	buffer_load_dword v10, v11, s[0:3], 0 offen offset:8
	s_nop 0
	buffer_load_dword v11, v11, s[0:3], 0 offen offset:12
	s_nop 0
	buffer_load_dword v12, v15, s[0:3], 0 offen
	buffer_load_dword v13, v15, s[0:3], 0 offen offset:4
	buffer_load_dword v14, v15, s[0:3], 0 offen offset:8
	s_nop 0
	buffer_load_dword v15, v15, s[0:3], 0 offen offset:12
	s_nop 0
	;; [unrolled: 6-line block ×9, first 2 shown]
	buffer_load_dword v49, v52, s[0:3], 0 offen
	buffer_load_dword v50, v52, s[0:3], 0 offen offset:4
	buffer_load_dword v51, v52, s[0:3], 0 offen offset:8
	s_nop 0
	buffer_load_dword v52, v52, s[0:3], 0 offen offset:12
	s_waitcnt vmcnt(36)
	ds_write2_b64 v40, v[4:5], v[10:11] offset0:102 offset1:103
	s_waitcnt vmcnt(32)
	ds_write2_b64 v40, v[12:13], v[14:15] offset0:104 offset1:105
	;; [unrolled: 2-line block ×10, first 2 shown]
	v_mov_b32_e32 v43, 50
.LBB120_1173:
	s_or_b64 exec, exec, s[4:5]
	v_cmp_lt_i32_e32 vcc, 50, v43
	s_waitcnt vmcnt(0) lgkmcnt(0)
	s_barrier
	s_and_saveexec_b64 s[4:5], vcc
	s_cbranch_execz .LBB120_1175
; %bb.1174:
	buffer_load_dword v4, off, s[0:3], 0 offset:800
	buffer_load_dword v5, off, s[0:3], 0 offset:804
	;; [unrolled: 1-line block ×16, first 2 shown]
	s_waitcnt vmcnt(12)
	v_mul_f64 v[24:25], v[2:3], v[10:11]
	v_fma_f64 v[24:25], v[0:1], v[4:5], -v[24:25]
	v_mul_f64 v[0:1], v[0:1], v[10:11]
	v_fma_f64 v[4:5], v[2:3], v[4:5], v[0:1]
	buffer_store_dword v24, off, s[0:3], 0 offset:800
	buffer_store_dword v25, off, s[0:3], 0 offset:804
	buffer_store_dword v4, off, s[0:3], 0 offset:808
	buffer_store_dword v5, off, s[0:3], 0 offset:812
	ds_read2_b64 v[0:3], v40 offset0:102 offset1:103
	s_waitcnt lgkmcnt(0)
	v_mul_f64 v[10:11], v[2:3], v[4:5]
	v_fma_f64 v[10:11], v[0:1], v[24:25], -v[10:11]
	v_mul_f64 v[0:1], v[0:1], v[4:5]
	v_fma_f64 v[0:1], v[2:3], v[24:25], v[0:1]
	s_waitcnt vmcnt(14)
	v_add_f64 v[2:3], v[12:13], -v[10:11]
	s_waitcnt vmcnt(12)
	v_add_f64 v[0:1], v[14:15], -v[0:1]
	buffer_store_dword v2, off, s[0:3], 0 offset:816
	buffer_store_dword v3, off, s[0:3], 0 offset:820
	buffer_store_dword v0, off, s[0:3], 0 offset:824
	buffer_store_dword v1, off, s[0:3], 0 offset:828
	ds_read2_b64 v[0:3], v40 offset0:104 offset1:105
	s_waitcnt lgkmcnt(0)
	v_mul_f64 v[10:11], v[2:3], v[4:5]
	v_fma_f64 v[10:11], v[0:1], v[24:25], -v[10:11]
	v_mul_f64 v[0:1], v[0:1], v[4:5]
	v_fma_f64 v[0:1], v[2:3], v[24:25], v[0:1]
	s_waitcnt vmcnt(14)
	v_add_f64 v[2:3], v[16:17], -v[10:11]
	s_waitcnt vmcnt(12)
	v_add_f64 v[0:1], v[18:19], -v[0:1]
	;; [unrolled: 14-line block ×3, first 2 shown]
	buffer_store_dword v3, off, s[0:3], 0 offset:852
	buffer_store_dword v2, off, s[0:3], 0 offset:848
	buffer_store_dword v0, off, s[0:3], 0 offset:856
	buffer_store_dword v1, off, s[0:3], 0 offset:860
	ds_read2_b64 v[0:3], v40 offset0:108 offset1:109
	s_waitcnt lgkmcnt(0)
	v_mul_f64 v[10:11], v[2:3], v[4:5]
	v_fma_f64 v[10:11], v[0:1], v[24:25], -v[10:11]
	v_mul_f64 v[0:1], v[0:1], v[4:5]
	v_fma_f64 v[0:1], v[2:3], v[24:25], v[0:1]
	buffer_load_dword v2, off, s[0:3], 0 offset:864
	buffer_load_dword v3, off, s[0:3], 0 offset:868
	buffer_load_dword v12, off, s[0:3], 0 offset:872
	buffer_load_dword v13, off, s[0:3], 0 offset:876
	s_waitcnt vmcnt(2)
	v_add_f64 v[2:3], v[2:3], -v[10:11]
	s_waitcnt vmcnt(0)
	v_add_f64 v[0:1], v[12:13], -v[0:1]
	buffer_store_dword v3, off, s[0:3], 0 offset:868
	buffer_store_dword v2, off, s[0:3], 0 offset:864
	buffer_store_dword v1, off, s[0:3], 0 offset:876
	buffer_store_dword v0, off, s[0:3], 0 offset:872
	ds_read2_b64 v[0:3], v40 offset0:110 offset1:111
	s_waitcnt lgkmcnt(0)
	v_mul_f64 v[10:11], v[2:3], v[4:5]
	v_fma_f64 v[10:11], v[0:1], v[24:25], -v[10:11]
	v_mul_f64 v[0:1], v[0:1], v[4:5]
	v_fma_f64 v[0:1], v[2:3], v[24:25], v[0:1]
	buffer_load_dword v2, off, s[0:3], 0 offset:880
	buffer_load_dword v3, off, s[0:3], 0 offset:884
	buffer_load_dword v12, off, s[0:3], 0 offset:888
	buffer_load_dword v13, off, s[0:3], 0 offset:892
	s_waitcnt vmcnt(2)
	v_add_f64 v[2:3], v[2:3], -v[10:11]
	s_waitcnt vmcnt(0)
	v_add_f64 v[0:1], v[12:13], -v[0:1]
	;; [unrolled: 18-line block ×3, first 2 shown]
	buffer_store_dword v3, off, s[0:3], 0 offset:900
	buffer_store_dword v2, off, s[0:3], 0 offset:896
	;; [unrolled: 1-line block ×4, first 2 shown]
	ds_read2_b64 v[0:3], v40 offset0:114 offset1:115
	buffer_load_dword v4, off, s[0:3], 0 offset:800
	buffer_load_dword v5, off, s[0:3], 0 offset:804
	;; [unrolled: 1-line block ×4, first 2 shown]
	s_waitcnt vmcnt(0) lgkmcnt(0)
	v_mul_f64 v[12:13], v[2:3], v[10:11]
	v_fma_f64 v[12:13], v[0:1], v[4:5], -v[12:13]
	v_mul_f64 v[0:1], v[0:1], v[10:11]
	v_fma_f64 v[0:1], v[2:3], v[4:5], v[0:1]
	buffer_load_dword v3, off, s[0:3], 0 offset:916
	buffer_load_dword v2, off, s[0:3], 0 offset:912
	s_waitcnt vmcnt(0)
	v_add_f64 v[2:3], v[2:3], -v[12:13]
	buffer_load_dword v13, off, s[0:3], 0 offset:924
	buffer_load_dword v12, off, s[0:3], 0 offset:920
	s_waitcnt vmcnt(0)
	v_add_f64 v[0:1], v[12:13], -v[0:1]
	buffer_store_dword v3, off, s[0:3], 0 offset:916
	buffer_store_dword v2, off, s[0:3], 0 offset:912
	buffer_store_dword v1, off, s[0:3], 0 offset:924
	buffer_store_dword v0, off, s[0:3], 0 offset:920
	ds_read2_b64 v[0:3], v40 offset0:116 offset1:117
	s_waitcnt lgkmcnt(0)
	v_mul_f64 v[12:13], v[2:3], v[10:11]
	v_fma_f64 v[12:13], v[0:1], v[4:5], -v[12:13]
	v_mul_f64 v[0:1], v[0:1], v[10:11]
	v_fma_f64 v[0:1], v[2:3], v[4:5], v[0:1]
	buffer_load_dword v2, off, s[0:3], 0 offset:928
	buffer_load_dword v3, off, s[0:3], 0 offset:932
	buffer_load_dword v14, off, s[0:3], 0 offset:936
	buffer_load_dword v15, off, s[0:3], 0 offset:940
	s_waitcnt vmcnt(2)
	v_add_f64 v[2:3], v[2:3], -v[12:13]
	s_waitcnt vmcnt(0)
	v_add_f64 v[0:1], v[14:15], -v[0:1]
	buffer_store_dword v3, off, s[0:3], 0 offset:932
	buffer_store_dword v2, off, s[0:3], 0 offset:928
	buffer_store_dword v1, off, s[0:3], 0 offset:940
	buffer_store_dword v0, off, s[0:3], 0 offset:936
	ds_read2_b64 v[0:3], v40 offset0:118 offset1:119
	s_waitcnt lgkmcnt(0)
	v_mul_f64 v[12:13], v[2:3], v[10:11]
	v_fma_f64 v[12:13], v[0:1], v[4:5], -v[12:13]
	v_mul_f64 v[0:1], v[0:1], v[10:11]
	v_fma_f64 v[0:1], v[2:3], v[4:5], v[0:1]
	buffer_load_dword v2, off, s[0:3], 0 offset:944
	buffer_load_dword v3, off, s[0:3], 0 offset:948
	buffer_load_dword v14, off, s[0:3], 0 offset:952
	buffer_load_dword v15, off, s[0:3], 0 offset:956
	s_waitcnt vmcnt(2)
	v_add_f64 v[2:3], v[2:3], -v[12:13]
	;; [unrolled: 18-line block ×3, first 2 shown]
	s_waitcnt vmcnt(0)
	v_add_f64 v[0:1], v[4:5], -v[0:1]
	buffer_store_dword v3, off, s[0:3], 0 offset:964
	buffer_store_dword v2, off, s[0:3], 0 offset:960
	;; [unrolled: 1-line block ×4, first 2 shown]
.LBB120_1175:
	s_or_b64 exec, exec, s[4:5]
	v_mov_b32_e32 v3, s34
	s_waitcnt vmcnt(0)
	s_barrier
	buffer_load_dword v0, v3, s[0:3], 0 offen
	buffer_load_dword v1, v3, s[0:3], 0 offen offset:4
	buffer_load_dword v2, v3, s[0:3], 0 offen offset:8
	s_nop 0
	buffer_load_dword v3, v3, s[0:3], 0 offen offset:12
	v_lshl_add_u32 v4, v43, 4, v40
	s_cmp_lt_i32 s64, 53
	s_waitcnt vmcnt(0)
	ds_write2_b64 v4, v[0:1], v[2:3] offset1:1
	s_waitcnt lgkmcnt(0)
	s_barrier
	ds_read2_b64 v[0:3], v40 offset0:102 offset1:103
	v_mov_b32_e32 v4, 51
	s_cbranch_scc1 .LBB120_1178
; %bb.1176:
	v_add_u32_e32 v5, 0x340, v40
	s_mov_b32 s16, 52
	v_mov_b32_e32 v4, 51
.LBB120_1177:                           ; =>This Inner Loop Header: Depth=1
	s_waitcnt lgkmcnt(0)
	v_cmp_gt_f64_e32 vcc, 0, v[2:3]
	v_cmp_gt_f64_e64 s[4:5], 0, v[0:1]
	ds_read2_b64 v[10:13], v5 offset1:1
	v_xor_b32_e32 v15, 0x80000000, v1
	v_xor_b32_e32 v17, 0x80000000, v3
	v_mov_b32_e32 v14, v0
	v_mov_b32_e32 v16, v2
	s_waitcnt lgkmcnt(0)
	v_xor_b32_e32 v19, 0x80000000, v13
	v_cndmask_b32_e32 v17, v3, v17, vcc
	v_cndmask_b32_e64 v15, v1, v15, s[4:5]
	v_cmp_gt_f64_e32 vcc, 0, v[12:13]
	v_cmp_gt_f64_e64 s[4:5], 0, v[10:11]
	v_add_f64 v[14:15], v[14:15], v[16:17]
	v_xor_b32_e32 v17, 0x80000000, v11
	v_mov_b32_e32 v16, v10
	v_mov_b32_e32 v18, v12
	v_add_u32_e32 v5, 16, v5
	v_cndmask_b32_e32 v19, v13, v19, vcc
	v_cndmask_b32_e64 v17, v11, v17, s[4:5]
	v_add_f64 v[16:17], v[16:17], v[18:19]
	v_mov_b32_e32 v18, s16
	s_add_i32 s16, s16, 1
	s_cmp_lg_u32 s64, s16
	v_cmp_lt_f64_e32 vcc, v[14:15], v[16:17]
	v_cndmask_b32_e32 v1, v1, v11, vcc
	v_cndmask_b32_e32 v0, v0, v10, vcc
	;; [unrolled: 1-line block ×5, first 2 shown]
	s_cbranch_scc1 .LBB120_1177
.LBB120_1178:
	s_waitcnt lgkmcnt(0)
	v_cmp_eq_f64_e32 vcc, 0, v[0:1]
	v_cmp_eq_f64_e64 s[4:5], 0, v[2:3]
	s_and_b64 s[4:5], vcc, s[4:5]
	s_and_saveexec_b64 s[16:17], s[4:5]
	s_xor_b64 s[4:5], exec, s[16:17]
; %bb.1179:
	v_cmp_ne_u32_e32 vcc, 0, v41
	v_cndmask_b32_e32 v41, 52, v41, vcc
; %bb.1180:
	s_andn2_saveexec_b64 s[4:5], s[4:5]
	s_cbranch_execz .LBB120_1186
; %bb.1181:
	v_cmp_ngt_f64_e64 s[16:17], |v[0:1]|, |v[2:3]|
	s_and_saveexec_b64 s[18:19], s[16:17]
	s_xor_b64 s[18:19], exec, s[18:19]
	s_cbranch_execz .LBB120_1183
; %bb.1182:
	v_div_scale_f64 v[10:11], s[16:17], v[2:3], v[2:3], v[0:1]
	v_rcp_f64_e32 v[12:13], v[10:11]
	v_fma_f64 v[14:15], -v[10:11], v[12:13], 1.0
	v_fma_f64 v[12:13], v[12:13], v[14:15], v[12:13]
	v_div_scale_f64 v[14:15], vcc, v[0:1], v[2:3], v[0:1]
	v_fma_f64 v[16:17], -v[10:11], v[12:13], 1.0
	v_fma_f64 v[12:13], v[12:13], v[16:17], v[12:13]
	v_mul_f64 v[16:17], v[14:15], v[12:13]
	v_fma_f64 v[10:11], -v[10:11], v[16:17], v[14:15]
	v_div_fmas_f64 v[10:11], v[10:11], v[12:13], v[16:17]
	v_div_fixup_f64 v[10:11], v[10:11], v[2:3], v[0:1]
	v_fma_f64 v[0:1], v[0:1], v[10:11], v[2:3]
	v_div_scale_f64 v[2:3], s[16:17], v[0:1], v[0:1], 1.0
	v_div_scale_f64 v[16:17], vcc, 1.0, v[0:1], 1.0
	v_rcp_f64_e32 v[12:13], v[2:3]
	v_fma_f64 v[14:15], -v[2:3], v[12:13], 1.0
	v_fma_f64 v[12:13], v[12:13], v[14:15], v[12:13]
	v_fma_f64 v[14:15], -v[2:3], v[12:13], 1.0
	v_fma_f64 v[12:13], v[12:13], v[14:15], v[12:13]
	v_mul_f64 v[14:15], v[16:17], v[12:13]
	v_fma_f64 v[2:3], -v[2:3], v[14:15], v[16:17]
	v_div_fmas_f64 v[2:3], v[2:3], v[12:13], v[14:15]
	v_div_fixup_f64 v[2:3], v[2:3], v[0:1], 1.0
	v_mul_f64 v[0:1], v[10:11], v[2:3]
	v_xor_b32_e32 v3, 0x80000000, v3
.LBB120_1183:
	s_andn2_saveexec_b64 s[18:19], s[18:19]
	s_cbranch_execz .LBB120_1185
; %bb.1184:
	v_div_scale_f64 v[10:11], s[16:17], v[0:1], v[0:1], v[2:3]
	v_rcp_f64_e32 v[12:13], v[10:11]
	v_fma_f64 v[14:15], -v[10:11], v[12:13], 1.0
	v_fma_f64 v[12:13], v[12:13], v[14:15], v[12:13]
	v_div_scale_f64 v[14:15], vcc, v[2:3], v[0:1], v[2:3]
	v_fma_f64 v[16:17], -v[10:11], v[12:13], 1.0
	v_fma_f64 v[12:13], v[12:13], v[16:17], v[12:13]
	v_mul_f64 v[16:17], v[14:15], v[12:13]
	v_fma_f64 v[10:11], -v[10:11], v[16:17], v[14:15]
	v_div_fmas_f64 v[10:11], v[10:11], v[12:13], v[16:17]
	v_div_fixup_f64 v[10:11], v[10:11], v[0:1], v[2:3]
	v_fma_f64 v[0:1], v[2:3], v[10:11], v[0:1]
	v_div_scale_f64 v[2:3], s[16:17], v[0:1], v[0:1], 1.0
	v_div_scale_f64 v[16:17], vcc, 1.0, v[0:1], 1.0
	v_rcp_f64_e32 v[12:13], v[2:3]
	v_fma_f64 v[14:15], -v[2:3], v[12:13], 1.0
	v_fma_f64 v[12:13], v[12:13], v[14:15], v[12:13]
	v_fma_f64 v[14:15], -v[2:3], v[12:13], 1.0
	v_fma_f64 v[12:13], v[12:13], v[14:15], v[12:13]
	v_mul_f64 v[14:15], v[16:17], v[12:13]
	v_fma_f64 v[2:3], -v[2:3], v[14:15], v[16:17]
	v_div_fmas_f64 v[2:3], v[2:3], v[12:13], v[14:15]
	v_div_fixup_f64 v[0:1], v[2:3], v[0:1], 1.0
	v_mul_f64 v[2:3], v[10:11], -v[0:1]
.LBB120_1185:
	s_or_b64 exec, exec, s[18:19]
.LBB120_1186:
	s_or_b64 exec, exec, s[4:5]
	v_cmp_ne_u32_e32 vcc, v43, v4
	s_and_saveexec_b64 s[4:5], vcc
	s_xor_b64 s[4:5], exec, s[4:5]
	s_cbranch_execz .LBB120_1192
; %bb.1187:
	v_cmp_eq_u32_e32 vcc, 51, v43
	s_and_saveexec_b64 s[18:19], vcc
	s_cbranch_execz .LBB120_1191
; %bb.1188:
	v_cmp_ne_u32_e32 vcc, 51, v4
	s_xor_b64 s[16:17], s[22:23], -1
	s_and_b64 s[16:17], s[16:17], vcc
	s_and_saveexec_b64 s[24:25], s[16:17]
	s_cbranch_execz .LBB120_1190
; %bb.1189:
	v_ashrrev_i32_e32 v5, 31, v4
	v_lshlrev_b64 v[10:11], 2, v[4:5]
	v_add_co_u32_e32 v10, vcc, v8, v10
	v_addc_co_u32_e32 v11, vcc, v9, v11, vcc
	global_load_dword v5, v[10:11], off
	global_load_dword v12, v[8:9], off offset:204
	s_waitcnt vmcnt(1)
	global_store_dword v[8:9], v5, off offset:204
	s_waitcnt vmcnt(1)
	global_store_dword v[10:11], v12, off
.LBB120_1190:
	s_or_b64 exec, exec, s[24:25]
	v_mov_b32_e32 v43, v4
	v_mov_b32_e32 v42, v4
.LBB120_1191:
	s_or_b64 exec, exec, s[18:19]
.LBB120_1192:
	s_andn2_saveexec_b64 s[4:5], s[4:5]
	s_cbranch_execz .LBB120_1194
; %bb.1193:
	v_mov_b32_e32 v11, s33
	v_mov_b32_e32 v15, s31
	;; [unrolled: 1-line block ×9, first 2 shown]
	buffer_load_dword v4, v11, s[0:3], 0 offen
	buffer_load_dword v5, v11, s[0:3], 0 offen offset:4
	buffer_load_dword v10, v11, s[0:3], 0 offen offset:8
	s_nop 0
	buffer_load_dword v11, v11, s[0:3], 0 offen offset:12
	s_nop 0
	buffer_load_dword v12, v15, s[0:3], 0 offen
	buffer_load_dword v13, v15, s[0:3], 0 offen offset:4
	buffer_load_dword v14, v15, s[0:3], 0 offen offset:8
	s_nop 0
	buffer_load_dword v15, v15, s[0:3], 0 offen offset:12
	s_nop 0
	;; [unrolled: 6-line block ×8, first 2 shown]
	buffer_load_dword v45, v48, s[0:3], 0 offen
	buffer_load_dword v46, v48, s[0:3], 0 offen offset:4
	buffer_load_dword v47, v48, s[0:3], 0 offen offset:8
	s_nop 0
	buffer_load_dword v48, v48, s[0:3], 0 offen offset:12
	s_waitcnt vmcnt(32)
	ds_write2_b64 v40, v[4:5], v[10:11] offset0:104 offset1:105
	s_waitcnt vmcnt(28)
	ds_write2_b64 v40, v[12:13], v[14:15] offset0:106 offset1:107
	;; [unrolled: 2-line block ×9, first 2 shown]
	v_mov_b32_e32 v43, 51
.LBB120_1194:
	s_or_b64 exec, exec, s[4:5]
	v_cmp_lt_i32_e32 vcc, 51, v43
	s_waitcnt vmcnt(0) lgkmcnt(0)
	s_barrier
	s_and_saveexec_b64 s[4:5], vcc
	s_cbranch_execz .LBB120_1196
; %bb.1195:
	buffer_load_dword v4, off, s[0:3], 0 offset:816
	buffer_load_dword v5, off, s[0:3], 0 offset:820
	;; [unrolled: 1-line block ×16, first 2 shown]
	s_waitcnt vmcnt(12)
	v_mul_f64 v[24:25], v[2:3], v[10:11]
	v_fma_f64 v[24:25], v[0:1], v[4:5], -v[24:25]
	v_mul_f64 v[0:1], v[0:1], v[10:11]
	v_fma_f64 v[4:5], v[2:3], v[4:5], v[0:1]
	buffer_store_dword v24, off, s[0:3], 0 offset:816
	buffer_store_dword v25, off, s[0:3], 0 offset:820
	buffer_store_dword v4, off, s[0:3], 0 offset:824
	buffer_store_dword v5, off, s[0:3], 0 offset:828
	ds_read2_b64 v[0:3], v40 offset0:104 offset1:105
	s_waitcnt lgkmcnt(0)
	v_mul_f64 v[10:11], v[2:3], v[4:5]
	v_fma_f64 v[10:11], v[0:1], v[24:25], -v[10:11]
	v_mul_f64 v[0:1], v[0:1], v[4:5]
	v_fma_f64 v[0:1], v[2:3], v[24:25], v[0:1]
	s_waitcnt vmcnt(14)
	v_add_f64 v[2:3], v[12:13], -v[10:11]
	s_waitcnt vmcnt(12)
	v_add_f64 v[0:1], v[14:15], -v[0:1]
	buffer_store_dword v2, off, s[0:3], 0 offset:832
	buffer_store_dword v3, off, s[0:3], 0 offset:836
	buffer_store_dword v0, off, s[0:3], 0 offset:840
	buffer_store_dword v1, off, s[0:3], 0 offset:844
	ds_read2_b64 v[0:3], v40 offset0:106 offset1:107
	s_waitcnt lgkmcnt(0)
	v_mul_f64 v[10:11], v[2:3], v[4:5]
	v_fma_f64 v[10:11], v[0:1], v[24:25], -v[10:11]
	v_mul_f64 v[0:1], v[0:1], v[4:5]
	v_fma_f64 v[0:1], v[2:3], v[24:25], v[0:1]
	s_waitcnt vmcnt(14)
	v_add_f64 v[2:3], v[16:17], -v[10:11]
	s_waitcnt vmcnt(12)
	v_add_f64 v[0:1], v[18:19], -v[0:1]
	;; [unrolled: 14-line block ×3, first 2 shown]
	buffer_store_dword v3, off, s[0:3], 0 offset:868
	buffer_store_dword v2, off, s[0:3], 0 offset:864
	buffer_store_dword v0, off, s[0:3], 0 offset:872
	buffer_store_dword v1, off, s[0:3], 0 offset:876
	ds_read2_b64 v[0:3], v40 offset0:110 offset1:111
	s_waitcnt lgkmcnt(0)
	v_mul_f64 v[10:11], v[2:3], v[4:5]
	v_fma_f64 v[10:11], v[0:1], v[24:25], -v[10:11]
	v_mul_f64 v[0:1], v[0:1], v[4:5]
	v_fma_f64 v[0:1], v[2:3], v[24:25], v[0:1]
	buffer_load_dword v2, off, s[0:3], 0 offset:880
	buffer_load_dword v3, off, s[0:3], 0 offset:884
	buffer_load_dword v12, off, s[0:3], 0 offset:888
	buffer_load_dword v13, off, s[0:3], 0 offset:892
	s_waitcnt vmcnt(2)
	v_add_f64 v[2:3], v[2:3], -v[10:11]
	s_waitcnt vmcnt(0)
	v_add_f64 v[0:1], v[12:13], -v[0:1]
	buffer_store_dword v3, off, s[0:3], 0 offset:884
	buffer_store_dword v2, off, s[0:3], 0 offset:880
	buffer_store_dword v1, off, s[0:3], 0 offset:892
	buffer_store_dword v0, off, s[0:3], 0 offset:888
	ds_read2_b64 v[0:3], v40 offset0:112 offset1:113
	s_waitcnt lgkmcnt(0)
	v_mul_f64 v[10:11], v[2:3], v[4:5]
	v_fma_f64 v[10:11], v[0:1], v[24:25], -v[10:11]
	v_mul_f64 v[0:1], v[0:1], v[4:5]
	v_fma_f64 v[0:1], v[2:3], v[24:25], v[0:1]
	buffer_load_dword v2, off, s[0:3], 0 offset:896
	buffer_load_dword v3, off, s[0:3], 0 offset:900
	buffer_load_dword v12, off, s[0:3], 0 offset:904
	buffer_load_dword v13, off, s[0:3], 0 offset:908
	s_waitcnt vmcnt(2)
	v_add_f64 v[2:3], v[2:3], -v[10:11]
	s_waitcnt vmcnt(0)
	v_add_f64 v[0:1], v[12:13], -v[0:1]
	;; [unrolled: 18-line block ×3, first 2 shown]
	buffer_store_dword v3, off, s[0:3], 0 offset:916
	buffer_store_dword v2, off, s[0:3], 0 offset:912
	;; [unrolled: 1-line block ×4, first 2 shown]
	ds_read2_b64 v[0:3], v40 offset0:116 offset1:117
	buffer_load_dword v4, off, s[0:3], 0 offset:816
	buffer_load_dword v5, off, s[0:3], 0 offset:820
	;; [unrolled: 1-line block ×4, first 2 shown]
	s_waitcnt vmcnt(0) lgkmcnt(0)
	v_mul_f64 v[12:13], v[2:3], v[10:11]
	v_fma_f64 v[12:13], v[0:1], v[4:5], -v[12:13]
	v_mul_f64 v[0:1], v[0:1], v[10:11]
	v_fma_f64 v[0:1], v[2:3], v[4:5], v[0:1]
	buffer_load_dword v3, off, s[0:3], 0 offset:932
	buffer_load_dword v2, off, s[0:3], 0 offset:928
	s_waitcnt vmcnt(0)
	v_add_f64 v[2:3], v[2:3], -v[12:13]
	buffer_load_dword v13, off, s[0:3], 0 offset:940
	buffer_load_dword v12, off, s[0:3], 0 offset:936
	s_waitcnt vmcnt(0)
	v_add_f64 v[0:1], v[12:13], -v[0:1]
	buffer_store_dword v3, off, s[0:3], 0 offset:932
	buffer_store_dword v2, off, s[0:3], 0 offset:928
	;; [unrolled: 1-line block ×4, first 2 shown]
	ds_read2_b64 v[0:3], v40 offset0:118 offset1:119
	s_waitcnt lgkmcnt(0)
	v_mul_f64 v[12:13], v[2:3], v[10:11]
	v_fma_f64 v[12:13], v[0:1], v[4:5], -v[12:13]
	v_mul_f64 v[0:1], v[0:1], v[10:11]
	v_fma_f64 v[0:1], v[2:3], v[4:5], v[0:1]
	buffer_load_dword v2, off, s[0:3], 0 offset:944
	buffer_load_dword v3, off, s[0:3], 0 offset:948
	buffer_load_dword v14, off, s[0:3], 0 offset:952
	buffer_load_dword v15, off, s[0:3], 0 offset:956
	s_waitcnt vmcnt(2)
	v_add_f64 v[2:3], v[2:3], -v[12:13]
	s_waitcnt vmcnt(0)
	v_add_f64 v[0:1], v[14:15], -v[0:1]
	buffer_store_dword v3, off, s[0:3], 0 offset:948
	buffer_store_dword v2, off, s[0:3], 0 offset:944
	;; [unrolled: 1-line block ×4, first 2 shown]
	ds_read2_b64 v[0:3], v40 offset0:120 offset1:121
	s_waitcnt lgkmcnt(0)
	v_mul_f64 v[12:13], v[2:3], v[10:11]
	v_fma_f64 v[12:13], v[0:1], v[4:5], -v[12:13]
	v_mul_f64 v[0:1], v[0:1], v[10:11]
	v_fma_f64 v[0:1], v[2:3], v[4:5], v[0:1]
	buffer_load_dword v2, off, s[0:3], 0 offset:960
	buffer_load_dword v3, off, s[0:3], 0 offset:964
	;; [unrolled: 1-line block ×4, first 2 shown]
	s_waitcnt vmcnt(2)
	v_add_f64 v[2:3], v[2:3], -v[12:13]
	s_waitcnt vmcnt(0)
	v_add_f64 v[0:1], v[4:5], -v[0:1]
	buffer_store_dword v3, off, s[0:3], 0 offset:964
	buffer_store_dword v2, off, s[0:3], 0 offset:960
	;; [unrolled: 1-line block ×4, first 2 shown]
.LBB120_1196:
	s_or_b64 exec, exec, s[4:5]
	v_mov_b32_e32 v3, s33
	s_waitcnt vmcnt(0)
	s_barrier
	buffer_load_dword v0, v3, s[0:3], 0 offen
	buffer_load_dword v1, v3, s[0:3], 0 offen offset:4
	buffer_load_dword v2, v3, s[0:3], 0 offen offset:8
	s_nop 0
	buffer_load_dword v3, v3, s[0:3], 0 offen offset:12
	v_lshl_add_u32 v4, v43, 4, v40
	s_cmp_lt_i32 s64, 54
	s_waitcnt vmcnt(0)
	ds_write2_b64 v4, v[0:1], v[2:3] offset1:1
	s_waitcnt lgkmcnt(0)
	s_barrier
	ds_read2_b64 v[0:3], v40 offset0:104 offset1:105
	v_mov_b32_e32 v4, 52
	s_cbranch_scc1 .LBB120_1199
; %bb.1197:
	v_add_u32_e32 v5, 0x350, v40
	s_mov_b32 s16, 53
	v_mov_b32_e32 v4, 52
.LBB120_1198:                           ; =>This Inner Loop Header: Depth=1
	s_waitcnt lgkmcnt(0)
	v_cmp_gt_f64_e32 vcc, 0, v[2:3]
	v_cmp_gt_f64_e64 s[4:5], 0, v[0:1]
	ds_read2_b64 v[10:13], v5 offset1:1
	v_xor_b32_e32 v15, 0x80000000, v1
	v_xor_b32_e32 v17, 0x80000000, v3
	v_mov_b32_e32 v14, v0
	v_mov_b32_e32 v16, v2
	s_waitcnt lgkmcnt(0)
	v_xor_b32_e32 v19, 0x80000000, v13
	v_cndmask_b32_e32 v17, v3, v17, vcc
	v_cndmask_b32_e64 v15, v1, v15, s[4:5]
	v_cmp_gt_f64_e32 vcc, 0, v[12:13]
	v_cmp_gt_f64_e64 s[4:5], 0, v[10:11]
	v_add_f64 v[14:15], v[14:15], v[16:17]
	v_xor_b32_e32 v17, 0x80000000, v11
	v_mov_b32_e32 v16, v10
	v_mov_b32_e32 v18, v12
	v_add_u32_e32 v5, 16, v5
	v_cndmask_b32_e32 v19, v13, v19, vcc
	v_cndmask_b32_e64 v17, v11, v17, s[4:5]
	v_add_f64 v[16:17], v[16:17], v[18:19]
	v_mov_b32_e32 v18, s16
	s_add_i32 s16, s16, 1
	s_cmp_lg_u32 s64, s16
	v_cmp_lt_f64_e32 vcc, v[14:15], v[16:17]
	v_cndmask_b32_e32 v1, v1, v11, vcc
	v_cndmask_b32_e32 v0, v0, v10, vcc
	;; [unrolled: 1-line block ×5, first 2 shown]
	s_cbranch_scc1 .LBB120_1198
.LBB120_1199:
	s_waitcnt lgkmcnt(0)
	v_cmp_eq_f64_e32 vcc, 0, v[0:1]
	v_cmp_eq_f64_e64 s[4:5], 0, v[2:3]
	s_and_b64 s[4:5], vcc, s[4:5]
	s_and_saveexec_b64 s[16:17], s[4:5]
	s_xor_b64 s[4:5], exec, s[16:17]
; %bb.1200:
	v_cmp_ne_u32_e32 vcc, 0, v41
	v_cndmask_b32_e32 v41, 53, v41, vcc
; %bb.1201:
	s_andn2_saveexec_b64 s[4:5], s[4:5]
	s_cbranch_execz .LBB120_1207
; %bb.1202:
	v_cmp_ngt_f64_e64 s[16:17], |v[0:1]|, |v[2:3]|
	s_and_saveexec_b64 s[18:19], s[16:17]
	s_xor_b64 s[18:19], exec, s[18:19]
	s_cbranch_execz .LBB120_1204
; %bb.1203:
	v_div_scale_f64 v[10:11], s[16:17], v[2:3], v[2:3], v[0:1]
	v_rcp_f64_e32 v[12:13], v[10:11]
	v_fma_f64 v[14:15], -v[10:11], v[12:13], 1.0
	v_fma_f64 v[12:13], v[12:13], v[14:15], v[12:13]
	v_div_scale_f64 v[14:15], vcc, v[0:1], v[2:3], v[0:1]
	v_fma_f64 v[16:17], -v[10:11], v[12:13], 1.0
	v_fma_f64 v[12:13], v[12:13], v[16:17], v[12:13]
	v_mul_f64 v[16:17], v[14:15], v[12:13]
	v_fma_f64 v[10:11], -v[10:11], v[16:17], v[14:15]
	v_div_fmas_f64 v[10:11], v[10:11], v[12:13], v[16:17]
	v_div_fixup_f64 v[10:11], v[10:11], v[2:3], v[0:1]
	v_fma_f64 v[0:1], v[0:1], v[10:11], v[2:3]
	v_div_scale_f64 v[2:3], s[16:17], v[0:1], v[0:1], 1.0
	v_div_scale_f64 v[16:17], vcc, 1.0, v[0:1], 1.0
	v_rcp_f64_e32 v[12:13], v[2:3]
	v_fma_f64 v[14:15], -v[2:3], v[12:13], 1.0
	v_fma_f64 v[12:13], v[12:13], v[14:15], v[12:13]
	v_fma_f64 v[14:15], -v[2:3], v[12:13], 1.0
	v_fma_f64 v[12:13], v[12:13], v[14:15], v[12:13]
	v_mul_f64 v[14:15], v[16:17], v[12:13]
	v_fma_f64 v[2:3], -v[2:3], v[14:15], v[16:17]
	v_div_fmas_f64 v[2:3], v[2:3], v[12:13], v[14:15]
	v_div_fixup_f64 v[2:3], v[2:3], v[0:1], 1.0
	v_mul_f64 v[0:1], v[10:11], v[2:3]
	v_xor_b32_e32 v3, 0x80000000, v3
.LBB120_1204:
	s_andn2_saveexec_b64 s[18:19], s[18:19]
	s_cbranch_execz .LBB120_1206
; %bb.1205:
	v_div_scale_f64 v[10:11], s[16:17], v[0:1], v[0:1], v[2:3]
	v_rcp_f64_e32 v[12:13], v[10:11]
	v_fma_f64 v[14:15], -v[10:11], v[12:13], 1.0
	v_fma_f64 v[12:13], v[12:13], v[14:15], v[12:13]
	v_div_scale_f64 v[14:15], vcc, v[2:3], v[0:1], v[2:3]
	v_fma_f64 v[16:17], -v[10:11], v[12:13], 1.0
	v_fma_f64 v[12:13], v[12:13], v[16:17], v[12:13]
	v_mul_f64 v[16:17], v[14:15], v[12:13]
	v_fma_f64 v[10:11], -v[10:11], v[16:17], v[14:15]
	v_div_fmas_f64 v[10:11], v[10:11], v[12:13], v[16:17]
	v_div_fixup_f64 v[10:11], v[10:11], v[0:1], v[2:3]
	v_fma_f64 v[0:1], v[2:3], v[10:11], v[0:1]
	v_div_scale_f64 v[2:3], s[16:17], v[0:1], v[0:1], 1.0
	v_div_scale_f64 v[16:17], vcc, 1.0, v[0:1], 1.0
	v_rcp_f64_e32 v[12:13], v[2:3]
	v_fma_f64 v[14:15], -v[2:3], v[12:13], 1.0
	v_fma_f64 v[12:13], v[12:13], v[14:15], v[12:13]
	v_fma_f64 v[14:15], -v[2:3], v[12:13], 1.0
	v_fma_f64 v[12:13], v[12:13], v[14:15], v[12:13]
	v_mul_f64 v[14:15], v[16:17], v[12:13]
	v_fma_f64 v[2:3], -v[2:3], v[14:15], v[16:17]
	v_div_fmas_f64 v[2:3], v[2:3], v[12:13], v[14:15]
	v_div_fixup_f64 v[0:1], v[2:3], v[0:1], 1.0
	v_mul_f64 v[2:3], v[10:11], -v[0:1]
.LBB120_1206:
	s_or_b64 exec, exec, s[18:19]
.LBB120_1207:
	s_or_b64 exec, exec, s[4:5]
	v_cmp_ne_u32_e32 vcc, v43, v4
	s_and_saveexec_b64 s[4:5], vcc
	s_xor_b64 s[4:5], exec, s[4:5]
	s_cbranch_execz .LBB120_1213
; %bb.1208:
	v_cmp_eq_u32_e32 vcc, 52, v43
	s_and_saveexec_b64 s[18:19], vcc
	s_cbranch_execz .LBB120_1212
; %bb.1209:
	v_cmp_ne_u32_e32 vcc, 52, v4
	s_xor_b64 s[16:17], s[22:23], -1
	s_and_b64 s[16:17], s[16:17], vcc
	s_and_saveexec_b64 s[24:25], s[16:17]
	s_cbranch_execz .LBB120_1211
; %bb.1210:
	v_ashrrev_i32_e32 v5, 31, v4
	v_lshlrev_b64 v[10:11], 2, v[4:5]
	v_add_co_u32_e32 v10, vcc, v8, v10
	v_addc_co_u32_e32 v11, vcc, v9, v11, vcc
	global_load_dword v5, v[10:11], off
	global_load_dword v12, v[8:9], off offset:208
	s_waitcnt vmcnt(1)
	global_store_dword v[8:9], v5, off offset:208
	s_waitcnt vmcnt(1)
	global_store_dword v[10:11], v12, off
.LBB120_1211:
	s_or_b64 exec, exec, s[24:25]
	v_mov_b32_e32 v43, v4
	v_mov_b32_e32 v42, v4
.LBB120_1212:
	s_or_b64 exec, exec, s[18:19]
.LBB120_1213:
	s_andn2_saveexec_b64 s[4:5], s[4:5]
	s_cbranch_execz .LBB120_1215
; %bb.1214:
	v_mov_b32_e32 v11, s31
	v_mov_b32_e32 v15, s30
	;; [unrolled: 1-line block ×8, first 2 shown]
	buffer_load_dword v4, v11, s[0:3], 0 offen
	buffer_load_dword v5, v11, s[0:3], 0 offen offset:4
	buffer_load_dword v10, v11, s[0:3], 0 offen offset:8
	s_nop 0
	buffer_load_dword v11, v11, s[0:3], 0 offen offset:12
	s_nop 0
	buffer_load_dword v12, v15, s[0:3], 0 offen
	buffer_load_dword v13, v15, s[0:3], 0 offen offset:4
	buffer_load_dword v14, v15, s[0:3], 0 offen offset:8
	s_nop 0
	buffer_load_dword v15, v15, s[0:3], 0 offen offset:12
	s_nop 0
	;; [unrolled: 6-line block ×7, first 2 shown]
	buffer_load_dword v36, v44, s[0:3], 0 offen
	buffer_load_dword v37, v44, s[0:3], 0 offen offset:4
	buffer_load_dword v43, v44, s[0:3], 0 offen offset:8
	s_nop 0
	buffer_load_dword v44, v44, s[0:3], 0 offen offset:12
	s_waitcnt vmcnt(28)
	ds_write2_b64 v40, v[4:5], v[10:11] offset0:106 offset1:107
	s_waitcnt vmcnt(24)
	ds_write2_b64 v40, v[12:13], v[14:15] offset0:108 offset1:109
	;; [unrolled: 2-line block ×8, first 2 shown]
	v_mov_b32_e32 v43, 52
.LBB120_1215:
	s_or_b64 exec, exec, s[4:5]
	v_cmp_lt_i32_e32 vcc, 52, v43
	s_waitcnt vmcnt(0) lgkmcnt(0)
	s_barrier
	s_and_saveexec_b64 s[4:5], vcc
	s_cbranch_execz .LBB120_1217
; %bb.1216:
	buffer_load_dword v10, off, s[0:3], 0 offset:832
	buffer_load_dword v11, off, s[0:3], 0 offset:836
	;; [unrolled: 1-line block ×16, first 2 shown]
	s_waitcnt vmcnt(12)
	v_mul_f64 v[4:5], v[2:3], v[12:13]
	v_fma_f64 v[4:5], v[0:1], v[10:11], -v[4:5]
	v_mul_f64 v[0:1], v[0:1], v[12:13]
	v_fma_f64 v[0:1], v[2:3], v[10:11], v[0:1]
	buffer_store_dword v4, off, s[0:3], 0 offset:832
	buffer_store_dword v5, off, s[0:3], 0 offset:836
	buffer_store_dword v0, off, s[0:3], 0 offset:840
	buffer_store_dword v1, off, s[0:3], 0 offset:844
	ds_read2_b64 v[10:13], v40 offset0:106 offset1:107
	s_waitcnt lgkmcnt(0)
	v_mul_f64 v[2:3], v[12:13], v[0:1]
	v_fma_f64 v[2:3], v[10:11], v[4:5], -v[2:3]
	v_mul_f64 v[10:11], v[10:11], v[0:1]
	s_waitcnt vmcnt(14)
	v_add_f64 v[2:3], v[14:15], -v[2:3]
	v_fma_f64 v[10:11], v[12:13], v[4:5], v[10:11]
	s_waitcnt vmcnt(12)
	v_add_f64 v[10:11], v[16:17], -v[10:11]
	buffer_store_dword v2, off, s[0:3], 0 offset:848
	buffer_store_dword v3, off, s[0:3], 0 offset:852
	buffer_store_dword v10, off, s[0:3], 0 offset:856
	buffer_store_dword v11, off, s[0:3], 0 offset:860
	ds_read2_b64 v[10:13], v40 offset0:108 offset1:109
	s_waitcnt lgkmcnt(0)
	v_mul_f64 v[2:3], v[12:13], v[0:1]
	v_fma_f64 v[2:3], v[10:11], v[4:5], -v[2:3]
	v_mul_f64 v[10:11], v[10:11], v[0:1]
	s_waitcnt vmcnt(14)
	v_add_f64 v[2:3], v[18:19], -v[2:3]
	v_fma_f64 v[10:11], v[12:13], v[4:5], v[10:11]
	s_waitcnt vmcnt(12)
	v_add_f64 v[10:11], v[20:21], -v[10:11]
	;; [unrolled: 14-line block ×3, first 2 shown]
	buffer_store_dword v3, off, s[0:3], 0 offset:884
	buffer_store_dword v2, off, s[0:3], 0 offset:880
	;; [unrolled: 1-line block ×4, first 2 shown]
	ds_read2_b64 v[10:13], v40 offset0:112 offset1:113
	s_waitcnt lgkmcnt(0)
	v_mul_f64 v[2:3], v[12:13], v[0:1]
	v_fma_f64 v[2:3], v[10:11], v[4:5], -v[2:3]
	v_mul_f64 v[10:11], v[10:11], v[0:1]
	v_fma_f64 v[10:11], v[12:13], v[4:5], v[10:11]
	buffer_load_dword v12, off, s[0:3], 0 offset:896
	buffer_load_dword v13, off, s[0:3], 0 offset:900
	;; [unrolled: 1-line block ×4, first 2 shown]
	s_waitcnt vmcnt(2)
	v_add_f64 v[2:3], v[12:13], -v[2:3]
	s_waitcnt vmcnt(0)
	v_add_f64 v[10:11], v[14:15], -v[10:11]
	buffer_store_dword v3, off, s[0:3], 0 offset:900
	buffer_store_dword v2, off, s[0:3], 0 offset:896
	;; [unrolled: 1-line block ×4, first 2 shown]
	ds_read2_b64 v[10:13], v40 offset0:114 offset1:115
	s_waitcnt lgkmcnt(0)
	v_mul_f64 v[2:3], v[12:13], v[0:1]
	v_fma_f64 v[2:3], v[10:11], v[4:5], -v[2:3]
	v_mul_f64 v[10:11], v[10:11], v[0:1]
	v_fma_f64 v[10:11], v[12:13], v[4:5], v[10:11]
	buffer_load_dword v12, off, s[0:3], 0 offset:912
	buffer_load_dword v13, off, s[0:3], 0 offset:916
	;; [unrolled: 1-line block ×4, first 2 shown]
	s_waitcnt vmcnt(2)
	v_add_f64 v[2:3], v[12:13], -v[2:3]
	s_waitcnt vmcnt(0)
	v_add_f64 v[10:11], v[14:15], -v[10:11]
	buffer_store_dword v3, off, s[0:3], 0 offset:916
	buffer_store_dword v2, off, s[0:3], 0 offset:912
	buffer_store_dword v11, off, s[0:3], 0 offset:924
	buffer_store_dword v10, off, s[0:3], 0 offset:920
	ds_read2_b64 v[10:13], v40 offset0:116 offset1:117
	s_waitcnt lgkmcnt(0)
	v_mul_f64 v[2:3], v[12:13], v[0:1]
	v_mul_f64 v[0:1], v[10:11], v[0:1]
	v_fma_f64 v[2:3], v[10:11], v[4:5], -v[2:3]
	v_fma_f64 v[0:1], v[12:13], v[4:5], v[0:1]
	buffer_load_dword v4, off, s[0:3], 0 offset:928
	buffer_load_dword v5, off, s[0:3], 0 offset:932
	;; [unrolled: 1-line block ×4, first 2 shown]
	s_waitcnt vmcnt(2)
	v_add_f64 v[2:3], v[4:5], -v[2:3]
	s_waitcnt vmcnt(0)
	v_add_f64 v[0:1], v[10:11], -v[0:1]
	buffer_store_dword v3, off, s[0:3], 0 offset:932
	buffer_store_dword v2, off, s[0:3], 0 offset:928
	;; [unrolled: 1-line block ×4, first 2 shown]
	ds_read2_b64 v[0:3], v40 offset0:118 offset1:119
	buffer_load_dword v4, off, s[0:3], 0 offset:832
	buffer_load_dword v5, off, s[0:3], 0 offset:836
	;; [unrolled: 1-line block ×4, first 2 shown]
	s_waitcnt vmcnt(0) lgkmcnt(0)
	v_mul_f64 v[12:13], v[2:3], v[10:11]
	v_fma_f64 v[12:13], v[0:1], v[4:5], -v[12:13]
	v_mul_f64 v[0:1], v[0:1], v[10:11]
	v_fma_f64 v[0:1], v[2:3], v[4:5], v[0:1]
	buffer_load_dword v3, off, s[0:3], 0 offset:948
	buffer_load_dword v2, off, s[0:3], 0 offset:944
	s_waitcnt vmcnt(0)
	v_add_f64 v[2:3], v[2:3], -v[12:13]
	buffer_load_dword v13, off, s[0:3], 0 offset:956
	buffer_load_dword v12, off, s[0:3], 0 offset:952
	s_waitcnt vmcnt(0)
	v_add_f64 v[0:1], v[12:13], -v[0:1]
	buffer_store_dword v3, off, s[0:3], 0 offset:948
	buffer_store_dword v2, off, s[0:3], 0 offset:944
	;; [unrolled: 1-line block ×4, first 2 shown]
	ds_read2_b64 v[0:3], v40 offset0:120 offset1:121
	s_waitcnt lgkmcnt(0)
	v_mul_f64 v[12:13], v[2:3], v[10:11]
	v_fma_f64 v[12:13], v[0:1], v[4:5], -v[12:13]
	v_mul_f64 v[0:1], v[0:1], v[10:11]
	v_fma_f64 v[0:1], v[2:3], v[4:5], v[0:1]
	buffer_load_dword v2, off, s[0:3], 0 offset:960
	buffer_load_dword v3, off, s[0:3], 0 offset:964
	;; [unrolled: 1-line block ×4, first 2 shown]
	s_waitcnt vmcnt(2)
	v_add_f64 v[2:3], v[2:3], -v[12:13]
	s_waitcnt vmcnt(0)
	v_add_f64 v[0:1], v[4:5], -v[0:1]
	buffer_store_dword v3, off, s[0:3], 0 offset:964
	buffer_store_dword v2, off, s[0:3], 0 offset:960
	;; [unrolled: 1-line block ×4, first 2 shown]
.LBB120_1217:
	s_or_b64 exec, exec, s[4:5]
	v_mov_b32_e32 v3, s31
	s_waitcnt vmcnt(0)
	s_barrier
	buffer_load_dword v0, v3, s[0:3], 0 offen
	buffer_load_dword v1, v3, s[0:3], 0 offen offset:4
	buffer_load_dword v2, v3, s[0:3], 0 offen offset:8
	s_nop 0
	buffer_load_dword v3, v3, s[0:3], 0 offen offset:12
	v_lshl_add_u32 v4, v43, 4, v40
	s_cmp_lt_i32 s64, 55
	s_waitcnt vmcnt(0)
	ds_write2_b64 v4, v[0:1], v[2:3] offset1:1
	s_waitcnt lgkmcnt(0)
	s_barrier
	ds_read2_b64 v[0:3], v40 offset0:106 offset1:107
	v_mov_b32_e32 v4, 53
	s_cbranch_scc1 .LBB120_1220
; %bb.1218:
	v_add_u32_e32 v5, 0x360, v40
	s_mov_b32 s16, 54
	v_mov_b32_e32 v4, 53
.LBB120_1219:                           ; =>This Inner Loop Header: Depth=1
	s_waitcnt lgkmcnt(0)
	v_cmp_gt_f64_e32 vcc, 0, v[2:3]
	v_cmp_gt_f64_e64 s[4:5], 0, v[0:1]
	ds_read2_b64 v[10:13], v5 offset1:1
	v_xor_b32_e32 v15, 0x80000000, v1
	v_xor_b32_e32 v17, 0x80000000, v3
	v_mov_b32_e32 v14, v0
	v_mov_b32_e32 v16, v2
	s_waitcnt lgkmcnt(0)
	v_xor_b32_e32 v19, 0x80000000, v13
	v_cndmask_b32_e32 v17, v3, v17, vcc
	v_cndmask_b32_e64 v15, v1, v15, s[4:5]
	v_cmp_gt_f64_e32 vcc, 0, v[12:13]
	v_cmp_gt_f64_e64 s[4:5], 0, v[10:11]
	v_add_f64 v[14:15], v[14:15], v[16:17]
	v_xor_b32_e32 v17, 0x80000000, v11
	v_mov_b32_e32 v16, v10
	v_mov_b32_e32 v18, v12
	v_add_u32_e32 v5, 16, v5
	v_cndmask_b32_e32 v19, v13, v19, vcc
	v_cndmask_b32_e64 v17, v11, v17, s[4:5]
	v_add_f64 v[16:17], v[16:17], v[18:19]
	v_mov_b32_e32 v18, s16
	s_add_i32 s16, s16, 1
	s_cmp_lg_u32 s64, s16
	v_cmp_lt_f64_e32 vcc, v[14:15], v[16:17]
	v_cndmask_b32_e32 v1, v1, v11, vcc
	v_cndmask_b32_e32 v0, v0, v10, vcc
	;; [unrolled: 1-line block ×5, first 2 shown]
	s_cbranch_scc1 .LBB120_1219
.LBB120_1220:
	s_waitcnt lgkmcnt(0)
	v_cmp_eq_f64_e32 vcc, 0, v[0:1]
	v_cmp_eq_f64_e64 s[4:5], 0, v[2:3]
	s_and_b64 s[4:5], vcc, s[4:5]
	s_and_saveexec_b64 s[16:17], s[4:5]
	s_xor_b64 s[4:5], exec, s[16:17]
; %bb.1221:
	v_cmp_ne_u32_e32 vcc, 0, v41
	v_cndmask_b32_e32 v41, 54, v41, vcc
; %bb.1222:
	s_andn2_saveexec_b64 s[4:5], s[4:5]
	s_cbranch_execz .LBB120_1228
; %bb.1223:
	v_cmp_ngt_f64_e64 s[16:17], |v[0:1]|, |v[2:3]|
	s_and_saveexec_b64 s[18:19], s[16:17]
	s_xor_b64 s[18:19], exec, s[18:19]
	s_cbranch_execz .LBB120_1225
; %bb.1224:
	v_div_scale_f64 v[10:11], s[16:17], v[2:3], v[2:3], v[0:1]
	v_rcp_f64_e32 v[12:13], v[10:11]
	v_fma_f64 v[14:15], -v[10:11], v[12:13], 1.0
	v_fma_f64 v[12:13], v[12:13], v[14:15], v[12:13]
	v_div_scale_f64 v[14:15], vcc, v[0:1], v[2:3], v[0:1]
	v_fma_f64 v[16:17], -v[10:11], v[12:13], 1.0
	v_fma_f64 v[12:13], v[12:13], v[16:17], v[12:13]
	v_mul_f64 v[16:17], v[14:15], v[12:13]
	v_fma_f64 v[10:11], -v[10:11], v[16:17], v[14:15]
	v_div_fmas_f64 v[10:11], v[10:11], v[12:13], v[16:17]
	v_div_fixup_f64 v[10:11], v[10:11], v[2:3], v[0:1]
	v_fma_f64 v[0:1], v[0:1], v[10:11], v[2:3]
	v_div_scale_f64 v[2:3], s[16:17], v[0:1], v[0:1], 1.0
	v_div_scale_f64 v[16:17], vcc, 1.0, v[0:1], 1.0
	v_rcp_f64_e32 v[12:13], v[2:3]
	v_fma_f64 v[14:15], -v[2:3], v[12:13], 1.0
	v_fma_f64 v[12:13], v[12:13], v[14:15], v[12:13]
	v_fma_f64 v[14:15], -v[2:3], v[12:13], 1.0
	v_fma_f64 v[12:13], v[12:13], v[14:15], v[12:13]
	v_mul_f64 v[14:15], v[16:17], v[12:13]
	v_fma_f64 v[2:3], -v[2:3], v[14:15], v[16:17]
	v_div_fmas_f64 v[2:3], v[2:3], v[12:13], v[14:15]
	v_div_fixup_f64 v[2:3], v[2:3], v[0:1], 1.0
	v_mul_f64 v[0:1], v[10:11], v[2:3]
	v_xor_b32_e32 v3, 0x80000000, v3
.LBB120_1225:
	s_andn2_saveexec_b64 s[18:19], s[18:19]
	s_cbranch_execz .LBB120_1227
; %bb.1226:
	v_div_scale_f64 v[10:11], s[16:17], v[0:1], v[0:1], v[2:3]
	v_rcp_f64_e32 v[12:13], v[10:11]
	v_fma_f64 v[14:15], -v[10:11], v[12:13], 1.0
	v_fma_f64 v[12:13], v[12:13], v[14:15], v[12:13]
	v_div_scale_f64 v[14:15], vcc, v[2:3], v[0:1], v[2:3]
	v_fma_f64 v[16:17], -v[10:11], v[12:13], 1.0
	v_fma_f64 v[12:13], v[12:13], v[16:17], v[12:13]
	v_mul_f64 v[16:17], v[14:15], v[12:13]
	v_fma_f64 v[10:11], -v[10:11], v[16:17], v[14:15]
	v_div_fmas_f64 v[10:11], v[10:11], v[12:13], v[16:17]
	v_div_fixup_f64 v[10:11], v[10:11], v[0:1], v[2:3]
	v_fma_f64 v[0:1], v[2:3], v[10:11], v[0:1]
	v_div_scale_f64 v[2:3], s[16:17], v[0:1], v[0:1], 1.0
	v_div_scale_f64 v[16:17], vcc, 1.0, v[0:1], 1.0
	v_rcp_f64_e32 v[12:13], v[2:3]
	v_fma_f64 v[14:15], -v[2:3], v[12:13], 1.0
	v_fma_f64 v[12:13], v[12:13], v[14:15], v[12:13]
	v_fma_f64 v[14:15], -v[2:3], v[12:13], 1.0
	v_fma_f64 v[12:13], v[12:13], v[14:15], v[12:13]
	v_mul_f64 v[14:15], v[16:17], v[12:13]
	v_fma_f64 v[2:3], -v[2:3], v[14:15], v[16:17]
	v_div_fmas_f64 v[2:3], v[2:3], v[12:13], v[14:15]
	v_div_fixup_f64 v[0:1], v[2:3], v[0:1], 1.0
	v_mul_f64 v[2:3], v[10:11], -v[0:1]
.LBB120_1227:
	s_or_b64 exec, exec, s[18:19]
.LBB120_1228:
	s_or_b64 exec, exec, s[4:5]
	v_cmp_ne_u32_e32 vcc, v43, v4
	s_and_saveexec_b64 s[4:5], vcc
	s_xor_b64 s[4:5], exec, s[4:5]
	s_cbranch_execz .LBB120_1234
; %bb.1229:
	v_cmp_eq_u32_e32 vcc, 53, v43
	s_and_saveexec_b64 s[18:19], vcc
	s_cbranch_execz .LBB120_1233
; %bb.1230:
	v_cmp_ne_u32_e32 vcc, 53, v4
	s_xor_b64 s[16:17], s[22:23], -1
	s_and_b64 s[16:17], s[16:17], vcc
	s_and_saveexec_b64 s[24:25], s[16:17]
	s_cbranch_execz .LBB120_1232
; %bb.1231:
	v_ashrrev_i32_e32 v5, 31, v4
	v_lshlrev_b64 v[10:11], 2, v[4:5]
	v_add_co_u32_e32 v10, vcc, v8, v10
	v_addc_co_u32_e32 v11, vcc, v9, v11, vcc
	global_load_dword v5, v[10:11], off
	global_load_dword v12, v[8:9], off offset:212
	s_waitcnt vmcnt(1)
	global_store_dword v[8:9], v5, off offset:212
	s_waitcnt vmcnt(1)
	global_store_dword v[10:11], v12, off
.LBB120_1232:
	s_or_b64 exec, exec, s[24:25]
	v_mov_b32_e32 v43, v4
	v_mov_b32_e32 v42, v4
.LBB120_1233:
	s_or_b64 exec, exec, s[18:19]
.LBB120_1234:
	s_andn2_saveexec_b64 s[4:5], s[4:5]
	s_cbranch_execz .LBB120_1236
; %bb.1235:
	v_mov_b32_e32 v11, s30
	v_mov_b32_e32 v15, s29
	;; [unrolled: 1-line block ×7, first 2 shown]
	buffer_load_dword v4, v11, s[0:3], 0 offen
	buffer_load_dword v5, v11, s[0:3], 0 offen offset:4
	buffer_load_dword v10, v11, s[0:3], 0 offen offset:8
	s_nop 0
	buffer_load_dword v11, v11, s[0:3], 0 offen offset:12
	s_nop 0
	buffer_load_dword v12, v15, s[0:3], 0 offen
	buffer_load_dword v13, v15, s[0:3], 0 offen offset:4
	buffer_load_dword v14, v15, s[0:3], 0 offen offset:8
	s_nop 0
	buffer_load_dword v15, v15, s[0:3], 0 offen offset:12
	s_nop 0
	;; [unrolled: 6-line block ×6, first 2 shown]
	buffer_load_dword v32, v35, s[0:3], 0 offen
	buffer_load_dword v33, v35, s[0:3], 0 offen offset:4
	buffer_load_dword v34, v35, s[0:3], 0 offen offset:8
	s_nop 0
	buffer_load_dword v35, v35, s[0:3], 0 offen offset:12
	v_mov_b32_e32 v43, 53
	s_waitcnt vmcnt(24)
	ds_write2_b64 v40, v[4:5], v[10:11] offset0:108 offset1:109
	s_waitcnt vmcnt(20)
	ds_write2_b64 v40, v[12:13], v[14:15] offset0:110 offset1:111
	;; [unrolled: 2-line block ×7, first 2 shown]
.LBB120_1236:
	s_or_b64 exec, exec, s[4:5]
	v_cmp_lt_i32_e32 vcc, 53, v43
	s_waitcnt vmcnt(0) lgkmcnt(0)
	s_barrier
	s_and_saveexec_b64 s[4:5], vcc
	s_cbranch_execz .LBB120_1238
; %bb.1237:
	buffer_load_dword v10, off, s[0:3], 0 offset:848
	buffer_load_dword v11, off, s[0:3], 0 offset:852
	;; [unrolled: 1-line block ×16, first 2 shown]
	s_waitcnt vmcnt(12)
	v_mul_f64 v[4:5], v[2:3], v[12:13]
	v_fma_f64 v[4:5], v[0:1], v[10:11], -v[4:5]
	v_mul_f64 v[0:1], v[0:1], v[12:13]
	v_fma_f64 v[0:1], v[2:3], v[10:11], v[0:1]
	buffer_store_dword v4, off, s[0:3], 0 offset:848
	buffer_store_dword v5, off, s[0:3], 0 offset:852
	buffer_store_dword v0, off, s[0:3], 0 offset:856
	buffer_store_dword v1, off, s[0:3], 0 offset:860
	ds_read2_b64 v[10:13], v40 offset0:108 offset1:109
	s_waitcnt lgkmcnt(0)
	v_mul_f64 v[2:3], v[12:13], v[0:1]
	v_fma_f64 v[2:3], v[10:11], v[4:5], -v[2:3]
	v_mul_f64 v[10:11], v[10:11], v[0:1]
	s_waitcnt vmcnt(14)
	v_add_f64 v[2:3], v[14:15], -v[2:3]
	v_fma_f64 v[10:11], v[12:13], v[4:5], v[10:11]
	s_waitcnt vmcnt(12)
	v_add_f64 v[10:11], v[16:17], -v[10:11]
	buffer_store_dword v2, off, s[0:3], 0 offset:864
	buffer_store_dword v3, off, s[0:3], 0 offset:868
	buffer_store_dword v10, off, s[0:3], 0 offset:872
	buffer_store_dword v11, off, s[0:3], 0 offset:876
	ds_read2_b64 v[10:13], v40 offset0:110 offset1:111
	s_waitcnt lgkmcnt(0)
	v_mul_f64 v[2:3], v[12:13], v[0:1]
	v_fma_f64 v[2:3], v[10:11], v[4:5], -v[2:3]
	v_mul_f64 v[10:11], v[10:11], v[0:1]
	s_waitcnt vmcnt(14)
	v_add_f64 v[2:3], v[18:19], -v[2:3]
	v_fma_f64 v[10:11], v[12:13], v[4:5], v[10:11]
	s_waitcnt vmcnt(12)
	v_add_f64 v[10:11], v[20:21], -v[10:11]
	;; [unrolled: 14-line block ×3, first 2 shown]
	buffer_store_dword v3, off, s[0:3], 0 offset:900
	buffer_store_dword v2, off, s[0:3], 0 offset:896
	;; [unrolled: 1-line block ×4, first 2 shown]
	ds_read2_b64 v[10:13], v40 offset0:114 offset1:115
	s_waitcnt lgkmcnt(0)
	v_mul_f64 v[2:3], v[12:13], v[0:1]
	v_fma_f64 v[2:3], v[10:11], v[4:5], -v[2:3]
	v_mul_f64 v[10:11], v[10:11], v[0:1]
	v_fma_f64 v[10:11], v[12:13], v[4:5], v[10:11]
	buffer_load_dword v12, off, s[0:3], 0 offset:912
	buffer_load_dword v13, off, s[0:3], 0 offset:916
	;; [unrolled: 1-line block ×4, first 2 shown]
	s_waitcnt vmcnt(2)
	v_add_f64 v[2:3], v[12:13], -v[2:3]
	s_waitcnt vmcnt(0)
	v_add_f64 v[10:11], v[14:15], -v[10:11]
	buffer_store_dword v3, off, s[0:3], 0 offset:916
	buffer_store_dword v2, off, s[0:3], 0 offset:912
	;; [unrolled: 1-line block ×4, first 2 shown]
	ds_read2_b64 v[10:13], v40 offset0:116 offset1:117
	s_waitcnt lgkmcnt(0)
	v_mul_f64 v[2:3], v[12:13], v[0:1]
	v_fma_f64 v[2:3], v[10:11], v[4:5], -v[2:3]
	v_mul_f64 v[10:11], v[10:11], v[0:1]
	v_fma_f64 v[10:11], v[12:13], v[4:5], v[10:11]
	buffer_load_dword v12, off, s[0:3], 0 offset:928
	buffer_load_dword v13, off, s[0:3], 0 offset:932
	;; [unrolled: 1-line block ×4, first 2 shown]
	s_waitcnt vmcnt(2)
	v_add_f64 v[2:3], v[12:13], -v[2:3]
	s_waitcnt vmcnt(0)
	v_add_f64 v[10:11], v[14:15], -v[10:11]
	buffer_store_dword v3, off, s[0:3], 0 offset:932
	buffer_store_dword v2, off, s[0:3], 0 offset:928
	;; [unrolled: 1-line block ×4, first 2 shown]
	ds_read2_b64 v[10:13], v40 offset0:118 offset1:119
	s_waitcnt lgkmcnt(0)
	v_mul_f64 v[2:3], v[12:13], v[0:1]
	v_mul_f64 v[0:1], v[10:11], v[0:1]
	v_fma_f64 v[2:3], v[10:11], v[4:5], -v[2:3]
	v_fma_f64 v[0:1], v[12:13], v[4:5], v[0:1]
	buffer_load_dword v4, off, s[0:3], 0 offset:944
	buffer_load_dword v5, off, s[0:3], 0 offset:948
	;; [unrolled: 1-line block ×4, first 2 shown]
	s_waitcnt vmcnt(2)
	v_add_f64 v[2:3], v[4:5], -v[2:3]
	s_waitcnt vmcnt(0)
	v_add_f64 v[0:1], v[10:11], -v[0:1]
	buffer_store_dword v3, off, s[0:3], 0 offset:948
	buffer_store_dword v2, off, s[0:3], 0 offset:944
	;; [unrolled: 1-line block ×4, first 2 shown]
	ds_read2_b64 v[0:3], v40 offset0:120 offset1:121
	buffer_load_dword v4, off, s[0:3], 0 offset:848
	buffer_load_dword v5, off, s[0:3], 0 offset:852
	;; [unrolled: 1-line block ×4, first 2 shown]
	s_waitcnt vmcnt(0) lgkmcnt(0)
	v_mul_f64 v[12:13], v[2:3], v[10:11]
	v_fma_f64 v[12:13], v[0:1], v[4:5], -v[12:13]
	v_mul_f64 v[0:1], v[0:1], v[10:11]
	v_fma_f64 v[0:1], v[2:3], v[4:5], v[0:1]
	buffer_load_dword v3, off, s[0:3], 0 offset:964
	buffer_load_dword v2, off, s[0:3], 0 offset:960
	;; [unrolled: 1-line block ×4, first 2 shown]
	s_waitcnt vmcnt(2)
	v_add_f64 v[2:3], v[2:3], -v[12:13]
	s_waitcnt vmcnt(0)
	v_add_f64 v[0:1], v[4:5], -v[0:1]
	buffer_store_dword v3, off, s[0:3], 0 offset:964
	buffer_store_dword v2, off, s[0:3], 0 offset:960
	;; [unrolled: 1-line block ×4, first 2 shown]
.LBB120_1238:
	s_or_b64 exec, exec, s[4:5]
	v_mov_b32_e32 v3, s30
	s_waitcnt vmcnt(0)
	s_barrier
	buffer_load_dword v0, v3, s[0:3], 0 offen
	buffer_load_dword v1, v3, s[0:3], 0 offen offset:4
	buffer_load_dword v2, v3, s[0:3], 0 offen offset:8
	s_nop 0
	buffer_load_dword v3, v3, s[0:3], 0 offen offset:12
	v_lshl_add_u32 v4, v43, 4, v40
	s_cmp_lt_i32 s64, 56
	s_waitcnt vmcnt(0)
	ds_write2_b64 v4, v[0:1], v[2:3] offset1:1
	s_waitcnt lgkmcnt(0)
	s_barrier
	ds_read2_b64 v[0:3], v40 offset0:108 offset1:109
	v_mov_b32_e32 v4, 54
	s_cbranch_scc1 .LBB120_1241
; %bb.1239:
	v_add_u32_e32 v5, 0x370, v40
	s_mov_b32 s16, 55
	v_mov_b32_e32 v4, 54
.LBB120_1240:                           ; =>This Inner Loop Header: Depth=1
	s_waitcnt lgkmcnt(0)
	v_cmp_gt_f64_e32 vcc, 0, v[2:3]
	v_cmp_gt_f64_e64 s[4:5], 0, v[0:1]
	ds_read2_b64 v[10:13], v5 offset1:1
	v_xor_b32_e32 v15, 0x80000000, v1
	v_xor_b32_e32 v17, 0x80000000, v3
	v_mov_b32_e32 v14, v0
	v_mov_b32_e32 v16, v2
	s_waitcnt lgkmcnt(0)
	v_xor_b32_e32 v19, 0x80000000, v13
	v_cndmask_b32_e32 v17, v3, v17, vcc
	v_cndmask_b32_e64 v15, v1, v15, s[4:5]
	v_cmp_gt_f64_e32 vcc, 0, v[12:13]
	v_cmp_gt_f64_e64 s[4:5], 0, v[10:11]
	v_add_f64 v[14:15], v[14:15], v[16:17]
	v_xor_b32_e32 v17, 0x80000000, v11
	v_mov_b32_e32 v16, v10
	v_mov_b32_e32 v18, v12
	v_add_u32_e32 v5, 16, v5
	v_cndmask_b32_e32 v19, v13, v19, vcc
	v_cndmask_b32_e64 v17, v11, v17, s[4:5]
	v_add_f64 v[16:17], v[16:17], v[18:19]
	v_mov_b32_e32 v18, s16
	s_add_i32 s16, s16, 1
	s_cmp_lg_u32 s64, s16
	v_cmp_lt_f64_e32 vcc, v[14:15], v[16:17]
	v_cndmask_b32_e32 v1, v1, v11, vcc
	v_cndmask_b32_e32 v0, v0, v10, vcc
	;; [unrolled: 1-line block ×5, first 2 shown]
	s_cbranch_scc1 .LBB120_1240
.LBB120_1241:
	s_waitcnt lgkmcnt(0)
	v_cmp_eq_f64_e32 vcc, 0, v[0:1]
	v_cmp_eq_f64_e64 s[4:5], 0, v[2:3]
	s_and_b64 s[4:5], vcc, s[4:5]
	s_and_saveexec_b64 s[16:17], s[4:5]
	s_xor_b64 s[4:5], exec, s[16:17]
; %bb.1242:
	v_cmp_ne_u32_e32 vcc, 0, v41
	v_cndmask_b32_e32 v41, 55, v41, vcc
; %bb.1243:
	s_andn2_saveexec_b64 s[4:5], s[4:5]
	s_cbranch_execz .LBB120_1249
; %bb.1244:
	v_cmp_ngt_f64_e64 s[16:17], |v[0:1]|, |v[2:3]|
	s_and_saveexec_b64 s[18:19], s[16:17]
	s_xor_b64 s[18:19], exec, s[18:19]
	s_cbranch_execz .LBB120_1246
; %bb.1245:
	v_div_scale_f64 v[10:11], s[16:17], v[2:3], v[2:3], v[0:1]
	v_rcp_f64_e32 v[12:13], v[10:11]
	v_fma_f64 v[14:15], -v[10:11], v[12:13], 1.0
	v_fma_f64 v[12:13], v[12:13], v[14:15], v[12:13]
	v_div_scale_f64 v[14:15], vcc, v[0:1], v[2:3], v[0:1]
	v_fma_f64 v[16:17], -v[10:11], v[12:13], 1.0
	v_fma_f64 v[12:13], v[12:13], v[16:17], v[12:13]
	v_mul_f64 v[16:17], v[14:15], v[12:13]
	v_fma_f64 v[10:11], -v[10:11], v[16:17], v[14:15]
	v_div_fmas_f64 v[10:11], v[10:11], v[12:13], v[16:17]
	v_div_fixup_f64 v[10:11], v[10:11], v[2:3], v[0:1]
	v_fma_f64 v[0:1], v[0:1], v[10:11], v[2:3]
	v_div_scale_f64 v[2:3], s[16:17], v[0:1], v[0:1], 1.0
	v_div_scale_f64 v[16:17], vcc, 1.0, v[0:1], 1.0
	v_rcp_f64_e32 v[12:13], v[2:3]
	v_fma_f64 v[14:15], -v[2:3], v[12:13], 1.0
	v_fma_f64 v[12:13], v[12:13], v[14:15], v[12:13]
	v_fma_f64 v[14:15], -v[2:3], v[12:13], 1.0
	v_fma_f64 v[12:13], v[12:13], v[14:15], v[12:13]
	v_mul_f64 v[14:15], v[16:17], v[12:13]
	v_fma_f64 v[2:3], -v[2:3], v[14:15], v[16:17]
	v_div_fmas_f64 v[2:3], v[2:3], v[12:13], v[14:15]
	v_div_fixup_f64 v[2:3], v[2:3], v[0:1], 1.0
	v_mul_f64 v[0:1], v[10:11], v[2:3]
	v_xor_b32_e32 v3, 0x80000000, v3
.LBB120_1246:
	s_andn2_saveexec_b64 s[18:19], s[18:19]
	s_cbranch_execz .LBB120_1248
; %bb.1247:
	v_div_scale_f64 v[10:11], s[16:17], v[0:1], v[0:1], v[2:3]
	v_rcp_f64_e32 v[12:13], v[10:11]
	v_fma_f64 v[14:15], -v[10:11], v[12:13], 1.0
	v_fma_f64 v[12:13], v[12:13], v[14:15], v[12:13]
	v_div_scale_f64 v[14:15], vcc, v[2:3], v[0:1], v[2:3]
	v_fma_f64 v[16:17], -v[10:11], v[12:13], 1.0
	v_fma_f64 v[12:13], v[12:13], v[16:17], v[12:13]
	v_mul_f64 v[16:17], v[14:15], v[12:13]
	v_fma_f64 v[10:11], -v[10:11], v[16:17], v[14:15]
	v_div_fmas_f64 v[10:11], v[10:11], v[12:13], v[16:17]
	v_div_fixup_f64 v[10:11], v[10:11], v[0:1], v[2:3]
	v_fma_f64 v[0:1], v[2:3], v[10:11], v[0:1]
	v_div_scale_f64 v[2:3], s[16:17], v[0:1], v[0:1], 1.0
	v_div_scale_f64 v[16:17], vcc, 1.0, v[0:1], 1.0
	v_rcp_f64_e32 v[12:13], v[2:3]
	v_fma_f64 v[14:15], -v[2:3], v[12:13], 1.0
	v_fma_f64 v[12:13], v[12:13], v[14:15], v[12:13]
	v_fma_f64 v[14:15], -v[2:3], v[12:13], 1.0
	v_fma_f64 v[12:13], v[12:13], v[14:15], v[12:13]
	v_mul_f64 v[14:15], v[16:17], v[12:13]
	v_fma_f64 v[2:3], -v[2:3], v[14:15], v[16:17]
	v_div_fmas_f64 v[2:3], v[2:3], v[12:13], v[14:15]
	v_div_fixup_f64 v[0:1], v[2:3], v[0:1], 1.0
	v_mul_f64 v[2:3], v[10:11], -v[0:1]
.LBB120_1248:
	s_or_b64 exec, exec, s[18:19]
.LBB120_1249:
	s_or_b64 exec, exec, s[4:5]
	v_cmp_ne_u32_e32 vcc, v43, v4
	s_and_saveexec_b64 s[4:5], vcc
	s_xor_b64 s[4:5], exec, s[4:5]
	s_cbranch_execz .LBB120_1255
; %bb.1250:
	v_cmp_eq_u32_e32 vcc, 54, v43
	s_and_saveexec_b64 s[18:19], vcc
	s_cbranch_execz .LBB120_1254
; %bb.1251:
	v_cmp_ne_u32_e32 vcc, 54, v4
	s_xor_b64 s[16:17], s[22:23], -1
	s_and_b64 s[16:17], s[16:17], vcc
	s_and_saveexec_b64 s[24:25], s[16:17]
	s_cbranch_execz .LBB120_1253
; %bb.1252:
	v_ashrrev_i32_e32 v5, 31, v4
	v_lshlrev_b64 v[10:11], 2, v[4:5]
	v_add_co_u32_e32 v10, vcc, v8, v10
	v_addc_co_u32_e32 v11, vcc, v9, v11, vcc
	global_load_dword v5, v[10:11], off
	global_load_dword v12, v[8:9], off offset:216
	s_waitcnt vmcnt(1)
	global_store_dword v[8:9], v5, off offset:216
	s_waitcnt vmcnt(1)
	global_store_dword v[10:11], v12, off
.LBB120_1253:
	s_or_b64 exec, exec, s[24:25]
	v_mov_b32_e32 v43, v4
	v_mov_b32_e32 v42, v4
.LBB120_1254:
	s_or_b64 exec, exec, s[18:19]
.LBB120_1255:
	s_andn2_saveexec_b64 s[4:5], s[4:5]
	s_cbranch_execz .LBB120_1257
; %bb.1256:
	v_mov_b32_e32 v11, s29
	v_mov_b32_e32 v15, s28
	;; [unrolled: 1-line block ×6, first 2 shown]
	buffer_load_dword v4, v11, s[0:3], 0 offen
	buffer_load_dword v5, v11, s[0:3], 0 offen offset:4
	buffer_load_dword v10, v11, s[0:3], 0 offen offset:8
	s_nop 0
	buffer_load_dword v11, v11, s[0:3], 0 offen offset:12
	s_nop 0
	buffer_load_dword v12, v15, s[0:3], 0 offen
	buffer_load_dword v13, v15, s[0:3], 0 offen offset:4
	buffer_load_dword v14, v15, s[0:3], 0 offen offset:8
	s_nop 0
	buffer_load_dword v15, v15, s[0:3], 0 offen offset:12
	s_nop 0
	;; [unrolled: 6-line block ×5, first 2 shown]
	buffer_load_dword v28, v31, s[0:3], 0 offen
	buffer_load_dword v29, v31, s[0:3], 0 offen offset:4
	buffer_load_dword v30, v31, s[0:3], 0 offen offset:8
	s_nop 0
	buffer_load_dword v31, v31, s[0:3], 0 offen offset:12
	v_mov_b32_e32 v43, 54
	s_waitcnt vmcnt(20)
	ds_write2_b64 v40, v[4:5], v[10:11] offset0:110 offset1:111
	s_waitcnt vmcnt(16)
	ds_write2_b64 v40, v[12:13], v[14:15] offset0:112 offset1:113
	;; [unrolled: 2-line block ×6, first 2 shown]
.LBB120_1257:
	s_or_b64 exec, exec, s[4:5]
	v_cmp_lt_i32_e32 vcc, 54, v43
	s_waitcnt vmcnt(0) lgkmcnt(0)
	s_barrier
	s_and_saveexec_b64 s[4:5], vcc
	s_cbranch_execz .LBB120_1259
; %bb.1258:
	buffer_load_dword v4, off, s[0:3], 0 offset:864
	buffer_load_dword v5, off, s[0:3], 0 offset:868
	;; [unrolled: 1-line block ×16, first 2 shown]
	s_waitcnt vmcnt(12)
	v_mul_f64 v[24:25], v[2:3], v[10:11]
	v_fma_f64 v[24:25], v[0:1], v[4:5], -v[24:25]
	v_mul_f64 v[0:1], v[0:1], v[10:11]
	v_fma_f64 v[4:5], v[2:3], v[4:5], v[0:1]
	buffer_store_dword v24, off, s[0:3], 0 offset:864
	buffer_store_dword v25, off, s[0:3], 0 offset:868
	buffer_store_dword v4, off, s[0:3], 0 offset:872
	buffer_store_dword v5, off, s[0:3], 0 offset:876
	ds_read2_b64 v[0:3], v40 offset0:110 offset1:111
	s_waitcnt lgkmcnt(0)
	v_mul_f64 v[10:11], v[2:3], v[4:5]
	v_fma_f64 v[10:11], v[0:1], v[24:25], -v[10:11]
	v_mul_f64 v[0:1], v[0:1], v[4:5]
	v_fma_f64 v[0:1], v[2:3], v[24:25], v[0:1]
	s_waitcnt vmcnt(14)
	v_add_f64 v[2:3], v[12:13], -v[10:11]
	s_waitcnt vmcnt(12)
	v_add_f64 v[0:1], v[14:15], -v[0:1]
	buffer_store_dword v2, off, s[0:3], 0 offset:880
	buffer_store_dword v3, off, s[0:3], 0 offset:884
	buffer_store_dword v0, off, s[0:3], 0 offset:888
	buffer_store_dword v1, off, s[0:3], 0 offset:892
	ds_read2_b64 v[0:3], v40 offset0:112 offset1:113
	s_waitcnt lgkmcnt(0)
	v_mul_f64 v[10:11], v[2:3], v[4:5]
	v_fma_f64 v[10:11], v[0:1], v[24:25], -v[10:11]
	v_mul_f64 v[0:1], v[0:1], v[4:5]
	v_fma_f64 v[0:1], v[2:3], v[24:25], v[0:1]
	s_waitcnt vmcnt(14)
	v_add_f64 v[2:3], v[16:17], -v[10:11]
	s_waitcnt vmcnt(12)
	v_add_f64 v[0:1], v[18:19], -v[0:1]
	;; [unrolled: 14-line block ×3, first 2 shown]
	buffer_store_dword v3, off, s[0:3], 0 offset:916
	buffer_store_dword v2, off, s[0:3], 0 offset:912
	buffer_store_dword v0, off, s[0:3], 0 offset:920
	buffer_store_dword v1, off, s[0:3], 0 offset:924
	ds_read2_b64 v[0:3], v40 offset0:116 offset1:117
	s_waitcnt lgkmcnt(0)
	v_mul_f64 v[10:11], v[2:3], v[4:5]
	v_fma_f64 v[10:11], v[0:1], v[24:25], -v[10:11]
	v_mul_f64 v[0:1], v[0:1], v[4:5]
	v_fma_f64 v[0:1], v[2:3], v[24:25], v[0:1]
	buffer_load_dword v2, off, s[0:3], 0 offset:928
	buffer_load_dword v3, off, s[0:3], 0 offset:932
	buffer_load_dword v12, off, s[0:3], 0 offset:936
	buffer_load_dword v13, off, s[0:3], 0 offset:940
	s_waitcnt vmcnt(2)
	v_add_f64 v[2:3], v[2:3], -v[10:11]
	s_waitcnt vmcnt(0)
	v_add_f64 v[0:1], v[12:13], -v[0:1]
	buffer_store_dword v3, off, s[0:3], 0 offset:932
	buffer_store_dword v2, off, s[0:3], 0 offset:928
	buffer_store_dword v1, off, s[0:3], 0 offset:940
	buffer_store_dword v0, off, s[0:3], 0 offset:936
	ds_read2_b64 v[0:3], v40 offset0:118 offset1:119
	s_waitcnt lgkmcnt(0)
	v_mul_f64 v[10:11], v[2:3], v[4:5]
	v_fma_f64 v[10:11], v[0:1], v[24:25], -v[10:11]
	v_mul_f64 v[0:1], v[0:1], v[4:5]
	v_fma_f64 v[0:1], v[2:3], v[24:25], v[0:1]
	buffer_load_dword v2, off, s[0:3], 0 offset:944
	buffer_load_dword v3, off, s[0:3], 0 offset:948
	buffer_load_dword v12, off, s[0:3], 0 offset:952
	buffer_load_dword v13, off, s[0:3], 0 offset:956
	s_waitcnt vmcnt(2)
	v_add_f64 v[2:3], v[2:3], -v[10:11]
	s_waitcnt vmcnt(0)
	v_add_f64 v[0:1], v[12:13], -v[0:1]
	;; [unrolled: 18-line block ×3, first 2 shown]
	buffer_store_dword v3, off, s[0:3], 0 offset:964
	buffer_store_dword v2, off, s[0:3], 0 offset:960
	;; [unrolled: 1-line block ×4, first 2 shown]
.LBB120_1259:
	s_or_b64 exec, exec, s[4:5]
	v_mov_b32_e32 v3, s29
	s_waitcnt vmcnt(0)
	s_barrier
	buffer_load_dword v0, v3, s[0:3], 0 offen
	buffer_load_dword v1, v3, s[0:3], 0 offen offset:4
	buffer_load_dword v2, v3, s[0:3], 0 offen offset:8
	s_nop 0
	buffer_load_dword v3, v3, s[0:3], 0 offen offset:12
	v_lshl_add_u32 v4, v43, 4, v40
	s_cmp_lt_i32 s64, 57
	s_waitcnt vmcnt(0)
	ds_write2_b64 v4, v[0:1], v[2:3] offset1:1
	s_waitcnt lgkmcnt(0)
	s_barrier
	ds_read2_b64 v[0:3], v40 offset0:110 offset1:111
	v_mov_b32_e32 v4, 55
	s_cbranch_scc1 .LBB120_1262
; %bb.1260:
	v_add_u32_e32 v5, 0x380, v40
	s_mov_b32 s16, 56
	v_mov_b32_e32 v4, 55
.LBB120_1261:                           ; =>This Inner Loop Header: Depth=1
	s_waitcnt lgkmcnt(0)
	v_cmp_gt_f64_e32 vcc, 0, v[2:3]
	v_cmp_gt_f64_e64 s[4:5], 0, v[0:1]
	ds_read2_b64 v[10:13], v5 offset1:1
	v_xor_b32_e32 v15, 0x80000000, v1
	v_xor_b32_e32 v17, 0x80000000, v3
	v_mov_b32_e32 v14, v0
	v_mov_b32_e32 v16, v2
	s_waitcnt lgkmcnt(0)
	v_xor_b32_e32 v19, 0x80000000, v13
	v_cndmask_b32_e32 v17, v3, v17, vcc
	v_cndmask_b32_e64 v15, v1, v15, s[4:5]
	v_cmp_gt_f64_e32 vcc, 0, v[12:13]
	v_cmp_gt_f64_e64 s[4:5], 0, v[10:11]
	v_add_f64 v[14:15], v[14:15], v[16:17]
	v_xor_b32_e32 v17, 0x80000000, v11
	v_mov_b32_e32 v16, v10
	v_mov_b32_e32 v18, v12
	v_add_u32_e32 v5, 16, v5
	v_cndmask_b32_e32 v19, v13, v19, vcc
	v_cndmask_b32_e64 v17, v11, v17, s[4:5]
	v_add_f64 v[16:17], v[16:17], v[18:19]
	v_mov_b32_e32 v18, s16
	s_add_i32 s16, s16, 1
	s_cmp_lg_u32 s64, s16
	v_cmp_lt_f64_e32 vcc, v[14:15], v[16:17]
	v_cndmask_b32_e32 v1, v1, v11, vcc
	v_cndmask_b32_e32 v0, v0, v10, vcc
	;; [unrolled: 1-line block ×5, first 2 shown]
	s_cbranch_scc1 .LBB120_1261
.LBB120_1262:
	s_waitcnt lgkmcnt(0)
	v_cmp_eq_f64_e32 vcc, 0, v[0:1]
	v_cmp_eq_f64_e64 s[4:5], 0, v[2:3]
	s_and_b64 s[4:5], vcc, s[4:5]
	s_and_saveexec_b64 s[16:17], s[4:5]
	s_xor_b64 s[4:5], exec, s[16:17]
; %bb.1263:
	v_cmp_ne_u32_e32 vcc, 0, v41
	v_cndmask_b32_e32 v41, 56, v41, vcc
; %bb.1264:
	s_andn2_saveexec_b64 s[4:5], s[4:5]
	s_cbranch_execz .LBB120_1270
; %bb.1265:
	v_cmp_ngt_f64_e64 s[16:17], |v[0:1]|, |v[2:3]|
	s_and_saveexec_b64 s[18:19], s[16:17]
	s_xor_b64 s[18:19], exec, s[18:19]
	s_cbranch_execz .LBB120_1267
; %bb.1266:
	v_div_scale_f64 v[10:11], s[16:17], v[2:3], v[2:3], v[0:1]
	v_rcp_f64_e32 v[12:13], v[10:11]
	v_fma_f64 v[14:15], -v[10:11], v[12:13], 1.0
	v_fma_f64 v[12:13], v[12:13], v[14:15], v[12:13]
	v_div_scale_f64 v[14:15], vcc, v[0:1], v[2:3], v[0:1]
	v_fma_f64 v[16:17], -v[10:11], v[12:13], 1.0
	v_fma_f64 v[12:13], v[12:13], v[16:17], v[12:13]
	v_mul_f64 v[16:17], v[14:15], v[12:13]
	v_fma_f64 v[10:11], -v[10:11], v[16:17], v[14:15]
	v_div_fmas_f64 v[10:11], v[10:11], v[12:13], v[16:17]
	v_div_fixup_f64 v[10:11], v[10:11], v[2:3], v[0:1]
	v_fma_f64 v[0:1], v[0:1], v[10:11], v[2:3]
	v_div_scale_f64 v[2:3], s[16:17], v[0:1], v[0:1], 1.0
	v_div_scale_f64 v[16:17], vcc, 1.0, v[0:1], 1.0
	v_rcp_f64_e32 v[12:13], v[2:3]
	v_fma_f64 v[14:15], -v[2:3], v[12:13], 1.0
	v_fma_f64 v[12:13], v[12:13], v[14:15], v[12:13]
	v_fma_f64 v[14:15], -v[2:3], v[12:13], 1.0
	v_fma_f64 v[12:13], v[12:13], v[14:15], v[12:13]
	v_mul_f64 v[14:15], v[16:17], v[12:13]
	v_fma_f64 v[2:3], -v[2:3], v[14:15], v[16:17]
	v_div_fmas_f64 v[2:3], v[2:3], v[12:13], v[14:15]
	v_div_fixup_f64 v[2:3], v[2:3], v[0:1], 1.0
	v_mul_f64 v[0:1], v[10:11], v[2:3]
	v_xor_b32_e32 v3, 0x80000000, v3
.LBB120_1267:
	s_andn2_saveexec_b64 s[18:19], s[18:19]
	s_cbranch_execz .LBB120_1269
; %bb.1268:
	v_div_scale_f64 v[10:11], s[16:17], v[0:1], v[0:1], v[2:3]
	v_rcp_f64_e32 v[12:13], v[10:11]
	v_fma_f64 v[14:15], -v[10:11], v[12:13], 1.0
	v_fma_f64 v[12:13], v[12:13], v[14:15], v[12:13]
	v_div_scale_f64 v[14:15], vcc, v[2:3], v[0:1], v[2:3]
	v_fma_f64 v[16:17], -v[10:11], v[12:13], 1.0
	v_fma_f64 v[12:13], v[12:13], v[16:17], v[12:13]
	v_mul_f64 v[16:17], v[14:15], v[12:13]
	v_fma_f64 v[10:11], -v[10:11], v[16:17], v[14:15]
	v_div_fmas_f64 v[10:11], v[10:11], v[12:13], v[16:17]
	v_div_fixup_f64 v[10:11], v[10:11], v[0:1], v[2:3]
	v_fma_f64 v[0:1], v[2:3], v[10:11], v[0:1]
	v_div_scale_f64 v[2:3], s[16:17], v[0:1], v[0:1], 1.0
	v_div_scale_f64 v[16:17], vcc, 1.0, v[0:1], 1.0
	v_rcp_f64_e32 v[12:13], v[2:3]
	v_fma_f64 v[14:15], -v[2:3], v[12:13], 1.0
	v_fma_f64 v[12:13], v[12:13], v[14:15], v[12:13]
	v_fma_f64 v[14:15], -v[2:3], v[12:13], 1.0
	v_fma_f64 v[12:13], v[12:13], v[14:15], v[12:13]
	v_mul_f64 v[14:15], v[16:17], v[12:13]
	v_fma_f64 v[2:3], -v[2:3], v[14:15], v[16:17]
	v_div_fmas_f64 v[2:3], v[2:3], v[12:13], v[14:15]
	v_div_fixup_f64 v[0:1], v[2:3], v[0:1], 1.0
	v_mul_f64 v[2:3], v[10:11], -v[0:1]
.LBB120_1269:
	s_or_b64 exec, exec, s[18:19]
.LBB120_1270:
	s_or_b64 exec, exec, s[4:5]
	v_cmp_ne_u32_e32 vcc, v43, v4
	s_and_saveexec_b64 s[4:5], vcc
	s_xor_b64 s[4:5], exec, s[4:5]
	s_cbranch_execz .LBB120_1276
; %bb.1271:
	v_cmp_eq_u32_e32 vcc, 55, v43
	s_and_saveexec_b64 s[18:19], vcc
	s_cbranch_execz .LBB120_1275
; %bb.1272:
	v_cmp_ne_u32_e32 vcc, 55, v4
	s_xor_b64 s[16:17], s[22:23], -1
	s_and_b64 s[16:17], s[16:17], vcc
	s_and_saveexec_b64 s[24:25], s[16:17]
	s_cbranch_execz .LBB120_1274
; %bb.1273:
	v_ashrrev_i32_e32 v5, 31, v4
	v_lshlrev_b64 v[10:11], 2, v[4:5]
	v_add_co_u32_e32 v10, vcc, v8, v10
	v_addc_co_u32_e32 v11, vcc, v9, v11, vcc
	global_load_dword v5, v[10:11], off
	global_load_dword v12, v[8:9], off offset:220
	s_waitcnt vmcnt(1)
	global_store_dword v[8:9], v5, off offset:220
	s_waitcnt vmcnt(1)
	global_store_dword v[10:11], v12, off
.LBB120_1274:
	s_or_b64 exec, exec, s[24:25]
	v_mov_b32_e32 v43, v4
	v_mov_b32_e32 v42, v4
.LBB120_1275:
	s_or_b64 exec, exec, s[18:19]
.LBB120_1276:
	s_andn2_saveexec_b64 s[4:5], s[4:5]
	s_cbranch_execz .LBB120_1278
; %bb.1277:
	v_mov_b32_e32 v11, s28
	v_mov_b32_e32 v15, s27
	;; [unrolled: 1-line block ×5, first 2 shown]
	buffer_load_dword v4, v11, s[0:3], 0 offen
	buffer_load_dword v5, v11, s[0:3], 0 offen offset:4
	buffer_load_dword v10, v11, s[0:3], 0 offen offset:8
	s_nop 0
	buffer_load_dword v11, v11, s[0:3], 0 offen offset:12
	s_nop 0
	buffer_load_dword v12, v15, s[0:3], 0 offen
	buffer_load_dword v13, v15, s[0:3], 0 offen offset:4
	buffer_load_dword v14, v15, s[0:3], 0 offen offset:8
	s_nop 0
	buffer_load_dword v15, v15, s[0:3], 0 offen offset:12
	s_nop 0
	;; [unrolled: 6-line block ×4, first 2 shown]
	buffer_load_dword v24, v27, s[0:3], 0 offen
	buffer_load_dword v25, v27, s[0:3], 0 offen offset:4
	buffer_load_dword v26, v27, s[0:3], 0 offen offset:8
	s_nop 0
	buffer_load_dword v27, v27, s[0:3], 0 offen offset:12
	v_mov_b32_e32 v43, 55
	s_waitcnt vmcnt(16)
	ds_write2_b64 v40, v[4:5], v[10:11] offset0:112 offset1:113
	s_waitcnt vmcnt(12)
	ds_write2_b64 v40, v[12:13], v[14:15] offset0:114 offset1:115
	;; [unrolled: 2-line block ×5, first 2 shown]
.LBB120_1278:
	s_or_b64 exec, exec, s[4:5]
	v_cmp_lt_i32_e32 vcc, 55, v43
	s_waitcnt vmcnt(0) lgkmcnt(0)
	s_barrier
	s_and_saveexec_b64 s[4:5], vcc
	s_cbranch_execz .LBB120_1280
; %bb.1279:
	buffer_load_dword v4, off, s[0:3], 0 offset:880
	buffer_load_dword v5, off, s[0:3], 0 offset:884
	buffer_load_dword v10, off, s[0:3], 0 offset:888
	buffer_load_dword v11, off, s[0:3], 0 offset:892
	buffer_load_dword v12, off, s[0:3], 0 offset:896
	buffer_load_dword v13, off, s[0:3], 0 offset:900
	buffer_load_dword v14, off, s[0:3], 0 offset:904
	buffer_load_dword v15, off, s[0:3], 0 offset:908
	buffer_load_dword v16, off, s[0:3], 0 offset:912
	buffer_load_dword v17, off, s[0:3], 0 offset:916
	buffer_load_dword v18, off, s[0:3], 0 offset:920
	buffer_load_dword v19, off, s[0:3], 0 offset:924
	buffer_load_dword v20, off, s[0:3], 0 offset:928
	buffer_load_dword v21, off, s[0:3], 0 offset:932
	buffer_load_dword v22, off, s[0:3], 0 offset:936
	buffer_load_dword v23, off, s[0:3], 0 offset:940
	s_waitcnt vmcnt(12)
	v_mul_f64 v[24:25], v[2:3], v[10:11]
	v_fma_f64 v[24:25], v[0:1], v[4:5], -v[24:25]
	v_mul_f64 v[0:1], v[0:1], v[10:11]
	v_fma_f64 v[4:5], v[2:3], v[4:5], v[0:1]
	buffer_store_dword v24, off, s[0:3], 0 offset:880
	buffer_store_dword v25, off, s[0:3], 0 offset:884
	buffer_store_dword v4, off, s[0:3], 0 offset:888
	buffer_store_dword v5, off, s[0:3], 0 offset:892
	ds_read2_b64 v[0:3], v40 offset0:112 offset1:113
	s_waitcnt lgkmcnt(0)
	v_mul_f64 v[10:11], v[2:3], v[4:5]
	v_fma_f64 v[10:11], v[0:1], v[24:25], -v[10:11]
	v_mul_f64 v[0:1], v[0:1], v[4:5]
	v_fma_f64 v[0:1], v[2:3], v[24:25], v[0:1]
	s_waitcnt vmcnt(14)
	v_add_f64 v[2:3], v[12:13], -v[10:11]
	s_waitcnt vmcnt(12)
	v_add_f64 v[0:1], v[14:15], -v[0:1]
	buffer_store_dword v2, off, s[0:3], 0 offset:896
	buffer_store_dword v3, off, s[0:3], 0 offset:900
	buffer_store_dword v0, off, s[0:3], 0 offset:904
	buffer_store_dword v1, off, s[0:3], 0 offset:908
	ds_read2_b64 v[0:3], v40 offset0:114 offset1:115
	s_waitcnt lgkmcnt(0)
	v_mul_f64 v[10:11], v[2:3], v[4:5]
	v_fma_f64 v[10:11], v[0:1], v[24:25], -v[10:11]
	v_mul_f64 v[0:1], v[0:1], v[4:5]
	v_fma_f64 v[0:1], v[2:3], v[24:25], v[0:1]
	s_waitcnt vmcnt(14)
	v_add_f64 v[2:3], v[16:17], -v[10:11]
	s_waitcnt vmcnt(12)
	v_add_f64 v[0:1], v[18:19], -v[0:1]
	;; [unrolled: 14-line block ×3, first 2 shown]
	buffer_store_dword v3, off, s[0:3], 0 offset:932
	buffer_store_dword v2, off, s[0:3], 0 offset:928
	;; [unrolled: 1-line block ×4, first 2 shown]
	ds_read2_b64 v[0:3], v40 offset0:118 offset1:119
	s_waitcnt lgkmcnt(0)
	v_mul_f64 v[10:11], v[2:3], v[4:5]
	v_fma_f64 v[10:11], v[0:1], v[24:25], -v[10:11]
	v_mul_f64 v[0:1], v[0:1], v[4:5]
	v_fma_f64 v[0:1], v[2:3], v[24:25], v[0:1]
	buffer_load_dword v2, off, s[0:3], 0 offset:944
	buffer_load_dword v3, off, s[0:3], 0 offset:948
	;; [unrolled: 1-line block ×4, first 2 shown]
	s_waitcnt vmcnt(2)
	v_add_f64 v[2:3], v[2:3], -v[10:11]
	s_waitcnt vmcnt(0)
	v_add_f64 v[0:1], v[12:13], -v[0:1]
	buffer_store_dword v3, off, s[0:3], 0 offset:948
	buffer_store_dword v2, off, s[0:3], 0 offset:944
	;; [unrolled: 1-line block ×4, first 2 shown]
	ds_read2_b64 v[0:3], v40 offset0:120 offset1:121
	s_waitcnt lgkmcnt(0)
	v_mul_f64 v[10:11], v[2:3], v[4:5]
	v_fma_f64 v[10:11], v[0:1], v[24:25], -v[10:11]
	v_mul_f64 v[0:1], v[0:1], v[4:5]
	v_fma_f64 v[0:1], v[2:3], v[24:25], v[0:1]
	buffer_load_dword v2, off, s[0:3], 0 offset:960
	buffer_load_dword v3, off, s[0:3], 0 offset:964
	buffer_load_dword v4, off, s[0:3], 0 offset:968
	buffer_load_dword v5, off, s[0:3], 0 offset:972
	s_waitcnt vmcnt(2)
	v_add_f64 v[2:3], v[2:3], -v[10:11]
	s_waitcnt vmcnt(0)
	v_add_f64 v[0:1], v[4:5], -v[0:1]
	buffer_store_dword v3, off, s[0:3], 0 offset:964
	buffer_store_dword v2, off, s[0:3], 0 offset:960
	buffer_store_dword v1, off, s[0:3], 0 offset:972
	buffer_store_dword v0, off, s[0:3], 0 offset:968
.LBB120_1280:
	s_or_b64 exec, exec, s[4:5]
	v_mov_b32_e32 v3, s28
	s_waitcnt vmcnt(0)
	s_barrier
	buffer_load_dword v0, v3, s[0:3], 0 offen
	buffer_load_dword v1, v3, s[0:3], 0 offen offset:4
	buffer_load_dword v2, v3, s[0:3], 0 offen offset:8
	s_nop 0
	buffer_load_dword v3, v3, s[0:3], 0 offen offset:12
	v_lshl_add_u32 v4, v43, 4, v40
	s_cmp_lt_i32 s64, 58
	s_waitcnt vmcnt(0)
	ds_write2_b64 v4, v[0:1], v[2:3] offset1:1
	s_waitcnt lgkmcnt(0)
	s_barrier
	ds_read2_b64 v[0:3], v40 offset0:112 offset1:113
	v_mov_b32_e32 v4, 56
	s_cbranch_scc1 .LBB120_1283
; %bb.1281:
	v_add_u32_e32 v5, 0x390, v40
	s_mov_b32 s16, 57
	v_mov_b32_e32 v4, 56
.LBB120_1282:                           ; =>This Inner Loop Header: Depth=1
	s_waitcnt lgkmcnt(0)
	v_cmp_gt_f64_e32 vcc, 0, v[2:3]
	v_cmp_gt_f64_e64 s[4:5], 0, v[0:1]
	ds_read2_b64 v[10:13], v5 offset1:1
	v_xor_b32_e32 v15, 0x80000000, v1
	v_xor_b32_e32 v17, 0x80000000, v3
	v_mov_b32_e32 v14, v0
	v_mov_b32_e32 v16, v2
	s_waitcnt lgkmcnt(0)
	v_xor_b32_e32 v19, 0x80000000, v13
	v_cndmask_b32_e32 v17, v3, v17, vcc
	v_cndmask_b32_e64 v15, v1, v15, s[4:5]
	v_cmp_gt_f64_e32 vcc, 0, v[12:13]
	v_cmp_gt_f64_e64 s[4:5], 0, v[10:11]
	v_add_f64 v[14:15], v[14:15], v[16:17]
	v_xor_b32_e32 v17, 0x80000000, v11
	v_mov_b32_e32 v16, v10
	v_mov_b32_e32 v18, v12
	v_add_u32_e32 v5, 16, v5
	v_cndmask_b32_e32 v19, v13, v19, vcc
	v_cndmask_b32_e64 v17, v11, v17, s[4:5]
	v_add_f64 v[16:17], v[16:17], v[18:19]
	v_mov_b32_e32 v18, s16
	s_add_i32 s16, s16, 1
	s_cmp_lg_u32 s64, s16
	v_cmp_lt_f64_e32 vcc, v[14:15], v[16:17]
	v_cndmask_b32_e32 v1, v1, v11, vcc
	v_cndmask_b32_e32 v0, v0, v10, vcc
	;; [unrolled: 1-line block ×5, first 2 shown]
	s_cbranch_scc1 .LBB120_1282
.LBB120_1283:
	s_waitcnt lgkmcnt(0)
	v_cmp_eq_f64_e32 vcc, 0, v[0:1]
	v_cmp_eq_f64_e64 s[4:5], 0, v[2:3]
	s_and_b64 s[4:5], vcc, s[4:5]
	s_and_saveexec_b64 s[16:17], s[4:5]
	s_xor_b64 s[4:5], exec, s[16:17]
; %bb.1284:
	v_cmp_ne_u32_e32 vcc, 0, v41
	v_cndmask_b32_e32 v41, 57, v41, vcc
; %bb.1285:
	s_andn2_saveexec_b64 s[4:5], s[4:5]
	s_cbranch_execz .LBB120_1291
; %bb.1286:
	v_cmp_ngt_f64_e64 s[16:17], |v[0:1]|, |v[2:3]|
	s_and_saveexec_b64 s[18:19], s[16:17]
	s_xor_b64 s[18:19], exec, s[18:19]
	s_cbranch_execz .LBB120_1288
; %bb.1287:
	v_div_scale_f64 v[10:11], s[16:17], v[2:3], v[2:3], v[0:1]
	v_rcp_f64_e32 v[12:13], v[10:11]
	v_fma_f64 v[14:15], -v[10:11], v[12:13], 1.0
	v_fma_f64 v[12:13], v[12:13], v[14:15], v[12:13]
	v_div_scale_f64 v[14:15], vcc, v[0:1], v[2:3], v[0:1]
	v_fma_f64 v[16:17], -v[10:11], v[12:13], 1.0
	v_fma_f64 v[12:13], v[12:13], v[16:17], v[12:13]
	v_mul_f64 v[16:17], v[14:15], v[12:13]
	v_fma_f64 v[10:11], -v[10:11], v[16:17], v[14:15]
	v_div_fmas_f64 v[10:11], v[10:11], v[12:13], v[16:17]
	v_div_fixup_f64 v[10:11], v[10:11], v[2:3], v[0:1]
	v_fma_f64 v[0:1], v[0:1], v[10:11], v[2:3]
	v_div_scale_f64 v[2:3], s[16:17], v[0:1], v[0:1], 1.0
	v_div_scale_f64 v[16:17], vcc, 1.0, v[0:1], 1.0
	v_rcp_f64_e32 v[12:13], v[2:3]
	v_fma_f64 v[14:15], -v[2:3], v[12:13], 1.0
	v_fma_f64 v[12:13], v[12:13], v[14:15], v[12:13]
	v_fma_f64 v[14:15], -v[2:3], v[12:13], 1.0
	v_fma_f64 v[12:13], v[12:13], v[14:15], v[12:13]
	v_mul_f64 v[14:15], v[16:17], v[12:13]
	v_fma_f64 v[2:3], -v[2:3], v[14:15], v[16:17]
	v_div_fmas_f64 v[2:3], v[2:3], v[12:13], v[14:15]
	v_div_fixup_f64 v[2:3], v[2:3], v[0:1], 1.0
	v_mul_f64 v[0:1], v[10:11], v[2:3]
	v_xor_b32_e32 v3, 0x80000000, v3
.LBB120_1288:
	s_andn2_saveexec_b64 s[18:19], s[18:19]
	s_cbranch_execz .LBB120_1290
; %bb.1289:
	v_div_scale_f64 v[10:11], s[16:17], v[0:1], v[0:1], v[2:3]
	v_rcp_f64_e32 v[12:13], v[10:11]
	v_fma_f64 v[14:15], -v[10:11], v[12:13], 1.0
	v_fma_f64 v[12:13], v[12:13], v[14:15], v[12:13]
	v_div_scale_f64 v[14:15], vcc, v[2:3], v[0:1], v[2:3]
	v_fma_f64 v[16:17], -v[10:11], v[12:13], 1.0
	v_fma_f64 v[12:13], v[12:13], v[16:17], v[12:13]
	v_mul_f64 v[16:17], v[14:15], v[12:13]
	v_fma_f64 v[10:11], -v[10:11], v[16:17], v[14:15]
	v_div_fmas_f64 v[10:11], v[10:11], v[12:13], v[16:17]
	v_div_fixup_f64 v[10:11], v[10:11], v[0:1], v[2:3]
	v_fma_f64 v[0:1], v[2:3], v[10:11], v[0:1]
	v_div_scale_f64 v[2:3], s[16:17], v[0:1], v[0:1], 1.0
	v_div_scale_f64 v[16:17], vcc, 1.0, v[0:1], 1.0
	v_rcp_f64_e32 v[12:13], v[2:3]
	v_fma_f64 v[14:15], -v[2:3], v[12:13], 1.0
	v_fma_f64 v[12:13], v[12:13], v[14:15], v[12:13]
	v_fma_f64 v[14:15], -v[2:3], v[12:13], 1.0
	v_fma_f64 v[12:13], v[12:13], v[14:15], v[12:13]
	v_mul_f64 v[14:15], v[16:17], v[12:13]
	v_fma_f64 v[2:3], -v[2:3], v[14:15], v[16:17]
	v_div_fmas_f64 v[2:3], v[2:3], v[12:13], v[14:15]
	v_div_fixup_f64 v[0:1], v[2:3], v[0:1], 1.0
	v_mul_f64 v[2:3], v[10:11], -v[0:1]
.LBB120_1290:
	s_or_b64 exec, exec, s[18:19]
.LBB120_1291:
	s_or_b64 exec, exec, s[4:5]
	v_cmp_ne_u32_e32 vcc, v43, v4
	s_and_saveexec_b64 s[4:5], vcc
	s_xor_b64 s[4:5], exec, s[4:5]
	s_cbranch_execz .LBB120_1297
; %bb.1292:
	v_cmp_eq_u32_e32 vcc, 56, v43
	s_and_saveexec_b64 s[18:19], vcc
	s_cbranch_execz .LBB120_1296
; %bb.1293:
	v_cmp_ne_u32_e32 vcc, 56, v4
	s_xor_b64 s[16:17], s[22:23], -1
	s_and_b64 s[16:17], s[16:17], vcc
	s_and_saveexec_b64 s[24:25], s[16:17]
	s_cbranch_execz .LBB120_1295
; %bb.1294:
	v_ashrrev_i32_e32 v5, 31, v4
	v_lshlrev_b64 v[10:11], 2, v[4:5]
	v_add_co_u32_e32 v10, vcc, v8, v10
	v_addc_co_u32_e32 v11, vcc, v9, v11, vcc
	global_load_dword v5, v[10:11], off
	global_load_dword v12, v[8:9], off offset:224
	s_waitcnt vmcnt(1)
	global_store_dword v[8:9], v5, off offset:224
	s_waitcnt vmcnt(1)
	global_store_dword v[10:11], v12, off
.LBB120_1295:
	s_or_b64 exec, exec, s[24:25]
	v_mov_b32_e32 v43, v4
	v_mov_b32_e32 v42, v4
.LBB120_1296:
	s_or_b64 exec, exec, s[18:19]
.LBB120_1297:
	s_andn2_saveexec_b64 s[4:5], s[4:5]
	s_cbranch_execz .LBB120_1299
; %bb.1298:
	v_mov_b32_e32 v11, s27
	v_mov_b32_e32 v15, s26
	v_mov_b32_e32 v19, s20
	v_mov_b32_e32 v23, s7
	buffer_load_dword v4, v11, s[0:3], 0 offen
	buffer_load_dword v5, v11, s[0:3], 0 offen offset:4
	buffer_load_dword v10, v11, s[0:3], 0 offen offset:8
	s_nop 0
	buffer_load_dword v11, v11, s[0:3], 0 offen offset:12
	s_nop 0
	buffer_load_dword v12, v15, s[0:3], 0 offen
	buffer_load_dword v13, v15, s[0:3], 0 offen offset:4
	buffer_load_dword v14, v15, s[0:3], 0 offen offset:8
	s_nop 0
	buffer_load_dword v15, v15, s[0:3], 0 offen offset:12
	s_nop 0
	;; [unrolled: 6-line block ×3, first 2 shown]
	buffer_load_dword v20, v23, s[0:3], 0 offen
	buffer_load_dword v21, v23, s[0:3], 0 offen offset:4
	buffer_load_dword v22, v23, s[0:3], 0 offen offset:8
	s_nop 0
	buffer_load_dword v23, v23, s[0:3], 0 offen offset:12
	v_mov_b32_e32 v43, 56
	s_waitcnt vmcnt(12)
	ds_write2_b64 v40, v[4:5], v[10:11] offset0:114 offset1:115
	s_waitcnt vmcnt(8)
	ds_write2_b64 v40, v[12:13], v[14:15] offset0:116 offset1:117
	;; [unrolled: 2-line block ×4, first 2 shown]
.LBB120_1299:
	s_or_b64 exec, exec, s[4:5]
	v_cmp_lt_i32_e32 vcc, 56, v43
	s_waitcnt vmcnt(0) lgkmcnt(0)
	s_barrier
	s_and_saveexec_b64 s[4:5], vcc
	s_cbranch_execz .LBB120_1301
; %bb.1300:
	buffer_load_dword v4, off, s[0:3], 0 offset:904
	buffer_load_dword v5, off, s[0:3], 0 offset:908
	;; [unrolled: 1-line block ×20, first 2 shown]
	s_waitcnt vmcnt(18)
	v_mul_f64 v[12:13], v[2:3], v[4:5]
	v_mul_f64 v[4:5], v[0:1], v[4:5]
	s_waitcnt vmcnt(16)
	v_fma_f64 v[44:45], v[0:1], v[10:11], -v[12:13]
	v_fma_f64 v[4:5], v[2:3], v[10:11], v[4:5]
	ds_read2_b64 v[0:3], v40 offset0:114 offset1:115
	ds_read2_b64 v[10:13], v40 offset0:116 offset1:117
	;; [unrolled: 1-line block ×4, first 2 shown]
	buffer_store_dword v44, off, s[0:3], 0 offset:896
	buffer_store_dword v45, off, s[0:3], 0 offset:900
	;; [unrolled: 1-line block ×4, first 2 shown]
	s_waitcnt lgkmcnt(3)
	v_mul_f64 v[46:47], v[2:3], v[4:5]
	v_mul_f64 v[48:49], v[0:1], v[4:5]
	s_waitcnt lgkmcnt(2)
	v_mul_f64 v[50:51], v[12:13], v[4:5]
	v_mul_f64 v[52:53], v[10:11], v[4:5]
	;; [unrolled: 3-line block ×4, first 2 shown]
	v_fma_f64 v[0:1], v[0:1], v[44:45], -v[46:47]
	v_fma_f64 v[2:3], v[2:3], v[44:45], v[48:49]
	v_fma_f64 v[10:11], v[10:11], v[44:45], -v[50:51]
	v_fma_f64 v[12:13], v[12:13], v[44:45], v[52:53]
	;; [unrolled: 2-line block ×4, first 2 shown]
	s_waitcnt vmcnt(18)
	v_add_f64 v[0:1], v[22:23], -v[0:1]
	s_waitcnt vmcnt(16)
	v_add_f64 v[2:3], v[24:25], -v[2:3]
	;; [unrolled: 2-line block ×8, first 2 shown]
	buffer_store_dword v0, off, s[0:3], 0 offset:912
	buffer_store_dword v1, off, s[0:3], 0 offset:916
	;; [unrolled: 1-line block ×16, first 2 shown]
.LBB120_1301:
	s_or_b64 exec, exec, s[4:5]
	v_mov_b32_e32 v3, s27
	s_waitcnt vmcnt(0)
	s_barrier
	buffer_load_dword v0, v3, s[0:3], 0 offen
	buffer_load_dword v1, v3, s[0:3], 0 offen offset:4
	buffer_load_dword v2, v3, s[0:3], 0 offen offset:8
	s_nop 0
	buffer_load_dword v3, v3, s[0:3], 0 offen offset:12
	v_lshl_add_u32 v4, v43, 4, v40
	s_cmp_lt_i32 s64, 59
	s_waitcnt vmcnt(0)
	ds_write2_b64 v4, v[0:1], v[2:3] offset1:1
	s_waitcnt lgkmcnt(0)
	s_barrier
	ds_read2_b64 v[0:3], v40 offset0:114 offset1:115
	v_mov_b32_e32 v4, 57
	s_cbranch_scc1 .LBB120_1304
; %bb.1302:
	v_add_u32_e32 v5, 0x3a0, v40
	s_mov_b32 s16, 58
	v_mov_b32_e32 v4, 57
.LBB120_1303:                           ; =>This Inner Loop Header: Depth=1
	s_waitcnt lgkmcnt(0)
	v_cmp_gt_f64_e32 vcc, 0, v[2:3]
	v_cmp_gt_f64_e64 s[4:5], 0, v[0:1]
	ds_read2_b64 v[10:13], v5 offset1:1
	v_xor_b32_e32 v15, 0x80000000, v1
	v_xor_b32_e32 v17, 0x80000000, v3
	v_mov_b32_e32 v14, v0
	v_mov_b32_e32 v16, v2
	s_waitcnt lgkmcnt(0)
	v_xor_b32_e32 v19, 0x80000000, v13
	v_cndmask_b32_e32 v17, v3, v17, vcc
	v_cndmask_b32_e64 v15, v1, v15, s[4:5]
	v_cmp_gt_f64_e32 vcc, 0, v[12:13]
	v_cmp_gt_f64_e64 s[4:5], 0, v[10:11]
	v_add_f64 v[14:15], v[14:15], v[16:17]
	v_xor_b32_e32 v17, 0x80000000, v11
	v_mov_b32_e32 v16, v10
	v_mov_b32_e32 v18, v12
	v_add_u32_e32 v5, 16, v5
	v_cndmask_b32_e32 v19, v13, v19, vcc
	v_cndmask_b32_e64 v17, v11, v17, s[4:5]
	v_add_f64 v[16:17], v[16:17], v[18:19]
	v_mov_b32_e32 v18, s16
	s_add_i32 s16, s16, 1
	s_cmp_lg_u32 s64, s16
	v_cmp_lt_f64_e32 vcc, v[14:15], v[16:17]
	v_cndmask_b32_e32 v1, v1, v11, vcc
	v_cndmask_b32_e32 v0, v0, v10, vcc
	;; [unrolled: 1-line block ×5, first 2 shown]
	s_cbranch_scc1 .LBB120_1303
.LBB120_1304:
	s_waitcnt lgkmcnt(0)
	v_cmp_eq_f64_e32 vcc, 0, v[0:1]
	v_cmp_eq_f64_e64 s[4:5], 0, v[2:3]
	s_and_b64 s[4:5], vcc, s[4:5]
	s_and_saveexec_b64 s[16:17], s[4:5]
	s_xor_b64 s[4:5], exec, s[16:17]
; %bb.1305:
	v_cmp_ne_u32_e32 vcc, 0, v41
	v_cndmask_b32_e32 v41, 58, v41, vcc
; %bb.1306:
	s_andn2_saveexec_b64 s[4:5], s[4:5]
	s_cbranch_execz .LBB120_1312
; %bb.1307:
	v_cmp_ngt_f64_e64 s[16:17], |v[0:1]|, |v[2:3]|
	s_and_saveexec_b64 s[18:19], s[16:17]
	s_xor_b64 s[18:19], exec, s[18:19]
	s_cbranch_execz .LBB120_1309
; %bb.1308:
	v_div_scale_f64 v[10:11], s[16:17], v[2:3], v[2:3], v[0:1]
	v_rcp_f64_e32 v[12:13], v[10:11]
	v_fma_f64 v[14:15], -v[10:11], v[12:13], 1.0
	v_fma_f64 v[12:13], v[12:13], v[14:15], v[12:13]
	v_div_scale_f64 v[14:15], vcc, v[0:1], v[2:3], v[0:1]
	v_fma_f64 v[16:17], -v[10:11], v[12:13], 1.0
	v_fma_f64 v[12:13], v[12:13], v[16:17], v[12:13]
	v_mul_f64 v[16:17], v[14:15], v[12:13]
	v_fma_f64 v[10:11], -v[10:11], v[16:17], v[14:15]
	v_div_fmas_f64 v[10:11], v[10:11], v[12:13], v[16:17]
	v_div_fixup_f64 v[10:11], v[10:11], v[2:3], v[0:1]
	v_fma_f64 v[0:1], v[0:1], v[10:11], v[2:3]
	v_div_scale_f64 v[2:3], s[16:17], v[0:1], v[0:1], 1.0
	v_div_scale_f64 v[16:17], vcc, 1.0, v[0:1], 1.0
	v_rcp_f64_e32 v[12:13], v[2:3]
	v_fma_f64 v[14:15], -v[2:3], v[12:13], 1.0
	v_fma_f64 v[12:13], v[12:13], v[14:15], v[12:13]
	v_fma_f64 v[14:15], -v[2:3], v[12:13], 1.0
	v_fma_f64 v[12:13], v[12:13], v[14:15], v[12:13]
	v_mul_f64 v[14:15], v[16:17], v[12:13]
	v_fma_f64 v[2:3], -v[2:3], v[14:15], v[16:17]
	v_div_fmas_f64 v[2:3], v[2:3], v[12:13], v[14:15]
	v_div_fixup_f64 v[2:3], v[2:3], v[0:1], 1.0
	v_mul_f64 v[0:1], v[10:11], v[2:3]
	v_xor_b32_e32 v3, 0x80000000, v3
.LBB120_1309:
	s_andn2_saveexec_b64 s[18:19], s[18:19]
	s_cbranch_execz .LBB120_1311
; %bb.1310:
	v_div_scale_f64 v[10:11], s[16:17], v[0:1], v[0:1], v[2:3]
	v_rcp_f64_e32 v[12:13], v[10:11]
	v_fma_f64 v[14:15], -v[10:11], v[12:13], 1.0
	v_fma_f64 v[12:13], v[12:13], v[14:15], v[12:13]
	v_div_scale_f64 v[14:15], vcc, v[2:3], v[0:1], v[2:3]
	v_fma_f64 v[16:17], -v[10:11], v[12:13], 1.0
	v_fma_f64 v[12:13], v[12:13], v[16:17], v[12:13]
	v_mul_f64 v[16:17], v[14:15], v[12:13]
	v_fma_f64 v[10:11], -v[10:11], v[16:17], v[14:15]
	v_div_fmas_f64 v[10:11], v[10:11], v[12:13], v[16:17]
	v_div_fixup_f64 v[10:11], v[10:11], v[0:1], v[2:3]
	v_fma_f64 v[0:1], v[2:3], v[10:11], v[0:1]
	v_div_scale_f64 v[2:3], s[16:17], v[0:1], v[0:1], 1.0
	v_div_scale_f64 v[16:17], vcc, 1.0, v[0:1], 1.0
	v_rcp_f64_e32 v[12:13], v[2:3]
	v_fma_f64 v[14:15], -v[2:3], v[12:13], 1.0
	v_fma_f64 v[12:13], v[12:13], v[14:15], v[12:13]
	v_fma_f64 v[14:15], -v[2:3], v[12:13], 1.0
	v_fma_f64 v[12:13], v[12:13], v[14:15], v[12:13]
	v_mul_f64 v[14:15], v[16:17], v[12:13]
	v_fma_f64 v[2:3], -v[2:3], v[14:15], v[16:17]
	v_div_fmas_f64 v[2:3], v[2:3], v[12:13], v[14:15]
	v_div_fixup_f64 v[0:1], v[2:3], v[0:1], 1.0
	v_mul_f64 v[2:3], v[10:11], -v[0:1]
.LBB120_1311:
	s_or_b64 exec, exec, s[18:19]
.LBB120_1312:
	s_or_b64 exec, exec, s[4:5]
	v_cmp_ne_u32_e32 vcc, v43, v4
	s_and_saveexec_b64 s[4:5], vcc
	s_xor_b64 s[4:5], exec, s[4:5]
	s_cbranch_execz .LBB120_1318
; %bb.1313:
	v_cmp_eq_u32_e32 vcc, 57, v43
	s_and_saveexec_b64 s[18:19], vcc
	s_cbranch_execz .LBB120_1317
; %bb.1314:
	v_cmp_ne_u32_e32 vcc, 57, v4
	s_xor_b64 s[16:17], s[22:23], -1
	s_and_b64 s[16:17], s[16:17], vcc
	s_and_saveexec_b64 s[24:25], s[16:17]
	s_cbranch_execz .LBB120_1316
; %bb.1315:
	v_ashrrev_i32_e32 v5, 31, v4
	v_lshlrev_b64 v[10:11], 2, v[4:5]
	v_add_co_u32_e32 v10, vcc, v8, v10
	v_addc_co_u32_e32 v11, vcc, v9, v11, vcc
	global_load_dword v5, v[10:11], off
	global_load_dword v12, v[8:9], off offset:228
	s_waitcnt vmcnt(1)
	global_store_dword v[8:9], v5, off offset:228
	s_waitcnt vmcnt(1)
	global_store_dword v[10:11], v12, off
.LBB120_1316:
	s_or_b64 exec, exec, s[24:25]
	v_mov_b32_e32 v43, v4
	v_mov_b32_e32 v42, v4
.LBB120_1317:
	s_or_b64 exec, exec, s[18:19]
.LBB120_1318:
	s_andn2_saveexec_b64 s[4:5], s[4:5]
	s_cbranch_execz .LBB120_1320
; %bb.1319:
	v_mov_b32_e32 v11, s26
	v_mov_b32_e32 v15, s20
	;; [unrolled: 1-line block ×3, first 2 shown]
	buffer_load_dword v4, v11, s[0:3], 0 offen
	buffer_load_dword v5, v11, s[0:3], 0 offen offset:4
	buffer_load_dword v10, v11, s[0:3], 0 offen offset:8
	s_nop 0
	buffer_load_dword v11, v11, s[0:3], 0 offen offset:12
	s_nop 0
	buffer_load_dword v12, v15, s[0:3], 0 offen
	buffer_load_dword v13, v15, s[0:3], 0 offen offset:4
	buffer_load_dword v14, v15, s[0:3], 0 offen offset:8
	s_nop 0
	buffer_load_dword v15, v15, s[0:3], 0 offen offset:12
	s_nop 0
	buffer_load_dword v16, v19, s[0:3], 0 offen
	buffer_load_dword v17, v19, s[0:3], 0 offen offset:4
	buffer_load_dword v18, v19, s[0:3], 0 offen offset:8
	s_nop 0
	buffer_load_dword v19, v19, s[0:3], 0 offen offset:12
	v_mov_b32_e32 v43, 57
	s_waitcnt vmcnt(8)
	ds_write2_b64 v40, v[4:5], v[10:11] offset0:116 offset1:117
	s_waitcnt vmcnt(4)
	ds_write2_b64 v40, v[12:13], v[14:15] offset0:118 offset1:119
	;; [unrolled: 2-line block ×3, first 2 shown]
.LBB120_1320:
	s_or_b64 exec, exec, s[4:5]
	v_cmp_lt_i32_e32 vcc, 57, v43
	s_waitcnt vmcnt(0) lgkmcnt(0)
	s_barrier
	s_and_saveexec_b64 s[4:5], vcc
	s_cbranch_execz .LBB120_1322
; %bb.1321:
	buffer_load_dword v4, off, s[0:3], 0 offset:920
	buffer_load_dword v5, off, s[0:3], 0 offset:924
	buffer_load_dword v14, off, s[0:3], 0 offset:912
	buffer_load_dword v15, off, s[0:3], 0 offset:916
	buffer_load_dword v18, off, s[0:3], 0 offset:928
	buffer_load_dword v19, off, s[0:3], 0 offset:932
	buffer_load_dword v20, off, s[0:3], 0 offset:936
	buffer_load_dword v21, off, s[0:3], 0 offset:940
	buffer_load_dword v22, off, s[0:3], 0 offset:944
	buffer_load_dword v23, off, s[0:3], 0 offset:948
	buffer_load_dword v24, off, s[0:3], 0 offset:952
	buffer_load_dword v25, off, s[0:3], 0 offset:956
	buffer_load_dword v26, off, s[0:3], 0 offset:960
	buffer_load_dword v27, off, s[0:3], 0 offset:964
	buffer_load_dword v28, off, s[0:3], 0 offset:968
	buffer_load_dword v29, off, s[0:3], 0 offset:972
	s_waitcnt vmcnt(14)
	v_mul_f64 v[10:11], v[0:1], v[4:5]
	v_mul_f64 v[16:17], v[2:3], v[4:5]
	s_waitcnt vmcnt(12)
	v_fma_f64 v[30:31], v[2:3], v[14:15], v[10:11]
	ds_read2_b64 v[2:5], v40 offset0:116 offset1:117
	ds_read2_b64 v[10:13], v40 offset0:118 offset1:119
	v_fma_f64 v[0:1], v[0:1], v[14:15], -v[16:17]
	ds_read2_b64 v[14:17], v40 offset0:120 offset1:121
	s_waitcnt lgkmcnt(2)
	v_mul_f64 v[32:33], v[4:5], v[30:31]
	v_mul_f64 v[34:35], v[2:3], v[30:31]
	s_waitcnt lgkmcnt(1)
	v_mul_f64 v[36:37], v[12:13], v[30:31]
	v_mul_f64 v[44:45], v[10:11], v[30:31]
	;; [unrolled: 3-line block ×3, first 2 shown]
	buffer_store_dword v0, off, s[0:3], 0 offset:912
	buffer_store_dword v1, off, s[0:3], 0 offset:916
	v_fma_f64 v[2:3], v[2:3], v[0:1], -v[32:33]
	v_fma_f64 v[4:5], v[4:5], v[0:1], v[34:35]
	v_fma_f64 v[10:11], v[10:11], v[0:1], -v[36:37]
	v_fma_f64 v[12:13], v[12:13], v[0:1], v[44:45]
	;; [unrolled: 2-line block ×3, first 2 shown]
	buffer_store_dword v30, off, s[0:3], 0 offset:920
	buffer_store_dword v31, off, s[0:3], 0 offset:924
	s_waitcnt vmcnt(14)
	v_add_f64 v[2:3], v[18:19], -v[2:3]
	s_waitcnt vmcnt(12)
	v_add_f64 v[4:5], v[20:21], -v[4:5]
	;; [unrolled: 2-line block ×6, first 2 shown]
	buffer_store_dword v2, off, s[0:3], 0 offset:928
	buffer_store_dword v3, off, s[0:3], 0 offset:932
	;; [unrolled: 1-line block ×12, first 2 shown]
.LBB120_1322:
	s_or_b64 exec, exec, s[4:5]
	v_mov_b32_e32 v3, s26
	s_waitcnt vmcnt(0)
	s_barrier
	buffer_load_dword v0, v3, s[0:3], 0 offen
	buffer_load_dword v1, v3, s[0:3], 0 offen offset:4
	buffer_load_dword v2, v3, s[0:3], 0 offen offset:8
	s_nop 0
	buffer_load_dword v3, v3, s[0:3], 0 offen offset:12
	v_lshl_add_u32 v4, v43, 4, v40
	s_cmp_lt_i32 s64, 60
	s_waitcnt vmcnt(0)
	ds_write2_b64 v4, v[0:1], v[2:3] offset1:1
	s_waitcnt lgkmcnt(0)
	s_barrier
	ds_read2_b64 v[0:3], v40 offset0:116 offset1:117
	v_mov_b32_e32 v4, 58
	s_cbranch_scc1 .LBB120_1325
; %bb.1323:
	v_add_u32_e32 v5, 0x3b0, v40
	s_mov_b32 s16, 59
	v_mov_b32_e32 v4, 58
.LBB120_1324:                           ; =>This Inner Loop Header: Depth=1
	s_waitcnt lgkmcnt(0)
	v_cmp_gt_f64_e32 vcc, 0, v[2:3]
	v_cmp_gt_f64_e64 s[4:5], 0, v[0:1]
	ds_read2_b64 v[10:13], v5 offset1:1
	v_xor_b32_e32 v15, 0x80000000, v1
	v_xor_b32_e32 v17, 0x80000000, v3
	v_mov_b32_e32 v14, v0
	v_mov_b32_e32 v16, v2
	s_waitcnt lgkmcnt(0)
	v_xor_b32_e32 v19, 0x80000000, v13
	v_cndmask_b32_e32 v17, v3, v17, vcc
	v_cndmask_b32_e64 v15, v1, v15, s[4:5]
	v_cmp_gt_f64_e32 vcc, 0, v[12:13]
	v_cmp_gt_f64_e64 s[4:5], 0, v[10:11]
	v_add_f64 v[14:15], v[14:15], v[16:17]
	v_xor_b32_e32 v17, 0x80000000, v11
	v_mov_b32_e32 v16, v10
	v_mov_b32_e32 v18, v12
	v_add_u32_e32 v5, 16, v5
	v_cndmask_b32_e32 v19, v13, v19, vcc
	v_cndmask_b32_e64 v17, v11, v17, s[4:5]
	v_add_f64 v[16:17], v[16:17], v[18:19]
	v_mov_b32_e32 v18, s16
	s_add_i32 s16, s16, 1
	s_cmp_lg_u32 s64, s16
	v_cmp_lt_f64_e32 vcc, v[14:15], v[16:17]
	v_cndmask_b32_e32 v1, v1, v11, vcc
	v_cndmask_b32_e32 v0, v0, v10, vcc
	;; [unrolled: 1-line block ×5, first 2 shown]
	s_cbranch_scc1 .LBB120_1324
.LBB120_1325:
	s_waitcnt lgkmcnt(0)
	v_cmp_eq_f64_e32 vcc, 0, v[0:1]
	v_cmp_eq_f64_e64 s[4:5], 0, v[2:3]
	s_and_b64 s[4:5], vcc, s[4:5]
	s_and_saveexec_b64 s[16:17], s[4:5]
	s_xor_b64 s[4:5], exec, s[16:17]
; %bb.1326:
	v_cmp_ne_u32_e32 vcc, 0, v41
	v_cndmask_b32_e32 v41, 59, v41, vcc
; %bb.1327:
	s_andn2_saveexec_b64 s[4:5], s[4:5]
	s_cbranch_execz .LBB120_1333
; %bb.1328:
	v_cmp_ngt_f64_e64 s[16:17], |v[0:1]|, |v[2:3]|
	s_and_saveexec_b64 s[18:19], s[16:17]
	s_xor_b64 s[18:19], exec, s[18:19]
	s_cbranch_execz .LBB120_1330
; %bb.1329:
	v_div_scale_f64 v[10:11], s[16:17], v[2:3], v[2:3], v[0:1]
	v_rcp_f64_e32 v[12:13], v[10:11]
	v_fma_f64 v[14:15], -v[10:11], v[12:13], 1.0
	v_fma_f64 v[12:13], v[12:13], v[14:15], v[12:13]
	v_div_scale_f64 v[14:15], vcc, v[0:1], v[2:3], v[0:1]
	v_fma_f64 v[16:17], -v[10:11], v[12:13], 1.0
	v_fma_f64 v[12:13], v[12:13], v[16:17], v[12:13]
	v_mul_f64 v[16:17], v[14:15], v[12:13]
	v_fma_f64 v[10:11], -v[10:11], v[16:17], v[14:15]
	v_div_fmas_f64 v[10:11], v[10:11], v[12:13], v[16:17]
	v_div_fixup_f64 v[10:11], v[10:11], v[2:3], v[0:1]
	v_fma_f64 v[0:1], v[0:1], v[10:11], v[2:3]
	v_div_scale_f64 v[2:3], s[16:17], v[0:1], v[0:1], 1.0
	v_div_scale_f64 v[16:17], vcc, 1.0, v[0:1], 1.0
	v_rcp_f64_e32 v[12:13], v[2:3]
	v_fma_f64 v[14:15], -v[2:3], v[12:13], 1.0
	v_fma_f64 v[12:13], v[12:13], v[14:15], v[12:13]
	v_fma_f64 v[14:15], -v[2:3], v[12:13], 1.0
	v_fma_f64 v[12:13], v[12:13], v[14:15], v[12:13]
	v_mul_f64 v[14:15], v[16:17], v[12:13]
	v_fma_f64 v[2:3], -v[2:3], v[14:15], v[16:17]
	v_div_fmas_f64 v[2:3], v[2:3], v[12:13], v[14:15]
	v_div_fixup_f64 v[2:3], v[2:3], v[0:1], 1.0
	v_mul_f64 v[0:1], v[10:11], v[2:3]
	v_xor_b32_e32 v3, 0x80000000, v3
.LBB120_1330:
	s_andn2_saveexec_b64 s[18:19], s[18:19]
	s_cbranch_execz .LBB120_1332
; %bb.1331:
	v_div_scale_f64 v[10:11], s[16:17], v[0:1], v[0:1], v[2:3]
	v_rcp_f64_e32 v[12:13], v[10:11]
	v_fma_f64 v[14:15], -v[10:11], v[12:13], 1.0
	v_fma_f64 v[12:13], v[12:13], v[14:15], v[12:13]
	v_div_scale_f64 v[14:15], vcc, v[2:3], v[0:1], v[2:3]
	v_fma_f64 v[16:17], -v[10:11], v[12:13], 1.0
	v_fma_f64 v[12:13], v[12:13], v[16:17], v[12:13]
	v_mul_f64 v[16:17], v[14:15], v[12:13]
	v_fma_f64 v[10:11], -v[10:11], v[16:17], v[14:15]
	v_div_fmas_f64 v[10:11], v[10:11], v[12:13], v[16:17]
	v_div_fixup_f64 v[10:11], v[10:11], v[0:1], v[2:3]
	v_fma_f64 v[0:1], v[2:3], v[10:11], v[0:1]
	v_div_scale_f64 v[2:3], s[16:17], v[0:1], v[0:1], 1.0
	v_div_scale_f64 v[16:17], vcc, 1.0, v[0:1], 1.0
	v_rcp_f64_e32 v[12:13], v[2:3]
	v_fma_f64 v[14:15], -v[2:3], v[12:13], 1.0
	v_fma_f64 v[12:13], v[12:13], v[14:15], v[12:13]
	v_fma_f64 v[14:15], -v[2:3], v[12:13], 1.0
	v_fma_f64 v[12:13], v[12:13], v[14:15], v[12:13]
	v_mul_f64 v[14:15], v[16:17], v[12:13]
	v_fma_f64 v[2:3], -v[2:3], v[14:15], v[16:17]
	v_div_fmas_f64 v[2:3], v[2:3], v[12:13], v[14:15]
	v_div_fixup_f64 v[0:1], v[2:3], v[0:1], 1.0
	v_mul_f64 v[2:3], v[10:11], -v[0:1]
.LBB120_1332:
	s_or_b64 exec, exec, s[18:19]
.LBB120_1333:
	s_or_b64 exec, exec, s[4:5]
	v_cmp_ne_u32_e32 vcc, v43, v4
	s_and_saveexec_b64 s[4:5], vcc
	s_xor_b64 s[4:5], exec, s[4:5]
	s_cbranch_execz .LBB120_1339
; %bb.1334:
	v_cmp_eq_u32_e32 vcc, 58, v43
	s_and_saveexec_b64 s[18:19], vcc
	s_cbranch_execz .LBB120_1338
; %bb.1335:
	v_cmp_ne_u32_e32 vcc, 58, v4
	s_xor_b64 s[16:17], s[22:23], -1
	s_and_b64 s[16:17], s[16:17], vcc
	s_and_saveexec_b64 s[24:25], s[16:17]
	s_cbranch_execz .LBB120_1337
; %bb.1336:
	v_ashrrev_i32_e32 v5, 31, v4
	v_lshlrev_b64 v[10:11], 2, v[4:5]
	v_add_co_u32_e32 v10, vcc, v8, v10
	v_addc_co_u32_e32 v11, vcc, v9, v11, vcc
	global_load_dword v5, v[10:11], off
	global_load_dword v12, v[8:9], off offset:232
	s_waitcnt vmcnt(1)
	global_store_dword v[8:9], v5, off offset:232
	s_waitcnt vmcnt(1)
	global_store_dword v[10:11], v12, off
.LBB120_1337:
	s_or_b64 exec, exec, s[24:25]
	v_mov_b32_e32 v43, v4
	v_mov_b32_e32 v42, v4
.LBB120_1338:
	s_or_b64 exec, exec, s[18:19]
.LBB120_1339:
	s_andn2_saveexec_b64 s[4:5], s[4:5]
	s_cbranch_execz .LBB120_1341
; %bb.1340:
	v_mov_b32_e32 v11, s20
	v_mov_b32_e32 v15, s7
	buffer_load_dword v4, v11, s[0:3], 0 offen
	buffer_load_dword v5, v11, s[0:3], 0 offen offset:4
	buffer_load_dword v10, v11, s[0:3], 0 offen offset:8
	s_nop 0
	buffer_load_dword v11, v11, s[0:3], 0 offen offset:12
	s_nop 0
	buffer_load_dword v12, v15, s[0:3], 0 offen
	buffer_load_dword v13, v15, s[0:3], 0 offen offset:4
	buffer_load_dword v14, v15, s[0:3], 0 offen offset:8
	s_nop 0
	buffer_load_dword v15, v15, s[0:3], 0 offen offset:12
	v_mov_b32_e32 v43, 58
	s_waitcnt vmcnt(4)
	ds_write2_b64 v40, v[4:5], v[10:11] offset0:118 offset1:119
	s_waitcnt vmcnt(0)
	ds_write2_b64 v40, v[12:13], v[14:15] offset0:120 offset1:121
.LBB120_1341:
	s_or_b64 exec, exec, s[4:5]
	v_cmp_lt_i32_e32 vcc, 58, v43
	s_waitcnt vmcnt(0) lgkmcnt(0)
	s_barrier
	s_and_saveexec_b64 s[4:5], vcc
	s_cbranch_execz .LBB120_1343
; %bb.1342:
	buffer_load_dword v4, off, s[0:3], 0 offset:936
	buffer_load_dword v5, off, s[0:3], 0 offset:940
	;; [unrolled: 1-line block ×12, first 2 shown]
	s_waitcnt vmcnt(10)
	v_mul_f64 v[10:11], v[0:1], v[4:5]
	v_mul_f64 v[24:25], v[2:3], v[4:5]
	s_waitcnt vmcnt(8)
	v_fma_f64 v[26:27], v[2:3], v[14:15], v[10:11]
	ds_read2_b64 v[2:5], v40 offset0:118 offset1:119
	ds_read2_b64 v[10:13], v40 offset0:120 offset1:121
	v_fma_f64 v[0:1], v[0:1], v[14:15], -v[24:25]
	s_waitcnt lgkmcnt(1)
	v_mul_f64 v[14:15], v[4:5], v[26:27]
	v_mul_f64 v[24:25], v[2:3], v[26:27]
	s_waitcnt lgkmcnt(0)
	v_mul_f64 v[28:29], v[12:13], v[26:27]
	v_mul_f64 v[30:31], v[10:11], v[26:27]
	buffer_store_dword v0, off, s[0:3], 0 offset:928
	buffer_store_dword v1, off, s[0:3], 0 offset:932
	;; [unrolled: 1-line block ×3, first 2 shown]
	v_fma_f64 v[2:3], v[2:3], v[0:1], -v[14:15]
	v_fma_f64 v[4:5], v[4:5], v[0:1], v[24:25]
	v_fma_f64 v[10:11], v[10:11], v[0:1], -v[28:29]
	v_fma_f64 v[12:13], v[12:13], v[0:1], v[30:31]
	s_waitcnt vmcnt(9)
	v_add_f64 v[2:3], v[16:17], -v[2:3]
	s_waitcnt vmcnt(7)
	v_add_f64 v[4:5], v[18:19], -v[4:5]
	;; [unrolled: 2-line block ×4, first 2 shown]
	buffer_store_dword v27, off, s[0:3], 0 offset:940
	buffer_store_dword v2, off, s[0:3], 0 offset:944
	;; [unrolled: 1-line block ×9, first 2 shown]
.LBB120_1343:
	s_or_b64 exec, exec, s[4:5]
	v_mov_b32_e32 v3, s20
	s_waitcnt vmcnt(0)
	s_barrier
	buffer_load_dword v0, v3, s[0:3], 0 offen
	buffer_load_dword v1, v3, s[0:3], 0 offen offset:4
	buffer_load_dword v2, v3, s[0:3], 0 offen offset:8
	s_nop 0
	buffer_load_dword v3, v3, s[0:3], 0 offen offset:12
	v_lshl_add_u32 v4, v43, 4, v40
	s_cmp_lt_i32 s64, 61
	s_waitcnt vmcnt(0)
	ds_write2_b64 v4, v[0:1], v[2:3] offset1:1
	s_waitcnt lgkmcnt(0)
	s_barrier
	ds_read2_b64 v[0:3], v40 offset0:118 offset1:119
	v_mov_b32_e32 v4, 59
	s_cbranch_scc1 .LBB120_1346
; %bb.1344:
	v_add_u32_e32 v5, 0x3c0, v40
	s_mov_b32 s16, 60
	v_mov_b32_e32 v4, 59
.LBB120_1345:                           ; =>This Inner Loop Header: Depth=1
	s_waitcnt lgkmcnt(0)
	v_cmp_gt_f64_e32 vcc, 0, v[2:3]
	v_cmp_gt_f64_e64 s[4:5], 0, v[0:1]
	ds_read2_b64 v[10:13], v5 offset1:1
	v_xor_b32_e32 v15, 0x80000000, v1
	v_xor_b32_e32 v17, 0x80000000, v3
	v_mov_b32_e32 v14, v0
	v_mov_b32_e32 v16, v2
	s_waitcnt lgkmcnt(0)
	v_xor_b32_e32 v19, 0x80000000, v13
	v_cndmask_b32_e32 v17, v3, v17, vcc
	v_cndmask_b32_e64 v15, v1, v15, s[4:5]
	v_cmp_gt_f64_e32 vcc, 0, v[12:13]
	v_cmp_gt_f64_e64 s[4:5], 0, v[10:11]
	v_add_f64 v[14:15], v[14:15], v[16:17]
	v_xor_b32_e32 v17, 0x80000000, v11
	v_mov_b32_e32 v16, v10
	v_mov_b32_e32 v18, v12
	v_add_u32_e32 v5, 16, v5
	v_cndmask_b32_e32 v19, v13, v19, vcc
	v_cndmask_b32_e64 v17, v11, v17, s[4:5]
	v_add_f64 v[16:17], v[16:17], v[18:19]
	v_mov_b32_e32 v18, s16
	s_add_i32 s16, s16, 1
	s_cmp_lg_u32 s64, s16
	v_cmp_lt_f64_e32 vcc, v[14:15], v[16:17]
	v_cndmask_b32_e32 v1, v1, v11, vcc
	v_cndmask_b32_e32 v0, v0, v10, vcc
	;; [unrolled: 1-line block ×5, first 2 shown]
	s_cbranch_scc1 .LBB120_1345
.LBB120_1346:
	s_waitcnt lgkmcnt(0)
	v_cmp_eq_f64_e32 vcc, 0, v[0:1]
	v_cmp_eq_f64_e64 s[4:5], 0, v[2:3]
	s_and_b64 s[4:5], vcc, s[4:5]
	s_and_saveexec_b64 s[16:17], s[4:5]
	s_xor_b64 s[4:5], exec, s[16:17]
; %bb.1347:
	v_cmp_ne_u32_e32 vcc, 0, v41
	v_cndmask_b32_e32 v41, 60, v41, vcc
; %bb.1348:
	s_andn2_saveexec_b64 s[4:5], s[4:5]
	s_cbranch_execz .LBB120_1354
; %bb.1349:
	v_cmp_ngt_f64_e64 s[16:17], |v[0:1]|, |v[2:3]|
	s_and_saveexec_b64 s[18:19], s[16:17]
	s_xor_b64 s[18:19], exec, s[18:19]
	s_cbranch_execz .LBB120_1351
; %bb.1350:
	v_div_scale_f64 v[10:11], s[16:17], v[2:3], v[2:3], v[0:1]
	v_rcp_f64_e32 v[12:13], v[10:11]
	v_fma_f64 v[14:15], -v[10:11], v[12:13], 1.0
	v_fma_f64 v[12:13], v[12:13], v[14:15], v[12:13]
	v_div_scale_f64 v[14:15], vcc, v[0:1], v[2:3], v[0:1]
	v_fma_f64 v[16:17], -v[10:11], v[12:13], 1.0
	v_fma_f64 v[12:13], v[12:13], v[16:17], v[12:13]
	v_mul_f64 v[16:17], v[14:15], v[12:13]
	v_fma_f64 v[10:11], -v[10:11], v[16:17], v[14:15]
	v_div_fmas_f64 v[10:11], v[10:11], v[12:13], v[16:17]
	v_div_fixup_f64 v[10:11], v[10:11], v[2:3], v[0:1]
	v_fma_f64 v[0:1], v[0:1], v[10:11], v[2:3]
	v_div_scale_f64 v[2:3], s[16:17], v[0:1], v[0:1], 1.0
	v_div_scale_f64 v[16:17], vcc, 1.0, v[0:1], 1.0
	v_rcp_f64_e32 v[12:13], v[2:3]
	v_fma_f64 v[14:15], -v[2:3], v[12:13], 1.0
	v_fma_f64 v[12:13], v[12:13], v[14:15], v[12:13]
	v_fma_f64 v[14:15], -v[2:3], v[12:13], 1.0
	v_fma_f64 v[12:13], v[12:13], v[14:15], v[12:13]
	v_mul_f64 v[14:15], v[16:17], v[12:13]
	v_fma_f64 v[2:3], -v[2:3], v[14:15], v[16:17]
	v_div_fmas_f64 v[2:3], v[2:3], v[12:13], v[14:15]
	v_div_fixup_f64 v[2:3], v[2:3], v[0:1], 1.0
	v_mul_f64 v[0:1], v[10:11], v[2:3]
	v_xor_b32_e32 v3, 0x80000000, v3
.LBB120_1351:
	s_andn2_saveexec_b64 s[18:19], s[18:19]
	s_cbranch_execz .LBB120_1353
; %bb.1352:
	v_div_scale_f64 v[10:11], s[16:17], v[0:1], v[0:1], v[2:3]
	v_rcp_f64_e32 v[12:13], v[10:11]
	v_fma_f64 v[14:15], -v[10:11], v[12:13], 1.0
	v_fma_f64 v[12:13], v[12:13], v[14:15], v[12:13]
	v_div_scale_f64 v[14:15], vcc, v[2:3], v[0:1], v[2:3]
	v_fma_f64 v[16:17], -v[10:11], v[12:13], 1.0
	v_fma_f64 v[12:13], v[12:13], v[16:17], v[12:13]
	v_mul_f64 v[16:17], v[14:15], v[12:13]
	v_fma_f64 v[10:11], -v[10:11], v[16:17], v[14:15]
	v_div_fmas_f64 v[10:11], v[10:11], v[12:13], v[16:17]
	v_div_fixup_f64 v[10:11], v[10:11], v[0:1], v[2:3]
	v_fma_f64 v[0:1], v[2:3], v[10:11], v[0:1]
	v_div_scale_f64 v[2:3], s[16:17], v[0:1], v[0:1], 1.0
	v_div_scale_f64 v[16:17], vcc, 1.0, v[0:1], 1.0
	v_rcp_f64_e32 v[12:13], v[2:3]
	v_fma_f64 v[14:15], -v[2:3], v[12:13], 1.0
	v_fma_f64 v[12:13], v[12:13], v[14:15], v[12:13]
	v_fma_f64 v[14:15], -v[2:3], v[12:13], 1.0
	v_fma_f64 v[12:13], v[12:13], v[14:15], v[12:13]
	v_mul_f64 v[14:15], v[16:17], v[12:13]
	v_fma_f64 v[2:3], -v[2:3], v[14:15], v[16:17]
	v_div_fmas_f64 v[2:3], v[2:3], v[12:13], v[14:15]
	v_div_fixup_f64 v[0:1], v[2:3], v[0:1], 1.0
	v_mul_f64 v[2:3], v[10:11], -v[0:1]
.LBB120_1353:
	s_or_b64 exec, exec, s[18:19]
.LBB120_1354:
	s_or_b64 exec, exec, s[4:5]
	v_cmp_ne_u32_e32 vcc, v43, v4
	s_and_saveexec_b64 s[4:5], vcc
	s_xor_b64 s[4:5], exec, s[4:5]
	s_cbranch_execz .LBB120_1360
; %bb.1355:
	v_cmp_eq_u32_e32 vcc, 59, v43
	s_and_saveexec_b64 s[18:19], vcc
	s_cbranch_execz .LBB120_1359
; %bb.1356:
	v_cmp_ne_u32_e32 vcc, 59, v4
	s_xor_b64 s[16:17], s[22:23], -1
	s_and_b64 s[16:17], s[16:17], vcc
	s_and_saveexec_b64 s[24:25], s[16:17]
	s_cbranch_execz .LBB120_1358
; %bb.1357:
	v_ashrrev_i32_e32 v5, 31, v4
	v_lshlrev_b64 v[10:11], 2, v[4:5]
	v_add_co_u32_e32 v10, vcc, v8, v10
	v_addc_co_u32_e32 v11, vcc, v9, v11, vcc
	global_load_dword v5, v[10:11], off
	global_load_dword v12, v[8:9], off offset:236
	s_waitcnt vmcnt(1)
	global_store_dword v[8:9], v5, off offset:236
	s_waitcnt vmcnt(1)
	global_store_dword v[10:11], v12, off
.LBB120_1358:
	s_or_b64 exec, exec, s[24:25]
	v_mov_b32_e32 v43, v4
	v_mov_b32_e32 v42, v4
.LBB120_1359:
	s_or_b64 exec, exec, s[18:19]
.LBB120_1360:
	s_andn2_saveexec_b64 s[4:5], s[4:5]
	s_cbranch_execz .LBB120_1362
; %bb.1361:
	v_mov_b32_e32 v11, s7
	buffer_load_dword v4, v11, s[0:3], 0 offen
	buffer_load_dword v5, v11, s[0:3], 0 offen offset:4
	buffer_load_dword v10, v11, s[0:3], 0 offen offset:8
	s_nop 0
	buffer_load_dword v11, v11, s[0:3], 0 offen offset:12
	v_mov_b32_e32 v43, 59
	s_waitcnt vmcnt(0)
	ds_write2_b64 v40, v[4:5], v[10:11] offset0:120 offset1:121
.LBB120_1362:
	s_or_b64 exec, exec, s[4:5]
	v_cmp_lt_i32_e32 vcc, 59, v43
	s_waitcnt vmcnt(0) lgkmcnt(0)
	s_barrier
	s_and_saveexec_b64 s[4:5], vcc
	s_cbranch_execz .LBB120_1364
; %bb.1363:
	buffer_load_dword v4, off, s[0:3], 0 offset:952
	buffer_load_dword v5, off, s[0:3], 0 offset:956
	;; [unrolled: 1-line block ×8, first 2 shown]
	s_waitcnt vmcnt(6)
	v_mul_f64 v[16:17], v[0:1], v[4:5]
	v_mul_f64 v[18:19], v[2:3], v[4:5]
	s_waitcnt vmcnt(4)
	v_fma_f64 v[16:17], v[2:3], v[10:11], v[16:17]
	ds_read2_b64 v[2:5], v40 offset0:120 offset1:121
	v_fma_f64 v[0:1], v[0:1], v[10:11], -v[18:19]
	s_waitcnt lgkmcnt(0)
	v_mul_f64 v[10:11], v[4:5], v[16:17]
	v_mul_f64 v[18:19], v[2:3], v[16:17]
	v_fma_f64 v[2:3], v[2:3], v[0:1], -v[10:11]
	v_fma_f64 v[4:5], v[4:5], v[0:1], v[18:19]
	s_waitcnt vmcnt(2)
	v_add_f64 v[2:3], v[12:13], -v[2:3]
	s_waitcnt vmcnt(0)
	v_add_f64 v[4:5], v[14:15], -v[4:5]
	buffer_store_dword v0, off, s[0:3], 0 offset:944
	buffer_store_dword v1, off, s[0:3], 0 offset:948
	;; [unrolled: 1-line block ×8, first 2 shown]
.LBB120_1364:
	s_or_b64 exec, exec, s[4:5]
	v_mov_b32_e32 v3, s7
	s_waitcnt vmcnt(0)
	s_barrier
	buffer_load_dword v0, v3, s[0:3], 0 offen
	buffer_load_dword v1, v3, s[0:3], 0 offen offset:4
	buffer_load_dword v2, v3, s[0:3], 0 offen offset:8
	s_nop 0
	buffer_load_dword v3, v3, s[0:3], 0 offen offset:12
	v_lshl_add_u32 v4, v43, 4, v40
	s_cmp_lt_i32 s64, 62
	s_waitcnt vmcnt(0)
	ds_write2_b64 v4, v[0:1], v[2:3] offset1:1
	s_waitcnt lgkmcnt(0)
	s_barrier
	ds_read2_b64 v[0:3], v40 offset0:120 offset1:121
	v_mov_b32_e32 v4, 60
	s_cbranch_scc1 .LBB120_1367
; %bb.1365:
	v_add_u32_e32 v5, 0x3d0, v40
	s_mov_b32 s16, 61
	v_mov_b32_e32 v4, 60
.LBB120_1366:                           ; =>This Inner Loop Header: Depth=1
	s_waitcnt lgkmcnt(0)
	v_cmp_gt_f64_e32 vcc, 0, v[2:3]
	v_cmp_gt_f64_e64 s[4:5], 0, v[0:1]
	ds_read2_b64 v[10:13], v5 offset1:1
	v_xor_b32_e32 v15, 0x80000000, v1
	v_xor_b32_e32 v17, 0x80000000, v3
	v_mov_b32_e32 v14, v0
	v_mov_b32_e32 v16, v2
	s_waitcnt lgkmcnt(0)
	v_xor_b32_e32 v19, 0x80000000, v13
	v_cndmask_b32_e32 v17, v3, v17, vcc
	v_cndmask_b32_e64 v15, v1, v15, s[4:5]
	v_cmp_gt_f64_e32 vcc, 0, v[12:13]
	v_cmp_gt_f64_e64 s[4:5], 0, v[10:11]
	v_add_f64 v[14:15], v[14:15], v[16:17]
	v_xor_b32_e32 v17, 0x80000000, v11
	v_mov_b32_e32 v16, v10
	v_mov_b32_e32 v18, v12
	v_add_u32_e32 v5, 16, v5
	v_cndmask_b32_e32 v19, v13, v19, vcc
	v_cndmask_b32_e64 v17, v11, v17, s[4:5]
	v_add_f64 v[16:17], v[16:17], v[18:19]
	v_mov_b32_e32 v18, s16
	s_add_i32 s16, s16, 1
	s_cmp_lg_u32 s64, s16
	v_cmp_lt_f64_e32 vcc, v[14:15], v[16:17]
	v_cndmask_b32_e32 v1, v1, v11, vcc
	v_cndmask_b32_e32 v0, v0, v10, vcc
	;; [unrolled: 1-line block ×5, first 2 shown]
	s_cbranch_scc1 .LBB120_1366
.LBB120_1367:
	s_waitcnt lgkmcnt(0)
	v_cmp_eq_f64_e32 vcc, 0, v[0:1]
	v_cmp_eq_f64_e64 s[4:5], 0, v[2:3]
	s_and_b64 s[4:5], vcc, s[4:5]
	s_and_saveexec_b64 s[16:17], s[4:5]
	s_xor_b64 s[4:5], exec, s[16:17]
; %bb.1368:
	v_cmp_ne_u32_e32 vcc, 0, v41
	v_cndmask_b32_e32 v41, 61, v41, vcc
; %bb.1369:
	s_andn2_saveexec_b64 s[4:5], s[4:5]
	s_cbranch_execz .LBB120_1375
; %bb.1370:
	v_cmp_ngt_f64_e64 s[16:17], |v[0:1]|, |v[2:3]|
	s_and_saveexec_b64 s[18:19], s[16:17]
	s_xor_b64 s[18:19], exec, s[18:19]
	s_cbranch_execz .LBB120_1372
; %bb.1371:
	v_div_scale_f64 v[10:11], s[16:17], v[2:3], v[2:3], v[0:1]
	v_rcp_f64_e32 v[12:13], v[10:11]
	v_fma_f64 v[14:15], -v[10:11], v[12:13], 1.0
	v_fma_f64 v[12:13], v[12:13], v[14:15], v[12:13]
	v_div_scale_f64 v[14:15], vcc, v[0:1], v[2:3], v[0:1]
	v_fma_f64 v[16:17], -v[10:11], v[12:13], 1.0
	v_fma_f64 v[12:13], v[12:13], v[16:17], v[12:13]
	v_mul_f64 v[16:17], v[14:15], v[12:13]
	v_fma_f64 v[10:11], -v[10:11], v[16:17], v[14:15]
	v_div_fmas_f64 v[10:11], v[10:11], v[12:13], v[16:17]
	v_div_fixup_f64 v[10:11], v[10:11], v[2:3], v[0:1]
	v_fma_f64 v[0:1], v[0:1], v[10:11], v[2:3]
	v_div_scale_f64 v[2:3], s[16:17], v[0:1], v[0:1], 1.0
	v_div_scale_f64 v[16:17], vcc, 1.0, v[0:1], 1.0
	v_rcp_f64_e32 v[12:13], v[2:3]
	v_fma_f64 v[14:15], -v[2:3], v[12:13], 1.0
	v_fma_f64 v[12:13], v[12:13], v[14:15], v[12:13]
	v_fma_f64 v[14:15], -v[2:3], v[12:13], 1.0
	v_fma_f64 v[12:13], v[12:13], v[14:15], v[12:13]
	v_mul_f64 v[14:15], v[16:17], v[12:13]
	v_fma_f64 v[2:3], -v[2:3], v[14:15], v[16:17]
	v_div_fmas_f64 v[2:3], v[2:3], v[12:13], v[14:15]
	v_div_fixup_f64 v[2:3], v[2:3], v[0:1], 1.0
	v_mul_f64 v[0:1], v[10:11], v[2:3]
	v_xor_b32_e32 v3, 0x80000000, v3
.LBB120_1372:
	s_andn2_saveexec_b64 s[18:19], s[18:19]
	s_cbranch_execz .LBB120_1374
; %bb.1373:
	v_div_scale_f64 v[10:11], s[16:17], v[0:1], v[0:1], v[2:3]
	v_rcp_f64_e32 v[12:13], v[10:11]
	v_fma_f64 v[14:15], -v[10:11], v[12:13], 1.0
	v_fma_f64 v[12:13], v[12:13], v[14:15], v[12:13]
	v_div_scale_f64 v[14:15], vcc, v[2:3], v[0:1], v[2:3]
	v_fma_f64 v[16:17], -v[10:11], v[12:13], 1.0
	v_fma_f64 v[12:13], v[12:13], v[16:17], v[12:13]
	v_mul_f64 v[16:17], v[14:15], v[12:13]
	v_fma_f64 v[10:11], -v[10:11], v[16:17], v[14:15]
	v_div_fmas_f64 v[10:11], v[10:11], v[12:13], v[16:17]
	v_div_fixup_f64 v[10:11], v[10:11], v[0:1], v[2:3]
	v_fma_f64 v[0:1], v[2:3], v[10:11], v[0:1]
	v_div_scale_f64 v[2:3], s[16:17], v[0:1], v[0:1], 1.0
	v_div_scale_f64 v[16:17], vcc, 1.0, v[0:1], 1.0
	v_rcp_f64_e32 v[12:13], v[2:3]
	v_fma_f64 v[14:15], -v[2:3], v[12:13], 1.0
	v_fma_f64 v[12:13], v[12:13], v[14:15], v[12:13]
	v_fma_f64 v[14:15], -v[2:3], v[12:13], 1.0
	v_fma_f64 v[12:13], v[12:13], v[14:15], v[12:13]
	v_mul_f64 v[14:15], v[16:17], v[12:13]
	v_fma_f64 v[2:3], -v[2:3], v[14:15], v[16:17]
	v_div_fmas_f64 v[2:3], v[2:3], v[12:13], v[14:15]
	v_div_fixup_f64 v[0:1], v[2:3], v[0:1], 1.0
	v_mul_f64 v[2:3], v[10:11], -v[0:1]
.LBB120_1374:
	s_or_b64 exec, exec, s[18:19]
.LBB120_1375:
	s_or_b64 exec, exec, s[4:5]
	v_cmp_ne_u32_e32 vcc, v43, v4
	v_mov_b32_e32 v10, 60
	s_and_saveexec_b64 s[4:5], vcc
	s_cbranch_execz .LBB120_1381
; %bb.1376:
	v_cmp_eq_u32_e32 vcc, 60, v43
	s_and_saveexec_b64 s[18:19], vcc
	s_cbranch_execz .LBB120_1380
; %bb.1377:
	v_cmp_ne_u32_e32 vcc, 60, v4
	s_xor_b64 s[16:17], s[22:23], -1
	s_and_b64 s[16:17], s[16:17], vcc
	s_and_saveexec_b64 s[22:23], s[16:17]
	s_cbranch_execz .LBB120_1379
; %bb.1378:
	v_ashrrev_i32_e32 v5, 31, v4
	v_lshlrev_b64 v[10:11], 2, v[4:5]
	v_add_co_u32_e32 v10, vcc, v8, v10
	v_addc_co_u32_e32 v11, vcc, v9, v11, vcc
	global_load_dword v5, v[10:11], off
	global_load_dword v12, v[8:9], off offset:240
	s_waitcnt vmcnt(1)
	global_store_dword v[8:9], v5, off offset:240
	s_waitcnt vmcnt(1)
	global_store_dword v[10:11], v12, off
.LBB120_1379:
	s_or_b64 exec, exec, s[22:23]
	v_mov_b32_e32 v43, v4
	v_mov_b32_e32 v42, v4
.LBB120_1380:
	s_or_b64 exec, exec, s[18:19]
	v_mov_b32_e32 v10, v43
.LBB120_1381:
	s_or_b64 exec, exec, s[4:5]
	v_cmp_lt_i32_e32 vcc, 60, v10
	s_waitcnt vmcnt(0)
	s_barrier
	s_and_saveexec_b64 s[4:5], vcc
	s_cbranch_execz .LBB120_1383
; %bb.1382:
	buffer_load_dword v4, off, s[0:3], 0 offset:968
	buffer_load_dword v5, off, s[0:3], 0 offset:972
	;; [unrolled: 1-line block ×4, first 2 shown]
	s_waitcnt vmcnt(2)
	v_mul_f64 v[11:12], v[2:3], v[4:5]
	v_mul_f64 v[4:5], v[0:1], v[4:5]
	s_waitcnt vmcnt(0)
	v_fma_f64 v[0:1], v[0:1], v[8:9], -v[11:12]
	v_fma_f64 v[2:3], v[2:3], v[8:9], v[4:5]
	buffer_store_dword v0, off, s[0:3], 0 offset:960
	buffer_store_dword v1, off, s[0:3], 0 offset:964
	;; [unrolled: 1-line block ×4, first 2 shown]
.LBB120_1383:
	s_or_b64 exec, exec, s[4:5]
	v_cmp_gt_i32_e32 vcc, 61, v10
	v_ashrrev_i32_e32 v11, 31, v10
	s_waitcnt vmcnt(0)
	s_barrier
	s_and_saveexec_b64 s[4:5], vcc
	s_cbranch_execz .LBB120_1385
; %bb.1384:
	v_readlane_b32 s12, v63, 0
	v_readlane_b32 s13, v63, 1
	;; [unrolled: 1-line block ×8, first 2 shown]
	s_mov_b64 s[10:11], s[14:15]
	s_mov_b64 s[12:13], s[16:17]
	;; [unrolled: 1-line block ×3, first 2 shown]
	v_mul_lo_u32 v2, s15, v6
	v_mul_lo_u32 v3, s14, v7
	v_mad_u64_u32 v[0:1], s[14:15], s14, v6, 0
	v_add3_u32 v1, v1, v3, v2
	v_lshlrev_b64 v[0:1], 2, v[0:1]
	v_mov_b32_e32 v2, s11
	v_add_co_u32_e32 v0, vcc, s10, v0
	v_addc_co_u32_e32 v1, vcc, v2, v1, vcc
	s_lshl_b64 s[10:11], s[12:13], 2
	v_mov_b32_e32 v2, s11
	v_add_co_u32_e32 v3, vcc, s10, v0
	v_addc_co_u32_e32 v2, vcc, v1, v2, vcc
	v_lshlrev_b64 v[0:1], 2, v[10:11]
	v_add_co_u32_e32 v0, vcc, v3, v0
	v_addc_co_u32_e32 v1, vcc, v2, v1, vcc
	v_add3_u32 v2, v42, s21, 1
	global_store_dword v[0:1], v2, off
.LBB120_1385:
	s_or_b64 exec, exec, s[4:5]
	v_cmp_eq_u32_e32 vcc, 0, v10
	s_and_saveexec_b64 s[10:11], vcc
	s_cbranch_execz .LBB120_1388
; %bb.1386:
	v_lshlrev_b64 v[0:1], 2, v[6:7]
	v_readlane_b32 s4, v63, 11
	v_readlane_b32 s5, v63, 12
	v_mov_b32_e32 v2, s5
	v_add_co_u32_e32 v0, vcc, s4, v0
	v_addc_co_u32_e32 v1, vcc, v2, v1, vcc
	global_load_dword v2, v[0:1], off
	v_cmp_ne_u32_e64 s[4:5], 0, v41
	s_waitcnt vmcnt(0)
	v_cmp_eq_u32_e32 vcc, 0, v2
	s_and_b64 s[4:5], vcc, s[4:5]
	s_and_b64 exec, exec, s[4:5]
	s_cbranch_execz .LBB120_1388
; %bb.1387:
	v_add_u32_e32 v2, s21, v41
	global_store_dword v[0:1], v2, off
.LBB120_1388:
	s_or_b64 exec, exec, s[10:11]
	v_mov_b32_e32 v7, s83
	v_mov_b32_e32 v8, s82
	buffer_load_dword v0, off, s[0:3], 0
	buffer_load_dword v1, off, s[0:3], 0 offset:4
	buffer_load_dword v2, off, s[0:3], 0 offset:8
	;; [unrolled: 1-line block ×3, first 2 shown]
	buffer_load_dword v4, v7, s[0:3], 0 offen
	buffer_load_dword v5, v7, s[0:3], 0 offen offset:4
	buffer_load_dword v6, v7, s[0:3], 0 offen offset:8
	s_nop 0
	buffer_load_dword v7, v7, s[0:3], 0 offen offset:12
	v_mov_b32_e32 v9, s81
	buffer_load_dword v12, v8, s[0:3], 0 offen
	buffer_load_dword v13, v8, s[0:3], 0 offen offset:4
	buffer_load_dword v14, v8, s[0:3], 0 offen offset:8
	;; [unrolled: 1-line block ×3, first 2 shown]
	buffer_load_dword v16, v9, s[0:3], 0 offen
	buffer_load_dword v17, v9, s[0:3], 0 offen offset:4
	buffer_load_dword v18, v9, s[0:3], 0 offen offset:8
	buffer_load_dword v19, v9, s[0:3], 0 offen offset:12
	v_mov_b32_e32 v8, s80
	buffer_load_dword v20, v8, s[0:3], 0 offen
	buffer_load_dword v21, v8, s[0:3], 0 offen offset:4
	buffer_load_dword v22, v8, s[0:3], 0 offen offset:8
	buffer_load_dword v23, v8, s[0:3], 0 offen offset:12
	v_mov_b32_e32 v8, s79
	;; [unrolled: 5-line block ×3, first 2 shown]
	buffer_load_dword v28, v8, s[0:3], 0 offen
	buffer_load_dword v29, v8, s[0:3], 0 offen offset:4
	buffer_load_dword v30, v8, s[0:3], 0 offen offset:8
	;; [unrolled: 1-line block ×3, first 2 shown]
	v_lshlrev_b64 v[36:37], 4, v[10:11]
	v_readlane_b32 s4, v63, 8
	v_mov_b32_e32 v11, s9
	v_mov_b32_e32 v35, s78
	;; [unrolled: 1-line block ×3, first 2 shown]
	v_add_u32_e32 v44, s4, v10
	buffer_load_dword v8, v11, s[0:3], 0 offen
	buffer_load_dword v9, v11, s[0:3], 0 offen offset:4
	buffer_load_dword v10, v11, s[0:3], 0 offen offset:8
	s_nop 0
	buffer_load_dword v11, v11, s[0:3], 0 offen offset:12
	s_nop 0
	buffer_load_dword v32, v35, s[0:3], 0 offen
	buffer_load_dword v33, v35, s[0:3], 0 offen offset:4
	buffer_load_dword v34, v35, s[0:3], 0 offen offset:8
	s_nop 0
	buffer_load_dword v35, v35, s[0:3], 0 offen offset:12
	s_nop 0
	buffer_load_dword v40, v43, s[0:3], 0 offen
	buffer_load_dword v41, v43, s[0:3], 0 offen offset:4
	buffer_load_dword v42, v43, s[0:3], 0 offen offset:8
	s_nop 0
	buffer_load_dword v43, v43, s[0:3], 0 offen offset:12
	v_readlane_b32 s10, v63, 9
	v_add_co_u32_e32 v36, vcc, v38, v36
	v_readlane_b32 s11, v63, 10
	v_ashrrev_i32_e32 v45, 31, v44
	v_addc_co_u32_e32 v37, vcc, v39, v37, vcc
	v_mov_b32_e32 v49, s11
	v_add_u32_e32 v46, s6, v44
	v_lshlrev_b64 v[44:45], 4, v[44:45]
	v_add_co_u32_e32 v50, vcc, s10, v36
	v_ashrrev_i32_e32 v47, 31, v46
	v_addc_co_u32_e32 v51, vcc, v37, v49, vcc
	v_add_u32_e32 v48, s6, v46
	v_lshlrev_b64 v[46:47], 4, v[46:47]
	v_add_co_u32_e32 v44, vcc, v38, v44
	v_addc_co_u32_e32 v45, vcc, v39, v45, vcc
	v_add_co_u32_e32 v46, vcc, v38, v46
	v_mov_b32_e32 v54, s76
	v_addc_co_u32_e32 v47, vcc, v39, v47, vcc
	v_ashrrev_i32_e32 v49, 31, v48
	v_lshlrev_b64 v[52:53], 4, v[48:49]
	s_waitcnt vmcnt(36)
	global_store_dwordx4 v[36:37], v[0:3], off
	s_waitcnt vmcnt(33)
	global_store_dwordx4 v[50:51], v[4:7], off
	;; [unrolled: 2-line block ×4, first 2 shown]
	buffer_load_dword v0, v54, s[0:3], 0 offen
	buffer_load_dword v1, v54, s[0:3], 0 offen offset:4
	buffer_load_dword v2, v54, s[0:3], 0 offen offset:8
	buffer_load_dword v3, v54, s[0:3], 0 offen offset:12
	v_add_co_u32_e32 v4, vcc, v38, v52
	v_addc_co_u32_e32 v5, vcc, v39, v53, vcc
	s_waitcnt vmcnt(28)
	global_store_dwordx4 v[4:5], v[20:23], off
	v_add_u32_e32 v12, s6, v48
	v_mov_b32_e32 v7, s75
	v_ashrrev_i32_e32 v13, 31, v12
	buffer_load_dword v4, v7, s[0:3], 0 offen
	buffer_load_dword v5, v7, s[0:3], 0 offen offset:4
	buffer_load_dword v6, v7, s[0:3], 0 offen offset:8
	s_nop 0
	buffer_load_dword v7, v7, s[0:3], 0 offen offset:12
	v_lshlrev_b64 v[13:14], 4, v[12:13]
	v_add_u32_e32 v16, s6, v12
	v_add_co_u32_e32 v13, vcc, v38, v13
	v_addc_co_u32_e32 v14, vcc, v39, v14, vcc
	s_waitcnt vmcnt(29)
	global_store_dwordx4 v[13:14], v[24:27], off
	v_mov_b32_e32 v15, s74
	v_ashrrev_i32_e32 v17, 31, v16
	buffer_load_dword v12, v15, s[0:3], 0 offen
	buffer_load_dword v13, v15, s[0:3], 0 offen offset:4
	buffer_load_dword v14, v15, s[0:3], 0 offen offset:8
	s_nop 0
	buffer_load_dword v15, v15, s[0:3], 0 offen offset:12
	v_lshlrev_b64 v[17:18], 4, v[16:17]
	v_mov_b32_e32 v19, s73
	v_add_co_u32_e32 v17, vcc, v38, v17
	v_addc_co_u32_e32 v18, vcc, v39, v18, vcc
	s_waitcnt vmcnt(30)
	global_store_dwordx4 v[17:18], v[28:31], off
	v_add_u32_e32 v20, s6, v16
	buffer_load_dword v16, v19, s[0:3], 0 offen
	buffer_load_dword v17, v19, s[0:3], 0 offen offset:4
	buffer_load_dword v18, v19, s[0:3], 0 offen offset:8
	s_nop 0
	buffer_load_dword v19, v19, s[0:3], 0 offen offset:12
	v_ashrrev_i32_e32 v21, 31, v20
	v_lshlrev_b64 v[21:22], 4, v[20:21]
	v_add_u32_e32 v20, s6, v20
	v_add_co_u32_e32 v21, vcc, v38, v21
	v_addc_co_u32_e32 v22, vcc, v39, v22, vcc
	s_waitcnt vmcnt(31)
	global_store_dwordx4 v[21:22], v[8:11], off
	v_mov_b32_e32 v23, s72
	v_ashrrev_i32_e32 v21, 31, v20
	buffer_load_dword v8, v23, s[0:3], 0 offen
	buffer_load_dword v9, v23, s[0:3], 0 offen offset:4
	buffer_load_dword v10, v23, s[0:3], 0 offen offset:8
	;; [unrolled: 1-line block ×3, first 2 shown]
	v_lshlrev_b64 v[21:22], 4, v[20:21]
	v_mov_b32_e32 v27, s71
	v_add_co_u32_e32 v21, vcc, v38, v21
	v_addc_co_u32_e32 v22, vcc, v39, v22, vcc
	s_waitcnt vmcnt(32)
	global_store_dwordx4 v[21:22], v[32:35], off
	v_add_u32_e32 v24, s6, v20
	buffer_load_dword v20, v27, s[0:3], 0 offen
	buffer_load_dword v21, v27, s[0:3], 0 offen offset:4
	buffer_load_dword v22, v27, s[0:3], 0 offen offset:8
	;; [unrolled: 1-line block ×3, first 2 shown]
	v_ashrrev_i32_e32 v25, 31, v24
	v_lshlrev_b64 v[25:26], 4, v[24:25]
	v_add_u32_e32 v28, s6, v24
	v_add_co_u32_e32 v25, vcc, v38, v25
	v_addc_co_u32_e32 v26, vcc, v39, v26, vcc
	s_waitcnt vmcnt(33)
	global_store_dwordx4 v[25:26], v[40:43], off
	v_mov_b32_e32 v31, s70
	v_ashrrev_i32_e32 v29, 31, v28
	buffer_load_dword v24, v31, s[0:3], 0 offen
	buffer_load_dword v25, v31, s[0:3], 0 offen offset:4
	buffer_load_dword v26, v31, s[0:3], 0 offen offset:8
	;; [unrolled: 1-line block ×3, first 2 shown]
	v_lshlrev_b64 v[29:30], 4, v[28:29]
	v_mov_b32_e32 v31, s69
	v_add_co_u32_e32 v29, vcc, v38, v29
	v_addc_co_u32_e32 v30, vcc, v39, v30, vcc
	v_add_u32_e32 v28, s6, v28
	v_mov_b32_e32 v35, s41
	s_waitcnt vmcnt(30)
	global_store_dwordx4 v[29:30], v[0:3], off
	buffer_load_dword v0, v31, s[0:3], 0 offen
	s_nop 0
	buffer_load_dword v1, v31, s[0:3], 0 offen offset:4
	buffer_load_dword v2, v31, s[0:3], 0 offen offset:8
	;; [unrolled: 1-line block ×3, first 2 shown]
	v_ashrrev_i32_e32 v29, 31, v28
	v_lshlrev_b64 v[29:30], 4, v[28:29]
	v_add_u32_e32 v28, s6, v28
	v_add_co_u32_e32 v29, vcc, v38, v29
	v_addc_co_u32_e32 v30, vcc, v39, v30, vcc
	s_waitcnt vmcnt(30)
	global_store_dwordx4 v[29:30], v[4:7], off
	v_mov_b32_e32 v31, s68
	v_ashrrev_i32_e32 v29, 31, v28
	buffer_load_dword v4, v31, s[0:3], 0 offen
	buffer_load_dword v5, v31, s[0:3], 0 offen offset:4
	buffer_load_dword v6, v31, s[0:3], 0 offen offset:8
	;; [unrolled: 1-line block ×3, first 2 shown]
	v_lshlrev_b64 v[29:30], 4, v[28:29]
	v_add_u32_e32 v28, s6, v28
	v_add_co_u32_e32 v29, vcc, v38, v29
	v_addc_co_u32_e32 v30, vcc, v39, v30, vcc
	s_waitcnt vmcnt(30)
	global_store_dwordx4 v[29:30], v[12:15], off
	v_mov_b32_e32 v31, s67
	v_ashrrev_i32_e32 v29, 31, v28
	buffer_load_dword v12, v31, s[0:3], 0 offen
	buffer_load_dword v13, v31, s[0:3], 0 offen offset:4
	buffer_load_dword v14, v31, s[0:3], 0 offen offset:8
	buffer_load_dword v15, v31, s[0:3], 0 offen offset:12
	v_lshlrev_b64 v[29:30], 4, v[28:29]
	v_mov_b32_e32 v31, s66
	v_add_co_u32_e32 v29, vcc, v38, v29
	v_addc_co_u32_e32 v30, vcc, v39, v30, vcc
	s_waitcnt vmcnt(30)
	global_store_dwordx4 v[29:30], v[16:19], off
	buffer_load_dword v16, v31, s[0:3], 0 offen
	s_nop 0
	buffer_load_dword v17, v31, s[0:3], 0 offen offset:4
	buffer_load_dword v18, v31, s[0:3], 0 offen offset:8
	;; [unrolled: 1-line block ×3, first 2 shown]
	v_add_u32_e32 v28, s6, v28
	v_ashrrev_i32_e32 v29, 31, v28
	v_lshlrev_b64 v[29:30], 4, v[28:29]
	v_add_u32_e32 v28, s6, v28
	v_add_co_u32_e32 v29, vcc, v38, v29
	v_addc_co_u32_e32 v30, vcc, v39, v30, vcc
	s_waitcnt vmcnt(30)
	global_store_dwordx4 v[29:30], v[8:11], off
	v_mov_b32_e32 v31, s65
	v_ashrrev_i32_e32 v29, 31, v28
	buffer_load_dword v8, v31, s[0:3], 0 offen
	buffer_load_dword v9, v31, s[0:3], 0 offen offset:4
	buffer_load_dword v10, v31, s[0:3], 0 offen offset:8
	;; [unrolled: 1-line block ×3, first 2 shown]
	v_lshlrev_b64 v[29:30], 4, v[28:29]
	v_mov_b32_e32 v31, s63
	v_add_co_u32_e32 v29, vcc, v38, v29
	v_addc_co_u32_e32 v30, vcc, v39, v30, vcc
	s_waitcnt vmcnt(30)
	global_store_dwordx4 v[29:30], v[20:23], off
	buffer_load_dword v20, v31, s[0:3], 0 offen
	s_nop 0
	buffer_load_dword v21, v31, s[0:3], 0 offen offset:4
	buffer_load_dword v22, v31, s[0:3], 0 offen offset:8
	buffer_load_dword v23, v31, s[0:3], 0 offen offset:12
	v_add_u32_e32 v28, s6, v28
	v_ashrrev_i32_e32 v29, 31, v28
	v_lshlrev_b64 v[29:30], 4, v[28:29]
	v_add_u32_e32 v28, s6, v28
	v_add_co_u32_e32 v29, vcc, v38, v29
	v_addc_co_u32_e32 v30, vcc, v39, v30, vcc
	s_waitcnt vmcnt(30)
	global_store_dwordx4 v[29:30], v[24:27], off
	v_mov_b32_e32 v31, s47
	v_ashrrev_i32_e32 v29, 31, v28
	buffer_load_dword v24, v31, s[0:3], 0 offen
	buffer_load_dword v25, v31, s[0:3], 0 offen offset:4
	buffer_load_dword v26, v31, s[0:3], 0 offen offset:8
	;; [unrolled: 1-line block ×3, first 2 shown]
	v_lshlrev_b64 v[29:30], 4, v[28:29]
	v_mov_b32_e32 v31, s62
	v_add_co_u32_e32 v29, vcc, v38, v29
	v_addc_co_u32_e32 v30, vcc, v39, v30, vcc
	v_add_u32_e32 v28, s6, v28
	s_waitcnt vmcnt(30)
	global_store_dwordx4 v[29:30], v[0:3], off
	buffer_load_dword v0, v31, s[0:3], 0 offen
	s_nop 0
	buffer_load_dword v1, v31, s[0:3], 0 offen offset:4
	buffer_load_dword v2, v31, s[0:3], 0 offen offset:8
	;; [unrolled: 1-line block ×3, first 2 shown]
	v_ashrrev_i32_e32 v29, 31, v28
	v_lshlrev_b64 v[29:30], 4, v[28:29]
	v_add_u32_e32 v28, s6, v28
	v_add_co_u32_e32 v29, vcc, v38, v29
	v_addc_co_u32_e32 v30, vcc, v39, v30, vcc
	v_mov_b32_e32 v31, s61
	s_waitcnt vmcnt(30)
	global_store_dwordx4 v[29:30], v[4:7], off
	v_ashrrev_i32_e32 v29, 31, v28
	buffer_load_dword v4, v31, s[0:3], 0 offen
	buffer_load_dword v5, v31, s[0:3], 0 offen offset:4
	buffer_load_dword v6, v31, s[0:3], 0 offen offset:8
	;; [unrolled: 1-line block ×3, first 2 shown]
	v_lshlrev_b64 v[29:30], 4, v[28:29]
	v_add_u32_e32 v28, s6, v28
	v_add_co_u32_e32 v29, vcc, v38, v29
	v_addc_co_u32_e32 v30, vcc, v39, v30, vcc
	v_mov_b32_e32 v31, s60
	s_waitcnt vmcnt(30)
	global_store_dwordx4 v[29:30], v[12:15], off
	v_ashrrev_i32_e32 v29, 31, v28
	buffer_load_dword v12, v31, s[0:3], 0 offen
	buffer_load_dword v13, v31, s[0:3], 0 offen offset:4
	buffer_load_dword v14, v31, s[0:3], 0 offen offset:8
	;; [unrolled: 1-line block ×3, first 2 shown]
	v_lshlrev_b64 v[29:30], 4, v[28:29]
	v_mov_b32_e32 v31, s59
	v_add_co_u32_e32 v29, vcc, v38, v29
	v_addc_co_u32_e32 v30, vcc, v39, v30, vcc
	s_waitcnt vmcnt(30)
	global_store_dwordx4 v[29:30], v[16:19], off
	buffer_load_dword v16, v31, s[0:3], 0 offen
	s_nop 0
	buffer_load_dword v17, v31, s[0:3], 0 offen offset:4
	buffer_load_dword v18, v31, s[0:3], 0 offen offset:8
	;; [unrolled: 1-line block ×3, first 2 shown]
	v_add_u32_e32 v28, s6, v28
	v_ashrrev_i32_e32 v29, 31, v28
	v_lshlrev_b64 v[29:30], 4, v[28:29]
	v_add_u32_e32 v28, s6, v28
	v_add_co_u32_e32 v29, vcc, v38, v29
	v_addc_co_u32_e32 v30, vcc, v39, v30, vcc
	v_mov_b32_e32 v31, s58
	s_waitcnt vmcnt(30)
	global_store_dwordx4 v[29:30], v[8:11], off
	v_ashrrev_i32_e32 v29, 31, v28
	buffer_load_dword v8, v31, s[0:3], 0 offen
	buffer_load_dword v9, v31, s[0:3], 0 offen offset:4
	buffer_load_dword v10, v31, s[0:3], 0 offen offset:8
	;; [unrolled: 1-line block ×3, first 2 shown]
	v_lshlrev_b64 v[29:30], 4, v[28:29]
	v_mov_b32_e32 v31, s8
	v_add_co_u32_e32 v29, vcc, v38, v29
	v_addc_co_u32_e32 v30, vcc, v39, v30, vcc
	s_waitcnt vmcnt(30)
	global_store_dwordx4 v[29:30], v[20:23], off
	buffer_load_dword v20, v31, s[0:3], 0 offen
	s_nop 0
	buffer_load_dword v21, v31, s[0:3], 0 offen offset:4
	buffer_load_dword v22, v31, s[0:3], 0 offen offset:8
	;; [unrolled: 1-line block ×3, first 2 shown]
	v_add_u32_e32 v28, s6, v28
	v_ashrrev_i32_e32 v29, 31, v28
	v_lshlrev_b64 v[29:30], 4, v[28:29]
	v_add_u32_e32 v28, s6, v28
	v_add_co_u32_e32 v29, vcc, v38, v29
	v_addc_co_u32_e32 v30, vcc, v39, v30, vcc
	v_mov_b32_e32 v31, s56
	s_waitcnt vmcnt(30)
	global_store_dwordx4 v[29:30], v[24:27], off
	v_ashrrev_i32_e32 v29, 31, v28
	buffer_load_dword v24, v31, s[0:3], 0 offen
	buffer_load_dword v25, v31, s[0:3], 0 offen offset:4
	buffer_load_dword v26, v31, s[0:3], 0 offen offset:8
	;; [unrolled: 1-line block ×3, first 2 shown]
	v_lshlrev_b64 v[29:30], 4, v[28:29]
	v_add_u32_e32 v28, s6, v28
	v_add_co_u32_e32 v29, vcc, v38, v29
	v_addc_co_u32_e32 v30, vcc, v39, v30, vcc
	v_mov_b32_e32 v31, s51
	s_waitcnt vmcnt(30)
	global_store_dwordx4 v[29:30], v[0:3], off
	v_mov_b32_e32 v29, s55
	buffer_load_dword v0, v29, s[0:3], 0 offen
	buffer_load_dword v1, v29, s[0:3], 0 offen offset:4
	buffer_load_dword v2, v29, s[0:3], 0 offen offset:8
	buffer_load_dword v3, v29, s[0:3], 0 offen offset:12
	v_ashrrev_i32_e32 v29, 31, v28
	v_lshlrev_b64 v[29:30], 4, v[28:29]
	v_add_u32_e32 v28, s6, v28
	v_add_co_u32_e32 v29, vcc, v38, v29
	v_addc_co_u32_e32 v30, vcc, v39, v30, vcc
	s_waitcnt vmcnt(30)
	global_store_dwordx4 v[29:30], v[4:7], off
	v_mov_b32_e32 v29, s54
	buffer_load_dword v4, v29, s[0:3], 0 offen
	buffer_load_dword v5, v29, s[0:3], 0 offen offset:4
	buffer_load_dword v6, v29, s[0:3], 0 offen offset:8
	buffer_load_dword v7, v29, s[0:3], 0 offen offset:12
	v_ashrrev_i32_e32 v29, 31, v28
	v_lshlrev_b64 v[29:30], 4, v[28:29]
	v_add_u32_e32 v28, s6, v28
	v_add_co_u32_e32 v29, vcc, v38, v29
	v_addc_co_u32_e32 v30, vcc, v39, v30, vcc
	;; [unrolled: 12-line block ×4, first 2 shown]
	s_waitcnt vmcnt(30)
	global_store_dwordx4 v[29:30], v[8:11], off
	v_ashrrev_i32_e32 v29, 31, v28
	buffer_load_dword v8, v31, s[0:3], 0 offen
	buffer_load_dword v9, v31, s[0:3], 0 offen offset:4
	buffer_load_dword v10, v31, s[0:3], 0 offen offset:8
	;; [unrolled: 1-line block ×3, first 2 shown]
	v_lshlrev_b64 v[29:30], 4, v[28:29]
	v_mov_b32_e32 v31, s50
	v_add_co_u32_e32 v29, vcc, v38, v29
	v_addc_co_u32_e32 v30, vcc, v39, v30, vcc
	s_waitcnt vmcnt(30)
	global_store_dwordx4 v[29:30], v[20:23], off
	buffer_load_dword v20, v31, s[0:3], 0 offen
	s_nop 0
	buffer_load_dword v21, v31, s[0:3], 0 offen offset:4
	buffer_load_dword v22, v31, s[0:3], 0 offen offset:8
	buffer_load_dword v23, v31, s[0:3], 0 offen offset:12
	v_add_u32_e32 v28, s6, v28
	v_ashrrev_i32_e32 v29, 31, v28
	v_lshlrev_b64 v[29:30], 4, v[28:29]
	v_mov_b32_e32 v31, s44
	v_add_co_u32_e32 v29, vcc, v38, v29
	v_addc_co_u32_e32 v30, vcc, v39, v30, vcc
	s_waitcnt vmcnt(30)
	global_store_dwordx4 v[29:30], v[24:27], off
	s_nop 0
	v_add_u32_e32 v24, s6, v28
	v_ashrrev_i32_e32 v25, 31, v24
	v_lshlrev_b64 v[25:26], 4, v[24:25]
	v_mov_b32_e32 v27, s49
	v_add_co_u32_e32 v25, vcc, v38, v25
	v_addc_co_u32_e32 v26, vcc, v39, v26, vcc
	v_add_u32_e32 v24, s6, v24
	s_waitcnt vmcnt(26)
	global_store_dwordx4 v[25:26], v[0:3], off
	buffer_load_dword v0, v27, s[0:3], 0 offen
	s_nop 0
	buffer_load_dword v1, v27, s[0:3], 0 offen offset:4
	buffer_load_dword v2, v27, s[0:3], 0 offen offset:8
	;; [unrolled: 1-line block ×3, first 2 shown]
	v_ashrrev_i32_e32 v25, 31, v24
	v_lshlrev_b64 v[25:26], 4, v[24:25]
	v_add_u32_e32 v24, s6, v24
	v_add_co_u32_e32 v25, vcc, v38, v25
	v_addc_co_u32_e32 v26, vcc, v39, v26, vcc
	v_mov_b32_e32 v27, s48
	s_waitcnt vmcnt(26)
	global_store_dwordx4 v[25:26], v[4:7], off
	v_ashrrev_i32_e32 v25, 31, v24
	buffer_load_dword v4, v27, s[0:3], 0 offen
	buffer_load_dword v5, v27, s[0:3], 0 offen offset:4
	buffer_load_dword v6, v27, s[0:3], 0 offen offset:8
	;; [unrolled: 1-line block ×3, first 2 shown]
	v_lshlrev_b64 v[25:26], 4, v[24:25]
	v_add_u32_e32 v24, s6, v24
	v_add_co_u32_e32 v25, vcc, v38, v25
	v_addc_co_u32_e32 v26, vcc, v39, v26, vcc
	v_mov_b32_e32 v27, s46
	s_waitcnt vmcnt(26)
	global_store_dwordx4 v[25:26], v[12:15], off
	v_ashrrev_i32_e32 v25, 31, v24
	buffer_load_dword v12, v27, s[0:3], 0 offen
	buffer_load_dword v13, v27, s[0:3], 0 offen offset:4
	buffer_load_dword v14, v27, s[0:3], 0 offen offset:8
	;; [unrolled: 1-line block ×3, first 2 shown]
	v_lshlrev_b64 v[25:26], 4, v[24:25]
	v_add_u32_e32 v28, s6, v24
	v_add_co_u32_e32 v25, vcc, v38, v25
	v_addc_co_u32_e32 v26, vcc, v39, v26, vcc
	v_mov_b32_e32 v24, s45
	s_waitcnt vmcnt(26)
	global_store_dwordx4 v[25:26], v[16:19], off
	buffer_load_dword v16, v24, s[0:3], 0 offen
	s_nop 0
	buffer_load_dword v17, v24, s[0:3], 0 offen offset:4
	buffer_load_dword v18, v24, s[0:3], 0 offen offset:8
	;; [unrolled: 1-line block ×3, first 2 shown]
	v_ashrrev_i32_e32 v29, 31, v28
	buffer_load_dword v24, v31, s[0:3], 0 offen
	buffer_load_dword v25, v31, s[0:3], 0 offen offset:4
	buffer_load_dword v26, v31, s[0:3], 0 offen offset:8
	;; [unrolled: 1-line block ×3, first 2 shown]
	v_lshlrev_b64 v[29:30], 4, v[28:29]
	v_add_u32_e32 v28, s6, v28
	v_add_co_u32_e32 v29, vcc, v38, v29
	v_addc_co_u32_e32 v30, vcc, v39, v30, vcc
	s_waitcnt vmcnt(30)
	global_store_dwordx4 v[29:30], v[8:11], off
	v_mov_b32_e32 v31, s43
	v_ashrrev_i32_e32 v29, 31, v28
	buffer_load_dword v8, v31, s[0:3], 0 offen
	buffer_load_dword v9, v31, s[0:3], 0 offen offset:4
	buffer_load_dword v10, v31, s[0:3], 0 offen offset:8
	;; [unrolled: 1-line block ×3, first 2 shown]
	v_lshlrev_b64 v[29:30], 4, v[28:29]
	v_add_u32_e32 v32, s6, v28
	v_add_co_u32_e32 v29, vcc, v38, v29
	v_addc_co_u32_e32 v30, vcc, v39, v30, vcc
	s_waitcnt vmcnt(30)
	global_store_dwordx4 v[29:30], v[20:23], off
	v_mov_b32_e32 v28, s42
	buffer_load_dword v20, v28, s[0:3], 0 offen
	buffer_load_dword v21, v28, s[0:3], 0 offen offset:4
	buffer_load_dword v22, v28, s[0:3], 0 offen offset:8
	;; [unrolled: 1-line block ×3, first 2 shown]
	s_nop 0
	buffer_load_dword v28, v35, s[0:3], 0 offen
	buffer_load_dword v29, v35, s[0:3], 0 offen offset:4
	buffer_load_dword v30, v35, s[0:3], 0 offen offset:8
	;; [unrolled: 1-line block ×3, first 2 shown]
	v_ashrrev_i32_e32 v33, 31, v32
	v_lshlrev_b64 v[33:34], 4, v[32:33]
	v_mov_b32_e32 v35, s40
	v_add_co_u32_e32 v33, vcc, v38, v33
	v_addc_co_u32_e32 v34, vcc, v39, v34, vcc
	v_add_u32_e32 v32, s6, v32
	s_waitcnt vmcnt(33)
	global_store_dwordx4 v[33:34], v[0:3], off
	buffer_load_dword v0, v35, s[0:3], 0 offen
	s_nop 0
	buffer_load_dword v1, v35, s[0:3], 0 offen offset:4
	buffer_load_dword v2, v35, s[0:3], 0 offen offset:8
	;; [unrolled: 1-line block ×3, first 2 shown]
	v_ashrrev_i32_e32 v33, 31, v32
	v_lshlrev_b64 v[33:34], 4, v[32:33]
	v_add_u32_e32 v32, s6, v32
	v_add_co_u32_e32 v33, vcc, v38, v33
	v_addc_co_u32_e32 v34, vcc, v39, v34, vcc
	v_mov_b32_e32 v35, s39
	s_waitcnt vmcnt(33)
	global_store_dwordx4 v[33:34], v[4:7], off
	v_ashrrev_i32_e32 v33, 31, v32
	buffer_load_dword v4, v35, s[0:3], 0 offen
	buffer_load_dword v5, v35, s[0:3], 0 offen offset:4
	buffer_load_dword v6, v35, s[0:3], 0 offen offset:8
	;; [unrolled: 1-line block ×3, first 2 shown]
	v_lshlrev_b64 v[33:34], 4, v[32:33]
	v_add_u32_e32 v32, s6, v32
	v_add_co_u32_e32 v33, vcc, v38, v33
	v_addc_co_u32_e32 v34, vcc, v39, v34, vcc
	v_mov_b32_e32 v35, s38
	s_waitcnt vmcnt(33)
	global_store_dwordx4 v[33:34], v[12:15], off
	v_ashrrev_i32_e32 v33, 31, v32
	buffer_load_dword v12, v35, s[0:3], 0 offen
	buffer_load_dword v13, v35, s[0:3], 0 offen offset:4
	buffer_load_dword v14, v35, s[0:3], 0 offen offset:8
	;; [unrolled: 1-line block ×3, first 2 shown]
	v_lshlrev_b64 v[33:34], 4, v[32:33]
	v_add_co_u32_e32 v33, vcc, v38, v33
	v_addc_co_u32_e32 v34, vcc, v39, v34, vcc
	s_waitcnt vmcnt(33)
	global_store_dwordx4 v[33:34], v[16:19], off
	v_mov_b32_e32 v34, s28
	v_add_u32_e32 v16, s6, v32
	v_ashrrev_i32_e32 v17, 31, v16
	v_lshlrev_b64 v[17:18], 4, v[16:17]
	v_add_co_u32_e32 v17, vcc, v38, v17
	v_addc_co_u32_e32 v18, vcc, v39, v18, vcc
	s_waitcnt vmcnt(30)
	global_store_dwordx4 v[17:18], v[24:27], off
	s_nop 0
	v_add_u32_e32 v24, s6, v16
	v_ashrrev_i32_e32 v25, 31, v24
	v_lshlrev_b64 v[25:26], 4, v[24:25]
	v_mov_b32_e32 v27, s37
	buffer_load_dword v16, v27, s[0:3], 0 offen
	buffer_load_dword v17, v27, s[0:3], 0 offen offset:4
	buffer_load_dword v18, v27, s[0:3], 0 offen offset:8
	;; [unrolled: 1-line block ×3, first 2 shown]
	v_add_co_u32_e32 v25, vcc, v38, v25
	v_addc_co_u32_e32 v26, vcc, v39, v26, vcc
	s_waitcnt vmcnt(30)
	global_store_dwordx4 v[25:26], v[8:11], off
	s_nop 0
	v_add_u32_e32 v8, s6, v24
	v_ashrrev_i32_e32 v9, 31, v8
	v_lshlrev_b64 v[9:10], 4, v[8:9]
	v_mov_b32_e32 v24, s31
	v_add_co_u32_e32 v9, vcc, v38, v9
	v_addc_co_u32_e32 v10, vcc, v39, v10, vcc
	s_waitcnt vmcnt(26)
	global_store_dwordx4 v[9:10], v[20:23], off
	s_nop 0
	v_add_u32_e32 v20, s6, v8
	v_ashrrev_i32_e32 v21, 31, v20
	v_lshlrev_b64 v[8:9], 4, v[20:21]
	v_mov_b32_e32 v21, s36
	v_add_co_u32_e32 v8, vcc, v38, v8
	v_addc_co_u32_e32 v9, vcc, v39, v9, vcc
	s_waitcnt vmcnt(23)
	global_store_dwordx4 v[8:9], v[28:31], off
	buffer_load_dword v8, v21, s[0:3], 0 offen
	s_nop 0
	buffer_load_dword v9, v21, s[0:3], 0 offen offset:4
	buffer_load_dword v10, v21, s[0:3], 0 offen offset:8
	;; [unrolled: 1-line block ×3, first 2 shown]
	v_add_u32_e32 v20, s6, v20
	v_ashrrev_i32_e32 v21, 31, v20
	v_lshlrev_b64 v[21:22], 4, v[20:21]
	v_mov_b32_e32 v23, s35
	v_add_co_u32_e32 v21, vcc, v38, v21
	v_addc_co_u32_e32 v22, vcc, v39, v22, vcc
	s_waitcnt vmcnt(23)
	global_store_dwordx4 v[21:22], v[0:3], off
	buffer_load_dword v0, v23, s[0:3], 0 offen
	s_nop 0
	buffer_load_dword v1, v23, s[0:3], 0 offen offset:4
	buffer_load_dword v2, v23, s[0:3], 0 offen offset:8
	;; [unrolled: 1-line block ×3, first 2 shown]
	v_add_u32_e32 v20, s6, v20
	v_ashrrev_i32_e32 v21, 31, v20
	v_lshlrev_b64 v[21:22], 4, v[20:21]
	v_add_u32_e32 v20, s6, v20
	v_add_co_u32_e32 v21, vcc, v38, v21
	v_addc_co_u32_e32 v22, vcc, v39, v22, vcc
	v_mov_b32_e32 v23, s34
	v_add_u32_e32 v28, s6, v20
	s_waitcnt vmcnt(23)
	global_store_dwordx4 v[21:22], v[4:7], off
	v_ashrrev_i32_e32 v21, 31, v20
	buffer_load_dword v4, v23, s[0:3], 0 offen
	buffer_load_dword v5, v23, s[0:3], 0 offen offset:4
	buffer_load_dword v6, v23, s[0:3], 0 offen offset:8
	;; [unrolled: 1-line block ×3, first 2 shown]
	v_lshlrev_b64 v[21:22], 4, v[20:21]
	v_ashrrev_i32_e32 v29, 31, v28
	v_add_co_u32_e32 v21, vcc, v38, v21
	v_addc_co_u32_e32 v22, vcc, v39, v22, vcc
	v_mov_b32_e32 v31, s30
	s_waitcnt vmcnt(23)
	global_store_dwordx4 v[21:22], v[12:15], off
	v_mov_b32_e32 v21, s33
	buffer_load_dword v12, v21, s[0:3], 0 offen
	buffer_load_dword v13, v21, s[0:3], 0 offen offset:4
	buffer_load_dword v14, v21, s[0:3], 0 offen offset:8
	;; [unrolled: 1-line block ×3, first 2 shown]
	buffer_load_dword v20, v24, s[0:3], 0 offen
	s_nop 0
	buffer_load_dword v21, v24, s[0:3], 0 offen offset:4
	buffer_load_dword v22, v24, s[0:3], 0 offen offset:8
	;; [unrolled: 1-line block ×3, first 2 shown]
	v_lshlrev_b64 v[29:30], 4, v[28:29]
	buffer_load_dword v24, v31, s[0:3], 0 offen
	buffer_load_dword v25, v31, s[0:3], 0 offen offset:4
	buffer_load_dword v26, v31, s[0:3], 0 offen offset:8
	;; [unrolled: 1-line block ×3, first 2 shown]
	v_add_co_u32_e32 v29, vcc, v38, v29
	v_addc_co_u32_e32 v30, vcc, v39, v30, vcc
	v_add_u32_e32 v36, s6, v28
	v_mov_b32_e32 v28, s29
	v_ashrrev_i32_e32 v37, 31, v36
	v_lshlrev_b64 v[32:33], 4, v[36:37]
	v_mov_b32_e32 v37, s27
	v_add_co_u32_e32 v40, vcc, v38, v32
	v_addc_co_u32_e32 v41, vcc, v39, v33, vcc
	v_add_u32_e32 v36, s6, v36
	s_waitcnt vmcnt(30)
	global_store_dwordx4 v[29:30], v[16:19], off
	buffer_load_dword v16, v28, s[0:3], 0 offen
	s_nop 0
	buffer_load_dword v17, v28, s[0:3], 0 offen offset:4
	buffer_load_dword v18, v28, s[0:3], 0 offen offset:8
	;; [unrolled: 1-line block ×3, first 2 shown]
	s_nop 0
	buffer_load_dword v28, v34, s[0:3], 0 offen
	buffer_load_dword v29, v34, s[0:3], 0 offen offset:4
	buffer_load_dword v30, v34, s[0:3], 0 offen offset:8
	;; [unrolled: 1-line block ×3, first 2 shown]
	buffer_load_dword v32, v37, s[0:3], 0 offen
	buffer_load_dword v33, v37, s[0:3], 0 offen offset:4
	s_nop 0
	buffer_load_dword v34, v37, s[0:3], 0 offen offset:8
	buffer_load_dword v35, v37, s[0:3], 0 offen offset:12
	v_ashrrev_i32_e32 v37, 31, v36
	v_lshlrev_b64 v[44:45], 4, v[36:37]
	v_mov_b32_e32 v37, s20
	v_add_co_u32_e32 v44, vcc, v38, v44
	v_addc_co_u32_e32 v45, vcc, v39, v45, vcc
	v_add_u32_e32 v36, s6, v36
	s_waitcnt vmcnt(36)
	global_store_dwordx4 v[40:41], v[8:11], off
	v_mov_b32_e32 v40, s26
	buffer_load_dword v8, v40, s[0:3], 0 offen
	buffer_load_dword v9, v40, s[0:3], 0 offen offset:4
	buffer_load_dword v10, v40, s[0:3], 0 offen offset:8
	buffer_load_dword v11, v40, s[0:3], 0 offen offset:12
	s_nop 0
	buffer_load_dword v40, v37, s[0:3], 0 offen
	buffer_load_dword v41, v37, s[0:3], 0 offen offset:4
	buffer_load_dword v42, v37, s[0:3], 0 offen offset:8
	;; [unrolled: 1-line block ×3, first 2 shown]
	v_mov_b32_e32 v37, s7
	s_waitcnt vmcnt(40)
	global_store_dwordx4 v[44:45], v[0:3], off
	buffer_load_dword v0, v37, s[0:3], 0 offen
	s_nop 0
	buffer_load_dword v1, v37, s[0:3], 0 offen offset:4
	buffer_load_dword v2, v37, s[0:3], 0 offen offset:8
	;; [unrolled: 1-line block ×3, first 2 shown]
	v_ashrrev_i32_e32 v37, 31, v36
	v_lshlrev_b64 v[44:45], 4, v[36:37]
	v_add_co_u32_e32 v44, vcc, v38, v44
	v_addc_co_u32_e32 v45, vcc, v39, v45, vcc
	s_waitcnt vmcnt(40)
	global_store_dwordx4 v[44:45], v[4:7], off
	s_nop 0
	v_add_u32_e32 v4, s6, v36
	v_ashrrev_i32_e32 v5, 31, v4
	v_lshlrev_b64 v[5:6], 4, v[4:5]
	v_add_u32_e32 v4, s6, v4
	v_add_co_u32_e32 v5, vcc, v38, v5
	v_addc_co_u32_e32 v6, vcc, v39, v6, vcc
	s_waitcnt vmcnt(36)
	global_store_dwordx4 v[5:6], v[12:15], off
	v_ashrrev_i32_e32 v5, 31, v4
	v_lshlrev_b64 v[5:6], 4, v[4:5]
	v_add_u32_e32 v4, s6, v4
	v_add_co_u32_e32 v5, vcc, v38, v5
	v_addc_co_u32_e32 v6, vcc, v39, v6, vcc
	s_waitcnt vmcnt(33)
	global_store_dwordx4 v[5:6], v[20:23], off
	;; [unrolled: 7-line block ×8, first 2 shown]
	v_ashrrev_i32_e32 v5, 31, v4
	v_lshlrev_b64 v[4:5], 4, v[4:5]
	v_add_co_u32_e32 v4, vcc, v38, v4
	v_addc_co_u32_e32 v5, vcc, v39, v5, vcc
	s_waitcnt vmcnt(9)
	global_store_dwordx4 v[4:5], v[0:3], off
.LBB120_1389:
	s_endpgm
	.section	.rodata,"a",@progbits
	.p2align	6, 0x0
	.amdhsa_kernel _ZN9rocsolver6v33100L18getf2_small_kernelILi61E19rocblas_complex_numIdEiiPS3_EEvT1_T3_lS5_lPS5_llPT2_S5_S5_S7_l
		.amdhsa_group_segment_fixed_size 0
		.amdhsa_private_segment_fixed_size 992
		.amdhsa_kernarg_size 352
		.amdhsa_user_sgpr_count 6
		.amdhsa_user_sgpr_private_segment_buffer 1
		.amdhsa_user_sgpr_dispatch_ptr 0
		.amdhsa_user_sgpr_queue_ptr 0
		.amdhsa_user_sgpr_kernarg_segment_ptr 1
		.amdhsa_user_sgpr_dispatch_id 0
		.amdhsa_user_sgpr_flat_scratch_init 0
		.amdhsa_user_sgpr_private_segment_size 0
		.amdhsa_uses_dynamic_stack 0
		.amdhsa_system_sgpr_private_segment_wavefront_offset 1
		.amdhsa_system_sgpr_workgroup_id_x 1
		.amdhsa_system_sgpr_workgroup_id_y 1
		.amdhsa_system_sgpr_workgroup_id_z 0
		.amdhsa_system_sgpr_workgroup_info 0
		.amdhsa_system_vgpr_workitem_id 1
		.amdhsa_next_free_vgpr 64
		.amdhsa_next_free_sgpr 100
		.amdhsa_reserve_vcc 1
		.amdhsa_reserve_flat_scratch 0
		.amdhsa_float_round_mode_32 0
		.amdhsa_float_round_mode_16_64 0
		.amdhsa_float_denorm_mode_32 3
		.amdhsa_float_denorm_mode_16_64 3
		.amdhsa_dx10_clamp 1
		.amdhsa_ieee_mode 1
		.amdhsa_fp16_overflow 0
		.amdhsa_exception_fp_ieee_invalid_op 0
		.amdhsa_exception_fp_denorm_src 0
		.amdhsa_exception_fp_ieee_div_zero 0
		.amdhsa_exception_fp_ieee_overflow 0
		.amdhsa_exception_fp_ieee_underflow 0
		.amdhsa_exception_fp_ieee_inexact 0
		.amdhsa_exception_int_div_zero 0
	.end_amdhsa_kernel
	.section	.text._ZN9rocsolver6v33100L18getf2_small_kernelILi61E19rocblas_complex_numIdEiiPS3_EEvT1_T3_lS5_lPS5_llPT2_S5_S5_S7_l,"axG",@progbits,_ZN9rocsolver6v33100L18getf2_small_kernelILi61E19rocblas_complex_numIdEiiPS3_EEvT1_T3_lS5_lPS5_llPT2_S5_S5_S7_l,comdat
.Lfunc_end120:
	.size	_ZN9rocsolver6v33100L18getf2_small_kernelILi61E19rocblas_complex_numIdEiiPS3_EEvT1_T3_lS5_lPS5_llPT2_S5_S5_S7_l, .Lfunc_end120-_ZN9rocsolver6v33100L18getf2_small_kernelILi61E19rocblas_complex_numIdEiiPS3_EEvT1_T3_lS5_lPS5_llPT2_S5_S5_S7_l
                                        ; -- End function
	.set _ZN9rocsolver6v33100L18getf2_small_kernelILi61E19rocblas_complex_numIdEiiPS3_EEvT1_T3_lS5_lPS5_llPT2_S5_S5_S7_l.num_vgpr, 64
	.set _ZN9rocsolver6v33100L18getf2_small_kernelILi61E19rocblas_complex_numIdEiiPS3_EEvT1_T3_lS5_lPS5_llPT2_S5_S5_S7_l.num_agpr, 0
	.set _ZN9rocsolver6v33100L18getf2_small_kernelILi61E19rocblas_complex_numIdEiiPS3_EEvT1_T3_lS5_lPS5_llPT2_S5_S5_S7_l.numbered_sgpr, 100
	.set _ZN9rocsolver6v33100L18getf2_small_kernelILi61E19rocblas_complex_numIdEiiPS3_EEvT1_T3_lS5_lPS5_llPT2_S5_S5_S7_l.num_named_barrier, 0
	.set _ZN9rocsolver6v33100L18getf2_small_kernelILi61E19rocblas_complex_numIdEiiPS3_EEvT1_T3_lS5_lPS5_llPT2_S5_S5_S7_l.private_seg_size, 992
	.set _ZN9rocsolver6v33100L18getf2_small_kernelILi61E19rocblas_complex_numIdEiiPS3_EEvT1_T3_lS5_lPS5_llPT2_S5_S5_S7_l.uses_vcc, 1
	.set _ZN9rocsolver6v33100L18getf2_small_kernelILi61E19rocblas_complex_numIdEiiPS3_EEvT1_T3_lS5_lPS5_llPT2_S5_S5_S7_l.uses_flat_scratch, 0
	.set _ZN9rocsolver6v33100L18getf2_small_kernelILi61E19rocblas_complex_numIdEiiPS3_EEvT1_T3_lS5_lPS5_llPT2_S5_S5_S7_l.has_dyn_sized_stack, 0
	.set _ZN9rocsolver6v33100L18getf2_small_kernelILi61E19rocblas_complex_numIdEiiPS3_EEvT1_T3_lS5_lPS5_llPT2_S5_S5_S7_l.has_recursion, 0
	.set _ZN9rocsolver6v33100L18getf2_small_kernelILi61E19rocblas_complex_numIdEiiPS3_EEvT1_T3_lS5_lPS5_llPT2_S5_S5_S7_l.has_indirect_call, 0
	.section	.AMDGPU.csdata,"",@progbits
; Kernel info:
; codeLenInByte = 199784
; TotalNumSgprs: 104
; NumVgprs: 64
; ScratchSize: 992
; MemoryBound: 0
; FloatMode: 240
; IeeeMode: 1
; LDSByteSize: 0 bytes/workgroup (compile time only)
; SGPRBlocks: 12
; VGPRBlocks: 15
; NumSGPRsForWavesPerEU: 104
; NumVGPRsForWavesPerEU: 64
; Occupancy: 4
; WaveLimiterHint : 1
; COMPUTE_PGM_RSRC2:SCRATCH_EN: 1
; COMPUTE_PGM_RSRC2:USER_SGPR: 6
; COMPUTE_PGM_RSRC2:TRAP_HANDLER: 0
; COMPUTE_PGM_RSRC2:TGID_X_EN: 1
; COMPUTE_PGM_RSRC2:TGID_Y_EN: 1
; COMPUTE_PGM_RSRC2:TGID_Z_EN: 0
; COMPUTE_PGM_RSRC2:TIDIG_COMP_CNT: 1
	.section	.text._ZN9rocsolver6v33100L23getf2_npvt_small_kernelILi61E19rocblas_complex_numIdEiiPS3_EEvT1_T3_lS5_lPT2_S5_S5_,"axG",@progbits,_ZN9rocsolver6v33100L23getf2_npvt_small_kernelILi61E19rocblas_complex_numIdEiiPS3_EEvT1_T3_lS5_lPT2_S5_S5_,comdat
	.globl	_ZN9rocsolver6v33100L23getf2_npvt_small_kernelILi61E19rocblas_complex_numIdEiiPS3_EEvT1_T3_lS5_lPT2_S5_S5_ ; -- Begin function _ZN9rocsolver6v33100L23getf2_npvt_small_kernelILi61E19rocblas_complex_numIdEiiPS3_EEvT1_T3_lS5_lPT2_S5_S5_
	.p2align	8
	.type	_ZN9rocsolver6v33100L23getf2_npvt_small_kernelILi61E19rocblas_complex_numIdEiiPS3_EEvT1_T3_lS5_lPT2_S5_S5_,@function
_ZN9rocsolver6v33100L23getf2_npvt_small_kernelILi61E19rocblas_complex_numIdEiiPS3_EEvT1_T3_lS5_lPT2_S5_S5_: ; @_ZN9rocsolver6v33100L23getf2_npvt_small_kernelILi61E19rocblas_complex_numIdEiiPS3_EEvT1_T3_lS5_lPT2_S5_S5_
; %bb.0:
	s_load_dword s6, s[4:5], 0x44
	s_load_dwordx2 s[74:75], s[4:5], 0x30
	s_add_u32 s0, s0, s8
	s_addc_u32 s1, s1, 0
	s_waitcnt lgkmcnt(0)
	s_lshr_b32 s12, s6, 16
	s_mul_i32 s7, s7, s12
	v_add_u32_e32 v123, s7, v1
	v_cmp_gt_i32_e32 vcc, s74, v123
	s_and_saveexec_b64 s[6:7], vcc
	s_cbranch_execnz .LBB121_1
; %bb.660:
	s_getpc_b64 s[98:99]
.Lpost_getpc35:
	s_add_u32 s98, s98, (.LBB121_659-.Lpost_getpc35)&4294967295
	s_addc_u32 s99, s99, (.LBB121_659-.Lpost_getpc35)>>32
	s_setpc_b64 s[98:99]
.LBB121_1:
	s_load_dwordx4 s[8:11], s[4:5], 0x8
	s_load_dword s6, s[4:5], 0x18
	s_load_dwordx4 s[80:83], s[4:5], 0x20
	v_ashrrev_i32_e32 v124, 31, v123
	s_movk_i32 s13, 0x60
	s_movk_i32 s14, 0x70
	s_waitcnt lgkmcnt(0)
	s_ashr_i32 s7, s6, 31
	v_mul_lo_u32 v4, s81, v123
	v_mul_lo_u32 v5, s80, v124
	v_mad_u64_u32 v[2:3], s[4:5], s80, v123, 0
	s_lshl_b64 s[4:5], s[10:11], 4
	s_movk_i32 s15, 0x80
	v_add3_u32 v3, v3, v5, v4
	v_lshlrev_b64 v[2:3], 4, v[2:3]
	v_mov_b32_e32 v4, s9
	v_add_co_u32_e32 v2, vcc, s8, v2
	v_addc_co_u32_e32 v3, vcc, v4, v3, vcc
	v_add_co_u32_e32 v2, vcc, s4, v2
	v_mov_b32_e32 v4, s5
	v_addc_co_u32_e32 v3, vcc, v3, v4, vcc
	v_lshlrev_b32_e32 v4, 4, v0
	v_add_co_u32_e32 v121, vcc, v2, v4
	v_addc_co_u32_e32 v122, vcc, 0, v3, vcc
	global_load_dwordx4 v[4:7], v[121:122], off
	s_lshl_b64 s[8:9], s[6:7], 4
	s_add_i32 s7, s6, s6
	v_add_u32_e32 v8, s7, v0
	v_ashrrev_i32_e32 v9, 31, v8
	s_mul_i32 s5, s12, 0x3d0
	s_movk_i32 s4, 0x3d0
	s_add_i32 s5, s5, 0
	s_movk_i32 s12, 0x50
	s_movk_i32 s16, 0x90
	s_movk_i32 s17, 0xa0
	s_movk_i32 s18, 0xb0
	s_movk_i32 s19, 0xc0
	s_movk_i32 s20, 0xd0
	s_movk_i32 s21, 0xe0
	s_movk_i32 s22, 0xf0
	s_movk_i32 s23, 0x100
	s_movk_i32 s24, 0x110
	s_movk_i32 s25, 0x120
	s_movk_i32 s26, 0x130
	s_movk_i32 s27, 0x140
	s_movk_i32 s28, 0x150
	s_movk_i32 s29, 0x160
	s_movk_i32 s30, 0x170
	s_movk_i32 s31, 0x180
	s_movk_i32 s33, 0x190
	s_movk_i32 s34, 0x1a0
	s_movk_i32 s35, 0x1b0
	s_movk_i32 s36, 0x1c0
	s_movk_i32 s37, 0x1d0
	s_movk_i32 s38, 0x1e0
	s_movk_i32 s39, 0x1f0
	s_movk_i32 s40, 0x200
	s_movk_i32 s41, 0x210
	s_movk_i32 s42, 0x220
	s_movk_i32 s43, 0x230
	s_movk_i32 s44, 0x240
	s_movk_i32 s45, 0x250
	s_movk_i32 s46, 0x260
	s_movk_i32 s47, 0x270
	s_movk_i32 s48, 0x280
	s_movk_i32 s49, 0x290
	s_movk_i32 s50, 0x2a0
	s_movk_i32 s51, 0x2b0
	s_movk_i32 s52, 0x2c0
	s_movk_i32 s53, 0x2d0
	s_movk_i32 s54, 0x2e0
	s_movk_i32 s55, 0x2f0
	s_movk_i32 s56, 0x300
	s_movk_i32 s57, 0x310
	s_movk_i32 s58, 0x320
	s_movk_i32 s59, 0x330
	s_movk_i32 s60, 0x340
	s_movk_i32 s61, 0x350
	s_movk_i32 s62, 0x360
	s_movk_i32 s63, 0x370
	s_movk_i32 s64, 0x380
	s_movk_i32 s65, 0x390
	s_movk_i32 s66, 0x3a0
	s_movk_i32 s67, 0x3b0
	s_movk_i32 s68, 0x3c0
	v_mad_u32_u24 v117, v1, s4, 0
	v_lshl_add_u32 v125, v1, 4, s5
	v_cmp_eq_u32_e64 s[4:5], 0, v0
	s_waitcnt vmcnt(0)
	buffer_store_dword v7, off, s[0:3], 0 offset:12
	buffer_store_dword v6, off, s[0:3], 0 offset:8
	;; [unrolled: 1-line block ×3, first 2 shown]
	buffer_store_dword v4, off, s[0:3], 0
	v_add_co_u32_e32 v5, vcc, s8, v121
	v_mov_b32_e32 v4, s9
	v_addc_co_u32_e32 v6, vcc, v122, v4, vcc
	buffer_store_dword v5, off, s[0:3], 0 offset:976 ; 4-byte Folded Spill
	s_nop 0
	buffer_store_dword v6, off, s[0:3], 0 offset:980 ; 4-byte Folded Spill
	global_load_dwordx4 v[4:7], v[5:6], off
	s_waitcnt vmcnt(0)
	buffer_store_dword v7, off, s[0:3], 0 offset:28
	buffer_store_dword v6, off, s[0:3], 0 offset:24
	buffer_store_dword v5, off, s[0:3], 0 offset:20
	buffer_store_dword v4, off, s[0:3], 0 offset:16
	v_lshlrev_b64 v[4:5], 4, v[8:9]
	v_add_u32_e32 v8, s6, v8
	v_add_co_u32_e32 v4, vcc, v2, v4
	v_addc_co_u32_e32 v5, vcc, v3, v5, vcc
	buffer_store_dword v4, off, s[0:3], 0 offset:984 ; 4-byte Folded Spill
	s_nop 0
	buffer_store_dword v5, off, s[0:3], 0 offset:988 ; 4-byte Folded Spill
	v_ashrrev_i32_e32 v9, 31, v8
	global_load_dwordx4 v[4:7], v[4:5], off
	s_waitcnt vmcnt(0)
	buffer_store_dword v7, off, s[0:3], 0 offset:44
	buffer_store_dword v6, off, s[0:3], 0 offset:40
	buffer_store_dword v5, off, s[0:3], 0 offset:36
	buffer_store_dword v4, off, s[0:3], 0 offset:32
	v_lshlrev_b64 v[4:5], 4, v[8:9]
	v_add_u32_e32 v8, s6, v8
	v_add_co_u32_e32 v4, vcc, v2, v4
	v_addc_co_u32_e32 v5, vcc, v3, v5, vcc
	buffer_store_dword v4, off, s[0:3], 0 offset:992 ; 4-byte Folded Spill
	s_nop 0
	buffer_store_dword v5, off, s[0:3], 0 offset:996 ; 4-byte Folded Spill
	v_ashrrev_i32_e32 v9, 31, v8
	global_load_dwordx4 v[4:7], v[4:5], off
	s_waitcnt vmcnt(0)
	buffer_store_dword v7, off, s[0:3], 0 offset:60
	buffer_store_dword v6, off, s[0:3], 0 offset:56
	buffer_store_dword v5, off, s[0:3], 0 offset:52
	buffer_store_dword v4, off, s[0:3], 0 offset:48
	v_lshlrev_b64 v[4:5], 4, v[8:9]
	v_add_u32_e32 v8, s6, v8
	v_add_co_u32_e32 v4, vcc, v2, v4
	v_addc_co_u32_e32 v5, vcc, v3, v5, vcc
	buffer_store_dword v4, off, s[0:3], 0 offset:1000 ; 4-byte Folded Spill
	s_nop 0
	buffer_store_dword v5, off, s[0:3], 0 offset:1004 ; 4-byte Folded Spill
	v_ashrrev_i32_e32 v9, 31, v8
	global_load_dwordx4 v[4:7], v[4:5], off
	s_waitcnt vmcnt(0)
	buffer_store_dword v7, off, s[0:3], 0 offset:76
	buffer_store_dword v6, off, s[0:3], 0 offset:72
	buffer_store_dword v5, off, s[0:3], 0 offset:68
	buffer_store_dword v4, off, s[0:3], 0 offset:64
	v_lshlrev_b64 v[4:5], 4, v[8:9]
	v_add_u32_e32 v8, s6, v8
	v_add_co_u32_e32 v4, vcc, v2, v4
	v_addc_co_u32_e32 v5, vcc, v3, v5, vcc
	buffer_store_dword v4, off, s[0:3], 0 offset:1008 ; 4-byte Folded Spill
	s_nop 0
	buffer_store_dword v5, off, s[0:3], 0 offset:1012 ; 4-byte Folded Spill
	v_ashrrev_i32_e32 v9, 31, v8
	global_load_dwordx4 v[4:7], v[4:5], off
	s_waitcnt vmcnt(0)
	buffer_store_dword v7, off, s[0:3], 0 offset:92
	buffer_store_dword v6, off, s[0:3], 0 offset:88
	buffer_store_dword v5, off, s[0:3], 0 offset:84
	buffer_store_dword v4, off, s[0:3], 0 offset:80
	v_lshlrev_b64 v[4:5], 4, v[8:9]
	v_add_u32_e32 v8, s6, v8
	v_add_co_u32_e32 v4, vcc, v2, v4
	v_addc_co_u32_e32 v5, vcc, v3, v5, vcc
	buffer_store_dword v4, off, s[0:3], 0 offset:1016 ; 4-byte Folded Spill
	s_nop 0
	buffer_store_dword v5, off, s[0:3], 0 offset:1020 ; 4-byte Folded Spill
	v_ashrrev_i32_e32 v9, 31, v8
	global_load_dwordx4 v[4:7], v[4:5], off
	s_waitcnt vmcnt(0)
	buffer_store_dword v7, off, s[0:3], 0 offset:108
	buffer_store_dword v6, off, s[0:3], 0 offset:104
	buffer_store_dword v5, off, s[0:3], 0 offset:100
	buffer_store_dword v4, off, s[0:3], 0 offset:96
	v_lshlrev_b64 v[4:5], 4, v[8:9]
	v_add_u32_e32 v8, s6, v8
	v_add_co_u32_e32 v4, vcc, v2, v4
	v_addc_co_u32_e32 v5, vcc, v3, v5, vcc
	buffer_store_dword v4, off, s[0:3], 0 offset:1024 ; 4-byte Folded Spill
	s_nop 0
	buffer_store_dword v5, off, s[0:3], 0 offset:1028 ; 4-byte Folded Spill
	v_ashrrev_i32_e32 v9, 31, v8
	global_load_dwordx4 v[4:7], v[4:5], off
	s_waitcnt vmcnt(0)
	buffer_store_dword v7, off, s[0:3], 0 offset:124
	buffer_store_dword v6, off, s[0:3], 0 offset:120
	buffer_store_dword v5, off, s[0:3], 0 offset:116
	buffer_store_dword v4, off, s[0:3], 0 offset:112
	v_lshlrev_b64 v[4:5], 4, v[8:9]
	v_add_u32_e32 v8, s6, v8
	v_add_co_u32_e32 v4, vcc, v2, v4
	v_addc_co_u32_e32 v5, vcc, v3, v5, vcc
	buffer_store_dword v4, off, s[0:3], 0 offset:1040 ; 4-byte Folded Spill
	s_nop 0
	buffer_store_dword v5, off, s[0:3], 0 offset:1044 ; 4-byte Folded Spill
	v_ashrrev_i32_e32 v9, 31, v8
	global_load_dwordx4 v[4:7], v[4:5], off
	s_waitcnt vmcnt(0)
	buffer_store_dword v7, off, s[0:3], 0 offset:140
	buffer_store_dword v6, off, s[0:3], 0 offset:136
	buffer_store_dword v5, off, s[0:3], 0 offset:132
	buffer_store_dword v4, off, s[0:3], 0 offset:128
	v_lshlrev_b64 v[4:5], 4, v[8:9]
	v_add_u32_e32 v8, s6, v8
	v_add_co_u32_e32 v4, vcc, v2, v4
	v_addc_co_u32_e32 v5, vcc, v3, v5, vcc
	buffer_store_dword v4, off, s[0:3], 0 offset:1032 ; 4-byte Folded Spill
	s_nop 0
	buffer_store_dword v5, off, s[0:3], 0 offset:1036 ; 4-byte Folded Spill
	v_ashrrev_i32_e32 v9, 31, v8
	global_load_dwordx4 v[4:7], v[4:5], off
	s_waitcnt vmcnt(0)
	buffer_store_dword v4, off, s[0:3], 0 offset:144
	buffer_store_dword v5, off, s[0:3], 0 offset:148
	buffer_store_dword v6, off, s[0:3], 0 offset:152
	buffer_store_dword v7, off, s[0:3], 0 offset:156
	v_lshlrev_b64 v[4:5], 4, v[8:9]
	v_add_u32_e32 v8, s6, v8
	v_add_co_u32_e32 v4, vcc, v2, v4
	v_addc_co_u32_e32 v5, vcc, v3, v5, vcc
	buffer_store_dword v4, off, s[0:3], 0 offset:1048 ; 4-byte Folded Spill
	s_nop 0
	buffer_store_dword v5, off, s[0:3], 0 offset:1052 ; 4-byte Folded Spill
	v_ashrrev_i32_e32 v9, 31, v8
	global_load_dwordx4 v[4:7], v[4:5], off
	s_waitcnt vmcnt(0)
	buffer_store_dword v4, off, s[0:3], 0 offset:160
	buffer_store_dword v5, off, s[0:3], 0 offset:164
	buffer_store_dword v6, off, s[0:3], 0 offset:168
	buffer_store_dword v7, off, s[0:3], 0 offset:172
	v_lshlrev_b64 v[4:5], 4, v[8:9]
	v_add_u32_e32 v8, s6, v8
	v_add_co_u32_e32 v4, vcc, v2, v4
	v_addc_co_u32_e32 v5, vcc, v3, v5, vcc
	buffer_store_dword v4, off, s[0:3], 0 offset:1056 ; 4-byte Folded Spill
	s_nop 0
	buffer_store_dword v5, off, s[0:3], 0 offset:1060 ; 4-byte Folded Spill
	v_ashrrev_i32_e32 v9, 31, v8
	global_load_dwordx4 v[4:7], v[4:5], off
	s_waitcnt vmcnt(0)
	buffer_store_dword v4, off, s[0:3], 0 offset:176
	buffer_store_dword v5, off, s[0:3], 0 offset:180
	buffer_store_dword v6, off, s[0:3], 0 offset:184
	buffer_store_dword v7, off, s[0:3], 0 offset:188
	v_lshlrev_b64 v[4:5], 4, v[8:9]
	v_add_u32_e32 v8, s6, v8
	v_add_co_u32_e32 v4, vcc, v2, v4
	v_addc_co_u32_e32 v5, vcc, v3, v5, vcc
	buffer_store_dword v4, off, s[0:3], 0 offset:1080 ; 4-byte Folded Spill
	s_nop 0
	buffer_store_dword v5, off, s[0:3], 0 offset:1084 ; 4-byte Folded Spill
	v_ashrrev_i32_e32 v9, 31, v8
	global_load_dwordx4 v[4:7], v[4:5], off
	s_waitcnt vmcnt(0)
	buffer_store_dword v7, off, s[0:3], 0 offset:204
	buffer_store_dword v6, off, s[0:3], 0 offset:200
	buffer_store_dword v5, off, s[0:3], 0 offset:196
	buffer_store_dword v4, off, s[0:3], 0 offset:192
	v_lshlrev_b64 v[4:5], 4, v[8:9]
	v_add_u32_e32 v8, s6, v8
	v_add_co_u32_e32 v4, vcc, v2, v4
	v_addc_co_u32_e32 v5, vcc, v3, v5, vcc
	buffer_store_dword v4, off, s[0:3], 0 offset:1088 ; 4-byte Folded Spill
	s_nop 0
	buffer_store_dword v5, off, s[0:3], 0 offset:1092 ; 4-byte Folded Spill
	v_ashrrev_i32_e32 v9, 31, v8
	global_load_dwordx4 v[4:7], v[4:5], off
	s_waitcnt vmcnt(0)
	buffer_store_dword v7, off, s[0:3], 0 offset:220
	buffer_store_dword v6, off, s[0:3], 0 offset:216
	buffer_store_dword v5, off, s[0:3], 0 offset:212
	buffer_store_dword v4, off, s[0:3], 0 offset:208
	v_lshlrev_b64 v[4:5], 4, v[8:9]
	v_add_u32_e32 v8, s6, v8
	v_add_co_u32_e32 v4, vcc, v2, v4
	v_addc_co_u32_e32 v5, vcc, v3, v5, vcc
	buffer_store_dword v4, off, s[0:3], 0 offset:1096 ; 4-byte Folded Spill
	s_nop 0
	buffer_store_dword v5, off, s[0:3], 0 offset:1100 ; 4-byte Folded Spill
	v_ashrrev_i32_e32 v9, 31, v8
	global_load_dwordx4 v[4:7], v[4:5], off
	s_waitcnt vmcnt(0)
	buffer_store_dword v7, off, s[0:3], 0 offset:236
	buffer_store_dword v6, off, s[0:3], 0 offset:232
	buffer_store_dword v5, off, s[0:3], 0 offset:228
	buffer_store_dword v4, off, s[0:3], 0 offset:224
	v_lshlrev_b64 v[4:5], 4, v[8:9]
	v_add_u32_e32 v8, s6, v8
	v_add_co_u32_e32 v4, vcc, v2, v4
	v_addc_co_u32_e32 v5, vcc, v3, v5, vcc
	buffer_store_dword v4, off, s[0:3], 0 offset:1064 ; 4-byte Folded Spill
	s_nop 0
	buffer_store_dword v5, off, s[0:3], 0 offset:1068 ; 4-byte Folded Spill
	v_ashrrev_i32_e32 v9, 31, v8
	global_load_dwordx4 v[4:7], v[4:5], off
	s_waitcnt vmcnt(0)
	buffer_store_dword v7, off, s[0:3], 0 offset:252
	buffer_store_dword v6, off, s[0:3], 0 offset:248
	buffer_store_dword v5, off, s[0:3], 0 offset:244
	buffer_store_dword v4, off, s[0:3], 0 offset:240
	v_lshlrev_b64 v[4:5], 4, v[8:9]
	v_add_u32_e32 v8, s6, v8
	v_add_co_u32_e32 v4, vcc, v2, v4
	v_addc_co_u32_e32 v5, vcc, v3, v5, vcc
	buffer_store_dword v4, off, s[0:3], 0 offset:1072 ; 4-byte Folded Spill
	s_nop 0
	buffer_store_dword v5, off, s[0:3], 0 offset:1076 ; 4-byte Folded Spill
	v_ashrrev_i32_e32 v9, 31, v8
	global_load_dwordx4 v[4:7], v[4:5], off
	s_waitcnt vmcnt(0)
	buffer_store_dword v7, off, s[0:3], 0 offset:268
	buffer_store_dword v6, off, s[0:3], 0 offset:264
	buffer_store_dword v5, off, s[0:3], 0 offset:260
	buffer_store_dword v4, off, s[0:3], 0 offset:256
	v_lshlrev_b64 v[4:5], 4, v[8:9]
	v_add_u32_e32 v8, s6, v8
	v_add_co_u32_e32 v4, vcc, v2, v4
	v_addc_co_u32_e32 v5, vcc, v3, v5, vcc
	buffer_store_dword v4, off, s[0:3], 0 offset:1104 ; 4-byte Folded Spill
	s_nop 0
	buffer_store_dword v5, off, s[0:3], 0 offset:1108 ; 4-byte Folded Spill
	v_ashrrev_i32_e32 v9, 31, v8
	global_load_dwordx4 v[4:7], v[4:5], off
	s_waitcnt vmcnt(0)
	buffer_store_dword v7, off, s[0:3], 0 offset:284
	buffer_store_dword v6, off, s[0:3], 0 offset:280
	buffer_store_dword v5, off, s[0:3], 0 offset:276
	buffer_store_dword v4, off, s[0:3], 0 offset:272
	v_lshlrev_b64 v[4:5], 4, v[8:9]
	v_add_u32_e32 v8, s6, v8
	v_add_co_u32_e32 v4, vcc, v2, v4
	v_addc_co_u32_e32 v5, vcc, v3, v5, vcc
	buffer_store_dword v4, off, s[0:3], 0 offset:1112 ; 4-byte Folded Spill
	s_nop 0
	buffer_store_dword v5, off, s[0:3], 0 offset:1116 ; 4-byte Folded Spill
	v_ashrrev_i32_e32 v9, 31, v8
	global_load_dwordx4 v[4:7], v[4:5], off
	s_waitcnt vmcnt(0)
	buffer_store_dword v7, off, s[0:3], 0 offset:300
	buffer_store_dword v6, off, s[0:3], 0 offset:296
	buffer_store_dword v5, off, s[0:3], 0 offset:292
	buffer_store_dword v4, off, s[0:3], 0 offset:288
	v_lshlrev_b64 v[4:5], 4, v[8:9]
	v_add_u32_e32 v8, s6, v8
	v_add_co_u32_e32 v4, vcc, v2, v4
	v_addc_co_u32_e32 v5, vcc, v3, v5, vcc
	buffer_store_dword v4, off, s[0:3], 0 offset:1120 ; 4-byte Folded Spill
	s_nop 0
	buffer_store_dword v5, off, s[0:3], 0 offset:1124 ; 4-byte Folded Spill
	v_ashrrev_i32_e32 v9, 31, v8
	global_load_dwordx4 v[4:7], v[4:5], off
	s_waitcnt vmcnt(0)
	buffer_store_dword v7, off, s[0:3], 0 offset:316
	buffer_store_dword v6, off, s[0:3], 0 offset:312
	buffer_store_dword v5, off, s[0:3], 0 offset:308
	buffer_store_dword v4, off, s[0:3], 0 offset:304
	v_lshlrev_b64 v[4:5], 4, v[8:9]
	v_add_u32_e32 v8, s6, v8
	v_add_co_u32_e32 v4, vcc, v2, v4
	v_addc_co_u32_e32 v5, vcc, v3, v5, vcc
	buffer_store_dword v4, off, s[0:3], 0 offset:1136 ; 4-byte Folded Spill
	s_nop 0
	buffer_store_dword v5, off, s[0:3], 0 offset:1140 ; 4-byte Folded Spill
	v_ashrrev_i32_e32 v9, 31, v8
	global_load_dwordx4 v[4:7], v[4:5], off
	s_waitcnt vmcnt(0)
	buffer_store_dword v7, off, s[0:3], 0 offset:332
	buffer_store_dword v6, off, s[0:3], 0 offset:328
	buffer_store_dword v5, off, s[0:3], 0 offset:324
	buffer_store_dword v4, off, s[0:3], 0 offset:320
	v_lshlrev_b64 v[4:5], 4, v[8:9]
	v_add_u32_e32 v8, s6, v8
	v_add_co_u32_e32 v4, vcc, v2, v4
	v_addc_co_u32_e32 v5, vcc, v3, v5, vcc
	buffer_store_dword v4, off, s[0:3], 0 offset:1128 ; 4-byte Folded Spill
	s_nop 0
	buffer_store_dword v5, off, s[0:3], 0 offset:1132 ; 4-byte Folded Spill
	v_ashrrev_i32_e32 v9, 31, v8
	global_load_dwordx4 v[4:7], v[4:5], off
	s_waitcnt vmcnt(0)
	buffer_store_dword v7, off, s[0:3], 0 offset:348
	buffer_store_dword v6, off, s[0:3], 0 offset:344
	buffer_store_dword v5, off, s[0:3], 0 offset:340
	buffer_store_dword v4, off, s[0:3], 0 offset:336
	v_lshlrev_b64 v[4:5], 4, v[8:9]
	v_add_u32_e32 v8, s6, v8
	v_add_co_u32_e32 v4, vcc, v2, v4
	v_addc_co_u32_e32 v5, vcc, v3, v5, vcc
	buffer_store_dword v4, off, s[0:3], 0 offset:1144 ; 4-byte Folded Spill
	s_nop 0
	buffer_store_dword v5, off, s[0:3], 0 offset:1148 ; 4-byte Folded Spill
	v_ashrrev_i32_e32 v9, 31, v8
	global_load_dwordx4 v[4:7], v[4:5], off
	s_waitcnt vmcnt(0)
	buffer_store_dword v7, off, s[0:3], 0 offset:364
	buffer_store_dword v6, off, s[0:3], 0 offset:360
	buffer_store_dword v5, off, s[0:3], 0 offset:356
	buffer_store_dword v4, off, s[0:3], 0 offset:352
	v_lshlrev_b64 v[4:5], 4, v[8:9]
	v_add_u32_e32 v8, s6, v8
	v_add_co_u32_e32 v4, vcc, v2, v4
	v_addc_co_u32_e32 v5, vcc, v3, v5, vcc
	buffer_store_dword v4, off, s[0:3], 0 offset:1152 ; 4-byte Folded Spill
	s_nop 0
	buffer_store_dword v5, off, s[0:3], 0 offset:1156 ; 4-byte Folded Spill
	v_ashrrev_i32_e32 v9, 31, v8
	global_load_dwordx4 v[4:7], v[4:5], off
	s_waitcnt vmcnt(0)
	buffer_store_dword v7, off, s[0:3], 0 offset:380
	buffer_store_dword v6, off, s[0:3], 0 offset:376
	buffer_store_dword v5, off, s[0:3], 0 offset:372
	buffer_store_dword v4, off, s[0:3], 0 offset:368
	v_lshlrev_b64 v[4:5], 4, v[8:9]
	v_add_u32_e32 v8, s6, v8
	v_add_co_u32_e32 v4, vcc, v2, v4
	v_addc_co_u32_e32 v5, vcc, v3, v5, vcc
	buffer_store_dword v4, off, s[0:3], 0 offset:1160 ; 4-byte Folded Spill
	s_nop 0
	buffer_store_dword v5, off, s[0:3], 0 offset:1164 ; 4-byte Folded Spill
	v_ashrrev_i32_e32 v9, 31, v8
	global_load_dwordx4 v[4:7], v[4:5], off
	s_waitcnt vmcnt(0)
	buffer_store_dword v7, off, s[0:3], 0 offset:396
	buffer_store_dword v6, off, s[0:3], 0 offset:392
	buffer_store_dword v5, off, s[0:3], 0 offset:388
	buffer_store_dword v4, off, s[0:3], 0 offset:384
	v_lshlrev_b64 v[4:5], 4, v[8:9]
	v_add_u32_e32 v8, s6, v8
	v_add_co_u32_e32 v4, vcc, v2, v4
	v_addc_co_u32_e32 v5, vcc, v3, v5, vcc
	buffer_store_dword v4, off, s[0:3], 0 offset:1168 ; 4-byte Folded Spill
	s_nop 0
	buffer_store_dword v5, off, s[0:3], 0 offset:1172 ; 4-byte Folded Spill
	v_ashrrev_i32_e32 v9, 31, v8
	global_load_dwordx4 v[4:7], v[4:5], off
	s_waitcnt vmcnt(0)
	buffer_store_dword v7, off, s[0:3], 0 offset:412
	buffer_store_dword v6, off, s[0:3], 0 offset:408
	buffer_store_dword v5, off, s[0:3], 0 offset:404
	buffer_store_dword v4, off, s[0:3], 0 offset:400
	v_lshlrev_b64 v[4:5], 4, v[8:9]
	v_add_u32_e32 v8, s6, v8
	v_add_co_u32_e32 v4, vcc, v2, v4
	v_addc_co_u32_e32 v5, vcc, v3, v5, vcc
	buffer_store_dword v4, off, s[0:3], 0 offset:1176 ; 4-byte Folded Spill
	s_nop 0
	buffer_store_dword v5, off, s[0:3], 0 offset:1180 ; 4-byte Folded Spill
	v_ashrrev_i32_e32 v9, 31, v8
	global_load_dwordx4 v[4:7], v[4:5], off
	s_waitcnt vmcnt(0)
	buffer_store_dword v7, off, s[0:3], 0 offset:428
	buffer_store_dword v6, off, s[0:3], 0 offset:424
	buffer_store_dword v5, off, s[0:3], 0 offset:420
	buffer_store_dword v4, off, s[0:3], 0 offset:416
	v_lshlrev_b64 v[4:5], 4, v[8:9]
	v_add_u32_e32 v8, s6, v8
	v_add_co_u32_e32 v4, vcc, v2, v4
	v_addc_co_u32_e32 v5, vcc, v3, v5, vcc
	buffer_store_dword v4, off, s[0:3], 0 offset:1184 ; 4-byte Folded Spill
	s_nop 0
	buffer_store_dword v5, off, s[0:3], 0 offset:1188 ; 4-byte Folded Spill
	v_ashrrev_i32_e32 v9, 31, v8
	global_load_dwordx4 v[4:7], v[4:5], off
	s_waitcnt vmcnt(0)
	buffer_store_dword v7, off, s[0:3], 0 offset:444
	buffer_store_dword v6, off, s[0:3], 0 offset:440
	buffer_store_dword v5, off, s[0:3], 0 offset:436
	buffer_store_dword v4, off, s[0:3], 0 offset:432
	v_lshlrev_b64 v[4:5], 4, v[8:9]
	v_add_u32_e32 v8, s6, v8
	v_add_co_u32_e32 v4, vcc, v2, v4
	v_addc_co_u32_e32 v5, vcc, v3, v5, vcc
	buffer_store_dword v4, off, s[0:3], 0 offset:1200 ; 4-byte Folded Spill
	s_nop 0
	buffer_store_dword v5, off, s[0:3], 0 offset:1204 ; 4-byte Folded Spill
	v_ashrrev_i32_e32 v9, 31, v8
	global_load_dwordx4 v[4:7], v[4:5], off
	s_waitcnt vmcnt(0)
	buffer_store_dword v7, off, s[0:3], 0 offset:460
	buffer_store_dword v6, off, s[0:3], 0 offset:456
	buffer_store_dword v5, off, s[0:3], 0 offset:452
	buffer_store_dword v4, off, s[0:3], 0 offset:448
	v_lshlrev_b64 v[4:5], 4, v[8:9]
	v_add_u32_e32 v8, s6, v8
	v_add_co_u32_e32 v4, vcc, v2, v4
	v_addc_co_u32_e32 v5, vcc, v3, v5, vcc
	buffer_store_dword v4, off, s[0:3], 0 offset:1192 ; 4-byte Folded Spill
	s_nop 0
	buffer_store_dword v5, off, s[0:3], 0 offset:1196 ; 4-byte Folded Spill
	v_ashrrev_i32_e32 v9, 31, v8
	global_load_dwordx4 v[4:7], v[4:5], off
	s_waitcnt vmcnt(0)
	buffer_store_dword v7, off, s[0:3], 0 offset:476
	buffer_store_dword v6, off, s[0:3], 0 offset:472
	buffer_store_dword v5, off, s[0:3], 0 offset:468
	buffer_store_dword v4, off, s[0:3], 0 offset:464
	v_lshlrev_b64 v[4:5], 4, v[8:9]
	v_add_u32_e32 v8, s6, v8
	v_add_co_u32_e32 v4, vcc, v2, v4
	v_addc_co_u32_e32 v5, vcc, v3, v5, vcc
	buffer_store_dword v4, off, s[0:3], 0 offset:1208 ; 4-byte Folded Spill
	s_nop 0
	buffer_store_dword v5, off, s[0:3], 0 offset:1212 ; 4-byte Folded Spill
	v_ashrrev_i32_e32 v9, 31, v8
	global_load_dwordx4 v[4:7], v[4:5], off
	s_waitcnt vmcnt(0)
	buffer_store_dword v7, off, s[0:3], 0 offset:492
	buffer_store_dword v6, off, s[0:3], 0 offset:488
	buffer_store_dword v5, off, s[0:3], 0 offset:484
	buffer_store_dword v4, off, s[0:3], 0 offset:480
	v_lshlrev_b64 v[4:5], 4, v[8:9]
	v_add_u32_e32 v8, s6, v8
	v_add_co_u32_e32 v4, vcc, v2, v4
	v_addc_co_u32_e32 v5, vcc, v3, v5, vcc
	buffer_store_dword v4, off, s[0:3], 0 offset:1216 ; 4-byte Folded Spill
	s_nop 0
	buffer_store_dword v5, off, s[0:3], 0 offset:1220 ; 4-byte Folded Spill
	v_ashrrev_i32_e32 v9, 31, v8
	global_load_dwordx4 v[4:7], v[4:5], off
	s_waitcnt vmcnt(0)
	buffer_store_dword v7, off, s[0:3], 0 offset:508
	buffer_store_dword v6, off, s[0:3], 0 offset:504
	buffer_store_dword v5, off, s[0:3], 0 offset:500
	buffer_store_dword v4, off, s[0:3], 0 offset:496
	v_lshlrev_b64 v[4:5], 4, v[8:9]
	v_add_u32_e32 v8, s6, v8
	v_add_co_u32_e32 v4, vcc, v2, v4
	v_addc_co_u32_e32 v5, vcc, v3, v5, vcc
	buffer_store_dword v4, off, s[0:3], 0 offset:1224 ; 4-byte Folded Spill
	s_nop 0
	buffer_store_dword v5, off, s[0:3], 0 offset:1228 ; 4-byte Folded Spill
	v_ashrrev_i32_e32 v9, 31, v8
	global_load_dwordx4 v[4:7], v[4:5], off
	s_waitcnt vmcnt(0)
	buffer_store_dword v7, off, s[0:3], 0 offset:524
	buffer_store_dword v6, off, s[0:3], 0 offset:520
	buffer_store_dword v5, off, s[0:3], 0 offset:516
	buffer_store_dword v4, off, s[0:3], 0 offset:512
	v_lshlrev_b64 v[4:5], 4, v[8:9]
	v_add_u32_e32 v8, s6, v8
	v_add_co_u32_e32 v4, vcc, v2, v4
	v_addc_co_u32_e32 v5, vcc, v3, v5, vcc
	buffer_store_dword v4, off, s[0:3], 0 offset:1232 ; 4-byte Folded Spill
	s_nop 0
	buffer_store_dword v5, off, s[0:3], 0 offset:1236 ; 4-byte Folded Spill
	v_ashrrev_i32_e32 v9, 31, v8
	global_load_dwordx4 v[4:7], v[4:5], off
	s_waitcnt vmcnt(0)
	buffer_store_dword v7, off, s[0:3], 0 offset:540
	buffer_store_dword v6, off, s[0:3], 0 offset:536
	buffer_store_dword v5, off, s[0:3], 0 offset:532
	buffer_store_dword v4, off, s[0:3], 0 offset:528
	v_lshlrev_b64 v[4:5], 4, v[8:9]
	v_add_u32_e32 v8, s6, v8
	v_add_co_u32_e32 v4, vcc, v2, v4
	v_addc_co_u32_e32 v5, vcc, v3, v5, vcc
	buffer_store_dword v4, off, s[0:3], 0 offset:1240 ; 4-byte Folded Spill
	s_nop 0
	buffer_store_dword v5, off, s[0:3], 0 offset:1244 ; 4-byte Folded Spill
	v_ashrrev_i32_e32 v9, 31, v8
	global_load_dwordx4 v[4:7], v[4:5], off
	s_waitcnt vmcnt(0)
	buffer_store_dword v7, off, s[0:3], 0 offset:556
	buffer_store_dword v6, off, s[0:3], 0 offset:552
	buffer_store_dword v5, off, s[0:3], 0 offset:548
	buffer_store_dword v4, off, s[0:3], 0 offset:544
	v_lshlrev_b64 v[4:5], 4, v[8:9]
	v_add_u32_e32 v8, s6, v8
	v_add_co_u32_e32 v4, vcc, v2, v4
	v_addc_co_u32_e32 v5, vcc, v3, v5, vcc
	buffer_store_dword v4, off, s[0:3], 0 offset:1248 ; 4-byte Folded Spill
	s_nop 0
	buffer_store_dword v5, off, s[0:3], 0 offset:1252 ; 4-byte Folded Spill
	v_ashrrev_i32_e32 v9, 31, v8
	global_load_dwordx4 v[4:7], v[4:5], off
	s_waitcnt vmcnt(0)
	buffer_store_dword v7, off, s[0:3], 0 offset:572
	buffer_store_dword v6, off, s[0:3], 0 offset:568
	buffer_store_dword v5, off, s[0:3], 0 offset:564
	buffer_store_dword v4, off, s[0:3], 0 offset:560
	v_lshlrev_b64 v[4:5], 4, v[8:9]
	v_add_u32_e32 v8, s6, v8
	v_add_co_u32_e32 v4, vcc, v2, v4
	v_addc_co_u32_e32 v5, vcc, v3, v5, vcc
	buffer_store_dword v4, off, s[0:3], 0 offset:1256 ; 4-byte Folded Spill
	s_nop 0
	buffer_store_dword v5, off, s[0:3], 0 offset:1260 ; 4-byte Folded Spill
	v_ashrrev_i32_e32 v9, 31, v8
	global_load_dwordx4 v[4:7], v[4:5], off
	s_waitcnt vmcnt(0)
	buffer_store_dword v7, off, s[0:3], 0 offset:588
	buffer_store_dword v6, off, s[0:3], 0 offset:584
	buffer_store_dword v5, off, s[0:3], 0 offset:580
	buffer_store_dword v4, off, s[0:3], 0 offset:576
	v_lshlrev_b64 v[4:5], 4, v[8:9]
	v_add_u32_e32 v8, s6, v8
	v_add_co_u32_e32 v4, vcc, v2, v4
	v_addc_co_u32_e32 v5, vcc, v3, v5, vcc
	buffer_store_dword v4, off, s[0:3], 0 offset:1264 ; 4-byte Folded Spill
	s_nop 0
	buffer_store_dword v5, off, s[0:3], 0 offset:1268 ; 4-byte Folded Spill
	v_ashrrev_i32_e32 v9, 31, v8
	global_load_dwordx4 v[4:7], v[4:5], off
	s_waitcnt vmcnt(0)
	buffer_store_dword v7, off, s[0:3], 0 offset:604
	buffer_store_dword v6, off, s[0:3], 0 offset:600
	buffer_store_dword v5, off, s[0:3], 0 offset:596
	buffer_store_dword v4, off, s[0:3], 0 offset:592
	v_lshlrev_b64 v[4:5], 4, v[8:9]
	v_add_u32_e32 v8, s6, v8
	v_add_co_u32_e32 v4, vcc, v2, v4
	v_addc_co_u32_e32 v5, vcc, v3, v5, vcc
	buffer_store_dword v4, off, s[0:3], 0 offset:1272 ; 4-byte Folded Spill
	s_nop 0
	buffer_store_dword v5, off, s[0:3], 0 offset:1276 ; 4-byte Folded Spill
	v_ashrrev_i32_e32 v9, 31, v8
	global_load_dwordx4 v[4:7], v[4:5], off
	s_waitcnt vmcnt(0)
	buffer_store_dword v7, off, s[0:3], 0 offset:620
	buffer_store_dword v6, off, s[0:3], 0 offset:616
	buffer_store_dword v5, off, s[0:3], 0 offset:612
	buffer_store_dword v4, off, s[0:3], 0 offset:608
	v_lshlrev_b64 v[4:5], 4, v[8:9]
	v_add_u32_e32 v8, s6, v8
	v_add_co_u32_e32 v4, vcc, v2, v4
	v_addc_co_u32_e32 v5, vcc, v3, v5, vcc
	buffer_store_dword v4, off, s[0:3], 0 offset:1280 ; 4-byte Folded Spill
	s_nop 0
	buffer_store_dword v5, off, s[0:3], 0 offset:1284 ; 4-byte Folded Spill
	v_ashrrev_i32_e32 v9, 31, v8
	global_load_dwordx4 v[4:7], v[4:5], off
	s_waitcnt vmcnt(0)
	buffer_store_dword v7, off, s[0:3], 0 offset:636
	buffer_store_dword v6, off, s[0:3], 0 offset:632
	buffer_store_dword v5, off, s[0:3], 0 offset:628
	buffer_store_dword v4, off, s[0:3], 0 offset:624
	v_lshlrev_b64 v[4:5], 4, v[8:9]
	v_add_u32_e32 v8, s6, v8
	v_add_co_u32_e32 v4, vcc, v2, v4
	v_addc_co_u32_e32 v5, vcc, v3, v5, vcc
	buffer_store_dword v4, off, s[0:3], 0 offset:1288 ; 4-byte Folded Spill
	s_nop 0
	buffer_store_dword v5, off, s[0:3], 0 offset:1292 ; 4-byte Folded Spill
	v_ashrrev_i32_e32 v9, 31, v8
	global_load_dwordx4 v[4:7], v[4:5], off
	s_waitcnt vmcnt(0)
	buffer_store_dword v7, off, s[0:3], 0 offset:652
	buffer_store_dword v6, off, s[0:3], 0 offset:648
	buffer_store_dword v5, off, s[0:3], 0 offset:644
	buffer_store_dword v4, off, s[0:3], 0 offset:640
	v_lshlrev_b64 v[4:5], 4, v[8:9]
	v_add_u32_e32 v8, s6, v8
	v_add_co_u32_e32 v4, vcc, v2, v4
	v_addc_co_u32_e32 v5, vcc, v3, v5, vcc
	buffer_store_dword v4, off, s[0:3], 0 offset:1296 ; 4-byte Folded Spill
	s_nop 0
	buffer_store_dword v5, off, s[0:3], 0 offset:1300 ; 4-byte Folded Spill
	v_ashrrev_i32_e32 v9, 31, v8
	global_load_dwordx4 v[4:7], v[4:5], off
	s_waitcnt vmcnt(0)
	buffer_store_dword v7, off, s[0:3], 0 offset:668
	buffer_store_dword v6, off, s[0:3], 0 offset:664
	buffer_store_dword v5, off, s[0:3], 0 offset:660
	buffer_store_dword v4, off, s[0:3], 0 offset:656
	v_lshlrev_b64 v[4:5], 4, v[8:9]
	v_add_u32_e32 v8, s6, v8
	v_add_co_u32_e32 v4, vcc, v2, v4
	v_addc_co_u32_e32 v5, vcc, v3, v5, vcc
	buffer_store_dword v4, off, s[0:3], 0 offset:1304 ; 4-byte Folded Spill
	s_nop 0
	buffer_store_dword v5, off, s[0:3], 0 offset:1308 ; 4-byte Folded Spill
	v_ashrrev_i32_e32 v9, 31, v8
	global_load_dwordx4 v[4:7], v[4:5], off
	s_waitcnt vmcnt(0)
	buffer_store_dword v7, off, s[0:3], 0 offset:684
	buffer_store_dword v6, off, s[0:3], 0 offset:680
	buffer_store_dword v5, off, s[0:3], 0 offset:676
	buffer_store_dword v4, off, s[0:3], 0 offset:672
	v_lshlrev_b64 v[4:5], 4, v[8:9]
	v_add_u32_e32 v8, s6, v8
	v_add_co_u32_e32 v4, vcc, v2, v4
	v_addc_co_u32_e32 v5, vcc, v3, v5, vcc
	buffer_store_dword v4, off, s[0:3], 0 offset:1312 ; 4-byte Folded Spill
	s_nop 0
	buffer_store_dword v5, off, s[0:3], 0 offset:1316 ; 4-byte Folded Spill
	v_ashrrev_i32_e32 v9, 31, v8
	global_load_dwordx4 v[4:7], v[4:5], off
	s_waitcnt vmcnt(0)
	buffer_store_dword v7, off, s[0:3], 0 offset:700
	buffer_store_dword v6, off, s[0:3], 0 offset:696
	buffer_store_dword v5, off, s[0:3], 0 offset:692
	buffer_store_dword v4, off, s[0:3], 0 offset:688
	v_lshlrev_b64 v[4:5], 4, v[8:9]
	v_add_u32_e32 v8, s6, v8
	v_add_co_u32_e32 v4, vcc, v2, v4
	v_addc_co_u32_e32 v5, vcc, v3, v5, vcc
	buffer_store_dword v4, off, s[0:3], 0 offset:1320 ; 4-byte Folded Spill
	s_nop 0
	buffer_store_dword v5, off, s[0:3], 0 offset:1324 ; 4-byte Folded Spill
	v_ashrrev_i32_e32 v9, 31, v8
	global_load_dwordx4 v[4:7], v[4:5], off
	s_waitcnt vmcnt(0)
	buffer_store_dword v7, off, s[0:3], 0 offset:716
	buffer_store_dword v6, off, s[0:3], 0 offset:712
	buffer_store_dword v5, off, s[0:3], 0 offset:708
	buffer_store_dword v4, off, s[0:3], 0 offset:704
	v_lshlrev_b64 v[4:5], 4, v[8:9]
	v_add_u32_e32 v8, s6, v8
	v_add_co_u32_e32 v4, vcc, v2, v4
	v_addc_co_u32_e32 v5, vcc, v3, v5, vcc
	buffer_store_dword v4, off, s[0:3], 0 offset:1328 ; 4-byte Folded Spill
	s_nop 0
	buffer_store_dword v5, off, s[0:3], 0 offset:1332 ; 4-byte Folded Spill
	v_ashrrev_i32_e32 v9, 31, v8
	global_load_dwordx4 v[4:7], v[4:5], off
	s_waitcnt vmcnt(0)
	buffer_store_dword v7, off, s[0:3], 0 offset:732
	buffer_store_dword v6, off, s[0:3], 0 offset:728
	buffer_store_dword v5, off, s[0:3], 0 offset:724
	buffer_store_dword v4, off, s[0:3], 0 offset:720
	v_lshlrev_b64 v[4:5], 4, v[8:9]
	v_add_u32_e32 v8, s6, v8
	v_add_co_u32_e32 v4, vcc, v2, v4
	v_addc_co_u32_e32 v5, vcc, v3, v5, vcc
	buffer_store_dword v4, off, s[0:3], 0 offset:1336 ; 4-byte Folded Spill
	s_nop 0
	buffer_store_dword v5, off, s[0:3], 0 offset:1340 ; 4-byte Folded Spill
	v_ashrrev_i32_e32 v9, 31, v8
	global_load_dwordx4 v[4:7], v[4:5], off
	s_waitcnt vmcnt(0)
	buffer_store_dword v7, off, s[0:3], 0 offset:748
	buffer_store_dword v6, off, s[0:3], 0 offset:744
	buffer_store_dword v5, off, s[0:3], 0 offset:740
	buffer_store_dword v4, off, s[0:3], 0 offset:736
	v_lshlrev_b64 v[4:5], 4, v[8:9]
	v_add_u32_e32 v8, s6, v8
	v_add_co_u32_e32 v4, vcc, v2, v4
	v_addc_co_u32_e32 v5, vcc, v3, v5, vcc
	buffer_store_dword v4, off, s[0:3], 0 offset:1344 ; 4-byte Folded Spill
	s_nop 0
	buffer_store_dword v5, off, s[0:3], 0 offset:1348 ; 4-byte Folded Spill
	v_ashrrev_i32_e32 v9, 31, v8
	global_load_dwordx4 v[4:7], v[4:5], off
	s_waitcnt vmcnt(0)
	buffer_store_dword v7, off, s[0:3], 0 offset:764
	buffer_store_dword v6, off, s[0:3], 0 offset:760
	buffer_store_dword v5, off, s[0:3], 0 offset:756
	buffer_store_dword v4, off, s[0:3], 0 offset:752
	v_lshlrev_b64 v[4:5], 4, v[8:9]
	v_add_u32_e32 v8, s6, v8
	v_add_co_u32_e32 v4, vcc, v2, v4
	v_addc_co_u32_e32 v5, vcc, v3, v5, vcc
	buffer_store_dword v4, off, s[0:3], 0 offset:1352 ; 4-byte Folded Spill
	s_nop 0
	buffer_store_dword v5, off, s[0:3], 0 offset:1356 ; 4-byte Folded Spill
	v_ashrrev_i32_e32 v9, 31, v8
	global_load_dwordx4 v[4:7], v[4:5], off
	s_waitcnt vmcnt(0)
	buffer_store_dword v7, off, s[0:3], 0 offset:780
	buffer_store_dword v6, off, s[0:3], 0 offset:776
	buffer_store_dword v5, off, s[0:3], 0 offset:772
	buffer_store_dword v4, off, s[0:3], 0 offset:768
	v_lshlrev_b64 v[4:5], 4, v[8:9]
	v_add_u32_e32 v8, s6, v8
	v_add_co_u32_e32 v4, vcc, v2, v4
	v_addc_co_u32_e32 v5, vcc, v3, v5, vcc
	buffer_store_dword v4, off, s[0:3], 0 offset:1360 ; 4-byte Folded Spill
	s_nop 0
	buffer_store_dword v5, off, s[0:3], 0 offset:1364 ; 4-byte Folded Spill
	v_ashrrev_i32_e32 v9, 31, v8
	global_load_dwordx4 v[4:7], v[4:5], off
	s_waitcnt vmcnt(0)
	buffer_store_dword v7, off, s[0:3], 0 offset:796
	buffer_store_dword v6, off, s[0:3], 0 offset:792
	buffer_store_dword v5, off, s[0:3], 0 offset:788
	buffer_store_dword v4, off, s[0:3], 0 offset:784
	v_lshlrev_b64 v[4:5], 4, v[8:9]
	v_add_u32_e32 v8, s6, v8
	v_add_co_u32_e32 v4, vcc, v2, v4
	v_addc_co_u32_e32 v5, vcc, v3, v5, vcc
	buffer_store_dword v4, off, s[0:3], 0 offset:1384 ; 4-byte Folded Spill
	s_nop 0
	buffer_store_dword v5, off, s[0:3], 0 offset:1388 ; 4-byte Folded Spill
	v_ashrrev_i32_e32 v9, 31, v8
	global_load_dwordx4 v[4:7], v[4:5], off
	s_waitcnt vmcnt(0)
	buffer_store_dword v7, off, s[0:3], 0 offset:812
	buffer_store_dword v6, off, s[0:3], 0 offset:808
	buffer_store_dword v5, off, s[0:3], 0 offset:804
	buffer_store_dword v4, off, s[0:3], 0 offset:800
	v_lshlrev_b64 v[4:5], 4, v[8:9]
	v_add_u32_e32 v8, s6, v8
	v_add_co_u32_e32 v4, vcc, v2, v4
	v_addc_co_u32_e32 v5, vcc, v3, v5, vcc
	buffer_store_dword v4, off, s[0:3], 0 offset:1368 ; 4-byte Folded Spill
	s_nop 0
	buffer_store_dword v5, off, s[0:3], 0 offset:1372 ; 4-byte Folded Spill
	v_ashrrev_i32_e32 v9, 31, v8
	global_load_dwordx4 v[4:7], v[4:5], off
	s_waitcnt vmcnt(0)
	buffer_store_dword v7, off, s[0:3], 0 offset:828
	buffer_store_dword v6, off, s[0:3], 0 offset:824
	buffer_store_dword v5, off, s[0:3], 0 offset:820
	buffer_store_dword v4, off, s[0:3], 0 offset:816
	v_lshlrev_b64 v[4:5], 4, v[8:9]
	v_add_u32_e32 v8, s6, v8
	v_add_co_u32_e32 v4, vcc, v2, v4
	v_addc_co_u32_e32 v5, vcc, v3, v5, vcc
	buffer_store_dword v4, off, s[0:3], 0 offset:1400 ; 4-byte Folded Spill
	s_nop 0
	buffer_store_dword v5, off, s[0:3], 0 offset:1404 ; 4-byte Folded Spill
	v_ashrrev_i32_e32 v9, 31, v8
	global_load_dwordx4 v[4:7], v[4:5], off
	s_waitcnt vmcnt(0)
	buffer_store_dword v7, off, s[0:3], 0 offset:844
	buffer_store_dword v6, off, s[0:3], 0 offset:840
	buffer_store_dword v5, off, s[0:3], 0 offset:836
	buffer_store_dword v4, off, s[0:3], 0 offset:832
	v_lshlrev_b64 v[4:5], 4, v[8:9]
	v_add_u32_e32 v8, s6, v8
	v_add_co_u32_e32 v4, vcc, v2, v4
	v_addc_co_u32_e32 v5, vcc, v3, v5, vcc
	buffer_store_dword v4, off, s[0:3], 0 offset:1392 ; 4-byte Folded Spill
	s_nop 0
	buffer_store_dword v5, off, s[0:3], 0 offset:1396 ; 4-byte Folded Spill
	v_ashrrev_i32_e32 v9, 31, v8
	global_load_dwordx4 v[4:7], v[4:5], off
	s_waitcnt vmcnt(0)
	buffer_store_dword v7, off, s[0:3], 0 offset:860
	buffer_store_dword v6, off, s[0:3], 0 offset:856
	buffer_store_dword v5, off, s[0:3], 0 offset:852
	buffer_store_dword v4, off, s[0:3], 0 offset:848
	v_lshlrev_b64 v[4:5], 4, v[8:9]
	v_add_u32_e32 v8, s6, v8
	v_add_co_u32_e32 v4, vcc, v2, v4
	v_addc_co_u32_e32 v5, vcc, v3, v5, vcc
	buffer_store_dword v4, off, s[0:3], 0 offset:1416 ; 4-byte Folded Spill
	s_nop 0
	buffer_store_dword v5, off, s[0:3], 0 offset:1420 ; 4-byte Folded Spill
	v_ashrrev_i32_e32 v9, 31, v8
	global_load_dwordx4 v[4:7], v[4:5], off
	s_waitcnt vmcnt(0)
	buffer_store_dword v7, off, s[0:3], 0 offset:876
	buffer_store_dword v6, off, s[0:3], 0 offset:872
	buffer_store_dword v5, off, s[0:3], 0 offset:868
	buffer_store_dword v4, off, s[0:3], 0 offset:864
	v_lshlrev_b64 v[4:5], 4, v[8:9]
	v_add_u32_e32 v8, s6, v8
	v_add_co_u32_e32 v4, vcc, v2, v4
	v_addc_co_u32_e32 v5, vcc, v3, v5, vcc
	buffer_store_dword v4, off, s[0:3], 0 offset:1408 ; 4-byte Folded Spill
	s_nop 0
	buffer_store_dword v5, off, s[0:3], 0 offset:1412 ; 4-byte Folded Spill
	v_ashrrev_i32_e32 v9, 31, v8
	global_load_dwordx4 v[4:7], v[4:5], off
	s_waitcnt vmcnt(0)
	buffer_store_dword v7, off, s[0:3], 0 offset:892
	buffer_store_dword v6, off, s[0:3], 0 offset:888
	buffer_store_dword v5, off, s[0:3], 0 offset:884
	buffer_store_dword v4, off, s[0:3], 0 offset:880
	v_lshlrev_b64 v[4:5], 4, v[8:9]
	v_add_u32_e32 v8, s6, v8
	v_add_co_u32_e32 v4, vcc, v2, v4
	v_addc_co_u32_e32 v5, vcc, v3, v5, vcc
	buffer_store_dword v4, off, s[0:3], 0 offset:1432 ; 4-byte Folded Spill
	s_nop 0
	buffer_store_dword v5, off, s[0:3], 0 offset:1436 ; 4-byte Folded Spill
	v_ashrrev_i32_e32 v9, 31, v8
	global_load_dwordx4 v[4:7], v[4:5], off
	s_waitcnt vmcnt(0)
	buffer_store_dword v7, off, s[0:3], 0 offset:908
	buffer_store_dword v6, off, s[0:3], 0 offset:904
	buffer_store_dword v5, off, s[0:3], 0 offset:900
	buffer_store_dword v4, off, s[0:3], 0 offset:896
	v_lshlrev_b64 v[4:5], 4, v[8:9]
	v_add_u32_e32 v8, s6, v8
	v_add_co_u32_e32 v4, vcc, v2, v4
	v_addc_co_u32_e32 v5, vcc, v3, v5, vcc
	buffer_store_dword v4, off, s[0:3], 0 offset:1424 ; 4-byte Folded Spill
	s_nop 0
	buffer_store_dword v5, off, s[0:3], 0 offset:1428 ; 4-byte Folded Spill
	v_ashrrev_i32_e32 v9, 31, v8
	global_load_dwordx4 v[4:7], v[4:5], off
	s_waitcnt vmcnt(0)
	buffer_store_dword v7, off, s[0:3], 0 offset:924
	buffer_store_dword v6, off, s[0:3], 0 offset:920
	buffer_store_dword v5, off, s[0:3], 0 offset:916
	buffer_store_dword v4, off, s[0:3], 0 offset:912
	v_lshlrev_b64 v[4:5], 4, v[8:9]
	v_add_u32_e32 v8, s6, v8
	v_add_co_u32_e32 v4, vcc, v2, v4
	v_addc_co_u32_e32 v5, vcc, v3, v5, vcc
	buffer_store_dword v4, off, s[0:3], 0 offset:1448 ; 4-byte Folded Spill
	s_nop 0
	buffer_store_dword v5, off, s[0:3], 0 offset:1452 ; 4-byte Folded Spill
	v_ashrrev_i32_e32 v9, 31, v8
	global_load_dwordx4 v[4:7], v[4:5], off
	s_waitcnt vmcnt(0)
	buffer_store_dword v7, off, s[0:3], 0 offset:940
	buffer_store_dword v6, off, s[0:3], 0 offset:936
	;; [unrolled: 1-line block ×4, first 2 shown]
	v_lshlrev_b64 v[4:5], 4, v[8:9]
	v_add_co_u32_e32 v4, vcc, v2, v4
	v_addc_co_u32_e32 v5, vcc, v3, v5, vcc
	buffer_store_dword v4, off, s[0:3], 0 offset:1440 ; 4-byte Folded Spill
	s_nop 0
	buffer_store_dword v5, off, s[0:3], 0 offset:1444 ; 4-byte Folded Spill
	global_load_dwordx4 v[4:7], v[4:5], off
	s_waitcnt vmcnt(0)
	buffer_store_dword v7, off, s[0:3], 0 offset:956
	buffer_store_dword v6, off, s[0:3], 0 offset:952
	;; [unrolled: 1-line block ×4, first 2 shown]
	v_add_u32_e32 v4, s6, v8
	v_ashrrev_i32_e32 v5, 31, v4
	v_lshlrev_b64 v[4:5], 4, v[4:5]
	v_cmp_ne_u32_e64 s[6:7], 0, v0
	v_add_co_u32_e32 v2, vcc, v2, v4
	v_addc_co_u32_e32 v3, vcc, v3, v5, vcc
	buffer_store_dword v2, off, s[0:3], 0 offset:1376 ; 4-byte Folded Spill
	s_nop 0
	buffer_store_dword v3, off, s[0:3], 0 offset:1380 ; 4-byte Folded Spill
	global_load_dwordx4 v[2:5], v[2:3], off
	s_waitcnt vmcnt(0)
	buffer_store_dword v5, off, s[0:3], 0 offset:972
	buffer_store_dword v4, off, s[0:3], 0 offset:968
	;; [unrolled: 1-line block ×4, first 2 shown]
	s_and_saveexec_b64 s[10:11], s[4:5]
	s_cbranch_execz .LBB121_10
; %bb.2:
	global_load_dwordx4 v[2:5], v[121:122], off
	s_mov_b32 s8, 16
	s_waitcnt vmcnt(0)
	ds_write2_b64 v125, v[2:3], v[4:5] offset1:1
.LBB121_3:                              ; =>This Inner Loop Header: Depth=1
	v_mov_b32_e32 v18, s8
	buffer_load_dword v2, v18, s[0:3], 0 offen
	buffer_load_dword v3, v18, s[0:3], 0 offen offset:4
	buffer_load_dword v4, v18, s[0:3], 0 offen offset:8
	;; [unrolled: 1-line block ×15, first 2 shown]
	v_add_u32_e32 v19, s8, v117
	s_addk_i32 s8, 0xf0
	s_cmpk_eq_i32 s8, 0x3d0
	s_waitcnt vmcnt(12)
	ds_write2_b64 v19, v[2:3], v[4:5] offset1:1
	s_waitcnt vmcnt(8)
	ds_write2_b64 v19, v[6:7], v[8:9] offset0:2 offset1:3
	s_waitcnt vmcnt(4)
	ds_write2_b64 v19, v[10:11], v[12:13] offset0:4 offset1:5
	;; [unrolled: 2-line block ×3, first 2 shown]
	buffer_load_dword v3, v18, s[0:3], 0 offen offset:76
	buffer_load_dword v2, v18, s[0:3], 0 offen offset:72
	buffer_load_dword v5, v18, s[0:3], 0 offen offset:68
	buffer_load_dword v4, v18, s[0:3], 0 offen offset:64
	s_waitcnt vmcnt(0)
	ds_write2_b64 v19, v[4:5], v[2:3] offset0:8 offset1:9
	buffer_load_dword v3, v18, s[0:3], 0 offen offset:92
	buffer_load_dword v2, v18, s[0:3], 0 offen offset:88
	buffer_load_dword v5, v18, s[0:3], 0 offen offset:84
	buffer_load_dword v4, v18, s[0:3], 0 offen offset:80
	s_waitcnt vmcnt(0)
	ds_write2_b64 v19, v[4:5], v[2:3] offset0:10 offset1:11
	;; [unrolled: 6-line block ×11, first 2 shown]
	s_cbranch_scc0 .LBB121_3
; %bb.4:
	ds_read2_b64 v[2:5], v125 offset1:1
	s_waitcnt lgkmcnt(0)
	v_cmp_neq_f64_e32 vcc, 0, v[2:3]
	v_cmp_neq_f64_e64 s[8:9], 0, v[4:5]
	s_or_b64 s[8:9], vcc, s[8:9]
	s_and_b64 exec, exec, s[8:9]
	s_cbranch_execz .LBB121_10
; %bb.5:
	v_cmp_ngt_f64_e64 s[8:9], |v[2:3]|, |v[4:5]|
                                        ; implicit-def: $vgpr6_vgpr7
	s_and_saveexec_b64 s[70:71], s[8:9]
	s_xor_b64 s[8:9], exec, s[70:71]
                                        ; implicit-def: $vgpr8_vgpr9
	s_cbranch_execz .LBB121_7
; %bb.6:
	v_div_scale_f64 v[6:7], s[70:71], v[4:5], v[4:5], v[2:3]
	v_rcp_f64_e32 v[8:9], v[6:7]
	v_fma_f64 v[10:11], -v[6:7], v[8:9], 1.0
	v_fma_f64 v[8:9], v[8:9], v[10:11], v[8:9]
	v_div_scale_f64 v[10:11], vcc, v[2:3], v[4:5], v[2:3]
	v_fma_f64 v[12:13], -v[6:7], v[8:9], 1.0
	v_fma_f64 v[8:9], v[8:9], v[12:13], v[8:9]
	v_mul_f64 v[12:13], v[10:11], v[8:9]
	v_fma_f64 v[6:7], -v[6:7], v[12:13], v[10:11]
	v_div_fmas_f64 v[6:7], v[6:7], v[8:9], v[12:13]
	v_div_fixup_f64 v[6:7], v[6:7], v[4:5], v[2:3]
	v_fma_f64 v[2:3], v[2:3], v[6:7], v[4:5]
	v_div_scale_f64 v[4:5], s[70:71], v[2:3], v[2:3], 1.0
	v_div_scale_f64 v[12:13], vcc, 1.0, v[2:3], 1.0
	v_rcp_f64_e32 v[8:9], v[4:5]
	v_fma_f64 v[10:11], -v[4:5], v[8:9], 1.0
	v_fma_f64 v[8:9], v[8:9], v[10:11], v[8:9]
	v_fma_f64 v[10:11], -v[4:5], v[8:9], 1.0
	v_fma_f64 v[8:9], v[8:9], v[10:11], v[8:9]
	v_mul_f64 v[10:11], v[12:13], v[8:9]
	v_fma_f64 v[4:5], -v[4:5], v[10:11], v[12:13]
	v_div_fmas_f64 v[4:5], v[4:5], v[8:9], v[10:11]
	v_div_fixup_f64 v[8:9], v[4:5], v[2:3], 1.0
                                        ; implicit-def: $vgpr2_vgpr3
	v_mul_f64 v[6:7], v[6:7], v[8:9]
	v_xor_b32_e32 v9, 0x80000000, v9
.LBB121_7:
	s_andn2_saveexec_b64 s[8:9], s[8:9]
	s_cbranch_execz .LBB121_9
; %bb.8:
	v_div_scale_f64 v[6:7], s[70:71], v[2:3], v[2:3], v[4:5]
	v_rcp_f64_e32 v[8:9], v[6:7]
	v_fma_f64 v[10:11], -v[6:7], v[8:9], 1.0
	v_fma_f64 v[8:9], v[8:9], v[10:11], v[8:9]
	v_div_scale_f64 v[10:11], vcc, v[4:5], v[2:3], v[4:5]
	v_fma_f64 v[12:13], -v[6:7], v[8:9], 1.0
	v_fma_f64 v[8:9], v[8:9], v[12:13], v[8:9]
	v_mul_f64 v[12:13], v[10:11], v[8:9]
	v_fma_f64 v[6:7], -v[6:7], v[12:13], v[10:11]
	v_div_fmas_f64 v[6:7], v[6:7], v[8:9], v[12:13]
	v_div_fixup_f64 v[8:9], v[6:7], v[2:3], v[4:5]
	v_fma_f64 v[2:3], v[4:5], v[8:9], v[2:3]
	v_div_scale_f64 v[4:5], s[70:71], v[2:3], v[2:3], 1.0
	v_div_scale_f64 v[12:13], vcc, 1.0, v[2:3], 1.0
	v_rcp_f64_e32 v[6:7], v[4:5]
	v_fma_f64 v[10:11], -v[4:5], v[6:7], 1.0
	v_fma_f64 v[6:7], v[6:7], v[10:11], v[6:7]
	v_fma_f64 v[10:11], -v[4:5], v[6:7], 1.0
	v_fma_f64 v[6:7], v[6:7], v[10:11], v[6:7]
	v_mul_f64 v[10:11], v[12:13], v[6:7]
	v_fma_f64 v[4:5], -v[4:5], v[10:11], v[12:13]
	v_div_fmas_f64 v[4:5], v[4:5], v[6:7], v[10:11]
	v_div_fixup_f64 v[6:7], v[4:5], v[2:3], 1.0
	v_mul_f64 v[8:9], v[8:9], -v[6:7]
.LBB121_9:
	s_or_b64 exec, exec, s[8:9]
	ds_write2_b64 v125, v[6:7], v[8:9] offset1:1
.LBB121_10:
	s_or_b64 exec, exec, s[10:11]
	s_mov_b32 s8, s23
                                        ; implicit-def: $vgpr126 : SGPR spill to VGPR lane
	v_mul_u32_u24_e32 v9, 0x3d0, v1
	v_writelane_b32 v126, s8, 0
	s_mov_b32 s8, s27
	v_writelane_b32 v126, s8, 1
	s_mov_b32 s8, s28
	;; [unrolled: 2-line block ×19, first 2 shown]
	s_waitcnt vmcnt(0) lgkmcnt(0)
	s_barrier
	ds_read2_b64 v[1:4], v125 offset1:1
	v_writelane_b32 v126, s8, 19
	s_mov_b32 s8, s59
	v_writelane_b32 v126, s8, 20
	s_mov_b32 s8, s61
	;; [unrolled: 2-line block ×3, first 2 shown]
	s_mov_b32 s94, 16
	s_mov_b32 s93, 32
	;; [unrolled: 1-line block ×32, first 2 shown]
	v_writelane_b32 v126, s8, 22
	s_mov_b32 s16, s64
	s_mov_b32 s79, s65
	;; [unrolled: 1-line block ×5, first 2 shown]
	s_waitcnt lgkmcnt(0)
	buffer_store_dword v1, off, s[0:3], 0 offset:1456 ; 4-byte Folded Spill
	s_nop 0
	buffer_store_dword v2, off, s[0:3], 0 offset:1460 ; 4-byte Folded Spill
	buffer_store_dword v3, off, s[0:3], 0 offset:1464 ; 4-byte Folded Spill
	buffer_store_dword v4, off, s[0:3], 0 offset:1468 ; 4-byte Folded Spill
	s_and_saveexec_b64 s[8:9], s[6:7]
	s_cbranch_execz .LBB121_13
; %bb.11:
	buffer_load_dword v1, off, s[0:3], 0 offset:8
	buffer_load_dword v2, off, s[0:3], 0 offset:12
	buffer_load_dword v3, off, s[0:3], 0
	buffer_load_dword v4, off, s[0:3], 0 offset:4
	buffer_load_dword v10, off, s[0:3], 0 offset:1456 ; 4-byte Folded Reload
	buffer_load_dword v11, off, s[0:3], 0 offset:1460 ; 4-byte Folded Reload
	;; [unrolled: 1-line block ×4, first 2 shown]
	s_mov_b32 s6, 16
	s_waitcnt vmcnt(2)
	v_mul_f64 v[7:8], v[10:11], v[1:2]
	s_waitcnt vmcnt(0)
	v_mul_f64 v[5:6], v[12:13], v[1:2]
	v_fma_f64 v[1:2], v[10:11], v[3:4], -v[5:6]
	v_fma_f64 v[3:4], v[12:13], v[3:4], v[7:8]
	buffer_store_dword v1, off, s[0:3], 0
	buffer_store_dword v2, off, s[0:3], 0 offset:4
	buffer_store_dword v3, off, s[0:3], 0 offset:8
	;; [unrolled: 1-line block ×3, first 2 shown]
.LBB121_12:                             ; =>This Inner Loop Header: Depth=1
	v_add_u32_e32 v6, s6, v117
	ds_read2_b64 v[10:13], v6 offset1:1
	v_mov_b32_e32 v5, s6
	s_addk_i32 s6, 0x60
	s_cmpk_lg_i32 s6, 0x3d0
	s_waitcnt lgkmcnt(0)
	v_mul_f64 v[7:8], v[12:13], v[3:4]
	v_fma_f64 v[7:8], v[10:11], v[1:2], -v[7:8]
	v_mul_f64 v[10:11], v[10:11], v[3:4]
	v_fma_f64 v[10:11], v[12:13], v[1:2], v[10:11]
	buffer_load_dword v12, v5, s[0:3], 0 offen
	buffer_load_dword v13, v5, s[0:3], 0 offen offset:4
	buffer_load_dword v14, v5, s[0:3], 0 offen offset:8
	;; [unrolled: 1-line block ×15, first 2 shown]
	s_waitcnt vmcnt(14)
	v_add_f64 v[7:8], v[12:13], -v[7:8]
	s_waitcnt vmcnt(12)
	v_add_f64 v[10:11], v[14:15], -v[10:11]
	buffer_store_dword v7, v5, s[0:3], 0 offen
	buffer_store_dword v8, v5, s[0:3], 0 offen offset:4
	buffer_store_dword v10, v5, s[0:3], 0 offen offset:8
	buffer_store_dword v11, v5, s[0:3], 0 offen offset:12
	ds_read2_b64 v[10:13], v6 offset0:2 offset1:3
	s_waitcnt lgkmcnt(0)
	v_mul_f64 v[7:8], v[12:13], v[3:4]
	v_fma_f64 v[7:8], v[10:11], v[1:2], -v[7:8]
	v_mul_f64 v[10:11], v[10:11], v[3:4]
	s_waitcnt vmcnt(14)
	v_add_f64 v[7:8], v[16:17], -v[7:8]
	v_fma_f64 v[10:11], v[12:13], v[1:2], v[10:11]
	s_waitcnt vmcnt(12)
	v_add_f64 v[10:11], v[18:19], -v[10:11]
	buffer_store_dword v7, v5, s[0:3], 0 offen offset:16
	buffer_store_dword v8, v5, s[0:3], 0 offen offset:20
	buffer_store_dword v10, v5, s[0:3], 0 offen offset:24
	buffer_store_dword v11, v5, s[0:3], 0 offen offset:28
	ds_read2_b64 v[10:13], v6 offset0:4 offset1:5
	s_waitcnt lgkmcnt(0)
	v_mul_f64 v[7:8], v[12:13], v[3:4]
	v_fma_f64 v[7:8], v[10:11], v[1:2], -v[7:8]
	v_mul_f64 v[10:11], v[10:11], v[3:4]
	s_waitcnt vmcnt(14)
	v_add_f64 v[7:8], v[20:21], -v[7:8]
	v_fma_f64 v[10:11], v[12:13], v[1:2], v[10:11]
	s_waitcnt vmcnt(12)
	v_add_f64 v[10:11], v[22:23], -v[10:11]
	buffer_store_dword v7, v5, s[0:3], 0 offen offset:32
	;; [unrolled: 14-line block ×3, first 2 shown]
	buffer_store_dword v7, v5, s[0:3], 0 offen offset:48
	buffer_store_dword v10, v5, s[0:3], 0 offen offset:56
	;; [unrolled: 1-line block ×3, first 2 shown]
	ds_read2_b64 v[10:13], v6 offset0:8 offset1:9
	s_waitcnt lgkmcnt(0)
	v_mul_f64 v[7:8], v[12:13], v[3:4]
	v_fma_f64 v[7:8], v[10:11], v[1:2], -v[7:8]
	v_mul_f64 v[10:11], v[10:11], v[3:4]
	v_fma_f64 v[10:11], v[12:13], v[1:2], v[10:11]
	buffer_load_dword v12, v5, s[0:3], 0 offen offset:64
	buffer_load_dword v13, v5, s[0:3], 0 offen offset:68
	;; [unrolled: 1-line block ×4, first 2 shown]
	s_waitcnt vmcnt(2)
	v_add_f64 v[7:8], v[12:13], -v[7:8]
	s_waitcnt vmcnt(0)
	v_add_f64 v[10:11], v[14:15], -v[10:11]
	buffer_store_dword v8, v5, s[0:3], 0 offen offset:68
	buffer_store_dword v7, v5, s[0:3], 0 offen offset:64
	;; [unrolled: 1-line block ×4, first 2 shown]
	ds_read2_b64 v[10:13], v6 offset0:10 offset1:11
	s_waitcnt lgkmcnt(0)
	v_mul_f64 v[6:7], v[12:13], v[3:4]
	v_fma_f64 v[6:7], v[10:11], v[1:2], -v[6:7]
	v_mul_f64 v[10:11], v[10:11], v[3:4]
	v_fma_f64 v[10:11], v[12:13], v[1:2], v[10:11]
	buffer_load_dword v12, v5, s[0:3], 0 offen offset:80
	buffer_load_dword v13, v5, s[0:3], 0 offen offset:84
	;; [unrolled: 1-line block ×4, first 2 shown]
	s_waitcnt vmcnt(2)
	v_add_f64 v[6:7], v[12:13], -v[6:7]
	s_waitcnt vmcnt(0)
	v_add_f64 v[10:11], v[14:15], -v[10:11]
	buffer_store_dword v7, v5, s[0:3], 0 offen offset:84
	buffer_store_dword v6, v5, s[0:3], 0 offen offset:80
	;; [unrolled: 1-line block ×4, first 2 shown]
	s_cbranch_scc1 .LBB121_12
.LBB121_13:
	s_or_b64 exec, exec, s[8:9]
	v_cmp_eq_u32_e32 vcc, 1, v0
	s_waitcnt vmcnt(0)
	s_barrier
	s_and_saveexec_b64 s[8:9], vcc
	s_cbranch_execz .LBB121_24
; %bb.14:
	v_mov_b32_e32 v4, s94
	buffer_load_dword v1, v4, s[0:3], 0 offen
	buffer_load_dword v2, v4, s[0:3], 0 offen offset:4
	buffer_load_dword v3, v4, s[0:3], 0 offen offset:8
	s_nop 0
	buffer_load_dword v4, v4, s[0:3], 0 offen offset:12
	s_mov_b32 s10, 32
	s_waitcnt vmcnt(0)
	ds_write2_b64 v125, v[1:2], v[3:4] offset1:1
	s_branch .LBB121_16
.LBB121_15:                             ;   in Loop: Header=BB121_16 Depth=1
	s_andn2_b64 vcc, exec, s[6:7]
	s_cbranch_vccz .LBB121_18
.LBB121_16:                             ; =>This Inner Loop Header: Depth=1
	v_mov_b32_e32 v1, s10
	buffer_load_dword v2, v1, s[0:3], 0 offen
	buffer_load_dword v3, v1, s[0:3], 0 offen offset:4
	buffer_load_dword v4, v1, s[0:3], 0 offen offset:8
	buffer_load_dword v5, v1, s[0:3], 0 offen offset:12
	buffer_load_dword v6, v1, s[0:3], 0 offen offset:16
	buffer_load_dword v7, v1, s[0:3], 0 offen offset:20
	buffer_load_dword v10, v1, s[0:3], 0 offen offset:24
	buffer_load_dword v11, v1, s[0:3], 0 offen offset:28
	buffer_load_dword v12, v1, s[0:3], 0 offen offset:32
	buffer_load_dword v13, v1, s[0:3], 0 offen offset:36
	buffer_load_dword v14, v1, s[0:3], 0 offen offset:40
	buffer_load_dword v15, v1, s[0:3], 0 offen offset:44
	s_mov_b32 s11, s10
	v_add_u32_e32 v1, s10, v117
	s_cmpk_eq_i32 s10, 0x3a0
	s_mov_b64 s[6:7], -1
	s_waitcnt vmcnt(8)
	ds_write2_b64 v1, v[2:3], v[4:5] offset1:1
	s_waitcnt vmcnt(4)
	ds_write2_b64 v1, v[6:7], v[10:11] offset0:2 offset1:3
	s_waitcnt vmcnt(0)
	ds_write2_b64 v1, v[12:13], v[14:15] offset0:4 offset1:5
	s_cbranch_scc1 .LBB121_15
; %bb.17:                               ;   in Loop: Header=BB121_16 Depth=1
	v_mov_b32_e32 v8, s11
	buffer_load_dword v2, v8, s[0:3], 0 offen offset:48
	buffer_load_dword v3, v8, s[0:3], 0 offen offset:52
	;; [unrolled: 1-line block ×16, first 2 shown]
	s_addk_i32 s10, 0x80
	s_mov_b64 s[6:7], 0
	s_waitcnt vmcnt(12)
	ds_write2_b64 v1, v[2:3], v[4:5] offset0:6 offset1:7
	s_waitcnt vmcnt(8)
	ds_write2_b64 v1, v[6:7], v[10:11] offset0:8 offset1:9
	;; [unrolled: 2-line block ×4, first 2 shown]
	buffer_load_dword v3, v8, s[0:3], 0 offen offset:124
	buffer_load_dword v2, v8, s[0:3], 0 offen offset:120
	;; [unrolled: 1-line block ×4, first 2 shown]
	s_waitcnt vmcnt(0)
	ds_write2_b64 v1, v[4:5], v[2:3] offset0:14 offset1:15
	s_branch .LBB121_15
.LBB121_18:
	ds_read2_b64 v[1:4], v125 offset1:1
	s_waitcnt lgkmcnt(0)
	v_cmp_neq_f64_e32 vcc, 0, v[1:2]
	v_cmp_neq_f64_e64 s[6:7], 0, v[3:4]
	s_or_b64 s[6:7], vcc, s[6:7]
	s_and_b64 exec, exec, s[6:7]
	s_cbranch_execz .LBB121_24
; %bb.19:
	v_cmp_ngt_f64_e64 s[6:7], |v[1:2]|, |v[3:4]|
                                        ; implicit-def: $vgpr5_vgpr6
	s_and_saveexec_b64 s[10:11], s[6:7]
	s_xor_b64 s[6:7], exec, s[10:11]
                                        ; implicit-def: $vgpr7_vgpr8
	s_cbranch_execz .LBB121_21
; %bb.20:
	v_div_scale_f64 v[5:6], s[10:11], v[3:4], v[3:4], v[1:2]
	v_rcp_f64_e32 v[7:8], v[5:6]
	v_fma_f64 v[10:11], -v[5:6], v[7:8], 1.0
	v_fma_f64 v[7:8], v[7:8], v[10:11], v[7:8]
	v_div_scale_f64 v[10:11], vcc, v[1:2], v[3:4], v[1:2]
	v_fma_f64 v[12:13], -v[5:6], v[7:8], 1.0
	v_fma_f64 v[7:8], v[7:8], v[12:13], v[7:8]
	v_mul_f64 v[12:13], v[10:11], v[7:8]
	v_fma_f64 v[5:6], -v[5:6], v[12:13], v[10:11]
	v_div_fmas_f64 v[5:6], v[5:6], v[7:8], v[12:13]
	v_div_fixup_f64 v[5:6], v[5:6], v[3:4], v[1:2]
	v_fma_f64 v[1:2], v[1:2], v[5:6], v[3:4]
	v_div_scale_f64 v[3:4], s[10:11], v[1:2], v[1:2], 1.0
	v_div_scale_f64 v[12:13], vcc, 1.0, v[1:2], 1.0
	v_rcp_f64_e32 v[7:8], v[3:4]
	v_fma_f64 v[10:11], -v[3:4], v[7:8], 1.0
	v_fma_f64 v[7:8], v[7:8], v[10:11], v[7:8]
	v_fma_f64 v[10:11], -v[3:4], v[7:8], 1.0
	v_fma_f64 v[7:8], v[7:8], v[10:11], v[7:8]
	v_mul_f64 v[10:11], v[12:13], v[7:8]
	v_fma_f64 v[3:4], -v[3:4], v[10:11], v[12:13]
	v_div_fmas_f64 v[3:4], v[3:4], v[7:8], v[10:11]
	v_div_fixup_f64 v[7:8], v[3:4], v[1:2], 1.0
                                        ; implicit-def: $vgpr1_vgpr2
	v_mul_f64 v[5:6], v[5:6], v[7:8]
	v_xor_b32_e32 v8, 0x80000000, v8
.LBB121_21:
	s_andn2_saveexec_b64 s[6:7], s[6:7]
	s_cbranch_execz .LBB121_23
; %bb.22:
	v_div_scale_f64 v[5:6], s[10:11], v[1:2], v[1:2], v[3:4]
	v_rcp_f64_e32 v[7:8], v[5:6]
	v_fma_f64 v[10:11], -v[5:6], v[7:8], 1.0
	v_fma_f64 v[7:8], v[7:8], v[10:11], v[7:8]
	v_div_scale_f64 v[10:11], vcc, v[3:4], v[1:2], v[3:4]
	v_fma_f64 v[12:13], -v[5:6], v[7:8], 1.0
	v_fma_f64 v[7:8], v[7:8], v[12:13], v[7:8]
	v_mul_f64 v[12:13], v[10:11], v[7:8]
	v_fma_f64 v[5:6], -v[5:6], v[12:13], v[10:11]
	v_div_fmas_f64 v[5:6], v[5:6], v[7:8], v[12:13]
	v_div_fixup_f64 v[7:8], v[5:6], v[1:2], v[3:4]
	v_fma_f64 v[1:2], v[3:4], v[7:8], v[1:2]
	v_div_scale_f64 v[3:4], s[10:11], v[1:2], v[1:2], 1.0
	v_div_scale_f64 v[12:13], vcc, 1.0, v[1:2], 1.0
	v_rcp_f64_e32 v[5:6], v[3:4]
	v_fma_f64 v[10:11], -v[3:4], v[5:6], 1.0
	v_fma_f64 v[5:6], v[5:6], v[10:11], v[5:6]
	v_fma_f64 v[10:11], -v[3:4], v[5:6], 1.0
	v_fma_f64 v[5:6], v[5:6], v[10:11], v[5:6]
	v_mul_f64 v[10:11], v[12:13], v[5:6]
	v_fma_f64 v[3:4], -v[3:4], v[10:11], v[12:13]
	v_div_fmas_f64 v[3:4], v[3:4], v[5:6], v[10:11]
	v_div_fixup_f64 v[5:6], v[3:4], v[1:2], 1.0
	v_mul_f64 v[7:8], v[7:8], -v[5:6]
.LBB121_23:
	s_or_b64 exec, exec, s[6:7]
	ds_write2_b64 v125, v[5:6], v[7:8] offset1:1
.LBB121_24:
	s_or_b64 exec, exec, s[8:9]
	s_waitcnt lgkmcnt(0)
	s_barrier
	ds_read2_b64 v[24:27], v125 offset1:1
	v_cmp_lt_u32_e32 vcc, 1, v0
	s_and_saveexec_b64 s[6:7], vcc
	s_cbranch_execz .LBB121_29
; %bb.25:
	buffer_load_dword v1, off, s[0:3], 0 offset:24
	buffer_load_dword v2, off, s[0:3], 0 offset:28
	;; [unrolled: 1-line block ×4, first 2 shown]
	s_mov_b32 s10, 32
	s_waitcnt vmcnt(2) lgkmcnt(0)
	v_mul_f64 v[5:6], v[26:27], v[1:2]
	v_mul_f64 v[7:8], v[24:25], v[1:2]
	s_waitcnt vmcnt(0)
	v_fma_f64 v[1:2], v[24:25], v[3:4], -v[5:6]
	v_fma_f64 v[3:4], v[26:27], v[3:4], v[7:8]
	buffer_store_dword v1, off, s[0:3], 0 offset:16
	buffer_store_dword v2, off, s[0:3], 0 offset:20
	;; [unrolled: 1-line block ×4, first 2 shown]
	s_branch .LBB121_27
.LBB121_26:                             ;   in Loop: Header=BB121_27 Depth=1
	s_andn2_b64 vcc, exec, s[8:9]
	s_cbranch_vccz .LBB121_29
.LBB121_27:                             ; =>This Inner Loop Header: Depth=1
	v_add_u32_e32 v5, s10, v117
	ds_read2_b64 v[10:13], v5 offset1:1
	v_mov_b32_e32 v8, s10
	s_mov_b32 s11, s10
	s_mov_b64 s[8:9], -1
	s_cmpk_eq_i32 s10, 0x3a0
	s_waitcnt lgkmcnt(0)
	v_mul_f64 v[6:7], v[12:13], v[3:4]
	v_fma_f64 v[6:7], v[10:11], v[1:2], -v[6:7]
	v_mul_f64 v[10:11], v[10:11], v[3:4]
	v_fma_f64 v[10:11], v[12:13], v[1:2], v[10:11]
	buffer_load_dword v12, v8, s[0:3], 0 offen
	buffer_load_dword v13, v8, s[0:3], 0 offen offset:4
	buffer_load_dword v14, v8, s[0:3], 0 offen offset:8
	;; [unrolled: 1-line block ×11, first 2 shown]
	s_waitcnt vmcnt(10)
	v_add_f64 v[6:7], v[12:13], -v[6:7]
	s_waitcnt vmcnt(8)
	v_add_f64 v[10:11], v[14:15], -v[10:11]
	buffer_store_dword v6, v8, s[0:3], 0 offen
	buffer_store_dword v7, v8, s[0:3], 0 offen offset:4
	buffer_store_dword v10, v8, s[0:3], 0 offen offset:8
	;; [unrolled: 1-line block ×3, first 2 shown]
	ds_read2_b64 v[10:13], v5 offset0:2 offset1:3
	s_waitcnt lgkmcnt(0)
	v_mul_f64 v[6:7], v[12:13], v[3:4]
	v_fma_f64 v[6:7], v[10:11], v[1:2], -v[6:7]
	v_mul_f64 v[10:11], v[10:11], v[3:4]
	s_waitcnt vmcnt(10)
	v_add_f64 v[6:7], v[16:17], -v[6:7]
	v_fma_f64 v[10:11], v[12:13], v[1:2], v[10:11]
	s_waitcnt vmcnt(8)
	v_add_f64 v[10:11], v[18:19], -v[10:11]
	buffer_store_dword v6, v8, s[0:3], 0 offen offset:16
	buffer_store_dword v7, v8, s[0:3], 0 offen offset:20
	buffer_store_dword v10, v8, s[0:3], 0 offen offset:24
	buffer_store_dword v11, v8, s[0:3], 0 offen offset:28
	ds_read2_b64 v[10:13], v5 offset0:4 offset1:5
	s_waitcnt lgkmcnt(0)
	v_mul_f64 v[6:7], v[12:13], v[3:4]
	v_fma_f64 v[6:7], v[10:11], v[1:2], -v[6:7]
	v_mul_f64 v[10:11], v[10:11], v[3:4]
	s_waitcnt vmcnt(10)
	v_add_f64 v[6:7], v[20:21], -v[6:7]
	v_fma_f64 v[10:11], v[12:13], v[1:2], v[10:11]
	s_waitcnt vmcnt(8)
	v_add_f64 v[10:11], v[22:23], -v[10:11]
	buffer_store_dword v6, v8, s[0:3], 0 offen offset:32
	buffer_store_dword v7, v8, s[0:3], 0 offen offset:36
	;; [unrolled: 1-line block ×4, first 2 shown]
	s_cbranch_scc1 .LBB121_26
; %bb.28:                               ;   in Loop: Header=BB121_27 Depth=1
	ds_read2_b64 v[5:8], v5 offset0:6 offset1:7
	v_mov_b32_e32 v14, s11
	s_add_i32 s10, s10, 64
	s_mov_b64 s[8:9], 0
	s_waitcnt lgkmcnt(0)
	v_mul_f64 v[10:11], v[7:8], v[3:4]
	v_fma_f64 v[10:11], v[5:6], v[1:2], -v[10:11]
	v_mul_f64 v[5:6], v[5:6], v[3:4]
	v_fma_f64 v[5:6], v[7:8], v[1:2], v[5:6]
	buffer_load_dword v7, v14, s[0:3], 0 offen offset:48
	buffer_load_dword v8, v14, s[0:3], 0 offen offset:52
	;; [unrolled: 1-line block ×4, first 2 shown]
	s_waitcnt vmcnt(2)
	v_add_f64 v[7:8], v[7:8], -v[10:11]
	s_waitcnt vmcnt(0)
	v_add_f64 v[5:6], v[12:13], -v[5:6]
	buffer_store_dword v7, v14, s[0:3], 0 offen offset:48
	buffer_store_dword v8, v14, s[0:3], 0 offen offset:52
	;; [unrolled: 1-line block ×4, first 2 shown]
	s_branch .LBB121_26
.LBB121_29:
	s_or_b64 exec, exec, s[6:7]
	v_cmp_eq_u32_e32 vcc, 2, v0
	s_waitcnt vmcnt(0) lgkmcnt(0)
	s_barrier
	s_and_saveexec_b64 s[8:9], vcc
	s_cbranch_execz .LBB121_38
; %bb.30:
	v_mov_b32_e32 v4, s93
	buffer_load_dword v1, v4, s[0:3], 0 offen
	buffer_load_dword v2, v4, s[0:3], 0 offen offset:4
	buffer_load_dword v3, v4, s[0:3], 0 offen offset:8
	s_nop 0
	buffer_load_dword v4, v4, s[0:3], 0 offen offset:12
	s_mov_b32 s6, 48
	s_waitcnt vmcnt(0)
	ds_write2_b64 v125, v[1:2], v[3:4] offset1:1
.LBB121_31:                             ; =>This Inner Loop Header: Depth=1
	v_mov_b32_e32 v8, s6
	buffer_load_dword v1, v8, s[0:3], 0 offen
	buffer_load_dword v2, v8, s[0:3], 0 offen offset:4
	buffer_load_dword v3, v8, s[0:3], 0 offen offset:8
	;; [unrolled: 1-line block ×6, first 2 shown]
	s_nop 0
	buffer_load_dword v8, v8, s[0:3], 0 offen offset:28
	v_add_u32_e32 v10, s6, v117
	s_add_i32 s6, s6, 32
	s_cmpk_lg_i32 s6, 0x3d0
	s_waitcnt vmcnt(4)
	ds_write2_b64 v10, v[1:2], v[3:4] offset1:1
	s_waitcnt vmcnt(0)
	ds_write2_b64 v10, v[5:6], v[7:8] offset0:2 offset1:3
	s_cbranch_scc1 .LBB121_31
; %bb.32:
	ds_read2_b64 v[1:4], v125 offset1:1
	s_waitcnt lgkmcnt(0)
	v_cmp_neq_f64_e32 vcc, 0, v[1:2]
	v_cmp_neq_f64_e64 s[6:7], 0, v[3:4]
	s_or_b64 s[6:7], vcc, s[6:7]
	s_and_b64 exec, exec, s[6:7]
	s_cbranch_execz .LBB121_38
; %bb.33:
	v_cmp_ngt_f64_e64 s[6:7], |v[1:2]|, |v[3:4]|
                                        ; implicit-def: $vgpr5_vgpr6
	s_and_saveexec_b64 s[10:11], s[6:7]
	s_xor_b64 s[6:7], exec, s[10:11]
                                        ; implicit-def: $vgpr7_vgpr8
	s_cbranch_execz .LBB121_35
; %bb.34:
	v_div_scale_f64 v[5:6], s[10:11], v[3:4], v[3:4], v[1:2]
	v_rcp_f64_e32 v[7:8], v[5:6]
	v_fma_f64 v[10:11], -v[5:6], v[7:8], 1.0
	v_fma_f64 v[7:8], v[7:8], v[10:11], v[7:8]
	v_div_scale_f64 v[10:11], vcc, v[1:2], v[3:4], v[1:2]
	v_fma_f64 v[12:13], -v[5:6], v[7:8], 1.0
	v_fma_f64 v[7:8], v[7:8], v[12:13], v[7:8]
	v_mul_f64 v[12:13], v[10:11], v[7:8]
	v_fma_f64 v[5:6], -v[5:6], v[12:13], v[10:11]
	v_div_fmas_f64 v[5:6], v[5:6], v[7:8], v[12:13]
	v_div_fixup_f64 v[5:6], v[5:6], v[3:4], v[1:2]
	v_fma_f64 v[1:2], v[1:2], v[5:6], v[3:4]
	v_div_scale_f64 v[3:4], s[10:11], v[1:2], v[1:2], 1.0
	v_div_scale_f64 v[12:13], vcc, 1.0, v[1:2], 1.0
	v_rcp_f64_e32 v[7:8], v[3:4]
	v_fma_f64 v[10:11], -v[3:4], v[7:8], 1.0
	v_fma_f64 v[7:8], v[7:8], v[10:11], v[7:8]
	v_fma_f64 v[10:11], -v[3:4], v[7:8], 1.0
	v_fma_f64 v[7:8], v[7:8], v[10:11], v[7:8]
	v_mul_f64 v[10:11], v[12:13], v[7:8]
	v_fma_f64 v[3:4], -v[3:4], v[10:11], v[12:13]
	v_div_fmas_f64 v[3:4], v[3:4], v[7:8], v[10:11]
	v_div_fixup_f64 v[7:8], v[3:4], v[1:2], 1.0
                                        ; implicit-def: $vgpr1_vgpr2
	v_mul_f64 v[5:6], v[5:6], v[7:8]
	v_xor_b32_e32 v8, 0x80000000, v8
.LBB121_35:
	s_andn2_saveexec_b64 s[6:7], s[6:7]
	s_cbranch_execz .LBB121_37
; %bb.36:
	v_div_scale_f64 v[5:6], s[10:11], v[1:2], v[1:2], v[3:4]
	v_rcp_f64_e32 v[7:8], v[5:6]
	v_fma_f64 v[10:11], -v[5:6], v[7:8], 1.0
	v_fma_f64 v[7:8], v[7:8], v[10:11], v[7:8]
	v_div_scale_f64 v[10:11], vcc, v[3:4], v[1:2], v[3:4]
	v_fma_f64 v[12:13], -v[5:6], v[7:8], 1.0
	v_fma_f64 v[7:8], v[7:8], v[12:13], v[7:8]
	v_mul_f64 v[12:13], v[10:11], v[7:8]
	v_fma_f64 v[5:6], -v[5:6], v[12:13], v[10:11]
	v_div_fmas_f64 v[5:6], v[5:6], v[7:8], v[12:13]
	v_div_fixup_f64 v[7:8], v[5:6], v[1:2], v[3:4]
	v_fma_f64 v[1:2], v[3:4], v[7:8], v[1:2]
	v_div_scale_f64 v[3:4], s[10:11], v[1:2], v[1:2], 1.0
	v_div_scale_f64 v[12:13], vcc, 1.0, v[1:2], 1.0
	v_rcp_f64_e32 v[5:6], v[3:4]
	v_fma_f64 v[10:11], -v[3:4], v[5:6], 1.0
	v_fma_f64 v[5:6], v[5:6], v[10:11], v[5:6]
	v_fma_f64 v[10:11], -v[3:4], v[5:6], 1.0
	v_fma_f64 v[5:6], v[5:6], v[10:11], v[5:6]
	v_mul_f64 v[10:11], v[12:13], v[5:6]
	v_fma_f64 v[3:4], -v[3:4], v[10:11], v[12:13]
	v_div_fmas_f64 v[3:4], v[3:4], v[5:6], v[10:11]
	v_div_fixup_f64 v[5:6], v[3:4], v[1:2], 1.0
	v_mul_f64 v[7:8], v[7:8], -v[5:6]
.LBB121_37:
	s_or_b64 exec, exec, s[6:7]
	ds_write2_b64 v125, v[5:6], v[7:8] offset1:1
.LBB121_38:
	s_or_b64 exec, exec, s[8:9]
	s_waitcnt lgkmcnt(0)
	s_barrier
	ds_read2_b64 v[18:21], v125 offset1:1
	v_cmp_lt_u32_e32 vcc, 2, v0
	s_and_saveexec_b64 s[6:7], vcc
	s_cbranch_execz .LBB121_41
; %bb.39:
	buffer_load_dword v1, off, s[0:3], 0 offset:40
	buffer_load_dword v2, off, s[0:3], 0 offset:44
	;; [unrolled: 1-line block ×4, first 2 shown]
	s_mov_b32 s8, 48
	s_waitcnt vmcnt(2) lgkmcnt(0)
	v_mul_f64 v[5:6], v[20:21], v[1:2]
	v_mul_f64 v[7:8], v[18:19], v[1:2]
	s_waitcnt vmcnt(0)
	v_fma_f64 v[1:2], v[18:19], v[3:4], -v[5:6]
	v_fma_f64 v[3:4], v[20:21], v[3:4], v[7:8]
	buffer_store_dword v1, off, s[0:3], 0 offset:32
	buffer_store_dword v2, off, s[0:3], 0 offset:36
	;; [unrolled: 1-line block ×4, first 2 shown]
.LBB121_40:                             ; =>This Inner Loop Header: Depth=1
	v_add_u32_e32 v16, s8, v117
	ds_read2_b64 v[5:8], v16 offset1:1
	v_mov_b32_e32 v17, s8
	s_add_i32 s8, s8, 32
	s_cmpk_lg_i32 s8, 0x3d0
	s_waitcnt lgkmcnt(0)
	v_mul_f64 v[10:11], v[7:8], v[3:4]
	v_mul_f64 v[3:4], v[5:6], v[3:4]
	v_fma_f64 v[10:11], v[5:6], v[1:2], -v[10:11]
	v_fma_f64 v[1:2], v[7:8], v[1:2], v[3:4]
	buffer_load_dword v3, v17, s[0:3], 0 offen
	buffer_load_dword v4, v17, s[0:3], 0 offen offset:4
	buffer_load_dword v5, v17, s[0:3], 0 offen offset:8
	;; [unrolled: 1-line block ×7, first 2 shown]
	s_waitcnt vmcnt(6)
	v_add_f64 v[3:4], v[3:4], -v[10:11]
	s_waitcnt vmcnt(4)
	v_add_f64 v[1:2], v[5:6], -v[1:2]
	buffer_store_dword v4, v17, s[0:3], 0 offen offset:4
	buffer_store_dword v3, v17, s[0:3], 0 offen
	buffer_store_dword v2, v17, s[0:3], 0 offen offset:12
	buffer_store_dword v1, v17, s[0:3], 0 offen offset:8
	ds_read2_b64 v[5:8], v16 offset0:2 offset1:3
	buffer_load_dword v2, off, s[0:3], 0 offset:36
	buffer_load_dword v1, off, s[0:3], 0 offset:32
	;; [unrolled: 1-line block ×4, first 2 shown]
	s_waitcnt vmcnt(0) lgkmcnt(0)
	v_mul_f64 v[10:11], v[7:8], v[3:4]
	v_fma_f64 v[10:11], v[5:6], v[1:2], -v[10:11]
	v_mul_f64 v[5:6], v[5:6], v[3:4]
	v_fma_f64 v[5:6], v[7:8], v[1:2], v[5:6]
	v_add_f64 v[7:8], v[12:13], -v[10:11]
	v_add_f64 v[5:6], v[14:15], -v[5:6]
	buffer_store_dword v8, v17, s[0:3], 0 offen offset:20
	buffer_store_dword v7, v17, s[0:3], 0 offen offset:16
	;; [unrolled: 1-line block ×4, first 2 shown]
	s_cbranch_scc1 .LBB121_40
.LBB121_41:
	s_or_b64 exec, exec, s[6:7]
	v_cmp_eq_u32_e32 vcc, 3, v0
	s_waitcnt vmcnt(0) lgkmcnt(0)
	s_barrier
	s_and_saveexec_b64 s[8:9], vcc
	s_cbranch_execz .LBB121_50
; %bb.42:
	v_mov_b32_e32 v4, s92
	buffer_load_dword v1, v4, s[0:3], 0 offen
	buffer_load_dword v2, v4, s[0:3], 0 offen offset:4
	buffer_load_dword v3, v4, s[0:3], 0 offen offset:8
	s_nop 0
	buffer_load_dword v4, v4, s[0:3], 0 offen offset:12
	s_mov_b32 s6, 64
	s_waitcnt vmcnt(0)
	ds_write2_b64 v125, v[1:2], v[3:4] offset1:1
.LBB121_43:                             ; =>This Inner Loop Header: Depth=1
	v_mov_b32_e32 v13, s6
	buffer_load_dword v1, v13, s[0:3], 0 offen
	buffer_load_dword v2, v13, s[0:3], 0 offen offset:4
	buffer_load_dword v3, v13, s[0:3], 0 offen offset:8
	;; [unrolled: 1-line block ×10, first 2 shown]
	s_nop 0
	buffer_load_dword v13, v13, s[0:3], 0 offen offset:44
	v_add_u32_e32 v14, s6, v117
	s_add_i32 s6, s6, 48
	s_cmpk_lg_i32 s6, 0x3d0
	s_waitcnt vmcnt(8)
	ds_write2_b64 v14, v[1:2], v[3:4] offset1:1
	s_waitcnt vmcnt(4)
	ds_write2_b64 v14, v[5:6], v[7:8] offset0:2 offset1:3
	s_waitcnt vmcnt(0)
	ds_write2_b64 v14, v[10:11], v[12:13] offset0:4 offset1:5
	s_cbranch_scc1 .LBB121_43
; %bb.44:
	ds_read2_b64 v[1:4], v125 offset1:1
	s_waitcnt lgkmcnt(0)
	v_cmp_neq_f64_e32 vcc, 0, v[1:2]
	v_cmp_neq_f64_e64 s[6:7], 0, v[3:4]
	s_or_b64 s[6:7], vcc, s[6:7]
	s_and_b64 exec, exec, s[6:7]
	s_cbranch_execz .LBB121_50
; %bb.45:
	v_cmp_ngt_f64_e64 s[6:7], |v[1:2]|, |v[3:4]|
                                        ; implicit-def: $vgpr5_vgpr6
	s_and_saveexec_b64 s[10:11], s[6:7]
	s_xor_b64 s[6:7], exec, s[10:11]
                                        ; implicit-def: $vgpr7_vgpr8
	s_cbranch_execz .LBB121_47
; %bb.46:
	v_div_scale_f64 v[5:6], s[10:11], v[3:4], v[3:4], v[1:2]
	v_rcp_f64_e32 v[7:8], v[5:6]
	v_fma_f64 v[10:11], -v[5:6], v[7:8], 1.0
	v_fma_f64 v[7:8], v[7:8], v[10:11], v[7:8]
	v_div_scale_f64 v[10:11], vcc, v[1:2], v[3:4], v[1:2]
	v_fma_f64 v[12:13], -v[5:6], v[7:8], 1.0
	v_fma_f64 v[7:8], v[7:8], v[12:13], v[7:8]
	v_mul_f64 v[12:13], v[10:11], v[7:8]
	v_fma_f64 v[5:6], -v[5:6], v[12:13], v[10:11]
	v_div_fmas_f64 v[5:6], v[5:6], v[7:8], v[12:13]
	v_div_fixup_f64 v[5:6], v[5:6], v[3:4], v[1:2]
	v_fma_f64 v[1:2], v[1:2], v[5:6], v[3:4]
	v_div_scale_f64 v[3:4], s[10:11], v[1:2], v[1:2], 1.0
	v_div_scale_f64 v[12:13], vcc, 1.0, v[1:2], 1.0
	v_rcp_f64_e32 v[7:8], v[3:4]
	v_fma_f64 v[10:11], -v[3:4], v[7:8], 1.0
	v_fma_f64 v[7:8], v[7:8], v[10:11], v[7:8]
	v_fma_f64 v[10:11], -v[3:4], v[7:8], 1.0
	v_fma_f64 v[7:8], v[7:8], v[10:11], v[7:8]
	v_mul_f64 v[10:11], v[12:13], v[7:8]
	v_fma_f64 v[3:4], -v[3:4], v[10:11], v[12:13]
	v_div_fmas_f64 v[3:4], v[3:4], v[7:8], v[10:11]
	v_div_fixup_f64 v[7:8], v[3:4], v[1:2], 1.0
                                        ; implicit-def: $vgpr1_vgpr2
	v_mul_f64 v[5:6], v[5:6], v[7:8]
	v_xor_b32_e32 v8, 0x80000000, v8
.LBB121_47:
	s_andn2_saveexec_b64 s[6:7], s[6:7]
	s_cbranch_execz .LBB121_49
; %bb.48:
	v_div_scale_f64 v[5:6], s[10:11], v[1:2], v[1:2], v[3:4]
	v_rcp_f64_e32 v[7:8], v[5:6]
	v_fma_f64 v[10:11], -v[5:6], v[7:8], 1.0
	v_fma_f64 v[7:8], v[7:8], v[10:11], v[7:8]
	v_div_scale_f64 v[10:11], vcc, v[3:4], v[1:2], v[3:4]
	v_fma_f64 v[12:13], -v[5:6], v[7:8], 1.0
	v_fma_f64 v[7:8], v[7:8], v[12:13], v[7:8]
	v_mul_f64 v[12:13], v[10:11], v[7:8]
	v_fma_f64 v[5:6], -v[5:6], v[12:13], v[10:11]
	v_div_fmas_f64 v[5:6], v[5:6], v[7:8], v[12:13]
	v_div_fixup_f64 v[7:8], v[5:6], v[1:2], v[3:4]
	v_fma_f64 v[1:2], v[3:4], v[7:8], v[1:2]
	v_div_scale_f64 v[3:4], s[10:11], v[1:2], v[1:2], 1.0
	v_div_scale_f64 v[12:13], vcc, 1.0, v[1:2], 1.0
	v_rcp_f64_e32 v[5:6], v[3:4]
	v_fma_f64 v[10:11], -v[3:4], v[5:6], 1.0
	v_fma_f64 v[5:6], v[5:6], v[10:11], v[5:6]
	v_fma_f64 v[10:11], -v[3:4], v[5:6], 1.0
	v_fma_f64 v[5:6], v[5:6], v[10:11], v[5:6]
	v_mul_f64 v[10:11], v[12:13], v[5:6]
	v_fma_f64 v[3:4], -v[3:4], v[10:11], v[12:13]
	v_div_fmas_f64 v[3:4], v[3:4], v[5:6], v[10:11]
	v_div_fixup_f64 v[5:6], v[3:4], v[1:2], 1.0
	v_mul_f64 v[7:8], v[7:8], -v[5:6]
.LBB121_49:
	s_or_b64 exec, exec, s[6:7]
	ds_write2_b64 v125, v[5:6], v[7:8] offset1:1
.LBB121_50:
	s_or_b64 exec, exec, s[8:9]
	buffer_store_dword v18, off, s[0:3], 0 offset:1824 ; 4-byte Folded Spill
	s_nop 0
	buffer_store_dword v19, off, s[0:3], 0 offset:1828 ; 4-byte Folded Spill
	buffer_store_dword v20, off, s[0:3], 0 offset:1832 ; 4-byte Folded Spill
	;; [unrolled: 1-line block ×3, first 2 shown]
	s_waitcnt vmcnt(0) lgkmcnt(0)
	s_barrier
	ds_read2_b64 v[20:23], v125 offset1:1
	v_cmp_lt_u32_e32 vcc, 3, v0
	s_and_saveexec_b64 s[6:7], vcc
	s_cbranch_execz .LBB121_53
; %bb.51:
	buffer_load_dword v1, off, s[0:3], 0 offset:56
	buffer_load_dword v2, off, s[0:3], 0 offset:60
	;; [unrolled: 1-line block ×4, first 2 shown]
	s_mov_b32 s8, 64
	s_waitcnt vmcnt(2) lgkmcnt(0)
	v_mul_f64 v[5:6], v[22:23], v[1:2]
	v_mul_f64 v[7:8], v[20:21], v[1:2]
	s_waitcnt vmcnt(0)
	v_fma_f64 v[1:2], v[20:21], v[3:4], -v[5:6]
	v_fma_f64 v[3:4], v[22:23], v[3:4], v[7:8]
	buffer_store_dword v1, off, s[0:3], 0 offset:48
	buffer_store_dword v2, off, s[0:3], 0 offset:52
	;; [unrolled: 1-line block ×4, first 2 shown]
.LBB121_52:                             ; =>This Inner Loop Header: Depth=1
	v_mov_b32_e32 v18, s8
	buffer_load_dword v10, v18, s[0:3], 0 offen
	buffer_load_dword v11, v18, s[0:3], 0 offen offset:4
	buffer_load_dword v12, v18, s[0:3], 0 offen offset:8
	;; [unrolled: 1-line block ×3, first 2 shown]
	v_add_u32_e32 v17, s8, v117
	ds_read2_b64 v[5:8], v17 offset1:1
	buffer_load_dword v14, v18, s[0:3], 0 offen offset:16
	s_add_i32 s8, s8, 48
	s_cmpk_lg_i32 s8, 0x3d0
	s_waitcnt lgkmcnt(0)
	v_mul_f64 v[15:16], v[7:8], v[3:4]
	v_mul_f64 v[3:4], v[5:6], v[3:4]
	v_fma_f64 v[5:6], v[5:6], v[1:2], -v[15:16]
	v_fma_f64 v[1:2], v[7:8], v[1:2], v[3:4]
	s_waitcnt vmcnt(3)
	v_add_f64 v[3:4], v[10:11], -v[5:6]
	s_waitcnt vmcnt(1)
	v_add_f64 v[1:2], v[12:13], -v[1:2]
	buffer_store_dword v4, v18, s[0:3], 0 offen offset:4
	buffer_store_dword v3, v18, s[0:3], 0 offen
	buffer_store_dword v2, v18, s[0:3], 0 offen offset:12
	buffer_store_dword v1, v18, s[0:3], 0 offen offset:8
	buffer_load_dword v6, off, s[0:3], 0 offset:60
	buffer_load_dword v5, off, s[0:3], 0 offset:56
	;; [unrolled: 1-line block ×4, first 2 shown]
	buffer_load_dword v15, v18, s[0:3], 0 offen offset:20
	buffer_load_dword v10, v18, s[0:3], 0 offen offset:24
	;; [unrolled: 1-line block ×3, first 2 shown]
	ds_read2_b64 v[1:4], v17 offset0:2 offset1:3
	s_waitcnt vmcnt(5) lgkmcnt(0)
	v_mul_f64 v[12:13], v[3:4], v[5:6]
	v_mul_f64 v[5:6], v[1:2], v[5:6]
	s_waitcnt vmcnt(3)
	v_fma_f64 v[1:2], v[1:2], v[7:8], -v[12:13]
	v_fma_f64 v[3:4], v[3:4], v[7:8], v[5:6]
	s_waitcnt vmcnt(2)
	v_add_f64 v[1:2], v[14:15], -v[1:2]
	s_waitcnt vmcnt(0)
	v_add_f64 v[3:4], v[10:11], -v[3:4]
	buffer_store_dword v2, v18, s[0:3], 0 offen offset:20
	buffer_store_dword v1, v18, s[0:3], 0 offen offset:16
	;; [unrolled: 1-line block ×4, first 2 shown]
	buffer_load_dword v3, off, s[0:3], 0 offset:56
	s_nop 0
	buffer_load_dword v4, off, s[0:3], 0 offset:60
	buffer_load_dword v1, off, s[0:3], 0 offset:48
	;; [unrolled: 1-line block ×3, first 2 shown]
	buffer_load_dword v10, v18, s[0:3], 0 offen offset:32
	buffer_load_dword v11, v18, s[0:3], 0 offen offset:36
	;; [unrolled: 1-line block ×4, first 2 shown]
	ds_read2_b64 v[5:8], v17 offset0:4 offset1:5
	s_waitcnt vmcnt(6) lgkmcnt(0)
	v_mul_f64 v[14:15], v[7:8], v[3:4]
	v_mul_f64 v[16:17], v[5:6], v[3:4]
	s_waitcnt vmcnt(4)
	v_fma_f64 v[5:6], v[5:6], v[1:2], -v[14:15]
	v_fma_f64 v[7:8], v[7:8], v[1:2], v[16:17]
	s_waitcnt vmcnt(2)
	v_add_f64 v[5:6], v[10:11], -v[5:6]
	s_waitcnt vmcnt(0)
	v_add_f64 v[7:8], v[12:13], -v[7:8]
	buffer_store_dword v6, v18, s[0:3], 0 offen offset:36
	buffer_store_dword v5, v18, s[0:3], 0 offen offset:32
	;; [unrolled: 1-line block ×4, first 2 shown]
	s_cbranch_scc1 .LBB121_52
.LBB121_53:
	s_or_b64 exec, exec, s[6:7]
	v_cmp_eq_u32_e32 vcc, 4, v0
	s_waitcnt vmcnt(0) lgkmcnt(0)
	s_barrier
	s_and_saveexec_b64 s[8:9], vcc
	s_cbranch_execz .LBB121_62
; %bb.54:
	v_mov_b32_e32 v4, s91
	buffer_load_dword v1, v4, s[0:3], 0 offen
	buffer_load_dword v2, v4, s[0:3], 0 offen offset:4
	buffer_load_dword v3, v4, s[0:3], 0 offen offset:8
	s_nop 0
	buffer_load_dword v4, v4, s[0:3], 0 offen offset:12
	s_movk_i32 s6, 0x50
	s_waitcnt vmcnt(0)
	ds_write2_b64 v125, v[1:2], v[3:4] offset1:1
.LBB121_55:                             ; =>This Inner Loop Header: Depth=1
	v_mov_b32_e32 v18, s6
	buffer_load_dword v1, v18, s[0:3], 0 offen
	buffer_load_dword v2, v18, s[0:3], 0 offen offset:4
	buffer_load_dword v3, v18, s[0:3], 0 offen offset:8
	;; [unrolled: 1-line block ×15, first 2 shown]
	v_add_u32_e32 v19, s6, v117
	s_addk_i32 s6, 0xe0
	s_cmpk_lg_i32 s6, 0x3d0
	s_waitcnt vmcnt(12)
	ds_write2_b64 v19, v[1:2], v[3:4] offset1:1
	s_waitcnt vmcnt(8)
	ds_write2_b64 v19, v[5:6], v[7:8] offset0:2 offset1:3
	s_waitcnt vmcnt(4)
	ds_write2_b64 v19, v[10:11], v[12:13] offset0:4 offset1:5
	;; [unrolled: 2-line block ×3, first 2 shown]
	buffer_load_dword v2, v18, s[0:3], 0 offen offset:76
	buffer_load_dword v1, v18, s[0:3], 0 offen offset:72
	buffer_load_dword v4, v18, s[0:3], 0 offen offset:68
	buffer_load_dword v3, v18, s[0:3], 0 offen offset:64
	s_waitcnt vmcnt(0)
	ds_write2_b64 v19, v[3:4], v[1:2] offset0:8 offset1:9
	buffer_load_dword v2, v18, s[0:3], 0 offen offset:92
	buffer_load_dword v1, v18, s[0:3], 0 offen offset:88
	buffer_load_dword v4, v18, s[0:3], 0 offen offset:84
	buffer_load_dword v3, v18, s[0:3], 0 offen offset:80
	s_waitcnt vmcnt(0)
	ds_write2_b64 v19, v[3:4], v[1:2] offset0:10 offset1:11
	;; [unrolled: 6-line block ×10, first 2 shown]
	s_cbranch_scc1 .LBB121_55
; %bb.56:
	ds_read2_b64 v[1:4], v125 offset1:1
	s_waitcnt lgkmcnt(0)
	v_cmp_neq_f64_e32 vcc, 0, v[1:2]
	v_cmp_neq_f64_e64 s[6:7], 0, v[3:4]
	s_or_b64 s[6:7], vcc, s[6:7]
	s_and_b64 exec, exec, s[6:7]
	s_cbranch_execz .LBB121_62
; %bb.57:
	v_cmp_ngt_f64_e64 s[6:7], |v[1:2]|, |v[3:4]|
                                        ; implicit-def: $vgpr5_vgpr6
	s_and_saveexec_b64 s[10:11], s[6:7]
	s_xor_b64 s[6:7], exec, s[10:11]
                                        ; implicit-def: $vgpr7_vgpr8
	s_cbranch_execz .LBB121_59
; %bb.58:
	v_div_scale_f64 v[5:6], s[10:11], v[3:4], v[3:4], v[1:2]
	v_rcp_f64_e32 v[7:8], v[5:6]
	v_fma_f64 v[10:11], -v[5:6], v[7:8], 1.0
	v_fma_f64 v[7:8], v[7:8], v[10:11], v[7:8]
	v_div_scale_f64 v[10:11], vcc, v[1:2], v[3:4], v[1:2]
	v_fma_f64 v[12:13], -v[5:6], v[7:8], 1.0
	v_fma_f64 v[7:8], v[7:8], v[12:13], v[7:8]
	v_mul_f64 v[12:13], v[10:11], v[7:8]
	v_fma_f64 v[5:6], -v[5:6], v[12:13], v[10:11]
	v_div_fmas_f64 v[5:6], v[5:6], v[7:8], v[12:13]
	v_div_fixup_f64 v[5:6], v[5:6], v[3:4], v[1:2]
	v_fma_f64 v[1:2], v[1:2], v[5:6], v[3:4]
	v_div_scale_f64 v[3:4], s[10:11], v[1:2], v[1:2], 1.0
	v_div_scale_f64 v[12:13], vcc, 1.0, v[1:2], 1.0
	v_rcp_f64_e32 v[7:8], v[3:4]
	v_fma_f64 v[10:11], -v[3:4], v[7:8], 1.0
	v_fma_f64 v[7:8], v[7:8], v[10:11], v[7:8]
	v_fma_f64 v[10:11], -v[3:4], v[7:8], 1.0
	v_fma_f64 v[7:8], v[7:8], v[10:11], v[7:8]
	v_mul_f64 v[10:11], v[12:13], v[7:8]
	v_fma_f64 v[3:4], -v[3:4], v[10:11], v[12:13]
	v_div_fmas_f64 v[3:4], v[3:4], v[7:8], v[10:11]
	v_div_fixup_f64 v[7:8], v[3:4], v[1:2], 1.0
                                        ; implicit-def: $vgpr1_vgpr2
	v_mul_f64 v[5:6], v[5:6], v[7:8]
	v_xor_b32_e32 v8, 0x80000000, v8
.LBB121_59:
	s_andn2_saveexec_b64 s[6:7], s[6:7]
	s_cbranch_execz .LBB121_61
; %bb.60:
	v_div_scale_f64 v[5:6], s[10:11], v[1:2], v[1:2], v[3:4]
	v_rcp_f64_e32 v[7:8], v[5:6]
	v_fma_f64 v[10:11], -v[5:6], v[7:8], 1.0
	v_fma_f64 v[7:8], v[7:8], v[10:11], v[7:8]
	v_div_scale_f64 v[10:11], vcc, v[3:4], v[1:2], v[3:4]
	v_fma_f64 v[12:13], -v[5:6], v[7:8], 1.0
	v_fma_f64 v[7:8], v[7:8], v[12:13], v[7:8]
	v_mul_f64 v[12:13], v[10:11], v[7:8]
	v_fma_f64 v[5:6], -v[5:6], v[12:13], v[10:11]
	v_div_fmas_f64 v[5:6], v[5:6], v[7:8], v[12:13]
	v_div_fixup_f64 v[7:8], v[5:6], v[1:2], v[3:4]
	v_fma_f64 v[1:2], v[3:4], v[7:8], v[1:2]
	v_div_scale_f64 v[3:4], s[10:11], v[1:2], v[1:2], 1.0
	v_div_scale_f64 v[12:13], vcc, 1.0, v[1:2], 1.0
	v_rcp_f64_e32 v[5:6], v[3:4]
	v_fma_f64 v[10:11], -v[3:4], v[5:6], 1.0
	v_fma_f64 v[5:6], v[5:6], v[10:11], v[5:6]
	v_fma_f64 v[10:11], -v[3:4], v[5:6], 1.0
	v_fma_f64 v[5:6], v[5:6], v[10:11], v[5:6]
	v_mul_f64 v[10:11], v[12:13], v[5:6]
	v_fma_f64 v[3:4], -v[3:4], v[10:11], v[12:13]
	v_div_fmas_f64 v[3:4], v[3:4], v[5:6], v[10:11]
	v_div_fixup_f64 v[5:6], v[3:4], v[1:2], 1.0
	v_mul_f64 v[7:8], v[7:8], -v[5:6]
.LBB121_61:
	s_or_b64 exec, exec, s[6:7]
	ds_write2_b64 v125, v[5:6], v[7:8] offset1:1
.LBB121_62:
	s_or_b64 exec, exec, s[8:9]
	buffer_store_dword v20, off, s[0:3], 0 offset:1840 ; 4-byte Folded Spill
	s_nop 0
	buffer_store_dword v21, off, s[0:3], 0 offset:1844 ; 4-byte Folded Spill
	buffer_store_dword v22, off, s[0:3], 0 offset:1848 ; 4-byte Folded Spill
	buffer_store_dword v23, off, s[0:3], 0 offset:1852 ; 4-byte Folded Spill
	s_waitcnt vmcnt(0) lgkmcnt(0)
	s_barrier
	ds_read2_b64 v[1:4], v125 offset1:1
	v_cmp_lt_u32_e32 vcc, 4, v0
	s_waitcnt lgkmcnt(0)
	buffer_store_dword v1, off, s[0:3], 0 offset:1472 ; 4-byte Folded Spill
	s_nop 0
	buffer_store_dword v2, off, s[0:3], 0 offset:1476 ; 4-byte Folded Spill
	buffer_store_dword v3, off, s[0:3], 0 offset:1480 ; 4-byte Folded Spill
	;; [unrolled: 1-line block ×3, first 2 shown]
	s_and_saveexec_b64 s[6:7], vcc
	s_cbranch_execz .LBB121_65
; %bb.63:
	buffer_load_dword v1, off, s[0:3], 0 offset:72
	buffer_load_dword v2, off, s[0:3], 0 offset:76
	;; [unrolled: 1-line block ×4, first 2 shown]
	buffer_load_dword v10, off, s[0:3], 0 offset:1472 ; 4-byte Folded Reload
	buffer_load_dword v11, off, s[0:3], 0 offset:1476 ; 4-byte Folded Reload
	;; [unrolled: 1-line block ×4, first 2 shown]
	s_movk_i32 s8, 0x50
	s_waitcnt vmcnt(2)
	v_mul_f64 v[7:8], v[10:11], v[1:2]
	s_waitcnt vmcnt(0)
	v_mul_f64 v[5:6], v[12:13], v[1:2]
	v_fma_f64 v[1:2], v[10:11], v[3:4], -v[5:6]
	v_fma_f64 v[3:4], v[12:13], v[3:4], v[7:8]
	buffer_store_dword v1, off, s[0:3], 0 offset:64
	buffer_store_dword v2, off, s[0:3], 0 offset:68
	;; [unrolled: 1-line block ×4, first 2 shown]
.LBB121_64:                             ; =>This Inner Loop Header: Depth=1
	v_add_u32_e32 v6, s8, v117
	ds_read2_b64 v[10:13], v6 offset1:1
	v_mov_b32_e32 v5, s8
	s_addk_i32 s8, 0x70
	s_cmpk_lg_i32 s8, 0x3d0
	s_waitcnt lgkmcnt(0)
	v_mul_f64 v[7:8], v[12:13], v[3:4]
	v_mul_f64 v[3:4], v[10:11], v[3:4]
	v_fma_f64 v[7:8], v[10:11], v[1:2], -v[7:8]
	v_fma_f64 v[1:2], v[12:13], v[1:2], v[3:4]
	buffer_load_dword v3, v5, s[0:3], 0 offen
	buffer_load_dword v4, v5, s[0:3], 0 offen offset:4
	buffer_load_dword v10, v5, s[0:3], 0 offen offset:8
	;; [unrolled: 1-line block ×11, first 2 shown]
	s_waitcnt vmcnt(10)
	v_add_f64 v[3:4], v[3:4], -v[7:8]
	s_waitcnt vmcnt(8)
	v_add_f64 v[1:2], v[10:11], -v[1:2]
	buffer_store_dword v4, v5, s[0:3], 0 offen offset:4
	buffer_store_dword v3, v5, s[0:3], 0 offen
	buffer_store_dword v2, v5, s[0:3], 0 offen offset:12
	buffer_store_dword v1, v5, s[0:3], 0 offen offset:8
	ds_read2_b64 v[1:4], v6 offset0:2 offset1:3
	buffer_load_dword v8, off, s[0:3], 0 offset:68
	buffer_load_dword v7, off, s[0:3], 0 offset:64
	;; [unrolled: 1-line block ×4, first 2 shown]
	s_waitcnt vmcnt(0) lgkmcnt(0)
	v_mul_f64 v[20:21], v[3:4], v[10:11]
	v_fma_f64 v[20:21], v[1:2], v[7:8], -v[20:21]
	v_mul_f64 v[1:2], v[1:2], v[10:11]
	v_fma_f64 v[1:2], v[3:4], v[7:8], v[1:2]
	v_add_f64 v[3:4], v[12:13], -v[20:21]
	v_add_f64 v[1:2], v[14:15], -v[1:2]
	buffer_store_dword v4, v5, s[0:3], 0 offen offset:20
	buffer_store_dword v3, v5, s[0:3], 0 offen offset:16
	;; [unrolled: 1-line block ×4, first 2 shown]
	ds_read2_b64 v[1:4], v6 offset0:4 offset1:5
	buffer_load_dword v7, off, s[0:3], 0 offset:64
	buffer_load_dword v8, off, s[0:3], 0 offset:68
	;; [unrolled: 1-line block ×4, first 2 shown]
	s_waitcnt vmcnt(0) lgkmcnt(0)
	v_mul_f64 v[12:13], v[3:4], v[10:11]
	v_fma_f64 v[12:13], v[1:2], v[7:8], -v[12:13]
	v_mul_f64 v[1:2], v[1:2], v[10:11]
	v_fma_f64 v[1:2], v[3:4], v[7:8], v[1:2]
	v_add_f64 v[3:4], v[16:17], -v[12:13]
	v_add_f64 v[1:2], v[18:19], -v[1:2]
	buffer_store_dword v4, v5, s[0:3], 0 offen offset:36
	buffer_store_dword v3, v5, s[0:3], 0 offen offset:32
	;; [unrolled: 1-line block ×4, first 2 shown]
	ds_read2_b64 v[10:13], v6 offset0:6 offset1:7
	buffer_load_dword v1, off, s[0:3], 0 offset:64
	buffer_load_dword v2, off, s[0:3], 0 offset:68
	;; [unrolled: 1-line block ×4, first 2 shown]
	s_waitcnt vmcnt(0) lgkmcnt(0)
	v_mul_f64 v[7:8], v[12:13], v[3:4]
	v_fma_f64 v[7:8], v[10:11], v[1:2], -v[7:8]
	v_mul_f64 v[10:11], v[10:11], v[3:4]
	v_fma_f64 v[10:11], v[12:13], v[1:2], v[10:11]
	buffer_load_dword v12, v5, s[0:3], 0 offen offset:48
	buffer_load_dword v13, v5, s[0:3], 0 offen offset:52
	buffer_load_dword v14, v5, s[0:3], 0 offen offset:56
	buffer_load_dword v15, v5, s[0:3], 0 offen offset:60
	s_waitcnt vmcnt(2)
	v_add_f64 v[7:8], v[12:13], -v[7:8]
	s_waitcnt vmcnt(0)
	v_add_f64 v[10:11], v[14:15], -v[10:11]
	buffer_store_dword v8, v5, s[0:3], 0 offen offset:52
	buffer_store_dword v7, v5, s[0:3], 0 offen offset:48
	buffer_store_dword v11, v5, s[0:3], 0 offen offset:60
	buffer_store_dword v10, v5, s[0:3], 0 offen offset:56
	ds_read2_b64 v[10:13], v6 offset0:8 offset1:9
	s_waitcnt lgkmcnt(0)
	v_mul_f64 v[7:8], v[12:13], v[3:4]
	v_fma_f64 v[7:8], v[10:11], v[1:2], -v[7:8]
	v_mul_f64 v[10:11], v[10:11], v[3:4]
	v_fma_f64 v[10:11], v[12:13], v[1:2], v[10:11]
	buffer_load_dword v12, v5, s[0:3], 0 offen offset:64
	buffer_load_dword v13, v5, s[0:3], 0 offen offset:68
	buffer_load_dword v14, v5, s[0:3], 0 offen offset:72
	buffer_load_dword v15, v5, s[0:3], 0 offen offset:76
	s_waitcnt vmcnt(2)
	v_add_f64 v[7:8], v[12:13], -v[7:8]
	s_waitcnt vmcnt(0)
	v_add_f64 v[10:11], v[14:15], -v[10:11]
	buffer_store_dword v8, v5, s[0:3], 0 offen offset:68
	buffer_store_dword v7, v5, s[0:3], 0 offen offset:64
	buffer_store_dword v11, v5, s[0:3], 0 offen offset:76
	buffer_store_dword v10, v5, s[0:3], 0 offen offset:72
	ds_read2_b64 v[10:13], v6 offset0:10 offset1:11
	s_waitcnt lgkmcnt(0)
	;; [unrolled: 18-line block ×3, first 2 shown]
	v_mul_f64 v[6:7], v[12:13], v[3:4]
	v_fma_f64 v[6:7], v[10:11], v[1:2], -v[6:7]
	v_mul_f64 v[10:11], v[10:11], v[3:4]
	v_fma_f64 v[10:11], v[12:13], v[1:2], v[10:11]
	buffer_load_dword v12, v5, s[0:3], 0 offen offset:96
	buffer_load_dword v13, v5, s[0:3], 0 offen offset:100
	buffer_load_dword v14, v5, s[0:3], 0 offen offset:104
	buffer_load_dword v15, v5, s[0:3], 0 offen offset:108
	s_waitcnt vmcnt(2)
	v_add_f64 v[6:7], v[12:13], -v[6:7]
	s_waitcnt vmcnt(0)
	v_add_f64 v[10:11], v[14:15], -v[10:11]
	buffer_store_dword v7, v5, s[0:3], 0 offen offset:100
	buffer_store_dword v6, v5, s[0:3], 0 offen offset:96
	;; [unrolled: 1-line block ×4, first 2 shown]
	s_cbranch_scc1 .LBB121_64
.LBB121_65:
	s_or_b64 exec, exec, s[6:7]
	v_cmp_eq_u32_e32 vcc, 5, v0
	s_waitcnt vmcnt(0)
	s_barrier
	s_and_saveexec_b64 s[8:9], vcc
	s_cbranch_execz .LBB121_74
; %bb.66:
	v_mov_b32_e32 v4, s90
	buffer_load_dword v1, v4, s[0:3], 0 offen
	buffer_load_dword v2, v4, s[0:3], 0 offen offset:4
	buffer_load_dword v3, v4, s[0:3], 0 offen offset:8
	s_nop 0
	buffer_load_dword v4, v4, s[0:3], 0 offen offset:12
	s_movk_i32 s6, 0x60
	s_waitcnt vmcnt(0)
	ds_write2_b64 v125, v[1:2], v[3:4] offset1:1
.LBB121_67:                             ; =>This Inner Loop Header: Depth=1
	v_mov_b32_e32 v18, s6
	buffer_load_dword v1, v18, s[0:3], 0 offen
	buffer_load_dword v2, v18, s[0:3], 0 offen offset:4
	buffer_load_dword v3, v18, s[0:3], 0 offen offset:8
	buffer_load_dword v4, v18, s[0:3], 0 offen offset:12
	buffer_load_dword v5, v18, s[0:3], 0 offen offset:16
	buffer_load_dword v6, v18, s[0:3], 0 offen offset:20
	buffer_load_dword v7, v18, s[0:3], 0 offen offset:24
	buffer_load_dword v8, v18, s[0:3], 0 offen offset:28
	buffer_load_dword v10, v18, s[0:3], 0 offen offset:32
	buffer_load_dword v11, v18, s[0:3], 0 offen offset:36
	buffer_load_dword v12, v18, s[0:3], 0 offen offset:40
	buffer_load_dword v13, v18, s[0:3], 0 offen offset:44
	buffer_load_dword v14, v18, s[0:3], 0 offen offset:48
	buffer_load_dword v15, v18, s[0:3], 0 offen offset:52
	buffer_load_dword v16, v18, s[0:3], 0 offen offset:56
	buffer_load_dword v17, v18, s[0:3], 0 offen offset:60
	v_add_u32_e32 v19, s6, v117
	s_addk_i32 s6, 0xb0
	s_cmpk_lg_i32 s6, 0x3d0
	s_waitcnt vmcnt(12)
	ds_write2_b64 v19, v[1:2], v[3:4] offset1:1
	s_waitcnt vmcnt(8)
	ds_write2_b64 v19, v[5:6], v[7:8] offset0:2 offset1:3
	s_waitcnt vmcnt(4)
	ds_write2_b64 v19, v[10:11], v[12:13] offset0:4 offset1:5
	;; [unrolled: 2-line block ×3, first 2 shown]
	buffer_load_dword v2, v18, s[0:3], 0 offen offset:76
	buffer_load_dword v1, v18, s[0:3], 0 offen offset:72
	buffer_load_dword v4, v18, s[0:3], 0 offen offset:68
	buffer_load_dword v3, v18, s[0:3], 0 offen offset:64
	s_waitcnt vmcnt(0)
	ds_write2_b64 v19, v[3:4], v[1:2] offset0:8 offset1:9
	buffer_load_dword v2, v18, s[0:3], 0 offen offset:92
	buffer_load_dword v1, v18, s[0:3], 0 offen offset:88
	buffer_load_dword v4, v18, s[0:3], 0 offen offset:84
	buffer_load_dword v3, v18, s[0:3], 0 offen offset:80
	s_waitcnt vmcnt(0)
	ds_write2_b64 v19, v[3:4], v[1:2] offset0:10 offset1:11
	;; [unrolled: 6-line block ×7, first 2 shown]
	s_cbranch_scc1 .LBB121_67
; %bb.68:
	ds_read2_b64 v[1:4], v125 offset1:1
	s_waitcnt lgkmcnt(0)
	v_cmp_neq_f64_e32 vcc, 0, v[1:2]
	v_cmp_neq_f64_e64 s[6:7], 0, v[3:4]
	s_or_b64 s[6:7], vcc, s[6:7]
	s_and_b64 exec, exec, s[6:7]
	s_cbranch_execz .LBB121_74
; %bb.69:
	v_cmp_ngt_f64_e64 s[6:7], |v[1:2]|, |v[3:4]|
                                        ; implicit-def: $vgpr5_vgpr6
	s_and_saveexec_b64 s[10:11], s[6:7]
	s_xor_b64 s[6:7], exec, s[10:11]
                                        ; implicit-def: $vgpr7_vgpr8
	s_cbranch_execz .LBB121_71
; %bb.70:
	v_div_scale_f64 v[5:6], s[10:11], v[3:4], v[3:4], v[1:2]
	v_rcp_f64_e32 v[7:8], v[5:6]
	v_fma_f64 v[10:11], -v[5:6], v[7:8], 1.0
	v_fma_f64 v[7:8], v[7:8], v[10:11], v[7:8]
	v_div_scale_f64 v[10:11], vcc, v[1:2], v[3:4], v[1:2]
	v_fma_f64 v[12:13], -v[5:6], v[7:8], 1.0
	v_fma_f64 v[7:8], v[7:8], v[12:13], v[7:8]
	v_mul_f64 v[12:13], v[10:11], v[7:8]
	v_fma_f64 v[5:6], -v[5:6], v[12:13], v[10:11]
	v_div_fmas_f64 v[5:6], v[5:6], v[7:8], v[12:13]
	v_div_fixup_f64 v[5:6], v[5:6], v[3:4], v[1:2]
	v_fma_f64 v[1:2], v[1:2], v[5:6], v[3:4]
	v_div_scale_f64 v[3:4], s[10:11], v[1:2], v[1:2], 1.0
	v_div_scale_f64 v[12:13], vcc, 1.0, v[1:2], 1.0
	v_rcp_f64_e32 v[7:8], v[3:4]
	v_fma_f64 v[10:11], -v[3:4], v[7:8], 1.0
	v_fma_f64 v[7:8], v[7:8], v[10:11], v[7:8]
	v_fma_f64 v[10:11], -v[3:4], v[7:8], 1.0
	v_fma_f64 v[7:8], v[7:8], v[10:11], v[7:8]
	v_mul_f64 v[10:11], v[12:13], v[7:8]
	v_fma_f64 v[3:4], -v[3:4], v[10:11], v[12:13]
	v_div_fmas_f64 v[3:4], v[3:4], v[7:8], v[10:11]
	v_div_fixup_f64 v[7:8], v[3:4], v[1:2], 1.0
                                        ; implicit-def: $vgpr1_vgpr2
	v_mul_f64 v[5:6], v[5:6], v[7:8]
	v_xor_b32_e32 v8, 0x80000000, v8
.LBB121_71:
	s_andn2_saveexec_b64 s[6:7], s[6:7]
	s_cbranch_execz .LBB121_73
; %bb.72:
	v_div_scale_f64 v[5:6], s[10:11], v[1:2], v[1:2], v[3:4]
	v_rcp_f64_e32 v[7:8], v[5:6]
	v_fma_f64 v[10:11], -v[5:6], v[7:8], 1.0
	v_fma_f64 v[7:8], v[7:8], v[10:11], v[7:8]
	v_div_scale_f64 v[10:11], vcc, v[3:4], v[1:2], v[3:4]
	v_fma_f64 v[12:13], -v[5:6], v[7:8], 1.0
	v_fma_f64 v[7:8], v[7:8], v[12:13], v[7:8]
	v_mul_f64 v[12:13], v[10:11], v[7:8]
	v_fma_f64 v[5:6], -v[5:6], v[12:13], v[10:11]
	v_div_fmas_f64 v[5:6], v[5:6], v[7:8], v[12:13]
	v_div_fixup_f64 v[7:8], v[5:6], v[1:2], v[3:4]
	v_fma_f64 v[1:2], v[3:4], v[7:8], v[1:2]
	v_div_scale_f64 v[3:4], s[10:11], v[1:2], v[1:2], 1.0
	v_div_scale_f64 v[12:13], vcc, 1.0, v[1:2], 1.0
	v_rcp_f64_e32 v[5:6], v[3:4]
	v_fma_f64 v[10:11], -v[3:4], v[5:6], 1.0
	v_fma_f64 v[5:6], v[5:6], v[10:11], v[5:6]
	v_fma_f64 v[10:11], -v[3:4], v[5:6], 1.0
	v_fma_f64 v[5:6], v[5:6], v[10:11], v[5:6]
	v_mul_f64 v[10:11], v[12:13], v[5:6]
	v_fma_f64 v[3:4], -v[3:4], v[10:11], v[12:13]
	v_div_fmas_f64 v[3:4], v[3:4], v[5:6], v[10:11]
	v_div_fixup_f64 v[5:6], v[3:4], v[1:2], 1.0
	v_mul_f64 v[7:8], v[7:8], -v[5:6]
.LBB121_73:
	s_or_b64 exec, exec, s[6:7]
	ds_write2_b64 v125, v[5:6], v[7:8] offset1:1
.LBB121_74:
	s_or_b64 exec, exec, s[8:9]
	s_waitcnt lgkmcnt(0)
	s_barrier
	ds_read2_b64 v[1:4], v125 offset1:1
	v_cmp_lt_u32_e32 vcc, 5, v0
	s_waitcnt lgkmcnt(0)
	buffer_store_dword v1, off, s[0:3], 0 offset:1488 ; 4-byte Folded Spill
	s_nop 0
	buffer_store_dword v2, off, s[0:3], 0 offset:1492 ; 4-byte Folded Spill
	buffer_store_dword v3, off, s[0:3], 0 offset:1496 ; 4-byte Folded Spill
	;; [unrolled: 1-line block ×3, first 2 shown]
	s_and_saveexec_b64 s[6:7], vcc
	s_cbranch_execz .LBB121_77
; %bb.75:
	buffer_load_dword v1, off, s[0:3], 0 offset:88
	buffer_load_dword v2, off, s[0:3], 0 offset:92
	;; [unrolled: 1-line block ×4, first 2 shown]
	buffer_load_dword v10, off, s[0:3], 0 offset:1488 ; 4-byte Folded Reload
	buffer_load_dword v11, off, s[0:3], 0 offset:1492 ; 4-byte Folded Reload
	;; [unrolled: 1-line block ×4, first 2 shown]
	s_movk_i32 s8, 0x60
	s_waitcnt vmcnt(2)
	v_mul_f64 v[7:8], v[10:11], v[1:2]
	s_waitcnt vmcnt(0)
	v_mul_f64 v[5:6], v[12:13], v[1:2]
	v_fma_f64 v[1:2], v[10:11], v[3:4], -v[5:6]
	v_fma_f64 v[3:4], v[12:13], v[3:4], v[7:8]
	buffer_store_dword v1, off, s[0:3], 0 offset:80
	buffer_store_dword v2, off, s[0:3], 0 offset:84
	;; [unrolled: 1-line block ×4, first 2 shown]
.LBB121_76:                             ; =>This Inner Loop Header: Depth=1
	v_mov_b32_e32 v5, s8
	buffer_load_dword v7, v5, s[0:3], 0 offen
	buffer_load_dword v8, v5, s[0:3], 0 offen offset:4
	buffer_load_dword v14, v5, s[0:3], 0 offen offset:8
	buffer_load_dword v15, v5, s[0:3], 0 offen offset:12
	v_add_u32_e32 v6, s8, v117
	ds_read2_b64 v[10:13], v6 offset1:1
	buffer_load_dword v16, v5, s[0:3], 0 offen offset:16
	buffer_load_dword v17, v5, s[0:3], 0 offen offset:20
	;; [unrolled: 1-line block ×3, first 2 shown]
	s_addk_i32 s8, 0x50
	s_cmpk_lg_i32 s8, 0x3d0
	s_waitcnt lgkmcnt(0)
	v_mul_f64 v[19:20], v[12:13], v[3:4]
	v_mul_f64 v[3:4], v[10:11], v[3:4]
	v_fma_f64 v[10:11], v[10:11], v[1:2], -v[19:20]
	v_fma_f64 v[1:2], v[12:13], v[1:2], v[3:4]
	s_waitcnt vmcnt(5)
	v_add_f64 v[3:4], v[7:8], -v[10:11]
	s_waitcnt vmcnt(3)
	v_add_f64 v[1:2], v[14:15], -v[1:2]
	buffer_store_dword v4, v5, s[0:3], 0 offen offset:4
	buffer_store_dword v3, v5, s[0:3], 0 offen
	buffer_store_dword v2, v5, s[0:3], 0 offen offset:12
	buffer_store_dword v1, v5, s[0:3], 0 offen offset:8
	buffer_load_dword v8, off, s[0:3], 0 offset:92
	buffer_load_dword v7, off, s[0:3], 0 offset:88
	;; [unrolled: 1-line block ×4, first 2 shown]
	buffer_load_dword v19, v5, s[0:3], 0 offen offset:28
	ds_read2_b64 v[1:4], v6 offset0:2 offset1:3
	buffer_load_dword v12, v5, s[0:3], 0 offen offset:32
	buffer_load_dword v13, v5, s[0:3], 0 offen offset:36
	;; [unrolled: 1-line block ×3, first 2 shown]
	s_waitcnt vmcnt(6) lgkmcnt(0)
	v_mul_f64 v[20:21], v[3:4], v[7:8]
	v_mul_f64 v[7:8], v[1:2], v[7:8]
	s_waitcnt vmcnt(4)
	v_fma_f64 v[1:2], v[1:2], v[10:11], -v[20:21]
	v_fma_f64 v[3:4], v[3:4], v[10:11], v[7:8]
	v_add_f64 v[1:2], v[16:17], -v[1:2]
	s_waitcnt vmcnt(3)
	v_add_f64 v[3:4], v[18:19], -v[3:4]
	buffer_store_dword v2, v5, s[0:3], 0 offen offset:20
	buffer_store_dword v1, v5, s[0:3], 0 offen offset:16
	buffer_store_dword v4, v5, s[0:3], 0 offen offset:28
	buffer_store_dword v3, v5, s[0:3], 0 offen offset:24
	buffer_load_dword v7, off, s[0:3], 0 offset:88
	buffer_load_dword v8, off, s[0:3], 0 offset:92
	;; [unrolled: 1-line block ×4, first 2 shown]
	buffer_load_dword v15, v5, s[0:3], 0 offen offset:44
	ds_read2_b64 v[1:4], v6 offset0:4 offset1:5
	buffer_load_dword v16, v5, s[0:3], 0 offen offset:48
	s_waitcnt vmcnt(4) lgkmcnt(0)
	v_mul_f64 v[17:18], v[3:4], v[7:8]
	v_mul_f64 v[7:8], v[1:2], v[7:8]
	s_waitcnt vmcnt(2)
	v_fma_f64 v[1:2], v[1:2], v[10:11], -v[17:18]
	v_fma_f64 v[3:4], v[3:4], v[10:11], v[7:8]
	v_add_f64 v[1:2], v[12:13], -v[1:2]
	s_waitcnt vmcnt(1)
	v_add_f64 v[3:4], v[14:15], -v[3:4]
	buffer_store_dword v2, v5, s[0:3], 0 offen offset:36
	buffer_store_dword v1, v5, s[0:3], 0 offen offset:32
	;; [unrolled: 1-line block ×4, first 2 shown]
	buffer_load_dword v7, off, s[0:3], 0 offset:88
	buffer_load_dword v8, off, s[0:3], 0 offset:92
	;; [unrolled: 1-line block ×4, first 2 shown]
	buffer_load_dword v17, v5, s[0:3], 0 offen offset:52
	buffer_load_dword v12, v5, s[0:3], 0 offen offset:56
	;; [unrolled: 1-line block ×3, first 2 shown]
	ds_read2_b64 v[1:4], v6 offset0:6 offset1:7
	s_waitcnt vmcnt(5) lgkmcnt(0)
	v_mul_f64 v[14:15], v[3:4], v[7:8]
	v_mul_f64 v[7:8], v[1:2], v[7:8]
	s_waitcnt vmcnt(3)
	v_fma_f64 v[1:2], v[1:2], v[10:11], -v[14:15]
	v_fma_f64 v[3:4], v[3:4], v[10:11], v[7:8]
	s_waitcnt vmcnt(2)
	v_add_f64 v[1:2], v[16:17], -v[1:2]
	s_waitcnt vmcnt(0)
	v_add_f64 v[3:4], v[12:13], -v[3:4]
	buffer_store_dword v2, v5, s[0:3], 0 offen offset:52
	buffer_store_dword v1, v5, s[0:3], 0 offen offset:48
	;; [unrolled: 1-line block ×4, first 2 shown]
	buffer_load_dword v3, off, s[0:3], 0 offset:88
	s_nop 0
	buffer_load_dword v4, off, s[0:3], 0 offset:92
	buffer_load_dword v1, off, s[0:3], 0 offset:80
	;; [unrolled: 1-line block ×3, first 2 shown]
	buffer_load_dword v7, v5, s[0:3], 0 offen offset:64
	buffer_load_dword v8, v5, s[0:3], 0 offen offset:68
	;; [unrolled: 1-line block ×4, first 2 shown]
	ds_read2_b64 v[10:13], v6 offset0:8 offset1:9
	s_waitcnt vmcnt(6) lgkmcnt(0)
	v_mul_f64 v[16:17], v[12:13], v[3:4]
	v_mul_f64 v[18:19], v[10:11], v[3:4]
	s_waitcnt vmcnt(4)
	v_fma_f64 v[10:11], v[10:11], v[1:2], -v[16:17]
	v_fma_f64 v[12:13], v[12:13], v[1:2], v[18:19]
	s_waitcnt vmcnt(2)
	v_add_f64 v[6:7], v[7:8], -v[10:11]
	s_waitcnt vmcnt(0)
	v_add_f64 v[10:11], v[14:15], -v[12:13]
	buffer_store_dword v7, v5, s[0:3], 0 offen offset:68
	buffer_store_dword v6, v5, s[0:3], 0 offen offset:64
	buffer_store_dword v11, v5, s[0:3], 0 offen offset:76
	buffer_store_dword v10, v5, s[0:3], 0 offen offset:72
	s_cbranch_scc1 .LBB121_76
.LBB121_77:
	s_or_b64 exec, exec, s[6:7]
	v_cmp_eq_u32_e32 vcc, 6, v0
	s_waitcnt vmcnt(0)
	s_barrier
	s_and_saveexec_b64 s[8:9], vcc
	s_cbranch_execz .LBB121_86
; %bb.78:
	v_mov_b32_e32 v4, s89
	buffer_load_dword v1, v4, s[0:3], 0 offen
	buffer_load_dword v2, v4, s[0:3], 0 offen offset:4
	buffer_load_dword v3, v4, s[0:3], 0 offen offset:8
	s_nop 0
	buffer_load_dword v4, v4, s[0:3], 0 offen offset:12
	s_movk_i32 s6, 0x70
	s_waitcnt vmcnt(0)
	ds_write2_b64 v125, v[1:2], v[3:4] offset1:1
.LBB121_79:                             ; =>This Inner Loop Header: Depth=1
	v_mov_b32_e32 v18, s6
	buffer_load_dword v1, v18, s[0:3], 0 offen
	buffer_load_dword v2, v18, s[0:3], 0 offen offset:4
	buffer_load_dword v3, v18, s[0:3], 0 offen offset:8
	;; [unrolled: 1-line block ×15, first 2 shown]
	v_add_u32_e32 v19, s6, v117
	s_addk_i32 s6, 0x120
	s_cmpk_lg_i32 s6, 0x3d0
	s_waitcnt vmcnt(12)
	ds_write2_b64 v19, v[1:2], v[3:4] offset1:1
	s_waitcnt vmcnt(8)
	ds_write2_b64 v19, v[5:6], v[7:8] offset0:2 offset1:3
	s_waitcnt vmcnt(4)
	ds_write2_b64 v19, v[10:11], v[12:13] offset0:4 offset1:5
	;; [unrolled: 2-line block ×3, first 2 shown]
	buffer_load_dword v2, v18, s[0:3], 0 offen offset:76
	buffer_load_dword v1, v18, s[0:3], 0 offen offset:72
	buffer_load_dword v4, v18, s[0:3], 0 offen offset:68
	buffer_load_dword v3, v18, s[0:3], 0 offen offset:64
	s_waitcnt vmcnt(0)
	ds_write2_b64 v19, v[3:4], v[1:2] offset0:8 offset1:9
	buffer_load_dword v2, v18, s[0:3], 0 offen offset:92
	buffer_load_dword v1, v18, s[0:3], 0 offen offset:88
	buffer_load_dword v4, v18, s[0:3], 0 offen offset:84
	buffer_load_dword v3, v18, s[0:3], 0 offen offset:80
	s_waitcnt vmcnt(0)
	ds_write2_b64 v19, v[3:4], v[1:2] offset0:10 offset1:11
	;; [unrolled: 6-line block ×14, first 2 shown]
	s_cbranch_scc1 .LBB121_79
; %bb.80:
	ds_read2_b64 v[1:4], v125 offset1:1
	s_waitcnt lgkmcnt(0)
	v_cmp_neq_f64_e32 vcc, 0, v[1:2]
	v_cmp_neq_f64_e64 s[6:7], 0, v[3:4]
	s_or_b64 s[6:7], vcc, s[6:7]
	s_and_b64 exec, exec, s[6:7]
	s_cbranch_execz .LBB121_86
; %bb.81:
	v_cmp_ngt_f64_e64 s[6:7], |v[1:2]|, |v[3:4]|
                                        ; implicit-def: $vgpr5_vgpr6
	s_and_saveexec_b64 s[10:11], s[6:7]
	s_xor_b64 s[6:7], exec, s[10:11]
                                        ; implicit-def: $vgpr7_vgpr8
	s_cbranch_execz .LBB121_83
; %bb.82:
	v_div_scale_f64 v[5:6], s[10:11], v[3:4], v[3:4], v[1:2]
	v_rcp_f64_e32 v[7:8], v[5:6]
	v_fma_f64 v[10:11], -v[5:6], v[7:8], 1.0
	v_fma_f64 v[7:8], v[7:8], v[10:11], v[7:8]
	v_div_scale_f64 v[10:11], vcc, v[1:2], v[3:4], v[1:2]
	v_fma_f64 v[12:13], -v[5:6], v[7:8], 1.0
	v_fma_f64 v[7:8], v[7:8], v[12:13], v[7:8]
	v_mul_f64 v[12:13], v[10:11], v[7:8]
	v_fma_f64 v[5:6], -v[5:6], v[12:13], v[10:11]
	v_div_fmas_f64 v[5:6], v[5:6], v[7:8], v[12:13]
	v_div_fixup_f64 v[5:6], v[5:6], v[3:4], v[1:2]
	v_fma_f64 v[1:2], v[1:2], v[5:6], v[3:4]
	v_div_scale_f64 v[3:4], s[10:11], v[1:2], v[1:2], 1.0
	v_div_scale_f64 v[12:13], vcc, 1.0, v[1:2], 1.0
	v_rcp_f64_e32 v[7:8], v[3:4]
	v_fma_f64 v[10:11], -v[3:4], v[7:8], 1.0
	v_fma_f64 v[7:8], v[7:8], v[10:11], v[7:8]
	v_fma_f64 v[10:11], -v[3:4], v[7:8], 1.0
	v_fma_f64 v[7:8], v[7:8], v[10:11], v[7:8]
	v_mul_f64 v[10:11], v[12:13], v[7:8]
	v_fma_f64 v[3:4], -v[3:4], v[10:11], v[12:13]
	v_div_fmas_f64 v[3:4], v[3:4], v[7:8], v[10:11]
	v_div_fixup_f64 v[7:8], v[3:4], v[1:2], 1.0
                                        ; implicit-def: $vgpr1_vgpr2
	v_mul_f64 v[5:6], v[5:6], v[7:8]
	v_xor_b32_e32 v8, 0x80000000, v8
.LBB121_83:
	s_andn2_saveexec_b64 s[6:7], s[6:7]
	s_cbranch_execz .LBB121_85
; %bb.84:
	v_div_scale_f64 v[5:6], s[10:11], v[1:2], v[1:2], v[3:4]
	v_rcp_f64_e32 v[7:8], v[5:6]
	v_fma_f64 v[10:11], -v[5:6], v[7:8], 1.0
	v_fma_f64 v[7:8], v[7:8], v[10:11], v[7:8]
	v_div_scale_f64 v[10:11], vcc, v[3:4], v[1:2], v[3:4]
	v_fma_f64 v[12:13], -v[5:6], v[7:8], 1.0
	v_fma_f64 v[7:8], v[7:8], v[12:13], v[7:8]
	v_mul_f64 v[12:13], v[10:11], v[7:8]
	v_fma_f64 v[5:6], -v[5:6], v[12:13], v[10:11]
	v_div_fmas_f64 v[5:6], v[5:6], v[7:8], v[12:13]
	v_div_fixup_f64 v[7:8], v[5:6], v[1:2], v[3:4]
	v_fma_f64 v[1:2], v[3:4], v[7:8], v[1:2]
	v_div_scale_f64 v[3:4], s[10:11], v[1:2], v[1:2], 1.0
	v_div_scale_f64 v[12:13], vcc, 1.0, v[1:2], 1.0
	v_rcp_f64_e32 v[5:6], v[3:4]
	v_fma_f64 v[10:11], -v[3:4], v[5:6], 1.0
	v_fma_f64 v[5:6], v[5:6], v[10:11], v[5:6]
	v_fma_f64 v[10:11], -v[3:4], v[5:6], 1.0
	v_fma_f64 v[5:6], v[5:6], v[10:11], v[5:6]
	v_mul_f64 v[10:11], v[12:13], v[5:6]
	v_fma_f64 v[3:4], -v[3:4], v[10:11], v[12:13]
	v_div_fmas_f64 v[3:4], v[3:4], v[5:6], v[10:11]
	v_div_fixup_f64 v[5:6], v[3:4], v[1:2], 1.0
	v_mul_f64 v[7:8], v[7:8], -v[5:6]
.LBB121_85:
	s_or_b64 exec, exec, s[6:7]
	ds_write2_b64 v125, v[5:6], v[7:8] offset1:1
.LBB121_86:
	s_or_b64 exec, exec, s[8:9]
	s_waitcnt lgkmcnt(0)
	s_barrier
	ds_read2_b64 v[1:4], v125 offset1:1
	v_cmp_lt_u32_e32 vcc, 6, v0
	s_waitcnt lgkmcnt(0)
	buffer_store_dword v1, off, s[0:3], 0 offset:1504 ; 4-byte Folded Spill
	s_nop 0
	buffer_store_dword v2, off, s[0:3], 0 offset:1508 ; 4-byte Folded Spill
	buffer_store_dword v3, off, s[0:3], 0 offset:1512 ; 4-byte Folded Spill
	;; [unrolled: 1-line block ×3, first 2 shown]
	s_and_saveexec_b64 s[6:7], vcc
	s_cbranch_execz .LBB121_89
; %bb.87:
	buffer_load_dword v1, off, s[0:3], 0 offset:104
	buffer_load_dword v2, off, s[0:3], 0 offset:108
	;; [unrolled: 1-line block ×4, first 2 shown]
	buffer_load_dword v10, off, s[0:3], 0 offset:1504 ; 4-byte Folded Reload
	buffer_load_dword v11, off, s[0:3], 0 offset:1508 ; 4-byte Folded Reload
	;; [unrolled: 1-line block ×4, first 2 shown]
	s_movk_i32 s8, 0x70
	s_waitcnt vmcnt(2)
	v_mul_f64 v[7:8], v[10:11], v[1:2]
	s_waitcnt vmcnt(0)
	v_mul_f64 v[5:6], v[12:13], v[1:2]
	v_fma_f64 v[1:2], v[10:11], v[3:4], -v[5:6]
	v_fma_f64 v[3:4], v[12:13], v[3:4], v[7:8]
	buffer_store_dword v1, off, s[0:3], 0 offset:96
	buffer_store_dword v2, off, s[0:3], 0 offset:100
	;; [unrolled: 1-line block ×4, first 2 shown]
.LBB121_88:                             ; =>This Inner Loop Header: Depth=1
	v_mov_b32_e32 v5, s8
	buffer_load_dword v7, v5, s[0:3], 0 offen
	buffer_load_dword v8, v5, s[0:3], 0 offen offset:4
	buffer_load_dword v14, v5, s[0:3], 0 offen offset:8
	;; [unrolled: 1-line block ×3, first 2 shown]
	v_add_u32_e32 v6, s8, v117
	ds_read2_b64 v[10:13], v6 offset1:1
	buffer_load_dword v16, v5, s[0:3], 0 offen offset:16
	buffer_load_dword v17, v5, s[0:3], 0 offen offset:20
	;; [unrolled: 1-line block ×3, first 2 shown]
	s_addk_i32 s8, 0x60
	s_cmpk_lg_i32 s8, 0x3d0
	s_waitcnt lgkmcnt(0)
	v_mul_f64 v[19:20], v[12:13], v[3:4]
	v_mul_f64 v[3:4], v[10:11], v[3:4]
	v_fma_f64 v[10:11], v[10:11], v[1:2], -v[19:20]
	v_fma_f64 v[1:2], v[12:13], v[1:2], v[3:4]
	s_waitcnt vmcnt(5)
	v_add_f64 v[3:4], v[7:8], -v[10:11]
	s_waitcnt vmcnt(3)
	v_add_f64 v[1:2], v[14:15], -v[1:2]
	buffer_store_dword v4, v5, s[0:3], 0 offen offset:4
	buffer_store_dword v3, v5, s[0:3], 0 offen
	buffer_store_dword v2, v5, s[0:3], 0 offen offset:12
	buffer_store_dword v1, v5, s[0:3], 0 offen offset:8
	buffer_load_dword v8, off, s[0:3], 0 offset:108
	buffer_load_dword v7, off, s[0:3], 0 offset:104
	;; [unrolled: 1-line block ×4, first 2 shown]
	buffer_load_dword v19, v5, s[0:3], 0 offen offset:28
	ds_read2_b64 v[1:4], v6 offset0:2 offset1:3
	buffer_load_dword v12, v5, s[0:3], 0 offen offset:32
	buffer_load_dword v13, v5, s[0:3], 0 offen offset:36
	;; [unrolled: 1-line block ×3, first 2 shown]
	s_waitcnt vmcnt(6) lgkmcnt(0)
	v_mul_f64 v[20:21], v[3:4], v[7:8]
	v_mul_f64 v[7:8], v[1:2], v[7:8]
	s_waitcnt vmcnt(4)
	v_fma_f64 v[1:2], v[1:2], v[10:11], -v[20:21]
	v_fma_f64 v[3:4], v[3:4], v[10:11], v[7:8]
	v_add_f64 v[1:2], v[16:17], -v[1:2]
	s_waitcnt vmcnt(3)
	v_add_f64 v[3:4], v[18:19], -v[3:4]
	buffer_store_dword v2, v5, s[0:3], 0 offen offset:20
	buffer_store_dword v1, v5, s[0:3], 0 offen offset:16
	;; [unrolled: 1-line block ×4, first 2 shown]
	buffer_load_dword v7, off, s[0:3], 0 offset:104
	buffer_load_dword v8, off, s[0:3], 0 offset:108
	;; [unrolled: 1-line block ×4, first 2 shown]
	buffer_load_dword v15, v5, s[0:3], 0 offen offset:44
	ds_read2_b64 v[1:4], v6 offset0:4 offset1:5
	buffer_load_dword v16, v5, s[0:3], 0 offen offset:48
	buffer_load_dword v17, v5, s[0:3], 0 offen offset:52
	;; [unrolled: 1-line block ×3, first 2 shown]
	s_waitcnt vmcnt(6) lgkmcnt(0)
	v_mul_f64 v[19:20], v[3:4], v[7:8]
	v_mul_f64 v[7:8], v[1:2], v[7:8]
	s_waitcnt vmcnt(4)
	v_fma_f64 v[1:2], v[1:2], v[10:11], -v[19:20]
	v_fma_f64 v[3:4], v[3:4], v[10:11], v[7:8]
	v_add_f64 v[1:2], v[12:13], -v[1:2]
	s_waitcnt vmcnt(3)
	v_add_f64 v[3:4], v[14:15], -v[3:4]
	buffer_store_dword v2, v5, s[0:3], 0 offen offset:36
	buffer_store_dword v1, v5, s[0:3], 0 offen offset:32
	buffer_store_dword v4, v5, s[0:3], 0 offen offset:44
	buffer_store_dword v3, v5, s[0:3], 0 offen offset:40
	buffer_load_dword v7, off, s[0:3], 0 offset:104
	buffer_load_dword v8, off, s[0:3], 0 offset:108
	;; [unrolled: 1-line block ×4, first 2 shown]
	buffer_load_dword v19, v5, s[0:3], 0 offen offset:60
	ds_read2_b64 v[1:4], v6 offset0:6 offset1:7
	buffer_load_dword v12, v5, s[0:3], 0 offen offset:64
	s_waitcnt vmcnt(4) lgkmcnt(0)
	v_mul_f64 v[13:14], v[3:4], v[7:8]
	v_mul_f64 v[7:8], v[1:2], v[7:8]
	s_waitcnt vmcnt(2)
	v_fma_f64 v[1:2], v[1:2], v[10:11], -v[13:14]
	v_fma_f64 v[3:4], v[3:4], v[10:11], v[7:8]
	v_add_f64 v[1:2], v[16:17], -v[1:2]
	s_waitcnt vmcnt(1)
	v_add_f64 v[3:4], v[18:19], -v[3:4]
	buffer_store_dword v2, v5, s[0:3], 0 offen offset:52
	buffer_store_dword v1, v5, s[0:3], 0 offen offset:48
	;; [unrolled: 1-line block ×4, first 2 shown]
	buffer_load_dword v7, off, s[0:3], 0 offset:104
	buffer_load_dword v8, off, s[0:3], 0 offset:108
	;; [unrolled: 1-line block ×4, first 2 shown]
	buffer_load_dword v13, v5, s[0:3], 0 offen offset:68
	buffer_load_dword v14, v5, s[0:3], 0 offen offset:72
	;; [unrolled: 1-line block ×3, first 2 shown]
	ds_read2_b64 v[1:4], v6 offset0:8 offset1:9
	s_waitcnt vmcnt(5) lgkmcnt(0)
	v_mul_f64 v[16:17], v[3:4], v[7:8]
	v_mul_f64 v[7:8], v[1:2], v[7:8]
	s_waitcnt vmcnt(3)
	v_fma_f64 v[1:2], v[1:2], v[10:11], -v[16:17]
	v_fma_f64 v[3:4], v[3:4], v[10:11], v[7:8]
	s_waitcnt vmcnt(2)
	v_add_f64 v[1:2], v[12:13], -v[1:2]
	s_waitcnt vmcnt(0)
	v_add_f64 v[3:4], v[14:15], -v[3:4]
	buffer_store_dword v2, v5, s[0:3], 0 offen offset:68
	buffer_store_dword v1, v5, s[0:3], 0 offen offset:64
	buffer_store_dword v4, v5, s[0:3], 0 offen offset:76
	buffer_store_dword v3, v5, s[0:3], 0 offen offset:72
	buffer_load_dword v3, off, s[0:3], 0 offset:104
	s_nop 0
	buffer_load_dword v4, off, s[0:3], 0 offset:108
	buffer_load_dword v1, off, s[0:3], 0 offset:96
	;; [unrolled: 1-line block ×3, first 2 shown]
	buffer_load_dword v7, v5, s[0:3], 0 offen offset:80
	buffer_load_dword v8, v5, s[0:3], 0 offen offset:84
	;; [unrolled: 1-line block ×4, first 2 shown]
	ds_read2_b64 v[10:13], v6 offset0:10 offset1:11
	s_waitcnt vmcnt(6) lgkmcnt(0)
	v_mul_f64 v[16:17], v[12:13], v[3:4]
	v_mul_f64 v[18:19], v[10:11], v[3:4]
	s_waitcnt vmcnt(4)
	v_fma_f64 v[10:11], v[10:11], v[1:2], -v[16:17]
	v_fma_f64 v[12:13], v[12:13], v[1:2], v[18:19]
	s_waitcnt vmcnt(2)
	v_add_f64 v[6:7], v[7:8], -v[10:11]
	s_waitcnt vmcnt(0)
	v_add_f64 v[10:11], v[14:15], -v[12:13]
	buffer_store_dword v7, v5, s[0:3], 0 offen offset:84
	buffer_store_dword v6, v5, s[0:3], 0 offen offset:80
	;; [unrolled: 1-line block ×4, first 2 shown]
	s_cbranch_scc1 .LBB121_88
.LBB121_89:
	s_or_b64 exec, exec, s[6:7]
	v_cmp_eq_u32_e32 vcc, 7, v0
	s_waitcnt vmcnt(0)
	s_barrier
	s_and_saveexec_b64 s[8:9], vcc
	s_cbranch_execz .LBB121_100
; %bb.90:
	v_mov_b32_e32 v4, s74
	buffer_load_dword v1, v4, s[0:3], 0 offen
	buffer_load_dword v2, v4, s[0:3], 0 offen offset:4
	buffer_load_dword v3, v4, s[0:3], 0 offen offset:8
	s_nop 0
	buffer_load_dword v4, v4, s[0:3], 0 offen offset:12
	s_movk_i32 s10, 0x80
	s_waitcnt vmcnt(0)
	ds_write2_b64 v125, v[1:2], v[3:4] offset1:1
	s_branch .LBB121_92
.LBB121_91:                             ;   in Loop: Header=BB121_92 Depth=1
	s_andn2_b64 vcc, exec, s[6:7]
	s_cbranch_vccz .LBB121_94
.LBB121_92:                             ; =>This Inner Loop Header: Depth=1
	v_mov_b32_e32 v8, s10
	buffer_load_dword v2, v8, s[0:3], 0 offen
	buffer_load_dword v3, v8, s[0:3], 0 offen offset:4
	buffer_load_dword v4, v8, s[0:3], 0 offen offset:8
	;; [unrolled: 1-line block ×15, first 2 shown]
	v_add_u32_e32 v1, s10, v117
	s_mov_b32 s11, s10
	s_mov_b64 s[6:7], -1
	s_cmpk_eq_i32 s10, 0x380
	s_waitcnt vmcnt(12)
	ds_write2_b64 v1, v[2:3], v[4:5] offset1:1
	s_waitcnt vmcnt(8)
	ds_write2_b64 v1, v[6:7], v[10:11] offset0:2 offset1:3
	s_waitcnt vmcnt(4)
	ds_write2_b64 v1, v[12:13], v[14:15] offset0:4 offset1:5
	;; [unrolled: 2-line block ×3, first 2 shown]
	buffer_load_dword v3, v8, s[0:3], 0 offen offset:76
	buffer_load_dword v2, v8, s[0:3], 0 offen offset:72
	;; [unrolled: 1-line block ×4, first 2 shown]
	s_waitcnt vmcnt(0)
	ds_write2_b64 v1, v[4:5], v[2:3] offset0:8 offset1:9
	s_cbranch_scc1 .LBB121_91
; %bb.93:                               ;   in Loop: Header=BB121_92 Depth=1
	v_mov_b32_e32 v8, s11
	buffer_load_dword v2, v8, s[0:3], 0 offen offset:80
	buffer_load_dword v3, v8, s[0:3], 0 offen offset:84
	;; [unrolled: 1-line block ×12, first 2 shown]
	s_addk_i32 s10, 0x80
	s_mov_b64 s[6:7], 0
	s_waitcnt vmcnt(8)
	ds_write2_b64 v1, v[2:3], v[4:5] offset0:10 offset1:11
	s_waitcnt vmcnt(4)
	ds_write2_b64 v1, v[6:7], v[10:11] offset0:12 offset1:13
	;; [unrolled: 2-line block ×3, first 2 shown]
	s_branch .LBB121_91
.LBB121_94:
	ds_read2_b64 v[1:4], v125 offset1:1
	s_waitcnt lgkmcnt(0)
	v_cmp_neq_f64_e32 vcc, 0, v[1:2]
	v_cmp_neq_f64_e64 s[6:7], 0, v[3:4]
	s_or_b64 s[6:7], vcc, s[6:7]
	s_and_b64 exec, exec, s[6:7]
	s_cbranch_execz .LBB121_100
; %bb.95:
	v_cmp_ngt_f64_e64 s[6:7], |v[1:2]|, |v[3:4]|
                                        ; implicit-def: $vgpr5_vgpr6
	s_and_saveexec_b64 s[10:11], s[6:7]
	s_xor_b64 s[6:7], exec, s[10:11]
                                        ; implicit-def: $vgpr7_vgpr8
	s_cbranch_execz .LBB121_97
; %bb.96:
	v_div_scale_f64 v[5:6], s[10:11], v[3:4], v[3:4], v[1:2]
	v_rcp_f64_e32 v[7:8], v[5:6]
	v_fma_f64 v[10:11], -v[5:6], v[7:8], 1.0
	v_fma_f64 v[7:8], v[7:8], v[10:11], v[7:8]
	v_div_scale_f64 v[10:11], vcc, v[1:2], v[3:4], v[1:2]
	v_fma_f64 v[12:13], -v[5:6], v[7:8], 1.0
	v_fma_f64 v[7:8], v[7:8], v[12:13], v[7:8]
	v_mul_f64 v[12:13], v[10:11], v[7:8]
	v_fma_f64 v[5:6], -v[5:6], v[12:13], v[10:11]
	v_div_fmas_f64 v[5:6], v[5:6], v[7:8], v[12:13]
	v_div_fixup_f64 v[5:6], v[5:6], v[3:4], v[1:2]
	v_fma_f64 v[1:2], v[1:2], v[5:6], v[3:4]
	v_div_scale_f64 v[3:4], s[10:11], v[1:2], v[1:2], 1.0
	v_div_scale_f64 v[12:13], vcc, 1.0, v[1:2], 1.0
	v_rcp_f64_e32 v[7:8], v[3:4]
	v_fma_f64 v[10:11], -v[3:4], v[7:8], 1.0
	v_fma_f64 v[7:8], v[7:8], v[10:11], v[7:8]
	v_fma_f64 v[10:11], -v[3:4], v[7:8], 1.0
	v_fma_f64 v[7:8], v[7:8], v[10:11], v[7:8]
	v_mul_f64 v[10:11], v[12:13], v[7:8]
	v_fma_f64 v[3:4], -v[3:4], v[10:11], v[12:13]
	v_div_fmas_f64 v[3:4], v[3:4], v[7:8], v[10:11]
	v_div_fixup_f64 v[7:8], v[3:4], v[1:2], 1.0
                                        ; implicit-def: $vgpr1_vgpr2
	v_mul_f64 v[5:6], v[5:6], v[7:8]
	v_xor_b32_e32 v8, 0x80000000, v8
.LBB121_97:
	s_andn2_saveexec_b64 s[6:7], s[6:7]
	s_cbranch_execz .LBB121_99
; %bb.98:
	v_div_scale_f64 v[5:6], s[10:11], v[1:2], v[1:2], v[3:4]
	v_rcp_f64_e32 v[7:8], v[5:6]
	v_fma_f64 v[10:11], -v[5:6], v[7:8], 1.0
	v_fma_f64 v[7:8], v[7:8], v[10:11], v[7:8]
	v_div_scale_f64 v[10:11], vcc, v[3:4], v[1:2], v[3:4]
	v_fma_f64 v[12:13], -v[5:6], v[7:8], 1.0
	v_fma_f64 v[7:8], v[7:8], v[12:13], v[7:8]
	v_mul_f64 v[12:13], v[10:11], v[7:8]
	v_fma_f64 v[5:6], -v[5:6], v[12:13], v[10:11]
	v_div_fmas_f64 v[5:6], v[5:6], v[7:8], v[12:13]
	v_div_fixup_f64 v[7:8], v[5:6], v[1:2], v[3:4]
	v_fma_f64 v[1:2], v[3:4], v[7:8], v[1:2]
	v_div_scale_f64 v[3:4], s[10:11], v[1:2], v[1:2], 1.0
	v_div_scale_f64 v[12:13], vcc, 1.0, v[1:2], 1.0
	v_rcp_f64_e32 v[5:6], v[3:4]
	v_fma_f64 v[10:11], -v[3:4], v[5:6], 1.0
	v_fma_f64 v[5:6], v[5:6], v[10:11], v[5:6]
	v_fma_f64 v[10:11], -v[3:4], v[5:6], 1.0
	v_fma_f64 v[5:6], v[5:6], v[10:11], v[5:6]
	v_mul_f64 v[10:11], v[12:13], v[5:6]
	v_fma_f64 v[3:4], -v[3:4], v[10:11], v[12:13]
	v_div_fmas_f64 v[3:4], v[3:4], v[5:6], v[10:11]
	v_div_fixup_f64 v[5:6], v[3:4], v[1:2], 1.0
	v_mul_f64 v[7:8], v[7:8], -v[5:6]
.LBB121_99:
	s_or_b64 exec, exec, s[6:7]
	ds_write2_b64 v125, v[5:6], v[7:8] offset1:1
.LBB121_100:
	s_or_b64 exec, exec, s[8:9]
	s_waitcnt lgkmcnt(0)
	s_barrier
	ds_read2_b64 v[20:23], v125 offset1:1
	v_cmp_lt_u32_e32 vcc, 7, v0
	s_and_saveexec_b64 s[6:7], vcc
	s_cbranch_execz .LBB121_105
; %bb.101:
	buffer_load_dword v1, off, s[0:3], 0 offset:120
	buffer_load_dword v2, off, s[0:3], 0 offset:124
	;; [unrolled: 1-line block ×4, first 2 shown]
	s_movk_i32 s10, 0x80
	s_waitcnt vmcnt(2) lgkmcnt(0)
	v_mul_f64 v[5:6], v[22:23], v[1:2]
	v_mul_f64 v[7:8], v[20:21], v[1:2]
	s_waitcnt vmcnt(0)
	v_fma_f64 v[1:2], v[20:21], v[3:4], -v[5:6]
	v_fma_f64 v[3:4], v[22:23], v[3:4], v[7:8]
	buffer_store_dword v1, off, s[0:3], 0 offset:112
	buffer_store_dword v2, off, s[0:3], 0 offset:116
	;; [unrolled: 1-line block ×4, first 2 shown]
	s_branch .LBB121_103
.LBB121_102:                            ;   in Loop: Header=BB121_103 Depth=1
	s_andn2_b64 vcc, exec, s[8:9]
	s_cbranch_vccz .LBB121_105
.LBB121_103:                            ; =>This Inner Loop Header: Depth=1
	v_add_u32_e32 v5, s10, v117
	ds_read2_b64 v[10:13], v5 offset1:1
	v_mov_b32_e32 v8, s10
	s_mov_b32 s11, s10
	s_mov_b64 s[8:9], -1
	s_cmpk_eq_i32 s10, 0x3c0
	s_waitcnt vmcnt(0) lgkmcnt(0)
	v_mul_f64 v[6:7], v[12:13], v[3:4]
	v_mul_f64 v[3:4], v[10:11], v[3:4]
	v_fma_f64 v[6:7], v[10:11], v[1:2], -v[6:7]
	v_fma_f64 v[1:2], v[12:13], v[1:2], v[3:4]
	buffer_load_dword v3, v8, s[0:3], 0 offen
	buffer_load_dword v4, v8, s[0:3], 0 offen offset:4
	buffer_load_dword v10, v8, s[0:3], 0 offen offset:8
	;; [unrolled: 1-line block ×3, first 2 shown]
	s_waitcnt vmcnt(2)
	v_add_f64 v[3:4], v[3:4], -v[6:7]
	s_waitcnt vmcnt(0)
	v_add_f64 v[1:2], v[10:11], -v[1:2]
	buffer_store_dword v3, v8, s[0:3], 0 offen
	buffer_store_dword v4, v8, s[0:3], 0 offen offset:4
	buffer_store_dword v1, v8, s[0:3], 0 offen offset:8
	;; [unrolled: 1-line block ×3, first 2 shown]
                                        ; implicit-def: $vgpr1_vgpr2
                                        ; implicit-def: $vgpr3_vgpr4
	s_cbranch_scc1 .LBB121_102
; %bb.104:                              ;   in Loop: Header=BB121_103 Depth=1
	buffer_load_dword v6, off, s[0:3], 0 offset:120
	buffer_load_dword v7, off, s[0:3], 0 offset:124
	;; [unrolled: 1-line block ×4, first 2 shown]
	v_mov_b32_e32 v8, s11
	buffer_load_dword v12, v8, s[0:3], 0 offen offset:16
	buffer_load_dword v13, v8, s[0:3], 0 offen offset:20
	;; [unrolled: 1-line block ×4, first 2 shown]
	ds_read2_b64 v[1:4], v5 offset0:2 offset1:3
	s_add_i32 s10, s10, 64
	s_mov_b64 s[8:9], 0
	s_waitcnt vmcnt(6) lgkmcnt(0)
	v_mul_f64 v[16:17], v[3:4], v[6:7]
	v_mul_f64 v[6:7], v[1:2], v[6:7]
	s_waitcnt vmcnt(4)
	v_fma_f64 v[1:2], v[1:2], v[10:11], -v[16:17]
	v_fma_f64 v[3:4], v[3:4], v[10:11], v[6:7]
	s_waitcnt vmcnt(2)
	v_add_f64 v[1:2], v[12:13], -v[1:2]
	s_waitcnt vmcnt(0)
	v_add_f64 v[3:4], v[14:15], -v[3:4]
	buffer_store_dword v2, v8, s[0:3], 0 offen offset:20
	buffer_store_dword v1, v8, s[0:3], 0 offen offset:16
	;; [unrolled: 1-line block ×4, first 2 shown]
	buffer_load_dword v7, off, s[0:3], 0 offset:124
	buffer_load_dword v6, off, s[0:3], 0 offset:120
	;; [unrolled: 1-line block ×4, first 2 shown]
	buffer_load_dword v13, v8, s[0:3], 0 offen offset:36
	buffer_load_dword v12, v8, s[0:3], 0 offen offset:32
	buffer_load_dword v14, v8, s[0:3], 0 offen offset:40
	buffer_load_dword v15, v8, s[0:3], 0 offen offset:44
	ds_read2_b64 v[1:4], v5 offset0:4 offset1:5
	s_waitcnt vmcnt(6) lgkmcnt(0)
	v_mul_f64 v[16:17], v[3:4], v[6:7]
	v_mul_f64 v[6:7], v[1:2], v[6:7]
	s_waitcnt vmcnt(4)
	v_fma_f64 v[1:2], v[1:2], v[10:11], -v[16:17]
	v_fma_f64 v[3:4], v[3:4], v[10:11], v[6:7]
	s_waitcnt vmcnt(2)
	v_add_f64 v[1:2], v[12:13], -v[1:2]
	s_waitcnt vmcnt(0)
	v_add_f64 v[3:4], v[14:15], -v[3:4]
	buffer_store_dword v2, v8, s[0:3], 0 offen offset:36
	buffer_store_dword v1, v8, s[0:3], 0 offen offset:32
	;; [unrolled: 1-line block ×4, first 2 shown]
	buffer_load_dword v6, off, s[0:3], 0 offset:120
	buffer_load_dword v7, off, s[0:3], 0 offset:124
	;; [unrolled: 1-line block ×4, first 2 shown]
	buffer_load_dword v13, v8, s[0:3], 0 offen offset:52
	buffer_load_dword v12, v8, s[0:3], 0 offen offset:48
	buffer_load_dword v14, v8, s[0:3], 0 offen offset:56
	buffer_load_dword v15, v8, s[0:3], 0 offen offset:60
	ds_read2_b64 v[1:4], v5 offset0:6 offset1:7
	s_waitcnt vmcnt(6) lgkmcnt(0)
	v_mul_f64 v[16:17], v[3:4], v[6:7]
	v_mul_f64 v[5:6], v[1:2], v[6:7]
	s_waitcnt vmcnt(4)
	v_fma_f64 v[1:2], v[1:2], v[10:11], -v[16:17]
	v_fma_f64 v[3:4], v[3:4], v[10:11], v[5:6]
	s_waitcnt vmcnt(2)
	v_add_f64 v[1:2], v[12:13], -v[1:2]
	s_waitcnt vmcnt(0)
	v_add_f64 v[3:4], v[14:15], -v[3:4]
	buffer_store_dword v2, v8, s[0:3], 0 offen offset:52
	buffer_store_dword v1, v8, s[0:3], 0 offen offset:48
	;; [unrolled: 1-line block ×4, first 2 shown]
	buffer_load_dword v1, off, s[0:3], 0 offset:112
	s_nop 0
	buffer_load_dword v2, off, s[0:3], 0 offset:116
	buffer_load_dword v3, off, s[0:3], 0 offset:120
	;; [unrolled: 1-line block ×3, first 2 shown]
	s_branch .LBB121_102
.LBB121_105:
	s_or_b64 exec, exec, s[6:7]
	v_cmp_eq_u32_e32 vcc, 8, v0
	s_waitcnt vmcnt(0) lgkmcnt(0)
	s_barrier
	s_and_saveexec_b64 s[8:9], vcc
	s_cbranch_execz .LBB121_114
; %bb.106:
	v_mov_b32_e32 v4, s88
	buffer_load_dword v1, v4, s[0:3], 0 offen
	buffer_load_dword v2, v4, s[0:3], 0 offen offset:4
	buffer_load_dword v3, v4, s[0:3], 0 offen offset:8
	s_nop 0
	buffer_load_dword v4, v4, s[0:3], 0 offen offset:12
	s_movk_i32 s6, 0x90
	s_waitcnt vmcnt(0)
	ds_write2_b64 v125, v[1:2], v[3:4] offset1:1
.LBB121_107:                            ; =>This Inner Loop Header: Depth=1
	v_mov_b32_e32 v18, s6
	buffer_load_dword v1, v18, s[0:3], 0 offen
	buffer_load_dword v2, v18, s[0:3], 0 offen offset:4
	buffer_load_dword v3, v18, s[0:3], 0 offen offset:8
	;; [unrolled: 1-line block ×15, first 2 shown]
	v_add_u32_e32 v19, s6, v117
	s_addk_i32 s6, 0xd0
	s_cmpk_lg_i32 s6, 0x3d0
	s_waitcnt vmcnt(12)
	ds_write2_b64 v19, v[1:2], v[3:4] offset1:1
	s_waitcnt vmcnt(8)
	ds_write2_b64 v19, v[5:6], v[7:8] offset0:2 offset1:3
	s_waitcnt vmcnt(4)
	ds_write2_b64 v19, v[10:11], v[12:13] offset0:4 offset1:5
	;; [unrolled: 2-line block ×3, first 2 shown]
	buffer_load_dword v2, v18, s[0:3], 0 offen offset:76
	buffer_load_dword v1, v18, s[0:3], 0 offen offset:72
	buffer_load_dword v4, v18, s[0:3], 0 offen offset:68
	buffer_load_dword v3, v18, s[0:3], 0 offen offset:64
	s_waitcnt vmcnt(0)
	ds_write2_b64 v19, v[3:4], v[1:2] offset0:8 offset1:9
	buffer_load_dword v2, v18, s[0:3], 0 offen offset:92
	buffer_load_dword v1, v18, s[0:3], 0 offen offset:88
	buffer_load_dword v4, v18, s[0:3], 0 offen offset:84
	buffer_load_dword v3, v18, s[0:3], 0 offen offset:80
	s_waitcnt vmcnt(0)
	ds_write2_b64 v19, v[3:4], v[1:2] offset0:10 offset1:11
	;; [unrolled: 6-line block ×9, first 2 shown]
	s_cbranch_scc1 .LBB121_107
; %bb.108:
	ds_read2_b64 v[1:4], v125 offset1:1
	s_waitcnt lgkmcnt(0)
	v_cmp_neq_f64_e32 vcc, 0, v[1:2]
	v_cmp_neq_f64_e64 s[6:7], 0, v[3:4]
	s_or_b64 s[6:7], vcc, s[6:7]
	s_and_b64 exec, exec, s[6:7]
	s_cbranch_execz .LBB121_114
; %bb.109:
	v_cmp_ngt_f64_e64 s[6:7], |v[1:2]|, |v[3:4]|
                                        ; implicit-def: $vgpr5_vgpr6
	s_and_saveexec_b64 s[10:11], s[6:7]
	s_xor_b64 s[6:7], exec, s[10:11]
                                        ; implicit-def: $vgpr7_vgpr8
	s_cbranch_execz .LBB121_111
; %bb.110:
	v_div_scale_f64 v[5:6], s[10:11], v[3:4], v[3:4], v[1:2]
	v_rcp_f64_e32 v[7:8], v[5:6]
	v_fma_f64 v[10:11], -v[5:6], v[7:8], 1.0
	v_fma_f64 v[7:8], v[7:8], v[10:11], v[7:8]
	v_div_scale_f64 v[10:11], vcc, v[1:2], v[3:4], v[1:2]
	v_fma_f64 v[12:13], -v[5:6], v[7:8], 1.0
	v_fma_f64 v[7:8], v[7:8], v[12:13], v[7:8]
	v_mul_f64 v[12:13], v[10:11], v[7:8]
	v_fma_f64 v[5:6], -v[5:6], v[12:13], v[10:11]
	v_div_fmas_f64 v[5:6], v[5:6], v[7:8], v[12:13]
	v_div_fixup_f64 v[5:6], v[5:6], v[3:4], v[1:2]
	v_fma_f64 v[1:2], v[1:2], v[5:6], v[3:4]
	v_div_scale_f64 v[3:4], s[10:11], v[1:2], v[1:2], 1.0
	v_div_scale_f64 v[12:13], vcc, 1.0, v[1:2], 1.0
	v_rcp_f64_e32 v[7:8], v[3:4]
	v_fma_f64 v[10:11], -v[3:4], v[7:8], 1.0
	v_fma_f64 v[7:8], v[7:8], v[10:11], v[7:8]
	v_fma_f64 v[10:11], -v[3:4], v[7:8], 1.0
	v_fma_f64 v[7:8], v[7:8], v[10:11], v[7:8]
	v_mul_f64 v[10:11], v[12:13], v[7:8]
	v_fma_f64 v[3:4], -v[3:4], v[10:11], v[12:13]
	v_div_fmas_f64 v[3:4], v[3:4], v[7:8], v[10:11]
	v_div_fixup_f64 v[7:8], v[3:4], v[1:2], 1.0
                                        ; implicit-def: $vgpr1_vgpr2
	v_mul_f64 v[5:6], v[5:6], v[7:8]
	v_xor_b32_e32 v8, 0x80000000, v8
.LBB121_111:
	s_andn2_saveexec_b64 s[6:7], s[6:7]
	s_cbranch_execz .LBB121_113
; %bb.112:
	v_div_scale_f64 v[5:6], s[10:11], v[1:2], v[1:2], v[3:4]
	v_rcp_f64_e32 v[7:8], v[5:6]
	v_fma_f64 v[10:11], -v[5:6], v[7:8], 1.0
	v_fma_f64 v[7:8], v[7:8], v[10:11], v[7:8]
	v_div_scale_f64 v[10:11], vcc, v[3:4], v[1:2], v[3:4]
	v_fma_f64 v[12:13], -v[5:6], v[7:8], 1.0
	v_fma_f64 v[7:8], v[7:8], v[12:13], v[7:8]
	v_mul_f64 v[12:13], v[10:11], v[7:8]
	v_fma_f64 v[5:6], -v[5:6], v[12:13], v[10:11]
	v_div_fmas_f64 v[5:6], v[5:6], v[7:8], v[12:13]
	v_div_fixup_f64 v[7:8], v[5:6], v[1:2], v[3:4]
	v_fma_f64 v[1:2], v[3:4], v[7:8], v[1:2]
	v_div_scale_f64 v[3:4], s[10:11], v[1:2], v[1:2], 1.0
	v_div_scale_f64 v[12:13], vcc, 1.0, v[1:2], 1.0
	v_rcp_f64_e32 v[5:6], v[3:4]
	v_fma_f64 v[10:11], -v[3:4], v[5:6], 1.0
	v_fma_f64 v[5:6], v[5:6], v[10:11], v[5:6]
	v_fma_f64 v[10:11], -v[3:4], v[5:6], 1.0
	v_fma_f64 v[5:6], v[5:6], v[10:11], v[5:6]
	v_mul_f64 v[10:11], v[12:13], v[5:6]
	v_fma_f64 v[3:4], -v[3:4], v[10:11], v[12:13]
	v_div_fmas_f64 v[3:4], v[3:4], v[5:6], v[10:11]
	v_div_fixup_f64 v[5:6], v[3:4], v[1:2], 1.0
	v_mul_f64 v[7:8], v[7:8], -v[5:6]
.LBB121_113:
	s_or_b64 exec, exec, s[6:7]
	ds_write2_b64 v125, v[5:6], v[7:8] offset1:1
.LBB121_114:
	s_or_b64 exec, exec, s[8:9]
	buffer_store_dword v20, off, s[0:3], 0 offset:1856 ; 4-byte Folded Spill
	s_nop 0
	buffer_store_dword v21, off, s[0:3], 0 offset:1860 ; 4-byte Folded Spill
	buffer_store_dword v22, off, s[0:3], 0 offset:1864 ; 4-byte Folded Spill
	;; [unrolled: 1-line block ×3, first 2 shown]
	s_waitcnt vmcnt(0) lgkmcnt(0)
	s_barrier
	ds_read2_b64 v[1:4], v125 offset1:1
	v_cmp_lt_u32_e32 vcc, 8, v0
	s_waitcnt lgkmcnt(0)
	buffer_store_dword v1, off, s[0:3], 0 offset:1520 ; 4-byte Folded Spill
	s_nop 0
	buffer_store_dword v2, off, s[0:3], 0 offset:1524 ; 4-byte Folded Spill
	buffer_store_dword v3, off, s[0:3], 0 offset:1528 ; 4-byte Folded Spill
	;; [unrolled: 1-line block ×3, first 2 shown]
	s_and_saveexec_b64 s[6:7], vcc
	s_cbranch_execz .LBB121_117
; %bb.115:
	buffer_load_dword v1, off, s[0:3], 0 offset:136
	buffer_load_dword v2, off, s[0:3], 0 offset:140
	;; [unrolled: 1-line block ×4, first 2 shown]
	buffer_load_dword v10, off, s[0:3], 0 offset:1520 ; 4-byte Folded Reload
	buffer_load_dword v11, off, s[0:3], 0 offset:1524 ; 4-byte Folded Reload
	;; [unrolled: 1-line block ×4, first 2 shown]
	s_movk_i32 s8, 0x90
	s_waitcnt vmcnt(0)
	v_mul_f64 v[5:6], v[12:13], v[1:2]
	v_mul_f64 v[1:2], v[10:11], v[1:2]
	v_fma_f64 v[5:6], v[10:11], v[3:4], -v[5:6]
	v_fma_f64 v[1:2], v[12:13], v[3:4], v[1:2]
	buffer_store_dword v5, off, s[0:3], 0 offset:128
	buffer_store_dword v6, off, s[0:3], 0 offset:132
	;; [unrolled: 1-line block ×4, first 2 shown]
.LBB121_116:                            ; =>This Inner Loop Header: Depth=1
	buffer_load_dword v7, off, s[0:3], 0 offset:136
	buffer_load_dword v8, off, s[0:3], 0 offset:140
	;; [unrolled: 1-line block ×4, first 2 shown]
	v_mov_b32_e32 v1, s8
	buffer_load_dword v12, v1, s[0:3], 0 offen
	buffer_load_dword v13, v1, s[0:3], 0 offen offset:4
	buffer_load_dword v14, v1, s[0:3], 0 offen offset:8
	;; [unrolled: 1-line block ×3, first 2 shown]
	v_add_u32_e32 v2, s8, v117
	ds_read2_b64 v[3:6], v2 offset1:1
	buffer_load_dword v16, v1, s[0:3], 0 offen offset:16
	buffer_load_dword v17, v1, s[0:3], 0 offen offset:20
	;; [unrolled: 1-line block ×3, first 2 shown]
	s_add_i32 s8, s8, 64
	s_cmpk_lg_i32 s8, 0x3d0
	s_waitcnt vmcnt(9) lgkmcnt(0)
	v_mul_f64 v[19:20], v[5:6], v[7:8]
	v_mul_f64 v[7:8], v[3:4], v[7:8]
	s_waitcnt vmcnt(7)
	v_fma_f64 v[3:4], v[3:4], v[10:11], -v[19:20]
	v_fma_f64 v[5:6], v[5:6], v[10:11], v[7:8]
	s_waitcnt vmcnt(5)
	v_add_f64 v[3:4], v[12:13], -v[3:4]
	s_waitcnt vmcnt(3)
	v_add_f64 v[5:6], v[14:15], -v[5:6]
	buffer_store_dword v4, v1, s[0:3], 0 offen offset:4
	buffer_store_dword v3, v1, s[0:3], 0 offen
	buffer_store_dword v6, v1, s[0:3], 0 offen offset:12
	buffer_store_dword v5, v1, s[0:3], 0 offen offset:8
	buffer_load_dword v8, off, s[0:3], 0 offset:140
	buffer_load_dword v7, off, s[0:3], 0 offset:136
	;; [unrolled: 1-line block ×4, first 2 shown]
	buffer_load_dword v19, v1, s[0:3], 0 offen offset:28
	ds_read2_b64 v[3:6], v2 offset0:2 offset1:3
	buffer_load_dword v12, v1, s[0:3], 0 offen offset:32
	s_waitcnt vmcnt(4) lgkmcnt(0)
	v_mul_f64 v[13:14], v[5:6], v[7:8]
	v_mul_f64 v[7:8], v[3:4], v[7:8]
	s_waitcnt vmcnt(2)
	v_fma_f64 v[3:4], v[3:4], v[10:11], -v[13:14]
	v_fma_f64 v[5:6], v[5:6], v[10:11], v[7:8]
	v_add_f64 v[3:4], v[16:17], -v[3:4]
	s_waitcnt vmcnt(1)
	v_add_f64 v[5:6], v[18:19], -v[5:6]
	buffer_store_dword v4, v1, s[0:3], 0 offen offset:20
	buffer_store_dword v3, v1, s[0:3], 0 offen offset:16
	;; [unrolled: 1-line block ×4, first 2 shown]
	buffer_load_dword v7, off, s[0:3], 0 offset:136
	buffer_load_dword v8, off, s[0:3], 0 offset:140
	;; [unrolled: 1-line block ×4, first 2 shown]
	buffer_load_dword v13, v1, s[0:3], 0 offen offset:36
	buffer_load_dword v14, v1, s[0:3], 0 offen offset:40
	;; [unrolled: 1-line block ×3, first 2 shown]
	ds_read2_b64 v[3:6], v2 offset0:4 offset1:5
	s_waitcnt vmcnt(5) lgkmcnt(0)
	v_mul_f64 v[16:17], v[5:6], v[7:8]
	v_mul_f64 v[7:8], v[3:4], v[7:8]
	s_waitcnt vmcnt(3)
	v_fma_f64 v[3:4], v[3:4], v[10:11], -v[16:17]
	v_fma_f64 v[5:6], v[5:6], v[10:11], v[7:8]
	s_waitcnt vmcnt(2)
	v_add_f64 v[3:4], v[12:13], -v[3:4]
	s_waitcnt vmcnt(0)
	v_add_f64 v[5:6], v[14:15], -v[5:6]
	buffer_store_dword v4, v1, s[0:3], 0 offen offset:36
	buffer_store_dword v3, v1, s[0:3], 0 offen offset:32
	;; [unrolled: 1-line block ×4, first 2 shown]
	buffer_load_dword v6, off, s[0:3], 0 offset:136
	s_nop 0
	buffer_load_dword v7, off, s[0:3], 0 offset:140
	buffer_load_dword v10, off, s[0:3], 0 offset:128
	;; [unrolled: 1-line block ×3, first 2 shown]
	buffer_load_dword v12, v1, s[0:3], 0 offen offset:48
	buffer_load_dword v13, v1, s[0:3], 0 offen offset:52
	;; [unrolled: 1-line block ×4, first 2 shown]
	ds_read2_b64 v[2:5], v2 offset0:6 offset1:7
	s_waitcnt vmcnt(6) lgkmcnt(0)
	v_mul_f64 v[16:17], v[4:5], v[6:7]
	v_mul_f64 v[6:7], v[2:3], v[6:7]
	s_waitcnt vmcnt(4)
	v_fma_f64 v[2:3], v[2:3], v[10:11], -v[16:17]
	v_fma_f64 v[4:5], v[4:5], v[10:11], v[6:7]
	s_waitcnt vmcnt(2)
	v_add_f64 v[2:3], v[12:13], -v[2:3]
	s_waitcnt vmcnt(0)
	v_add_f64 v[4:5], v[14:15], -v[4:5]
	buffer_store_dword v3, v1, s[0:3], 0 offen offset:52
	buffer_store_dword v2, v1, s[0:3], 0 offen offset:48
	;; [unrolled: 1-line block ×4, first 2 shown]
	s_cbranch_scc1 .LBB121_116
.LBB121_117:
	s_or_b64 exec, exec, s[6:7]
	v_cmp_eq_u32_e32 vcc, 9, v0
	s_waitcnt vmcnt(0)
	s_barrier
	s_and_saveexec_b64 s[8:9], vcc
	s_cbranch_execz .LBB121_126
; %bb.118:
	v_mov_b32_e32 v4, s87
	buffer_load_dword v1, v4, s[0:3], 0 offen
	buffer_load_dword v2, v4, s[0:3], 0 offen offset:4
	buffer_load_dword v3, v4, s[0:3], 0 offen offset:8
	s_nop 0
	buffer_load_dword v4, v4, s[0:3], 0 offen offset:12
	s_movk_i32 s6, 0xa0
	s_waitcnt vmcnt(0)
	ds_write2_b64 v125, v[1:2], v[3:4] offset1:1
.LBB121_119:                            ; =>This Inner Loop Header: Depth=1
	v_mov_b32_e32 v18, s6
	buffer_load_dword v1, v18, s[0:3], 0 offen
	buffer_load_dword v2, v18, s[0:3], 0 offen offset:4
	buffer_load_dword v3, v18, s[0:3], 0 offen offset:8
	;; [unrolled: 1-line block ×15, first 2 shown]
	v_add_u32_e32 v19, s6, v117
	s_addk_i32 s6, 0x110
	s_cmpk_lg_i32 s6, 0x3d0
	s_waitcnt vmcnt(12)
	ds_write2_b64 v19, v[1:2], v[3:4] offset1:1
	s_waitcnt vmcnt(8)
	ds_write2_b64 v19, v[5:6], v[7:8] offset0:2 offset1:3
	s_waitcnt vmcnt(4)
	ds_write2_b64 v19, v[10:11], v[12:13] offset0:4 offset1:5
	;; [unrolled: 2-line block ×3, first 2 shown]
	buffer_load_dword v2, v18, s[0:3], 0 offen offset:76
	buffer_load_dword v1, v18, s[0:3], 0 offen offset:72
	buffer_load_dword v4, v18, s[0:3], 0 offen offset:68
	buffer_load_dword v3, v18, s[0:3], 0 offen offset:64
	s_waitcnt vmcnt(0)
	ds_write2_b64 v19, v[3:4], v[1:2] offset0:8 offset1:9
	buffer_load_dword v2, v18, s[0:3], 0 offen offset:92
	buffer_load_dword v1, v18, s[0:3], 0 offen offset:88
	buffer_load_dword v4, v18, s[0:3], 0 offen offset:84
	buffer_load_dword v3, v18, s[0:3], 0 offen offset:80
	s_waitcnt vmcnt(0)
	ds_write2_b64 v19, v[3:4], v[1:2] offset0:10 offset1:11
	;; [unrolled: 6-line block ×13, first 2 shown]
	s_cbranch_scc1 .LBB121_119
; %bb.120:
	ds_read2_b64 v[1:4], v125 offset1:1
	s_waitcnt lgkmcnt(0)
	v_cmp_neq_f64_e32 vcc, 0, v[1:2]
	v_cmp_neq_f64_e64 s[6:7], 0, v[3:4]
	s_or_b64 s[6:7], vcc, s[6:7]
	s_and_b64 exec, exec, s[6:7]
	s_cbranch_execz .LBB121_126
; %bb.121:
	v_cmp_ngt_f64_e64 s[6:7], |v[1:2]|, |v[3:4]|
                                        ; implicit-def: $vgpr5_vgpr6
	s_and_saveexec_b64 s[10:11], s[6:7]
	s_xor_b64 s[6:7], exec, s[10:11]
                                        ; implicit-def: $vgpr7_vgpr8
	s_cbranch_execz .LBB121_123
; %bb.122:
	v_div_scale_f64 v[5:6], s[10:11], v[3:4], v[3:4], v[1:2]
	v_rcp_f64_e32 v[7:8], v[5:6]
	v_fma_f64 v[10:11], -v[5:6], v[7:8], 1.0
	v_fma_f64 v[7:8], v[7:8], v[10:11], v[7:8]
	v_div_scale_f64 v[10:11], vcc, v[1:2], v[3:4], v[1:2]
	v_fma_f64 v[12:13], -v[5:6], v[7:8], 1.0
	v_fma_f64 v[7:8], v[7:8], v[12:13], v[7:8]
	v_mul_f64 v[12:13], v[10:11], v[7:8]
	v_fma_f64 v[5:6], -v[5:6], v[12:13], v[10:11]
	v_div_fmas_f64 v[5:6], v[5:6], v[7:8], v[12:13]
	v_div_fixup_f64 v[5:6], v[5:6], v[3:4], v[1:2]
	v_fma_f64 v[1:2], v[1:2], v[5:6], v[3:4]
	v_div_scale_f64 v[3:4], s[10:11], v[1:2], v[1:2], 1.0
	v_div_scale_f64 v[12:13], vcc, 1.0, v[1:2], 1.0
	v_rcp_f64_e32 v[7:8], v[3:4]
	v_fma_f64 v[10:11], -v[3:4], v[7:8], 1.0
	v_fma_f64 v[7:8], v[7:8], v[10:11], v[7:8]
	v_fma_f64 v[10:11], -v[3:4], v[7:8], 1.0
	v_fma_f64 v[7:8], v[7:8], v[10:11], v[7:8]
	v_mul_f64 v[10:11], v[12:13], v[7:8]
	v_fma_f64 v[3:4], -v[3:4], v[10:11], v[12:13]
	v_div_fmas_f64 v[3:4], v[3:4], v[7:8], v[10:11]
	v_div_fixup_f64 v[7:8], v[3:4], v[1:2], 1.0
                                        ; implicit-def: $vgpr1_vgpr2
	v_mul_f64 v[5:6], v[5:6], v[7:8]
	v_xor_b32_e32 v8, 0x80000000, v8
.LBB121_123:
	s_andn2_saveexec_b64 s[6:7], s[6:7]
	s_cbranch_execz .LBB121_125
; %bb.124:
	v_div_scale_f64 v[5:6], s[10:11], v[1:2], v[1:2], v[3:4]
	v_rcp_f64_e32 v[7:8], v[5:6]
	v_fma_f64 v[10:11], -v[5:6], v[7:8], 1.0
	v_fma_f64 v[7:8], v[7:8], v[10:11], v[7:8]
	v_div_scale_f64 v[10:11], vcc, v[3:4], v[1:2], v[3:4]
	v_fma_f64 v[12:13], -v[5:6], v[7:8], 1.0
	v_fma_f64 v[7:8], v[7:8], v[12:13], v[7:8]
	v_mul_f64 v[12:13], v[10:11], v[7:8]
	v_fma_f64 v[5:6], -v[5:6], v[12:13], v[10:11]
	v_div_fmas_f64 v[5:6], v[5:6], v[7:8], v[12:13]
	v_div_fixup_f64 v[7:8], v[5:6], v[1:2], v[3:4]
	v_fma_f64 v[1:2], v[3:4], v[7:8], v[1:2]
	v_div_scale_f64 v[3:4], s[10:11], v[1:2], v[1:2], 1.0
	v_div_scale_f64 v[12:13], vcc, 1.0, v[1:2], 1.0
	v_rcp_f64_e32 v[5:6], v[3:4]
	v_fma_f64 v[10:11], -v[3:4], v[5:6], 1.0
	v_fma_f64 v[5:6], v[5:6], v[10:11], v[5:6]
	v_fma_f64 v[10:11], -v[3:4], v[5:6], 1.0
	v_fma_f64 v[5:6], v[5:6], v[10:11], v[5:6]
	v_mul_f64 v[10:11], v[12:13], v[5:6]
	v_fma_f64 v[3:4], -v[3:4], v[10:11], v[12:13]
	v_div_fmas_f64 v[3:4], v[3:4], v[5:6], v[10:11]
	v_div_fixup_f64 v[5:6], v[3:4], v[1:2], 1.0
	v_mul_f64 v[7:8], v[7:8], -v[5:6]
.LBB121_125:
	s_or_b64 exec, exec, s[6:7]
	ds_write2_b64 v125, v[5:6], v[7:8] offset1:1
.LBB121_126:
	s_or_b64 exec, exec, s[8:9]
	s_waitcnt lgkmcnt(0)
	s_barrier
	ds_read2_b64 v[20:23], v125 offset1:1
	v_cmp_lt_u32_e32 vcc, 9, v0
	s_and_saveexec_b64 s[6:7], vcc
	s_cbranch_execz .LBB121_129
; %bb.127:
	buffer_load_dword v1, off, s[0:3], 0 offset:152
	buffer_load_dword v2, off, s[0:3], 0 offset:156
	;; [unrolled: 1-line block ×4, first 2 shown]
	s_movk_i32 s8, 0xa0
	s_waitcnt vmcnt(2) lgkmcnt(0)
	v_mul_f64 v[5:6], v[22:23], v[1:2]
	v_mul_f64 v[1:2], v[20:21], v[1:2]
	s_waitcnt vmcnt(0)
	v_fma_f64 v[5:6], v[20:21], v[3:4], -v[5:6]
	v_fma_f64 v[1:2], v[22:23], v[3:4], v[1:2]
	buffer_store_dword v5, off, s[0:3], 0 offset:144
	buffer_store_dword v6, off, s[0:3], 0 offset:148
	buffer_store_dword v1, off, s[0:3], 0 offset:152
	buffer_store_dword v2, off, s[0:3], 0 offset:156
.LBB121_128:                            ; =>This Inner Loop Header: Depth=1
	buffer_load_dword v5, off, s[0:3], 0 offset:152
	s_nop 0
	buffer_load_dword v6, off, s[0:3], 0 offset:156
	buffer_load_dword v7, off, s[0:3], 0 offset:144
	;; [unrolled: 1-line block ×3, first 2 shown]
	v_mov_b32_e32 v17, s8
	buffer_load_dword v10, v17, s[0:3], 0 offen
	buffer_load_dword v11, v17, s[0:3], 0 offen offset:4
	buffer_load_dword v12, v17, s[0:3], 0 offen offset:8
	;; [unrolled: 1-line block ×3, first 2 shown]
	v_add_u32_e32 v18, s8, v117
	ds_read2_b64 v[1:4], v18 offset1:1
	buffer_load_dword v14, v17, s[0:3], 0 offen offset:16
	s_add_i32 s8, s8, 48
	s_cmpk_lg_i32 s8, 0x3d0
	s_waitcnt vmcnt(7) lgkmcnt(0)
	v_mul_f64 v[15:16], v[3:4], v[5:6]
	v_mul_f64 v[5:6], v[1:2], v[5:6]
	s_waitcnt vmcnt(5)
	v_fma_f64 v[1:2], v[1:2], v[7:8], -v[15:16]
	v_fma_f64 v[3:4], v[3:4], v[7:8], v[5:6]
	s_waitcnt vmcnt(3)
	v_add_f64 v[1:2], v[10:11], -v[1:2]
	s_waitcnt vmcnt(1)
	v_add_f64 v[3:4], v[12:13], -v[3:4]
	buffer_store_dword v2, v17, s[0:3], 0 offen offset:4
	buffer_store_dword v1, v17, s[0:3], 0 offen
	buffer_store_dword v4, v17, s[0:3], 0 offen offset:12
	buffer_store_dword v3, v17, s[0:3], 0 offen offset:8
	buffer_load_dword v6, off, s[0:3], 0 offset:156
	buffer_load_dword v5, off, s[0:3], 0 offset:152
	;; [unrolled: 1-line block ×4, first 2 shown]
	buffer_load_dword v15, v17, s[0:3], 0 offen offset:20
	buffer_load_dword v10, v17, s[0:3], 0 offen offset:24
	;; [unrolled: 1-line block ×3, first 2 shown]
	ds_read2_b64 v[1:4], v18 offset0:2 offset1:3
	s_waitcnt vmcnt(5) lgkmcnt(0)
	v_mul_f64 v[12:13], v[3:4], v[5:6]
	v_mul_f64 v[5:6], v[1:2], v[5:6]
	s_waitcnt vmcnt(3)
	v_fma_f64 v[1:2], v[1:2], v[7:8], -v[12:13]
	v_fma_f64 v[3:4], v[3:4], v[7:8], v[5:6]
	s_waitcnt vmcnt(2)
	v_add_f64 v[1:2], v[14:15], -v[1:2]
	s_waitcnt vmcnt(0)
	v_add_f64 v[3:4], v[10:11], -v[3:4]
	buffer_store_dword v2, v17, s[0:3], 0 offen offset:20
	buffer_store_dword v1, v17, s[0:3], 0 offen offset:16
	;; [unrolled: 1-line block ×4, first 2 shown]
	buffer_load_dword v5, off, s[0:3], 0 offset:152
	buffer_load_dword v6, off, s[0:3], 0 offset:156
	;; [unrolled: 1-line block ×4, first 2 shown]
	buffer_load_dword v10, v17, s[0:3], 0 offen offset:32
	buffer_load_dword v11, v17, s[0:3], 0 offen offset:36
	;; [unrolled: 1-line block ×4, first 2 shown]
	ds_read2_b64 v[1:4], v18 offset0:4 offset1:5
	s_waitcnt vmcnt(6) lgkmcnt(0)
	v_mul_f64 v[14:15], v[3:4], v[5:6]
	v_mul_f64 v[5:6], v[1:2], v[5:6]
	s_waitcnt vmcnt(4)
	v_fma_f64 v[1:2], v[1:2], v[7:8], -v[14:15]
	v_fma_f64 v[3:4], v[3:4], v[7:8], v[5:6]
	s_waitcnt vmcnt(2)
	v_add_f64 v[1:2], v[10:11], -v[1:2]
	s_waitcnt vmcnt(0)
	v_add_f64 v[3:4], v[12:13], -v[3:4]
	buffer_store_dword v2, v17, s[0:3], 0 offen offset:36
	buffer_store_dword v1, v17, s[0:3], 0 offen offset:32
	;; [unrolled: 1-line block ×4, first 2 shown]
	s_cbranch_scc1 .LBB121_128
.LBB121_129:
	s_or_b64 exec, exec, s[6:7]
	v_cmp_eq_u32_e32 vcc, 10, v0
	s_waitcnt vmcnt(0) lgkmcnt(0)
	s_barrier
	s_and_saveexec_b64 s[8:9], vcc
	s_cbranch_execz .LBB121_138
; %bb.130:
	v_mov_b32_e32 v4, s86
	buffer_load_dword v1, v4, s[0:3], 0 offen
	buffer_load_dword v2, v4, s[0:3], 0 offen offset:4
	buffer_load_dword v3, v4, s[0:3], 0 offen offset:8
	s_nop 0
	buffer_load_dword v4, v4, s[0:3], 0 offen offset:12
	s_movk_i32 s6, 0xb0
	s_waitcnt vmcnt(0)
	ds_write2_b64 v125, v[1:2], v[3:4] offset1:1
.LBB121_131:                            ; =>This Inner Loop Header: Depth=1
	v_mov_b32_e32 v18, s6
	buffer_load_dword v1, v18, s[0:3], 0 offen
	buffer_load_dword v2, v18, s[0:3], 0 offen offset:4
	buffer_load_dword v3, v18, s[0:3], 0 offen offset:8
	buffer_load_dword v4, v18, s[0:3], 0 offen offset:12
	buffer_load_dword v5, v18, s[0:3], 0 offen offset:16
	buffer_load_dword v6, v18, s[0:3], 0 offen offset:20
	buffer_load_dword v7, v18, s[0:3], 0 offen offset:24
	buffer_load_dword v8, v18, s[0:3], 0 offen offset:28
	buffer_load_dword v10, v18, s[0:3], 0 offen offset:32
	buffer_load_dword v11, v18, s[0:3], 0 offen offset:36
	buffer_load_dword v12, v18, s[0:3], 0 offen offset:40
	buffer_load_dword v13, v18, s[0:3], 0 offen offset:44
	buffer_load_dword v14, v18, s[0:3], 0 offen offset:48
	buffer_load_dword v15, v18, s[0:3], 0 offen offset:52
	buffer_load_dword v16, v18, s[0:3], 0 offen offset:56
	buffer_load_dword v17, v18, s[0:3], 0 offen offset:60
	v_add_u32_e32 v19, s6, v117
	s_addk_i32 s6, 0xa0
	s_cmpk_lg_i32 s6, 0x3d0
	s_waitcnt vmcnt(12)
	ds_write2_b64 v19, v[1:2], v[3:4] offset1:1
	s_waitcnt vmcnt(8)
	ds_write2_b64 v19, v[5:6], v[7:8] offset0:2 offset1:3
	s_waitcnt vmcnt(4)
	ds_write2_b64 v19, v[10:11], v[12:13] offset0:4 offset1:5
	s_waitcnt vmcnt(0)
	ds_write2_b64 v19, v[14:15], v[16:17] offset0:6 offset1:7
	buffer_load_dword v2, v18, s[0:3], 0 offen offset:76
	buffer_load_dword v1, v18, s[0:3], 0 offen offset:72
	buffer_load_dword v4, v18, s[0:3], 0 offen offset:68
	buffer_load_dword v3, v18, s[0:3], 0 offen offset:64
	s_waitcnt vmcnt(0)
	ds_write2_b64 v19, v[3:4], v[1:2] offset0:8 offset1:9
	buffer_load_dword v2, v18, s[0:3], 0 offen offset:92
	buffer_load_dword v1, v18, s[0:3], 0 offen offset:88
	buffer_load_dword v4, v18, s[0:3], 0 offen offset:84
	buffer_load_dword v3, v18, s[0:3], 0 offen offset:80
	s_waitcnt vmcnt(0)
	ds_write2_b64 v19, v[3:4], v[1:2] offset0:10 offset1:11
	;; [unrolled: 6-line block ×6, first 2 shown]
	s_cbranch_scc1 .LBB121_131
; %bb.132:
	ds_read2_b64 v[1:4], v125 offset1:1
	s_waitcnt lgkmcnt(0)
	v_cmp_neq_f64_e32 vcc, 0, v[1:2]
	v_cmp_neq_f64_e64 s[6:7], 0, v[3:4]
	s_or_b64 s[6:7], vcc, s[6:7]
	s_and_b64 exec, exec, s[6:7]
	s_cbranch_execz .LBB121_138
; %bb.133:
	v_cmp_ngt_f64_e64 s[6:7], |v[1:2]|, |v[3:4]|
                                        ; implicit-def: $vgpr5_vgpr6
	s_and_saveexec_b64 s[10:11], s[6:7]
	s_xor_b64 s[6:7], exec, s[10:11]
                                        ; implicit-def: $vgpr7_vgpr8
	s_cbranch_execz .LBB121_135
; %bb.134:
	v_div_scale_f64 v[5:6], s[10:11], v[3:4], v[3:4], v[1:2]
	v_rcp_f64_e32 v[7:8], v[5:6]
	v_fma_f64 v[10:11], -v[5:6], v[7:8], 1.0
	v_fma_f64 v[7:8], v[7:8], v[10:11], v[7:8]
	v_div_scale_f64 v[10:11], vcc, v[1:2], v[3:4], v[1:2]
	v_fma_f64 v[12:13], -v[5:6], v[7:8], 1.0
	v_fma_f64 v[7:8], v[7:8], v[12:13], v[7:8]
	v_mul_f64 v[12:13], v[10:11], v[7:8]
	v_fma_f64 v[5:6], -v[5:6], v[12:13], v[10:11]
	v_div_fmas_f64 v[5:6], v[5:6], v[7:8], v[12:13]
	v_div_fixup_f64 v[5:6], v[5:6], v[3:4], v[1:2]
	v_fma_f64 v[1:2], v[1:2], v[5:6], v[3:4]
	v_div_scale_f64 v[3:4], s[10:11], v[1:2], v[1:2], 1.0
	v_div_scale_f64 v[12:13], vcc, 1.0, v[1:2], 1.0
	v_rcp_f64_e32 v[7:8], v[3:4]
	v_fma_f64 v[10:11], -v[3:4], v[7:8], 1.0
	v_fma_f64 v[7:8], v[7:8], v[10:11], v[7:8]
	v_fma_f64 v[10:11], -v[3:4], v[7:8], 1.0
	v_fma_f64 v[7:8], v[7:8], v[10:11], v[7:8]
	v_mul_f64 v[10:11], v[12:13], v[7:8]
	v_fma_f64 v[3:4], -v[3:4], v[10:11], v[12:13]
	v_div_fmas_f64 v[3:4], v[3:4], v[7:8], v[10:11]
	v_div_fixup_f64 v[7:8], v[3:4], v[1:2], 1.0
                                        ; implicit-def: $vgpr1_vgpr2
	v_mul_f64 v[5:6], v[5:6], v[7:8]
	v_xor_b32_e32 v8, 0x80000000, v8
.LBB121_135:
	s_andn2_saveexec_b64 s[6:7], s[6:7]
	s_cbranch_execz .LBB121_137
; %bb.136:
	v_div_scale_f64 v[5:6], s[10:11], v[1:2], v[1:2], v[3:4]
	v_rcp_f64_e32 v[7:8], v[5:6]
	v_fma_f64 v[10:11], -v[5:6], v[7:8], 1.0
	v_fma_f64 v[7:8], v[7:8], v[10:11], v[7:8]
	v_div_scale_f64 v[10:11], vcc, v[3:4], v[1:2], v[3:4]
	v_fma_f64 v[12:13], -v[5:6], v[7:8], 1.0
	v_fma_f64 v[7:8], v[7:8], v[12:13], v[7:8]
	v_mul_f64 v[12:13], v[10:11], v[7:8]
	v_fma_f64 v[5:6], -v[5:6], v[12:13], v[10:11]
	v_div_fmas_f64 v[5:6], v[5:6], v[7:8], v[12:13]
	v_div_fixup_f64 v[7:8], v[5:6], v[1:2], v[3:4]
	v_fma_f64 v[1:2], v[3:4], v[7:8], v[1:2]
	v_div_scale_f64 v[3:4], s[10:11], v[1:2], v[1:2], 1.0
	v_div_scale_f64 v[12:13], vcc, 1.0, v[1:2], 1.0
	v_rcp_f64_e32 v[5:6], v[3:4]
	v_fma_f64 v[10:11], -v[3:4], v[5:6], 1.0
	v_fma_f64 v[5:6], v[5:6], v[10:11], v[5:6]
	v_fma_f64 v[10:11], -v[3:4], v[5:6], 1.0
	v_fma_f64 v[5:6], v[5:6], v[10:11], v[5:6]
	v_mul_f64 v[10:11], v[12:13], v[5:6]
	v_fma_f64 v[3:4], -v[3:4], v[10:11], v[12:13]
	v_div_fmas_f64 v[3:4], v[3:4], v[5:6], v[10:11]
	v_div_fixup_f64 v[5:6], v[3:4], v[1:2], 1.0
	v_mul_f64 v[7:8], v[7:8], -v[5:6]
.LBB121_137:
	s_or_b64 exec, exec, s[6:7]
	ds_write2_b64 v125, v[5:6], v[7:8] offset1:1
.LBB121_138:
	s_or_b64 exec, exec, s[8:9]
	buffer_store_dword v20, off, s[0:3], 0 offset:1872 ; 4-byte Folded Spill
	s_nop 0
	buffer_store_dword v21, off, s[0:3], 0 offset:1876 ; 4-byte Folded Spill
	buffer_store_dword v22, off, s[0:3], 0 offset:1880 ; 4-byte Folded Spill
	;; [unrolled: 1-line block ×3, first 2 shown]
	s_waitcnt vmcnt(0) lgkmcnt(0)
	s_barrier
	ds_read2_b64 v[1:4], v125 offset1:1
	v_cmp_lt_u32_e32 vcc, 10, v0
	s_waitcnt lgkmcnt(0)
	buffer_store_dword v1, off, s[0:3], 0 offset:1536 ; 4-byte Folded Spill
	s_nop 0
	buffer_store_dword v2, off, s[0:3], 0 offset:1540 ; 4-byte Folded Spill
	buffer_store_dword v3, off, s[0:3], 0 offset:1544 ; 4-byte Folded Spill
	;; [unrolled: 1-line block ×3, first 2 shown]
	s_and_saveexec_b64 s[6:7], vcc
	s_cbranch_execz .LBB121_141
; %bb.139:
	buffer_load_dword v1, off, s[0:3], 0 offset:168
	buffer_load_dword v2, off, s[0:3], 0 offset:172
	;; [unrolled: 1-line block ×4, first 2 shown]
	buffer_load_dword v10, off, s[0:3], 0 offset:1536 ; 4-byte Folded Reload
	buffer_load_dword v11, off, s[0:3], 0 offset:1540 ; 4-byte Folded Reload
	;; [unrolled: 1-line block ×4, first 2 shown]
	s_movk_i32 s8, 0xb0
	s_waitcnt vmcnt(0)
	v_mul_f64 v[5:6], v[12:13], v[1:2]
	v_mul_f64 v[1:2], v[10:11], v[1:2]
	v_fma_f64 v[5:6], v[10:11], v[3:4], -v[5:6]
	v_fma_f64 v[1:2], v[12:13], v[3:4], v[1:2]
	buffer_store_dword v5, off, s[0:3], 0 offset:160
	buffer_store_dword v6, off, s[0:3], 0 offset:164
	;; [unrolled: 1-line block ×4, first 2 shown]
.LBB121_140:                            ; =>This Inner Loop Header: Depth=1
	buffer_load_dword v7, off, s[0:3], 0 offset:168
	buffer_load_dword v8, off, s[0:3], 0 offset:172
	buffer_load_dword v10, off, s[0:3], 0 offset:160
	buffer_load_dword v11, off, s[0:3], 0 offset:164
	v_mov_b32_e32 v1, s8
	buffer_load_dword v12, v1, s[0:3], 0 offen
	buffer_load_dword v13, v1, s[0:3], 0 offen offset:4
	buffer_load_dword v14, v1, s[0:3], 0 offen offset:8
	;; [unrolled: 1-line block ×3, first 2 shown]
	v_add_u32_e32 v2, s8, v117
	ds_read2_b64 v[3:6], v2 offset1:1
	buffer_load_dword v16, v1, s[0:3], 0 offen offset:16
	buffer_load_dword v17, v1, s[0:3], 0 offen offset:20
	;; [unrolled: 1-line block ×3, first 2 shown]
	s_addk_i32 s8, 0x50
	s_cmpk_lg_i32 s8, 0x3d0
	s_waitcnt vmcnt(9) lgkmcnt(0)
	v_mul_f64 v[19:20], v[5:6], v[7:8]
	v_mul_f64 v[7:8], v[3:4], v[7:8]
	s_waitcnt vmcnt(7)
	v_fma_f64 v[3:4], v[3:4], v[10:11], -v[19:20]
	v_fma_f64 v[5:6], v[5:6], v[10:11], v[7:8]
	s_waitcnt vmcnt(5)
	v_add_f64 v[3:4], v[12:13], -v[3:4]
	s_waitcnt vmcnt(3)
	v_add_f64 v[5:6], v[14:15], -v[5:6]
	buffer_store_dword v4, v1, s[0:3], 0 offen offset:4
	buffer_store_dword v3, v1, s[0:3], 0 offen
	buffer_store_dword v6, v1, s[0:3], 0 offen offset:12
	buffer_store_dword v5, v1, s[0:3], 0 offen offset:8
	buffer_load_dword v8, off, s[0:3], 0 offset:172
	buffer_load_dword v7, off, s[0:3], 0 offset:168
	buffer_load_dword v11, off, s[0:3], 0 offset:164
	buffer_load_dword v10, off, s[0:3], 0 offset:160
	buffer_load_dword v19, v1, s[0:3], 0 offen offset:28
	ds_read2_b64 v[3:6], v2 offset0:2 offset1:3
	buffer_load_dword v12, v1, s[0:3], 0 offen offset:32
	buffer_load_dword v13, v1, s[0:3], 0 offen offset:36
	;; [unrolled: 1-line block ×3, first 2 shown]
	s_waitcnt vmcnt(6) lgkmcnt(0)
	v_mul_f64 v[20:21], v[5:6], v[7:8]
	v_mul_f64 v[7:8], v[3:4], v[7:8]
	s_waitcnt vmcnt(4)
	v_fma_f64 v[3:4], v[3:4], v[10:11], -v[20:21]
	v_fma_f64 v[5:6], v[5:6], v[10:11], v[7:8]
	v_add_f64 v[3:4], v[16:17], -v[3:4]
	s_waitcnt vmcnt(3)
	v_add_f64 v[5:6], v[18:19], -v[5:6]
	buffer_store_dword v4, v1, s[0:3], 0 offen offset:20
	buffer_store_dword v3, v1, s[0:3], 0 offen offset:16
	;; [unrolled: 1-line block ×4, first 2 shown]
	buffer_load_dword v7, off, s[0:3], 0 offset:168
	buffer_load_dword v8, off, s[0:3], 0 offset:172
	buffer_load_dword v10, off, s[0:3], 0 offset:160
	buffer_load_dword v11, off, s[0:3], 0 offset:164
	buffer_load_dword v15, v1, s[0:3], 0 offen offset:44
	ds_read2_b64 v[3:6], v2 offset0:4 offset1:5
	buffer_load_dword v16, v1, s[0:3], 0 offen offset:48
	s_waitcnt vmcnt(4) lgkmcnt(0)
	v_mul_f64 v[17:18], v[5:6], v[7:8]
	v_mul_f64 v[7:8], v[3:4], v[7:8]
	s_waitcnt vmcnt(2)
	v_fma_f64 v[3:4], v[3:4], v[10:11], -v[17:18]
	v_fma_f64 v[5:6], v[5:6], v[10:11], v[7:8]
	v_add_f64 v[3:4], v[12:13], -v[3:4]
	s_waitcnt vmcnt(1)
	v_add_f64 v[5:6], v[14:15], -v[5:6]
	buffer_store_dword v4, v1, s[0:3], 0 offen offset:36
	buffer_store_dword v3, v1, s[0:3], 0 offen offset:32
	;; [unrolled: 1-line block ×4, first 2 shown]
	buffer_load_dword v7, off, s[0:3], 0 offset:168
	buffer_load_dword v8, off, s[0:3], 0 offset:172
	;; [unrolled: 1-line block ×4, first 2 shown]
	buffer_load_dword v17, v1, s[0:3], 0 offen offset:52
	buffer_load_dword v12, v1, s[0:3], 0 offen offset:56
	;; [unrolled: 1-line block ×3, first 2 shown]
	ds_read2_b64 v[3:6], v2 offset0:6 offset1:7
	s_waitcnt vmcnt(5) lgkmcnt(0)
	v_mul_f64 v[14:15], v[5:6], v[7:8]
	v_mul_f64 v[7:8], v[3:4], v[7:8]
	s_waitcnt vmcnt(3)
	v_fma_f64 v[3:4], v[3:4], v[10:11], -v[14:15]
	v_fma_f64 v[5:6], v[5:6], v[10:11], v[7:8]
	s_waitcnt vmcnt(2)
	v_add_f64 v[3:4], v[16:17], -v[3:4]
	s_waitcnt vmcnt(0)
	v_add_f64 v[5:6], v[12:13], -v[5:6]
	buffer_store_dword v4, v1, s[0:3], 0 offen offset:52
	buffer_store_dword v3, v1, s[0:3], 0 offen offset:48
	;; [unrolled: 1-line block ×4, first 2 shown]
	buffer_load_dword v6, off, s[0:3], 0 offset:168
	s_nop 0
	buffer_load_dword v7, off, s[0:3], 0 offset:172
	buffer_load_dword v10, off, s[0:3], 0 offset:160
	buffer_load_dword v11, off, s[0:3], 0 offset:164
	buffer_load_dword v12, v1, s[0:3], 0 offen offset:64
	buffer_load_dword v13, v1, s[0:3], 0 offen offset:68
	;; [unrolled: 1-line block ×4, first 2 shown]
	ds_read2_b64 v[2:5], v2 offset0:8 offset1:9
	s_waitcnt vmcnt(6) lgkmcnt(0)
	v_mul_f64 v[16:17], v[4:5], v[6:7]
	v_mul_f64 v[6:7], v[2:3], v[6:7]
	s_waitcnt vmcnt(4)
	v_fma_f64 v[2:3], v[2:3], v[10:11], -v[16:17]
	v_fma_f64 v[4:5], v[4:5], v[10:11], v[6:7]
	s_waitcnt vmcnt(2)
	v_add_f64 v[2:3], v[12:13], -v[2:3]
	s_waitcnt vmcnt(0)
	v_add_f64 v[4:5], v[14:15], -v[4:5]
	buffer_store_dword v3, v1, s[0:3], 0 offen offset:68
	buffer_store_dword v2, v1, s[0:3], 0 offen offset:64
	;; [unrolled: 1-line block ×4, first 2 shown]
	s_cbranch_scc1 .LBB121_140
.LBB121_141:
	s_or_b64 exec, exec, s[6:7]
	v_cmp_eq_u32_e32 vcc, 11, v0
	s_waitcnt vmcnt(0)
	s_barrier
	s_and_saveexec_b64 s[8:9], vcc
	s_cbranch_execz .LBB121_150
; %bb.142:
	v_mov_b32_e32 v4, s85
	buffer_load_dword v1, v4, s[0:3], 0 offen
	buffer_load_dword v2, v4, s[0:3], 0 offen offset:4
	buffer_load_dword v3, v4, s[0:3], 0 offen offset:8
	s_nop 0
	buffer_load_dword v4, v4, s[0:3], 0 offen offset:12
	s_movk_i32 s6, 0xc0
	s_waitcnt vmcnt(0)
	ds_write2_b64 v125, v[1:2], v[3:4] offset1:1
.LBB121_143:                            ; =>This Inner Loop Header: Depth=1
	v_mov_b32_e32 v18, s6
	buffer_load_dword v1, v18, s[0:3], 0 offen
	buffer_load_dword v2, v18, s[0:3], 0 offen offset:4
	buffer_load_dword v3, v18, s[0:3], 0 offen offset:8
	;; [unrolled: 1-line block ×15, first 2 shown]
	v_add_u32_e32 v19, s6, v117
	s_addk_i32 s6, 0x70
	s_cmpk_lg_i32 s6, 0x3d0
	s_waitcnt vmcnt(12)
	ds_write2_b64 v19, v[1:2], v[3:4] offset1:1
	s_waitcnt vmcnt(8)
	ds_write2_b64 v19, v[5:6], v[7:8] offset0:2 offset1:3
	s_waitcnt vmcnt(4)
	ds_write2_b64 v19, v[10:11], v[12:13] offset0:4 offset1:5
	;; [unrolled: 2-line block ×3, first 2 shown]
	buffer_load_dword v2, v18, s[0:3], 0 offen offset:76
	buffer_load_dword v1, v18, s[0:3], 0 offen offset:72
	buffer_load_dword v4, v18, s[0:3], 0 offen offset:68
	buffer_load_dword v3, v18, s[0:3], 0 offen offset:64
	s_waitcnt vmcnt(0)
	ds_write2_b64 v19, v[3:4], v[1:2] offset0:8 offset1:9
	buffer_load_dword v2, v18, s[0:3], 0 offen offset:92
	buffer_load_dword v1, v18, s[0:3], 0 offen offset:88
	buffer_load_dword v4, v18, s[0:3], 0 offen offset:84
	buffer_load_dword v3, v18, s[0:3], 0 offen offset:80
	s_waitcnt vmcnt(0)
	ds_write2_b64 v19, v[3:4], v[1:2] offset0:10 offset1:11
	;; [unrolled: 6-line block ×3, first 2 shown]
	s_cbranch_scc1 .LBB121_143
; %bb.144:
	ds_read2_b64 v[1:4], v125 offset1:1
	s_waitcnt lgkmcnt(0)
	v_cmp_neq_f64_e32 vcc, 0, v[1:2]
	v_cmp_neq_f64_e64 s[6:7], 0, v[3:4]
	s_or_b64 s[6:7], vcc, s[6:7]
	s_and_b64 exec, exec, s[6:7]
	s_cbranch_execz .LBB121_150
; %bb.145:
	v_cmp_ngt_f64_e64 s[6:7], |v[1:2]|, |v[3:4]|
                                        ; implicit-def: $vgpr5_vgpr6
	s_and_saveexec_b64 s[10:11], s[6:7]
	s_xor_b64 s[6:7], exec, s[10:11]
                                        ; implicit-def: $vgpr7_vgpr8
	s_cbranch_execz .LBB121_147
; %bb.146:
	v_div_scale_f64 v[5:6], s[10:11], v[3:4], v[3:4], v[1:2]
	v_rcp_f64_e32 v[7:8], v[5:6]
	v_fma_f64 v[10:11], -v[5:6], v[7:8], 1.0
	v_fma_f64 v[7:8], v[7:8], v[10:11], v[7:8]
	v_div_scale_f64 v[10:11], vcc, v[1:2], v[3:4], v[1:2]
	v_fma_f64 v[12:13], -v[5:6], v[7:8], 1.0
	v_fma_f64 v[7:8], v[7:8], v[12:13], v[7:8]
	v_mul_f64 v[12:13], v[10:11], v[7:8]
	v_fma_f64 v[5:6], -v[5:6], v[12:13], v[10:11]
	v_div_fmas_f64 v[5:6], v[5:6], v[7:8], v[12:13]
	v_div_fixup_f64 v[5:6], v[5:6], v[3:4], v[1:2]
	v_fma_f64 v[1:2], v[1:2], v[5:6], v[3:4]
	v_div_scale_f64 v[3:4], s[10:11], v[1:2], v[1:2], 1.0
	v_div_scale_f64 v[12:13], vcc, 1.0, v[1:2], 1.0
	v_rcp_f64_e32 v[7:8], v[3:4]
	v_fma_f64 v[10:11], -v[3:4], v[7:8], 1.0
	v_fma_f64 v[7:8], v[7:8], v[10:11], v[7:8]
	v_fma_f64 v[10:11], -v[3:4], v[7:8], 1.0
	v_fma_f64 v[7:8], v[7:8], v[10:11], v[7:8]
	v_mul_f64 v[10:11], v[12:13], v[7:8]
	v_fma_f64 v[3:4], -v[3:4], v[10:11], v[12:13]
	v_div_fmas_f64 v[3:4], v[3:4], v[7:8], v[10:11]
	v_div_fixup_f64 v[7:8], v[3:4], v[1:2], 1.0
                                        ; implicit-def: $vgpr1_vgpr2
	v_mul_f64 v[5:6], v[5:6], v[7:8]
	v_xor_b32_e32 v8, 0x80000000, v8
.LBB121_147:
	s_andn2_saveexec_b64 s[6:7], s[6:7]
	s_cbranch_execz .LBB121_149
; %bb.148:
	v_div_scale_f64 v[5:6], s[10:11], v[1:2], v[1:2], v[3:4]
	v_rcp_f64_e32 v[7:8], v[5:6]
	v_fma_f64 v[10:11], -v[5:6], v[7:8], 1.0
	v_fma_f64 v[7:8], v[7:8], v[10:11], v[7:8]
	v_div_scale_f64 v[10:11], vcc, v[3:4], v[1:2], v[3:4]
	v_fma_f64 v[12:13], -v[5:6], v[7:8], 1.0
	v_fma_f64 v[7:8], v[7:8], v[12:13], v[7:8]
	v_mul_f64 v[12:13], v[10:11], v[7:8]
	v_fma_f64 v[5:6], -v[5:6], v[12:13], v[10:11]
	v_div_fmas_f64 v[5:6], v[5:6], v[7:8], v[12:13]
	v_div_fixup_f64 v[7:8], v[5:6], v[1:2], v[3:4]
	v_fma_f64 v[1:2], v[3:4], v[7:8], v[1:2]
	v_div_scale_f64 v[3:4], s[10:11], v[1:2], v[1:2], 1.0
	v_div_scale_f64 v[12:13], vcc, 1.0, v[1:2], 1.0
	v_rcp_f64_e32 v[5:6], v[3:4]
	v_fma_f64 v[10:11], -v[3:4], v[5:6], 1.0
	v_fma_f64 v[5:6], v[5:6], v[10:11], v[5:6]
	v_fma_f64 v[10:11], -v[3:4], v[5:6], 1.0
	v_fma_f64 v[5:6], v[5:6], v[10:11], v[5:6]
	v_mul_f64 v[10:11], v[12:13], v[5:6]
	v_fma_f64 v[3:4], -v[3:4], v[10:11], v[12:13]
	v_div_fmas_f64 v[3:4], v[3:4], v[5:6], v[10:11]
	v_div_fixup_f64 v[5:6], v[3:4], v[1:2], 1.0
	v_mul_f64 v[7:8], v[7:8], -v[5:6]
.LBB121_149:
	s_or_b64 exec, exec, s[6:7]
	ds_write2_b64 v125, v[5:6], v[7:8] offset1:1
.LBB121_150:
	s_or_b64 exec, exec, s[8:9]
	s_waitcnt lgkmcnt(0)
	s_barrier
	ds_read2_b64 v[1:4], v125 offset1:1
	v_cmp_lt_u32_e32 vcc, 11, v0
	s_waitcnt lgkmcnt(0)
	buffer_store_dword v1, off, s[0:3], 0 offset:1552 ; 4-byte Folded Spill
	s_nop 0
	buffer_store_dword v2, off, s[0:3], 0 offset:1556 ; 4-byte Folded Spill
	buffer_store_dword v3, off, s[0:3], 0 offset:1560 ; 4-byte Folded Spill
	;; [unrolled: 1-line block ×3, first 2 shown]
	s_and_saveexec_b64 s[6:7], vcc
	s_cbranch_execz .LBB121_153
; %bb.151:
	buffer_load_dword v1, off, s[0:3], 0 offset:184
	buffer_load_dword v2, off, s[0:3], 0 offset:188
	;; [unrolled: 1-line block ×4, first 2 shown]
	buffer_load_dword v10, off, s[0:3], 0 offset:1552 ; 4-byte Folded Reload
	buffer_load_dword v11, off, s[0:3], 0 offset:1556 ; 4-byte Folded Reload
	;; [unrolled: 1-line block ×4, first 2 shown]
	s_movk_i32 s8, 0xc0
	s_waitcnt vmcnt(0)
	v_mul_f64 v[5:6], v[12:13], v[1:2]
	v_mul_f64 v[1:2], v[10:11], v[1:2]
	v_fma_f64 v[5:6], v[10:11], v[3:4], -v[5:6]
	v_fma_f64 v[1:2], v[12:13], v[3:4], v[1:2]
	buffer_store_dword v5, off, s[0:3], 0 offset:176
	buffer_store_dword v6, off, s[0:3], 0 offset:180
	;; [unrolled: 1-line block ×4, first 2 shown]
.LBB121_152:                            ; =>This Inner Loop Header: Depth=1
	buffer_load_dword v7, off, s[0:3], 0 offset:184
	buffer_load_dword v8, off, s[0:3], 0 offset:188
	;; [unrolled: 1-line block ×4, first 2 shown]
	v_mov_b32_e32 v1, s8
	buffer_load_dword v12, v1, s[0:3], 0 offen
	buffer_load_dword v13, v1, s[0:3], 0 offen offset:4
	buffer_load_dword v14, v1, s[0:3], 0 offen offset:8
	;; [unrolled: 1-line block ×3, first 2 shown]
	v_add_u32_e32 v2, s8, v117
	ds_read2_b64 v[3:6], v2 offset1:1
	buffer_load_dword v16, v1, s[0:3], 0 offen offset:16
	buffer_load_dword v17, v1, s[0:3], 0 offen offset:20
	;; [unrolled: 1-line block ×3, first 2 shown]
	s_addk_i32 s8, 0x70
	s_cmpk_lg_i32 s8, 0x3d0
	s_waitcnt vmcnt(9) lgkmcnt(0)
	v_mul_f64 v[19:20], v[5:6], v[7:8]
	v_mul_f64 v[7:8], v[3:4], v[7:8]
	s_waitcnt vmcnt(7)
	v_fma_f64 v[3:4], v[3:4], v[10:11], -v[19:20]
	v_fma_f64 v[5:6], v[5:6], v[10:11], v[7:8]
	s_waitcnt vmcnt(5)
	v_add_f64 v[3:4], v[12:13], -v[3:4]
	s_waitcnt vmcnt(3)
	v_add_f64 v[5:6], v[14:15], -v[5:6]
	buffer_store_dword v4, v1, s[0:3], 0 offen offset:4
	buffer_store_dword v3, v1, s[0:3], 0 offen
	buffer_store_dword v6, v1, s[0:3], 0 offen offset:12
	buffer_store_dword v5, v1, s[0:3], 0 offen offset:8
	buffer_load_dword v8, off, s[0:3], 0 offset:188
	buffer_load_dword v7, off, s[0:3], 0 offset:184
	buffer_load_dword v11, off, s[0:3], 0 offset:180
	buffer_load_dword v10, off, s[0:3], 0 offset:176
	buffer_load_dword v19, v1, s[0:3], 0 offen offset:28
	ds_read2_b64 v[3:6], v2 offset0:2 offset1:3
	buffer_load_dword v12, v1, s[0:3], 0 offen offset:32
	buffer_load_dword v13, v1, s[0:3], 0 offen offset:36
	buffer_load_dword v14, v1, s[0:3], 0 offen offset:40
	s_waitcnt vmcnt(6) lgkmcnt(0)
	v_mul_f64 v[20:21], v[5:6], v[7:8]
	v_mul_f64 v[7:8], v[3:4], v[7:8]
	s_waitcnt vmcnt(4)
	v_fma_f64 v[3:4], v[3:4], v[10:11], -v[20:21]
	v_fma_f64 v[5:6], v[5:6], v[10:11], v[7:8]
	v_add_f64 v[3:4], v[16:17], -v[3:4]
	s_waitcnt vmcnt(3)
	v_add_f64 v[5:6], v[18:19], -v[5:6]
	buffer_store_dword v4, v1, s[0:3], 0 offen offset:20
	buffer_store_dword v3, v1, s[0:3], 0 offen offset:16
	buffer_store_dword v6, v1, s[0:3], 0 offen offset:28
	buffer_store_dword v5, v1, s[0:3], 0 offen offset:24
	buffer_load_dword v7, off, s[0:3], 0 offset:184
	buffer_load_dword v8, off, s[0:3], 0 offset:188
	buffer_load_dword v10, off, s[0:3], 0 offset:176
	buffer_load_dword v11, off, s[0:3], 0 offset:180
	buffer_load_dword v15, v1, s[0:3], 0 offen offset:44
	ds_read2_b64 v[3:6], v2 offset0:4 offset1:5
	buffer_load_dword v16, v1, s[0:3], 0 offen offset:48
	buffer_load_dword v17, v1, s[0:3], 0 offen offset:52
	buffer_load_dword v18, v1, s[0:3], 0 offen offset:56
	s_waitcnt vmcnt(6) lgkmcnt(0)
	v_mul_f64 v[19:20], v[5:6], v[7:8]
	v_mul_f64 v[7:8], v[3:4], v[7:8]
	s_waitcnt vmcnt(4)
	v_fma_f64 v[3:4], v[3:4], v[10:11], -v[19:20]
	v_fma_f64 v[5:6], v[5:6], v[10:11], v[7:8]
	v_add_f64 v[3:4], v[12:13], -v[3:4]
	s_waitcnt vmcnt(3)
	v_add_f64 v[5:6], v[14:15], -v[5:6]
	buffer_store_dword v4, v1, s[0:3], 0 offen offset:36
	buffer_store_dword v3, v1, s[0:3], 0 offen offset:32
	;; [unrolled: 22-line block ×3, first 2 shown]
	buffer_store_dword v6, v1, s[0:3], 0 offen offset:60
	buffer_store_dword v5, v1, s[0:3], 0 offen offset:56
	buffer_load_dword v7, off, s[0:3], 0 offset:184
	buffer_load_dword v8, off, s[0:3], 0 offset:188
	;; [unrolled: 1-line block ×4, first 2 shown]
	buffer_load_dword v15, v1, s[0:3], 0 offen offset:76
	ds_read2_b64 v[3:6], v2 offset0:8 offset1:9
	buffer_load_dword v16, v1, s[0:3], 0 offen offset:80
	s_waitcnt vmcnt(4) lgkmcnt(0)
	v_mul_f64 v[17:18], v[5:6], v[7:8]
	v_mul_f64 v[7:8], v[3:4], v[7:8]
	s_waitcnt vmcnt(2)
	v_fma_f64 v[3:4], v[3:4], v[10:11], -v[17:18]
	v_fma_f64 v[5:6], v[5:6], v[10:11], v[7:8]
	v_add_f64 v[3:4], v[12:13], -v[3:4]
	s_waitcnt vmcnt(1)
	v_add_f64 v[5:6], v[14:15], -v[5:6]
	buffer_store_dword v4, v1, s[0:3], 0 offen offset:68
	buffer_store_dword v3, v1, s[0:3], 0 offen offset:64
	;; [unrolled: 1-line block ×4, first 2 shown]
	buffer_load_dword v7, off, s[0:3], 0 offset:184
	buffer_load_dword v8, off, s[0:3], 0 offset:188
	buffer_load_dword v10, off, s[0:3], 0 offset:176
	buffer_load_dword v11, off, s[0:3], 0 offset:180
	buffer_load_dword v17, v1, s[0:3], 0 offen offset:84
	buffer_load_dword v12, v1, s[0:3], 0 offen offset:88
	;; [unrolled: 1-line block ×3, first 2 shown]
	ds_read2_b64 v[3:6], v2 offset0:10 offset1:11
	s_waitcnt vmcnt(5) lgkmcnt(0)
	v_mul_f64 v[14:15], v[5:6], v[7:8]
	v_mul_f64 v[7:8], v[3:4], v[7:8]
	s_waitcnt vmcnt(3)
	v_fma_f64 v[3:4], v[3:4], v[10:11], -v[14:15]
	v_fma_f64 v[5:6], v[5:6], v[10:11], v[7:8]
	s_waitcnt vmcnt(2)
	v_add_f64 v[3:4], v[16:17], -v[3:4]
	s_waitcnt vmcnt(0)
	v_add_f64 v[5:6], v[12:13], -v[5:6]
	buffer_store_dword v4, v1, s[0:3], 0 offen offset:84
	buffer_store_dword v3, v1, s[0:3], 0 offen offset:80
	;; [unrolled: 1-line block ×4, first 2 shown]
	buffer_load_dword v6, off, s[0:3], 0 offset:184
	s_nop 0
	buffer_load_dword v7, off, s[0:3], 0 offset:188
	buffer_load_dword v10, off, s[0:3], 0 offset:176
	;; [unrolled: 1-line block ×3, first 2 shown]
	buffer_load_dword v12, v1, s[0:3], 0 offen offset:96
	buffer_load_dword v13, v1, s[0:3], 0 offen offset:100
	;; [unrolled: 1-line block ×4, first 2 shown]
	ds_read2_b64 v[2:5], v2 offset0:12 offset1:13
	s_waitcnt vmcnt(6) lgkmcnt(0)
	v_mul_f64 v[16:17], v[4:5], v[6:7]
	v_mul_f64 v[6:7], v[2:3], v[6:7]
	s_waitcnt vmcnt(4)
	v_fma_f64 v[2:3], v[2:3], v[10:11], -v[16:17]
	v_fma_f64 v[4:5], v[4:5], v[10:11], v[6:7]
	s_waitcnt vmcnt(2)
	v_add_f64 v[2:3], v[12:13], -v[2:3]
	s_waitcnt vmcnt(0)
	v_add_f64 v[4:5], v[14:15], -v[4:5]
	buffer_store_dword v3, v1, s[0:3], 0 offen offset:100
	buffer_store_dword v2, v1, s[0:3], 0 offen offset:96
	;; [unrolled: 1-line block ×4, first 2 shown]
	s_cbranch_scc1 .LBB121_152
.LBB121_153:
	s_or_b64 exec, exec, s[6:7]
	v_cmp_eq_u32_e32 vcc, 12, v0
	s_waitcnt vmcnt(0)
	s_barrier
	s_and_saveexec_b64 s[8:9], vcc
	s_cbranch_execz .LBB121_162
; %bb.154:
	v_mov_b32_e32 v4, s84
	buffer_load_dword v1, v4, s[0:3], 0 offen
	buffer_load_dword v2, v4, s[0:3], 0 offen offset:4
	buffer_load_dword v3, v4, s[0:3], 0 offen offset:8
	s_nop 0
	buffer_load_dword v4, v4, s[0:3], 0 offen offset:12
	s_movk_i32 s6, 0xd0
	s_waitcnt vmcnt(0)
	ds_write2_b64 v125, v[1:2], v[3:4] offset1:1
.LBB121_155:                            ; =>This Inner Loop Header: Depth=1
	v_mov_b32_e32 v18, s6
	buffer_load_dword v1, v18, s[0:3], 0 offen
	buffer_load_dword v2, v18, s[0:3], 0 offen offset:4
	buffer_load_dword v3, v18, s[0:3], 0 offen offset:8
	;; [unrolled: 1-line block ×15, first 2 shown]
	v_add_u32_e32 v19, s6, v117
	s_addk_i32 s6, 0x100
	s_cmpk_lg_i32 s6, 0x3d0
	s_waitcnt vmcnt(12)
	ds_write2_b64 v19, v[1:2], v[3:4] offset1:1
	s_waitcnt vmcnt(8)
	ds_write2_b64 v19, v[5:6], v[7:8] offset0:2 offset1:3
	s_waitcnt vmcnt(4)
	ds_write2_b64 v19, v[10:11], v[12:13] offset0:4 offset1:5
	;; [unrolled: 2-line block ×3, first 2 shown]
	buffer_load_dword v2, v18, s[0:3], 0 offen offset:76
	buffer_load_dword v1, v18, s[0:3], 0 offen offset:72
	buffer_load_dword v4, v18, s[0:3], 0 offen offset:68
	buffer_load_dword v3, v18, s[0:3], 0 offen offset:64
	s_waitcnt vmcnt(0)
	ds_write2_b64 v19, v[3:4], v[1:2] offset0:8 offset1:9
	buffer_load_dword v2, v18, s[0:3], 0 offen offset:92
	buffer_load_dword v1, v18, s[0:3], 0 offen offset:88
	buffer_load_dword v4, v18, s[0:3], 0 offen offset:84
	buffer_load_dword v3, v18, s[0:3], 0 offen offset:80
	s_waitcnt vmcnt(0)
	ds_write2_b64 v19, v[3:4], v[1:2] offset0:10 offset1:11
	;; [unrolled: 6-line block ×12, first 2 shown]
	s_cbranch_scc1 .LBB121_155
; %bb.156:
	ds_read2_b64 v[1:4], v125 offset1:1
	s_waitcnt lgkmcnt(0)
	v_cmp_neq_f64_e32 vcc, 0, v[1:2]
	v_cmp_neq_f64_e64 s[6:7], 0, v[3:4]
	s_or_b64 s[6:7], vcc, s[6:7]
	s_and_b64 exec, exec, s[6:7]
	s_cbranch_execz .LBB121_162
; %bb.157:
	v_cmp_ngt_f64_e64 s[6:7], |v[1:2]|, |v[3:4]|
                                        ; implicit-def: $vgpr5_vgpr6
	s_and_saveexec_b64 s[10:11], s[6:7]
	s_xor_b64 s[6:7], exec, s[10:11]
                                        ; implicit-def: $vgpr7_vgpr8
	s_cbranch_execz .LBB121_159
; %bb.158:
	v_div_scale_f64 v[5:6], s[10:11], v[3:4], v[3:4], v[1:2]
	v_rcp_f64_e32 v[7:8], v[5:6]
	v_fma_f64 v[10:11], -v[5:6], v[7:8], 1.0
	v_fma_f64 v[7:8], v[7:8], v[10:11], v[7:8]
	v_div_scale_f64 v[10:11], vcc, v[1:2], v[3:4], v[1:2]
	v_fma_f64 v[12:13], -v[5:6], v[7:8], 1.0
	v_fma_f64 v[7:8], v[7:8], v[12:13], v[7:8]
	v_mul_f64 v[12:13], v[10:11], v[7:8]
	v_fma_f64 v[5:6], -v[5:6], v[12:13], v[10:11]
	v_div_fmas_f64 v[5:6], v[5:6], v[7:8], v[12:13]
	v_div_fixup_f64 v[5:6], v[5:6], v[3:4], v[1:2]
	v_fma_f64 v[1:2], v[1:2], v[5:6], v[3:4]
	v_div_scale_f64 v[3:4], s[10:11], v[1:2], v[1:2], 1.0
	v_div_scale_f64 v[12:13], vcc, 1.0, v[1:2], 1.0
	v_rcp_f64_e32 v[7:8], v[3:4]
	v_fma_f64 v[10:11], -v[3:4], v[7:8], 1.0
	v_fma_f64 v[7:8], v[7:8], v[10:11], v[7:8]
	v_fma_f64 v[10:11], -v[3:4], v[7:8], 1.0
	v_fma_f64 v[7:8], v[7:8], v[10:11], v[7:8]
	v_mul_f64 v[10:11], v[12:13], v[7:8]
	v_fma_f64 v[3:4], -v[3:4], v[10:11], v[12:13]
	v_div_fmas_f64 v[3:4], v[3:4], v[7:8], v[10:11]
	v_div_fixup_f64 v[7:8], v[3:4], v[1:2], 1.0
                                        ; implicit-def: $vgpr1_vgpr2
	v_mul_f64 v[5:6], v[5:6], v[7:8]
	v_xor_b32_e32 v8, 0x80000000, v8
.LBB121_159:
	s_andn2_saveexec_b64 s[6:7], s[6:7]
	s_cbranch_execz .LBB121_161
; %bb.160:
	v_div_scale_f64 v[5:6], s[10:11], v[1:2], v[1:2], v[3:4]
	v_rcp_f64_e32 v[7:8], v[5:6]
	v_fma_f64 v[10:11], -v[5:6], v[7:8], 1.0
	v_fma_f64 v[7:8], v[7:8], v[10:11], v[7:8]
	v_div_scale_f64 v[10:11], vcc, v[3:4], v[1:2], v[3:4]
	v_fma_f64 v[12:13], -v[5:6], v[7:8], 1.0
	v_fma_f64 v[7:8], v[7:8], v[12:13], v[7:8]
	v_mul_f64 v[12:13], v[10:11], v[7:8]
	v_fma_f64 v[5:6], -v[5:6], v[12:13], v[10:11]
	v_div_fmas_f64 v[5:6], v[5:6], v[7:8], v[12:13]
	v_div_fixup_f64 v[7:8], v[5:6], v[1:2], v[3:4]
	v_fma_f64 v[1:2], v[3:4], v[7:8], v[1:2]
	v_div_scale_f64 v[3:4], s[10:11], v[1:2], v[1:2], 1.0
	v_div_scale_f64 v[12:13], vcc, 1.0, v[1:2], 1.0
	v_rcp_f64_e32 v[5:6], v[3:4]
	v_fma_f64 v[10:11], -v[3:4], v[5:6], 1.0
	v_fma_f64 v[5:6], v[5:6], v[10:11], v[5:6]
	v_fma_f64 v[10:11], -v[3:4], v[5:6], 1.0
	v_fma_f64 v[5:6], v[5:6], v[10:11], v[5:6]
	v_mul_f64 v[10:11], v[12:13], v[5:6]
	v_fma_f64 v[3:4], -v[3:4], v[10:11], v[12:13]
	v_div_fmas_f64 v[3:4], v[3:4], v[5:6], v[10:11]
	v_div_fixup_f64 v[5:6], v[3:4], v[1:2], 1.0
	v_mul_f64 v[7:8], v[7:8], -v[5:6]
.LBB121_161:
	s_or_b64 exec, exec, s[6:7]
	ds_write2_b64 v125, v[5:6], v[7:8] offset1:1
.LBB121_162:
	s_or_b64 exec, exec, s[8:9]
	s_waitcnt lgkmcnt(0)
	s_barrier
	ds_read2_b64 v[1:4], v125 offset1:1
	v_cmp_lt_u32_e32 vcc, 12, v0
	s_waitcnt lgkmcnt(0)
	buffer_store_dword v1, off, s[0:3], 0 offset:1568 ; 4-byte Folded Spill
	s_nop 0
	buffer_store_dword v2, off, s[0:3], 0 offset:1572 ; 4-byte Folded Spill
	buffer_store_dword v3, off, s[0:3], 0 offset:1576 ; 4-byte Folded Spill
	;; [unrolled: 1-line block ×3, first 2 shown]
	s_and_saveexec_b64 s[6:7], vcc
	s_cbranch_execz .LBB121_165
; %bb.163:
	buffer_load_dword v1, off, s[0:3], 0 offset:200
	buffer_load_dword v2, off, s[0:3], 0 offset:204
	;; [unrolled: 1-line block ×4, first 2 shown]
	buffer_load_dword v10, off, s[0:3], 0 offset:1568 ; 4-byte Folded Reload
	buffer_load_dword v11, off, s[0:3], 0 offset:1572 ; 4-byte Folded Reload
	;; [unrolled: 1-line block ×4, first 2 shown]
	s_movk_i32 s8, 0xd0
	s_waitcnt vmcnt(0)
	v_mul_f64 v[5:6], v[12:13], v[1:2]
	v_mul_f64 v[1:2], v[10:11], v[1:2]
	v_fma_f64 v[5:6], v[10:11], v[3:4], -v[5:6]
	v_fma_f64 v[1:2], v[12:13], v[3:4], v[1:2]
	buffer_store_dword v5, off, s[0:3], 0 offset:192
	buffer_store_dword v6, off, s[0:3], 0 offset:196
	;; [unrolled: 1-line block ×4, first 2 shown]
.LBB121_164:                            ; =>This Inner Loop Header: Depth=1
	buffer_load_dword v7, off, s[0:3], 0 offset:200
	buffer_load_dword v8, off, s[0:3], 0 offset:204
	;; [unrolled: 1-line block ×4, first 2 shown]
	v_mov_b32_e32 v1, s8
	buffer_load_dword v12, v1, s[0:3], 0 offen
	buffer_load_dword v13, v1, s[0:3], 0 offen offset:4
	buffer_load_dword v14, v1, s[0:3], 0 offen offset:8
	;; [unrolled: 1-line block ×3, first 2 shown]
	v_add_u32_e32 v2, s8, v117
	ds_read2_b64 v[3:6], v2 offset1:1
	buffer_load_dword v16, v1, s[0:3], 0 offen offset:16
	buffer_load_dword v17, v1, s[0:3], 0 offen offset:20
	;; [unrolled: 1-line block ×3, first 2 shown]
	s_addk_i32 s8, 0x60
	s_cmpk_lg_i32 s8, 0x3d0
	s_waitcnt vmcnt(9) lgkmcnt(0)
	v_mul_f64 v[19:20], v[5:6], v[7:8]
	v_mul_f64 v[7:8], v[3:4], v[7:8]
	s_waitcnt vmcnt(7)
	v_fma_f64 v[3:4], v[3:4], v[10:11], -v[19:20]
	v_fma_f64 v[5:6], v[5:6], v[10:11], v[7:8]
	s_waitcnt vmcnt(5)
	v_add_f64 v[3:4], v[12:13], -v[3:4]
	s_waitcnt vmcnt(3)
	v_add_f64 v[5:6], v[14:15], -v[5:6]
	buffer_store_dword v4, v1, s[0:3], 0 offen offset:4
	buffer_store_dword v3, v1, s[0:3], 0 offen
	buffer_store_dword v6, v1, s[0:3], 0 offen offset:12
	buffer_store_dword v5, v1, s[0:3], 0 offen offset:8
	buffer_load_dword v8, off, s[0:3], 0 offset:204
	buffer_load_dword v7, off, s[0:3], 0 offset:200
	;; [unrolled: 1-line block ×4, first 2 shown]
	buffer_load_dword v19, v1, s[0:3], 0 offen offset:28
	ds_read2_b64 v[3:6], v2 offset0:2 offset1:3
	buffer_load_dword v12, v1, s[0:3], 0 offen offset:32
	buffer_load_dword v13, v1, s[0:3], 0 offen offset:36
	;; [unrolled: 1-line block ×3, first 2 shown]
	s_waitcnt vmcnt(6) lgkmcnt(0)
	v_mul_f64 v[20:21], v[5:6], v[7:8]
	v_mul_f64 v[7:8], v[3:4], v[7:8]
	s_waitcnt vmcnt(4)
	v_fma_f64 v[3:4], v[3:4], v[10:11], -v[20:21]
	v_fma_f64 v[5:6], v[5:6], v[10:11], v[7:8]
	v_add_f64 v[3:4], v[16:17], -v[3:4]
	s_waitcnt vmcnt(3)
	v_add_f64 v[5:6], v[18:19], -v[5:6]
	buffer_store_dword v4, v1, s[0:3], 0 offen offset:20
	buffer_store_dword v3, v1, s[0:3], 0 offen offset:16
	;; [unrolled: 1-line block ×4, first 2 shown]
	buffer_load_dword v7, off, s[0:3], 0 offset:200
	buffer_load_dword v8, off, s[0:3], 0 offset:204
	;; [unrolled: 1-line block ×4, first 2 shown]
	buffer_load_dword v15, v1, s[0:3], 0 offen offset:44
	ds_read2_b64 v[3:6], v2 offset0:4 offset1:5
	buffer_load_dword v16, v1, s[0:3], 0 offen offset:48
	buffer_load_dword v17, v1, s[0:3], 0 offen offset:52
	;; [unrolled: 1-line block ×3, first 2 shown]
	s_waitcnt vmcnt(6) lgkmcnt(0)
	v_mul_f64 v[19:20], v[5:6], v[7:8]
	v_mul_f64 v[7:8], v[3:4], v[7:8]
	s_waitcnt vmcnt(4)
	v_fma_f64 v[3:4], v[3:4], v[10:11], -v[19:20]
	v_fma_f64 v[5:6], v[5:6], v[10:11], v[7:8]
	v_add_f64 v[3:4], v[12:13], -v[3:4]
	s_waitcnt vmcnt(3)
	v_add_f64 v[5:6], v[14:15], -v[5:6]
	buffer_store_dword v4, v1, s[0:3], 0 offen offset:36
	buffer_store_dword v3, v1, s[0:3], 0 offen offset:32
	;; [unrolled: 1-line block ×4, first 2 shown]
	buffer_load_dword v7, off, s[0:3], 0 offset:200
	buffer_load_dword v8, off, s[0:3], 0 offset:204
	;; [unrolled: 1-line block ×4, first 2 shown]
	buffer_load_dword v19, v1, s[0:3], 0 offen offset:60
	ds_read2_b64 v[3:6], v2 offset0:6 offset1:7
	buffer_load_dword v12, v1, s[0:3], 0 offen offset:64
	s_waitcnt vmcnt(4) lgkmcnt(0)
	v_mul_f64 v[13:14], v[5:6], v[7:8]
	v_mul_f64 v[7:8], v[3:4], v[7:8]
	s_waitcnt vmcnt(2)
	v_fma_f64 v[3:4], v[3:4], v[10:11], -v[13:14]
	v_fma_f64 v[5:6], v[5:6], v[10:11], v[7:8]
	v_add_f64 v[3:4], v[16:17], -v[3:4]
	s_waitcnt vmcnt(1)
	v_add_f64 v[5:6], v[18:19], -v[5:6]
	buffer_store_dword v4, v1, s[0:3], 0 offen offset:52
	buffer_store_dword v3, v1, s[0:3], 0 offen offset:48
	;; [unrolled: 1-line block ×4, first 2 shown]
	buffer_load_dword v7, off, s[0:3], 0 offset:200
	buffer_load_dword v8, off, s[0:3], 0 offset:204
	;; [unrolled: 1-line block ×4, first 2 shown]
	buffer_load_dword v13, v1, s[0:3], 0 offen offset:68
	buffer_load_dword v14, v1, s[0:3], 0 offen offset:72
	;; [unrolled: 1-line block ×3, first 2 shown]
	ds_read2_b64 v[3:6], v2 offset0:8 offset1:9
	s_waitcnt vmcnt(5) lgkmcnt(0)
	v_mul_f64 v[16:17], v[5:6], v[7:8]
	v_mul_f64 v[7:8], v[3:4], v[7:8]
	s_waitcnt vmcnt(3)
	v_fma_f64 v[3:4], v[3:4], v[10:11], -v[16:17]
	v_fma_f64 v[5:6], v[5:6], v[10:11], v[7:8]
	s_waitcnt vmcnt(2)
	v_add_f64 v[3:4], v[12:13], -v[3:4]
	s_waitcnt vmcnt(0)
	v_add_f64 v[5:6], v[14:15], -v[5:6]
	buffer_store_dword v4, v1, s[0:3], 0 offen offset:68
	buffer_store_dword v3, v1, s[0:3], 0 offen offset:64
	;; [unrolled: 1-line block ×4, first 2 shown]
	buffer_load_dword v6, off, s[0:3], 0 offset:200
	s_nop 0
	buffer_load_dword v7, off, s[0:3], 0 offset:204
	buffer_load_dword v10, off, s[0:3], 0 offset:192
	;; [unrolled: 1-line block ×3, first 2 shown]
	buffer_load_dword v12, v1, s[0:3], 0 offen offset:80
	buffer_load_dword v13, v1, s[0:3], 0 offen offset:84
	;; [unrolled: 1-line block ×4, first 2 shown]
	ds_read2_b64 v[2:5], v2 offset0:10 offset1:11
	s_waitcnt vmcnt(6) lgkmcnt(0)
	v_mul_f64 v[16:17], v[4:5], v[6:7]
	v_mul_f64 v[6:7], v[2:3], v[6:7]
	s_waitcnt vmcnt(4)
	v_fma_f64 v[2:3], v[2:3], v[10:11], -v[16:17]
	v_fma_f64 v[4:5], v[4:5], v[10:11], v[6:7]
	s_waitcnt vmcnt(2)
	v_add_f64 v[2:3], v[12:13], -v[2:3]
	s_waitcnt vmcnt(0)
	v_add_f64 v[4:5], v[14:15], -v[4:5]
	buffer_store_dword v3, v1, s[0:3], 0 offen offset:84
	buffer_store_dword v2, v1, s[0:3], 0 offen offset:80
	;; [unrolled: 1-line block ×4, first 2 shown]
	s_cbranch_scc1 .LBB121_164
.LBB121_165:
	s_or_b64 exec, exec, s[6:7]
	v_cmp_eq_u32_e32 vcc, 13, v0
	s_waitcnt vmcnt(0)
	s_barrier
	s_and_saveexec_b64 s[8:9], vcc
	s_cbranch_execz .LBB121_176
; %bb.166:
	v_mov_b32_e32 v4, s81
	buffer_load_dword v1, v4, s[0:3], 0 offen
	buffer_load_dword v2, v4, s[0:3], 0 offen offset:4
	buffer_load_dword v3, v4, s[0:3], 0 offen offset:8
	s_nop 0
	buffer_load_dword v4, v4, s[0:3], 0 offen offset:12
	s_movk_i32 s10, 0xe0
	s_waitcnt vmcnt(0)
	ds_write2_b64 v125, v[1:2], v[3:4] offset1:1
	s_branch .LBB121_168
.LBB121_167:                            ;   in Loop: Header=BB121_168 Depth=1
	s_andn2_b64 vcc, exec, s[6:7]
	s_cbranch_vccz .LBB121_170
.LBB121_168:                            ; =>This Inner Loop Header: Depth=1
	v_mov_b32_e32 v8, s10
	buffer_load_dword v2, v8, s[0:3], 0 offen
	buffer_load_dword v3, v8, s[0:3], 0 offen offset:4
	buffer_load_dword v4, v8, s[0:3], 0 offen offset:8
	;; [unrolled: 1-line block ×15, first 2 shown]
	v_add_u32_e32 v1, s10, v117
	s_mov_b32 s11, s10
	s_mov_b64 s[6:7], -1
	s_cmpk_eq_i32 s10, 0x360
	s_waitcnt vmcnt(12)
	ds_write2_b64 v1, v[2:3], v[4:5] offset1:1
	s_waitcnt vmcnt(8)
	ds_write2_b64 v1, v[6:7], v[10:11] offset0:2 offset1:3
	s_waitcnt vmcnt(4)
	ds_write2_b64 v1, v[12:13], v[14:15] offset0:4 offset1:5
	;; [unrolled: 2-line block ×3, first 2 shown]
	buffer_load_dword v3, v8, s[0:3], 0 offen offset:76
	buffer_load_dword v2, v8, s[0:3], 0 offen offset:72
	buffer_load_dword v5, v8, s[0:3], 0 offen offset:68
	buffer_load_dword v4, v8, s[0:3], 0 offen offset:64
	s_waitcnt vmcnt(0)
	ds_write2_b64 v1, v[4:5], v[2:3] offset0:8 offset1:9
	buffer_load_dword v3, v8, s[0:3], 0 offen offset:92
	buffer_load_dword v2, v8, s[0:3], 0 offen offset:88
	buffer_load_dword v5, v8, s[0:3], 0 offen offset:84
	buffer_load_dword v4, v8, s[0:3], 0 offen offset:80
	s_waitcnt vmcnt(0)
	ds_write2_b64 v1, v[4:5], v[2:3] offset0:10 offset1:11
	;; [unrolled: 6-line block ×3, first 2 shown]
	s_cbranch_scc1 .LBB121_167
; %bb.169:                              ;   in Loop: Header=BB121_168 Depth=1
	v_mov_b32_e32 v5, s11
	buffer_load_dword v2, v5, s[0:3], 0 offen offset:112
	buffer_load_dword v3, v5, s[0:3], 0 offen offset:116
	;; [unrolled: 1-line block ×3, first 2 shown]
	s_nop 0
	buffer_load_dword v5, v5, s[0:3], 0 offen offset:124
	s_addk_i32 s10, 0x80
	s_mov_b64 s[6:7], 0
	s_waitcnt vmcnt(0)
	ds_write2_b64 v1, v[2:3], v[4:5] offset0:14 offset1:15
	s_branch .LBB121_167
.LBB121_170:
	ds_read2_b64 v[1:4], v125 offset1:1
	s_waitcnt lgkmcnt(0)
	v_cmp_neq_f64_e32 vcc, 0, v[1:2]
	v_cmp_neq_f64_e64 s[6:7], 0, v[3:4]
	s_or_b64 s[6:7], vcc, s[6:7]
	s_and_b64 exec, exec, s[6:7]
	s_cbranch_execz .LBB121_176
; %bb.171:
	v_cmp_ngt_f64_e64 s[6:7], |v[1:2]|, |v[3:4]|
                                        ; implicit-def: $vgpr5_vgpr6
	s_and_saveexec_b64 s[10:11], s[6:7]
	s_xor_b64 s[6:7], exec, s[10:11]
                                        ; implicit-def: $vgpr7_vgpr8
	s_cbranch_execz .LBB121_173
; %bb.172:
	v_div_scale_f64 v[5:6], s[10:11], v[3:4], v[3:4], v[1:2]
	v_rcp_f64_e32 v[7:8], v[5:6]
	v_fma_f64 v[10:11], -v[5:6], v[7:8], 1.0
	v_fma_f64 v[7:8], v[7:8], v[10:11], v[7:8]
	v_div_scale_f64 v[10:11], vcc, v[1:2], v[3:4], v[1:2]
	v_fma_f64 v[12:13], -v[5:6], v[7:8], 1.0
	v_fma_f64 v[7:8], v[7:8], v[12:13], v[7:8]
	v_mul_f64 v[12:13], v[10:11], v[7:8]
	v_fma_f64 v[5:6], -v[5:6], v[12:13], v[10:11]
	v_div_fmas_f64 v[5:6], v[5:6], v[7:8], v[12:13]
	v_div_fixup_f64 v[5:6], v[5:6], v[3:4], v[1:2]
	v_fma_f64 v[1:2], v[1:2], v[5:6], v[3:4]
	v_div_scale_f64 v[3:4], s[10:11], v[1:2], v[1:2], 1.0
	v_div_scale_f64 v[12:13], vcc, 1.0, v[1:2], 1.0
	v_rcp_f64_e32 v[7:8], v[3:4]
	v_fma_f64 v[10:11], -v[3:4], v[7:8], 1.0
	v_fma_f64 v[7:8], v[7:8], v[10:11], v[7:8]
	v_fma_f64 v[10:11], -v[3:4], v[7:8], 1.0
	v_fma_f64 v[7:8], v[7:8], v[10:11], v[7:8]
	v_mul_f64 v[10:11], v[12:13], v[7:8]
	v_fma_f64 v[3:4], -v[3:4], v[10:11], v[12:13]
	v_div_fmas_f64 v[3:4], v[3:4], v[7:8], v[10:11]
	v_div_fixup_f64 v[7:8], v[3:4], v[1:2], 1.0
                                        ; implicit-def: $vgpr1_vgpr2
	v_mul_f64 v[5:6], v[5:6], v[7:8]
	v_xor_b32_e32 v8, 0x80000000, v8
.LBB121_173:
	s_andn2_saveexec_b64 s[6:7], s[6:7]
	s_cbranch_execz .LBB121_175
; %bb.174:
	v_div_scale_f64 v[5:6], s[10:11], v[1:2], v[1:2], v[3:4]
	v_rcp_f64_e32 v[7:8], v[5:6]
	v_fma_f64 v[10:11], -v[5:6], v[7:8], 1.0
	v_fma_f64 v[7:8], v[7:8], v[10:11], v[7:8]
	v_div_scale_f64 v[10:11], vcc, v[3:4], v[1:2], v[3:4]
	v_fma_f64 v[12:13], -v[5:6], v[7:8], 1.0
	v_fma_f64 v[7:8], v[7:8], v[12:13], v[7:8]
	v_mul_f64 v[12:13], v[10:11], v[7:8]
	v_fma_f64 v[5:6], -v[5:6], v[12:13], v[10:11]
	v_div_fmas_f64 v[5:6], v[5:6], v[7:8], v[12:13]
	v_div_fixup_f64 v[7:8], v[5:6], v[1:2], v[3:4]
	v_fma_f64 v[1:2], v[3:4], v[7:8], v[1:2]
	v_div_scale_f64 v[3:4], s[10:11], v[1:2], v[1:2], 1.0
	v_div_scale_f64 v[12:13], vcc, 1.0, v[1:2], 1.0
	v_rcp_f64_e32 v[5:6], v[3:4]
	v_fma_f64 v[10:11], -v[3:4], v[5:6], 1.0
	v_fma_f64 v[5:6], v[5:6], v[10:11], v[5:6]
	v_fma_f64 v[10:11], -v[3:4], v[5:6], 1.0
	v_fma_f64 v[5:6], v[5:6], v[10:11], v[5:6]
	v_mul_f64 v[10:11], v[12:13], v[5:6]
	v_fma_f64 v[3:4], -v[3:4], v[10:11], v[12:13]
	v_div_fmas_f64 v[3:4], v[3:4], v[5:6], v[10:11]
	v_div_fixup_f64 v[5:6], v[3:4], v[1:2], 1.0
	v_mul_f64 v[7:8], v[7:8], -v[5:6]
.LBB121_175:
	s_or_b64 exec, exec, s[6:7]
	ds_write2_b64 v125, v[5:6], v[7:8] offset1:1
.LBB121_176:
	s_or_b64 exec, exec, s[8:9]
	s_waitcnt lgkmcnt(0)
	s_barrier
	ds_read2_b64 v[20:23], v125 offset1:1
	v_cmp_lt_u32_e32 vcc, 13, v0
	s_and_saveexec_b64 s[6:7], vcc
	s_cbranch_execz .LBB121_181
; %bb.177:
	buffer_load_dword v1, off, s[0:3], 0 offset:216
	buffer_load_dword v2, off, s[0:3], 0 offset:220
	;; [unrolled: 1-line block ×4, first 2 shown]
	s_movk_i32 s10, 0xe0
	s_waitcnt vmcnt(2) lgkmcnt(0)
	v_mul_f64 v[5:6], v[22:23], v[1:2]
	v_mul_f64 v[7:8], v[20:21], v[1:2]
	s_waitcnt vmcnt(0)
	v_fma_f64 v[1:2], v[20:21], v[3:4], -v[5:6]
	v_fma_f64 v[3:4], v[22:23], v[3:4], v[7:8]
	buffer_store_dword v1, off, s[0:3], 0 offset:208
	buffer_store_dword v2, off, s[0:3], 0 offset:212
	;; [unrolled: 1-line block ×4, first 2 shown]
	s_branch .LBB121_179
.LBB121_178:                            ;   in Loop: Header=BB121_179 Depth=1
	s_andn2_b64 vcc, exec, s[8:9]
	s_cbranch_vccz .LBB121_181
.LBB121_179:                            ; =>This Inner Loop Header: Depth=1
	v_mov_b32_e32 v8, s10
	buffer_load_dword v6, v8, s[0:3], 0 offen
	buffer_load_dword v7, v8, s[0:3], 0 offen offset:4
	buffer_load_dword v14, v8, s[0:3], 0 offen offset:8
	;; [unrolled: 1-line block ×3, first 2 shown]
	v_add_u32_e32 v5, s10, v117
	ds_read2_b64 v[10:13], v5 offset1:1
	s_mov_b32 s11, s10
	s_cmpk_eq_i32 s10, 0x3a0
	s_mov_b64 s[8:9], -1
	s_waitcnt vmcnt(4) lgkmcnt(0)
	v_mul_f64 v[16:17], v[12:13], v[3:4]
	v_mul_f64 v[3:4], v[10:11], v[3:4]
	v_fma_f64 v[10:11], v[10:11], v[1:2], -v[16:17]
	v_fma_f64 v[1:2], v[12:13], v[1:2], v[3:4]
	s_waitcnt vmcnt(2)
	v_add_f64 v[3:4], v[6:7], -v[10:11]
	s_waitcnt vmcnt(0)
	v_add_f64 v[1:2], v[14:15], -v[1:2]
	buffer_store_dword v4, v8, s[0:3], 0 offen offset:4
	buffer_store_dword v3, v8, s[0:3], 0 offen
	buffer_store_dword v2, v8, s[0:3], 0 offen offset:12
	buffer_store_dword v1, v8, s[0:3], 0 offen offset:8
	buffer_load_dword v7, off, s[0:3], 0 offset:220
	buffer_load_dword v6, off, s[0:3], 0 offset:216
	;; [unrolled: 1-line block ×4, first 2 shown]
	buffer_load_dword v13, v8, s[0:3], 0 offen offset:20
	buffer_load_dword v12, v8, s[0:3], 0 offen offset:16
	;; [unrolled: 1-line block ×4, first 2 shown]
	ds_read2_b64 v[1:4], v5 offset0:2 offset1:3
	s_waitcnt vmcnt(6) lgkmcnt(0)
	v_mul_f64 v[16:17], v[3:4], v[6:7]
	v_mul_f64 v[6:7], v[1:2], v[6:7]
	s_waitcnt vmcnt(4)
	v_fma_f64 v[1:2], v[1:2], v[10:11], -v[16:17]
	v_fma_f64 v[3:4], v[3:4], v[10:11], v[6:7]
	s_waitcnt vmcnt(2)
	v_add_f64 v[1:2], v[12:13], -v[1:2]
	s_waitcnt vmcnt(0)
	v_add_f64 v[3:4], v[14:15], -v[3:4]
	buffer_store_dword v2, v8, s[0:3], 0 offen offset:20
	buffer_store_dword v1, v8, s[0:3], 0 offen offset:16
	;; [unrolled: 1-line block ×4, first 2 shown]
	buffer_load_dword v6, off, s[0:3], 0 offset:216
	buffer_load_dword v7, off, s[0:3], 0 offset:220
	;; [unrolled: 1-line block ×4, first 2 shown]
	buffer_load_dword v13, v8, s[0:3], 0 offen offset:36
	buffer_load_dword v12, v8, s[0:3], 0 offen offset:32
	;; [unrolled: 1-line block ×4, first 2 shown]
	ds_read2_b64 v[1:4], v5 offset0:4 offset1:5
	s_waitcnt vmcnt(6) lgkmcnt(0)
	v_mul_f64 v[16:17], v[3:4], v[6:7]
	v_mul_f64 v[6:7], v[1:2], v[6:7]
	s_waitcnt vmcnt(4)
	v_fma_f64 v[1:2], v[1:2], v[10:11], -v[16:17]
	v_fma_f64 v[3:4], v[3:4], v[10:11], v[6:7]
	s_waitcnt vmcnt(2)
	v_add_f64 v[1:2], v[12:13], -v[1:2]
	s_waitcnt vmcnt(0)
	v_add_f64 v[3:4], v[14:15], -v[3:4]
	buffer_store_dword v2, v8, s[0:3], 0 offen offset:36
	buffer_store_dword v1, v8, s[0:3], 0 offen offset:32
	;; [unrolled: 1-line block ×4, first 2 shown]
                                        ; implicit-def: $vgpr1_vgpr2
                                        ; implicit-def: $vgpr3_vgpr4
	s_cbranch_scc1 .LBB121_178
; %bb.180:                              ;   in Loop: Header=BB121_179 Depth=1
	ds_read2_b64 v[1:4], v5 offset0:6 offset1:7
	buffer_load_dword v5, off, s[0:3], 0 offset:208
	buffer_load_dword v6, off, s[0:3], 0 offset:212
	;; [unrolled: 1-line block ×4, first 2 shown]
	s_add_i32 s10, s10, 64
	s_mov_b64 s[8:9], 0
	s_waitcnt vmcnt(0) lgkmcnt(0)
	v_mul_f64 v[10:11], v[3:4], v[7:8]
	v_fma_f64 v[10:11], v[1:2], v[5:6], -v[10:11]
	v_mul_f64 v[1:2], v[1:2], v[7:8]
	v_mov_b32_e32 v7, s11
	v_fma_f64 v[1:2], v[3:4], v[5:6], v[1:2]
	buffer_load_dword v3, v7, s[0:3], 0 offen offset:48
	buffer_load_dword v4, v7, s[0:3], 0 offen offset:52
	;; [unrolled: 1-line block ×4, first 2 shown]
	s_waitcnt vmcnt(2)
	v_add_f64 v[3:4], v[3:4], -v[10:11]
	s_waitcnt vmcnt(0)
	v_add_f64 v[1:2], v[5:6], -v[1:2]
	buffer_store_dword v4, v7, s[0:3], 0 offen offset:52
	buffer_store_dword v3, v7, s[0:3], 0 offen offset:48
	;; [unrolled: 1-line block ×4, first 2 shown]
	buffer_load_dword v2, off, s[0:3], 0 offset:212
	s_nop 0
	buffer_load_dword v1, off, s[0:3], 0 offset:208
	buffer_load_dword v4, off, s[0:3], 0 offset:220
	;; [unrolled: 1-line block ×3, first 2 shown]
	s_branch .LBB121_178
.LBB121_181:
	s_or_b64 exec, exec, s[6:7]
	v_cmp_eq_u32_e32 vcc, 14, v0
	s_waitcnt vmcnt(0) lgkmcnt(0)
	s_barrier
	s_and_saveexec_b64 s[8:9], vcc
	s_cbranch_execz .LBB121_190
; %bb.182:
	v_mov_b32_e32 v4, s73
	buffer_load_dword v1, v4, s[0:3], 0 offen
	buffer_load_dword v2, v4, s[0:3], 0 offen offset:4
	buffer_load_dword v3, v4, s[0:3], 0 offen offset:8
	s_nop 0
	buffer_load_dword v4, v4, s[0:3], 0 offen offset:12
	s_movk_i32 s6, 0xf0
	s_waitcnt vmcnt(0)
	ds_write2_b64 v125, v[1:2], v[3:4] offset1:1
.LBB121_183:                            ; =>This Inner Loop Header: Depth=1
	v_mov_b32_e32 v8, s6
	buffer_load_dword v1, v8, s[0:3], 0 offen
	buffer_load_dword v2, v8, s[0:3], 0 offen offset:4
	buffer_load_dword v3, v8, s[0:3], 0 offen offset:8
	;; [unrolled: 1-line block ×6, first 2 shown]
	s_nop 0
	buffer_load_dword v8, v8, s[0:3], 0 offen offset:28
	v_add_u32_e32 v10, s6, v117
	s_add_i32 s6, s6, 32
	s_cmpk_lg_i32 s6, 0x3d0
	s_waitcnt vmcnt(4)
	ds_write2_b64 v10, v[1:2], v[3:4] offset1:1
	s_waitcnt vmcnt(0)
	ds_write2_b64 v10, v[5:6], v[7:8] offset0:2 offset1:3
	s_cbranch_scc1 .LBB121_183
; %bb.184:
	ds_read2_b64 v[1:4], v125 offset1:1
	s_waitcnt lgkmcnt(0)
	v_cmp_neq_f64_e32 vcc, 0, v[1:2]
	v_cmp_neq_f64_e64 s[6:7], 0, v[3:4]
	s_or_b64 s[6:7], vcc, s[6:7]
	s_and_b64 exec, exec, s[6:7]
	s_cbranch_execz .LBB121_190
; %bb.185:
	v_cmp_ngt_f64_e64 s[6:7], |v[1:2]|, |v[3:4]|
                                        ; implicit-def: $vgpr5_vgpr6
	s_and_saveexec_b64 s[10:11], s[6:7]
	s_xor_b64 s[6:7], exec, s[10:11]
                                        ; implicit-def: $vgpr7_vgpr8
	s_cbranch_execz .LBB121_187
; %bb.186:
	v_div_scale_f64 v[5:6], s[10:11], v[3:4], v[3:4], v[1:2]
	v_rcp_f64_e32 v[7:8], v[5:6]
	v_fma_f64 v[10:11], -v[5:6], v[7:8], 1.0
	v_fma_f64 v[7:8], v[7:8], v[10:11], v[7:8]
	v_div_scale_f64 v[10:11], vcc, v[1:2], v[3:4], v[1:2]
	v_fma_f64 v[12:13], -v[5:6], v[7:8], 1.0
	v_fma_f64 v[7:8], v[7:8], v[12:13], v[7:8]
	v_mul_f64 v[12:13], v[10:11], v[7:8]
	v_fma_f64 v[5:6], -v[5:6], v[12:13], v[10:11]
	v_div_fmas_f64 v[5:6], v[5:6], v[7:8], v[12:13]
	v_div_fixup_f64 v[5:6], v[5:6], v[3:4], v[1:2]
	v_fma_f64 v[1:2], v[1:2], v[5:6], v[3:4]
	v_div_scale_f64 v[3:4], s[10:11], v[1:2], v[1:2], 1.0
	v_div_scale_f64 v[12:13], vcc, 1.0, v[1:2], 1.0
	v_rcp_f64_e32 v[7:8], v[3:4]
	v_fma_f64 v[10:11], -v[3:4], v[7:8], 1.0
	v_fma_f64 v[7:8], v[7:8], v[10:11], v[7:8]
	v_fma_f64 v[10:11], -v[3:4], v[7:8], 1.0
	v_fma_f64 v[7:8], v[7:8], v[10:11], v[7:8]
	v_mul_f64 v[10:11], v[12:13], v[7:8]
	v_fma_f64 v[3:4], -v[3:4], v[10:11], v[12:13]
	v_div_fmas_f64 v[3:4], v[3:4], v[7:8], v[10:11]
	v_div_fixup_f64 v[7:8], v[3:4], v[1:2], 1.0
                                        ; implicit-def: $vgpr1_vgpr2
	v_mul_f64 v[5:6], v[5:6], v[7:8]
	v_xor_b32_e32 v8, 0x80000000, v8
.LBB121_187:
	s_andn2_saveexec_b64 s[6:7], s[6:7]
	s_cbranch_execz .LBB121_189
; %bb.188:
	v_div_scale_f64 v[5:6], s[10:11], v[1:2], v[1:2], v[3:4]
	v_rcp_f64_e32 v[7:8], v[5:6]
	v_fma_f64 v[10:11], -v[5:6], v[7:8], 1.0
	v_fma_f64 v[7:8], v[7:8], v[10:11], v[7:8]
	v_div_scale_f64 v[10:11], vcc, v[3:4], v[1:2], v[3:4]
	v_fma_f64 v[12:13], -v[5:6], v[7:8], 1.0
	v_fma_f64 v[7:8], v[7:8], v[12:13], v[7:8]
	v_mul_f64 v[12:13], v[10:11], v[7:8]
	v_fma_f64 v[5:6], -v[5:6], v[12:13], v[10:11]
	v_div_fmas_f64 v[5:6], v[5:6], v[7:8], v[12:13]
	v_div_fixup_f64 v[7:8], v[5:6], v[1:2], v[3:4]
	v_fma_f64 v[1:2], v[3:4], v[7:8], v[1:2]
	v_div_scale_f64 v[3:4], s[10:11], v[1:2], v[1:2], 1.0
	v_div_scale_f64 v[12:13], vcc, 1.0, v[1:2], 1.0
	v_rcp_f64_e32 v[5:6], v[3:4]
	v_fma_f64 v[10:11], -v[3:4], v[5:6], 1.0
	v_fma_f64 v[5:6], v[5:6], v[10:11], v[5:6]
	v_fma_f64 v[10:11], -v[3:4], v[5:6], 1.0
	v_fma_f64 v[5:6], v[5:6], v[10:11], v[5:6]
	v_mul_f64 v[10:11], v[12:13], v[5:6]
	v_fma_f64 v[3:4], -v[3:4], v[10:11], v[12:13]
	v_div_fmas_f64 v[3:4], v[3:4], v[5:6], v[10:11]
	v_div_fixup_f64 v[5:6], v[3:4], v[1:2], 1.0
	v_mul_f64 v[7:8], v[7:8], -v[5:6]
.LBB121_189:
	s_or_b64 exec, exec, s[6:7]
	ds_write2_b64 v125, v[5:6], v[7:8] offset1:1
.LBB121_190:
	s_or_b64 exec, exec, s[8:9]
	s_waitcnt lgkmcnt(0)
	s_barrier
	ds_read2_b64 v[1:4], v125 offset1:1
	v_cmp_lt_u32_e32 vcc, 14, v0
	s_waitcnt lgkmcnt(0)
	buffer_store_dword v1, off, s[0:3], 0 offset:1584 ; 4-byte Folded Spill
	s_nop 0
	buffer_store_dword v2, off, s[0:3], 0 offset:1588 ; 4-byte Folded Spill
	buffer_store_dword v3, off, s[0:3], 0 offset:1592 ; 4-byte Folded Spill
	;; [unrolled: 1-line block ×3, first 2 shown]
	s_and_saveexec_b64 s[6:7], vcc
	s_cbranch_execz .LBB121_193
; %bb.191:
	buffer_load_dword v1, off, s[0:3], 0 offset:232
	buffer_load_dword v2, off, s[0:3], 0 offset:236
	;; [unrolled: 1-line block ×4, first 2 shown]
	buffer_load_dword v10, off, s[0:3], 0 offset:1584 ; 4-byte Folded Reload
	buffer_load_dword v11, off, s[0:3], 0 offset:1588 ; 4-byte Folded Reload
	;; [unrolled: 1-line block ×4, first 2 shown]
	s_movk_i32 s8, 0xf0
	s_waitcnt vmcnt(0)
	v_mul_f64 v[5:6], v[12:13], v[1:2]
	v_mul_f64 v[1:2], v[10:11], v[1:2]
	v_fma_f64 v[5:6], v[10:11], v[3:4], -v[5:6]
	v_fma_f64 v[1:2], v[12:13], v[3:4], v[1:2]
	buffer_store_dword v5, off, s[0:3], 0 offset:224
	buffer_store_dword v6, off, s[0:3], 0 offset:228
	buffer_store_dword v1, off, s[0:3], 0 offset:232
	buffer_store_dword v2, off, s[0:3], 0 offset:236
.LBB121_192:                            ; =>This Inner Loop Header: Depth=1
	v_add_u32_e32 v14, s8, v117
	ds_read2_b64 v[1:4], v14 offset1:1
	buffer_load_dword v5, off, s[0:3], 0 offset:224
	buffer_load_dword v6, off, s[0:3], 0 offset:228
	;; [unrolled: 1-line block ×4, first 2 shown]
	v_mov_b32_e32 v16, s8
	s_add_i32 s8, s8, 32
	s_cmpk_lg_i32 s8, 0x3d0
	s_waitcnt vmcnt(0) lgkmcnt(0)
	v_mul_f64 v[10:11], v[3:4], v[7:8]
	v_fma_f64 v[10:11], v[1:2], v[5:6], -v[10:11]
	v_mul_f64 v[1:2], v[1:2], v[7:8]
	v_fma_f64 v[1:2], v[3:4], v[5:6], v[1:2]
	buffer_load_dword v3, v16, s[0:3], 0 offen
	buffer_load_dword v4, v16, s[0:3], 0 offen offset:4
	buffer_load_dword v5, v16, s[0:3], 0 offen offset:8
	;; [unrolled: 1-line block ×7, first 2 shown]
	s_waitcnt vmcnt(6)
	v_add_f64 v[3:4], v[3:4], -v[10:11]
	s_waitcnt vmcnt(4)
	v_add_f64 v[1:2], v[5:6], -v[1:2]
	buffer_store_dword v4, v16, s[0:3], 0 offen offset:4
	buffer_store_dword v3, v16, s[0:3], 0 offen
	buffer_store_dword v2, v16, s[0:3], 0 offen offset:12
	buffer_store_dword v1, v16, s[0:3], 0 offen offset:8
	ds_read2_b64 v[1:4], v14 offset0:2 offset1:3
	buffer_load_dword v6, off, s[0:3], 0 offset:228
	buffer_load_dword v5, off, s[0:3], 0 offset:224
	;; [unrolled: 1-line block ×4, first 2 shown]
	s_waitcnt vmcnt(0) lgkmcnt(0)
	v_mul_f64 v[14:15], v[3:4], v[10:11]
	v_fma_f64 v[14:15], v[1:2], v[5:6], -v[14:15]
	v_mul_f64 v[1:2], v[1:2], v[10:11]
	v_fma_f64 v[1:2], v[3:4], v[5:6], v[1:2]
	v_add_f64 v[3:4], v[7:8], -v[14:15]
	v_add_f64 v[1:2], v[12:13], -v[1:2]
	buffer_store_dword v4, v16, s[0:3], 0 offen offset:20
	buffer_store_dword v3, v16, s[0:3], 0 offen offset:16
	;; [unrolled: 1-line block ×4, first 2 shown]
	s_cbranch_scc1 .LBB121_192
.LBB121_193:
	s_or_b64 exec, exec, s[6:7]
	v_cmp_eq_u32_e32 vcc, 15, v0
	s_waitcnt vmcnt(0)
	s_barrier
	s_and_saveexec_b64 s[8:9], vcc
	s_cbranch_execz .LBB121_202
; %bb.194:
	v_mov_b32_e32 v4, s80
	buffer_load_dword v1, v4, s[0:3], 0 offen
	buffer_load_dword v2, v4, s[0:3], 0 offen offset:4
	buffer_load_dword v3, v4, s[0:3], 0 offen offset:8
	s_nop 0
	buffer_load_dword v4, v4, s[0:3], 0 offen offset:12
	s_movk_i32 s6, 0x100
	s_waitcnt vmcnt(0)
	ds_write2_b64 v125, v[1:2], v[3:4] offset1:1
.LBB121_195:                            ; =>This Inner Loop Header: Depth=1
	v_mov_b32_e32 v18, s6
	buffer_load_dword v1, v18, s[0:3], 0 offen
	buffer_load_dword v2, v18, s[0:3], 0 offen offset:4
	buffer_load_dword v3, v18, s[0:3], 0 offen offset:8
	;; [unrolled: 1-line block ×15, first 2 shown]
	v_add_u32_e32 v19, s6, v117
	s_addk_i32 s6, 0xf0
	s_cmpk_lg_i32 s6, 0x3d0
	s_waitcnt vmcnt(12)
	ds_write2_b64 v19, v[1:2], v[3:4] offset1:1
	s_waitcnt vmcnt(8)
	ds_write2_b64 v19, v[5:6], v[7:8] offset0:2 offset1:3
	s_waitcnt vmcnt(4)
	ds_write2_b64 v19, v[10:11], v[12:13] offset0:4 offset1:5
	;; [unrolled: 2-line block ×3, first 2 shown]
	buffer_load_dword v2, v18, s[0:3], 0 offen offset:76
	buffer_load_dword v1, v18, s[0:3], 0 offen offset:72
	buffer_load_dword v4, v18, s[0:3], 0 offen offset:68
	buffer_load_dword v3, v18, s[0:3], 0 offen offset:64
	s_waitcnt vmcnt(0)
	ds_write2_b64 v19, v[3:4], v[1:2] offset0:8 offset1:9
	buffer_load_dword v2, v18, s[0:3], 0 offen offset:92
	buffer_load_dword v1, v18, s[0:3], 0 offen offset:88
	buffer_load_dword v4, v18, s[0:3], 0 offen offset:84
	buffer_load_dword v3, v18, s[0:3], 0 offen offset:80
	s_waitcnt vmcnt(0)
	ds_write2_b64 v19, v[3:4], v[1:2] offset0:10 offset1:11
	;; [unrolled: 6-line block ×11, first 2 shown]
	s_cbranch_scc1 .LBB121_195
; %bb.196:
	ds_read2_b64 v[1:4], v125 offset1:1
	s_waitcnt lgkmcnt(0)
	v_cmp_neq_f64_e32 vcc, 0, v[1:2]
	v_cmp_neq_f64_e64 s[6:7], 0, v[3:4]
	s_or_b64 s[6:7], vcc, s[6:7]
	s_and_b64 exec, exec, s[6:7]
	s_cbranch_execz .LBB121_202
; %bb.197:
	v_cmp_ngt_f64_e64 s[6:7], |v[1:2]|, |v[3:4]|
                                        ; implicit-def: $vgpr5_vgpr6
	s_and_saveexec_b64 s[10:11], s[6:7]
	s_xor_b64 s[6:7], exec, s[10:11]
                                        ; implicit-def: $vgpr7_vgpr8
	s_cbranch_execz .LBB121_199
; %bb.198:
	v_div_scale_f64 v[5:6], s[10:11], v[3:4], v[3:4], v[1:2]
	v_rcp_f64_e32 v[7:8], v[5:6]
	v_fma_f64 v[10:11], -v[5:6], v[7:8], 1.0
	v_fma_f64 v[7:8], v[7:8], v[10:11], v[7:8]
	v_div_scale_f64 v[10:11], vcc, v[1:2], v[3:4], v[1:2]
	v_fma_f64 v[12:13], -v[5:6], v[7:8], 1.0
	v_fma_f64 v[7:8], v[7:8], v[12:13], v[7:8]
	v_mul_f64 v[12:13], v[10:11], v[7:8]
	v_fma_f64 v[5:6], -v[5:6], v[12:13], v[10:11]
	v_div_fmas_f64 v[5:6], v[5:6], v[7:8], v[12:13]
	v_div_fixup_f64 v[5:6], v[5:6], v[3:4], v[1:2]
	v_fma_f64 v[1:2], v[1:2], v[5:6], v[3:4]
	v_div_scale_f64 v[3:4], s[10:11], v[1:2], v[1:2], 1.0
	v_div_scale_f64 v[12:13], vcc, 1.0, v[1:2], 1.0
	v_rcp_f64_e32 v[7:8], v[3:4]
	v_fma_f64 v[10:11], -v[3:4], v[7:8], 1.0
	v_fma_f64 v[7:8], v[7:8], v[10:11], v[7:8]
	v_fma_f64 v[10:11], -v[3:4], v[7:8], 1.0
	v_fma_f64 v[7:8], v[7:8], v[10:11], v[7:8]
	v_mul_f64 v[10:11], v[12:13], v[7:8]
	v_fma_f64 v[3:4], -v[3:4], v[10:11], v[12:13]
	v_div_fmas_f64 v[3:4], v[3:4], v[7:8], v[10:11]
	v_div_fixup_f64 v[7:8], v[3:4], v[1:2], 1.0
                                        ; implicit-def: $vgpr1_vgpr2
	v_mul_f64 v[5:6], v[5:6], v[7:8]
	v_xor_b32_e32 v8, 0x80000000, v8
.LBB121_199:
	s_andn2_saveexec_b64 s[6:7], s[6:7]
	s_cbranch_execz .LBB121_201
; %bb.200:
	v_div_scale_f64 v[5:6], s[10:11], v[1:2], v[1:2], v[3:4]
	v_rcp_f64_e32 v[7:8], v[5:6]
	v_fma_f64 v[10:11], -v[5:6], v[7:8], 1.0
	v_fma_f64 v[7:8], v[7:8], v[10:11], v[7:8]
	v_div_scale_f64 v[10:11], vcc, v[3:4], v[1:2], v[3:4]
	v_fma_f64 v[12:13], -v[5:6], v[7:8], 1.0
	v_fma_f64 v[7:8], v[7:8], v[12:13], v[7:8]
	v_mul_f64 v[12:13], v[10:11], v[7:8]
	v_fma_f64 v[5:6], -v[5:6], v[12:13], v[10:11]
	v_div_fmas_f64 v[5:6], v[5:6], v[7:8], v[12:13]
	v_div_fixup_f64 v[7:8], v[5:6], v[1:2], v[3:4]
	v_fma_f64 v[1:2], v[3:4], v[7:8], v[1:2]
	v_div_scale_f64 v[3:4], s[10:11], v[1:2], v[1:2], 1.0
	v_div_scale_f64 v[12:13], vcc, 1.0, v[1:2], 1.0
	v_rcp_f64_e32 v[5:6], v[3:4]
	v_fma_f64 v[10:11], -v[3:4], v[5:6], 1.0
	v_fma_f64 v[5:6], v[5:6], v[10:11], v[5:6]
	v_fma_f64 v[10:11], -v[3:4], v[5:6], 1.0
	v_fma_f64 v[5:6], v[5:6], v[10:11], v[5:6]
	v_mul_f64 v[10:11], v[12:13], v[5:6]
	v_fma_f64 v[3:4], -v[3:4], v[10:11], v[12:13]
	v_div_fmas_f64 v[3:4], v[3:4], v[5:6], v[10:11]
	v_div_fixup_f64 v[5:6], v[3:4], v[1:2], 1.0
	v_mul_f64 v[7:8], v[7:8], -v[5:6]
.LBB121_201:
	s_or_b64 exec, exec, s[6:7]
	ds_write2_b64 v125, v[5:6], v[7:8] offset1:1
.LBB121_202:
	s_or_b64 exec, exec, s[8:9]
	buffer_store_dword v20, off, s[0:3], 0 offset:1888 ; 4-byte Folded Spill
	s_nop 0
	buffer_store_dword v21, off, s[0:3], 0 offset:1892 ; 4-byte Folded Spill
	buffer_store_dword v22, off, s[0:3], 0 offset:1896 ; 4-byte Folded Spill
	;; [unrolled: 1-line block ×3, first 2 shown]
	s_waitcnt vmcnt(0) lgkmcnt(0)
	s_barrier
	ds_read2_b64 v[1:4], v125 offset1:1
	v_cmp_lt_u32_e32 vcc, 15, v0
	s_waitcnt lgkmcnt(0)
	buffer_store_dword v1, off, s[0:3], 0 offset:1600 ; 4-byte Folded Spill
	s_nop 0
	buffer_store_dword v2, off, s[0:3], 0 offset:1604 ; 4-byte Folded Spill
	buffer_store_dword v3, off, s[0:3], 0 offset:1608 ; 4-byte Folded Spill
	;; [unrolled: 1-line block ×3, first 2 shown]
	s_and_saveexec_b64 s[6:7], vcc
	s_cbranch_execz .LBB121_205
; %bb.203:
	buffer_load_dword v1, off, s[0:3], 0 offset:248
	buffer_load_dword v2, off, s[0:3], 0 offset:252
	;; [unrolled: 1-line block ×4, first 2 shown]
	buffer_load_dword v10, off, s[0:3], 0 offset:1600 ; 4-byte Folded Reload
	buffer_load_dword v11, off, s[0:3], 0 offset:1604 ; 4-byte Folded Reload
	;; [unrolled: 1-line block ×4, first 2 shown]
	s_movk_i32 s8, 0x100
	s_waitcnt vmcnt(0)
	v_mul_f64 v[5:6], v[12:13], v[1:2]
	v_mul_f64 v[1:2], v[10:11], v[1:2]
	v_fma_f64 v[5:6], v[10:11], v[3:4], -v[5:6]
	v_fma_f64 v[1:2], v[12:13], v[3:4], v[1:2]
	buffer_store_dword v5, off, s[0:3], 0 offset:240
	buffer_store_dword v6, off, s[0:3], 0 offset:244
	;; [unrolled: 1-line block ×4, first 2 shown]
.LBB121_204:                            ; =>This Inner Loop Header: Depth=1
	buffer_load_dword v7, off, s[0:3], 0 offset:248
	buffer_load_dword v8, off, s[0:3], 0 offset:252
	;; [unrolled: 1-line block ×4, first 2 shown]
	v_mov_b32_e32 v1, s8
	buffer_load_dword v12, v1, s[0:3], 0 offen
	buffer_load_dword v13, v1, s[0:3], 0 offen offset:4
	buffer_load_dword v14, v1, s[0:3], 0 offen offset:8
	;; [unrolled: 1-line block ×3, first 2 shown]
	v_add_u32_e32 v2, s8, v117
	ds_read2_b64 v[3:6], v2 offset1:1
	buffer_load_dword v16, v1, s[0:3], 0 offen offset:16
	buffer_load_dword v17, v1, s[0:3], 0 offen offset:20
	;; [unrolled: 1-line block ×3, first 2 shown]
	s_addk_i32 s8, 0x50
	s_cmpk_lg_i32 s8, 0x3d0
	s_waitcnt vmcnt(9) lgkmcnt(0)
	v_mul_f64 v[19:20], v[5:6], v[7:8]
	v_mul_f64 v[7:8], v[3:4], v[7:8]
	s_waitcnt vmcnt(7)
	v_fma_f64 v[3:4], v[3:4], v[10:11], -v[19:20]
	v_fma_f64 v[5:6], v[5:6], v[10:11], v[7:8]
	s_waitcnt vmcnt(5)
	v_add_f64 v[3:4], v[12:13], -v[3:4]
	s_waitcnt vmcnt(3)
	v_add_f64 v[5:6], v[14:15], -v[5:6]
	buffer_store_dword v4, v1, s[0:3], 0 offen offset:4
	buffer_store_dword v3, v1, s[0:3], 0 offen
	buffer_store_dword v6, v1, s[0:3], 0 offen offset:12
	buffer_store_dword v5, v1, s[0:3], 0 offen offset:8
	buffer_load_dword v8, off, s[0:3], 0 offset:252
	buffer_load_dword v7, off, s[0:3], 0 offset:248
	;; [unrolled: 1-line block ×4, first 2 shown]
	buffer_load_dword v19, v1, s[0:3], 0 offen offset:28
	ds_read2_b64 v[3:6], v2 offset0:2 offset1:3
	buffer_load_dword v12, v1, s[0:3], 0 offen offset:32
	buffer_load_dword v13, v1, s[0:3], 0 offen offset:36
	;; [unrolled: 1-line block ×3, first 2 shown]
	s_waitcnt vmcnt(6) lgkmcnt(0)
	v_mul_f64 v[20:21], v[5:6], v[7:8]
	v_mul_f64 v[7:8], v[3:4], v[7:8]
	s_waitcnt vmcnt(4)
	v_fma_f64 v[3:4], v[3:4], v[10:11], -v[20:21]
	v_fma_f64 v[5:6], v[5:6], v[10:11], v[7:8]
	v_add_f64 v[3:4], v[16:17], -v[3:4]
	s_waitcnt vmcnt(3)
	v_add_f64 v[5:6], v[18:19], -v[5:6]
	buffer_store_dword v4, v1, s[0:3], 0 offen offset:20
	buffer_store_dword v3, v1, s[0:3], 0 offen offset:16
	;; [unrolled: 1-line block ×4, first 2 shown]
	buffer_load_dword v7, off, s[0:3], 0 offset:248
	buffer_load_dword v8, off, s[0:3], 0 offset:252
	;; [unrolled: 1-line block ×4, first 2 shown]
	buffer_load_dword v15, v1, s[0:3], 0 offen offset:44
	ds_read2_b64 v[3:6], v2 offset0:4 offset1:5
	buffer_load_dword v16, v1, s[0:3], 0 offen offset:48
	s_waitcnt vmcnt(4) lgkmcnt(0)
	v_mul_f64 v[17:18], v[5:6], v[7:8]
	v_mul_f64 v[7:8], v[3:4], v[7:8]
	s_waitcnt vmcnt(2)
	v_fma_f64 v[3:4], v[3:4], v[10:11], -v[17:18]
	v_fma_f64 v[5:6], v[5:6], v[10:11], v[7:8]
	v_add_f64 v[3:4], v[12:13], -v[3:4]
	s_waitcnt vmcnt(1)
	v_add_f64 v[5:6], v[14:15], -v[5:6]
	buffer_store_dword v4, v1, s[0:3], 0 offen offset:36
	buffer_store_dword v3, v1, s[0:3], 0 offen offset:32
	;; [unrolled: 1-line block ×4, first 2 shown]
	buffer_load_dword v7, off, s[0:3], 0 offset:248
	buffer_load_dword v8, off, s[0:3], 0 offset:252
	;; [unrolled: 1-line block ×4, first 2 shown]
	buffer_load_dword v17, v1, s[0:3], 0 offen offset:52
	buffer_load_dword v12, v1, s[0:3], 0 offen offset:56
	;; [unrolled: 1-line block ×3, first 2 shown]
	ds_read2_b64 v[3:6], v2 offset0:6 offset1:7
	s_waitcnt vmcnt(5) lgkmcnt(0)
	v_mul_f64 v[14:15], v[5:6], v[7:8]
	v_mul_f64 v[7:8], v[3:4], v[7:8]
	s_waitcnt vmcnt(3)
	v_fma_f64 v[3:4], v[3:4], v[10:11], -v[14:15]
	v_fma_f64 v[5:6], v[5:6], v[10:11], v[7:8]
	s_waitcnt vmcnt(2)
	v_add_f64 v[3:4], v[16:17], -v[3:4]
	s_waitcnt vmcnt(0)
	v_add_f64 v[5:6], v[12:13], -v[5:6]
	buffer_store_dword v4, v1, s[0:3], 0 offen offset:52
	buffer_store_dword v3, v1, s[0:3], 0 offen offset:48
	;; [unrolled: 1-line block ×4, first 2 shown]
	buffer_load_dword v6, off, s[0:3], 0 offset:248
	s_nop 0
	buffer_load_dword v7, off, s[0:3], 0 offset:252
	buffer_load_dword v10, off, s[0:3], 0 offset:240
	buffer_load_dword v11, off, s[0:3], 0 offset:244
	buffer_load_dword v12, v1, s[0:3], 0 offen offset:64
	buffer_load_dword v13, v1, s[0:3], 0 offen offset:68
	;; [unrolled: 1-line block ×4, first 2 shown]
	ds_read2_b64 v[2:5], v2 offset0:8 offset1:9
	s_waitcnt vmcnt(6) lgkmcnt(0)
	v_mul_f64 v[16:17], v[4:5], v[6:7]
	v_mul_f64 v[6:7], v[2:3], v[6:7]
	s_waitcnt vmcnt(4)
	v_fma_f64 v[2:3], v[2:3], v[10:11], -v[16:17]
	v_fma_f64 v[4:5], v[4:5], v[10:11], v[6:7]
	s_waitcnt vmcnt(2)
	v_add_f64 v[2:3], v[12:13], -v[2:3]
	s_waitcnt vmcnt(0)
	v_add_f64 v[4:5], v[14:15], -v[4:5]
	buffer_store_dword v3, v1, s[0:3], 0 offen offset:68
	buffer_store_dword v2, v1, s[0:3], 0 offen offset:64
	;; [unrolled: 1-line block ×4, first 2 shown]
	s_cbranch_scc1 .LBB121_204
.LBB121_205:
	s_or_b64 exec, exec, s[6:7]
	v_cmp_eq_u32_e32 vcc, 16, v0
	s_waitcnt vmcnt(0)
	s_barrier
	s_and_saveexec_b64 s[8:9], vcc
	s_cbranch_execz .LBB121_214
; %bb.206:
	v_readlane_b32 s6, v126, 0
	v_mov_b32_e32 v4, s6
	buffer_load_dword v1, v4, s[0:3], 0 offen
	buffer_load_dword v2, v4, s[0:3], 0 offen offset:4
	buffer_load_dword v3, v4, s[0:3], 0 offen offset:8
	s_nop 0
	buffer_load_dword v4, v4, s[0:3], 0 offen offset:12
	s_movk_i32 s6, 0x110
	s_waitcnt vmcnt(0)
	ds_write2_b64 v125, v[1:2], v[3:4] offset1:1
.LBB121_207:                            ; =>This Inner Loop Header: Depth=1
	v_mov_b32_e32 v18, s6
	buffer_load_dword v1, v18, s[0:3], 0 offen
	buffer_load_dword v2, v18, s[0:3], 0 offen offset:4
	buffer_load_dword v3, v18, s[0:3], 0 offen offset:8
	;; [unrolled: 1-line block ×15, first 2 shown]
	v_add_u32_e32 v19, s6, v117
	s_addk_i32 s6, 0xb0
	s_cmpk_lg_i32 s6, 0x3d0
	s_waitcnt vmcnt(12)
	ds_write2_b64 v19, v[1:2], v[3:4] offset1:1
	s_waitcnt vmcnt(8)
	ds_write2_b64 v19, v[5:6], v[7:8] offset0:2 offset1:3
	s_waitcnt vmcnt(4)
	ds_write2_b64 v19, v[10:11], v[12:13] offset0:4 offset1:5
	;; [unrolled: 2-line block ×3, first 2 shown]
	buffer_load_dword v2, v18, s[0:3], 0 offen offset:76
	buffer_load_dword v1, v18, s[0:3], 0 offen offset:72
	buffer_load_dword v4, v18, s[0:3], 0 offen offset:68
	buffer_load_dword v3, v18, s[0:3], 0 offen offset:64
	s_waitcnt vmcnt(0)
	ds_write2_b64 v19, v[3:4], v[1:2] offset0:8 offset1:9
	buffer_load_dword v2, v18, s[0:3], 0 offen offset:92
	buffer_load_dword v1, v18, s[0:3], 0 offen offset:88
	buffer_load_dword v4, v18, s[0:3], 0 offen offset:84
	buffer_load_dword v3, v18, s[0:3], 0 offen offset:80
	s_waitcnt vmcnt(0)
	ds_write2_b64 v19, v[3:4], v[1:2] offset0:10 offset1:11
	;; [unrolled: 6-line block ×7, first 2 shown]
	s_cbranch_scc1 .LBB121_207
; %bb.208:
	ds_read2_b64 v[1:4], v125 offset1:1
	s_waitcnt lgkmcnt(0)
	v_cmp_neq_f64_e32 vcc, 0, v[1:2]
	v_cmp_neq_f64_e64 s[6:7], 0, v[3:4]
	s_or_b64 s[6:7], vcc, s[6:7]
	s_and_b64 exec, exec, s[6:7]
	s_cbranch_execz .LBB121_214
; %bb.209:
	v_cmp_ngt_f64_e64 s[6:7], |v[1:2]|, |v[3:4]|
                                        ; implicit-def: $vgpr5_vgpr6
	s_and_saveexec_b64 s[10:11], s[6:7]
	s_xor_b64 s[6:7], exec, s[10:11]
                                        ; implicit-def: $vgpr7_vgpr8
	s_cbranch_execz .LBB121_211
; %bb.210:
	v_div_scale_f64 v[5:6], s[10:11], v[3:4], v[3:4], v[1:2]
	v_rcp_f64_e32 v[7:8], v[5:6]
	v_fma_f64 v[10:11], -v[5:6], v[7:8], 1.0
	v_fma_f64 v[7:8], v[7:8], v[10:11], v[7:8]
	v_div_scale_f64 v[10:11], vcc, v[1:2], v[3:4], v[1:2]
	v_fma_f64 v[12:13], -v[5:6], v[7:8], 1.0
	v_fma_f64 v[7:8], v[7:8], v[12:13], v[7:8]
	v_mul_f64 v[12:13], v[10:11], v[7:8]
	v_fma_f64 v[5:6], -v[5:6], v[12:13], v[10:11]
	v_div_fmas_f64 v[5:6], v[5:6], v[7:8], v[12:13]
	v_div_fixup_f64 v[5:6], v[5:6], v[3:4], v[1:2]
	v_fma_f64 v[1:2], v[1:2], v[5:6], v[3:4]
	v_div_scale_f64 v[3:4], s[10:11], v[1:2], v[1:2], 1.0
	v_div_scale_f64 v[12:13], vcc, 1.0, v[1:2], 1.0
	v_rcp_f64_e32 v[7:8], v[3:4]
	v_fma_f64 v[10:11], -v[3:4], v[7:8], 1.0
	v_fma_f64 v[7:8], v[7:8], v[10:11], v[7:8]
	v_fma_f64 v[10:11], -v[3:4], v[7:8], 1.0
	v_fma_f64 v[7:8], v[7:8], v[10:11], v[7:8]
	v_mul_f64 v[10:11], v[12:13], v[7:8]
	v_fma_f64 v[3:4], -v[3:4], v[10:11], v[12:13]
	v_div_fmas_f64 v[3:4], v[3:4], v[7:8], v[10:11]
	v_div_fixup_f64 v[7:8], v[3:4], v[1:2], 1.0
                                        ; implicit-def: $vgpr1_vgpr2
	v_mul_f64 v[5:6], v[5:6], v[7:8]
	v_xor_b32_e32 v8, 0x80000000, v8
.LBB121_211:
	s_andn2_saveexec_b64 s[6:7], s[6:7]
	s_cbranch_execz .LBB121_213
; %bb.212:
	v_div_scale_f64 v[5:6], s[10:11], v[1:2], v[1:2], v[3:4]
	v_rcp_f64_e32 v[7:8], v[5:6]
	v_fma_f64 v[10:11], -v[5:6], v[7:8], 1.0
	v_fma_f64 v[7:8], v[7:8], v[10:11], v[7:8]
	v_div_scale_f64 v[10:11], vcc, v[3:4], v[1:2], v[3:4]
	v_fma_f64 v[12:13], -v[5:6], v[7:8], 1.0
	v_fma_f64 v[7:8], v[7:8], v[12:13], v[7:8]
	v_mul_f64 v[12:13], v[10:11], v[7:8]
	v_fma_f64 v[5:6], -v[5:6], v[12:13], v[10:11]
	v_div_fmas_f64 v[5:6], v[5:6], v[7:8], v[12:13]
	v_div_fixup_f64 v[7:8], v[5:6], v[1:2], v[3:4]
	v_fma_f64 v[1:2], v[3:4], v[7:8], v[1:2]
	v_div_scale_f64 v[3:4], s[10:11], v[1:2], v[1:2], 1.0
	v_div_scale_f64 v[12:13], vcc, 1.0, v[1:2], 1.0
	v_rcp_f64_e32 v[5:6], v[3:4]
	v_fma_f64 v[10:11], -v[3:4], v[5:6], 1.0
	v_fma_f64 v[5:6], v[5:6], v[10:11], v[5:6]
	v_fma_f64 v[10:11], -v[3:4], v[5:6], 1.0
	v_fma_f64 v[5:6], v[5:6], v[10:11], v[5:6]
	v_mul_f64 v[10:11], v[12:13], v[5:6]
	v_fma_f64 v[3:4], -v[3:4], v[10:11], v[12:13]
	v_div_fmas_f64 v[3:4], v[3:4], v[5:6], v[10:11]
	v_div_fixup_f64 v[5:6], v[3:4], v[1:2], 1.0
	v_mul_f64 v[7:8], v[7:8], -v[5:6]
.LBB121_213:
	s_or_b64 exec, exec, s[6:7]
	ds_write2_b64 v125, v[5:6], v[7:8] offset1:1
.LBB121_214:
	s_or_b64 exec, exec, s[8:9]
	s_waitcnt lgkmcnt(0)
	s_barrier
	ds_read2_b64 v[1:4], v125 offset1:1
	v_cmp_lt_u32_e32 vcc, 16, v0
	s_waitcnt lgkmcnt(0)
	buffer_store_dword v1, off, s[0:3], 0 offset:1616 ; 4-byte Folded Spill
	s_nop 0
	buffer_store_dword v2, off, s[0:3], 0 offset:1620 ; 4-byte Folded Spill
	buffer_store_dword v3, off, s[0:3], 0 offset:1624 ; 4-byte Folded Spill
	;; [unrolled: 1-line block ×3, first 2 shown]
	s_and_saveexec_b64 s[6:7], vcc
	s_cbranch_execz .LBB121_217
; %bb.215:
	buffer_load_dword v1, off, s[0:3], 0 offset:264
	buffer_load_dword v2, off, s[0:3], 0 offset:268
	;; [unrolled: 1-line block ×4, first 2 shown]
	buffer_load_dword v10, off, s[0:3], 0 offset:1616 ; 4-byte Folded Reload
	buffer_load_dword v11, off, s[0:3], 0 offset:1620 ; 4-byte Folded Reload
	;; [unrolled: 1-line block ×4, first 2 shown]
	s_movk_i32 s8, 0x110
	s_waitcnt vmcnt(0)
	v_mul_f64 v[5:6], v[12:13], v[1:2]
	v_mul_f64 v[1:2], v[10:11], v[1:2]
	v_fma_f64 v[5:6], v[10:11], v[3:4], -v[5:6]
	v_fma_f64 v[1:2], v[12:13], v[3:4], v[1:2]
	buffer_store_dword v5, off, s[0:3], 0 offset:256
	buffer_store_dword v6, off, s[0:3], 0 offset:260
	;; [unrolled: 1-line block ×4, first 2 shown]
.LBB121_216:                            ; =>This Inner Loop Header: Depth=1
	buffer_load_dword v7, off, s[0:3], 0 offset:264
	buffer_load_dword v8, off, s[0:3], 0 offset:268
	buffer_load_dword v10, off, s[0:3], 0 offset:256
	buffer_load_dword v11, off, s[0:3], 0 offset:260
	v_mov_b32_e32 v1, s8
	buffer_load_dword v12, v1, s[0:3], 0 offen
	buffer_load_dword v13, v1, s[0:3], 0 offen offset:4
	buffer_load_dword v14, v1, s[0:3], 0 offen offset:8
	;; [unrolled: 1-line block ×3, first 2 shown]
	v_add_u32_e32 v2, s8, v117
	ds_read2_b64 v[3:6], v2 offset1:1
	buffer_load_dword v16, v1, s[0:3], 0 offen offset:16
	buffer_load_dword v17, v1, s[0:3], 0 offen offset:20
	;; [unrolled: 1-line block ×3, first 2 shown]
	s_add_i32 s8, s8, 64
	s_cmpk_lg_i32 s8, 0x3d0
	s_waitcnt vmcnt(9) lgkmcnt(0)
	v_mul_f64 v[19:20], v[5:6], v[7:8]
	v_mul_f64 v[7:8], v[3:4], v[7:8]
	s_waitcnt vmcnt(7)
	v_fma_f64 v[3:4], v[3:4], v[10:11], -v[19:20]
	v_fma_f64 v[5:6], v[5:6], v[10:11], v[7:8]
	s_waitcnt vmcnt(5)
	v_add_f64 v[3:4], v[12:13], -v[3:4]
	s_waitcnt vmcnt(3)
	v_add_f64 v[5:6], v[14:15], -v[5:6]
	buffer_store_dword v4, v1, s[0:3], 0 offen offset:4
	buffer_store_dword v3, v1, s[0:3], 0 offen
	buffer_store_dword v6, v1, s[0:3], 0 offen offset:12
	buffer_store_dword v5, v1, s[0:3], 0 offen offset:8
	buffer_load_dword v8, off, s[0:3], 0 offset:268
	buffer_load_dword v7, off, s[0:3], 0 offset:264
	;; [unrolled: 1-line block ×4, first 2 shown]
	buffer_load_dword v19, v1, s[0:3], 0 offen offset:28
	ds_read2_b64 v[3:6], v2 offset0:2 offset1:3
	buffer_load_dword v12, v1, s[0:3], 0 offen offset:32
	s_waitcnt vmcnt(4) lgkmcnt(0)
	v_mul_f64 v[13:14], v[5:6], v[7:8]
	v_mul_f64 v[7:8], v[3:4], v[7:8]
	s_waitcnt vmcnt(2)
	v_fma_f64 v[3:4], v[3:4], v[10:11], -v[13:14]
	v_fma_f64 v[5:6], v[5:6], v[10:11], v[7:8]
	v_add_f64 v[3:4], v[16:17], -v[3:4]
	s_waitcnt vmcnt(1)
	v_add_f64 v[5:6], v[18:19], -v[5:6]
	buffer_store_dword v4, v1, s[0:3], 0 offen offset:20
	buffer_store_dword v3, v1, s[0:3], 0 offen offset:16
	;; [unrolled: 1-line block ×4, first 2 shown]
	buffer_load_dword v7, off, s[0:3], 0 offset:264
	buffer_load_dword v8, off, s[0:3], 0 offset:268
	;; [unrolled: 1-line block ×4, first 2 shown]
	buffer_load_dword v13, v1, s[0:3], 0 offen offset:36
	buffer_load_dword v14, v1, s[0:3], 0 offen offset:40
	;; [unrolled: 1-line block ×3, first 2 shown]
	ds_read2_b64 v[3:6], v2 offset0:4 offset1:5
	s_waitcnt vmcnt(5) lgkmcnt(0)
	v_mul_f64 v[16:17], v[5:6], v[7:8]
	v_mul_f64 v[7:8], v[3:4], v[7:8]
	s_waitcnt vmcnt(3)
	v_fma_f64 v[3:4], v[3:4], v[10:11], -v[16:17]
	v_fma_f64 v[5:6], v[5:6], v[10:11], v[7:8]
	s_waitcnt vmcnt(2)
	v_add_f64 v[3:4], v[12:13], -v[3:4]
	s_waitcnt vmcnt(0)
	v_add_f64 v[5:6], v[14:15], -v[5:6]
	buffer_store_dword v4, v1, s[0:3], 0 offen offset:36
	buffer_store_dword v3, v1, s[0:3], 0 offen offset:32
	;; [unrolled: 1-line block ×4, first 2 shown]
	buffer_load_dword v6, off, s[0:3], 0 offset:264
	s_nop 0
	buffer_load_dword v7, off, s[0:3], 0 offset:268
	buffer_load_dword v10, off, s[0:3], 0 offset:256
	;; [unrolled: 1-line block ×3, first 2 shown]
	buffer_load_dword v12, v1, s[0:3], 0 offen offset:48
	buffer_load_dword v13, v1, s[0:3], 0 offen offset:52
	;; [unrolled: 1-line block ×4, first 2 shown]
	ds_read2_b64 v[2:5], v2 offset0:6 offset1:7
	s_waitcnt vmcnt(6) lgkmcnt(0)
	v_mul_f64 v[16:17], v[4:5], v[6:7]
	v_mul_f64 v[6:7], v[2:3], v[6:7]
	s_waitcnt vmcnt(4)
	v_fma_f64 v[2:3], v[2:3], v[10:11], -v[16:17]
	v_fma_f64 v[4:5], v[4:5], v[10:11], v[6:7]
	s_waitcnt vmcnt(2)
	v_add_f64 v[2:3], v[12:13], -v[2:3]
	s_waitcnt vmcnt(0)
	v_add_f64 v[4:5], v[14:15], -v[4:5]
	buffer_store_dword v3, v1, s[0:3], 0 offen offset:52
	buffer_store_dword v2, v1, s[0:3], 0 offen offset:48
	;; [unrolled: 1-line block ×4, first 2 shown]
	s_cbranch_scc1 .LBB121_216
.LBB121_217:
	s_or_b64 exec, exec, s[6:7]
	v_cmp_eq_u32_e32 vcc, 17, v0
	s_waitcnt vmcnt(0)
	s_barrier
	s_and_saveexec_b64 s[8:9], vcc
	s_cbranch_execz .LBB121_228
; %bb.218:
	v_mov_b32_e32 v4, s77
	buffer_load_dword v1, v4, s[0:3], 0 offen
	buffer_load_dword v2, v4, s[0:3], 0 offen offset:4
	buffer_load_dword v3, v4, s[0:3], 0 offen offset:8
	s_nop 0
	buffer_load_dword v4, v4, s[0:3], 0 offen offset:12
	s_movk_i32 s10, 0x120
	s_waitcnt vmcnt(0)
	ds_write2_b64 v125, v[1:2], v[3:4] offset1:1
	s_branch .LBB121_220
.LBB121_219:                            ;   in Loop: Header=BB121_220 Depth=1
	s_andn2_b64 vcc, exec, s[6:7]
	s_cbranch_vccz .LBB121_222
.LBB121_220:                            ; =>This Inner Loop Header: Depth=1
	v_mov_b32_e32 v1, s10
	buffer_load_dword v2, v1, s[0:3], 0 offen
	buffer_load_dword v3, v1, s[0:3], 0 offen offset:4
	buffer_load_dword v4, v1, s[0:3], 0 offen offset:8
	;; [unrolled: 1-line block ×11, first 2 shown]
	s_mov_b32 s11, s10
	v_add_u32_e32 v1, s10, v117
	s_cmpk_eq_i32 s10, 0x3a0
	s_mov_b64 s[6:7], -1
	s_waitcnt vmcnt(8)
	ds_write2_b64 v1, v[2:3], v[4:5] offset1:1
	s_waitcnt vmcnt(4)
	ds_write2_b64 v1, v[6:7], v[10:11] offset0:2 offset1:3
	s_waitcnt vmcnt(0)
	ds_write2_b64 v1, v[12:13], v[14:15] offset0:4 offset1:5
	s_cbranch_scc1 .LBB121_219
; %bb.221:                              ;   in Loop: Header=BB121_220 Depth=1
	v_mov_b32_e32 v8, s11
	buffer_load_dword v2, v8, s[0:3], 0 offen offset:48
	buffer_load_dword v3, v8, s[0:3], 0 offen offset:52
	;; [unrolled: 1-line block ×16, first 2 shown]
	s_addk_i32 s10, 0x80
	s_mov_b64 s[6:7], 0
	s_waitcnt vmcnt(12)
	ds_write2_b64 v1, v[2:3], v[4:5] offset0:6 offset1:7
	s_waitcnt vmcnt(8)
	ds_write2_b64 v1, v[6:7], v[10:11] offset0:8 offset1:9
	;; [unrolled: 2-line block ×4, first 2 shown]
	buffer_load_dword v3, v8, s[0:3], 0 offen offset:124
	buffer_load_dword v2, v8, s[0:3], 0 offen offset:120
	buffer_load_dword v5, v8, s[0:3], 0 offen offset:116
	buffer_load_dword v4, v8, s[0:3], 0 offen offset:112
	s_waitcnt vmcnt(0)
	ds_write2_b64 v1, v[4:5], v[2:3] offset0:14 offset1:15
	s_branch .LBB121_219
.LBB121_222:
	ds_read2_b64 v[1:4], v125 offset1:1
	s_waitcnt lgkmcnt(0)
	v_cmp_neq_f64_e32 vcc, 0, v[1:2]
	v_cmp_neq_f64_e64 s[6:7], 0, v[3:4]
	s_or_b64 s[6:7], vcc, s[6:7]
	s_and_b64 exec, exec, s[6:7]
	s_cbranch_execz .LBB121_228
; %bb.223:
	v_cmp_ngt_f64_e64 s[6:7], |v[1:2]|, |v[3:4]|
                                        ; implicit-def: $vgpr5_vgpr6
	s_and_saveexec_b64 s[10:11], s[6:7]
	s_xor_b64 s[6:7], exec, s[10:11]
                                        ; implicit-def: $vgpr7_vgpr8
	s_cbranch_execz .LBB121_225
; %bb.224:
	v_div_scale_f64 v[5:6], s[10:11], v[3:4], v[3:4], v[1:2]
	v_rcp_f64_e32 v[7:8], v[5:6]
	v_fma_f64 v[10:11], -v[5:6], v[7:8], 1.0
	v_fma_f64 v[7:8], v[7:8], v[10:11], v[7:8]
	v_div_scale_f64 v[10:11], vcc, v[1:2], v[3:4], v[1:2]
	v_fma_f64 v[12:13], -v[5:6], v[7:8], 1.0
	v_fma_f64 v[7:8], v[7:8], v[12:13], v[7:8]
	v_mul_f64 v[12:13], v[10:11], v[7:8]
	v_fma_f64 v[5:6], -v[5:6], v[12:13], v[10:11]
	v_div_fmas_f64 v[5:6], v[5:6], v[7:8], v[12:13]
	v_div_fixup_f64 v[5:6], v[5:6], v[3:4], v[1:2]
	v_fma_f64 v[1:2], v[1:2], v[5:6], v[3:4]
	v_div_scale_f64 v[3:4], s[10:11], v[1:2], v[1:2], 1.0
	v_div_scale_f64 v[12:13], vcc, 1.0, v[1:2], 1.0
	v_rcp_f64_e32 v[7:8], v[3:4]
	v_fma_f64 v[10:11], -v[3:4], v[7:8], 1.0
	v_fma_f64 v[7:8], v[7:8], v[10:11], v[7:8]
	v_fma_f64 v[10:11], -v[3:4], v[7:8], 1.0
	v_fma_f64 v[7:8], v[7:8], v[10:11], v[7:8]
	v_mul_f64 v[10:11], v[12:13], v[7:8]
	v_fma_f64 v[3:4], -v[3:4], v[10:11], v[12:13]
	v_div_fmas_f64 v[3:4], v[3:4], v[7:8], v[10:11]
	v_div_fixup_f64 v[7:8], v[3:4], v[1:2], 1.0
                                        ; implicit-def: $vgpr1_vgpr2
	v_mul_f64 v[5:6], v[5:6], v[7:8]
	v_xor_b32_e32 v8, 0x80000000, v8
.LBB121_225:
	s_andn2_saveexec_b64 s[6:7], s[6:7]
	s_cbranch_execz .LBB121_227
; %bb.226:
	v_div_scale_f64 v[5:6], s[10:11], v[1:2], v[1:2], v[3:4]
	v_rcp_f64_e32 v[7:8], v[5:6]
	v_fma_f64 v[10:11], -v[5:6], v[7:8], 1.0
	v_fma_f64 v[7:8], v[7:8], v[10:11], v[7:8]
	v_div_scale_f64 v[10:11], vcc, v[3:4], v[1:2], v[3:4]
	v_fma_f64 v[12:13], -v[5:6], v[7:8], 1.0
	v_fma_f64 v[7:8], v[7:8], v[12:13], v[7:8]
	v_mul_f64 v[12:13], v[10:11], v[7:8]
	v_fma_f64 v[5:6], -v[5:6], v[12:13], v[10:11]
	v_div_fmas_f64 v[5:6], v[5:6], v[7:8], v[12:13]
	v_div_fixup_f64 v[7:8], v[5:6], v[1:2], v[3:4]
	v_fma_f64 v[1:2], v[3:4], v[7:8], v[1:2]
	v_div_scale_f64 v[3:4], s[10:11], v[1:2], v[1:2], 1.0
	v_div_scale_f64 v[12:13], vcc, 1.0, v[1:2], 1.0
	v_rcp_f64_e32 v[5:6], v[3:4]
	v_fma_f64 v[10:11], -v[3:4], v[5:6], 1.0
	v_fma_f64 v[5:6], v[5:6], v[10:11], v[5:6]
	v_fma_f64 v[10:11], -v[3:4], v[5:6], 1.0
	v_fma_f64 v[5:6], v[5:6], v[10:11], v[5:6]
	v_mul_f64 v[10:11], v[12:13], v[5:6]
	v_fma_f64 v[3:4], -v[3:4], v[10:11], v[12:13]
	v_div_fmas_f64 v[3:4], v[3:4], v[5:6], v[10:11]
	v_div_fixup_f64 v[5:6], v[3:4], v[1:2], 1.0
	v_mul_f64 v[7:8], v[7:8], -v[5:6]
.LBB121_227:
	s_or_b64 exec, exec, s[6:7]
	ds_write2_b64 v125, v[5:6], v[7:8] offset1:1
.LBB121_228:
	s_or_b64 exec, exec, s[8:9]
	s_waitcnt lgkmcnt(0)
	s_barrier
	ds_read2_b64 v[20:23], v125 offset1:1
	v_cmp_lt_u32_e32 vcc, 17, v0
	s_and_saveexec_b64 s[6:7], vcc
	s_cbranch_execz .LBB121_233
; %bb.229:
	buffer_load_dword v1, off, s[0:3], 0 offset:280
	buffer_load_dword v2, off, s[0:3], 0 offset:284
	;; [unrolled: 1-line block ×4, first 2 shown]
	s_movk_i32 s10, 0x120
	s_waitcnt vmcnt(2) lgkmcnt(0)
	v_mul_f64 v[5:6], v[22:23], v[1:2]
	v_mul_f64 v[7:8], v[20:21], v[1:2]
	s_waitcnt vmcnt(0)
	v_fma_f64 v[1:2], v[20:21], v[3:4], -v[5:6]
	v_fma_f64 v[3:4], v[22:23], v[3:4], v[7:8]
	buffer_store_dword v1, off, s[0:3], 0 offset:272
	buffer_store_dword v2, off, s[0:3], 0 offset:276
	;; [unrolled: 1-line block ×4, first 2 shown]
	s_branch .LBB121_231
.LBB121_230:                            ;   in Loop: Header=BB121_231 Depth=1
	s_andn2_b64 vcc, exec, s[8:9]
	s_cbranch_vccz .LBB121_233
.LBB121_231:                            ; =>This Inner Loop Header: Depth=1
	v_mov_b32_e32 v8, s10
	buffer_load_dword v6, v8, s[0:3], 0 offen
	buffer_load_dword v7, v8, s[0:3], 0 offen offset:4
	buffer_load_dword v14, v8, s[0:3], 0 offen offset:8
	;; [unrolled: 1-line block ×3, first 2 shown]
	v_add_u32_e32 v5, s10, v117
	ds_read2_b64 v[10:13], v5 offset1:1
	s_mov_b32 s11, s10
	s_cmpk_eq_i32 s10, 0x3a0
	s_mov_b64 s[8:9], -1
	s_waitcnt vmcnt(4) lgkmcnt(0)
	v_mul_f64 v[16:17], v[12:13], v[3:4]
	v_mul_f64 v[3:4], v[10:11], v[3:4]
	v_fma_f64 v[10:11], v[10:11], v[1:2], -v[16:17]
	v_fma_f64 v[1:2], v[12:13], v[1:2], v[3:4]
	s_waitcnt vmcnt(2)
	v_add_f64 v[3:4], v[6:7], -v[10:11]
	s_waitcnt vmcnt(0)
	v_add_f64 v[1:2], v[14:15], -v[1:2]
	buffer_store_dword v4, v8, s[0:3], 0 offen offset:4
	buffer_store_dword v3, v8, s[0:3], 0 offen
	buffer_store_dword v2, v8, s[0:3], 0 offen offset:12
	buffer_store_dword v1, v8, s[0:3], 0 offen offset:8
	buffer_load_dword v7, off, s[0:3], 0 offset:284
	buffer_load_dword v6, off, s[0:3], 0 offset:280
	;; [unrolled: 1-line block ×4, first 2 shown]
	buffer_load_dword v13, v8, s[0:3], 0 offen offset:20
	buffer_load_dword v12, v8, s[0:3], 0 offen offset:16
	;; [unrolled: 1-line block ×4, first 2 shown]
	ds_read2_b64 v[1:4], v5 offset0:2 offset1:3
	s_waitcnt vmcnt(6) lgkmcnt(0)
	v_mul_f64 v[16:17], v[3:4], v[6:7]
	v_mul_f64 v[6:7], v[1:2], v[6:7]
	s_waitcnt vmcnt(4)
	v_fma_f64 v[1:2], v[1:2], v[10:11], -v[16:17]
	v_fma_f64 v[3:4], v[3:4], v[10:11], v[6:7]
	s_waitcnt vmcnt(2)
	v_add_f64 v[1:2], v[12:13], -v[1:2]
	s_waitcnt vmcnt(0)
	v_add_f64 v[3:4], v[14:15], -v[3:4]
	buffer_store_dword v2, v8, s[0:3], 0 offen offset:20
	buffer_store_dword v1, v8, s[0:3], 0 offen offset:16
	;; [unrolled: 1-line block ×4, first 2 shown]
	buffer_load_dword v6, off, s[0:3], 0 offset:280
	buffer_load_dword v7, off, s[0:3], 0 offset:284
	;; [unrolled: 1-line block ×4, first 2 shown]
	buffer_load_dword v13, v8, s[0:3], 0 offen offset:36
	buffer_load_dword v12, v8, s[0:3], 0 offen offset:32
	;; [unrolled: 1-line block ×4, first 2 shown]
	ds_read2_b64 v[1:4], v5 offset0:4 offset1:5
	s_waitcnt vmcnt(6) lgkmcnt(0)
	v_mul_f64 v[16:17], v[3:4], v[6:7]
	v_mul_f64 v[6:7], v[1:2], v[6:7]
	s_waitcnt vmcnt(4)
	v_fma_f64 v[1:2], v[1:2], v[10:11], -v[16:17]
	v_fma_f64 v[3:4], v[3:4], v[10:11], v[6:7]
	s_waitcnt vmcnt(2)
	v_add_f64 v[1:2], v[12:13], -v[1:2]
	s_waitcnt vmcnt(0)
	v_add_f64 v[3:4], v[14:15], -v[3:4]
	buffer_store_dword v2, v8, s[0:3], 0 offen offset:36
	buffer_store_dword v1, v8, s[0:3], 0 offen offset:32
	;; [unrolled: 1-line block ×4, first 2 shown]
                                        ; implicit-def: $vgpr1_vgpr2
                                        ; implicit-def: $vgpr3_vgpr4
	s_cbranch_scc1 .LBB121_230
; %bb.232:                              ;   in Loop: Header=BB121_231 Depth=1
	ds_read2_b64 v[1:4], v5 offset0:6 offset1:7
	buffer_load_dword v5, off, s[0:3], 0 offset:272
	buffer_load_dword v6, off, s[0:3], 0 offset:276
	;; [unrolled: 1-line block ×4, first 2 shown]
	s_add_i32 s10, s10, 64
	s_mov_b64 s[8:9], 0
	s_waitcnt vmcnt(0) lgkmcnt(0)
	v_mul_f64 v[10:11], v[3:4], v[7:8]
	v_fma_f64 v[10:11], v[1:2], v[5:6], -v[10:11]
	v_mul_f64 v[1:2], v[1:2], v[7:8]
	v_mov_b32_e32 v7, s11
	v_fma_f64 v[1:2], v[3:4], v[5:6], v[1:2]
	buffer_load_dword v3, v7, s[0:3], 0 offen offset:48
	buffer_load_dword v4, v7, s[0:3], 0 offen offset:52
	;; [unrolled: 1-line block ×4, first 2 shown]
	s_waitcnt vmcnt(2)
	v_add_f64 v[3:4], v[3:4], -v[10:11]
	s_waitcnt vmcnt(0)
	v_add_f64 v[1:2], v[5:6], -v[1:2]
	buffer_store_dword v4, v7, s[0:3], 0 offen offset:52
	buffer_store_dword v3, v7, s[0:3], 0 offen offset:48
	;; [unrolled: 1-line block ×4, first 2 shown]
	buffer_load_dword v2, off, s[0:3], 0 offset:276
	s_nop 0
	buffer_load_dword v1, off, s[0:3], 0 offset:272
	buffer_load_dword v4, off, s[0:3], 0 offset:284
	;; [unrolled: 1-line block ×3, first 2 shown]
	s_branch .LBB121_230
.LBB121_233:
	s_or_b64 exec, exec, s[6:7]
	v_cmp_eq_u32_e32 vcc, 18, v0
	s_waitcnt vmcnt(0) lgkmcnt(0)
	s_barrier
	s_and_saveexec_b64 s[8:9], vcc
	s_cbranch_execz .LBB121_242
; %bb.234:
	v_mov_b32_e32 v4, s76
	buffer_load_dword v1, v4, s[0:3], 0 offen
	buffer_load_dword v2, v4, s[0:3], 0 offen offset:4
	buffer_load_dword v3, v4, s[0:3], 0 offen offset:8
	s_nop 0
	buffer_load_dword v4, v4, s[0:3], 0 offen offset:12
	s_movk_i32 s6, 0x130
	s_waitcnt vmcnt(0)
	ds_write2_b64 v125, v[1:2], v[3:4] offset1:1
.LBB121_235:                            ; =>This Inner Loop Header: Depth=1
	v_mov_b32_e32 v18, s6
	buffer_load_dword v1, v18, s[0:3], 0 offen
	buffer_load_dword v2, v18, s[0:3], 0 offen offset:4
	buffer_load_dword v3, v18, s[0:3], 0 offen offset:8
	;; [unrolled: 1-line block ×15, first 2 shown]
	v_add_u32_e32 v19, s6, v117
	s_addk_i32 s6, 0xe0
	s_cmpk_lg_i32 s6, 0x3d0
	s_waitcnt vmcnt(12)
	ds_write2_b64 v19, v[1:2], v[3:4] offset1:1
	s_waitcnt vmcnt(8)
	ds_write2_b64 v19, v[5:6], v[7:8] offset0:2 offset1:3
	s_waitcnt vmcnt(4)
	ds_write2_b64 v19, v[10:11], v[12:13] offset0:4 offset1:5
	;; [unrolled: 2-line block ×3, first 2 shown]
	buffer_load_dword v2, v18, s[0:3], 0 offen offset:76
	buffer_load_dword v1, v18, s[0:3], 0 offen offset:72
	buffer_load_dword v4, v18, s[0:3], 0 offen offset:68
	buffer_load_dword v3, v18, s[0:3], 0 offen offset:64
	s_waitcnt vmcnt(0)
	ds_write2_b64 v19, v[3:4], v[1:2] offset0:8 offset1:9
	buffer_load_dword v2, v18, s[0:3], 0 offen offset:92
	buffer_load_dword v1, v18, s[0:3], 0 offen offset:88
	buffer_load_dword v4, v18, s[0:3], 0 offen offset:84
	buffer_load_dword v3, v18, s[0:3], 0 offen offset:80
	s_waitcnt vmcnt(0)
	ds_write2_b64 v19, v[3:4], v[1:2] offset0:10 offset1:11
	buffer_load_dword v2, v18, s[0:3], 0 offen offset:108
	buffer_load_dword v1, v18, s[0:3], 0 offen offset:104
	buffer_load_dword v4, v18, s[0:3], 0 offen offset:100
	buffer_load_dword v3, v18, s[0:3], 0 offen offset:96
	s_waitcnt vmcnt(0)
	ds_write2_b64 v19, v[3:4], v[1:2] offset0:12 offset1:13
	buffer_load_dword v2, v18, s[0:3], 0 offen offset:124
	buffer_load_dword v1, v18, s[0:3], 0 offen offset:120
	buffer_load_dword v4, v18, s[0:3], 0 offen offset:116
	buffer_load_dword v3, v18, s[0:3], 0 offen offset:112
	s_waitcnt vmcnt(0)
	ds_write2_b64 v19, v[3:4], v[1:2] offset0:14 offset1:15
	buffer_load_dword v1, v18, s[0:3], 0 offen offset:128
	buffer_load_dword v2, v18, s[0:3], 0 offen offset:132
	buffer_load_dword v3, v18, s[0:3], 0 offen offset:136
	buffer_load_dword v4, v18, s[0:3], 0 offen offset:140
	s_waitcnt vmcnt(0)
	ds_write2_b64 v19, v[1:2], v[3:4] offset0:16 offset1:17
	buffer_load_dword v1, v18, s[0:3], 0 offen offset:144
	buffer_load_dword v2, v18, s[0:3], 0 offen offset:148
	buffer_load_dword v3, v18, s[0:3], 0 offen offset:152
	buffer_load_dword v4, v18, s[0:3], 0 offen offset:156
	s_waitcnt vmcnt(0)
	ds_write2_b64 v19, v[1:2], v[3:4] offset0:18 offset1:19
	buffer_load_dword v1, v18, s[0:3], 0 offen offset:160
	buffer_load_dword v2, v18, s[0:3], 0 offen offset:164
	buffer_load_dword v3, v18, s[0:3], 0 offen offset:168
	buffer_load_dword v4, v18, s[0:3], 0 offen offset:172
	s_waitcnt vmcnt(0)
	ds_write2_b64 v19, v[1:2], v[3:4] offset0:20 offset1:21
	buffer_load_dword v1, v18, s[0:3], 0 offen offset:176
	buffer_load_dword v2, v18, s[0:3], 0 offen offset:180
	buffer_load_dword v3, v18, s[0:3], 0 offen offset:184
	buffer_load_dword v4, v18, s[0:3], 0 offen offset:188
	s_waitcnt vmcnt(0)
	ds_write2_b64 v19, v[1:2], v[3:4] offset0:22 offset1:23
	buffer_load_dword v1, v18, s[0:3], 0 offen offset:192
	buffer_load_dword v2, v18, s[0:3], 0 offen offset:196
	buffer_load_dword v3, v18, s[0:3], 0 offen offset:200
	buffer_load_dword v4, v18, s[0:3], 0 offen offset:204
	s_waitcnt vmcnt(0)
	ds_write2_b64 v19, v[1:2], v[3:4] offset0:24 offset1:25
	buffer_load_dword v1, v18, s[0:3], 0 offen offset:208
	buffer_load_dword v2, v18, s[0:3], 0 offen offset:212
	buffer_load_dword v3, v18, s[0:3], 0 offen offset:216
	buffer_load_dword v4, v18, s[0:3], 0 offen offset:220
	s_waitcnt vmcnt(0)
	ds_write2_b64 v19, v[1:2], v[3:4] offset0:26 offset1:27
	s_cbranch_scc1 .LBB121_235
; %bb.236:
	ds_read2_b64 v[1:4], v125 offset1:1
	s_waitcnt lgkmcnt(0)
	v_cmp_neq_f64_e32 vcc, 0, v[1:2]
	v_cmp_neq_f64_e64 s[6:7], 0, v[3:4]
	s_or_b64 s[6:7], vcc, s[6:7]
	s_and_b64 exec, exec, s[6:7]
	s_cbranch_execz .LBB121_242
; %bb.237:
	v_cmp_ngt_f64_e64 s[6:7], |v[1:2]|, |v[3:4]|
                                        ; implicit-def: $vgpr5_vgpr6
	s_and_saveexec_b64 s[10:11], s[6:7]
	s_xor_b64 s[6:7], exec, s[10:11]
                                        ; implicit-def: $vgpr7_vgpr8
	s_cbranch_execz .LBB121_239
; %bb.238:
	v_div_scale_f64 v[5:6], s[10:11], v[3:4], v[3:4], v[1:2]
	v_rcp_f64_e32 v[7:8], v[5:6]
	v_fma_f64 v[10:11], -v[5:6], v[7:8], 1.0
	v_fma_f64 v[7:8], v[7:8], v[10:11], v[7:8]
	v_div_scale_f64 v[10:11], vcc, v[1:2], v[3:4], v[1:2]
	v_fma_f64 v[12:13], -v[5:6], v[7:8], 1.0
	v_fma_f64 v[7:8], v[7:8], v[12:13], v[7:8]
	v_mul_f64 v[12:13], v[10:11], v[7:8]
	v_fma_f64 v[5:6], -v[5:6], v[12:13], v[10:11]
	v_div_fmas_f64 v[5:6], v[5:6], v[7:8], v[12:13]
	v_div_fixup_f64 v[5:6], v[5:6], v[3:4], v[1:2]
	v_fma_f64 v[1:2], v[1:2], v[5:6], v[3:4]
	v_div_scale_f64 v[3:4], s[10:11], v[1:2], v[1:2], 1.0
	v_div_scale_f64 v[12:13], vcc, 1.0, v[1:2], 1.0
	v_rcp_f64_e32 v[7:8], v[3:4]
	v_fma_f64 v[10:11], -v[3:4], v[7:8], 1.0
	v_fma_f64 v[7:8], v[7:8], v[10:11], v[7:8]
	v_fma_f64 v[10:11], -v[3:4], v[7:8], 1.0
	v_fma_f64 v[7:8], v[7:8], v[10:11], v[7:8]
	v_mul_f64 v[10:11], v[12:13], v[7:8]
	v_fma_f64 v[3:4], -v[3:4], v[10:11], v[12:13]
	v_div_fmas_f64 v[3:4], v[3:4], v[7:8], v[10:11]
	v_div_fixup_f64 v[7:8], v[3:4], v[1:2], 1.0
                                        ; implicit-def: $vgpr1_vgpr2
	v_mul_f64 v[5:6], v[5:6], v[7:8]
	v_xor_b32_e32 v8, 0x80000000, v8
.LBB121_239:
	s_andn2_saveexec_b64 s[6:7], s[6:7]
	s_cbranch_execz .LBB121_241
; %bb.240:
	v_div_scale_f64 v[5:6], s[10:11], v[1:2], v[1:2], v[3:4]
	v_rcp_f64_e32 v[7:8], v[5:6]
	v_fma_f64 v[10:11], -v[5:6], v[7:8], 1.0
	v_fma_f64 v[7:8], v[7:8], v[10:11], v[7:8]
	v_div_scale_f64 v[10:11], vcc, v[3:4], v[1:2], v[3:4]
	v_fma_f64 v[12:13], -v[5:6], v[7:8], 1.0
	v_fma_f64 v[7:8], v[7:8], v[12:13], v[7:8]
	v_mul_f64 v[12:13], v[10:11], v[7:8]
	v_fma_f64 v[5:6], -v[5:6], v[12:13], v[10:11]
	v_div_fmas_f64 v[5:6], v[5:6], v[7:8], v[12:13]
	v_div_fixup_f64 v[7:8], v[5:6], v[1:2], v[3:4]
	v_fma_f64 v[1:2], v[3:4], v[7:8], v[1:2]
	v_div_scale_f64 v[3:4], s[10:11], v[1:2], v[1:2], 1.0
	v_div_scale_f64 v[12:13], vcc, 1.0, v[1:2], 1.0
	v_rcp_f64_e32 v[5:6], v[3:4]
	v_fma_f64 v[10:11], -v[3:4], v[5:6], 1.0
	v_fma_f64 v[5:6], v[5:6], v[10:11], v[5:6]
	v_fma_f64 v[10:11], -v[3:4], v[5:6], 1.0
	v_fma_f64 v[5:6], v[5:6], v[10:11], v[5:6]
	v_mul_f64 v[10:11], v[12:13], v[5:6]
	v_fma_f64 v[3:4], -v[3:4], v[10:11], v[12:13]
	v_div_fmas_f64 v[3:4], v[3:4], v[5:6], v[10:11]
	v_div_fixup_f64 v[5:6], v[3:4], v[1:2], 1.0
	v_mul_f64 v[7:8], v[7:8], -v[5:6]
.LBB121_241:
	s_or_b64 exec, exec, s[6:7]
	ds_write2_b64 v125, v[5:6], v[7:8] offset1:1
.LBB121_242:
	s_or_b64 exec, exec, s[8:9]
	buffer_store_dword v20, off, s[0:3], 0 offset:1904 ; 4-byte Folded Spill
	s_nop 0
	buffer_store_dword v21, off, s[0:3], 0 offset:1908 ; 4-byte Folded Spill
	buffer_store_dword v22, off, s[0:3], 0 offset:1912 ; 4-byte Folded Spill
	;; [unrolled: 1-line block ×3, first 2 shown]
	s_waitcnt vmcnt(0) lgkmcnt(0)
	s_barrier
	ds_read2_b64 v[1:4], v125 offset1:1
	v_cmp_lt_u32_e32 vcc, 18, v0
	s_waitcnt lgkmcnt(0)
	buffer_store_dword v1, off, s[0:3], 0 offset:1632 ; 4-byte Folded Spill
	s_nop 0
	buffer_store_dword v2, off, s[0:3], 0 offset:1636 ; 4-byte Folded Spill
	buffer_store_dword v3, off, s[0:3], 0 offset:1640 ; 4-byte Folded Spill
	;; [unrolled: 1-line block ×3, first 2 shown]
	s_and_saveexec_b64 s[6:7], vcc
	s_cbranch_execz .LBB121_245
; %bb.243:
	buffer_load_dword v1, off, s[0:3], 0 offset:296
	buffer_load_dword v2, off, s[0:3], 0 offset:300
	;; [unrolled: 1-line block ×4, first 2 shown]
	buffer_load_dword v10, off, s[0:3], 0 offset:1632 ; 4-byte Folded Reload
	buffer_load_dword v11, off, s[0:3], 0 offset:1636 ; 4-byte Folded Reload
	;; [unrolled: 1-line block ×4, first 2 shown]
	s_movk_i32 s8, 0x130
	s_waitcnt vmcnt(0)
	v_mul_f64 v[5:6], v[12:13], v[1:2]
	v_mul_f64 v[1:2], v[10:11], v[1:2]
	v_fma_f64 v[5:6], v[10:11], v[3:4], -v[5:6]
	v_fma_f64 v[1:2], v[12:13], v[3:4], v[1:2]
	buffer_store_dword v5, off, s[0:3], 0 offset:288
	buffer_store_dword v6, off, s[0:3], 0 offset:292
	;; [unrolled: 1-line block ×4, first 2 shown]
.LBB121_244:                            ; =>This Inner Loop Header: Depth=1
	buffer_load_dword v7, off, s[0:3], 0 offset:296
	buffer_load_dword v8, off, s[0:3], 0 offset:300
	;; [unrolled: 1-line block ×4, first 2 shown]
	v_mov_b32_e32 v1, s8
	buffer_load_dword v12, v1, s[0:3], 0 offen
	buffer_load_dword v13, v1, s[0:3], 0 offen offset:4
	buffer_load_dword v14, v1, s[0:3], 0 offen offset:8
	;; [unrolled: 1-line block ×3, first 2 shown]
	v_add_u32_e32 v2, s8, v117
	ds_read2_b64 v[3:6], v2 offset1:1
	buffer_load_dword v16, v1, s[0:3], 0 offen offset:16
	buffer_load_dword v17, v1, s[0:3], 0 offen offset:20
	;; [unrolled: 1-line block ×3, first 2 shown]
	s_addk_i32 s8, 0x70
	s_cmpk_lg_i32 s8, 0x3d0
	s_waitcnt vmcnt(9) lgkmcnt(0)
	v_mul_f64 v[19:20], v[5:6], v[7:8]
	v_mul_f64 v[7:8], v[3:4], v[7:8]
	s_waitcnt vmcnt(7)
	v_fma_f64 v[3:4], v[3:4], v[10:11], -v[19:20]
	v_fma_f64 v[5:6], v[5:6], v[10:11], v[7:8]
	s_waitcnt vmcnt(5)
	v_add_f64 v[3:4], v[12:13], -v[3:4]
	s_waitcnt vmcnt(3)
	v_add_f64 v[5:6], v[14:15], -v[5:6]
	buffer_store_dword v4, v1, s[0:3], 0 offen offset:4
	buffer_store_dword v3, v1, s[0:3], 0 offen
	buffer_store_dword v6, v1, s[0:3], 0 offen offset:12
	buffer_store_dword v5, v1, s[0:3], 0 offen offset:8
	buffer_load_dword v8, off, s[0:3], 0 offset:300
	buffer_load_dword v7, off, s[0:3], 0 offset:296
	buffer_load_dword v11, off, s[0:3], 0 offset:292
	buffer_load_dword v10, off, s[0:3], 0 offset:288
	buffer_load_dword v19, v1, s[0:3], 0 offen offset:28
	ds_read2_b64 v[3:6], v2 offset0:2 offset1:3
	buffer_load_dword v12, v1, s[0:3], 0 offen offset:32
	buffer_load_dword v13, v1, s[0:3], 0 offen offset:36
	buffer_load_dword v14, v1, s[0:3], 0 offen offset:40
	s_waitcnt vmcnt(6) lgkmcnt(0)
	v_mul_f64 v[20:21], v[5:6], v[7:8]
	v_mul_f64 v[7:8], v[3:4], v[7:8]
	s_waitcnt vmcnt(4)
	v_fma_f64 v[3:4], v[3:4], v[10:11], -v[20:21]
	v_fma_f64 v[5:6], v[5:6], v[10:11], v[7:8]
	v_add_f64 v[3:4], v[16:17], -v[3:4]
	s_waitcnt vmcnt(3)
	v_add_f64 v[5:6], v[18:19], -v[5:6]
	buffer_store_dword v4, v1, s[0:3], 0 offen offset:20
	buffer_store_dword v3, v1, s[0:3], 0 offen offset:16
	buffer_store_dword v6, v1, s[0:3], 0 offen offset:28
	buffer_store_dword v5, v1, s[0:3], 0 offen offset:24
	buffer_load_dword v7, off, s[0:3], 0 offset:296
	buffer_load_dword v8, off, s[0:3], 0 offset:300
	buffer_load_dword v10, off, s[0:3], 0 offset:288
	buffer_load_dword v11, off, s[0:3], 0 offset:292
	buffer_load_dword v15, v1, s[0:3], 0 offen offset:44
	ds_read2_b64 v[3:6], v2 offset0:4 offset1:5
	buffer_load_dword v16, v1, s[0:3], 0 offen offset:48
	buffer_load_dword v17, v1, s[0:3], 0 offen offset:52
	buffer_load_dword v18, v1, s[0:3], 0 offen offset:56
	s_waitcnt vmcnt(6) lgkmcnt(0)
	v_mul_f64 v[19:20], v[5:6], v[7:8]
	v_mul_f64 v[7:8], v[3:4], v[7:8]
	s_waitcnt vmcnt(4)
	v_fma_f64 v[3:4], v[3:4], v[10:11], -v[19:20]
	v_fma_f64 v[5:6], v[5:6], v[10:11], v[7:8]
	v_add_f64 v[3:4], v[12:13], -v[3:4]
	s_waitcnt vmcnt(3)
	v_add_f64 v[5:6], v[14:15], -v[5:6]
	buffer_store_dword v4, v1, s[0:3], 0 offen offset:36
	buffer_store_dword v3, v1, s[0:3], 0 offen offset:32
	;; [unrolled: 22-line block ×3, first 2 shown]
	buffer_store_dword v6, v1, s[0:3], 0 offen offset:60
	buffer_store_dword v5, v1, s[0:3], 0 offen offset:56
	buffer_load_dword v7, off, s[0:3], 0 offset:296
	buffer_load_dword v8, off, s[0:3], 0 offset:300
	;; [unrolled: 1-line block ×4, first 2 shown]
	buffer_load_dword v15, v1, s[0:3], 0 offen offset:76
	ds_read2_b64 v[3:6], v2 offset0:8 offset1:9
	buffer_load_dword v16, v1, s[0:3], 0 offen offset:80
	s_waitcnt vmcnt(4) lgkmcnt(0)
	v_mul_f64 v[17:18], v[5:6], v[7:8]
	v_mul_f64 v[7:8], v[3:4], v[7:8]
	s_waitcnt vmcnt(2)
	v_fma_f64 v[3:4], v[3:4], v[10:11], -v[17:18]
	v_fma_f64 v[5:6], v[5:6], v[10:11], v[7:8]
	v_add_f64 v[3:4], v[12:13], -v[3:4]
	s_waitcnt vmcnt(1)
	v_add_f64 v[5:6], v[14:15], -v[5:6]
	buffer_store_dword v4, v1, s[0:3], 0 offen offset:68
	buffer_store_dword v3, v1, s[0:3], 0 offen offset:64
	;; [unrolled: 1-line block ×4, first 2 shown]
	buffer_load_dword v7, off, s[0:3], 0 offset:296
	buffer_load_dword v8, off, s[0:3], 0 offset:300
	;; [unrolled: 1-line block ×4, first 2 shown]
	buffer_load_dword v17, v1, s[0:3], 0 offen offset:84
	buffer_load_dword v12, v1, s[0:3], 0 offen offset:88
	;; [unrolled: 1-line block ×3, first 2 shown]
	ds_read2_b64 v[3:6], v2 offset0:10 offset1:11
	s_waitcnt vmcnt(5) lgkmcnt(0)
	v_mul_f64 v[14:15], v[5:6], v[7:8]
	v_mul_f64 v[7:8], v[3:4], v[7:8]
	s_waitcnt vmcnt(3)
	v_fma_f64 v[3:4], v[3:4], v[10:11], -v[14:15]
	v_fma_f64 v[5:6], v[5:6], v[10:11], v[7:8]
	s_waitcnt vmcnt(2)
	v_add_f64 v[3:4], v[16:17], -v[3:4]
	s_waitcnt vmcnt(0)
	v_add_f64 v[5:6], v[12:13], -v[5:6]
	buffer_store_dword v4, v1, s[0:3], 0 offen offset:84
	buffer_store_dword v3, v1, s[0:3], 0 offen offset:80
	;; [unrolled: 1-line block ×4, first 2 shown]
	buffer_load_dword v6, off, s[0:3], 0 offset:296
	s_nop 0
	buffer_load_dword v7, off, s[0:3], 0 offset:300
	buffer_load_dword v10, off, s[0:3], 0 offset:288
	;; [unrolled: 1-line block ×3, first 2 shown]
	buffer_load_dword v12, v1, s[0:3], 0 offen offset:96
	buffer_load_dword v13, v1, s[0:3], 0 offen offset:100
	buffer_load_dword v14, v1, s[0:3], 0 offen offset:104
	buffer_load_dword v15, v1, s[0:3], 0 offen offset:108
	ds_read2_b64 v[2:5], v2 offset0:12 offset1:13
	s_waitcnt vmcnt(6) lgkmcnt(0)
	v_mul_f64 v[16:17], v[4:5], v[6:7]
	v_mul_f64 v[6:7], v[2:3], v[6:7]
	s_waitcnt vmcnt(4)
	v_fma_f64 v[2:3], v[2:3], v[10:11], -v[16:17]
	v_fma_f64 v[4:5], v[4:5], v[10:11], v[6:7]
	s_waitcnt vmcnt(2)
	v_add_f64 v[2:3], v[12:13], -v[2:3]
	s_waitcnt vmcnt(0)
	v_add_f64 v[4:5], v[14:15], -v[4:5]
	buffer_store_dword v3, v1, s[0:3], 0 offen offset:100
	buffer_store_dword v2, v1, s[0:3], 0 offen offset:96
	;; [unrolled: 1-line block ×4, first 2 shown]
	s_cbranch_scc1 .LBB121_244
.LBB121_245:
	s_or_b64 exec, exec, s[6:7]
	v_cmp_eq_u32_e32 vcc, 19, v0
	s_waitcnt vmcnt(0)
	s_barrier
	s_and_saveexec_b64 s[8:9], vcc
	s_cbranch_execz .LBB121_256
; %bb.246:
	v_mov_b32_e32 v4, s69
	buffer_load_dword v1, v4, s[0:3], 0 offen
	buffer_load_dword v2, v4, s[0:3], 0 offen offset:4
	buffer_load_dword v3, v4, s[0:3], 0 offen offset:8
	s_nop 0
	buffer_load_dword v4, v4, s[0:3], 0 offen offset:12
	s_movk_i32 s10, 0x140
	s_waitcnt vmcnt(0)
	ds_write2_b64 v125, v[1:2], v[3:4] offset1:1
	s_branch .LBB121_248
.LBB121_247:                            ;   in Loop: Header=BB121_248 Depth=1
	s_andn2_b64 vcc, exec, s[6:7]
	s_cbranch_vccz .LBB121_250
.LBB121_248:                            ; =>This Inner Loop Header: Depth=1
	v_mov_b32_e32 v1, s10
	buffer_load_dword v2, v1, s[0:3], 0 offen
	buffer_load_dword v3, v1, s[0:3], 0 offen offset:4
	buffer_load_dword v4, v1, s[0:3], 0 offen offset:8
	;; [unrolled: 1-line block ×3, first 2 shown]
	s_mov_b32 s11, s10
	v_add_u32_e32 v1, s10, v117
	s_cmpk_eq_i32 s10, 0x3c0
	s_mov_b64 s[6:7], -1
	s_waitcnt vmcnt(0)
	ds_write2_b64 v1, v[2:3], v[4:5] offset1:1
	s_cbranch_scc1 .LBB121_247
; %bb.249:                              ;   in Loop: Header=BB121_248 Depth=1
	v_mov_b32_e32 v8, s11
	buffer_load_dword v2, v8, s[0:3], 0 offen offset:16
	buffer_load_dword v3, v8, s[0:3], 0 offen offset:20
	;; [unrolled: 1-line block ×16, first 2 shown]
	s_addk_i32 s10, 0x80
	s_mov_b64 s[6:7], 0
	s_waitcnt vmcnt(12)
	ds_write2_b64 v1, v[2:3], v[4:5] offset0:2 offset1:3
	s_waitcnt vmcnt(8)
	ds_write2_b64 v1, v[6:7], v[10:11] offset0:4 offset1:5
	;; [unrolled: 2-line block ×4, first 2 shown]
	buffer_load_dword v3, v8, s[0:3], 0 offen offset:92
	buffer_load_dword v2, v8, s[0:3], 0 offen offset:88
	buffer_load_dword v5, v8, s[0:3], 0 offen offset:84
	buffer_load_dword v4, v8, s[0:3], 0 offen offset:80
	s_waitcnt vmcnt(0)
	ds_write2_b64 v1, v[4:5], v[2:3] offset0:10 offset1:11
	buffer_load_dword v3, v8, s[0:3], 0 offen offset:108
	buffer_load_dword v2, v8, s[0:3], 0 offen offset:104
	buffer_load_dword v5, v8, s[0:3], 0 offen offset:100
	buffer_load_dword v4, v8, s[0:3], 0 offen offset:96
	s_waitcnt vmcnt(0)
	ds_write2_b64 v1, v[4:5], v[2:3] offset0:12 offset1:13
	;; [unrolled: 6-line block ×3, first 2 shown]
	s_branch .LBB121_247
.LBB121_250:
	ds_read2_b64 v[1:4], v125 offset1:1
	s_waitcnt lgkmcnt(0)
	v_cmp_neq_f64_e32 vcc, 0, v[1:2]
	v_cmp_neq_f64_e64 s[6:7], 0, v[3:4]
	s_or_b64 s[6:7], vcc, s[6:7]
	s_and_b64 exec, exec, s[6:7]
	s_cbranch_execz .LBB121_256
; %bb.251:
	v_cmp_ngt_f64_e64 s[6:7], |v[1:2]|, |v[3:4]|
                                        ; implicit-def: $vgpr5_vgpr6
	s_and_saveexec_b64 s[10:11], s[6:7]
	s_xor_b64 s[6:7], exec, s[10:11]
                                        ; implicit-def: $vgpr7_vgpr8
	s_cbranch_execz .LBB121_253
; %bb.252:
	v_div_scale_f64 v[5:6], s[10:11], v[3:4], v[3:4], v[1:2]
	v_rcp_f64_e32 v[7:8], v[5:6]
	v_fma_f64 v[10:11], -v[5:6], v[7:8], 1.0
	v_fma_f64 v[7:8], v[7:8], v[10:11], v[7:8]
	v_div_scale_f64 v[10:11], vcc, v[1:2], v[3:4], v[1:2]
	v_fma_f64 v[12:13], -v[5:6], v[7:8], 1.0
	v_fma_f64 v[7:8], v[7:8], v[12:13], v[7:8]
	v_mul_f64 v[12:13], v[10:11], v[7:8]
	v_fma_f64 v[5:6], -v[5:6], v[12:13], v[10:11]
	v_div_fmas_f64 v[5:6], v[5:6], v[7:8], v[12:13]
	v_div_fixup_f64 v[5:6], v[5:6], v[3:4], v[1:2]
	v_fma_f64 v[1:2], v[1:2], v[5:6], v[3:4]
	v_div_scale_f64 v[3:4], s[10:11], v[1:2], v[1:2], 1.0
	v_div_scale_f64 v[12:13], vcc, 1.0, v[1:2], 1.0
	v_rcp_f64_e32 v[7:8], v[3:4]
	v_fma_f64 v[10:11], -v[3:4], v[7:8], 1.0
	v_fma_f64 v[7:8], v[7:8], v[10:11], v[7:8]
	v_fma_f64 v[10:11], -v[3:4], v[7:8], 1.0
	v_fma_f64 v[7:8], v[7:8], v[10:11], v[7:8]
	v_mul_f64 v[10:11], v[12:13], v[7:8]
	v_fma_f64 v[3:4], -v[3:4], v[10:11], v[12:13]
	v_div_fmas_f64 v[3:4], v[3:4], v[7:8], v[10:11]
	v_div_fixup_f64 v[7:8], v[3:4], v[1:2], 1.0
                                        ; implicit-def: $vgpr1_vgpr2
	v_mul_f64 v[5:6], v[5:6], v[7:8]
	v_xor_b32_e32 v8, 0x80000000, v8
.LBB121_253:
	s_andn2_saveexec_b64 s[6:7], s[6:7]
	s_cbranch_execz .LBB121_255
; %bb.254:
	v_div_scale_f64 v[5:6], s[10:11], v[1:2], v[1:2], v[3:4]
	v_rcp_f64_e32 v[7:8], v[5:6]
	v_fma_f64 v[10:11], -v[5:6], v[7:8], 1.0
	v_fma_f64 v[7:8], v[7:8], v[10:11], v[7:8]
	v_div_scale_f64 v[10:11], vcc, v[3:4], v[1:2], v[3:4]
	v_fma_f64 v[12:13], -v[5:6], v[7:8], 1.0
	v_fma_f64 v[7:8], v[7:8], v[12:13], v[7:8]
	v_mul_f64 v[12:13], v[10:11], v[7:8]
	v_fma_f64 v[5:6], -v[5:6], v[12:13], v[10:11]
	v_div_fmas_f64 v[5:6], v[5:6], v[7:8], v[12:13]
	v_div_fixup_f64 v[7:8], v[5:6], v[1:2], v[3:4]
	v_fma_f64 v[1:2], v[3:4], v[7:8], v[1:2]
	v_div_scale_f64 v[3:4], s[10:11], v[1:2], v[1:2], 1.0
	v_div_scale_f64 v[12:13], vcc, 1.0, v[1:2], 1.0
	v_rcp_f64_e32 v[5:6], v[3:4]
	v_fma_f64 v[10:11], -v[3:4], v[5:6], 1.0
	v_fma_f64 v[5:6], v[5:6], v[10:11], v[5:6]
	v_fma_f64 v[10:11], -v[3:4], v[5:6], 1.0
	v_fma_f64 v[5:6], v[5:6], v[10:11], v[5:6]
	v_mul_f64 v[10:11], v[12:13], v[5:6]
	v_fma_f64 v[3:4], -v[3:4], v[10:11], v[12:13]
	v_div_fmas_f64 v[3:4], v[3:4], v[5:6], v[10:11]
	v_div_fixup_f64 v[5:6], v[3:4], v[1:2], 1.0
	v_mul_f64 v[7:8], v[7:8], -v[5:6]
.LBB121_255:
	s_or_b64 exec, exec, s[6:7]
	ds_write2_b64 v125, v[5:6], v[7:8] offset1:1
.LBB121_256:
	s_or_b64 exec, exec, s[8:9]
	s_waitcnt lgkmcnt(0)
	s_barrier
	ds_read2_b64 v[20:23], v125 offset1:1
	v_cmp_lt_u32_e32 vcc, 19, v0
	s_and_saveexec_b64 s[6:7], vcc
	s_cbranch_execz .LBB121_261
; %bb.257:
	buffer_load_dword v1, off, s[0:3], 0 offset:312
	buffer_load_dword v2, off, s[0:3], 0 offset:316
	;; [unrolled: 1-line block ×4, first 2 shown]
	s_movk_i32 s10, 0x140
	s_waitcnt vmcnt(2) lgkmcnt(0)
	v_mul_f64 v[5:6], v[22:23], v[1:2]
	v_mul_f64 v[7:8], v[20:21], v[1:2]
	s_waitcnt vmcnt(0)
	v_fma_f64 v[1:2], v[20:21], v[3:4], -v[5:6]
	v_fma_f64 v[3:4], v[22:23], v[3:4], v[7:8]
	buffer_store_dword v1, off, s[0:3], 0 offset:304
	buffer_store_dword v2, off, s[0:3], 0 offset:308
	;; [unrolled: 1-line block ×4, first 2 shown]
	s_branch .LBB121_259
.LBB121_258:                            ;   in Loop: Header=BB121_259 Depth=1
	s_andn2_b64 vcc, exec, s[8:9]
	s_cbranch_vccz .LBB121_261
.LBB121_259:                            ; =>This Inner Loop Header: Depth=1
	v_add_u32_e32 v5, s10, v117
	ds_read2_b64 v[10:13], v5 offset1:1
	v_mov_b32_e32 v8, s10
	s_mov_b32 s11, s10
	s_mov_b64 s[8:9], -1
	s_cmpk_eq_i32 s10, 0x3c0
	s_waitcnt vmcnt(0) lgkmcnt(0)
	v_mul_f64 v[6:7], v[12:13], v[3:4]
	v_mul_f64 v[3:4], v[10:11], v[3:4]
	v_fma_f64 v[6:7], v[10:11], v[1:2], -v[6:7]
	v_fma_f64 v[1:2], v[12:13], v[1:2], v[3:4]
	buffer_load_dword v3, v8, s[0:3], 0 offen
	buffer_load_dword v4, v8, s[0:3], 0 offen offset:4
	buffer_load_dword v10, v8, s[0:3], 0 offen offset:8
	;; [unrolled: 1-line block ×3, first 2 shown]
	s_waitcnt vmcnt(2)
	v_add_f64 v[3:4], v[3:4], -v[6:7]
	s_waitcnt vmcnt(0)
	v_add_f64 v[1:2], v[10:11], -v[1:2]
	buffer_store_dword v3, v8, s[0:3], 0 offen
	buffer_store_dword v4, v8, s[0:3], 0 offen offset:4
	buffer_store_dword v1, v8, s[0:3], 0 offen offset:8
	;; [unrolled: 1-line block ×3, first 2 shown]
                                        ; implicit-def: $vgpr1_vgpr2
                                        ; implicit-def: $vgpr3_vgpr4
	s_cbranch_scc1 .LBB121_258
; %bb.260:                              ;   in Loop: Header=BB121_259 Depth=1
	buffer_load_dword v6, off, s[0:3], 0 offset:312
	buffer_load_dword v7, off, s[0:3], 0 offset:316
	;; [unrolled: 1-line block ×4, first 2 shown]
	v_mov_b32_e32 v8, s11
	buffer_load_dword v12, v8, s[0:3], 0 offen offset:16
	buffer_load_dword v13, v8, s[0:3], 0 offen offset:20
	;; [unrolled: 1-line block ×4, first 2 shown]
	ds_read2_b64 v[1:4], v5 offset0:2 offset1:3
	s_add_i32 s10, s10, 64
	s_mov_b64 s[8:9], 0
	s_waitcnt vmcnt(6) lgkmcnt(0)
	v_mul_f64 v[16:17], v[3:4], v[6:7]
	v_mul_f64 v[6:7], v[1:2], v[6:7]
	s_waitcnt vmcnt(4)
	v_fma_f64 v[1:2], v[1:2], v[10:11], -v[16:17]
	v_fma_f64 v[3:4], v[3:4], v[10:11], v[6:7]
	s_waitcnt vmcnt(2)
	v_add_f64 v[1:2], v[12:13], -v[1:2]
	s_waitcnt vmcnt(0)
	v_add_f64 v[3:4], v[14:15], -v[3:4]
	buffer_store_dword v2, v8, s[0:3], 0 offen offset:20
	buffer_store_dword v1, v8, s[0:3], 0 offen offset:16
	;; [unrolled: 1-line block ×4, first 2 shown]
	buffer_load_dword v7, off, s[0:3], 0 offset:316
	buffer_load_dword v6, off, s[0:3], 0 offset:312
	;; [unrolled: 1-line block ×4, first 2 shown]
	buffer_load_dword v13, v8, s[0:3], 0 offen offset:36
	buffer_load_dword v12, v8, s[0:3], 0 offen offset:32
	;; [unrolled: 1-line block ×4, first 2 shown]
	ds_read2_b64 v[1:4], v5 offset0:4 offset1:5
	s_waitcnt vmcnt(6) lgkmcnt(0)
	v_mul_f64 v[16:17], v[3:4], v[6:7]
	v_mul_f64 v[6:7], v[1:2], v[6:7]
	s_waitcnt vmcnt(4)
	v_fma_f64 v[1:2], v[1:2], v[10:11], -v[16:17]
	v_fma_f64 v[3:4], v[3:4], v[10:11], v[6:7]
	s_waitcnt vmcnt(2)
	v_add_f64 v[1:2], v[12:13], -v[1:2]
	s_waitcnt vmcnt(0)
	v_add_f64 v[3:4], v[14:15], -v[3:4]
	buffer_store_dword v2, v8, s[0:3], 0 offen offset:36
	buffer_store_dword v1, v8, s[0:3], 0 offen offset:32
	;; [unrolled: 1-line block ×4, first 2 shown]
	buffer_load_dword v6, off, s[0:3], 0 offset:312
	buffer_load_dword v7, off, s[0:3], 0 offset:316
	;; [unrolled: 1-line block ×4, first 2 shown]
	buffer_load_dword v13, v8, s[0:3], 0 offen offset:52
	buffer_load_dword v12, v8, s[0:3], 0 offen offset:48
	buffer_load_dword v14, v8, s[0:3], 0 offen offset:56
	buffer_load_dword v15, v8, s[0:3], 0 offen offset:60
	ds_read2_b64 v[1:4], v5 offset0:6 offset1:7
	s_waitcnt vmcnt(6) lgkmcnt(0)
	v_mul_f64 v[16:17], v[3:4], v[6:7]
	v_mul_f64 v[5:6], v[1:2], v[6:7]
	s_waitcnt vmcnt(4)
	v_fma_f64 v[1:2], v[1:2], v[10:11], -v[16:17]
	v_fma_f64 v[3:4], v[3:4], v[10:11], v[5:6]
	s_waitcnt vmcnt(2)
	v_add_f64 v[1:2], v[12:13], -v[1:2]
	s_waitcnt vmcnt(0)
	v_add_f64 v[3:4], v[14:15], -v[3:4]
	buffer_store_dword v2, v8, s[0:3], 0 offen offset:52
	buffer_store_dword v1, v8, s[0:3], 0 offen offset:48
	;; [unrolled: 1-line block ×4, first 2 shown]
	buffer_load_dword v1, off, s[0:3], 0 offset:304
	s_nop 0
	buffer_load_dword v2, off, s[0:3], 0 offset:308
	buffer_load_dword v3, off, s[0:3], 0 offset:312
	;; [unrolled: 1-line block ×3, first 2 shown]
	s_branch .LBB121_258
.LBB121_261:
	s_or_b64 exec, exec, s[6:7]
	v_cmp_eq_u32_e32 vcc, 20, v0
	s_waitcnt vmcnt(0) lgkmcnt(0)
	s_barrier
	s_and_saveexec_b64 s[8:9], vcc
	s_cbranch_execz .LBB121_270
; %bb.262:
	v_readlane_b32 s6, v126, 1
	v_mov_b32_e32 v4, s6
	buffer_load_dword v1, v4, s[0:3], 0 offen
	buffer_load_dword v2, v4, s[0:3], 0 offen offset:4
	buffer_load_dword v3, v4, s[0:3], 0 offen offset:8
	s_nop 0
	buffer_load_dword v4, v4, s[0:3], 0 offen offset:12
	s_movk_i32 s6, 0x150
	s_waitcnt vmcnt(0)
	ds_write2_b64 v125, v[1:2], v[3:4] offset1:1
.LBB121_263:                            ; =>This Inner Loop Header: Depth=1
	v_mov_b32_e32 v18, s6
	buffer_load_dword v1, v18, s[0:3], 0 offen
	buffer_load_dword v2, v18, s[0:3], 0 offen offset:4
	buffer_load_dword v3, v18, s[0:3], 0 offen offset:8
	;; [unrolled: 1-line block ×15, first 2 shown]
	v_add_u32_e32 v19, s6, v117
	s_addk_i32 s6, 0xa0
	s_cmpk_lg_i32 s6, 0x3d0
	s_waitcnt vmcnt(12)
	ds_write2_b64 v19, v[1:2], v[3:4] offset1:1
	s_waitcnt vmcnt(8)
	ds_write2_b64 v19, v[5:6], v[7:8] offset0:2 offset1:3
	s_waitcnt vmcnt(4)
	ds_write2_b64 v19, v[10:11], v[12:13] offset0:4 offset1:5
	;; [unrolled: 2-line block ×3, first 2 shown]
	buffer_load_dword v2, v18, s[0:3], 0 offen offset:76
	buffer_load_dword v1, v18, s[0:3], 0 offen offset:72
	buffer_load_dword v4, v18, s[0:3], 0 offen offset:68
	buffer_load_dword v3, v18, s[0:3], 0 offen offset:64
	s_waitcnt vmcnt(0)
	ds_write2_b64 v19, v[3:4], v[1:2] offset0:8 offset1:9
	buffer_load_dword v2, v18, s[0:3], 0 offen offset:92
	buffer_load_dword v1, v18, s[0:3], 0 offen offset:88
	buffer_load_dword v4, v18, s[0:3], 0 offen offset:84
	buffer_load_dword v3, v18, s[0:3], 0 offen offset:80
	s_waitcnt vmcnt(0)
	ds_write2_b64 v19, v[3:4], v[1:2] offset0:10 offset1:11
	;; [unrolled: 6-line block ×6, first 2 shown]
	s_cbranch_scc1 .LBB121_263
; %bb.264:
	ds_read2_b64 v[1:4], v125 offset1:1
	s_waitcnt lgkmcnt(0)
	v_cmp_neq_f64_e32 vcc, 0, v[1:2]
	v_cmp_neq_f64_e64 s[6:7], 0, v[3:4]
	s_or_b64 s[6:7], vcc, s[6:7]
	s_and_b64 exec, exec, s[6:7]
	s_cbranch_execz .LBB121_270
; %bb.265:
	v_cmp_ngt_f64_e64 s[6:7], |v[1:2]|, |v[3:4]|
                                        ; implicit-def: $vgpr5_vgpr6
	s_and_saveexec_b64 s[10:11], s[6:7]
	s_xor_b64 s[6:7], exec, s[10:11]
                                        ; implicit-def: $vgpr7_vgpr8
	s_cbranch_execz .LBB121_267
; %bb.266:
	v_div_scale_f64 v[5:6], s[10:11], v[3:4], v[3:4], v[1:2]
	v_rcp_f64_e32 v[7:8], v[5:6]
	v_fma_f64 v[10:11], -v[5:6], v[7:8], 1.0
	v_fma_f64 v[7:8], v[7:8], v[10:11], v[7:8]
	v_div_scale_f64 v[10:11], vcc, v[1:2], v[3:4], v[1:2]
	v_fma_f64 v[12:13], -v[5:6], v[7:8], 1.0
	v_fma_f64 v[7:8], v[7:8], v[12:13], v[7:8]
	v_mul_f64 v[12:13], v[10:11], v[7:8]
	v_fma_f64 v[5:6], -v[5:6], v[12:13], v[10:11]
	v_div_fmas_f64 v[5:6], v[5:6], v[7:8], v[12:13]
	v_div_fixup_f64 v[5:6], v[5:6], v[3:4], v[1:2]
	v_fma_f64 v[1:2], v[1:2], v[5:6], v[3:4]
	v_div_scale_f64 v[3:4], s[10:11], v[1:2], v[1:2], 1.0
	v_div_scale_f64 v[12:13], vcc, 1.0, v[1:2], 1.0
	v_rcp_f64_e32 v[7:8], v[3:4]
	v_fma_f64 v[10:11], -v[3:4], v[7:8], 1.0
	v_fma_f64 v[7:8], v[7:8], v[10:11], v[7:8]
	v_fma_f64 v[10:11], -v[3:4], v[7:8], 1.0
	v_fma_f64 v[7:8], v[7:8], v[10:11], v[7:8]
	v_mul_f64 v[10:11], v[12:13], v[7:8]
	v_fma_f64 v[3:4], -v[3:4], v[10:11], v[12:13]
	v_div_fmas_f64 v[3:4], v[3:4], v[7:8], v[10:11]
	v_div_fixup_f64 v[7:8], v[3:4], v[1:2], 1.0
                                        ; implicit-def: $vgpr1_vgpr2
	v_mul_f64 v[5:6], v[5:6], v[7:8]
	v_xor_b32_e32 v8, 0x80000000, v8
.LBB121_267:
	s_andn2_saveexec_b64 s[6:7], s[6:7]
	s_cbranch_execz .LBB121_269
; %bb.268:
	v_div_scale_f64 v[5:6], s[10:11], v[1:2], v[1:2], v[3:4]
	v_rcp_f64_e32 v[7:8], v[5:6]
	v_fma_f64 v[10:11], -v[5:6], v[7:8], 1.0
	v_fma_f64 v[7:8], v[7:8], v[10:11], v[7:8]
	v_div_scale_f64 v[10:11], vcc, v[3:4], v[1:2], v[3:4]
	v_fma_f64 v[12:13], -v[5:6], v[7:8], 1.0
	v_fma_f64 v[7:8], v[7:8], v[12:13], v[7:8]
	v_mul_f64 v[12:13], v[10:11], v[7:8]
	v_fma_f64 v[5:6], -v[5:6], v[12:13], v[10:11]
	v_div_fmas_f64 v[5:6], v[5:6], v[7:8], v[12:13]
	v_div_fixup_f64 v[7:8], v[5:6], v[1:2], v[3:4]
	v_fma_f64 v[1:2], v[3:4], v[7:8], v[1:2]
	v_div_scale_f64 v[3:4], s[10:11], v[1:2], v[1:2], 1.0
	v_div_scale_f64 v[12:13], vcc, 1.0, v[1:2], 1.0
	v_rcp_f64_e32 v[5:6], v[3:4]
	v_fma_f64 v[10:11], -v[3:4], v[5:6], 1.0
	v_fma_f64 v[5:6], v[5:6], v[10:11], v[5:6]
	v_fma_f64 v[10:11], -v[3:4], v[5:6], 1.0
	v_fma_f64 v[5:6], v[5:6], v[10:11], v[5:6]
	v_mul_f64 v[10:11], v[12:13], v[5:6]
	v_fma_f64 v[3:4], -v[3:4], v[10:11], v[12:13]
	v_div_fmas_f64 v[3:4], v[3:4], v[5:6], v[10:11]
	v_div_fixup_f64 v[5:6], v[3:4], v[1:2], 1.0
	v_mul_f64 v[7:8], v[7:8], -v[5:6]
.LBB121_269:
	s_or_b64 exec, exec, s[6:7]
	ds_write2_b64 v125, v[5:6], v[7:8] offset1:1
.LBB121_270:
	s_or_b64 exec, exec, s[8:9]
	buffer_store_dword v20, off, s[0:3], 0 offset:1920 ; 4-byte Folded Spill
	s_nop 0
	buffer_store_dword v21, off, s[0:3], 0 offset:1924 ; 4-byte Folded Spill
	buffer_store_dword v22, off, s[0:3], 0 offset:1928 ; 4-byte Folded Spill
	;; [unrolled: 1-line block ×3, first 2 shown]
	s_waitcnt vmcnt(0) lgkmcnt(0)
	s_barrier
	ds_read2_b64 v[1:4], v125 offset1:1
	v_cmp_lt_u32_e32 vcc, 20, v0
	s_waitcnt lgkmcnt(0)
	buffer_store_dword v1, off, s[0:3], 0 offset:1648 ; 4-byte Folded Spill
	s_nop 0
	buffer_store_dword v2, off, s[0:3], 0 offset:1652 ; 4-byte Folded Spill
	buffer_store_dword v3, off, s[0:3], 0 offset:1656 ; 4-byte Folded Spill
	;; [unrolled: 1-line block ×3, first 2 shown]
	s_and_saveexec_b64 s[6:7], vcc
	s_cbranch_execz .LBB121_273
; %bb.271:
	buffer_load_dword v1, off, s[0:3], 0 offset:328
	buffer_load_dword v2, off, s[0:3], 0 offset:332
	;; [unrolled: 1-line block ×4, first 2 shown]
	buffer_load_dword v10, off, s[0:3], 0 offset:1648 ; 4-byte Folded Reload
	buffer_load_dword v11, off, s[0:3], 0 offset:1652 ; 4-byte Folded Reload
	;; [unrolled: 1-line block ×4, first 2 shown]
	s_movk_i32 s8, 0x150
	s_waitcnt vmcnt(0)
	v_mul_f64 v[5:6], v[12:13], v[1:2]
	v_mul_f64 v[1:2], v[10:11], v[1:2]
	v_fma_f64 v[5:6], v[10:11], v[3:4], -v[5:6]
	v_fma_f64 v[1:2], v[12:13], v[3:4], v[1:2]
	buffer_store_dword v5, off, s[0:3], 0 offset:320
	buffer_store_dword v6, off, s[0:3], 0 offset:324
	buffer_store_dword v1, off, s[0:3], 0 offset:328
	buffer_store_dword v2, off, s[0:3], 0 offset:332
.LBB121_272:                            ; =>This Inner Loop Header: Depth=1
	buffer_load_dword v7, off, s[0:3], 0 offset:328
	buffer_load_dword v8, off, s[0:3], 0 offset:332
	;; [unrolled: 1-line block ×4, first 2 shown]
	v_mov_b32_e32 v1, s8
	buffer_load_dword v12, v1, s[0:3], 0 offen
	buffer_load_dword v13, v1, s[0:3], 0 offen offset:4
	buffer_load_dword v14, v1, s[0:3], 0 offen offset:8
	;; [unrolled: 1-line block ×3, first 2 shown]
	v_add_u32_e32 v2, s8, v117
	ds_read2_b64 v[3:6], v2 offset1:1
	buffer_load_dword v16, v1, s[0:3], 0 offen offset:16
	buffer_load_dword v17, v1, s[0:3], 0 offen offset:20
	;; [unrolled: 1-line block ×3, first 2 shown]
	s_addk_i32 s8, 0x50
	s_cmpk_lg_i32 s8, 0x3d0
	s_waitcnt vmcnt(9) lgkmcnt(0)
	v_mul_f64 v[19:20], v[5:6], v[7:8]
	v_mul_f64 v[7:8], v[3:4], v[7:8]
	s_waitcnt vmcnt(7)
	v_fma_f64 v[3:4], v[3:4], v[10:11], -v[19:20]
	v_fma_f64 v[5:6], v[5:6], v[10:11], v[7:8]
	s_waitcnt vmcnt(5)
	v_add_f64 v[3:4], v[12:13], -v[3:4]
	s_waitcnt vmcnt(3)
	v_add_f64 v[5:6], v[14:15], -v[5:6]
	buffer_store_dword v4, v1, s[0:3], 0 offen offset:4
	buffer_store_dword v3, v1, s[0:3], 0 offen
	buffer_store_dword v6, v1, s[0:3], 0 offen offset:12
	buffer_store_dword v5, v1, s[0:3], 0 offen offset:8
	buffer_load_dword v8, off, s[0:3], 0 offset:332
	buffer_load_dword v7, off, s[0:3], 0 offset:328
	;; [unrolled: 1-line block ×4, first 2 shown]
	buffer_load_dword v19, v1, s[0:3], 0 offen offset:28
	ds_read2_b64 v[3:6], v2 offset0:2 offset1:3
	buffer_load_dword v12, v1, s[0:3], 0 offen offset:32
	buffer_load_dword v13, v1, s[0:3], 0 offen offset:36
	;; [unrolled: 1-line block ×3, first 2 shown]
	s_waitcnt vmcnt(6) lgkmcnt(0)
	v_mul_f64 v[20:21], v[5:6], v[7:8]
	v_mul_f64 v[7:8], v[3:4], v[7:8]
	s_waitcnt vmcnt(4)
	v_fma_f64 v[3:4], v[3:4], v[10:11], -v[20:21]
	v_fma_f64 v[5:6], v[5:6], v[10:11], v[7:8]
	v_add_f64 v[3:4], v[16:17], -v[3:4]
	s_waitcnt vmcnt(3)
	v_add_f64 v[5:6], v[18:19], -v[5:6]
	buffer_store_dword v4, v1, s[0:3], 0 offen offset:20
	buffer_store_dword v3, v1, s[0:3], 0 offen offset:16
	;; [unrolled: 1-line block ×4, first 2 shown]
	buffer_load_dword v7, off, s[0:3], 0 offset:328
	buffer_load_dword v8, off, s[0:3], 0 offset:332
	;; [unrolled: 1-line block ×4, first 2 shown]
	buffer_load_dword v15, v1, s[0:3], 0 offen offset:44
	ds_read2_b64 v[3:6], v2 offset0:4 offset1:5
	buffer_load_dword v16, v1, s[0:3], 0 offen offset:48
	s_waitcnt vmcnt(4) lgkmcnt(0)
	v_mul_f64 v[17:18], v[5:6], v[7:8]
	v_mul_f64 v[7:8], v[3:4], v[7:8]
	s_waitcnt vmcnt(2)
	v_fma_f64 v[3:4], v[3:4], v[10:11], -v[17:18]
	v_fma_f64 v[5:6], v[5:6], v[10:11], v[7:8]
	v_add_f64 v[3:4], v[12:13], -v[3:4]
	s_waitcnt vmcnt(1)
	v_add_f64 v[5:6], v[14:15], -v[5:6]
	buffer_store_dword v4, v1, s[0:3], 0 offen offset:36
	buffer_store_dword v3, v1, s[0:3], 0 offen offset:32
	;; [unrolled: 1-line block ×4, first 2 shown]
	buffer_load_dword v7, off, s[0:3], 0 offset:328
	buffer_load_dword v8, off, s[0:3], 0 offset:332
	;; [unrolled: 1-line block ×4, first 2 shown]
	buffer_load_dword v17, v1, s[0:3], 0 offen offset:52
	buffer_load_dword v12, v1, s[0:3], 0 offen offset:56
	buffer_load_dword v13, v1, s[0:3], 0 offen offset:60
	ds_read2_b64 v[3:6], v2 offset0:6 offset1:7
	s_waitcnt vmcnt(5) lgkmcnt(0)
	v_mul_f64 v[14:15], v[5:6], v[7:8]
	v_mul_f64 v[7:8], v[3:4], v[7:8]
	s_waitcnt vmcnt(3)
	v_fma_f64 v[3:4], v[3:4], v[10:11], -v[14:15]
	v_fma_f64 v[5:6], v[5:6], v[10:11], v[7:8]
	s_waitcnt vmcnt(2)
	v_add_f64 v[3:4], v[16:17], -v[3:4]
	s_waitcnt vmcnt(0)
	v_add_f64 v[5:6], v[12:13], -v[5:6]
	buffer_store_dword v4, v1, s[0:3], 0 offen offset:52
	buffer_store_dword v3, v1, s[0:3], 0 offen offset:48
	;; [unrolled: 1-line block ×4, first 2 shown]
	buffer_load_dword v6, off, s[0:3], 0 offset:328
	s_nop 0
	buffer_load_dword v7, off, s[0:3], 0 offset:332
	buffer_load_dword v10, off, s[0:3], 0 offset:320
	;; [unrolled: 1-line block ×3, first 2 shown]
	buffer_load_dword v12, v1, s[0:3], 0 offen offset:64
	buffer_load_dword v13, v1, s[0:3], 0 offen offset:68
	;; [unrolled: 1-line block ×4, first 2 shown]
	ds_read2_b64 v[2:5], v2 offset0:8 offset1:9
	s_waitcnt vmcnt(6) lgkmcnt(0)
	v_mul_f64 v[16:17], v[4:5], v[6:7]
	v_mul_f64 v[6:7], v[2:3], v[6:7]
	s_waitcnt vmcnt(4)
	v_fma_f64 v[2:3], v[2:3], v[10:11], -v[16:17]
	v_fma_f64 v[4:5], v[4:5], v[10:11], v[6:7]
	s_waitcnt vmcnt(2)
	v_add_f64 v[2:3], v[12:13], -v[2:3]
	s_waitcnt vmcnt(0)
	v_add_f64 v[4:5], v[14:15], -v[4:5]
	buffer_store_dword v3, v1, s[0:3], 0 offen offset:68
	buffer_store_dword v2, v1, s[0:3], 0 offen offset:64
	buffer_store_dword v5, v1, s[0:3], 0 offen offset:76
	buffer_store_dword v4, v1, s[0:3], 0 offen offset:72
	s_cbranch_scc1 .LBB121_272
.LBB121_273:
	s_or_b64 exec, exec, s[6:7]
	v_cmp_eq_u32_e32 vcc, 21, v0
	s_waitcnt vmcnt(0)
	s_barrier
	s_and_saveexec_b64 s[8:9], vcc
	s_cbranch_execz .LBB121_282
; %bb.274:
	v_readlane_b32 s6, v126, 2
	v_mov_b32_e32 v4, s6
	buffer_load_dword v1, v4, s[0:3], 0 offen
	buffer_load_dword v2, v4, s[0:3], 0 offen offset:4
	buffer_load_dword v3, v4, s[0:3], 0 offen offset:8
	s_nop 0
	buffer_load_dword v4, v4, s[0:3], 0 offen offset:12
	s_movk_i32 s6, 0x160
	s_waitcnt vmcnt(0)
	ds_write2_b64 v125, v[1:2], v[3:4] offset1:1
.LBB121_275:                            ; =>This Inner Loop Header: Depth=1
	v_mov_b32_e32 v18, s6
	buffer_load_dword v1, v18, s[0:3], 0 offen
	buffer_load_dword v2, v18, s[0:3], 0 offen offset:4
	buffer_load_dword v3, v18, s[0:3], 0 offen offset:8
	buffer_load_dword v4, v18, s[0:3], 0 offen offset:12
	buffer_load_dword v5, v18, s[0:3], 0 offen offset:16
	buffer_load_dword v6, v18, s[0:3], 0 offen offset:20
	buffer_load_dword v7, v18, s[0:3], 0 offen offset:24
	buffer_load_dword v8, v18, s[0:3], 0 offen offset:28
	buffer_load_dword v10, v18, s[0:3], 0 offen offset:32
	buffer_load_dword v11, v18, s[0:3], 0 offen offset:36
	buffer_load_dword v12, v18, s[0:3], 0 offen offset:40
	buffer_load_dword v13, v18, s[0:3], 0 offen offset:44
	buffer_load_dword v14, v18, s[0:3], 0 offen offset:48
	buffer_load_dword v15, v18, s[0:3], 0 offen offset:52
	buffer_load_dword v16, v18, s[0:3], 0 offen offset:56
	buffer_load_dword v17, v18, s[0:3], 0 offen offset:60
	v_add_u32_e32 v19, s6, v117
	s_addk_i32 s6, 0xd0
	s_cmpk_lg_i32 s6, 0x3d0
	s_waitcnt vmcnt(12)
	ds_write2_b64 v19, v[1:2], v[3:4] offset1:1
	s_waitcnt vmcnt(8)
	ds_write2_b64 v19, v[5:6], v[7:8] offset0:2 offset1:3
	s_waitcnt vmcnt(4)
	ds_write2_b64 v19, v[10:11], v[12:13] offset0:4 offset1:5
	;; [unrolled: 2-line block ×3, first 2 shown]
	buffer_load_dword v2, v18, s[0:3], 0 offen offset:76
	buffer_load_dword v1, v18, s[0:3], 0 offen offset:72
	buffer_load_dword v4, v18, s[0:3], 0 offen offset:68
	buffer_load_dword v3, v18, s[0:3], 0 offen offset:64
	s_waitcnt vmcnt(0)
	ds_write2_b64 v19, v[3:4], v[1:2] offset0:8 offset1:9
	buffer_load_dword v2, v18, s[0:3], 0 offen offset:92
	buffer_load_dword v1, v18, s[0:3], 0 offen offset:88
	buffer_load_dword v4, v18, s[0:3], 0 offen offset:84
	buffer_load_dword v3, v18, s[0:3], 0 offen offset:80
	s_waitcnt vmcnt(0)
	ds_write2_b64 v19, v[3:4], v[1:2] offset0:10 offset1:11
	;; [unrolled: 6-line block ×9, first 2 shown]
	s_cbranch_scc1 .LBB121_275
; %bb.276:
	ds_read2_b64 v[1:4], v125 offset1:1
	s_waitcnt lgkmcnt(0)
	v_cmp_neq_f64_e32 vcc, 0, v[1:2]
	v_cmp_neq_f64_e64 s[6:7], 0, v[3:4]
	s_or_b64 s[6:7], vcc, s[6:7]
	s_and_b64 exec, exec, s[6:7]
	s_cbranch_execz .LBB121_282
; %bb.277:
	v_cmp_ngt_f64_e64 s[6:7], |v[1:2]|, |v[3:4]|
                                        ; implicit-def: $vgpr5_vgpr6
	s_and_saveexec_b64 s[10:11], s[6:7]
	s_xor_b64 s[6:7], exec, s[10:11]
                                        ; implicit-def: $vgpr7_vgpr8
	s_cbranch_execz .LBB121_279
; %bb.278:
	v_div_scale_f64 v[5:6], s[10:11], v[3:4], v[3:4], v[1:2]
	v_rcp_f64_e32 v[7:8], v[5:6]
	v_fma_f64 v[10:11], -v[5:6], v[7:8], 1.0
	v_fma_f64 v[7:8], v[7:8], v[10:11], v[7:8]
	v_div_scale_f64 v[10:11], vcc, v[1:2], v[3:4], v[1:2]
	v_fma_f64 v[12:13], -v[5:6], v[7:8], 1.0
	v_fma_f64 v[7:8], v[7:8], v[12:13], v[7:8]
	v_mul_f64 v[12:13], v[10:11], v[7:8]
	v_fma_f64 v[5:6], -v[5:6], v[12:13], v[10:11]
	v_div_fmas_f64 v[5:6], v[5:6], v[7:8], v[12:13]
	v_div_fixup_f64 v[5:6], v[5:6], v[3:4], v[1:2]
	v_fma_f64 v[1:2], v[1:2], v[5:6], v[3:4]
	v_div_scale_f64 v[3:4], s[10:11], v[1:2], v[1:2], 1.0
	v_div_scale_f64 v[12:13], vcc, 1.0, v[1:2], 1.0
	v_rcp_f64_e32 v[7:8], v[3:4]
	v_fma_f64 v[10:11], -v[3:4], v[7:8], 1.0
	v_fma_f64 v[7:8], v[7:8], v[10:11], v[7:8]
	v_fma_f64 v[10:11], -v[3:4], v[7:8], 1.0
	v_fma_f64 v[7:8], v[7:8], v[10:11], v[7:8]
	v_mul_f64 v[10:11], v[12:13], v[7:8]
	v_fma_f64 v[3:4], -v[3:4], v[10:11], v[12:13]
	v_div_fmas_f64 v[3:4], v[3:4], v[7:8], v[10:11]
	v_div_fixup_f64 v[7:8], v[3:4], v[1:2], 1.0
                                        ; implicit-def: $vgpr1_vgpr2
	v_mul_f64 v[5:6], v[5:6], v[7:8]
	v_xor_b32_e32 v8, 0x80000000, v8
.LBB121_279:
	s_andn2_saveexec_b64 s[6:7], s[6:7]
	s_cbranch_execz .LBB121_281
; %bb.280:
	v_div_scale_f64 v[5:6], s[10:11], v[1:2], v[1:2], v[3:4]
	v_rcp_f64_e32 v[7:8], v[5:6]
	v_fma_f64 v[10:11], -v[5:6], v[7:8], 1.0
	v_fma_f64 v[7:8], v[7:8], v[10:11], v[7:8]
	v_div_scale_f64 v[10:11], vcc, v[3:4], v[1:2], v[3:4]
	v_fma_f64 v[12:13], -v[5:6], v[7:8], 1.0
	v_fma_f64 v[7:8], v[7:8], v[12:13], v[7:8]
	v_mul_f64 v[12:13], v[10:11], v[7:8]
	v_fma_f64 v[5:6], -v[5:6], v[12:13], v[10:11]
	v_div_fmas_f64 v[5:6], v[5:6], v[7:8], v[12:13]
	v_div_fixup_f64 v[7:8], v[5:6], v[1:2], v[3:4]
	v_fma_f64 v[1:2], v[3:4], v[7:8], v[1:2]
	v_div_scale_f64 v[3:4], s[10:11], v[1:2], v[1:2], 1.0
	v_div_scale_f64 v[12:13], vcc, 1.0, v[1:2], 1.0
	v_rcp_f64_e32 v[5:6], v[3:4]
	v_fma_f64 v[10:11], -v[3:4], v[5:6], 1.0
	v_fma_f64 v[5:6], v[5:6], v[10:11], v[5:6]
	v_fma_f64 v[10:11], -v[3:4], v[5:6], 1.0
	v_fma_f64 v[5:6], v[5:6], v[10:11], v[5:6]
	v_mul_f64 v[10:11], v[12:13], v[5:6]
	v_fma_f64 v[3:4], -v[3:4], v[10:11], v[12:13]
	v_div_fmas_f64 v[3:4], v[3:4], v[5:6], v[10:11]
	v_div_fixup_f64 v[5:6], v[3:4], v[1:2], 1.0
	v_mul_f64 v[7:8], v[7:8], -v[5:6]
.LBB121_281:
	s_or_b64 exec, exec, s[6:7]
	ds_write2_b64 v125, v[5:6], v[7:8] offset1:1
.LBB121_282:
	s_or_b64 exec, exec, s[8:9]
	s_waitcnt lgkmcnt(0)
	s_barrier
	ds_read2_b64 v[20:23], v125 offset1:1
	v_cmp_lt_u32_e32 vcc, 21, v0
	s_and_saveexec_b64 s[6:7], vcc
	s_cbranch_execz .LBB121_285
; %bb.283:
	buffer_load_dword v1, off, s[0:3], 0 offset:344
	buffer_load_dword v2, off, s[0:3], 0 offset:348
	;; [unrolled: 1-line block ×4, first 2 shown]
	s_movk_i32 s8, 0x160
	s_waitcnt vmcnt(2) lgkmcnt(0)
	v_mul_f64 v[5:6], v[22:23], v[1:2]
	v_mul_f64 v[1:2], v[20:21], v[1:2]
	s_waitcnt vmcnt(0)
	v_fma_f64 v[5:6], v[20:21], v[3:4], -v[5:6]
	v_fma_f64 v[1:2], v[22:23], v[3:4], v[1:2]
	buffer_store_dword v5, off, s[0:3], 0 offset:336
	buffer_store_dword v6, off, s[0:3], 0 offset:340
	;; [unrolled: 1-line block ×4, first 2 shown]
.LBB121_284:                            ; =>This Inner Loop Header: Depth=1
	buffer_load_dword v5, off, s[0:3], 0 offset:344
	s_nop 0
	buffer_load_dword v6, off, s[0:3], 0 offset:348
	buffer_load_dword v7, off, s[0:3], 0 offset:336
	;; [unrolled: 1-line block ×3, first 2 shown]
	v_mov_b32_e32 v17, s8
	buffer_load_dword v10, v17, s[0:3], 0 offen
	buffer_load_dword v11, v17, s[0:3], 0 offen offset:4
	buffer_load_dword v12, v17, s[0:3], 0 offen offset:8
	;; [unrolled: 1-line block ×3, first 2 shown]
	v_add_u32_e32 v18, s8, v117
	ds_read2_b64 v[1:4], v18 offset1:1
	buffer_load_dword v14, v17, s[0:3], 0 offen offset:16
	s_add_i32 s8, s8, 48
	s_cmpk_lg_i32 s8, 0x3d0
	s_waitcnt vmcnt(7) lgkmcnt(0)
	v_mul_f64 v[15:16], v[3:4], v[5:6]
	v_mul_f64 v[5:6], v[1:2], v[5:6]
	s_waitcnt vmcnt(5)
	v_fma_f64 v[1:2], v[1:2], v[7:8], -v[15:16]
	v_fma_f64 v[3:4], v[3:4], v[7:8], v[5:6]
	s_waitcnt vmcnt(3)
	v_add_f64 v[1:2], v[10:11], -v[1:2]
	s_waitcnt vmcnt(1)
	v_add_f64 v[3:4], v[12:13], -v[3:4]
	buffer_store_dword v2, v17, s[0:3], 0 offen offset:4
	buffer_store_dword v1, v17, s[0:3], 0 offen
	buffer_store_dword v4, v17, s[0:3], 0 offen offset:12
	buffer_store_dword v3, v17, s[0:3], 0 offen offset:8
	buffer_load_dword v6, off, s[0:3], 0 offset:348
	buffer_load_dword v5, off, s[0:3], 0 offset:344
	;; [unrolled: 1-line block ×4, first 2 shown]
	buffer_load_dword v15, v17, s[0:3], 0 offen offset:20
	buffer_load_dword v10, v17, s[0:3], 0 offen offset:24
	;; [unrolled: 1-line block ×3, first 2 shown]
	ds_read2_b64 v[1:4], v18 offset0:2 offset1:3
	s_waitcnt vmcnt(5) lgkmcnt(0)
	v_mul_f64 v[12:13], v[3:4], v[5:6]
	v_mul_f64 v[5:6], v[1:2], v[5:6]
	s_waitcnt vmcnt(3)
	v_fma_f64 v[1:2], v[1:2], v[7:8], -v[12:13]
	v_fma_f64 v[3:4], v[3:4], v[7:8], v[5:6]
	s_waitcnt vmcnt(2)
	v_add_f64 v[1:2], v[14:15], -v[1:2]
	s_waitcnt vmcnt(0)
	v_add_f64 v[3:4], v[10:11], -v[3:4]
	buffer_store_dword v2, v17, s[0:3], 0 offen offset:20
	buffer_store_dword v1, v17, s[0:3], 0 offen offset:16
	;; [unrolled: 1-line block ×4, first 2 shown]
	buffer_load_dword v5, off, s[0:3], 0 offset:344
	buffer_load_dword v6, off, s[0:3], 0 offset:348
	;; [unrolled: 1-line block ×4, first 2 shown]
	buffer_load_dword v10, v17, s[0:3], 0 offen offset:32
	buffer_load_dword v11, v17, s[0:3], 0 offen offset:36
	buffer_load_dword v12, v17, s[0:3], 0 offen offset:40
	buffer_load_dword v13, v17, s[0:3], 0 offen offset:44
	ds_read2_b64 v[1:4], v18 offset0:4 offset1:5
	s_waitcnt vmcnt(6) lgkmcnt(0)
	v_mul_f64 v[14:15], v[3:4], v[5:6]
	v_mul_f64 v[5:6], v[1:2], v[5:6]
	s_waitcnt vmcnt(4)
	v_fma_f64 v[1:2], v[1:2], v[7:8], -v[14:15]
	v_fma_f64 v[3:4], v[3:4], v[7:8], v[5:6]
	s_waitcnt vmcnt(2)
	v_add_f64 v[1:2], v[10:11], -v[1:2]
	s_waitcnt vmcnt(0)
	v_add_f64 v[3:4], v[12:13], -v[3:4]
	buffer_store_dword v2, v17, s[0:3], 0 offen offset:36
	buffer_store_dword v1, v17, s[0:3], 0 offen offset:32
	;; [unrolled: 1-line block ×4, first 2 shown]
	s_cbranch_scc1 .LBB121_284
.LBB121_285:
	s_or_b64 exec, exec, s[6:7]
	v_cmp_eq_u32_e32 vcc, 22, v0
	s_waitcnt vmcnt(0) lgkmcnt(0)
	s_barrier
	s_and_saveexec_b64 s[8:9], vcc
	s_cbranch_execz .LBB121_294
; %bb.286:
	v_readlane_b32 s6, v126, 3
	v_mov_b32_e32 v4, s6
	buffer_load_dword v1, v4, s[0:3], 0 offen
	buffer_load_dword v2, v4, s[0:3], 0 offen offset:4
	buffer_load_dword v3, v4, s[0:3], 0 offen offset:8
	s_nop 0
	buffer_load_dword v4, v4, s[0:3], 0 offen offset:12
	s_movk_i32 s6, 0x170
	s_waitcnt vmcnt(0)
	ds_write2_b64 v125, v[1:2], v[3:4] offset1:1
.LBB121_287:                            ; =>This Inner Loop Header: Depth=1
	v_mov_b32_e32 v8, s6
	buffer_load_dword v1, v8, s[0:3], 0 offen
	buffer_load_dword v2, v8, s[0:3], 0 offen offset:4
	buffer_load_dword v3, v8, s[0:3], 0 offen offset:8
	;; [unrolled: 1-line block ×6, first 2 shown]
	s_nop 0
	buffer_load_dword v8, v8, s[0:3], 0 offen offset:28
	v_add_u32_e32 v10, s6, v117
	s_add_i32 s6, s6, 32
	s_cmpk_lg_i32 s6, 0x3d0
	s_waitcnt vmcnt(4)
	ds_write2_b64 v10, v[1:2], v[3:4] offset1:1
	s_waitcnt vmcnt(0)
	ds_write2_b64 v10, v[5:6], v[7:8] offset0:2 offset1:3
	s_cbranch_scc1 .LBB121_287
; %bb.288:
	ds_read2_b64 v[1:4], v125 offset1:1
	s_waitcnt lgkmcnt(0)
	v_cmp_neq_f64_e32 vcc, 0, v[1:2]
	v_cmp_neq_f64_e64 s[6:7], 0, v[3:4]
	s_or_b64 s[6:7], vcc, s[6:7]
	s_and_b64 exec, exec, s[6:7]
	s_cbranch_execz .LBB121_294
; %bb.289:
	v_cmp_ngt_f64_e64 s[6:7], |v[1:2]|, |v[3:4]|
                                        ; implicit-def: $vgpr5_vgpr6
	s_and_saveexec_b64 s[10:11], s[6:7]
	s_xor_b64 s[6:7], exec, s[10:11]
                                        ; implicit-def: $vgpr7_vgpr8
	s_cbranch_execz .LBB121_291
; %bb.290:
	v_div_scale_f64 v[5:6], s[10:11], v[3:4], v[3:4], v[1:2]
	v_rcp_f64_e32 v[7:8], v[5:6]
	v_fma_f64 v[10:11], -v[5:6], v[7:8], 1.0
	v_fma_f64 v[7:8], v[7:8], v[10:11], v[7:8]
	v_div_scale_f64 v[10:11], vcc, v[1:2], v[3:4], v[1:2]
	v_fma_f64 v[12:13], -v[5:6], v[7:8], 1.0
	v_fma_f64 v[7:8], v[7:8], v[12:13], v[7:8]
	v_mul_f64 v[12:13], v[10:11], v[7:8]
	v_fma_f64 v[5:6], -v[5:6], v[12:13], v[10:11]
	v_div_fmas_f64 v[5:6], v[5:6], v[7:8], v[12:13]
	v_div_fixup_f64 v[5:6], v[5:6], v[3:4], v[1:2]
	v_fma_f64 v[1:2], v[1:2], v[5:6], v[3:4]
	v_div_scale_f64 v[3:4], s[10:11], v[1:2], v[1:2], 1.0
	v_div_scale_f64 v[12:13], vcc, 1.0, v[1:2], 1.0
	v_rcp_f64_e32 v[7:8], v[3:4]
	v_fma_f64 v[10:11], -v[3:4], v[7:8], 1.0
	v_fma_f64 v[7:8], v[7:8], v[10:11], v[7:8]
	v_fma_f64 v[10:11], -v[3:4], v[7:8], 1.0
	v_fma_f64 v[7:8], v[7:8], v[10:11], v[7:8]
	v_mul_f64 v[10:11], v[12:13], v[7:8]
	v_fma_f64 v[3:4], -v[3:4], v[10:11], v[12:13]
	v_div_fmas_f64 v[3:4], v[3:4], v[7:8], v[10:11]
	v_div_fixup_f64 v[7:8], v[3:4], v[1:2], 1.0
                                        ; implicit-def: $vgpr1_vgpr2
	v_mul_f64 v[5:6], v[5:6], v[7:8]
	v_xor_b32_e32 v8, 0x80000000, v8
.LBB121_291:
	s_andn2_saveexec_b64 s[6:7], s[6:7]
	s_cbranch_execz .LBB121_293
; %bb.292:
	v_div_scale_f64 v[5:6], s[10:11], v[1:2], v[1:2], v[3:4]
	v_rcp_f64_e32 v[7:8], v[5:6]
	v_fma_f64 v[10:11], -v[5:6], v[7:8], 1.0
	v_fma_f64 v[7:8], v[7:8], v[10:11], v[7:8]
	v_div_scale_f64 v[10:11], vcc, v[3:4], v[1:2], v[3:4]
	v_fma_f64 v[12:13], -v[5:6], v[7:8], 1.0
	v_fma_f64 v[7:8], v[7:8], v[12:13], v[7:8]
	v_mul_f64 v[12:13], v[10:11], v[7:8]
	v_fma_f64 v[5:6], -v[5:6], v[12:13], v[10:11]
	v_div_fmas_f64 v[5:6], v[5:6], v[7:8], v[12:13]
	v_div_fixup_f64 v[7:8], v[5:6], v[1:2], v[3:4]
	v_fma_f64 v[1:2], v[3:4], v[7:8], v[1:2]
	v_div_scale_f64 v[3:4], s[10:11], v[1:2], v[1:2], 1.0
	v_div_scale_f64 v[12:13], vcc, 1.0, v[1:2], 1.0
	v_rcp_f64_e32 v[5:6], v[3:4]
	v_fma_f64 v[10:11], -v[3:4], v[5:6], 1.0
	v_fma_f64 v[5:6], v[5:6], v[10:11], v[5:6]
	v_fma_f64 v[10:11], -v[3:4], v[5:6], 1.0
	v_fma_f64 v[5:6], v[5:6], v[10:11], v[5:6]
	v_mul_f64 v[10:11], v[12:13], v[5:6]
	v_fma_f64 v[3:4], -v[3:4], v[10:11], v[12:13]
	v_div_fmas_f64 v[3:4], v[3:4], v[5:6], v[10:11]
	v_div_fixup_f64 v[5:6], v[3:4], v[1:2], 1.0
	v_mul_f64 v[7:8], v[7:8], -v[5:6]
.LBB121_293:
	s_or_b64 exec, exec, s[6:7]
	ds_write2_b64 v125, v[5:6], v[7:8] offset1:1
.LBB121_294:
	s_or_b64 exec, exec, s[8:9]
	s_waitcnt lgkmcnt(0)
	s_barrier
	ds_read2_b64 v[1:4], v125 offset1:1
	v_cmp_lt_u32_e32 vcc, 22, v0
	s_waitcnt lgkmcnt(0)
	buffer_store_dword v1, off, s[0:3], 0 offset:1664 ; 4-byte Folded Spill
	s_nop 0
	buffer_store_dword v2, off, s[0:3], 0 offset:1668 ; 4-byte Folded Spill
	buffer_store_dword v3, off, s[0:3], 0 offset:1672 ; 4-byte Folded Spill
	;; [unrolled: 1-line block ×3, first 2 shown]
	s_and_saveexec_b64 s[6:7], vcc
	s_cbranch_execz .LBB121_297
; %bb.295:
	buffer_load_dword v1, off, s[0:3], 0 offset:360
	buffer_load_dword v2, off, s[0:3], 0 offset:364
	;; [unrolled: 1-line block ×4, first 2 shown]
	buffer_load_dword v10, off, s[0:3], 0 offset:1664 ; 4-byte Folded Reload
	buffer_load_dword v11, off, s[0:3], 0 offset:1668 ; 4-byte Folded Reload
	;; [unrolled: 1-line block ×4, first 2 shown]
	s_movk_i32 s8, 0x170
	s_waitcnt vmcnt(0)
	v_mul_f64 v[5:6], v[12:13], v[1:2]
	v_mul_f64 v[1:2], v[10:11], v[1:2]
	v_fma_f64 v[5:6], v[10:11], v[3:4], -v[5:6]
	v_fma_f64 v[1:2], v[12:13], v[3:4], v[1:2]
	buffer_store_dword v5, off, s[0:3], 0 offset:352
	buffer_store_dword v6, off, s[0:3], 0 offset:356
	;; [unrolled: 1-line block ×4, first 2 shown]
.LBB121_296:                            ; =>This Inner Loop Header: Depth=1
	v_add_u32_e32 v14, s8, v117
	ds_read2_b64 v[1:4], v14 offset1:1
	buffer_load_dword v5, off, s[0:3], 0 offset:352
	buffer_load_dword v6, off, s[0:3], 0 offset:356
	;; [unrolled: 1-line block ×4, first 2 shown]
	v_mov_b32_e32 v16, s8
	s_add_i32 s8, s8, 32
	s_cmpk_lg_i32 s8, 0x3d0
	s_waitcnt vmcnt(0) lgkmcnt(0)
	v_mul_f64 v[10:11], v[3:4], v[7:8]
	v_fma_f64 v[10:11], v[1:2], v[5:6], -v[10:11]
	v_mul_f64 v[1:2], v[1:2], v[7:8]
	v_fma_f64 v[1:2], v[3:4], v[5:6], v[1:2]
	buffer_load_dword v3, v16, s[0:3], 0 offen
	buffer_load_dword v4, v16, s[0:3], 0 offen offset:4
	buffer_load_dword v5, v16, s[0:3], 0 offen offset:8
	;; [unrolled: 1-line block ×7, first 2 shown]
	s_waitcnt vmcnt(6)
	v_add_f64 v[3:4], v[3:4], -v[10:11]
	s_waitcnt vmcnt(4)
	v_add_f64 v[1:2], v[5:6], -v[1:2]
	buffer_store_dword v4, v16, s[0:3], 0 offen offset:4
	buffer_store_dword v3, v16, s[0:3], 0 offen
	buffer_store_dword v2, v16, s[0:3], 0 offen offset:12
	buffer_store_dword v1, v16, s[0:3], 0 offen offset:8
	ds_read2_b64 v[1:4], v14 offset0:2 offset1:3
	buffer_load_dword v6, off, s[0:3], 0 offset:356
	buffer_load_dword v5, off, s[0:3], 0 offset:352
	;; [unrolled: 1-line block ×4, first 2 shown]
	s_waitcnt vmcnt(0) lgkmcnt(0)
	v_mul_f64 v[14:15], v[3:4], v[10:11]
	v_fma_f64 v[14:15], v[1:2], v[5:6], -v[14:15]
	v_mul_f64 v[1:2], v[1:2], v[10:11]
	v_fma_f64 v[1:2], v[3:4], v[5:6], v[1:2]
	v_add_f64 v[3:4], v[7:8], -v[14:15]
	v_add_f64 v[1:2], v[12:13], -v[1:2]
	buffer_store_dword v4, v16, s[0:3], 0 offen offset:20
	buffer_store_dword v3, v16, s[0:3], 0 offen offset:16
	;; [unrolled: 1-line block ×4, first 2 shown]
	s_cbranch_scc1 .LBB121_296
.LBB121_297:
	s_or_b64 exec, exec, s[6:7]
	v_cmp_eq_u32_e32 vcc, 23, v0
	v_add_u32_e32 v9, 0, v9
	s_waitcnt vmcnt(0)
	s_barrier
	s_and_saveexec_b64 s[8:9], vcc
	s_cbranch_execz .LBB121_308
; %bb.298:
	v_readlane_b32 s6, v126, 4
	v_mov_b32_e32 v4, s6
	buffer_load_dword v1, v4, s[0:3], 0 offen
	buffer_load_dword v2, v4, s[0:3], 0 offen offset:4
	buffer_load_dword v3, v4, s[0:3], 0 offen offset:8
	s_nop 0
	buffer_load_dword v4, v4, s[0:3], 0 offen offset:12
	s_mov_b32 s10, 0
	s_waitcnt vmcnt(0)
	ds_write2_b64 v125, v[1:2], v[3:4] offset1:1
	s_branch .LBB121_300
.LBB121_299:                            ;   in Loop: Header=BB121_300 Depth=1
	s_andn2_b64 vcc, exec, s[6:7]
	s_cbranch_vccz .LBB121_302
.LBB121_300:                            ; =>This Inner Loop Header: Depth=1
	s_add_i32 s11, s78, s10
	v_mov_b32_e32 v8, s11
	buffer_load_dword v2, v8, s[0:3], 0 offen
	buffer_load_dword v3, v8, s[0:3], 0 offen offset:4
	buffer_load_dword v4, v8, s[0:3], 0 offen offset:8
	;; [unrolled: 1-line block ×15, first 2 shown]
	v_add_u32_e32 v1, 0x180, v9
	v_add_u32_e32 v1, s10, v1
	s_mov_b64 s[6:7], -1
	s_cmpk_eq_i32 s10, 0x200
	s_waitcnt vmcnt(12)
	ds_write2_b64 v1, v[2:3], v[4:5] offset1:1
	s_waitcnt vmcnt(8)
	ds_write2_b64 v1, v[6:7], v[10:11] offset0:2 offset1:3
	s_waitcnt vmcnt(4)
	ds_write2_b64 v1, v[12:13], v[14:15] offset0:4 offset1:5
	;; [unrolled: 2-line block ×3, first 2 shown]
	buffer_load_dword v3, v8, s[0:3], 0 offen offset:76
	buffer_load_dword v2, v8, s[0:3], 0 offen offset:72
	;; [unrolled: 1-line block ×4, first 2 shown]
	s_waitcnt vmcnt(0)
	ds_write2_b64 v1, v[4:5], v[2:3] offset0:8 offset1:9
	s_cbranch_scc1 .LBB121_299
; %bb.301:                              ;   in Loop: Header=BB121_300 Depth=1
	v_mov_b32_e32 v8, s11
	buffer_load_dword v2, v8, s[0:3], 0 offen offset:80
	buffer_load_dword v3, v8, s[0:3], 0 offen offset:84
	;; [unrolled: 1-line block ×12, first 2 shown]
	s_addk_i32 s10, 0x80
	s_mov_b64 s[6:7], 0
	s_waitcnt vmcnt(8)
	ds_write2_b64 v1, v[2:3], v[4:5] offset0:10 offset1:11
	s_waitcnt vmcnt(4)
	ds_write2_b64 v1, v[6:7], v[10:11] offset0:12 offset1:13
	;; [unrolled: 2-line block ×3, first 2 shown]
	s_branch .LBB121_299
.LBB121_302:
	ds_read2_b64 v[1:4], v125 offset1:1
	s_waitcnt lgkmcnt(0)
	v_cmp_neq_f64_e32 vcc, 0, v[1:2]
	v_cmp_neq_f64_e64 s[6:7], 0, v[3:4]
	s_or_b64 s[6:7], vcc, s[6:7]
	s_and_b64 exec, exec, s[6:7]
	s_cbranch_execz .LBB121_308
; %bb.303:
	v_cmp_ngt_f64_e64 s[6:7], |v[1:2]|, |v[3:4]|
                                        ; implicit-def: $vgpr5_vgpr6
	s_and_saveexec_b64 s[10:11], s[6:7]
	s_xor_b64 s[6:7], exec, s[10:11]
                                        ; implicit-def: $vgpr7_vgpr8
	s_cbranch_execz .LBB121_305
; %bb.304:
	v_div_scale_f64 v[5:6], s[10:11], v[3:4], v[3:4], v[1:2]
	v_rcp_f64_e32 v[7:8], v[5:6]
	v_fma_f64 v[10:11], -v[5:6], v[7:8], 1.0
	v_fma_f64 v[7:8], v[7:8], v[10:11], v[7:8]
	v_div_scale_f64 v[10:11], vcc, v[1:2], v[3:4], v[1:2]
	v_fma_f64 v[12:13], -v[5:6], v[7:8], 1.0
	v_fma_f64 v[7:8], v[7:8], v[12:13], v[7:8]
	v_mul_f64 v[12:13], v[10:11], v[7:8]
	v_fma_f64 v[5:6], -v[5:6], v[12:13], v[10:11]
	v_div_fmas_f64 v[5:6], v[5:6], v[7:8], v[12:13]
	v_div_fixup_f64 v[5:6], v[5:6], v[3:4], v[1:2]
	v_fma_f64 v[1:2], v[1:2], v[5:6], v[3:4]
	v_div_scale_f64 v[3:4], s[10:11], v[1:2], v[1:2], 1.0
	v_div_scale_f64 v[12:13], vcc, 1.0, v[1:2], 1.0
	v_rcp_f64_e32 v[7:8], v[3:4]
	v_fma_f64 v[10:11], -v[3:4], v[7:8], 1.0
	v_fma_f64 v[7:8], v[7:8], v[10:11], v[7:8]
	v_fma_f64 v[10:11], -v[3:4], v[7:8], 1.0
	v_fma_f64 v[7:8], v[7:8], v[10:11], v[7:8]
	v_mul_f64 v[10:11], v[12:13], v[7:8]
	v_fma_f64 v[3:4], -v[3:4], v[10:11], v[12:13]
	v_div_fmas_f64 v[3:4], v[3:4], v[7:8], v[10:11]
	v_div_fixup_f64 v[7:8], v[3:4], v[1:2], 1.0
                                        ; implicit-def: $vgpr1_vgpr2
	v_mul_f64 v[5:6], v[5:6], v[7:8]
	v_xor_b32_e32 v8, 0x80000000, v8
.LBB121_305:
	s_andn2_saveexec_b64 s[6:7], s[6:7]
	s_cbranch_execz .LBB121_307
; %bb.306:
	v_div_scale_f64 v[5:6], s[10:11], v[1:2], v[1:2], v[3:4]
	v_rcp_f64_e32 v[7:8], v[5:6]
	v_fma_f64 v[10:11], -v[5:6], v[7:8], 1.0
	v_fma_f64 v[7:8], v[7:8], v[10:11], v[7:8]
	v_div_scale_f64 v[10:11], vcc, v[3:4], v[1:2], v[3:4]
	v_fma_f64 v[12:13], -v[5:6], v[7:8], 1.0
	v_fma_f64 v[7:8], v[7:8], v[12:13], v[7:8]
	v_mul_f64 v[12:13], v[10:11], v[7:8]
	v_fma_f64 v[5:6], -v[5:6], v[12:13], v[10:11]
	v_div_fmas_f64 v[5:6], v[5:6], v[7:8], v[12:13]
	v_div_fixup_f64 v[7:8], v[5:6], v[1:2], v[3:4]
	v_fma_f64 v[1:2], v[3:4], v[7:8], v[1:2]
	v_div_scale_f64 v[3:4], s[10:11], v[1:2], v[1:2], 1.0
	v_div_scale_f64 v[12:13], vcc, 1.0, v[1:2], 1.0
	v_rcp_f64_e32 v[5:6], v[3:4]
	v_fma_f64 v[10:11], -v[3:4], v[5:6], 1.0
	v_fma_f64 v[5:6], v[5:6], v[10:11], v[5:6]
	v_fma_f64 v[10:11], -v[3:4], v[5:6], 1.0
	v_fma_f64 v[5:6], v[5:6], v[10:11], v[5:6]
	v_mul_f64 v[10:11], v[12:13], v[5:6]
	v_fma_f64 v[3:4], -v[3:4], v[10:11], v[12:13]
	v_div_fmas_f64 v[3:4], v[3:4], v[5:6], v[10:11]
	v_div_fixup_f64 v[5:6], v[3:4], v[1:2], 1.0
	v_mul_f64 v[7:8], v[7:8], -v[5:6]
.LBB121_307:
	s_or_b64 exec, exec, s[6:7]
	ds_write2_b64 v125, v[5:6], v[7:8] offset1:1
.LBB121_308:
	s_or_b64 exec, exec, s[8:9]
	s_waitcnt lgkmcnt(0)
	s_barrier
	ds_read2_b64 v[1:4], v125 offset1:1
	v_cmp_lt_u32_e32 vcc, 23, v0
	s_waitcnt lgkmcnt(0)
	buffer_store_dword v1, off, s[0:3], 0 offset:1680 ; 4-byte Folded Spill
	s_nop 0
	buffer_store_dword v2, off, s[0:3], 0 offset:1684 ; 4-byte Folded Spill
	buffer_store_dword v3, off, s[0:3], 0 offset:1688 ; 4-byte Folded Spill
	;; [unrolled: 1-line block ×3, first 2 shown]
	s_and_saveexec_b64 s[6:7], vcc
	s_cbranch_execz .LBB121_313
; %bb.309:
	buffer_load_dword v1, off, s[0:3], 0 offset:376
	buffer_load_dword v2, off, s[0:3], 0 offset:380
	;; [unrolled: 1-line block ×4, first 2 shown]
	buffer_load_dword v10, off, s[0:3], 0 offset:1680 ; 4-byte Folded Reload
	buffer_load_dword v11, off, s[0:3], 0 offset:1684 ; 4-byte Folded Reload
	;; [unrolled: 1-line block ×4, first 2 shown]
	s_movk_i32 s10, 0x180
	s_waitcnt vmcnt(2)
	v_mul_f64 v[7:8], v[10:11], v[1:2]
	s_waitcnt vmcnt(0)
	v_mul_f64 v[5:6], v[12:13], v[1:2]
	v_fma_f64 v[1:2], v[10:11], v[3:4], -v[5:6]
	v_fma_f64 v[3:4], v[12:13], v[3:4], v[7:8]
	buffer_store_dword v1, off, s[0:3], 0 offset:368
	buffer_store_dword v2, off, s[0:3], 0 offset:372
	;; [unrolled: 1-line block ×4, first 2 shown]
	s_branch .LBB121_311
.LBB121_310:                            ;   in Loop: Header=BB121_311 Depth=1
	s_andn2_b64 vcc, exec, s[8:9]
	s_cbranch_vccz .LBB121_313
.LBB121_311:                            ; =>This Inner Loop Header: Depth=1
	v_add_u32_e32 v5, s10, v117
	ds_read2_b64 v[10:13], v5 offset1:1
	v_mov_b32_e32 v8, s10
	s_mov_b32 s11, s10
	s_mov_b64 s[8:9], -1
	s_cmpk_eq_i32 s10, 0x3c0
	s_waitcnt vmcnt(0) lgkmcnt(0)
	v_mul_f64 v[6:7], v[12:13], v[3:4]
	v_mul_f64 v[3:4], v[10:11], v[3:4]
	v_fma_f64 v[6:7], v[10:11], v[1:2], -v[6:7]
	v_fma_f64 v[1:2], v[12:13], v[1:2], v[3:4]
	buffer_load_dword v3, v8, s[0:3], 0 offen
	buffer_load_dword v4, v8, s[0:3], 0 offen offset:4
	buffer_load_dword v10, v8, s[0:3], 0 offen offset:8
	;; [unrolled: 1-line block ×3, first 2 shown]
	s_waitcnt vmcnt(2)
	v_add_f64 v[3:4], v[3:4], -v[6:7]
	s_waitcnt vmcnt(0)
	v_add_f64 v[1:2], v[10:11], -v[1:2]
	buffer_store_dword v3, v8, s[0:3], 0 offen
	buffer_store_dword v4, v8, s[0:3], 0 offen offset:4
	buffer_store_dword v1, v8, s[0:3], 0 offen offset:8
	;; [unrolled: 1-line block ×3, first 2 shown]
                                        ; implicit-def: $vgpr1_vgpr2
                                        ; implicit-def: $vgpr3_vgpr4
	s_cbranch_scc1 .LBB121_310
; %bb.312:                              ;   in Loop: Header=BB121_311 Depth=1
	buffer_load_dword v6, off, s[0:3], 0 offset:376
	buffer_load_dword v7, off, s[0:3], 0 offset:380
	;; [unrolled: 1-line block ×4, first 2 shown]
	v_mov_b32_e32 v8, s11
	buffer_load_dword v12, v8, s[0:3], 0 offen offset:16
	buffer_load_dword v13, v8, s[0:3], 0 offen offset:20
	;; [unrolled: 1-line block ×4, first 2 shown]
	ds_read2_b64 v[1:4], v5 offset0:2 offset1:3
	s_add_i32 s10, s10, 64
	s_mov_b64 s[8:9], 0
	s_waitcnt vmcnt(6) lgkmcnt(0)
	v_mul_f64 v[16:17], v[3:4], v[6:7]
	v_mul_f64 v[6:7], v[1:2], v[6:7]
	s_waitcnt vmcnt(4)
	v_fma_f64 v[1:2], v[1:2], v[10:11], -v[16:17]
	v_fma_f64 v[3:4], v[3:4], v[10:11], v[6:7]
	s_waitcnt vmcnt(2)
	v_add_f64 v[1:2], v[12:13], -v[1:2]
	s_waitcnt vmcnt(0)
	v_add_f64 v[3:4], v[14:15], -v[3:4]
	buffer_store_dword v2, v8, s[0:3], 0 offen offset:20
	buffer_store_dword v1, v8, s[0:3], 0 offen offset:16
	;; [unrolled: 1-line block ×4, first 2 shown]
	buffer_load_dword v7, off, s[0:3], 0 offset:380
	buffer_load_dword v6, off, s[0:3], 0 offset:376
	;; [unrolled: 1-line block ×4, first 2 shown]
	buffer_load_dword v13, v8, s[0:3], 0 offen offset:36
	buffer_load_dword v12, v8, s[0:3], 0 offen offset:32
	;; [unrolled: 1-line block ×4, first 2 shown]
	ds_read2_b64 v[1:4], v5 offset0:4 offset1:5
	s_waitcnt vmcnt(6) lgkmcnt(0)
	v_mul_f64 v[16:17], v[3:4], v[6:7]
	v_mul_f64 v[6:7], v[1:2], v[6:7]
	s_waitcnt vmcnt(4)
	v_fma_f64 v[1:2], v[1:2], v[10:11], -v[16:17]
	v_fma_f64 v[3:4], v[3:4], v[10:11], v[6:7]
	s_waitcnt vmcnt(2)
	v_add_f64 v[1:2], v[12:13], -v[1:2]
	s_waitcnt vmcnt(0)
	v_add_f64 v[3:4], v[14:15], -v[3:4]
	buffer_store_dword v2, v8, s[0:3], 0 offen offset:36
	buffer_store_dword v1, v8, s[0:3], 0 offen offset:32
	;; [unrolled: 1-line block ×4, first 2 shown]
	buffer_load_dword v6, off, s[0:3], 0 offset:376
	buffer_load_dword v7, off, s[0:3], 0 offset:380
	;; [unrolled: 1-line block ×4, first 2 shown]
	buffer_load_dword v13, v8, s[0:3], 0 offen offset:52
	buffer_load_dword v12, v8, s[0:3], 0 offen offset:48
	;; [unrolled: 1-line block ×4, first 2 shown]
	ds_read2_b64 v[1:4], v5 offset0:6 offset1:7
	s_waitcnt vmcnt(6) lgkmcnt(0)
	v_mul_f64 v[16:17], v[3:4], v[6:7]
	v_mul_f64 v[5:6], v[1:2], v[6:7]
	s_waitcnt vmcnt(4)
	v_fma_f64 v[1:2], v[1:2], v[10:11], -v[16:17]
	v_fma_f64 v[3:4], v[3:4], v[10:11], v[5:6]
	s_waitcnt vmcnt(2)
	v_add_f64 v[1:2], v[12:13], -v[1:2]
	s_waitcnt vmcnt(0)
	v_add_f64 v[3:4], v[14:15], -v[3:4]
	buffer_store_dword v2, v8, s[0:3], 0 offen offset:52
	buffer_store_dword v1, v8, s[0:3], 0 offen offset:48
	;; [unrolled: 1-line block ×4, first 2 shown]
	buffer_load_dword v1, off, s[0:3], 0 offset:368
	s_nop 0
	buffer_load_dword v2, off, s[0:3], 0 offset:372
	buffer_load_dword v3, off, s[0:3], 0 offset:376
	;; [unrolled: 1-line block ×3, first 2 shown]
	s_branch .LBB121_310
.LBB121_313:
	s_or_b64 exec, exec, s[6:7]
	v_cmp_eq_u32_e32 vcc, 24, v0
	s_waitcnt vmcnt(0)
	s_barrier
	s_and_saveexec_b64 s[8:9], vcc
	s_cbranch_execz .LBB121_320
; %bb.314:
	v_mov_b32_e32 v4, s78
	buffer_load_dword v1, v4, s[0:3], 0 offen
	buffer_load_dword v2, v4, s[0:3], 0 offen offset:4
	buffer_load_dword v3, v4, s[0:3], 0 offen offset:8
	s_nop 0
	buffer_load_dword v4, v4, s[0:3], 0 offen offset:12
	v_readlane_b32 s6, v126, 5
	s_waitcnt vmcnt(0)
	ds_write2_b64 v125, v[1:2], v[3:4] offset1:1
	v_mov_b32_e32 v4, s6
	buffer_load_dword v1, v4, s[0:3], 0 offen
	buffer_load_dword v2, v4, s[0:3], 0 offen offset:4
	buffer_load_dword v3, v4, s[0:3], 0 offen offset:8
	s_nop 0
	buffer_load_dword v4, v4, s[0:3], 0 offen offset:12
	v_readlane_b32 s6, v126, 6
	s_waitcnt vmcnt(0)
	ds_write2_b64 v117, v[1:2], v[3:4] offset0:50 offset1:51
	v_mov_b32_e32 v4, s6
	buffer_load_dword v1, v4, s[0:3], 0 offen
	buffer_load_dword v2, v4, s[0:3], 0 offen offset:4
	buffer_load_dword v3, v4, s[0:3], 0 offen offset:8
	s_nop 0
	buffer_load_dword v4, v4, s[0:3], 0 offen offset:12
	v_readlane_b32 s6, v126, 7
	s_waitcnt vmcnt(0)
	ds_write2_b64 v117, v[1:2], v[3:4] offset0:52 offset1:53
	;; [unrolled: 9-line block ×4, first 2 shown]
	v_mov_b32_e32 v4, s72
	buffer_load_dword v1, v4, s[0:3], 0 offen
	buffer_load_dword v2, v4, s[0:3], 0 offen offset:4
	buffer_load_dword v3, v4, s[0:3], 0 offen offset:8
	s_nop 0
	buffer_load_dword v4, v4, s[0:3], 0 offen offset:12
	s_waitcnt vmcnt(0)
	ds_write2_b64 v117, v[1:2], v[3:4] offset0:58 offset1:59
	v_mov_b32_e32 v4, s6
	buffer_load_dword v1, v4, s[0:3], 0 offen
	buffer_load_dword v2, v4, s[0:3], 0 offen offset:4
	buffer_load_dword v3, v4, s[0:3], 0 offen offset:8
	s_nop 0
	buffer_load_dword v4, v4, s[0:3], 0 offen offset:12
	v_readlane_b32 s6, v126, 10
	s_waitcnt vmcnt(0)
	ds_write2_b64 v117, v[1:2], v[3:4] offset0:60 offset1:61
	v_mov_b32_e32 v4, s70
	buffer_load_dword v1, v4, s[0:3], 0 offen
	buffer_load_dword v2, v4, s[0:3], 0 offen offset:4
	buffer_load_dword v3, v4, s[0:3], 0 offen offset:8
	s_nop 0
	buffer_load_dword v4, v4, s[0:3], 0 offen offset:12
	s_waitcnt vmcnt(0)
	ds_write2_b64 v117, v[1:2], v[3:4] offset0:62 offset1:63
	v_mov_b32_e32 v4, s6
	buffer_load_dword v1, v4, s[0:3], 0 offen
	buffer_load_dword v2, v4, s[0:3], 0 offen offset:4
	buffer_load_dword v3, v4, s[0:3], 0 offen offset:8
	s_nop 0
	buffer_load_dword v4, v4, s[0:3], 0 offen offset:12
	v_readlane_b32 s6, v126, 11
	s_waitcnt vmcnt(0)
	ds_write2_b64 v117, v[1:2], v[3:4] offset0:64 offset1:65
	v_mov_b32_e32 v4, s6
	buffer_load_dword v1, v4, s[0:3], 0 offen
	buffer_load_dword v2, v4, s[0:3], 0 offen offset:4
	buffer_load_dword v3, v4, s[0:3], 0 offen offset:8
	s_nop 0
	buffer_load_dword v4, v4, s[0:3], 0 offen offset:12
	v_readlane_b32 s6, v126, 12
	s_waitcnt vmcnt(0)
	ds_write2_b64 v117, v[1:2], v[3:4] offset0:66 offset1:67
	v_mov_b32_e32 v4, s40
	buffer_load_dword v1, v4, s[0:3], 0 offen
	buffer_load_dword v2, v4, s[0:3], 0 offen offset:4
	buffer_load_dword v3, v4, s[0:3], 0 offen offset:8
	s_nop 0
	buffer_load_dword v4, v4, s[0:3], 0 offen offset:12
	s_waitcnt vmcnt(0)
	ds_write2_b64 v117, v[1:2], v[3:4] offset0:68 offset1:69
	v_mov_b32_e32 v4, s6
	buffer_load_dword v1, v4, s[0:3], 0 offen
	buffer_load_dword v2, v4, s[0:3], 0 offen offset:4
	buffer_load_dword v3, v4, s[0:3], 0 offen offset:8
	s_nop 0
	buffer_load_dword v4, v4, s[0:3], 0 offen offset:12
	v_readlane_b32 s6, v126, 13
	s_waitcnt vmcnt(0)
	ds_write2_b64 v117, v[1:2], v[3:4] offset0:70 offset1:71
	v_mov_b32_e32 v4, s38
	buffer_load_dword v1, v4, s[0:3], 0 offen
	buffer_load_dword v2, v4, s[0:3], 0 offen offset:4
	buffer_load_dword v3, v4, s[0:3], 0 offen offset:8
	s_nop 0
	buffer_load_dword v4, v4, s[0:3], 0 offen offset:12
	;; [unrolled: 17-line block ×11, first 2 shown]
	s_waitcnt vmcnt(0)
	ds_write2_b64 v117, v[1:2], v[3:4] offset0:108 offset1:109
	v_mov_b32_e32 v4, s6
	buffer_load_dword v1, v4, s[0:3], 0 offen
	buffer_load_dword v2, v4, s[0:3], 0 offen offset:4
	buffer_load_dword v3, v4, s[0:3], 0 offen offset:8
	s_nop 0
	buffer_load_dword v4, v4, s[0:3], 0 offen offset:12
	s_waitcnt vmcnt(0)
	ds_write2_b64 v117, v[1:2], v[3:4] offset0:110 offset1:111
	v_mov_b32_e32 v4, s16
	buffer_load_dword v1, v4, s[0:3], 0 offen
	buffer_load_dword v2, v4, s[0:3], 0 offen offset:4
	buffer_load_dword v3, v4, s[0:3], 0 offen offset:8
	s_nop 0
	buffer_load_dword v4, v4, s[0:3], 0 offen offset:12
	;; [unrolled: 8-line block ×6, first 2 shown]
	s_waitcnt vmcnt(0)
	ds_write2_b64 v117, v[1:2], v[3:4] offset0:120 offset1:121
	ds_read2_b64 v[1:4], v125 offset1:1
	s_waitcnt lgkmcnt(0)
	v_cmp_neq_f64_e32 vcc, 0, v[1:2]
	v_cmp_neq_f64_e64 s[6:7], 0, v[3:4]
	s_or_b64 s[6:7], vcc, s[6:7]
	s_and_b64 exec, exec, s[6:7]
	s_cbranch_execz .LBB121_320
; %bb.315:
	v_cmp_ngt_f64_e64 s[6:7], |v[1:2]|, |v[3:4]|
                                        ; implicit-def: $vgpr5_vgpr6
	s_and_saveexec_b64 s[10:11], s[6:7]
	s_xor_b64 s[6:7], exec, s[10:11]
                                        ; implicit-def: $vgpr7_vgpr8
	s_cbranch_execz .LBB121_317
; %bb.316:
	v_div_scale_f64 v[5:6], s[10:11], v[3:4], v[3:4], v[1:2]
	v_rcp_f64_e32 v[7:8], v[5:6]
	v_fma_f64 v[10:11], -v[5:6], v[7:8], 1.0
	v_fma_f64 v[7:8], v[7:8], v[10:11], v[7:8]
	v_div_scale_f64 v[10:11], vcc, v[1:2], v[3:4], v[1:2]
	v_fma_f64 v[12:13], -v[5:6], v[7:8], 1.0
	v_fma_f64 v[7:8], v[7:8], v[12:13], v[7:8]
	v_mul_f64 v[12:13], v[10:11], v[7:8]
	v_fma_f64 v[5:6], -v[5:6], v[12:13], v[10:11]
	v_div_fmas_f64 v[5:6], v[5:6], v[7:8], v[12:13]
	v_div_fixup_f64 v[5:6], v[5:6], v[3:4], v[1:2]
	v_fma_f64 v[1:2], v[1:2], v[5:6], v[3:4]
	v_div_scale_f64 v[3:4], s[10:11], v[1:2], v[1:2], 1.0
	v_div_scale_f64 v[12:13], vcc, 1.0, v[1:2], 1.0
	v_rcp_f64_e32 v[7:8], v[3:4]
	v_fma_f64 v[10:11], -v[3:4], v[7:8], 1.0
	v_fma_f64 v[7:8], v[7:8], v[10:11], v[7:8]
	v_fma_f64 v[10:11], -v[3:4], v[7:8], 1.0
	v_fma_f64 v[7:8], v[7:8], v[10:11], v[7:8]
	v_mul_f64 v[10:11], v[12:13], v[7:8]
	v_fma_f64 v[3:4], -v[3:4], v[10:11], v[12:13]
	v_div_fmas_f64 v[3:4], v[3:4], v[7:8], v[10:11]
	v_div_fixup_f64 v[7:8], v[3:4], v[1:2], 1.0
                                        ; implicit-def: $vgpr1_vgpr2
	v_mul_f64 v[5:6], v[5:6], v[7:8]
	v_xor_b32_e32 v8, 0x80000000, v8
.LBB121_317:
	s_andn2_saveexec_b64 s[6:7], s[6:7]
	s_cbranch_execz .LBB121_319
; %bb.318:
	v_div_scale_f64 v[5:6], s[10:11], v[1:2], v[1:2], v[3:4]
	v_rcp_f64_e32 v[7:8], v[5:6]
	v_fma_f64 v[10:11], -v[5:6], v[7:8], 1.0
	v_fma_f64 v[7:8], v[7:8], v[10:11], v[7:8]
	v_div_scale_f64 v[10:11], vcc, v[3:4], v[1:2], v[3:4]
	v_fma_f64 v[12:13], -v[5:6], v[7:8], 1.0
	v_fma_f64 v[7:8], v[7:8], v[12:13], v[7:8]
	v_mul_f64 v[12:13], v[10:11], v[7:8]
	v_fma_f64 v[5:6], -v[5:6], v[12:13], v[10:11]
	v_div_fmas_f64 v[5:6], v[5:6], v[7:8], v[12:13]
	v_div_fixup_f64 v[7:8], v[5:6], v[1:2], v[3:4]
	v_fma_f64 v[1:2], v[3:4], v[7:8], v[1:2]
	v_div_scale_f64 v[3:4], s[10:11], v[1:2], v[1:2], 1.0
	v_div_scale_f64 v[12:13], vcc, 1.0, v[1:2], 1.0
	v_rcp_f64_e32 v[5:6], v[3:4]
	v_fma_f64 v[10:11], -v[3:4], v[5:6], 1.0
	v_fma_f64 v[5:6], v[5:6], v[10:11], v[5:6]
	v_fma_f64 v[10:11], -v[3:4], v[5:6], 1.0
	v_fma_f64 v[5:6], v[5:6], v[10:11], v[5:6]
	v_mul_f64 v[10:11], v[12:13], v[5:6]
	v_fma_f64 v[3:4], -v[3:4], v[10:11], v[12:13]
	v_div_fmas_f64 v[3:4], v[3:4], v[5:6], v[10:11]
	v_div_fixup_f64 v[5:6], v[3:4], v[1:2], 1.0
	v_mul_f64 v[7:8], v[7:8], -v[5:6]
.LBB121_319:
	s_or_b64 exec, exec, s[6:7]
	ds_write2_b64 v125, v[5:6], v[7:8] offset1:1
.LBB121_320:
	s_or_b64 exec, exec, s[8:9]
	buffer_store_dword v20, off, s[0:3], 0 offset:1936 ; 4-byte Folded Spill
	s_nop 0
	buffer_store_dword v21, off, s[0:3], 0 offset:1940 ; 4-byte Folded Spill
	buffer_store_dword v22, off, s[0:3], 0 offset:1944 ; 4-byte Folded Spill
	;; [unrolled: 1-line block ×3, first 2 shown]
	s_waitcnt vmcnt(0) lgkmcnt(0)
	s_barrier
	ds_read2_b64 v[1:4], v125 offset1:1
	v_cmp_lt_u32_e32 vcc, 24, v0
	s_waitcnt lgkmcnt(0)
	buffer_store_dword v1, off, s[0:3], 0 offset:1696 ; 4-byte Folded Spill
	s_nop 0
	buffer_store_dword v2, off, s[0:3], 0 offset:1700 ; 4-byte Folded Spill
	buffer_store_dword v3, off, s[0:3], 0 offset:1704 ; 4-byte Folded Spill
	;; [unrolled: 1-line block ×3, first 2 shown]
	s_and_saveexec_b64 s[6:7], vcc
	s_cbranch_execz .LBB121_323
; %bb.321:
	buffer_load_dword v1, off, s[0:3], 0 offset:392
	buffer_load_dword v2, off, s[0:3], 0 offset:396
	;; [unrolled: 1-line block ×4, first 2 shown]
	buffer_load_dword v10, off, s[0:3], 0 offset:1696 ; 4-byte Folded Reload
	buffer_load_dword v11, off, s[0:3], 0 offset:1700 ; 4-byte Folded Reload
	;; [unrolled: 1-line block ×4, first 2 shown]
	s_movk_i32 s8, 0x190
	s_waitcnt vmcnt(0)
	v_mul_f64 v[5:6], v[12:13], v[1:2]
	v_mul_f64 v[1:2], v[10:11], v[1:2]
	v_fma_f64 v[5:6], v[10:11], v[3:4], -v[5:6]
	v_fma_f64 v[1:2], v[12:13], v[3:4], v[1:2]
	buffer_store_dword v5, off, s[0:3], 0 offset:384
	buffer_store_dword v6, off, s[0:3], 0 offset:388
	;; [unrolled: 1-line block ×4, first 2 shown]
.LBB121_322:                            ; =>This Inner Loop Header: Depth=1
	buffer_load_dword v7, off, s[0:3], 0 offset:392
	buffer_load_dword v8, off, s[0:3], 0 offset:396
	;; [unrolled: 1-line block ×4, first 2 shown]
	v_mov_b32_e32 v1, s8
	buffer_load_dword v12, v1, s[0:3], 0 offen
	buffer_load_dword v13, v1, s[0:3], 0 offen offset:4
	buffer_load_dword v14, v1, s[0:3], 0 offen offset:8
	;; [unrolled: 1-line block ×3, first 2 shown]
	v_add_u32_e32 v2, s8, v117
	ds_read2_b64 v[3:6], v2 offset1:1
	buffer_load_dword v16, v1, s[0:3], 0 offen offset:16
	buffer_load_dword v17, v1, s[0:3], 0 offen offset:20
	;; [unrolled: 1-line block ×3, first 2 shown]
	s_addk_i32 s8, 0x60
	s_cmpk_lg_i32 s8, 0x3d0
	s_waitcnt vmcnt(9) lgkmcnt(0)
	v_mul_f64 v[19:20], v[5:6], v[7:8]
	v_mul_f64 v[7:8], v[3:4], v[7:8]
	s_waitcnt vmcnt(7)
	v_fma_f64 v[3:4], v[3:4], v[10:11], -v[19:20]
	v_fma_f64 v[5:6], v[5:6], v[10:11], v[7:8]
	s_waitcnt vmcnt(5)
	v_add_f64 v[3:4], v[12:13], -v[3:4]
	s_waitcnt vmcnt(3)
	v_add_f64 v[5:6], v[14:15], -v[5:6]
	buffer_store_dword v4, v1, s[0:3], 0 offen offset:4
	buffer_store_dword v3, v1, s[0:3], 0 offen
	buffer_store_dword v6, v1, s[0:3], 0 offen offset:12
	buffer_store_dword v5, v1, s[0:3], 0 offen offset:8
	buffer_load_dword v8, off, s[0:3], 0 offset:396
	buffer_load_dword v7, off, s[0:3], 0 offset:392
	;; [unrolled: 1-line block ×4, first 2 shown]
	buffer_load_dword v19, v1, s[0:3], 0 offen offset:28
	ds_read2_b64 v[3:6], v2 offset0:2 offset1:3
	buffer_load_dword v12, v1, s[0:3], 0 offen offset:32
	buffer_load_dword v13, v1, s[0:3], 0 offen offset:36
	;; [unrolled: 1-line block ×3, first 2 shown]
	s_waitcnt vmcnt(6) lgkmcnt(0)
	v_mul_f64 v[20:21], v[5:6], v[7:8]
	v_mul_f64 v[7:8], v[3:4], v[7:8]
	s_waitcnt vmcnt(4)
	v_fma_f64 v[3:4], v[3:4], v[10:11], -v[20:21]
	v_fma_f64 v[5:6], v[5:6], v[10:11], v[7:8]
	v_add_f64 v[3:4], v[16:17], -v[3:4]
	s_waitcnt vmcnt(3)
	v_add_f64 v[5:6], v[18:19], -v[5:6]
	buffer_store_dword v4, v1, s[0:3], 0 offen offset:20
	buffer_store_dword v3, v1, s[0:3], 0 offen offset:16
	;; [unrolled: 1-line block ×4, first 2 shown]
	buffer_load_dword v7, off, s[0:3], 0 offset:392
	buffer_load_dword v8, off, s[0:3], 0 offset:396
	;; [unrolled: 1-line block ×4, first 2 shown]
	buffer_load_dword v15, v1, s[0:3], 0 offen offset:44
	ds_read2_b64 v[3:6], v2 offset0:4 offset1:5
	buffer_load_dword v16, v1, s[0:3], 0 offen offset:48
	buffer_load_dword v17, v1, s[0:3], 0 offen offset:52
	;; [unrolled: 1-line block ×3, first 2 shown]
	s_waitcnt vmcnt(6) lgkmcnt(0)
	v_mul_f64 v[19:20], v[5:6], v[7:8]
	v_mul_f64 v[7:8], v[3:4], v[7:8]
	s_waitcnt vmcnt(4)
	v_fma_f64 v[3:4], v[3:4], v[10:11], -v[19:20]
	v_fma_f64 v[5:6], v[5:6], v[10:11], v[7:8]
	v_add_f64 v[3:4], v[12:13], -v[3:4]
	s_waitcnt vmcnt(3)
	v_add_f64 v[5:6], v[14:15], -v[5:6]
	buffer_store_dword v4, v1, s[0:3], 0 offen offset:36
	buffer_store_dword v3, v1, s[0:3], 0 offen offset:32
	;; [unrolled: 1-line block ×4, first 2 shown]
	buffer_load_dword v7, off, s[0:3], 0 offset:392
	buffer_load_dword v8, off, s[0:3], 0 offset:396
	;; [unrolled: 1-line block ×4, first 2 shown]
	buffer_load_dword v19, v1, s[0:3], 0 offen offset:60
	ds_read2_b64 v[3:6], v2 offset0:6 offset1:7
	buffer_load_dword v12, v1, s[0:3], 0 offen offset:64
	s_waitcnt vmcnt(4) lgkmcnt(0)
	v_mul_f64 v[13:14], v[5:6], v[7:8]
	v_mul_f64 v[7:8], v[3:4], v[7:8]
	s_waitcnt vmcnt(2)
	v_fma_f64 v[3:4], v[3:4], v[10:11], -v[13:14]
	v_fma_f64 v[5:6], v[5:6], v[10:11], v[7:8]
	v_add_f64 v[3:4], v[16:17], -v[3:4]
	s_waitcnt vmcnt(1)
	v_add_f64 v[5:6], v[18:19], -v[5:6]
	buffer_store_dword v4, v1, s[0:3], 0 offen offset:52
	buffer_store_dword v3, v1, s[0:3], 0 offen offset:48
	;; [unrolled: 1-line block ×4, first 2 shown]
	buffer_load_dword v7, off, s[0:3], 0 offset:392
	buffer_load_dword v8, off, s[0:3], 0 offset:396
	;; [unrolled: 1-line block ×4, first 2 shown]
	buffer_load_dword v13, v1, s[0:3], 0 offen offset:68
	buffer_load_dword v14, v1, s[0:3], 0 offen offset:72
	;; [unrolled: 1-line block ×3, first 2 shown]
	ds_read2_b64 v[3:6], v2 offset0:8 offset1:9
	s_waitcnt vmcnt(5) lgkmcnt(0)
	v_mul_f64 v[16:17], v[5:6], v[7:8]
	v_mul_f64 v[7:8], v[3:4], v[7:8]
	s_waitcnt vmcnt(3)
	v_fma_f64 v[3:4], v[3:4], v[10:11], -v[16:17]
	v_fma_f64 v[5:6], v[5:6], v[10:11], v[7:8]
	s_waitcnt vmcnt(2)
	v_add_f64 v[3:4], v[12:13], -v[3:4]
	s_waitcnt vmcnt(0)
	v_add_f64 v[5:6], v[14:15], -v[5:6]
	buffer_store_dword v4, v1, s[0:3], 0 offen offset:68
	buffer_store_dword v3, v1, s[0:3], 0 offen offset:64
	;; [unrolled: 1-line block ×4, first 2 shown]
	buffer_load_dword v6, off, s[0:3], 0 offset:392
	s_nop 0
	buffer_load_dword v7, off, s[0:3], 0 offset:396
	buffer_load_dword v10, off, s[0:3], 0 offset:384
	;; [unrolled: 1-line block ×3, first 2 shown]
	buffer_load_dword v12, v1, s[0:3], 0 offen offset:80
	buffer_load_dword v13, v1, s[0:3], 0 offen offset:84
	;; [unrolled: 1-line block ×4, first 2 shown]
	ds_read2_b64 v[2:5], v2 offset0:10 offset1:11
	s_waitcnt vmcnt(6) lgkmcnt(0)
	v_mul_f64 v[16:17], v[4:5], v[6:7]
	v_mul_f64 v[6:7], v[2:3], v[6:7]
	s_waitcnt vmcnt(4)
	v_fma_f64 v[2:3], v[2:3], v[10:11], -v[16:17]
	v_fma_f64 v[4:5], v[4:5], v[10:11], v[6:7]
	s_waitcnt vmcnt(2)
	v_add_f64 v[2:3], v[12:13], -v[2:3]
	s_waitcnt vmcnt(0)
	v_add_f64 v[4:5], v[14:15], -v[4:5]
	buffer_store_dword v3, v1, s[0:3], 0 offen offset:84
	buffer_store_dword v2, v1, s[0:3], 0 offen offset:80
	;; [unrolled: 1-line block ×4, first 2 shown]
	s_cbranch_scc1 .LBB121_322
.LBB121_323:
	s_or_b64 exec, exec, s[6:7]
	v_cmp_eq_u32_e32 vcc, 25, v0
	s_waitcnt vmcnt(0)
	s_barrier
	s_and_saveexec_b64 s[8:9], vcc
	s_cbranch_execz .LBB121_330
; %bb.324:
	v_readlane_b32 s6, v126, 5
	v_mov_b32_e32 v4, s6
	buffer_load_dword v1, v4, s[0:3], 0 offen
	buffer_load_dword v2, v4, s[0:3], 0 offen offset:4
	buffer_load_dword v3, v4, s[0:3], 0 offen offset:8
	s_nop 0
	buffer_load_dword v4, v4, s[0:3], 0 offen offset:12
	v_readlane_b32 s6, v126, 6
	s_waitcnt vmcnt(0)
	ds_write2_b64 v125, v[1:2], v[3:4] offset1:1
	v_mov_b32_e32 v4, s6
	buffer_load_dword v1, v4, s[0:3], 0 offen
	buffer_load_dword v2, v4, s[0:3], 0 offen offset:4
	buffer_load_dword v3, v4, s[0:3], 0 offen offset:8
	s_nop 0
	buffer_load_dword v4, v4, s[0:3], 0 offen offset:12
	v_readlane_b32 s6, v126, 7
	s_waitcnt vmcnt(0)
	ds_write2_b64 v117, v[1:2], v[3:4] offset0:52 offset1:53
	v_mov_b32_e32 v4, s6
	buffer_load_dword v1, v4, s[0:3], 0 offen
	buffer_load_dword v2, v4, s[0:3], 0 offen offset:4
	buffer_load_dword v3, v4, s[0:3], 0 offen offset:8
	s_nop 0
	buffer_load_dword v4, v4, s[0:3], 0 offen offset:12
	v_readlane_b32 s6, v126, 8
	s_waitcnt vmcnt(0)
	ds_write2_b64 v117, v[1:2], v[3:4] offset0:54 offset1:55
	;; [unrolled: 9-line block ×3, first 2 shown]
	v_mov_b32_e32 v4, s72
	buffer_load_dword v1, v4, s[0:3], 0 offen
	buffer_load_dword v2, v4, s[0:3], 0 offen offset:4
	buffer_load_dword v3, v4, s[0:3], 0 offen offset:8
	s_nop 0
	buffer_load_dword v4, v4, s[0:3], 0 offen offset:12
	s_waitcnt vmcnt(0)
	ds_write2_b64 v117, v[1:2], v[3:4] offset0:58 offset1:59
	v_mov_b32_e32 v4, s6
	buffer_load_dword v1, v4, s[0:3], 0 offen
	buffer_load_dword v2, v4, s[0:3], 0 offen offset:4
	buffer_load_dword v3, v4, s[0:3], 0 offen offset:8
	s_nop 0
	buffer_load_dword v4, v4, s[0:3], 0 offen offset:12
	v_readlane_b32 s6, v126, 10
	s_waitcnt vmcnt(0)
	ds_write2_b64 v117, v[1:2], v[3:4] offset0:60 offset1:61
	v_mov_b32_e32 v4, s70
	buffer_load_dword v1, v4, s[0:3], 0 offen
	buffer_load_dword v2, v4, s[0:3], 0 offen offset:4
	buffer_load_dword v3, v4, s[0:3], 0 offen offset:8
	s_nop 0
	buffer_load_dword v4, v4, s[0:3], 0 offen offset:12
	s_waitcnt vmcnt(0)
	ds_write2_b64 v117, v[1:2], v[3:4] offset0:62 offset1:63
	v_mov_b32_e32 v4, s6
	buffer_load_dword v1, v4, s[0:3], 0 offen
	buffer_load_dword v2, v4, s[0:3], 0 offen offset:4
	buffer_load_dword v3, v4, s[0:3], 0 offen offset:8
	s_nop 0
	buffer_load_dword v4, v4, s[0:3], 0 offen offset:12
	v_readlane_b32 s6, v126, 11
	s_waitcnt vmcnt(0)
	ds_write2_b64 v117, v[1:2], v[3:4] offset0:64 offset1:65
	v_mov_b32_e32 v4, s6
	buffer_load_dword v1, v4, s[0:3], 0 offen
	buffer_load_dword v2, v4, s[0:3], 0 offen offset:4
	buffer_load_dword v3, v4, s[0:3], 0 offen offset:8
	s_nop 0
	buffer_load_dword v4, v4, s[0:3], 0 offen offset:12
	v_readlane_b32 s6, v126, 12
	s_waitcnt vmcnt(0)
	ds_write2_b64 v117, v[1:2], v[3:4] offset0:66 offset1:67
	v_mov_b32_e32 v4, s40
	buffer_load_dword v1, v4, s[0:3], 0 offen
	buffer_load_dword v2, v4, s[0:3], 0 offen offset:4
	buffer_load_dword v3, v4, s[0:3], 0 offen offset:8
	s_nop 0
	buffer_load_dword v4, v4, s[0:3], 0 offen offset:12
	s_waitcnt vmcnt(0)
	ds_write2_b64 v117, v[1:2], v[3:4] offset0:68 offset1:69
	v_mov_b32_e32 v4, s6
	buffer_load_dword v1, v4, s[0:3], 0 offen
	buffer_load_dword v2, v4, s[0:3], 0 offen offset:4
	buffer_load_dword v3, v4, s[0:3], 0 offen offset:8
	s_nop 0
	buffer_load_dword v4, v4, s[0:3], 0 offen offset:12
	v_readlane_b32 s6, v126, 13
	s_waitcnt vmcnt(0)
	ds_write2_b64 v117, v[1:2], v[3:4] offset0:70 offset1:71
	v_mov_b32_e32 v4, s38
	buffer_load_dword v1, v4, s[0:3], 0 offen
	buffer_load_dword v2, v4, s[0:3], 0 offen offset:4
	buffer_load_dword v3, v4, s[0:3], 0 offen offset:8
	s_nop 0
	buffer_load_dword v4, v4, s[0:3], 0 offen offset:12
	;; [unrolled: 17-line block ×11, first 2 shown]
	s_waitcnt vmcnt(0)
	ds_write2_b64 v117, v[1:2], v[3:4] offset0:108 offset1:109
	v_mov_b32_e32 v4, s6
	buffer_load_dword v1, v4, s[0:3], 0 offen
	buffer_load_dword v2, v4, s[0:3], 0 offen offset:4
	buffer_load_dword v3, v4, s[0:3], 0 offen offset:8
	s_nop 0
	buffer_load_dword v4, v4, s[0:3], 0 offen offset:12
	s_waitcnt vmcnt(0)
	ds_write2_b64 v117, v[1:2], v[3:4] offset0:110 offset1:111
	v_mov_b32_e32 v4, s16
	buffer_load_dword v1, v4, s[0:3], 0 offen
	buffer_load_dword v2, v4, s[0:3], 0 offen offset:4
	buffer_load_dword v3, v4, s[0:3], 0 offen offset:8
	s_nop 0
	buffer_load_dword v4, v4, s[0:3], 0 offen offset:12
	;; [unrolled: 8-line block ×6, first 2 shown]
	s_waitcnt vmcnt(0)
	ds_write2_b64 v117, v[1:2], v[3:4] offset0:120 offset1:121
	ds_read2_b64 v[1:4], v125 offset1:1
	s_waitcnt lgkmcnt(0)
	v_cmp_neq_f64_e32 vcc, 0, v[1:2]
	v_cmp_neq_f64_e64 s[6:7], 0, v[3:4]
	s_or_b64 s[6:7], vcc, s[6:7]
	s_and_b64 exec, exec, s[6:7]
	s_cbranch_execz .LBB121_330
; %bb.325:
	v_cmp_ngt_f64_e64 s[6:7], |v[1:2]|, |v[3:4]|
                                        ; implicit-def: $vgpr5_vgpr6
	s_and_saveexec_b64 s[10:11], s[6:7]
	s_xor_b64 s[6:7], exec, s[10:11]
                                        ; implicit-def: $vgpr7_vgpr8
	s_cbranch_execz .LBB121_327
; %bb.326:
	v_div_scale_f64 v[5:6], s[10:11], v[3:4], v[3:4], v[1:2]
	v_rcp_f64_e32 v[7:8], v[5:6]
	v_fma_f64 v[10:11], -v[5:6], v[7:8], 1.0
	v_fma_f64 v[7:8], v[7:8], v[10:11], v[7:8]
	v_div_scale_f64 v[10:11], vcc, v[1:2], v[3:4], v[1:2]
	v_fma_f64 v[12:13], -v[5:6], v[7:8], 1.0
	v_fma_f64 v[7:8], v[7:8], v[12:13], v[7:8]
	v_mul_f64 v[12:13], v[10:11], v[7:8]
	v_fma_f64 v[5:6], -v[5:6], v[12:13], v[10:11]
	v_div_fmas_f64 v[5:6], v[5:6], v[7:8], v[12:13]
	v_div_fixup_f64 v[5:6], v[5:6], v[3:4], v[1:2]
	v_fma_f64 v[1:2], v[1:2], v[5:6], v[3:4]
	v_div_scale_f64 v[3:4], s[10:11], v[1:2], v[1:2], 1.0
	v_div_scale_f64 v[12:13], vcc, 1.0, v[1:2], 1.0
	v_rcp_f64_e32 v[7:8], v[3:4]
	v_fma_f64 v[10:11], -v[3:4], v[7:8], 1.0
	v_fma_f64 v[7:8], v[7:8], v[10:11], v[7:8]
	v_fma_f64 v[10:11], -v[3:4], v[7:8], 1.0
	v_fma_f64 v[7:8], v[7:8], v[10:11], v[7:8]
	v_mul_f64 v[10:11], v[12:13], v[7:8]
	v_fma_f64 v[3:4], -v[3:4], v[10:11], v[12:13]
	v_div_fmas_f64 v[3:4], v[3:4], v[7:8], v[10:11]
	v_div_fixup_f64 v[7:8], v[3:4], v[1:2], 1.0
                                        ; implicit-def: $vgpr1_vgpr2
	v_mul_f64 v[5:6], v[5:6], v[7:8]
	v_xor_b32_e32 v8, 0x80000000, v8
.LBB121_327:
	s_andn2_saveexec_b64 s[6:7], s[6:7]
	s_cbranch_execz .LBB121_329
; %bb.328:
	v_div_scale_f64 v[5:6], s[10:11], v[1:2], v[1:2], v[3:4]
	v_rcp_f64_e32 v[7:8], v[5:6]
	v_fma_f64 v[10:11], -v[5:6], v[7:8], 1.0
	v_fma_f64 v[7:8], v[7:8], v[10:11], v[7:8]
	v_div_scale_f64 v[10:11], vcc, v[3:4], v[1:2], v[3:4]
	v_fma_f64 v[12:13], -v[5:6], v[7:8], 1.0
	v_fma_f64 v[7:8], v[7:8], v[12:13], v[7:8]
	v_mul_f64 v[12:13], v[10:11], v[7:8]
	v_fma_f64 v[5:6], -v[5:6], v[12:13], v[10:11]
	v_div_fmas_f64 v[5:6], v[5:6], v[7:8], v[12:13]
	v_div_fixup_f64 v[7:8], v[5:6], v[1:2], v[3:4]
	v_fma_f64 v[1:2], v[3:4], v[7:8], v[1:2]
	v_div_scale_f64 v[3:4], s[10:11], v[1:2], v[1:2], 1.0
	v_div_scale_f64 v[12:13], vcc, 1.0, v[1:2], 1.0
	v_rcp_f64_e32 v[5:6], v[3:4]
	v_fma_f64 v[10:11], -v[3:4], v[5:6], 1.0
	v_fma_f64 v[5:6], v[5:6], v[10:11], v[5:6]
	v_fma_f64 v[10:11], -v[3:4], v[5:6], 1.0
	v_fma_f64 v[5:6], v[5:6], v[10:11], v[5:6]
	v_mul_f64 v[10:11], v[12:13], v[5:6]
	v_fma_f64 v[3:4], -v[3:4], v[10:11], v[12:13]
	v_div_fmas_f64 v[3:4], v[3:4], v[5:6], v[10:11]
	v_div_fixup_f64 v[5:6], v[3:4], v[1:2], 1.0
	v_mul_f64 v[7:8], v[7:8], -v[5:6]
.LBB121_329:
	s_or_b64 exec, exec, s[6:7]
	ds_write2_b64 v125, v[5:6], v[7:8] offset1:1
.LBB121_330:
	s_or_b64 exec, exec, s[8:9]
	s_waitcnt lgkmcnt(0)
	s_barrier
	ds_read2_b64 v[1:4], v125 offset1:1
	v_cmp_lt_u32_e32 vcc, 25, v0
	s_waitcnt lgkmcnt(0)
	buffer_store_dword v1, off, s[0:3], 0 offset:1712 ; 4-byte Folded Spill
	s_nop 0
	buffer_store_dword v2, off, s[0:3], 0 offset:1716 ; 4-byte Folded Spill
	buffer_store_dword v3, off, s[0:3], 0 offset:1720 ; 4-byte Folded Spill
	;; [unrolled: 1-line block ×3, first 2 shown]
	s_and_saveexec_b64 s[6:7], vcc
	s_cbranch_execz .LBB121_333
; %bb.331:
	buffer_load_dword v1, off, s[0:3], 0 offset:408
	buffer_load_dword v2, off, s[0:3], 0 offset:412
	;; [unrolled: 1-line block ×4, first 2 shown]
	buffer_load_dword v10, off, s[0:3], 0 offset:1712 ; 4-byte Folded Reload
	buffer_load_dword v11, off, s[0:3], 0 offset:1716 ; 4-byte Folded Reload
	;; [unrolled: 1-line block ×4, first 2 shown]
	s_movk_i32 s8, 0x1a0
	s_waitcnt vmcnt(0)
	v_mul_f64 v[5:6], v[12:13], v[1:2]
	v_mul_f64 v[1:2], v[10:11], v[1:2]
	v_fma_f64 v[5:6], v[10:11], v[3:4], -v[5:6]
	v_fma_f64 v[1:2], v[12:13], v[3:4], v[1:2]
	buffer_store_dword v5, off, s[0:3], 0 offset:400
	buffer_store_dword v6, off, s[0:3], 0 offset:404
	;; [unrolled: 1-line block ×4, first 2 shown]
.LBB121_332:                            ; =>This Inner Loop Header: Depth=1
	buffer_load_dword v7, off, s[0:3], 0 offset:408
	buffer_load_dword v8, off, s[0:3], 0 offset:412
	;; [unrolled: 1-line block ×4, first 2 shown]
	v_mov_b32_e32 v1, s8
	buffer_load_dword v12, v1, s[0:3], 0 offen
	buffer_load_dword v13, v1, s[0:3], 0 offen offset:4
	buffer_load_dword v14, v1, s[0:3], 0 offen offset:8
	;; [unrolled: 1-line block ×3, first 2 shown]
	v_add_u32_e32 v2, s8, v117
	ds_read2_b64 v[3:6], v2 offset1:1
	buffer_load_dword v16, v1, s[0:3], 0 offen offset:16
	buffer_load_dword v17, v1, s[0:3], 0 offen offset:20
	;; [unrolled: 1-line block ×3, first 2 shown]
	s_addk_i32 s8, 0x70
	s_cmpk_lg_i32 s8, 0x3d0
	s_waitcnt vmcnt(9) lgkmcnt(0)
	v_mul_f64 v[19:20], v[5:6], v[7:8]
	v_mul_f64 v[7:8], v[3:4], v[7:8]
	s_waitcnt vmcnt(7)
	v_fma_f64 v[3:4], v[3:4], v[10:11], -v[19:20]
	v_fma_f64 v[5:6], v[5:6], v[10:11], v[7:8]
	s_waitcnt vmcnt(5)
	v_add_f64 v[3:4], v[12:13], -v[3:4]
	s_waitcnt vmcnt(3)
	v_add_f64 v[5:6], v[14:15], -v[5:6]
	buffer_store_dword v4, v1, s[0:3], 0 offen offset:4
	buffer_store_dword v3, v1, s[0:3], 0 offen
	buffer_store_dword v6, v1, s[0:3], 0 offen offset:12
	buffer_store_dword v5, v1, s[0:3], 0 offen offset:8
	buffer_load_dword v8, off, s[0:3], 0 offset:412
	buffer_load_dword v7, off, s[0:3], 0 offset:408
	buffer_load_dword v11, off, s[0:3], 0 offset:404
	buffer_load_dword v10, off, s[0:3], 0 offset:400
	buffer_load_dword v19, v1, s[0:3], 0 offen offset:28
	ds_read2_b64 v[3:6], v2 offset0:2 offset1:3
	buffer_load_dword v12, v1, s[0:3], 0 offen offset:32
	buffer_load_dword v13, v1, s[0:3], 0 offen offset:36
	buffer_load_dword v14, v1, s[0:3], 0 offen offset:40
	s_waitcnt vmcnt(6) lgkmcnt(0)
	v_mul_f64 v[20:21], v[5:6], v[7:8]
	v_mul_f64 v[7:8], v[3:4], v[7:8]
	s_waitcnt vmcnt(4)
	v_fma_f64 v[3:4], v[3:4], v[10:11], -v[20:21]
	v_fma_f64 v[5:6], v[5:6], v[10:11], v[7:8]
	v_add_f64 v[3:4], v[16:17], -v[3:4]
	s_waitcnt vmcnt(3)
	v_add_f64 v[5:6], v[18:19], -v[5:6]
	buffer_store_dword v4, v1, s[0:3], 0 offen offset:20
	buffer_store_dword v3, v1, s[0:3], 0 offen offset:16
	buffer_store_dword v6, v1, s[0:3], 0 offen offset:28
	buffer_store_dword v5, v1, s[0:3], 0 offen offset:24
	buffer_load_dword v7, off, s[0:3], 0 offset:408
	buffer_load_dword v8, off, s[0:3], 0 offset:412
	buffer_load_dword v10, off, s[0:3], 0 offset:400
	buffer_load_dword v11, off, s[0:3], 0 offset:404
	buffer_load_dword v15, v1, s[0:3], 0 offen offset:44
	ds_read2_b64 v[3:6], v2 offset0:4 offset1:5
	buffer_load_dword v16, v1, s[0:3], 0 offen offset:48
	buffer_load_dword v17, v1, s[0:3], 0 offen offset:52
	buffer_load_dword v18, v1, s[0:3], 0 offen offset:56
	s_waitcnt vmcnt(6) lgkmcnt(0)
	v_mul_f64 v[19:20], v[5:6], v[7:8]
	v_mul_f64 v[7:8], v[3:4], v[7:8]
	s_waitcnt vmcnt(4)
	v_fma_f64 v[3:4], v[3:4], v[10:11], -v[19:20]
	v_fma_f64 v[5:6], v[5:6], v[10:11], v[7:8]
	v_add_f64 v[3:4], v[12:13], -v[3:4]
	s_waitcnt vmcnt(3)
	v_add_f64 v[5:6], v[14:15], -v[5:6]
	buffer_store_dword v4, v1, s[0:3], 0 offen offset:36
	buffer_store_dword v3, v1, s[0:3], 0 offen offset:32
	;; [unrolled: 22-line block ×3, first 2 shown]
	buffer_store_dword v6, v1, s[0:3], 0 offen offset:60
	buffer_store_dword v5, v1, s[0:3], 0 offen offset:56
	buffer_load_dword v7, off, s[0:3], 0 offset:408
	buffer_load_dword v8, off, s[0:3], 0 offset:412
	;; [unrolled: 1-line block ×4, first 2 shown]
	buffer_load_dword v15, v1, s[0:3], 0 offen offset:76
	ds_read2_b64 v[3:6], v2 offset0:8 offset1:9
	buffer_load_dword v16, v1, s[0:3], 0 offen offset:80
	s_waitcnt vmcnt(4) lgkmcnt(0)
	v_mul_f64 v[17:18], v[5:6], v[7:8]
	v_mul_f64 v[7:8], v[3:4], v[7:8]
	s_waitcnt vmcnt(2)
	v_fma_f64 v[3:4], v[3:4], v[10:11], -v[17:18]
	v_fma_f64 v[5:6], v[5:6], v[10:11], v[7:8]
	v_add_f64 v[3:4], v[12:13], -v[3:4]
	s_waitcnt vmcnt(1)
	v_add_f64 v[5:6], v[14:15], -v[5:6]
	buffer_store_dword v4, v1, s[0:3], 0 offen offset:68
	buffer_store_dword v3, v1, s[0:3], 0 offen offset:64
	;; [unrolled: 1-line block ×4, first 2 shown]
	buffer_load_dword v7, off, s[0:3], 0 offset:408
	buffer_load_dword v8, off, s[0:3], 0 offset:412
	;; [unrolled: 1-line block ×4, first 2 shown]
	buffer_load_dword v17, v1, s[0:3], 0 offen offset:84
	buffer_load_dword v12, v1, s[0:3], 0 offen offset:88
	;; [unrolled: 1-line block ×3, first 2 shown]
	ds_read2_b64 v[3:6], v2 offset0:10 offset1:11
	s_waitcnt vmcnt(5) lgkmcnt(0)
	v_mul_f64 v[14:15], v[5:6], v[7:8]
	v_mul_f64 v[7:8], v[3:4], v[7:8]
	s_waitcnt vmcnt(3)
	v_fma_f64 v[3:4], v[3:4], v[10:11], -v[14:15]
	v_fma_f64 v[5:6], v[5:6], v[10:11], v[7:8]
	s_waitcnt vmcnt(2)
	v_add_f64 v[3:4], v[16:17], -v[3:4]
	s_waitcnt vmcnt(0)
	v_add_f64 v[5:6], v[12:13], -v[5:6]
	buffer_store_dword v4, v1, s[0:3], 0 offen offset:84
	buffer_store_dword v3, v1, s[0:3], 0 offen offset:80
	;; [unrolled: 1-line block ×4, first 2 shown]
	buffer_load_dword v6, off, s[0:3], 0 offset:408
	s_nop 0
	buffer_load_dword v7, off, s[0:3], 0 offset:412
	buffer_load_dword v10, off, s[0:3], 0 offset:400
	;; [unrolled: 1-line block ×3, first 2 shown]
	buffer_load_dword v12, v1, s[0:3], 0 offen offset:96
	buffer_load_dword v13, v1, s[0:3], 0 offen offset:100
	;; [unrolled: 1-line block ×4, first 2 shown]
	ds_read2_b64 v[2:5], v2 offset0:12 offset1:13
	s_waitcnt vmcnt(6) lgkmcnt(0)
	v_mul_f64 v[16:17], v[4:5], v[6:7]
	v_mul_f64 v[6:7], v[2:3], v[6:7]
	s_waitcnt vmcnt(4)
	v_fma_f64 v[2:3], v[2:3], v[10:11], -v[16:17]
	v_fma_f64 v[4:5], v[4:5], v[10:11], v[6:7]
	s_waitcnt vmcnt(2)
	v_add_f64 v[2:3], v[12:13], -v[2:3]
	s_waitcnt vmcnt(0)
	v_add_f64 v[4:5], v[14:15], -v[4:5]
	buffer_store_dword v3, v1, s[0:3], 0 offen offset:100
	buffer_store_dword v2, v1, s[0:3], 0 offen offset:96
	;; [unrolled: 1-line block ×4, first 2 shown]
	s_cbranch_scc1 .LBB121_332
.LBB121_333:
	s_or_b64 exec, exec, s[6:7]
	v_cmp_eq_u32_e32 vcc, 26, v0
	s_waitcnt vmcnt(0)
	s_barrier
	s_and_saveexec_b64 s[8:9], vcc
	s_cbranch_execz .LBB121_340
; %bb.334:
	v_readlane_b32 s6, v126, 6
	v_mov_b32_e32 v4, s6
	buffer_load_dword v1, v4, s[0:3], 0 offen
	buffer_load_dword v2, v4, s[0:3], 0 offen offset:4
	buffer_load_dword v3, v4, s[0:3], 0 offen offset:8
	s_nop 0
	buffer_load_dword v4, v4, s[0:3], 0 offen offset:12
	v_readlane_b32 s6, v126, 7
	s_waitcnt vmcnt(0)
	ds_write2_b64 v125, v[1:2], v[3:4] offset1:1
	v_mov_b32_e32 v4, s6
	buffer_load_dword v1, v4, s[0:3], 0 offen
	buffer_load_dword v2, v4, s[0:3], 0 offen offset:4
	buffer_load_dword v3, v4, s[0:3], 0 offen offset:8
	s_nop 0
	buffer_load_dword v4, v4, s[0:3], 0 offen offset:12
	v_readlane_b32 s6, v126, 8
	s_waitcnt vmcnt(0)
	ds_write2_b64 v117, v[1:2], v[3:4] offset0:54 offset1:55
	v_mov_b32_e32 v4, s6
	buffer_load_dword v1, v4, s[0:3], 0 offen
	buffer_load_dword v2, v4, s[0:3], 0 offen offset:4
	buffer_load_dword v3, v4, s[0:3], 0 offen offset:8
	s_nop 0
	buffer_load_dword v4, v4, s[0:3], 0 offen offset:12
	v_readlane_b32 s6, v126, 9
	s_waitcnt vmcnt(0)
	ds_write2_b64 v117, v[1:2], v[3:4] offset0:56 offset1:57
	v_mov_b32_e32 v4, s72
	buffer_load_dword v1, v4, s[0:3], 0 offen
	buffer_load_dword v2, v4, s[0:3], 0 offen offset:4
	buffer_load_dword v3, v4, s[0:3], 0 offen offset:8
	s_nop 0
	buffer_load_dword v4, v4, s[0:3], 0 offen offset:12
	s_waitcnt vmcnt(0)
	ds_write2_b64 v117, v[1:2], v[3:4] offset0:58 offset1:59
	v_mov_b32_e32 v4, s6
	buffer_load_dword v1, v4, s[0:3], 0 offen
	buffer_load_dword v2, v4, s[0:3], 0 offen offset:4
	buffer_load_dword v3, v4, s[0:3], 0 offen offset:8
	s_nop 0
	buffer_load_dword v4, v4, s[0:3], 0 offen offset:12
	v_readlane_b32 s6, v126, 10
	s_waitcnt vmcnt(0)
	ds_write2_b64 v117, v[1:2], v[3:4] offset0:60 offset1:61
	v_mov_b32_e32 v4, s70
	buffer_load_dword v1, v4, s[0:3], 0 offen
	buffer_load_dword v2, v4, s[0:3], 0 offen offset:4
	buffer_load_dword v3, v4, s[0:3], 0 offen offset:8
	s_nop 0
	buffer_load_dword v4, v4, s[0:3], 0 offen offset:12
	;; [unrolled: 17-line block ×3, first 2 shown]
	v_readlane_b32 s6, v126, 12
	s_waitcnt vmcnt(0)
	ds_write2_b64 v117, v[1:2], v[3:4] offset0:66 offset1:67
	v_mov_b32_e32 v4, s40
	buffer_load_dword v1, v4, s[0:3], 0 offen
	buffer_load_dword v2, v4, s[0:3], 0 offen offset:4
	buffer_load_dword v3, v4, s[0:3], 0 offen offset:8
	s_nop 0
	buffer_load_dword v4, v4, s[0:3], 0 offen offset:12
	s_waitcnt vmcnt(0)
	ds_write2_b64 v117, v[1:2], v[3:4] offset0:68 offset1:69
	v_mov_b32_e32 v4, s6
	buffer_load_dword v1, v4, s[0:3], 0 offen
	buffer_load_dword v2, v4, s[0:3], 0 offen offset:4
	buffer_load_dword v3, v4, s[0:3], 0 offen offset:8
	s_nop 0
	buffer_load_dword v4, v4, s[0:3], 0 offen offset:12
	v_readlane_b32 s6, v126, 13
	s_waitcnt vmcnt(0)
	ds_write2_b64 v117, v[1:2], v[3:4] offset0:70 offset1:71
	v_mov_b32_e32 v4, s38
	buffer_load_dword v1, v4, s[0:3], 0 offen
	buffer_load_dword v2, v4, s[0:3], 0 offen offset:4
	buffer_load_dword v3, v4, s[0:3], 0 offen offset:8
	s_nop 0
	buffer_load_dword v4, v4, s[0:3], 0 offen offset:12
	s_waitcnt vmcnt(0)
	ds_write2_b64 v117, v[1:2], v[3:4] offset0:72 offset1:73
	v_mov_b32_e32 v4, s6
	buffer_load_dword v1, v4, s[0:3], 0 offen
	buffer_load_dword v2, v4, s[0:3], 0 offen offset:4
	buffer_load_dword v3, v4, s[0:3], 0 offen offset:8
	s_nop 0
	buffer_load_dword v4, v4, s[0:3], 0 offen offset:12
	;; [unrolled: 17-line block ×11, first 2 shown]
	s_waitcnt vmcnt(0)
	ds_write2_b64 v117, v[1:2], v[3:4] offset0:110 offset1:111
	v_mov_b32_e32 v4, s16
	buffer_load_dword v1, v4, s[0:3], 0 offen
	buffer_load_dword v2, v4, s[0:3], 0 offen offset:4
	buffer_load_dword v3, v4, s[0:3], 0 offen offset:8
	s_nop 0
	buffer_load_dword v4, v4, s[0:3], 0 offen offset:12
	s_waitcnt vmcnt(0)
	ds_write2_b64 v117, v[1:2], v[3:4] offset0:112 offset1:113
	v_mov_b32_e32 v4, s79
	buffer_load_dword v1, v4, s[0:3], 0 offen
	buffer_load_dword v2, v4, s[0:3], 0 offen offset:4
	buffer_load_dword v3, v4, s[0:3], 0 offen offset:8
	s_nop 0
	buffer_load_dword v4, v4, s[0:3], 0 offen offset:12
	;; [unrolled: 8-line block ×5, first 2 shown]
	s_waitcnt vmcnt(0)
	ds_write2_b64 v117, v[1:2], v[3:4] offset0:120 offset1:121
	ds_read2_b64 v[1:4], v125 offset1:1
	s_waitcnt lgkmcnt(0)
	v_cmp_neq_f64_e32 vcc, 0, v[1:2]
	v_cmp_neq_f64_e64 s[6:7], 0, v[3:4]
	s_or_b64 s[6:7], vcc, s[6:7]
	s_and_b64 exec, exec, s[6:7]
	s_cbranch_execz .LBB121_340
; %bb.335:
	v_cmp_ngt_f64_e64 s[6:7], |v[1:2]|, |v[3:4]|
                                        ; implicit-def: $vgpr5_vgpr6
	s_and_saveexec_b64 s[10:11], s[6:7]
	s_xor_b64 s[6:7], exec, s[10:11]
                                        ; implicit-def: $vgpr7_vgpr8
	s_cbranch_execz .LBB121_337
; %bb.336:
	v_div_scale_f64 v[5:6], s[10:11], v[3:4], v[3:4], v[1:2]
	v_rcp_f64_e32 v[7:8], v[5:6]
	v_fma_f64 v[10:11], -v[5:6], v[7:8], 1.0
	v_fma_f64 v[7:8], v[7:8], v[10:11], v[7:8]
	v_div_scale_f64 v[10:11], vcc, v[1:2], v[3:4], v[1:2]
	v_fma_f64 v[12:13], -v[5:6], v[7:8], 1.0
	v_fma_f64 v[7:8], v[7:8], v[12:13], v[7:8]
	v_mul_f64 v[12:13], v[10:11], v[7:8]
	v_fma_f64 v[5:6], -v[5:6], v[12:13], v[10:11]
	v_div_fmas_f64 v[5:6], v[5:6], v[7:8], v[12:13]
	v_div_fixup_f64 v[5:6], v[5:6], v[3:4], v[1:2]
	v_fma_f64 v[1:2], v[1:2], v[5:6], v[3:4]
	v_div_scale_f64 v[3:4], s[10:11], v[1:2], v[1:2], 1.0
	v_div_scale_f64 v[12:13], vcc, 1.0, v[1:2], 1.0
	v_rcp_f64_e32 v[7:8], v[3:4]
	v_fma_f64 v[10:11], -v[3:4], v[7:8], 1.0
	v_fma_f64 v[7:8], v[7:8], v[10:11], v[7:8]
	v_fma_f64 v[10:11], -v[3:4], v[7:8], 1.0
	v_fma_f64 v[7:8], v[7:8], v[10:11], v[7:8]
	v_mul_f64 v[10:11], v[12:13], v[7:8]
	v_fma_f64 v[3:4], -v[3:4], v[10:11], v[12:13]
	v_div_fmas_f64 v[3:4], v[3:4], v[7:8], v[10:11]
	v_div_fixup_f64 v[7:8], v[3:4], v[1:2], 1.0
                                        ; implicit-def: $vgpr1_vgpr2
	v_mul_f64 v[5:6], v[5:6], v[7:8]
	v_xor_b32_e32 v8, 0x80000000, v8
.LBB121_337:
	s_andn2_saveexec_b64 s[6:7], s[6:7]
	s_cbranch_execz .LBB121_339
; %bb.338:
	v_div_scale_f64 v[5:6], s[10:11], v[1:2], v[1:2], v[3:4]
	v_rcp_f64_e32 v[7:8], v[5:6]
	v_fma_f64 v[10:11], -v[5:6], v[7:8], 1.0
	v_fma_f64 v[7:8], v[7:8], v[10:11], v[7:8]
	v_div_scale_f64 v[10:11], vcc, v[3:4], v[1:2], v[3:4]
	v_fma_f64 v[12:13], -v[5:6], v[7:8], 1.0
	v_fma_f64 v[7:8], v[7:8], v[12:13], v[7:8]
	v_mul_f64 v[12:13], v[10:11], v[7:8]
	v_fma_f64 v[5:6], -v[5:6], v[12:13], v[10:11]
	v_div_fmas_f64 v[5:6], v[5:6], v[7:8], v[12:13]
	v_div_fixup_f64 v[7:8], v[5:6], v[1:2], v[3:4]
	v_fma_f64 v[1:2], v[3:4], v[7:8], v[1:2]
	v_div_scale_f64 v[3:4], s[10:11], v[1:2], v[1:2], 1.0
	v_div_scale_f64 v[12:13], vcc, 1.0, v[1:2], 1.0
	v_rcp_f64_e32 v[5:6], v[3:4]
	v_fma_f64 v[10:11], -v[3:4], v[5:6], 1.0
	v_fma_f64 v[5:6], v[5:6], v[10:11], v[5:6]
	v_fma_f64 v[10:11], -v[3:4], v[5:6], 1.0
	v_fma_f64 v[5:6], v[5:6], v[10:11], v[5:6]
	v_mul_f64 v[10:11], v[12:13], v[5:6]
	v_fma_f64 v[3:4], -v[3:4], v[10:11], v[12:13]
	v_div_fmas_f64 v[3:4], v[3:4], v[5:6], v[10:11]
	v_div_fixup_f64 v[5:6], v[3:4], v[1:2], 1.0
	v_mul_f64 v[7:8], v[7:8], -v[5:6]
.LBB121_339:
	s_or_b64 exec, exec, s[6:7]
	ds_write2_b64 v125, v[5:6], v[7:8] offset1:1
.LBB121_340:
	s_or_b64 exec, exec, s[8:9]
	s_waitcnt lgkmcnt(0)
	s_barrier
	ds_read2_b64 v[17:20], v125 offset1:1
	v_cmp_lt_u32_e32 vcc, 26, v0
	s_and_saveexec_b64 s[6:7], vcc
	s_cbranch_execz .LBB121_343
; %bb.341:
	buffer_load_dword v1, off, s[0:3], 0 offset:424
	buffer_load_dword v2, off, s[0:3], 0 offset:428
	;; [unrolled: 1-line block ×4, first 2 shown]
	s_movk_i32 s8, 0x1b0
	s_waitcnt vmcnt(2) lgkmcnt(0)
	v_mul_f64 v[5:6], v[19:20], v[1:2]
	v_mul_f64 v[1:2], v[17:18], v[1:2]
	s_waitcnt vmcnt(0)
	v_fma_f64 v[5:6], v[17:18], v[3:4], -v[5:6]
	v_fma_f64 v[1:2], v[19:20], v[3:4], v[1:2]
	buffer_store_dword v5, off, s[0:3], 0 offset:416
	buffer_store_dword v6, off, s[0:3], 0 offset:420
	;; [unrolled: 1-line block ×4, first 2 shown]
.LBB121_342:                            ; =>This Inner Loop Header: Depth=1
	v_add_u32_e32 v14, s8, v117
	ds_read2_b64 v[1:4], v14 offset1:1
	buffer_load_dword v5, off, s[0:3], 0 offset:416
	buffer_load_dword v6, off, s[0:3], 0 offset:420
	;; [unrolled: 1-line block ×4, first 2 shown]
	v_mov_b32_e32 v16, s8
	s_add_i32 s8, s8, 32
	s_cmpk_lg_i32 s8, 0x3d0
	s_waitcnt vmcnt(0) lgkmcnt(0)
	v_mul_f64 v[10:11], v[3:4], v[7:8]
	v_fma_f64 v[10:11], v[1:2], v[5:6], -v[10:11]
	v_mul_f64 v[1:2], v[1:2], v[7:8]
	v_fma_f64 v[1:2], v[3:4], v[5:6], v[1:2]
	buffer_load_dword v3, v16, s[0:3], 0 offen
	buffer_load_dword v4, v16, s[0:3], 0 offen offset:4
	buffer_load_dword v5, v16, s[0:3], 0 offen offset:8
	;; [unrolled: 1-line block ×7, first 2 shown]
	s_waitcnt vmcnt(6)
	v_add_f64 v[3:4], v[3:4], -v[10:11]
	s_waitcnt vmcnt(4)
	v_add_f64 v[1:2], v[5:6], -v[1:2]
	buffer_store_dword v4, v16, s[0:3], 0 offen offset:4
	buffer_store_dword v3, v16, s[0:3], 0 offen
	buffer_store_dword v2, v16, s[0:3], 0 offen offset:12
	buffer_store_dword v1, v16, s[0:3], 0 offen offset:8
	ds_read2_b64 v[1:4], v14 offset0:2 offset1:3
	buffer_load_dword v6, off, s[0:3], 0 offset:420
	buffer_load_dword v5, off, s[0:3], 0 offset:416
	;; [unrolled: 1-line block ×4, first 2 shown]
	s_waitcnt vmcnt(0) lgkmcnt(0)
	v_mul_f64 v[14:15], v[3:4], v[10:11]
	v_fma_f64 v[14:15], v[1:2], v[5:6], -v[14:15]
	v_mul_f64 v[1:2], v[1:2], v[10:11]
	v_fma_f64 v[1:2], v[3:4], v[5:6], v[1:2]
	v_add_f64 v[3:4], v[7:8], -v[14:15]
	v_add_f64 v[1:2], v[12:13], -v[1:2]
	buffer_store_dword v4, v16, s[0:3], 0 offen offset:20
	buffer_store_dword v3, v16, s[0:3], 0 offen offset:16
	buffer_store_dword v2, v16, s[0:3], 0 offen offset:28
	buffer_store_dword v1, v16, s[0:3], 0 offen offset:24
	s_cbranch_scc1 .LBB121_342
.LBB121_343:
	s_or_b64 exec, exec, s[6:7]
	v_cmp_eq_u32_e32 vcc, 27, v0
	s_waitcnt vmcnt(0) lgkmcnt(0)
	s_barrier
	s_and_saveexec_b64 s[8:9], vcc
	s_cbranch_execz .LBB121_350
; %bb.344:
	v_readlane_b32 s6, v126, 7
	v_mov_b32_e32 v4, s6
	buffer_load_dword v1, v4, s[0:3], 0 offen
	buffer_load_dword v2, v4, s[0:3], 0 offen offset:4
	buffer_load_dword v3, v4, s[0:3], 0 offen offset:8
	s_nop 0
	buffer_load_dword v4, v4, s[0:3], 0 offen offset:12
	v_readlane_b32 s6, v126, 8
	s_waitcnt vmcnt(0)
	ds_write2_b64 v125, v[1:2], v[3:4] offset1:1
	v_mov_b32_e32 v4, s6
	buffer_load_dword v1, v4, s[0:3], 0 offen
	buffer_load_dword v2, v4, s[0:3], 0 offen offset:4
	buffer_load_dword v3, v4, s[0:3], 0 offen offset:8
	s_nop 0
	buffer_load_dword v4, v4, s[0:3], 0 offen offset:12
	v_readlane_b32 s6, v126, 9
	s_waitcnt vmcnt(0)
	ds_write2_b64 v117, v[1:2], v[3:4] offset0:56 offset1:57
	v_mov_b32_e32 v4, s72
	buffer_load_dword v1, v4, s[0:3], 0 offen
	buffer_load_dword v2, v4, s[0:3], 0 offen offset:4
	buffer_load_dword v3, v4, s[0:3], 0 offen offset:8
	s_nop 0
	buffer_load_dword v4, v4, s[0:3], 0 offen offset:12
	s_waitcnt vmcnt(0)
	ds_write2_b64 v117, v[1:2], v[3:4] offset0:58 offset1:59
	v_mov_b32_e32 v4, s6
	buffer_load_dword v1, v4, s[0:3], 0 offen
	buffer_load_dword v2, v4, s[0:3], 0 offen offset:4
	buffer_load_dword v3, v4, s[0:3], 0 offen offset:8
	s_nop 0
	buffer_load_dword v4, v4, s[0:3], 0 offen offset:12
	v_readlane_b32 s6, v126, 10
	s_waitcnt vmcnt(0)
	ds_write2_b64 v117, v[1:2], v[3:4] offset0:60 offset1:61
	v_mov_b32_e32 v4, s70
	buffer_load_dword v1, v4, s[0:3], 0 offen
	buffer_load_dword v2, v4, s[0:3], 0 offen offset:4
	buffer_load_dword v3, v4, s[0:3], 0 offen offset:8
	s_nop 0
	buffer_load_dword v4, v4, s[0:3], 0 offen offset:12
	s_waitcnt vmcnt(0)
	ds_write2_b64 v117, v[1:2], v[3:4] offset0:62 offset1:63
	v_mov_b32_e32 v4, s6
	buffer_load_dword v1, v4, s[0:3], 0 offen
	buffer_load_dword v2, v4, s[0:3], 0 offen offset:4
	buffer_load_dword v3, v4, s[0:3], 0 offen offset:8
	s_nop 0
	buffer_load_dword v4, v4, s[0:3], 0 offen offset:12
	v_readlane_b32 s6, v126, 11
	s_waitcnt vmcnt(0)
	ds_write2_b64 v117, v[1:2], v[3:4] offset0:64 offset1:65
	v_mov_b32_e32 v4, s6
	buffer_load_dword v1, v4, s[0:3], 0 offen
	buffer_load_dword v2, v4, s[0:3], 0 offen offset:4
	buffer_load_dword v3, v4, s[0:3], 0 offen offset:8
	s_nop 0
	buffer_load_dword v4, v4, s[0:3], 0 offen offset:12
	v_readlane_b32 s6, v126, 12
	s_waitcnt vmcnt(0)
	ds_write2_b64 v117, v[1:2], v[3:4] offset0:66 offset1:67
	v_mov_b32_e32 v4, s40
	buffer_load_dword v1, v4, s[0:3], 0 offen
	buffer_load_dword v2, v4, s[0:3], 0 offen offset:4
	buffer_load_dword v3, v4, s[0:3], 0 offen offset:8
	s_nop 0
	buffer_load_dword v4, v4, s[0:3], 0 offen offset:12
	s_waitcnt vmcnt(0)
	ds_write2_b64 v117, v[1:2], v[3:4] offset0:68 offset1:69
	v_mov_b32_e32 v4, s6
	buffer_load_dword v1, v4, s[0:3], 0 offen
	buffer_load_dword v2, v4, s[0:3], 0 offen offset:4
	buffer_load_dword v3, v4, s[0:3], 0 offen offset:8
	s_nop 0
	buffer_load_dword v4, v4, s[0:3], 0 offen offset:12
	v_readlane_b32 s6, v126, 13
	s_waitcnt vmcnt(0)
	ds_write2_b64 v117, v[1:2], v[3:4] offset0:70 offset1:71
	v_mov_b32_e32 v4, s38
	buffer_load_dword v1, v4, s[0:3], 0 offen
	buffer_load_dword v2, v4, s[0:3], 0 offen offset:4
	buffer_load_dword v3, v4, s[0:3], 0 offen offset:8
	s_nop 0
	buffer_load_dword v4, v4, s[0:3], 0 offen offset:12
	;; [unrolled: 17-line block ×11, first 2 shown]
	s_waitcnt vmcnt(0)
	ds_write2_b64 v117, v[1:2], v[3:4] offset0:108 offset1:109
	v_mov_b32_e32 v4, s6
	buffer_load_dword v1, v4, s[0:3], 0 offen
	buffer_load_dword v2, v4, s[0:3], 0 offen offset:4
	buffer_load_dword v3, v4, s[0:3], 0 offen offset:8
	s_nop 0
	buffer_load_dword v4, v4, s[0:3], 0 offen offset:12
	s_waitcnt vmcnt(0)
	ds_write2_b64 v117, v[1:2], v[3:4] offset0:110 offset1:111
	v_mov_b32_e32 v4, s16
	buffer_load_dword v1, v4, s[0:3], 0 offen
	buffer_load_dword v2, v4, s[0:3], 0 offen offset:4
	buffer_load_dword v3, v4, s[0:3], 0 offen offset:8
	s_nop 0
	buffer_load_dword v4, v4, s[0:3], 0 offen offset:12
	;; [unrolled: 8-line block ×6, first 2 shown]
	s_waitcnt vmcnt(0)
	ds_write2_b64 v117, v[1:2], v[3:4] offset0:120 offset1:121
	ds_read2_b64 v[1:4], v125 offset1:1
	s_waitcnt lgkmcnt(0)
	v_cmp_neq_f64_e32 vcc, 0, v[1:2]
	v_cmp_neq_f64_e64 s[6:7], 0, v[3:4]
	s_or_b64 s[6:7], vcc, s[6:7]
	s_and_b64 exec, exec, s[6:7]
	s_cbranch_execz .LBB121_350
; %bb.345:
	v_cmp_ngt_f64_e64 s[6:7], |v[1:2]|, |v[3:4]|
                                        ; implicit-def: $vgpr5_vgpr6
	s_and_saveexec_b64 s[10:11], s[6:7]
	s_xor_b64 s[6:7], exec, s[10:11]
                                        ; implicit-def: $vgpr7_vgpr8
	s_cbranch_execz .LBB121_347
; %bb.346:
	v_div_scale_f64 v[5:6], s[10:11], v[3:4], v[3:4], v[1:2]
	v_rcp_f64_e32 v[7:8], v[5:6]
	v_fma_f64 v[10:11], -v[5:6], v[7:8], 1.0
	v_fma_f64 v[7:8], v[7:8], v[10:11], v[7:8]
	v_div_scale_f64 v[10:11], vcc, v[1:2], v[3:4], v[1:2]
	v_fma_f64 v[12:13], -v[5:6], v[7:8], 1.0
	v_fma_f64 v[7:8], v[7:8], v[12:13], v[7:8]
	v_mul_f64 v[12:13], v[10:11], v[7:8]
	v_fma_f64 v[5:6], -v[5:6], v[12:13], v[10:11]
	v_div_fmas_f64 v[5:6], v[5:6], v[7:8], v[12:13]
	v_div_fixup_f64 v[5:6], v[5:6], v[3:4], v[1:2]
	v_fma_f64 v[1:2], v[1:2], v[5:6], v[3:4]
	v_div_scale_f64 v[3:4], s[10:11], v[1:2], v[1:2], 1.0
	v_div_scale_f64 v[12:13], vcc, 1.0, v[1:2], 1.0
	v_rcp_f64_e32 v[7:8], v[3:4]
	v_fma_f64 v[10:11], -v[3:4], v[7:8], 1.0
	v_fma_f64 v[7:8], v[7:8], v[10:11], v[7:8]
	v_fma_f64 v[10:11], -v[3:4], v[7:8], 1.0
	v_fma_f64 v[7:8], v[7:8], v[10:11], v[7:8]
	v_mul_f64 v[10:11], v[12:13], v[7:8]
	v_fma_f64 v[3:4], -v[3:4], v[10:11], v[12:13]
	v_div_fmas_f64 v[3:4], v[3:4], v[7:8], v[10:11]
	v_div_fixup_f64 v[7:8], v[3:4], v[1:2], 1.0
                                        ; implicit-def: $vgpr1_vgpr2
	v_mul_f64 v[5:6], v[5:6], v[7:8]
	v_xor_b32_e32 v8, 0x80000000, v8
.LBB121_347:
	s_andn2_saveexec_b64 s[6:7], s[6:7]
	s_cbranch_execz .LBB121_349
; %bb.348:
	v_div_scale_f64 v[5:6], s[10:11], v[1:2], v[1:2], v[3:4]
	v_rcp_f64_e32 v[7:8], v[5:6]
	v_fma_f64 v[10:11], -v[5:6], v[7:8], 1.0
	v_fma_f64 v[7:8], v[7:8], v[10:11], v[7:8]
	v_div_scale_f64 v[10:11], vcc, v[3:4], v[1:2], v[3:4]
	v_fma_f64 v[12:13], -v[5:6], v[7:8], 1.0
	v_fma_f64 v[7:8], v[7:8], v[12:13], v[7:8]
	v_mul_f64 v[12:13], v[10:11], v[7:8]
	v_fma_f64 v[5:6], -v[5:6], v[12:13], v[10:11]
	v_div_fmas_f64 v[5:6], v[5:6], v[7:8], v[12:13]
	v_div_fixup_f64 v[7:8], v[5:6], v[1:2], v[3:4]
	v_fma_f64 v[1:2], v[3:4], v[7:8], v[1:2]
	v_div_scale_f64 v[3:4], s[10:11], v[1:2], v[1:2], 1.0
	v_div_scale_f64 v[12:13], vcc, 1.0, v[1:2], 1.0
	v_rcp_f64_e32 v[5:6], v[3:4]
	v_fma_f64 v[10:11], -v[3:4], v[5:6], 1.0
	v_fma_f64 v[5:6], v[5:6], v[10:11], v[5:6]
	v_fma_f64 v[10:11], -v[3:4], v[5:6], 1.0
	v_fma_f64 v[5:6], v[5:6], v[10:11], v[5:6]
	v_mul_f64 v[10:11], v[12:13], v[5:6]
	v_fma_f64 v[3:4], -v[3:4], v[10:11], v[12:13]
	v_div_fmas_f64 v[3:4], v[3:4], v[5:6], v[10:11]
	v_div_fixup_f64 v[5:6], v[3:4], v[1:2], 1.0
	v_mul_f64 v[7:8], v[7:8], -v[5:6]
.LBB121_349:
	s_or_b64 exec, exec, s[6:7]
	ds_write2_b64 v125, v[5:6], v[7:8] offset1:1
.LBB121_350:
	s_or_b64 exec, exec, s[8:9]
	buffer_store_dword v17, off, s[0:3], 0 offset:1952 ; 4-byte Folded Spill
	s_nop 0
	buffer_store_dword v18, off, s[0:3], 0 offset:1956 ; 4-byte Folded Spill
	buffer_store_dword v19, off, s[0:3], 0 offset:1960 ; 4-byte Folded Spill
	;; [unrolled: 1-line block ×3, first 2 shown]
	s_waitcnt vmcnt(0) lgkmcnt(0)
	s_barrier
	ds_read2_b64 v[19:22], v125 offset1:1
	v_cmp_lt_u32_e32 vcc, 27, v0
	s_and_saveexec_b64 s[6:7], vcc
	s_cbranch_execz .LBB121_353
; %bb.351:
	buffer_load_dword v1, off, s[0:3], 0 offset:440
	buffer_load_dword v2, off, s[0:3], 0 offset:444
	;; [unrolled: 1-line block ×4, first 2 shown]
	s_movk_i32 s8, 0x1c0
	s_waitcnt vmcnt(2) lgkmcnt(0)
	v_mul_f64 v[5:6], v[21:22], v[1:2]
	v_mul_f64 v[1:2], v[19:20], v[1:2]
	s_waitcnt vmcnt(0)
	v_fma_f64 v[5:6], v[19:20], v[3:4], -v[5:6]
	v_fma_f64 v[1:2], v[21:22], v[3:4], v[1:2]
	buffer_store_dword v5, off, s[0:3], 0 offset:432
	buffer_store_dword v6, off, s[0:3], 0 offset:436
	;; [unrolled: 1-line block ×4, first 2 shown]
.LBB121_352:                            ; =>This Inner Loop Header: Depth=1
	buffer_load_dword v5, off, s[0:3], 0 offset:440
	s_nop 0
	buffer_load_dword v6, off, s[0:3], 0 offset:444
	buffer_load_dword v7, off, s[0:3], 0 offset:432
	;; [unrolled: 1-line block ×3, first 2 shown]
	v_mov_b32_e32 v17, s8
	buffer_load_dword v10, v17, s[0:3], 0 offen
	buffer_load_dword v11, v17, s[0:3], 0 offen offset:4
	buffer_load_dword v12, v17, s[0:3], 0 offen offset:8
	;; [unrolled: 1-line block ×3, first 2 shown]
	v_add_u32_e32 v18, s8, v117
	ds_read2_b64 v[1:4], v18 offset1:1
	buffer_load_dword v14, v17, s[0:3], 0 offen offset:16
	s_add_i32 s8, s8, 48
	s_cmpk_lg_i32 s8, 0x3d0
	s_waitcnt vmcnt(7) lgkmcnt(0)
	v_mul_f64 v[15:16], v[3:4], v[5:6]
	v_mul_f64 v[5:6], v[1:2], v[5:6]
	s_waitcnt vmcnt(5)
	v_fma_f64 v[1:2], v[1:2], v[7:8], -v[15:16]
	v_fma_f64 v[3:4], v[3:4], v[7:8], v[5:6]
	s_waitcnt vmcnt(3)
	v_add_f64 v[1:2], v[10:11], -v[1:2]
	s_waitcnt vmcnt(1)
	v_add_f64 v[3:4], v[12:13], -v[3:4]
	buffer_store_dword v2, v17, s[0:3], 0 offen offset:4
	buffer_store_dword v1, v17, s[0:3], 0 offen
	buffer_store_dword v4, v17, s[0:3], 0 offen offset:12
	buffer_store_dword v3, v17, s[0:3], 0 offen offset:8
	buffer_load_dword v6, off, s[0:3], 0 offset:444
	buffer_load_dword v5, off, s[0:3], 0 offset:440
	;; [unrolled: 1-line block ×4, first 2 shown]
	buffer_load_dword v15, v17, s[0:3], 0 offen offset:20
	buffer_load_dword v10, v17, s[0:3], 0 offen offset:24
	;; [unrolled: 1-line block ×3, first 2 shown]
	ds_read2_b64 v[1:4], v18 offset0:2 offset1:3
	s_waitcnt vmcnt(5) lgkmcnt(0)
	v_mul_f64 v[12:13], v[3:4], v[5:6]
	v_mul_f64 v[5:6], v[1:2], v[5:6]
	s_waitcnt vmcnt(3)
	v_fma_f64 v[1:2], v[1:2], v[7:8], -v[12:13]
	v_fma_f64 v[3:4], v[3:4], v[7:8], v[5:6]
	s_waitcnt vmcnt(2)
	v_add_f64 v[1:2], v[14:15], -v[1:2]
	s_waitcnt vmcnt(0)
	v_add_f64 v[3:4], v[10:11], -v[3:4]
	buffer_store_dword v2, v17, s[0:3], 0 offen offset:20
	buffer_store_dword v1, v17, s[0:3], 0 offen offset:16
	;; [unrolled: 1-line block ×4, first 2 shown]
	buffer_load_dword v5, off, s[0:3], 0 offset:440
	buffer_load_dword v6, off, s[0:3], 0 offset:444
	;; [unrolled: 1-line block ×4, first 2 shown]
	buffer_load_dword v10, v17, s[0:3], 0 offen offset:32
	buffer_load_dword v11, v17, s[0:3], 0 offen offset:36
	;; [unrolled: 1-line block ×4, first 2 shown]
	ds_read2_b64 v[1:4], v18 offset0:4 offset1:5
	s_waitcnt vmcnt(6) lgkmcnt(0)
	v_mul_f64 v[14:15], v[3:4], v[5:6]
	v_mul_f64 v[5:6], v[1:2], v[5:6]
	s_waitcnt vmcnt(4)
	v_fma_f64 v[1:2], v[1:2], v[7:8], -v[14:15]
	v_fma_f64 v[3:4], v[3:4], v[7:8], v[5:6]
	s_waitcnt vmcnt(2)
	v_add_f64 v[1:2], v[10:11], -v[1:2]
	s_waitcnt vmcnt(0)
	v_add_f64 v[3:4], v[12:13], -v[3:4]
	buffer_store_dword v2, v17, s[0:3], 0 offen offset:36
	buffer_store_dword v1, v17, s[0:3], 0 offen offset:32
	buffer_store_dword v4, v17, s[0:3], 0 offen offset:44
	buffer_store_dword v3, v17, s[0:3], 0 offen offset:40
	s_cbranch_scc1 .LBB121_352
.LBB121_353:
	s_or_b64 exec, exec, s[6:7]
	v_cmp_eq_u32_e32 vcc, 28, v0
	s_waitcnt vmcnt(0) lgkmcnt(0)
	s_barrier
	s_and_saveexec_b64 s[8:9], vcc
	s_cbranch_execz .LBB121_360
; %bb.354:
	v_readlane_b32 s6, v126, 8
	v_mov_b32_e32 v4, s6
	buffer_load_dword v1, v4, s[0:3], 0 offen
	buffer_load_dword v2, v4, s[0:3], 0 offen offset:4
	buffer_load_dword v3, v4, s[0:3], 0 offen offset:8
	s_nop 0
	buffer_load_dword v4, v4, s[0:3], 0 offen offset:12
	v_readlane_b32 s6, v126, 9
	s_waitcnt vmcnt(0)
	ds_write2_b64 v125, v[1:2], v[3:4] offset1:1
	v_mov_b32_e32 v4, s72
	buffer_load_dword v1, v4, s[0:3], 0 offen
	buffer_load_dword v2, v4, s[0:3], 0 offen offset:4
	buffer_load_dword v3, v4, s[0:3], 0 offen offset:8
	s_nop 0
	buffer_load_dword v4, v4, s[0:3], 0 offen offset:12
	s_waitcnt vmcnt(0)
	ds_write2_b64 v117, v[1:2], v[3:4] offset0:58 offset1:59
	v_mov_b32_e32 v4, s6
	buffer_load_dword v1, v4, s[0:3], 0 offen
	buffer_load_dword v2, v4, s[0:3], 0 offen offset:4
	buffer_load_dword v3, v4, s[0:3], 0 offen offset:8
	s_nop 0
	buffer_load_dword v4, v4, s[0:3], 0 offen offset:12
	v_readlane_b32 s6, v126, 10
	s_waitcnt vmcnt(0)
	ds_write2_b64 v117, v[1:2], v[3:4] offset0:60 offset1:61
	v_mov_b32_e32 v4, s70
	buffer_load_dword v1, v4, s[0:3], 0 offen
	buffer_load_dword v2, v4, s[0:3], 0 offen offset:4
	buffer_load_dword v3, v4, s[0:3], 0 offen offset:8
	s_nop 0
	buffer_load_dword v4, v4, s[0:3], 0 offen offset:12
	s_waitcnt vmcnt(0)
	ds_write2_b64 v117, v[1:2], v[3:4] offset0:62 offset1:63
	v_mov_b32_e32 v4, s6
	buffer_load_dword v1, v4, s[0:3], 0 offen
	buffer_load_dword v2, v4, s[0:3], 0 offen offset:4
	buffer_load_dword v3, v4, s[0:3], 0 offen offset:8
	s_nop 0
	buffer_load_dword v4, v4, s[0:3], 0 offen offset:12
	v_readlane_b32 s6, v126, 11
	s_waitcnt vmcnt(0)
	ds_write2_b64 v117, v[1:2], v[3:4] offset0:64 offset1:65
	v_mov_b32_e32 v4, s6
	buffer_load_dword v1, v4, s[0:3], 0 offen
	buffer_load_dword v2, v4, s[0:3], 0 offen offset:4
	buffer_load_dword v3, v4, s[0:3], 0 offen offset:8
	s_nop 0
	buffer_load_dword v4, v4, s[0:3], 0 offen offset:12
	v_readlane_b32 s6, v126, 12
	s_waitcnt vmcnt(0)
	ds_write2_b64 v117, v[1:2], v[3:4] offset0:66 offset1:67
	v_mov_b32_e32 v4, s40
	buffer_load_dword v1, v4, s[0:3], 0 offen
	buffer_load_dword v2, v4, s[0:3], 0 offen offset:4
	buffer_load_dword v3, v4, s[0:3], 0 offen offset:8
	s_nop 0
	buffer_load_dword v4, v4, s[0:3], 0 offen offset:12
	s_waitcnt vmcnt(0)
	ds_write2_b64 v117, v[1:2], v[3:4] offset0:68 offset1:69
	v_mov_b32_e32 v4, s6
	buffer_load_dword v1, v4, s[0:3], 0 offen
	buffer_load_dword v2, v4, s[0:3], 0 offen offset:4
	buffer_load_dword v3, v4, s[0:3], 0 offen offset:8
	s_nop 0
	buffer_load_dword v4, v4, s[0:3], 0 offen offset:12
	v_readlane_b32 s6, v126, 13
	s_waitcnt vmcnt(0)
	ds_write2_b64 v117, v[1:2], v[3:4] offset0:70 offset1:71
	v_mov_b32_e32 v4, s38
	buffer_load_dword v1, v4, s[0:3], 0 offen
	buffer_load_dword v2, v4, s[0:3], 0 offen offset:4
	buffer_load_dword v3, v4, s[0:3], 0 offen offset:8
	s_nop 0
	buffer_load_dword v4, v4, s[0:3], 0 offen offset:12
	;; [unrolled: 17-line block ×11, first 2 shown]
	s_waitcnt vmcnt(0)
	ds_write2_b64 v117, v[1:2], v[3:4] offset0:108 offset1:109
	v_mov_b32_e32 v4, s6
	buffer_load_dword v1, v4, s[0:3], 0 offen
	buffer_load_dword v2, v4, s[0:3], 0 offen offset:4
	buffer_load_dword v3, v4, s[0:3], 0 offen offset:8
	s_nop 0
	buffer_load_dword v4, v4, s[0:3], 0 offen offset:12
	s_waitcnt vmcnt(0)
	ds_write2_b64 v117, v[1:2], v[3:4] offset0:110 offset1:111
	v_mov_b32_e32 v4, s16
	buffer_load_dword v1, v4, s[0:3], 0 offen
	buffer_load_dword v2, v4, s[0:3], 0 offen offset:4
	buffer_load_dword v3, v4, s[0:3], 0 offen offset:8
	s_nop 0
	buffer_load_dword v4, v4, s[0:3], 0 offen offset:12
	;; [unrolled: 8-line block ×6, first 2 shown]
	s_waitcnt vmcnt(0)
	ds_write2_b64 v117, v[1:2], v[3:4] offset0:120 offset1:121
	ds_read2_b64 v[1:4], v125 offset1:1
	s_waitcnt lgkmcnt(0)
	v_cmp_neq_f64_e32 vcc, 0, v[1:2]
	v_cmp_neq_f64_e64 s[6:7], 0, v[3:4]
	s_or_b64 s[6:7], vcc, s[6:7]
	s_and_b64 exec, exec, s[6:7]
	s_cbranch_execz .LBB121_360
; %bb.355:
	v_cmp_ngt_f64_e64 s[6:7], |v[1:2]|, |v[3:4]|
                                        ; implicit-def: $vgpr5_vgpr6
	s_and_saveexec_b64 s[10:11], s[6:7]
	s_xor_b64 s[6:7], exec, s[10:11]
                                        ; implicit-def: $vgpr7_vgpr8
	s_cbranch_execz .LBB121_357
; %bb.356:
	v_div_scale_f64 v[5:6], s[10:11], v[3:4], v[3:4], v[1:2]
	v_rcp_f64_e32 v[7:8], v[5:6]
	v_fma_f64 v[10:11], -v[5:6], v[7:8], 1.0
	v_fma_f64 v[7:8], v[7:8], v[10:11], v[7:8]
	v_div_scale_f64 v[10:11], vcc, v[1:2], v[3:4], v[1:2]
	v_fma_f64 v[12:13], -v[5:6], v[7:8], 1.0
	v_fma_f64 v[7:8], v[7:8], v[12:13], v[7:8]
	v_mul_f64 v[12:13], v[10:11], v[7:8]
	v_fma_f64 v[5:6], -v[5:6], v[12:13], v[10:11]
	v_div_fmas_f64 v[5:6], v[5:6], v[7:8], v[12:13]
	v_div_fixup_f64 v[5:6], v[5:6], v[3:4], v[1:2]
	v_fma_f64 v[1:2], v[1:2], v[5:6], v[3:4]
	v_div_scale_f64 v[3:4], s[10:11], v[1:2], v[1:2], 1.0
	v_div_scale_f64 v[12:13], vcc, 1.0, v[1:2], 1.0
	v_rcp_f64_e32 v[7:8], v[3:4]
	v_fma_f64 v[10:11], -v[3:4], v[7:8], 1.0
	v_fma_f64 v[7:8], v[7:8], v[10:11], v[7:8]
	v_fma_f64 v[10:11], -v[3:4], v[7:8], 1.0
	v_fma_f64 v[7:8], v[7:8], v[10:11], v[7:8]
	v_mul_f64 v[10:11], v[12:13], v[7:8]
	v_fma_f64 v[3:4], -v[3:4], v[10:11], v[12:13]
	v_div_fmas_f64 v[3:4], v[3:4], v[7:8], v[10:11]
	v_div_fixup_f64 v[7:8], v[3:4], v[1:2], 1.0
                                        ; implicit-def: $vgpr1_vgpr2
	v_mul_f64 v[5:6], v[5:6], v[7:8]
	v_xor_b32_e32 v8, 0x80000000, v8
.LBB121_357:
	s_andn2_saveexec_b64 s[6:7], s[6:7]
	s_cbranch_execz .LBB121_359
; %bb.358:
	v_div_scale_f64 v[5:6], s[10:11], v[1:2], v[1:2], v[3:4]
	v_rcp_f64_e32 v[7:8], v[5:6]
	v_fma_f64 v[10:11], -v[5:6], v[7:8], 1.0
	v_fma_f64 v[7:8], v[7:8], v[10:11], v[7:8]
	v_div_scale_f64 v[10:11], vcc, v[3:4], v[1:2], v[3:4]
	v_fma_f64 v[12:13], -v[5:6], v[7:8], 1.0
	v_fma_f64 v[7:8], v[7:8], v[12:13], v[7:8]
	v_mul_f64 v[12:13], v[10:11], v[7:8]
	v_fma_f64 v[5:6], -v[5:6], v[12:13], v[10:11]
	v_div_fmas_f64 v[5:6], v[5:6], v[7:8], v[12:13]
	v_div_fixup_f64 v[7:8], v[5:6], v[1:2], v[3:4]
	v_fma_f64 v[1:2], v[3:4], v[7:8], v[1:2]
	v_div_scale_f64 v[3:4], s[10:11], v[1:2], v[1:2], 1.0
	v_div_scale_f64 v[12:13], vcc, 1.0, v[1:2], 1.0
	v_rcp_f64_e32 v[5:6], v[3:4]
	v_fma_f64 v[10:11], -v[3:4], v[5:6], 1.0
	v_fma_f64 v[5:6], v[5:6], v[10:11], v[5:6]
	v_fma_f64 v[10:11], -v[3:4], v[5:6], 1.0
	v_fma_f64 v[5:6], v[5:6], v[10:11], v[5:6]
	v_mul_f64 v[10:11], v[12:13], v[5:6]
	v_fma_f64 v[3:4], -v[3:4], v[10:11], v[12:13]
	v_div_fmas_f64 v[3:4], v[3:4], v[5:6], v[10:11]
	v_div_fixup_f64 v[5:6], v[3:4], v[1:2], 1.0
	v_mul_f64 v[7:8], v[7:8], -v[5:6]
.LBB121_359:
	s_or_b64 exec, exec, s[6:7]
	ds_write2_b64 v125, v[5:6], v[7:8] offset1:1
.LBB121_360:
	s_or_b64 exec, exec, s[8:9]
	buffer_store_dword v19, off, s[0:3], 0 offset:1968 ; 4-byte Folded Spill
	s_nop 0
	buffer_store_dword v20, off, s[0:3], 0 offset:1972 ; 4-byte Folded Spill
	buffer_store_dword v21, off, s[0:3], 0 offset:1976 ; 4-byte Folded Spill
	;; [unrolled: 1-line block ×4, first 2 shown]
	s_nop 0
	buffer_store_dword v25, off, s[0:3], 0 offset:1812 ; 4-byte Folded Spill
	buffer_store_dword v26, off, s[0:3], 0 offset:1816 ; 4-byte Folded Spill
	;; [unrolled: 1-line block ×3, first 2 shown]
	s_waitcnt vmcnt(0) lgkmcnt(0)
	s_barrier
	ds_read2_b64 v[1:4], v125 offset1:1
	v_cmp_lt_u32_e32 vcc, 28, v0
	s_waitcnt lgkmcnt(0)
	buffer_store_dword v1, off, s[0:3], 0 offset:1728 ; 4-byte Folded Spill
	s_nop 0
	buffer_store_dword v2, off, s[0:3], 0 offset:1732 ; 4-byte Folded Spill
	buffer_store_dword v3, off, s[0:3], 0 offset:1736 ; 4-byte Folded Spill
	;; [unrolled: 1-line block ×3, first 2 shown]
	s_and_saveexec_b64 s[6:7], vcc
	s_cbranch_execz .LBB121_363
; %bb.361:
	buffer_load_dword v1, off, s[0:3], 0 offset:456
	buffer_load_dword v2, off, s[0:3], 0 offset:460
	;; [unrolled: 1-line block ×4, first 2 shown]
	buffer_load_dword v10, off, s[0:3], 0 offset:1728 ; 4-byte Folded Reload
	buffer_load_dword v11, off, s[0:3], 0 offset:1732 ; 4-byte Folded Reload
	;; [unrolled: 1-line block ×4, first 2 shown]
	s_mov_b32 s8, 0
	s_waitcnt vmcnt(2)
	v_mul_f64 v[7:8], v[10:11], v[1:2]
	s_waitcnt vmcnt(0)
	v_mul_f64 v[5:6], v[12:13], v[1:2]
	v_fma_f64 v[1:2], v[10:11], v[3:4], -v[5:6]
	v_fma_f64 v[3:4], v[12:13], v[3:4], v[7:8]
	buffer_store_dword v1, off, s[0:3], 0 offset:448
	buffer_store_dword v2, off, s[0:3], 0 offset:452
	;; [unrolled: 1-line block ×4, first 2 shown]
.LBB121_362:                            ; =>This Inner Loop Header: Depth=1
	v_add_u32_e32 v5, 0x1d0, v9
	v_add_u32_e32 v26, s8, v5
	ds_read2_b64 v[5:8], v26 offset1:1
	v_mov_b32_e32 v27, s8
	s_add_i32 s8, s8, 64
	s_cmpk_lg_i32 s8, 0x200
	s_waitcnt lgkmcnt(0)
	v_mul_f64 v[10:11], v[7:8], v[3:4]
	v_fma_f64 v[10:11], v[5:6], v[1:2], -v[10:11]
	v_mul_f64 v[5:6], v[5:6], v[3:4]
	v_fma_f64 v[5:6], v[7:8], v[1:2], v[5:6]
	buffer_load_dword v7, v27, s[0:3], 0 offen offset:464
	buffer_load_dword v8, v27, s[0:3], 0 offen offset:468
	;; [unrolled: 1-line block ×16, first 2 shown]
	s_waitcnt vmcnt(14)
	v_add_f64 v[7:8], v[7:8], -v[10:11]
	s_waitcnt vmcnt(12)
	v_add_f64 v[5:6], v[12:13], -v[5:6]
	buffer_store_dword v7, v27, s[0:3], 0 offen offset:464
	buffer_store_dword v8, v27, s[0:3], 0 offen offset:468
	buffer_store_dword v5, v27, s[0:3], 0 offen offset:472
	buffer_store_dword v6, v27, s[0:3], 0 offen offset:476
	ds_read2_b64 v[5:8], v26 offset0:2 offset1:3
	s_waitcnt lgkmcnt(0)
	v_mul_f64 v[10:11], v[7:8], v[3:4]
	v_fma_f64 v[10:11], v[5:6], v[1:2], -v[10:11]
	v_mul_f64 v[5:6], v[5:6], v[3:4]
	v_fma_f64 v[5:6], v[7:8], v[1:2], v[5:6]
	s_waitcnt vmcnt(14)
	v_add_f64 v[7:8], v[14:15], -v[10:11]
	s_waitcnt vmcnt(12)
	v_add_f64 v[5:6], v[16:17], -v[5:6]
	buffer_store_dword v7, v27, s[0:3], 0 offen offset:480
	buffer_store_dword v8, v27, s[0:3], 0 offen offset:484
	buffer_store_dword v5, v27, s[0:3], 0 offen offset:488
	buffer_store_dword v6, v27, s[0:3], 0 offen offset:492
	ds_read2_b64 v[5:8], v26 offset0:4 offset1:5
	s_waitcnt lgkmcnt(0)
	v_mul_f64 v[10:11], v[7:8], v[3:4]
	v_fma_f64 v[10:11], v[5:6], v[1:2], -v[10:11]
	v_mul_f64 v[5:6], v[5:6], v[3:4]
	v_fma_f64 v[5:6], v[7:8], v[1:2], v[5:6]
	;; [unrolled: 14-line block ×3, first 2 shown]
	s_waitcnt vmcnt(14)
	v_add_f64 v[7:8], v[22:23], -v[10:11]
	s_waitcnt vmcnt(12)
	v_add_f64 v[5:6], v[24:25], -v[5:6]
	buffer_store_dword v8, v27, s[0:3], 0 offen offset:516
	buffer_store_dword v7, v27, s[0:3], 0 offen offset:512
	;; [unrolled: 1-line block ×4, first 2 shown]
	s_cbranch_scc1 .LBB121_362
.LBB121_363:
	s_or_b64 exec, exec, s[6:7]
	v_cmp_eq_u32_e32 vcc, 29, v0
	s_waitcnt vmcnt(0)
	s_barrier
	s_and_saveexec_b64 s[8:9], vcc
	s_cbranch_execz .LBB121_370
; %bb.364:
	v_mov_b32_e32 v4, s72
	buffer_load_dword v1, v4, s[0:3], 0 offen
	buffer_load_dword v2, v4, s[0:3], 0 offen offset:4
	buffer_load_dword v3, v4, s[0:3], 0 offen offset:8
	s_nop 0
	buffer_load_dword v4, v4, s[0:3], 0 offen offset:12
	v_readlane_b32 s6, v126, 9
	s_waitcnt vmcnt(0)
	ds_write2_b64 v125, v[1:2], v[3:4] offset1:1
	v_mov_b32_e32 v4, s6
	buffer_load_dword v1, v4, s[0:3], 0 offen
	buffer_load_dword v2, v4, s[0:3], 0 offen offset:4
	buffer_load_dword v3, v4, s[0:3], 0 offen offset:8
	s_nop 0
	buffer_load_dword v4, v4, s[0:3], 0 offen offset:12
	v_readlane_b32 s6, v126, 10
	s_waitcnt vmcnt(0)
	ds_write2_b64 v117, v[1:2], v[3:4] offset0:60 offset1:61
	v_mov_b32_e32 v4, s70
	buffer_load_dword v1, v4, s[0:3], 0 offen
	buffer_load_dword v2, v4, s[0:3], 0 offen offset:4
	buffer_load_dword v3, v4, s[0:3], 0 offen offset:8
	s_nop 0
	buffer_load_dword v4, v4, s[0:3], 0 offen offset:12
	s_waitcnt vmcnt(0)
	ds_write2_b64 v117, v[1:2], v[3:4] offset0:62 offset1:63
	v_mov_b32_e32 v4, s6
	buffer_load_dword v1, v4, s[0:3], 0 offen
	buffer_load_dword v2, v4, s[0:3], 0 offen offset:4
	buffer_load_dword v3, v4, s[0:3], 0 offen offset:8
	s_nop 0
	buffer_load_dword v4, v4, s[0:3], 0 offen offset:12
	v_readlane_b32 s6, v126, 11
	s_waitcnt vmcnt(0)
	ds_write2_b64 v117, v[1:2], v[3:4] offset0:64 offset1:65
	v_mov_b32_e32 v4, s6
	buffer_load_dword v1, v4, s[0:3], 0 offen
	buffer_load_dword v2, v4, s[0:3], 0 offen offset:4
	buffer_load_dword v3, v4, s[0:3], 0 offen offset:8
	s_nop 0
	buffer_load_dword v4, v4, s[0:3], 0 offen offset:12
	v_readlane_b32 s6, v126, 12
	s_waitcnt vmcnt(0)
	ds_write2_b64 v117, v[1:2], v[3:4] offset0:66 offset1:67
	v_mov_b32_e32 v4, s40
	buffer_load_dword v1, v4, s[0:3], 0 offen
	buffer_load_dword v2, v4, s[0:3], 0 offen offset:4
	buffer_load_dword v3, v4, s[0:3], 0 offen offset:8
	s_nop 0
	buffer_load_dword v4, v4, s[0:3], 0 offen offset:12
	s_waitcnt vmcnt(0)
	ds_write2_b64 v117, v[1:2], v[3:4] offset0:68 offset1:69
	v_mov_b32_e32 v4, s6
	buffer_load_dword v1, v4, s[0:3], 0 offen
	buffer_load_dword v2, v4, s[0:3], 0 offen offset:4
	buffer_load_dword v3, v4, s[0:3], 0 offen offset:8
	s_nop 0
	buffer_load_dword v4, v4, s[0:3], 0 offen offset:12
	v_readlane_b32 s6, v126, 13
	s_waitcnt vmcnt(0)
	ds_write2_b64 v117, v[1:2], v[3:4] offset0:70 offset1:71
	v_mov_b32_e32 v4, s38
	buffer_load_dword v1, v4, s[0:3], 0 offen
	buffer_load_dword v2, v4, s[0:3], 0 offen offset:4
	buffer_load_dword v3, v4, s[0:3], 0 offen offset:8
	s_nop 0
	buffer_load_dword v4, v4, s[0:3], 0 offen offset:12
	s_waitcnt vmcnt(0)
	ds_write2_b64 v117, v[1:2], v[3:4] offset0:72 offset1:73
	v_mov_b32_e32 v4, s6
	buffer_load_dword v1, v4, s[0:3], 0 offen
	buffer_load_dword v2, v4, s[0:3], 0 offen offset:4
	buffer_load_dword v3, v4, s[0:3], 0 offen offset:8
	s_nop 0
	buffer_load_dword v4, v4, s[0:3], 0 offen offset:12
	v_readlane_b32 s6, v126, 14
	s_waitcnt vmcnt(0)
	ds_write2_b64 v117, v[1:2], v[3:4] offset0:74 offset1:75
	v_mov_b32_e32 v4, s36
	buffer_load_dword v1, v4, s[0:3], 0 offen
	buffer_load_dword v2, v4, s[0:3], 0 offen offset:4
	buffer_load_dword v3, v4, s[0:3], 0 offen offset:8
	s_nop 0
	buffer_load_dword v4, v4, s[0:3], 0 offen offset:12
	s_waitcnt vmcnt(0)
	ds_write2_b64 v117, v[1:2], v[3:4] offset0:76 offset1:77
	v_mov_b32_e32 v4, s6
	buffer_load_dword v1, v4, s[0:3], 0 offen
	buffer_load_dword v2, v4, s[0:3], 0 offen offset:4
	buffer_load_dword v3, v4, s[0:3], 0 offen offset:8
	s_nop 0
	buffer_load_dword v4, v4, s[0:3], 0 offen offset:12
	v_readlane_b32 s6, v126, 15
	s_waitcnt vmcnt(0)
	ds_write2_b64 v117, v[1:2], v[3:4] offset0:78 offset1:79
	v_mov_b32_e32 v4, s34
	buffer_load_dword v1, v4, s[0:3], 0 offen
	buffer_load_dword v2, v4, s[0:3], 0 offen offset:4
	buffer_load_dword v3, v4, s[0:3], 0 offen offset:8
	s_nop 0
	buffer_load_dword v4, v4, s[0:3], 0 offen offset:12
	s_waitcnt vmcnt(0)
	ds_write2_b64 v117, v[1:2], v[3:4] offset0:80 offset1:81
	v_mov_b32_e32 v4, s6
	buffer_load_dword v1, v4, s[0:3], 0 offen
	buffer_load_dword v2, v4, s[0:3], 0 offen offset:4
	buffer_load_dword v3, v4, s[0:3], 0 offen offset:8
	s_nop 0
	buffer_load_dword v4, v4, s[0:3], 0 offen offset:12
	v_readlane_b32 s6, v126, 16
	s_waitcnt vmcnt(0)
	ds_write2_b64 v117, v[1:2], v[3:4] offset0:82 offset1:83
	v_mov_b32_e32 v4, s30
	buffer_load_dword v1, v4, s[0:3], 0 offen
	buffer_load_dword v2, v4, s[0:3], 0 offen offset:4
	buffer_load_dword v3, v4, s[0:3], 0 offen offset:8
	s_nop 0
	buffer_load_dword v4, v4, s[0:3], 0 offen offset:12
	s_waitcnt vmcnt(0)
	ds_write2_b64 v117, v[1:2], v[3:4] offset0:84 offset1:85
	v_mov_b32_e32 v4, s6
	buffer_load_dword v1, v4, s[0:3], 0 offen
	buffer_load_dword v2, v4, s[0:3], 0 offen offset:4
	buffer_load_dword v3, v4, s[0:3], 0 offen offset:8
	s_nop 0
	buffer_load_dword v4, v4, s[0:3], 0 offen offset:12
	v_readlane_b32 s6, v126, 17
	s_waitcnt vmcnt(0)
	ds_write2_b64 v117, v[1:2], v[3:4] offset0:86 offset1:87
	v_mov_b32_e32 v4, s28
	buffer_load_dword v1, v4, s[0:3], 0 offen
	buffer_load_dword v2, v4, s[0:3], 0 offen offset:4
	buffer_load_dword v3, v4, s[0:3], 0 offen offset:8
	s_nop 0
	buffer_load_dword v4, v4, s[0:3], 0 offen offset:12
	s_waitcnt vmcnt(0)
	ds_write2_b64 v117, v[1:2], v[3:4] offset0:88 offset1:89
	v_mov_b32_e32 v4, s6
	buffer_load_dword v1, v4, s[0:3], 0 offen
	buffer_load_dword v2, v4, s[0:3], 0 offen offset:4
	buffer_load_dword v3, v4, s[0:3], 0 offen offset:8
	s_nop 0
	buffer_load_dword v4, v4, s[0:3], 0 offen offset:12
	v_readlane_b32 s6, v126, 18
	s_waitcnt vmcnt(0)
	ds_write2_b64 v117, v[1:2], v[3:4] offset0:90 offset1:91
	v_mov_b32_e32 v4, s26
	buffer_load_dword v1, v4, s[0:3], 0 offen
	buffer_load_dword v2, v4, s[0:3], 0 offen offset:4
	buffer_load_dword v3, v4, s[0:3], 0 offen offset:8
	s_nop 0
	buffer_load_dword v4, v4, s[0:3], 0 offen offset:12
	s_waitcnt vmcnt(0)
	ds_write2_b64 v117, v[1:2], v[3:4] offset0:92 offset1:93
	v_mov_b32_e32 v4, s6
	buffer_load_dword v1, v4, s[0:3], 0 offen
	buffer_load_dword v2, v4, s[0:3], 0 offen offset:4
	buffer_load_dword v3, v4, s[0:3], 0 offen offset:8
	s_nop 0
	buffer_load_dword v4, v4, s[0:3], 0 offen offset:12
	v_readlane_b32 s6, v126, 19
	s_waitcnt vmcnt(0)
	ds_write2_b64 v117, v[1:2], v[3:4] offset0:94 offset1:95
	v_mov_b32_e32 v4, s24
	buffer_load_dword v1, v4, s[0:3], 0 offen
	buffer_load_dword v2, v4, s[0:3], 0 offen offset:4
	buffer_load_dword v3, v4, s[0:3], 0 offen offset:8
	s_nop 0
	buffer_load_dword v4, v4, s[0:3], 0 offen offset:12
	s_waitcnt vmcnt(0)
	ds_write2_b64 v117, v[1:2], v[3:4] offset0:96 offset1:97
	v_mov_b32_e32 v4, s6
	buffer_load_dword v1, v4, s[0:3], 0 offen
	buffer_load_dword v2, v4, s[0:3], 0 offen offset:4
	buffer_load_dword v3, v4, s[0:3], 0 offen offset:8
	s_nop 0
	buffer_load_dword v4, v4, s[0:3], 0 offen offset:12
	v_readlane_b32 s6, v126, 20
	s_waitcnt vmcnt(0)
	ds_write2_b64 v117, v[1:2], v[3:4] offset0:98 offset1:99
	v_mov_b32_e32 v4, s22
	buffer_load_dword v1, v4, s[0:3], 0 offen
	buffer_load_dword v2, v4, s[0:3], 0 offen offset:4
	buffer_load_dword v3, v4, s[0:3], 0 offen offset:8
	s_nop 0
	buffer_load_dword v4, v4, s[0:3], 0 offen offset:12
	s_waitcnt vmcnt(0)
	ds_write2_b64 v117, v[1:2], v[3:4] offset0:100 offset1:101
	v_mov_b32_e32 v4, s6
	buffer_load_dword v1, v4, s[0:3], 0 offen
	buffer_load_dword v2, v4, s[0:3], 0 offen offset:4
	buffer_load_dword v3, v4, s[0:3], 0 offen offset:8
	s_nop 0
	buffer_load_dword v4, v4, s[0:3], 0 offen offset:12
	v_readlane_b32 s6, v126, 21
	s_waitcnt vmcnt(0)
	ds_write2_b64 v117, v[1:2], v[3:4] offset0:102 offset1:103
	v_mov_b32_e32 v4, s20
	buffer_load_dword v1, v4, s[0:3], 0 offen
	buffer_load_dword v2, v4, s[0:3], 0 offen offset:4
	buffer_load_dword v3, v4, s[0:3], 0 offen offset:8
	s_nop 0
	buffer_load_dword v4, v4, s[0:3], 0 offen offset:12
	s_waitcnt vmcnt(0)
	ds_write2_b64 v117, v[1:2], v[3:4] offset0:104 offset1:105
	v_mov_b32_e32 v4, s6
	buffer_load_dword v1, v4, s[0:3], 0 offen
	buffer_load_dword v2, v4, s[0:3], 0 offen offset:4
	buffer_load_dword v3, v4, s[0:3], 0 offen offset:8
	s_nop 0
	buffer_load_dword v4, v4, s[0:3], 0 offen offset:12
	v_readlane_b32 s6, v126, 22
	s_waitcnt vmcnt(0)
	ds_write2_b64 v117, v[1:2], v[3:4] offset0:106 offset1:107
	v_mov_b32_e32 v4, s18
	buffer_load_dword v1, v4, s[0:3], 0 offen
	buffer_load_dword v2, v4, s[0:3], 0 offen offset:4
	buffer_load_dword v3, v4, s[0:3], 0 offen offset:8
	s_nop 0
	buffer_load_dword v4, v4, s[0:3], 0 offen offset:12
	s_waitcnt vmcnt(0)
	ds_write2_b64 v117, v[1:2], v[3:4] offset0:108 offset1:109
	v_mov_b32_e32 v4, s6
	buffer_load_dword v1, v4, s[0:3], 0 offen
	buffer_load_dword v2, v4, s[0:3], 0 offen offset:4
	buffer_load_dword v3, v4, s[0:3], 0 offen offset:8
	s_nop 0
	buffer_load_dword v4, v4, s[0:3], 0 offen offset:12
	s_waitcnt vmcnt(0)
	ds_write2_b64 v117, v[1:2], v[3:4] offset0:110 offset1:111
	v_mov_b32_e32 v4, s16
	buffer_load_dword v1, v4, s[0:3], 0 offen
	buffer_load_dword v2, v4, s[0:3], 0 offen offset:4
	buffer_load_dword v3, v4, s[0:3], 0 offen offset:8
	s_nop 0
	buffer_load_dword v4, v4, s[0:3], 0 offen offset:12
	;; [unrolled: 8-line block ×6, first 2 shown]
	s_waitcnt vmcnt(0)
	ds_write2_b64 v117, v[1:2], v[3:4] offset0:120 offset1:121
	ds_read2_b64 v[1:4], v125 offset1:1
	s_waitcnt lgkmcnt(0)
	v_cmp_neq_f64_e32 vcc, 0, v[1:2]
	v_cmp_neq_f64_e64 s[6:7], 0, v[3:4]
	s_or_b64 s[6:7], vcc, s[6:7]
	s_and_b64 exec, exec, s[6:7]
	s_cbranch_execz .LBB121_370
; %bb.365:
	v_cmp_ngt_f64_e64 s[6:7], |v[1:2]|, |v[3:4]|
                                        ; implicit-def: $vgpr5_vgpr6
	s_and_saveexec_b64 s[10:11], s[6:7]
	s_xor_b64 s[6:7], exec, s[10:11]
                                        ; implicit-def: $vgpr7_vgpr8
	s_cbranch_execz .LBB121_367
; %bb.366:
	v_div_scale_f64 v[5:6], s[10:11], v[3:4], v[3:4], v[1:2]
	v_rcp_f64_e32 v[7:8], v[5:6]
	v_fma_f64 v[10:11], -v[5:6], v[7:8], 1.0
	v_fma_f64 v[7:8], v[7:8], v[10:11], v[7:8]
	v_div_scale_f64 v[10:11], vcc, v[1:2], v[3:4], v[1:2]
	v_fma_f64 v[12:13], -v[5:6], v[7:8], 1.0
	v_fma_f64 v[7:8], v[7:8], v[12:13], v[7:8]
	v_mul_f64 v[12:13], v[10:11], v[7:8]
	v_fma_f64 v[5:6], -v[5:6], v[12:13], v[10:11]
	v_div_fmas_f64 v[5:6], v[5:6], v[7:8], v[12:13]
	v_div_fixup_f64 v[5:6], v[5:6], v[3:4], v[1:2]
	v_fma_f64 v[1:2], v[1:2], v[5:6], v[3:4]
	v_div_scale_f64 v[3:4], s[10:11], v[1:2], v[1:2], 1.0
	v_div_scale_f64 v[12:13], vcc, 1.0, v[1:2], 1.0
	v_rcp_f64_e32 v[7:8], v[3:4]
	v_fma_f64 v[10:11], -v[3:4], v[7:8], 1.0
	v_fma_f64 v[7:8], v[7:8], v[10:11], v[7:8]
	v_fma_f64 v[10:11], -v[3:4], v[7:8], 1.0
	v_fma_f64 v[7:8], v[7:8], v[10:11], v[7:8]
	v_mul_f64 v[10:11], v[12:13], v[7:8]
	v_fma_f64 v[3:4], -v[3:4], v[10:11], v[12:13]
	v_div_fmas_f64 v[3:4], v[3:4], v[7:8], v[10:11]
	v_div_fixup_f64 v[7:8], v[3:4], v[1:2], 1.0
                                        ; implicit-def: $vgpr1_vgpr2
	v_mul_f64 v[5:6], v[5:6], v[7:8]
	v_xor_b32_e32 v8, 0x80000000, v8
.LBB121_367:
	s_andn2_saveexec_b64 s[6:7], s[6:7]
	s_cbranch_execz .LBB121_369
; %bb.368:
	v_div_scale_f64 v[5:6], s[10:11], v[1:2], v[1:2], v[3:4]
	v_rcp_f64_e32 v[7:8], v[5:6]
	v_fma_f64 v[10:11], -v[5:6], v[7:8], 1.0
	v_fma_f64 v[7:8], v[7:8], v[10:11], v[7:8]
	v_div_scale_f64 v[10:11], vcc, v[3:4], v[1:2], v[3:4]
	v_fma_f64 v[12:13], -v[5:6], v[7:8], 1.0
	v_fma_f64 v[7:8], v[7:8], v[12:13], v[7:8]
	v_mul_f64 v[12:13], v[10:11], v[7:8]
	v_fma_f64 v[5:6], -v[5:6], v[12:13], v[10:11]
	v_div_fmas_f64 v[5:6], v[5:6], v[7:8], v[12:13]
	v_div_fixup_f64 v[7:8], v[5:6], v[1:2], v[3:4]
	v_fma_f64 v[1:2], v[3:4], v[7:8], v[1:2]
	v_div_scale_f64 v[3:4], s[10:11], v[1:2], v[1:2], 1.0
	v_div_scale_f64 v[12:13], vcc, 1.0, v[1:2], 1.0
	v_rcp_f64_e32 v[5:6], v[3:4]
	v_fma_f64 v[10:11], -v[3:4], v[5:6], 1.0
	v_fma_f64 v[5:6], v[5:6], v[10:11], v[5:6]
	v_fma_f64 v[10:11], -v[3:4], v[5:6], 1.0
	v_fma_f64 v[5:6], v[5:6], v[10:11], v[5:6]
	v_mul_f64 v[10:11], v[12:13], v[5:6]
	v_fma_f64 v[3:4], -v[3:4], v[10:11], v[12:13]
	v_div_fmas_f64 v[3:4], v[3:4], v[5:6], v[10:11]
	v_div_fixup_f64 v[5:6], v[3:4], v[1:2], 1.0
	v_mul_f64 v[7:8], v[7:8], -v[5:6]
.LBB121_369:
	s_or_b64 exec, exec, s[6:7]
	ds_write2_b64 v125, v[5:6], v[7:8] offset1:1
.LBB121_370:
	s_or_b64 exec, exec, s[8:9]
	s_waitcnt lgkmcnt(0)
	s_barrier
	ds_read2_b64 v[24:27], v125 offset1:1
	v_cmp_lt_u32_e32 vcc, 29, v0
	s_and_saveexec_b64 s[6:7], vcc
	s_cbranch_execz .LBB121_375
; %bb.371:
	buffer_load_dword v1, off, s[0:3], 0 offset:472
	buffer_load_dword v2, off, s[0:3], 0 offset:476
	buffer_load_dword v3, off, s[0:3], 0 offset:464
	buffer_load_dword v4, off, s[0:3], 0 offset:468
	s_mov_b32 s10, 0
	s_waitcnt vmcnt(2) lgkmcnt(0)
	v_mul_f64 v[5:6], v[26:27], v[1:2]
	v_mul_f64 v[7:8], v[24:25], v[1:2]
	s_waitcnt vmcnt(0)
	v_fma_f64 v[1:2], v[24:25], v[3:4], -v[5:6]
	v_fma_f64 v[3:4], v[26:27], v[3:4], v[7:8]
	buffer_store_dword v1, off, s[0:3], 0 offset:464
	buffer_store_dword v2, off, s[0:3], 0 offset:468
	;; [unrolled: 1-line block ×4, first 2 shown]
	s_branch .LBB121_373
.LBB121_372:                            ;   in Loop: Header=BB121_373 Depth=1
	s_andn2_b64 vcc, exec, s[8:9]
	s_cbranch_vccz .LBB121_375
.LBB121_373:                            ; =>This Inner Loop Header: Depth=1
	v_add_u32_e32 v5, 0x1e0, v9
	v_add_u32_e32 v5, s10, v5
	ds_read2_b64 v[10:13], v5 offset1:1
	v_mov_b32_e32 v8, s10
	s_mov_b32 s11, s10
	s_mov_b64 s[8:9], -1
	s_cmpk_eq_i32 s10, 0x1c0
	s_waitcnt lgkmcnt(0)
	v_mul_f64 v[6:7], v[12:13], v[3:4]
	v_fma_f64 v[6:7], v[10:11], v[1:2], -v[6:7]
	v_mul_f64 v[10:11], v[10:11], v[3:4]
	v_fma_f64 v[10:11], v[12:13], v[1:2], v[10:11]
	buffer_load_dword v12, v8, s[0:3], 0 offen offset:480
	buffer_load_dword v13, v8, s[0:3], 0 offen offset:484
	;; [unrolled: 1-line block ×12, first 2 shown]
	s_waitcnt vmcnt(10)
	v_add_f64 v[6:7], v[12:13], -v[6:7]
	s_waitcnt vmcnt(8)
	v_add_f64 v[10:11], v[14:15], -v[10:11]
	buffer_store_dword v6, v8, s[0:3], 0 offen offset:480
	buffer_store_dword v7, v8, s[0:3], 0 offen offset:484
	;; [unrolled: 1-line block ×4, first 2 shown]
	ds_read2_b64 v[10:13], v5 offset0:2 offset1:3
	s_waitcnt lgkmcnt(0)
	v_mul_f64 v[6:7], v[12:13], v[3:4]
	v_fma_f64 v[6:7], v[10:11], v[1:2], -v[6:7]
	v_mul_f64 v[10:11], v[10:11], v[3:4]
	s_waitcnt vmcnt(10)
	v_add_f64 v[6:7], v[16:17], -v[6:7]
	v_fma_f64 v[10:11], v[12:13], v[1:2], v[10:11]
	s_waitcnt vmcnt(8)
	v_add_f64 v[10:11], v[18:19], -v[10:11]
	buffer_store_dword v6, v8, s[0:3], 0 offen offset:496
	buffer_store_dword v7, v8, s[0:3], 0 offen offset:500
	;; [unrolled: 1-line block ×4, first 2 shown]
	ds_read2_b64 v[10:13], v5 offset0:4 offset1:5
	s_waitcnt lgkmcnt(0)
	v_mul_f64 v[6:7], v[12:13], v[3:4]
	v_fma_f64 v[6:7], v[10:11], v[1:2], -v[6:7]
	v_mul_f64 v[10:11], v[10:11], v[3:4]
	s_waitcnt vmcnt(10)
	v_add_f64 v[6:7], v[20:21], -v[6:7]
	v_fma_f64 v[10:11], v[12:13], v[1:2], v[10:11]
	s_waitcnt vmcnt(8)
	v_add_f64 v[10:11], v[22:23], -v[10:11]
	buffer_store_dword v6, v8, s[0:3], 0 offen offset:512
	buffer_store_dword v7, v8, s[0:3], 0 offen offset:516
	;; [unrolled: 1-line block ×4, first 2 shown]
	s_cbranch_scc1 .LBB121_372
; %bb.374:                              ;   in Loop: Header=BB121_373 Depth=1
	ds_read2_b64 v[5:8], v5 offset0:6 offset1:7
	v_mov_b32_e32 v14, s11
	s_add_i32 s10, s10, 64
	s_mov_b64 s[8:9], 0
	s_waitcnt lgkmcnt(0)
	v_mul_f64 v[10:11], v[7:8], v[3:4]
	v_fma_f64 v[10:11], v[5:6], v[1:2], -v[10:11]
	v_mul_f64 v[5:6], v[5:6], v[3:4]
	v_fma_f64 v[5:6], v[7:8], v[1:2], v[5:6]
	buffer_load_dword v7, v14, s[0:3], 0 offen offset:528
	buffer_load_dword v8, v14, s[0:3], 0 offen offset:532
	;; [unrolled: 1-line block ×4, first 2 shown]
	s_waitcnt vmcnt(2)
	v_add_f64 v[7:8], v[7:8], -v[10:11]
	s_waitcnt vmcnt(0)
	v_add_f64 v[5:6], v[12:13], -v[5:6]
	buffer_store_dword v7, v14, s[0:3], 0 offen offset:528
	buffer_store_dword v8, v14, s[0:3], 0 offen offset:532
	;; [unrolled: 1-line block ×4, first 2 shown]
	s_branch .LBB121_372
.LBB121_375:
	s_or_b64 exec, exec, s[6:7]
	v_cmp_eq_u32_e32 vcc, 30, v0
	s_waitcnt vmcnt(0) lgkmcnt(0)
	s_barrier
	s_and_saveexec_b64 s[8:9], vcc
	s_cbranch_execz .LBB121_382
; %bb.376:
	v_readlane_b32 s6, v126, 9
	v_mov_b32_e32 v4, s6
	buffer_load_dword v1, v4, s[0:3], 0 offen
	buffer_load_dword v2, v4, s[0:3], 0 offen offset:4
	buffer_load_dword v3, v4, s[0:3], 0 offen offset:8
	s_nop 0
	buffer_load_dword v4, v4, s[0:3], 0 offen offset:12
	v_readlane_b32 s6, v126, 10
	s_waitcnt vmcnt(0)
	ds_write2_b64 v125, v[1:2], v[3:4] offset1:1
	v_mov_b32_e32 v4, s70
	buffer_load_dword v1, v4, s[0:3], 0 offen
	buffer_load_dword v2, v4, s[0:3], 0 offen offset:4
	buffer_load_dword v3, v4, s[0:3], 0 offen offset:8
	s_nop 0
	buffer_load_dword v4, v4, s[0:3], 0 offen offset:12
	s_waitcnt vmcnt(0)
	ds_write2_b64 v117, v[1:2], v[3:4] offset0:62 offset1:63
	v_mov_b32_e32 v4, s6
	buffer_load_dword v1, v4, s[0:3], 0 offen
	buffer_load_dword v2, v4, s[0:3], 0 offen offset:4
	buffer_load_dword v3, v4, s[0:3], 0 offen offset:8
	s_nop 0
	buffer_load_dword v4, v4, s[0:3], 0 offen offset:12
	v_readlane_b32 s6, v126, 11
	s_waitcnt vmcnt(0)
	ds_write2_b64 v117, v[1:2], v[3:4] offset0:64 offset1:65
	v_mov_b32_e32 v4, s6
	buffer_load_dword v1, v4, s[0:3], 0 offen
	buffer_load_dword v2, v4, s[0:3], 0 offen offset:4
	buffer_load_dword v3, v4, s[0:3], 0 offen offset:8
	s_nop 0
	buffer_load_dword v4, v4, s[0:3], 0 offen offset:12
	v_readlane_b32 s6, v126, 12
	s_waitcnt vmcnt(0)
	ds_write2_b64 v117, v[1:2], v[3:4] offset0:66 offset1:67
	v_mov_b32_e32 v4, s40
	buffer_load_dword v1, v4, s[0:3], 0 offen
	buffer_load_dword v2, v4, s[0:3], 0 offen offset:4
	buffer_load_dword v3, v4, s[0:3], 0 offen offset:8
	s_nop 0
	buffer_load_dword v4, v4, s[0:3], 0 offen offset:12
	s_waitcnt vmcnt(0)
	ds_write2_b64 v117, v[1:2], v[3:4] offset0:68 offset1:69
	v_mov_b32_e32 v4, s6
	buffer_load_dword v1, v4, s[0:3], 0 offen
	buffer_load_dword v2, v4, s[0:3], 0 offen offset:4
	buffer_load_dword v3, v4, s[0:3], 0 offen offset:8
	s_nop 0
	buffer_load_dword v4, v4, s[0:3], 0 offen offset:12
	v_readlane_b32 s6, v126, 13
	s_waitcnt vmcnt(0)
	ds_write2_b64 v117, v[1:2], v[3:4] offset0:70 offset1:71
	v_mov_b32_e32 v4, s38
	buffer_load_dword v1, v4, s[0:3], 0 offen
	buffer_load_dword v2, v4, s[0:3], 0 offen offset:4
	buffer_load_dword v3, v4, s[0:3], 0 offen offset:8
	s_nop 0
	buffer_load_dword v4, v4, s[0:3], 0 offen offset:12
	;; [unrolled: 17-line block ×11, first 2 shown]
	s_waitcnt vmcnt(0)
	ds_write2_b64 v117, v[1:2], v[3:4] offset0:108 offset1:109
	v_mov_b32_e32 v4, s6
	buffer_load_dword v1, v4, s[0:3], 0 offen
	buffer_load_dword v2, v4, s[0:3], 0 offen offset:4
	buffer_load_dword v3, v4, s[0:3], 0 offen offset:8
	s_nop 0
	buffer_load_dword v4, v4, s[0:3], 0 offen offset:12
	s_waitcnt vmcnt(0)
	ds_write2_b64 v117, v[1:2], v[3:4] offset0:110 offset1:111
	v_mov_b32_e32 v4, s16
	buffer_load_dword v1, v4, s[0:3], 0 offen
	buffer_load_dword v2, v4, s[0:3], 0 offen offset:4
	buffer_load_dword v3, v4, s[0:3], 0 offen offset:8
	s_nop 0
	buffer_load_dword v4, v4, s[0:3], 0 offen offset:12
	s_waitcnt vmcnt(0)
	ds_write2_b64 v117, v[1:2], v[3:4] offset0:112 offset1:113
	v_mov_b32_e32 v4, s79
	buffer_load_dword v1, v4, s[0:3], 0 offen
	buffer_load_dword v2, v4, s[0:3], 0 offen offset:4
	buffer_load_dword v3, v4, s[0:3], 0 offen offset:8
	s_nop 0
	buffer_load_dword v4, v4, s[0:3], 0 offen offset:12
	s_waitcnt vmcnt(0)
	ds_write2_b64 v117, v[1:2], v[3:4] offset0:114 offset1:115
	v_mov_b32_e32 v4, s14
	buffer_load_dword v1, v4, s[0:3], 0 offen
	buffer_load_dword v2, v4, s[0:3], 0 offen offset:4
	buffer_load_dword v3, v4, s[0:3], 0 offen offset:8
	s_nop 0
	buffer_load_dword v4, v4, s[0:3], 0 offen offset:12
	s_waitcnt vmcnt(0)
	ds_write2_b64 v117, v[1:2], v[3:4] offset0:116 offset1:117
	v_mov_b32_e32 v4, s42
	buffer_load_dword v1, v4, s[0:3], 0 offen
	buffer_load_dword v2, v4, s[0:3], 0 offen offset:4
	buffer_load_dword v3, v4, s[0:3], 0 offen offset:8
	s_nop 0
	buffer_load_dword v4, v4, s[0:3], 0 offen offset:12
	s_waitcnt vmcnt(0)
	ds_write2_b64 v117, v[1:2], v[3:4] offset0:118 offset1:119
	v_mov_b32_e32 v4, s71
	buffer_load_dword v1, v4, s[0:3], 0 offen
	buffer_load_dword v2, v4, s[0:3], 0 offen offset:4
	buffer_load_dword v3, v4, s[0:3], 0 offen offset:8
	s_nop 0
	buffer_load_dword v4, v4, s[0:3], 0 offen offset:12
	s_waitcnt vmcnt(0)
	ds_write2_b64 v117, v[1:2], v[3:4] offset0:120 offset1:121
	ds_read2_b64 v[1:4], v125 offset1:1
	s_waitcnt lgkmcnt(0)
	v_cmp_neq_f64_e32 vcc, 0, v[1:2]
	v_cmp_neq_f64_e64 s[6:7], 0, v[3:4]
	s_or_b64 s[6:7], vcc, s[6:7]
	s_and_b64 exec, exec, s[6:7]
	s_cbranch_execz .LBB121_382
; %bb.377:
	v_cmp_ngt_f64_e64 s[6:7], |v[1:2]|, |v[3:4]|
                                        ; implicit-def: $vgpr5_vgpr6
	s_and_saveexec_b64 s[10:11], s[6:7]
	s_xor_b64 s[6:7], exec, s[10:11]
                                        ; implicit-def: $vgpr7_vgpr8
	s_cbranch_execz .LBB121_379
; %bb.378:
	v_div_scale_f64 v[5:6], s[10:11], v[3:4], v[3:4], v[1:2]
	v_rcp_f64_e32 v[7:8], v[5:6]
	v_fma_f64 v[10:11], -v[5:6], v[7:8], 1.0
	v_fma_f64 v[7:8], v[7:8], v[10:11], v[7:8]
	v_div_scale_f64 v[10:11], vcc, v[1:2], v[3:4], v[1:2]
	v_fma_f64 v[12:13], -v[5:6], v[7:8], 1.0
	v_fma_f64 v[7:8], v[7:8], v[12:13], v[7:8]
	v_mul_f64 v[12:13], v[10:11], v[7:8]
	v_fma_f64 v[5:6], -v[5:6], v[12:13], v[10:11]
	v_div_fmas_f64 v[5:6], v[5:6], v[7:8], v[12:13]
	v_div_fixup_f64 v[5:6], v[5:6], v[3:4], v[1:2]
	v_fma_f64 v[1:2], v[1:2], v[5:6], v[3:4]
	v_div_scale_f64 v[3:4], s[10:11], v[1:2], v[1:2], 1.0
	v_div_scale_f64 v[12:13], vcc, 1.0, v[1:2], 1.0
	v_rcp_f64_e32 v[7:8], v[3:4]
	v_fma_f64 v[10:11], -v[3:4], v[7:8], 1.0
	v_fma_f64 v[7:8], v[7:8], v[10:11], v[7:8]
	v_fma_f64 v[10:11], -v[3:4], v[7:8], 1.0
	v_fma_f64 v[7:8], v[7:8], v[10:11], v[7:8]
	v_mul_f64 v[10:11], v[12:13], v[7:8]
	v_fma_f64 v[3:4], -v[3:4], v[10:11], v[12:13]
	v_div_fmas_f64 v[3:4], v[3:4], v[7:8], v[10:11]
	v_div_fixup_f64 v[7:8], v[3:4], v[1:2], 1.0
                                        ; implicit-def: $vgpr1_vgpr2
	v_mul_f64 v[5:6], v[5:6], v[7:8]
	v_xor_b32_e32 v8, 0x80000000, v8
.LBB121_379:
	s_andn2_saveexec_b64 s[6:7], s[6:7]
	s_cbranch_execz .LBB121_381
; %bb.380:
	v_div_scale_f64 v[5:6], s[10:11], v[1:2], v[1:2], v[3:4]
	v_rcp_f64_e32 v[7:8], v[5:6]
	v_fma_f64 v[10:11], -v[5:6], v[7:8], 1.0
	v_fma_f64 v[7:8], v[7:8], v[10:11], v[7:8]
	v_div_scale_f64 v[10:11], vcc, v[3:4], v[1:2], v[3:4]
	v_fma_f64 v[12:13], -v[5:6], v[7:8], 1.0
	v_fma_f64 v[7:8], v[7:8], v[12:13], v[7:8]
	v_mul_f64 v[12:13], v[10:11], v[7:8]
	v_fma_f64 v[5:6], -v[5:6], v[12:13], v[10:11]
	v_div_fmas_f64 v[5:6], v[5:6], v[7:8], v[12:13]
	v_div_fixup_f64 v[7:8], v[5:6], v[1:2], v[3:4]
	v_fma_f64 v[1:2], v[3:4], v[7:8], v[1:2]
	v_div_scale_f64 v[3:4], s[10:11], v[1:2], v[1:2], 1.0
	v_div_scale_f64 v[12:13], vcc, 1.0, v[1:2], 1.0
	v_rcp_f64_e32 v[5:6], v[3:4]
	v_fma_f64 v[10:11], -v[3:4], v[5:6], 1.0
	v_fma_f64 v[5:6], v[5:6], v[10:11], v[5:6]
	v_fma_f64 v[10:11], -v[3:4], v[5:6], 1.0
	v_fma_f64 v[5:6], v[5:6], v[10:11], v[5:6]
	v_mul_f64 v[10:11], v[12:13], v[5:6]
	v_fma_f64 v[3:4], -v[3:4], v[10:11], v[12:13]
	v_div_fmas_f64 v[3:4], v[3:4], v[5:6], v[10:11]
	v_div_fixup_f64 v[5:6], v[3:4], v[1:2], 1.0
	v_mul_f64 v[7:8], v[7:8], -v[5:6]
.LBB121_381:
	s_or_b64 exec, exec, s[6:7]
	ds_write2_b64 v125, v[5:6], v[7:8] offset1:1
.LBB121_382:
	s_or_b64 exec, exec, s[8:9]
	buffer_store_dword v24, off, s[0:3], 0 offset:1984 ; 4-byte Folded Spill
	s_nop 0
	buffer_store_dword v25, off, s[0:3], 0 offset:1988 ; 4-byte Folded Spill
	buffer_store_dword v26, off, s[0:3], 0 offset:1992 ; 4-byte Folded Spill
	;; [unrolled: 1-line block ×3, first 2 shown]
	s_waitcnt vmcnt(0) lgkmcnt(0)
	s_barrier
	ds_read2_b64 v[1:4], v125 offset1:1
	v_cmp_lt_u32_e32 vcc, 30, v0
	s_waitcnt lgkmcnt(0)
	buffer_store_dword v1, off, s[0:3], 0 offset:1744 ; 4-byte Folded Spill
	s_nop 0
	buffer_store_dword v2, off, s[0:3], 0 offset:1748 ; 4-byte Folded Spill
	buffer_store_dword v3, off, s[0:3], 0 offset:1752 ; 4-byte Folded Spill
	buffer_store_dword v4, off, s[0:3], 0 offset:1756 ; 4-byte Folded Spill
	s_and_saveexec_b64 s[6:7], vcc
	s_cbranch_execz .LBB121_385
; %bb.383:
	buffer_load_dword v1, off, s[0:3], 0 offset:488
	buffer_load_dword v2, off, s[0:3], 0 offset:492
	;; [unrolled: 1-line block ×4, first 2 shown]
	buffer_load_dword v10, off, s[0:3], 0 offset:1744 ; 4-byte Folded Reload
	buffer_load_dword v11, off, s[0:3], 0 offset:1748 ; 4-byte Folded Reload
	;; [unrolled: 1-line block ×4, first 2 shown]
	s_mov_b32 s8, 0
	s_waitcnt vmcnt(2)
	v_mul_f64 v[7:8], v[10:11], v[1:2]
	s_waitcnt vmcnt(0)
	v_mul_f64 v[5:6], v[12:13], v[1:2]
	v_fma_f64 v[1:2], v[10:11], v[3:4], -v[5:6]
	v_fma_f64 v[3:4], v[12:13], v[3:4], v[7:8]
	v_add_u32_e32 v5, 0x1f0, v9
	buffer_store_dword v1, off, s[0:3], 0 offset:480
	buffer_store_dword v2, off, s[0:3], 0 offset:484
	;; [unrolled: 1-line block ×4, first 2 shown]
.LBB121_384:                            ; =>This Inner Loop Header: Depth=1
	v_add_u32_e32 v7, s8, v5
	ds_read2_b64 v[8:11], v7 offset1:1
	v_mov_b32_e32 v6, s8
	s_addk_i32 s8, 0x60
	s_cmpk_lg_i32 s8, 0x1e0
	s_waitcnt lgkmcnt(0)
	v_mul_f64 v[12:13], v[10:11], v[3:4]
	v_fma_f64 v[12:13], v[8:9], v[1:2], -v[12:13]
	v_mul_f64 v[8:9], v[8:9], v[3:4]
	v_fma_f64 v[8:9], v[10:11], v[1:2], v[8:9]
	buffer_load_dword v10, v6, s[0:3], 0 offen offset:496
	buffer_load_dword v11, v6, s[0:3], 0 offen offset:500
	;; [unrolled: 1-line block ×16, first 2 shown]
	s_waitcnt vmcnt(14)
	v_add_f64 v[10:11], v[10:11], -v[12:13]
	s_waitcnt vmcnt(12)
	v_add_f64 v[8:9], v[14:15], -v[8:9]
	buffer_store_dword v10, v6, s[0:3], 0 offen offset:496
	buffer_store_dword v11, v6, s[0:3], 0 offen offset:500
	buffer_store_dword v8, v6, s[0:3], 0 offen offset:504
	buffer_store_dword v9, v6, s[0:3], 0 offen offset:508
	ds_read2_b64 v[8:11], v7 offset0:2 offset1:3
	s_waitcnt lgkmcnt(0)
	v_mul_f64 v[12:13], v[10:11], v[3:4]
	v_fma_f64 v[12:13], v[8:9], v[1:2], -v[12:13]
	v_mul_f64 v[8:9], v[8:9], v[3:4]
	v_fma_f64 v[8:9], v[10:11], v[1:2], v[8:9]
	s_waitcnt vmcnt(14)
	v_add_f64 v[10:11], v[16:17], -v[12:13]
	s_waitcnt vmcnt(12)
	v_add_f64 v[8:9], v[18:19], -v[8:9]
	buffer_store_dword v10, v6, s[0:3], 0 offen offset:512
	buffer_store_dword v11, v6, s[0:3], 0 offen offset:516
	buffer_store_dword v8, v6, s[0:3], 0 offen offset:520
	buffer_store_dword v9, v6, s[0:3], 0 offen offset:524
	ds_read2_b64 v[8:11], v7 offset0:4 offset1:5
	s_waitcnt lgkmcnt(0)
	v_mul_f64 v[12:13], v[10:11], v[3:4]
	v_fma_f64 v[12:13], v[8:9], v[1:2], -v[12:13]
	v_mul_f64 v[8:9], v[8:9], v[3:4]
	v_fma_f64 v[8:9], v[10:11], v[1:2], v[8:9]
	;; [unrolled: 14-line block ×4, first 2 shown]
	buffer_load_dword v10, v6, s[0:3], 0 offen offset:560
	buffer_load_dword v11, v6, s[0:3], 0 offen offset:564
	;; [unrolled: 1-line block ×4, first 2 shown]
	s_waitcnt vmcnt(2)
	v_add_f64 v[10:11], v[10:11], -v[12:13]
	s_waitcnt vmcnt(0)
	v_add_f64 v[8:9], v[14:15], -v[8:9]
	buffer_store_dword v11, v6, s[0:3], 0 offen offset:564
	buffer_store_dword v10, v6, s[0:3], 0 offen offset:560
	;; [unrolled: 1-line block ×4, first 2 shown]
	ds_read2_b64 v[7:10], v7 offset0:10 offset1:11
	s_waitcnt lgkmcnt(0)
	v_mul_f64 v[11:12], v[9:10], v[3:4]
	v_fma_f64 v[11:12], v[7:8], v[1:2], -v[11:12]
	v_mul_f64 v[7:8], v[7:8], v[3:4]
	v_fma_f64 v[7:8], v[9:10], v[1:2], v[7:8]
	buffer_load_dword v9, v6, s[0:3], 0 offen offset:576
	buffer_load_dword v10, v6, s[0:3], 0 offen offset:580
	buffer_load_dword v13, v6, s[0:3], 0 offen offset:584
	buffer_load_dword v14, v6, s[0:3], 0 offen offset:588
	s_waitcnt vmcnt(2)
	v_add_f64 v[9:10], v[9:10], -v[11:12]
	s_waitcnt vmcnt(0)
	v_add_f64 v[7:8], v[13:14], -v[7:8]
	buffer_store_dword v10, v6, s[0:3], 0 offen offset:580
	buffer_store_dword v9, v6, s[0:3], 0 offen offset:576
	;; [unrolled: 1-line block ×4, first 2 shown]
	s_cbranch_scc1 .LBB121_384
.LBB121_385:
	s_or_b64 exec, exec, s[6:7]
	v_cmp_eq_u32_e32 vcc, 31, v0
	s_waitcnt vmcnt(0)
	s_barrier
	s_and_saveexec_b64 s[8:9], vcc
	s_cbranch_execz .LBB121_392
; %bb.386:
	v_mov_b32_e32 v4, s70
	buffer_load_dword v1, v4, s[0:3], 0 offen
	buffer_load_dword v2, v4, s[0:3], 0 offen offset:4
	buffer_load_dword v3, v4, s[0:3], 0 offen offset:8
	s_nop 0
	buffer_load_dword v4, v4, s[0:3], 0 offen offset:12
	v_readlane_b32 s6, v126, 10
	s_waitcnt vmcnt(0)
	ds_write2_b64 v125, v[1:2], v[3:4] offset1:1
	v_mov_b32_e32 v4, s6
	buffer_load_dword v1, v4, s[0:3], 0 offen
	buffer_load_dword v2, v4, s[0:3], 0 offen offset:4
	buffer_load_dword v3, v4, s[0:3], 0 offen offset:8
	s_nop 0
	buffer_load_dword v4, v4, s[0:3], 0 offen offset:12
	v_readlane_b32 s6, v126, 11
	s_waitcnt vmcnt(0)
	ds_write2_b64 v117, v[1:2], v[3:4] offset0:64 offset1:65
	v_mov_b32_e32 v4, s6
	buffer_load_dword v1, v4, s[0:3], 0 offen
	buffer_load_dword v2, v4, s[0:3], 0 offen offset:4
	buffer_load_dword v3, v4, s[0:3], 0 offen offset:8
	s_nop 0
	buffer_load_dword v4, v4, s[0:3], 0 offen offset:12
	v_readlane_b32 s6, v126, 12
	s_waitcnt vmcnt(0)
	ds_write2_b64 v117, v[1:2], v[3:4] offset0:66 offset1:67
	v_mov_b32_e32 v4, s40
	buffer_load_dword v1, v4, s[0:3], 0 offen
	buffer_load_dword v2, v4, s[0:3], 0 offen offset:4
	buffer_load_dword v3, v4, s[0:3], 0 offen offset:8
	s_nop 0
	buffer_load_dword v4, v4, s[0:3], 0 offen offset:12
	s_waitcnt vmcnt(0)
	ds_write2_b64 v117, v[1:2], v[3:4] offset0:68 offset1:69
	v_mov_b32_e32 v4, s6
	buffer_load_dword v1, v4, s[0:3], 0 offen
	buffer_load_dword v2, v4, s[0:3], 0 offen offset:4
	buffer_load_dword v3, v4, s[0:3], 0 offen offset:8
	s_nop 0
	buffer_load_dword v4, v4, s[0:3], 0 offen offset:12
	v_readlane_b32 s6, v126, 13
	s_waitcnt vmcnt(0)
	ds_write2_b64 v117, v[1:2], v[3:4] offset0:70 offset1:71
	v_mov_b32_e32 v4, s38
	buffer_load_dword v1, v4, s[0:3], 0 offen
	buffer_load_dword v2, v4, s[0:3], 0 offen offset:4
	buffer_load_dword v3, v4, s[0:3], 0 offen offset:8
	s_nop 0
	buffer_load_dword v4, v4, s[0:3], 0 offen offset:12
	;; [unrolled: 17-line block ×11, first 2 shown]
	s_waitcnt vmcnt(0)
	ds_write2_b64 v117, v[1:2], v[3:4] offset0:108 offset1:109
	v_mov_b32_e32 v4, s6
	buffer_load_dword v1, v4, s[0:3], 0 offen
	buffer_load_dword v2, v4, s[0:3], 0 offen offset:4
	buffer_load_dword v3, v4, s[0:3], 0 offen offset:8
	s_nop 0
	buffer_load_dword v4, v4, s[0:3], 0 offen offset:12
	s_waitcnt vmcnt(0)
	ds_write2_b64 v117, v[1:2], v[3:4] offset0:110 offset1:111
	v_mov_b32_e32 v4, s16
	buffer_load_dword v1, v4, s[0:3], 0 offen
	buffer_load_dword v2, v4, s[0:3], 0 offen offset:4
	buffer_load_dword v3, v4, s[0:3], 0 offen offset:8
	s_nop 0
	buffer_load_dword v4, v4, s[0:3], 0 offen offset:12
	;; [unrolled: 8-line block ×6, first 2 shown]
	s_waitcnt vmcnt(0)
	ds_write2_b64 v117, v[1:2], v[3:4] offset0:120 offset1:121
	ds_read2_b64 v[1:4], v125 offset1:1
	s_waitcnt lgkmcnt(0)
	v_cmp_neq_f64_e32 vcc, 0, v[1:2]
	v_cmp_neq_f64_e64 s[6:7], 0, v[3:4]
	s_or_b64 s[6:7], vcc, s[6:7]
	s_and_b64 exec, exec, s[6:7]
	s_cbranch_execz .LBB121_392
; %bb.387:
	v_cmp_ngt_f64_e64 s[6:7], |v[1:2]|, |v[3:4]|
                                        ; implicit-def: $vgpr5_vgpr6
	s_and_saveexec_b64 s[10:11], s[6:7]
	s_xor_b64 s[6:7], exec, s[10:11]
                                        ; implicit-def: $vgpr7_vgpr8
	s_cbranch_execz .LBB121_389
; %bb.388:
	v_div_scale_f64 v[5:6], s[10:11], v[3:4], v[3:4], v[1:2]
	v_rcp_f64_e32 v[7:8], v[5:6]
	v_fma_f64 v[9:10], -v[5:6], v[7:8], 1.0
	v_fma_f64 v[7:8], v[7:8], v[9:10], v[7:8]
	v_div_scale_f64 v[9:10], vcc, v[1:2], v[3:4], v[1:2]
	v_fma_f64 v[11:12], -v[5:6], v[7:8], 1.0
	v_fma_f64 v[7:8], v[7:8], v[11:12], v[7:8]
	v_mul_f64 v[11:12], v[9:10], v[7:8]
	v_fma_f64 v[5:6], -v[5:6], v[11:12], v[9:10]
	v_div_fmas_f64 v[5:6], v[5:6], v[7:8], v[11:12]
	v_div_fixup_f64 v[5:6], v[5:6], v[3:4], v[1:2]
	v_fma_f64 v[1:2], v[1:2], v[5:6], v[3:4]
	v_div_scale_f64 v[3:4], s[10:11], v[1:2], v[1:2], 1.0
	v_div_scale_f64 v[11:12], vcc, 1.0, v[1:2], 1.0
	v_rcp_f64_e32 v[7:8], v[3:4]
	v_fma_f64 v[9:10], -v[3:4], v[7:8], 1.0
	v_fma_f64 v[7:8], v[7:8], v[9:10], v[7:8]
	v_fma_f64 v[9:10], -v[3:4], v[7:8], 1.0
	v_fma_f64 v[7:8], v[7:8], v[9:10], v[7:8]
	v_mul_f64 v[9:10], v[11:12], v[7:8]
	v_fma_f64 v[3:4], -v[3:4], v[9:10], v[11:12]
	v_div_fmas_f64 v[3:4], v[3:4], v[7:8], v[9:10]
	v_div_fixup_f64 v[7:8], v[3:4], v[1:2], 1.0
                                        ; implicit-def: $vgpr1_vgpr2
	v_mul_f64 v[5:6], v[5:6], v[7:8]
	v_xor_b32_e32 v8, 0x80000000, v8
.LBB121_389:
	s_andn2_saveexec_b64 s[6:7], s[6:7]
	s_cbranch_execz .LBB121_391
; %bb.390:
	v_div_scale_f64 v[5:6], s[10:11], v[1:2], v[1:2], v[3:4]
	v_rcp_f64_e32 v[7:8], v[5:6]
	v_fma_f64 v[9:10], -v[5:6], v[7:8], 1.0
	v_fma_f64 v[7:8], v[7:8], v[9:10], v[7:8]
	v_div_scale_f64 v[9:10], vcc, v[3:4], v[1:2], v[3:4]
	v_fma_f64 v[11:12], -v[5:6], v[7:8], 1.0
	v_fma_f64 v[7:8], v[7:8], v[11:12], v[7:8]
	v_mul_f64 v[11:12], v[9:10], v[7:8]
	v_fma_f64 v[5:6], -v[5:6], v[11:12], v[9:10]
	v_div_fmas_f64 v[5:6], v[5:6], v[7:8], v[11:12]
	v_div_fixup_f64 v[7:8], v[5:6], v[1:2], v[3:4]
	v_fma_f64 v[1:2], v[3:4], v[7:8], v[1:2]
	v_div_scale_f64 v[3:4], s[10:11], v[1:2], v[1:2], 1.0
	v_div_scale_f64 v[11:12], vcc, 1.0, v[1:2], 1.0
	v_rcp_f64_e32 v[5:6], v[3:4]
	v_fma_f64 v[9:10], -v[3:4], v[5:6], 1.0
	v_fma_f64 v[5:6], v[5:6], v[9:10], v[5:6]
	v_fma_f64 v[9:10], -v[3:4], v[5:6], 1.0
	v_fma_f64 v[5:6], v[5:6], v[9:10], v[5:6]
	v_mul_f64 v[9:10], v[11:12], v[5:6]
	v_fma_f64 v[3:4], -v[3:4], v[9:10], v[11:12]
	v_div_fmas_f64 v[3:4], v[3:4], v[5:6], v[9:10]
	v_div_fixup_f64 v[5:6], v[3:4], v[1:2], 1.0
	v_mul_f64 v[7:8], v[7:8], -v[5:6]
.LBB121_391:
	s_or_b64 exec, exec, s[6:7]
	ds_write2_b64 v125, v[5:6], v[7:8] offset1:1
.LBB121_392:
	s_or_b64 exec, exec, s[8:9]
	s_waitcnt lgkmcnt(0)
	s_barrier
	ds_read2_b64 v[1:4], v125 offset1:1
	v_cmp_lt_u32_e32 vcc, 31, v0
	s_waitcnt lgkmcnt(0)
	buffer_store_dword v1, off, s[0:3], 0 offset:1760 ; 4-byte Folded Spill
	s_nop 0
	buffer_store_dword v2, off, s[0:3], 0 offset:1764 ; 4-byte Folded Spill
	buffer_store_dword v3, off, s[0:3], 0 offset:1768 ; 4-byte Folded Spill
	;; [unrolled: 1-line block ×3, first 2 shown]
	s_and_saveexec_b64 s[6:7], vcc
	s_cbranch_execz .LBB121_394
; %bb.393:
	buffer_load_dword v1, off, s[0:3], 0 offset:496
	buffer_load_dword v2, off, s[0:3], 0 offset:500
	;; [unrolled: 1-line block ×16, first 2 shown]
	buffer_load_dword v21, off, s[0:3], 0 offset:1760 ; 4-byte Folded Reload
	buffer_load_dword v22, off, s[0:3], 0 offset:1764 ; 4-byte Folded Reload
	;; [unrolled: 1-line block ×4, first 2 shown]
	s_waitcnt vmcnt(0)
	v_mul_f64 v[5:6], v[23:24], v[3:4]
	v_mul_f64 v[3:4], v[21:22], v[3:4]
	v_fma_f64 v[5:6], v[21:22], v[1:2], -v[5:6]
	v_fma_f64 v[7:8], v[23:24], v[1:2], v[3:4]
	buffer_store_dword v5, off, s[0:3], 0 offset:496
	buffer_store_dword v6, off, s[0:3], 0 offset:500
	buffer_store_dword v7, off, s[0:3], 0 offset:504
	buffer_store_dword v8, off, s[0:3], 0 offset:508
	ds_read2_b64 v[1:4], v117 offset0:64 offset1:65
	s_waitcnt lgkmcnt(0)
	v_mul_f64 v[21:22], v[3:4], v[7:8]
	v_fma_f64 v[21:22], v[1:2], v[5:6], -v[21:22]
	v_mul_f64 v[1:2], v[1:2], v[7:8]
	v_fma_f64 v[1:2], v[3:4], v[5:6], v[1:2]
	v_add_f64 v[3:4], v[9:10], -v[21:22]
	v_add_f64 v[1:2], v[11:12], -v[1:2]
	buffer_store_dword v3, off, s[0:3], 0 offset:512
	buffer_store_dword v4, off, s[0:3], 0 offset:516
	buffer_store_dword v1, off, s[0:3], 0 offset:520
	buffer_store_dword v2, off, s[0:3], 0 offset:524
	ds_read2_b64 v[1:4], v117 offset0:66 offset1:67
	s_waitcnt lgkmcnt(0)
	v_mul_f64 v[9:10], v[3:4], v[7:8]
	v_fma_f64 v[9:10], v[1:2], v[5:6], -v[9:10]
	v_mul_f64 v[1:2], v[1:2], v[7:8]
	v_fma_f64 v[1:2], v[3:4], v[5:6], v[1:2]
	v_add_f64 v[3:4], v[13:14], -v[9:10]
	v_add_f64 v[1:2], v[15:16], -v[1:2]
	;; [unrolled: 12-line block ×3, first 2 shown]
	buffer_store_dword v4, off, s[0:3], 0 offset:548
	buffer_store_dword v3, off, s[0:3], 0 offset:544
	buffer_store_dword v1, off, s[0:3], 0 offset:552
	buffer_store_dword v2, off, s[0:3], 0 offset:556
	ds_read2_b64 v[1:4], v117 offset0:70 offset1:71
	s_waitcnt lgkmcnt(0)
	v_mul_f64 v[9:10], v[3:4], v[7:8]
	v_fma_f64 v[9:10], v[1:2], v[5:6], -v[9:10]
	v_mul_f64 v[1:2], v[1:2], v[7:8]
	v_fma_f64 v[1:2], v[3:4], v[5:6], v[1:2]
	buffer_load_dword v3, off, s[0:3], 0 offset:560
	buffer_load_dword v4, off, s[0:3], 0 offset:564
	buffer_load_dword v11, off, s[0:3], 0 offset:568
	buffer_load_dword v12, off, s[0:3], 0 offset:572
	s_waitcnt vmcnt(2)
	v_add_f64 v[3:4], v[3:4], -v[9:10]
	s_waitcnt vmcnt(0)
	v_add_f64 v[1:2], v[11:12], -v[1:2]
	buffer_store_dword v4, off, s[0:3], 0 offset:564
	buffer_store_dword v3, off, s[0:3], 0 offset:560
	buffer_store_dword v2, off, s[0:3], 0 offset:572
	buffer_store_dword v1, off, s[0:3], 0 offset:568
	ds_read2_b64 v[1:4], v117 offset0:72 offset1:73
	s_waitcnt lgkmcnt(0)
	v_mul_f64 v[9:10], v[3:4], v[7:8]
	v_fma_f64 v[9:10], v[1:2], v[5:6], -v[9:10]
	v_mul_f64 v[1:2], v[1:2], v[7:8]
	v_fma_f64 v[1:2], v[3:4], v[5:6], v[1:2]
	buffer_load_dword v3, off, s[0:3], 0 offset:576
	buffer_load_dword v4, off, s[0:3], 0 offset:580
	buffer_load_dword v11, off, s[0:3], 0 offset:584
	buffer_load_dword v12, off, s[0:3], 0 offset:588
	s_waitcnt vmcnt(2)
	v_add_f64 v[3:4], v[3:4], -v[9:10]
	s_waitcnt vmcnt(0)
	v_add_f64 v[1:2], v[11:12], -v[1:2]
	;; [unrolled: 18-line block ×3, first 2 shown]
	buffer_store_dword v4, off, s[0:3], 0 offset:596
	buffer_store_dword v3, off, s[0:3], 0 offset:592
	;; [unrolled: 1-line block ×4, first 2 shown]
	ds_read2_b64 v[1:4], v117 offset0:76 offset1:77
	buffer_load_dword v5, off, s[0:3], 0 offset:496
	buffer_load_dword v6, off, s[0:3], 0 offset:500
	;; [unrolled: 1-line block ×4, first 2 shown]
	s_waitcnt vmcnt(0) lgkmcnt(0)
	v_mul_f64 v[9:10], v[3:4], v[7:8]
	v_fma_f64 v[9:10], v[1:2], v[5:6], -v[9:10]
	v_mul_f64 v[1:2], v[1:2], v[7:8]
	v_fma_f64 v[1:2], v[3:4], v[5:6], v[1:2]
	buffer_load_dword v4, off, s[0:3], 0 offset:612
	buffer_load_dword v3, off, s[0:3], 0 offset:608
	s_waitcnt vmcnt(0)
	v_add_f64 v[3:4], v[3:4], -v[9:10]
	buffer_load_dword v10, off, s[0:3], 0 offset:620
	buffer_load_dword v9, off, s[0:3], 0 offset:616
	s_waitcnt vmcnt(0)
	v_add_f64 v[1:2], v[9:10], -v[1:2]
	buffer_store_dword v4, off, s[0:3], 0 offset:612
	buffer_store_dword v3, off, s[0:3], 0 offset:608
	buffer_store_dword v2, off, s[0:3], 0 offset:620
	buffer_store_dword v1, off, s[0:3], 0 offset:616
	ds_read2_b64 v[1:4], v117 offset0:78 offset1:79
	s_waitcnt lgkmcnt(0)
	v_mul_f64 v[9:10], v[3:4], v[7:8]
	v_fma_f64 v[9:10], v[1:2], v[5:6], -v[9:10]
	v_mul_f64 v[1:2], v[1:2], v[7:8]
	v_fma_f64 v[1:2], v[3:4], v[5:6], v[1:2]
	buffer_load_dword v3, off, s[0:3], 0 offset:624
	buffer_load_dword v4, off, s[0:3], 0 offset:628
	buffer_load_dword v11, off, s[0:3], 0 offset:632
	buffer_load_dword v12, off, s[0:3], 0 offset:636
	s_waitcnt vmcnt(2)
	v_add_f64 v[3:4], v[3:4], -v[9:10]
	s_waitcnt vmcnt(0)
	v_add_f64 v[1:2], v[11:12], -v[1:2]
	buffer_store_dword v4, off, s[0:3], 0 offset:628
	buffer_store_dword v3, off, s[0:3], 0 offset:624
	buffer_store_dword v2, off, s[0:3], 0 offset:636
	buffer_store_dword v1, off, s[0:3], 0 offset:632
	ds_read2_b64 v[1:4], v117 offset0:80 offset1:81
	s_waitcnt lgkmcnt(0)
	v_mul_f64 v[9:10], v[3:4], v[7:8]
	v_fma_f64 v[9:10], v[1:2], v[5:6], -v[9:10]
	v_mul_f64 v[1:2], v[1:2], v[7:8]
	v_fma_f64 v[1:2], v[3:4], v[5:6], v[1:2]
	buffer_load_dword v3, off, s[0:3], 0 offset:640
	buffer_load_dword v4, off, s[0:3], 0 offset:644
	buffer_load_dword v11, off, s[0:3], 0 offset:648
	buffer_load_dword v12, off, s[0:3], 0 offset:652
	s_waitcnt vmcnt(2)
	v_add_f64 v[3:4], v[3:4], -v[9:10]
	;; [unrolled: 18-line block ×5, first 2 shown]
	s_waitcnt vmcnt(0)
	v_add_f64 v[1:2], v[5:6], -v[1:2]
	buffer_store_dword v4, off, s[0:3], 0 offset:692
	buffer_store_dword v3, off, s[0:3], 0 offset:688
	buffer_store_dword v2, off, s[0:3], 0 offset:700
	buffer_store_dword v1, off, s[0:3], 0 offset:696
	ds_read2_b64 v[1:4], v117 offset0:88 offset1:89
	buffer_load_dword v5, off, s[0:3], 0 offset:496
	buffer_load_dword v6, off, s[0:3], 0 offset:500
	;; [unrolled: 1-line block ×4, first 2 shown]
	s_waitcnt vmcnt(0) lgkmcnt(0)
	v_mul_f64 v[9:10], v[3:4], v[7:8]
	v_fma_f64 v[9:10], v[1:2], v[5:6], -v[9:10]
	v_mul_f64 v[1:2], v[1:2], v[7:8]
	v_fma_f64 v[1:2], v[3:4], v[5:6], v[1:2]
	buffer_load_dword v4, off, s[0:3], 0 offset:708
	buffer_load_dword v3, off, s[0:3], 0 offset:704
	s_waitcnt vmcnt(0)
	v_add_f64 v[3:4], v[3:4], -v[9:10]
	buffer_load_dword v10, off, s[0:3], 0 offset:716
	buffer_load_dword v9, off, s[0:3], 0 offset:712
	s_waitcnt vmcnt(0)
	v_add_f64 v[1:2], v[9:10], -v[1:2]
	buffer_store_dword v4, off, s[0:3], 0 offset:708
	buffer_store_dword v3, off, s[0:3], 0 offset:704
	buffer_store_dword v2, off, s[0:3], 0 offset:716
	buffer_store_dword v1, off, s[0:3], 0 offset:712
	ds_read2_b64 v[1:4], v117 offset0:90 offset1:91
	s_waitcnt lgkmcnt(0)
	v_mul_f64 v[9:10], v[3:4], v[7:8]
	v_fma_f64 v[9:10], v[1:2], v[5:6], -v[9:10]
	v_mul_f64 v[1:2], v[1:2], v[7:8]
	v_fma_f64 v[1:2], v[3:4], v[5:6], v[1:2]
	buffer_load_dword v3, off, s[0:3], 0 offset:720
	buffer_load_dword v4, off, s[0:3], 0 offset:724
	buffer_load_dword v11, off, s[0:3], 0 offset:728
	buffer_load_dword v12, off, s[0:3], 0 offset:732
	s_waitcnt vmcnt(2)
	v_add_f64 v[3:4], v[3:4], -v[9:10]
	s_waitcnt vmcnt(0)
	v_add_f64 v[1:2], v[11:12], -v[1:2]
	buffer_store_dword v4, off, s[0:3], 0 offset:724
	buffer_store_dword v3, off, s[0:3], 0 offset:720
	buffer_store_dword v2, off, s[0:3], 0 offset:732
	buffer_store_dword v1, off, s[0:3], 0 offset:728
	ds_read2_b64 v[1:4], v117 offset0:92 offset1:93
	s_waitcnt lgkmcnt(0)
	v_mul_f64 v[9:10], v[3:4], v[7:8]
	v_fma_f64 v[9:10], v[1:2], v[5:6], -v[9:10]
	v_mul_f64 v[1:2], v[1:2], v[7:8]
	v_fma_f64 v[1:2], v[3:4], v[5:6], v[1:2]
	buffer_load_dword v3, off, s[0:3], 0 offset:736
	buffer_load_dword v4, off, s[0:3], 0 offset:740
	buffer_load_dword v11, off, s[0:3], 0 offset:744
	buffer_load_dword v12, off, s[0:3], 0 offset:748
	s_waitcnt vmcnt(2)
	v_add_f64 v[3:4], v[3:4], -v[9:10]
	;; [unrolled: 18-line block ×5, first 2 shown]
	s_waitcnt vmcnt(0)
	v_add_f64 v[1:2], v[5:6], -v[1:2]
	buffer_store_dword v4, off, s[0:3], 0 offset:788
	buffer_store_dword v3, off, s[0:3], 0 offset:784
	;; [unrolled: 1-line block ×4, first 2 shown]
	ds_read2_b64 v[1:4], v117 offset0:100 offset1:101
	buffer_load_dword v5, off, s[0:3], 0 offset:496
	buffer_load_dword v6, off, s[0:3], 0 offset:500
	buffer_load_dword v7, off, s[0:3], 0 offset:504
	buffer_load_dword v8, off, s[0:3], 0 offset:508
	s_waitcnt vmcnt(0) lgkmcnt(0)
	v_mul_f64 v[9:10], v[3:4], v[7:8]
	v_fma_f64 v[9:10], v[1:2], v[5:6], -v[9:10]
	v_mul_f64 v[1:2], v[1:2], v[7:8]
	v_fma_f64 v[1:2], v[3:4], v[5:6], v[1:2]
	buffer_load_dword v4, off, s[0:3], 0 offset:804
	buffer_load_dword v3, off, s[0:3], 0 offset:800
	s_waitcnt vmcnt(0)
	v_add_f64 v[3:4], v[3:4], -v[9:10]
	buffer_load_dword v10, off, s[0:3], 0 offset:812
	buffer_load_dword v9, off, s[0:3], 0 offset:808
	s_waitcnt vmcnt(0)
	v_add_f64 v[1:2], v[9:10], -v[1:2]
	buffer_store_dword v4, off, s[0:3], 0 offset:804
	buffer_store_dword v3, off, s[0:3], 0 offset:800
	buffer_store_dword v2, off, s[0:3], 0 offset:812
	buffer_store_dword v1, off, s[0:3], 0 offset:808
	ds_read2_b64 v[1:4], v117 offset0:102 offset1:103
	s_waitcnt lgkmcnt(0)
	v_mul_f64 v[9:10], v[3:4], v[7:8]
	v_fma_f64 v[9:10], v[1:2], v[5:6], -v[9:10]
	v_mul_f64 v[1:2], v[1:2], v[7:8]
	v_fma_f64 v[1:2], v[3:4], v[5:6], v[1:2]
	buffer_load_dword v3, off, s[0:3], 0 offset:816
	buffer_load_dword v4, off, s[0:3], 0 offset:820
	buffer_load_dword v11, off, s[0:3], 0 offset:824
	buffer_load_dword v12, off, s[0:3], 0 offset:828
	s_waitcnt vmcnt(2)
	v_add_f64 v[3:4], v[3:4], -v[9:10]
	s_waitcnt vmcnt(0)
	v_add_f64 v[1:2], v[11:12], -v[1:2]
	buffer_store_dword v4, off, s[0:3], 0 offset:820
	buffer_store_dword v3, off, s[0:3], 0 offset:816
	buffer_store_dword v2, off, s[0:3], 0 offset:828
	buffer_store_dword v1, off, s[0:3], 0 offset:824
	ds_read2_b64 v[1:4], v117 offset0:104 offset1:105
	s_waitcnt lgkmcnt(0)
	v_mul_f64 v[9:10], v[3:4], v[7:8]
	v_fma_f64 v[9:10], v[1:2], v[5:6], -v[9:10]
	v_mul_f64 v[1:2], v[1:2], v[7:8]
	v_fma_f64 v[1:2], v[3:4], v[5:6], v[1:2]
	buffer_load_dword v3, off, s[0:3], 0 offset:832
	buffer_load_dword v4, off, s[0:3], 0 offset:836
	buffer_load_dword v11, off, s[0:3], 0 offset:840
	buffer_load_dword v12, off, s[0:3], 0 offset:844
	s_waitcnt vmcnt(2)
	v_add_f64 v[3:4], v[3:4], -v[9:10]
	;; [unrolled: 18-line block ×5, first 2 shown]
	s_waitcnt vmcnt(0)
	v_add_f64 v[1:2], v[5:6], -v[1:2]
	buffer_store_dword v4, off, s[0:3], 0 offset:884
	buffer_store_dword v3, off, s[0:3], 0 offset:880
	;; [unrolled: 1-line block ×4, first 2 shown]
	ds_read2_b64 v[5:8], v117 offset0:112 offset1:113
	buffer_load_dword v9, off, s[0:3], 0 offset:496
	buffer_load_dword v10, off, s[0:3], 0 offset:500
	;; [unrolled: 1-line block ×4, first 2 shown]
	s_waitcnt vmcnt(0) lgkmcnt(0)
	v_mul_f64 v[1:2], v[7:8], v[11:12]
	v_fma_f64 v[13:14], v[5:6], v[9:10], -v[1:2]
	v_mul_f64 v[1:2], v[5:6], v[11:12]
	v_fma_f64 v[5:6], v[7:8], v[9:10], v[1:2]
	buffer_load_dword v2, off, s[0:3], 0 offset:900
	buffer_load_dword v1, off, s[0:3], 0 offset:896
	buffer_load_dword v4, off, s[0:3], 0 offset:908
	buffer_load_dword v3, off, s[0:3], 0 offset:904
	s_waitcnt vmcnt(2)
	v_add_f64 v[1:2], v[1:2], -v[13:14]
	s_waitcnt vmcnt(0)
	v_add_f64 v[3:4], v[3:4], -v[5:6]
	buffer_store_dword v2, off, s[0:3], 0 offset:900
	buffer_store_dword v1, off, s[0:3], 0 offset:896
	buffer_store_dword v4, off, s[0:3], 0 offset:908
	buffer_store_dword v3, off, s[0:3], 0 offset:904
	ds_read2_b64 v[1:4], v117 offset0:114 offset1:115
	s_waitcnt lgkmcnt(0)
	v_mul_f64 v[5:6], v[3:4], v[11:12]
	v_fma_f64 v[5:6], v[1:2], v[9:10], -v[5:6]
	v_mul_f64 v[1:2], v[1:2], v[11:12]
	v_fma_f64 v[1:2], v[3:4], v[9:10], v[1:2]
	buffer_load_dword v3, off, s[0:3], 0 offset:912
	buffer_load_dword v4, off, s[0:3], 0 offset:916
	buffer_load_dword v7, off, s[0:3], 0 offset:920
	buffer_load_dword v8, off, s[0:3], 0 offset:924
	s_waitcnt vmcnt(2)
	v_add_f64 v[3:4], v[3:4], -v[5:6]
	s_waitcnt vmcnt(0)
	v_add_f64 v[1:2], v[7:8], -v[1:2]
	buffer_store_dword v4, off, s[0:3], 0 offset:916
	buffer_store_dword v3, off, s[0:3], 0 offset:912
	buffer_store_dword v2, off, s[0:3], 0 offset:924
	buffer_store_dword v1, off, s[0:3], 0 offset:920
	ds_read2_b64 v[1:4], v117 offset0:116 offset1:117
	s_waitcnt lgkmcnt(0)
	;; [unrolled: 18-line block ×4, first 2 shown]
	v_mul_f64 v[5:6], v[3:4], v[11:12]
	v_fma_f64 v[7:8], v[1:2], v[9:10], -v[5:6]
	v_mul_f64 v[1:2], v[1:2], v[11:12]
	v_fma_f64 v[5:6], v[3:4], v[9:10], v[1:2]
	buffer_load_dword v1, off, s[0:3], 0 offset:960
	buffer_load_dword v2, off, s[0:3], 0 offset:964
	;; [unrolled: 1-line block ×4, first 2 shown]
	s_waitcnt vmcnt(2)
	v_add_f64 v[1:2], v[1:2], -v[7:8]
	s_waitcnt vmcnt(0)
	v_add_f64 v[3:4], v[3:4], -v[5:6]
	buffer_store_dword v2, off, s[0:3], 0 offset:964
	buffer_store_dword v1, off, s[0:3], 0 offset:960
	buffer_store_dword v4, off, s[0:3], 0 offset:972
	buffer_store_dword v3, off, s[0:3], 0 offset:968
.LBB121_394:
	s_or_b64 exec, exec, s[6:7]
	v_cmp_eq_u32_e32 vcc, 32, v0
	s_waitcnt vmcnt(0)
	s_barrier
	s_and_saveexec_b64 s[8:9], vcc
	s_cbranch_execz .LBB121_401
; %bb.395:
	v_readlane_b32 s6, v126, 10
	v_mov_b32_e32 v4, s6
	buffer_load_dword v1, v4, s[0:3], 0 offen
	buffer_load_dword v2, v4, s[0:3], 0 offen offset:4
	buffer_load_dword v3, v4, s[0:3], 0 offen offset:8
	s_nop 0
	buffer_load_dword v4, v4, s[0:3], 0 offen offset:12
	v_readlane_b32 s6, v126, 11
	s_waitcnt vmcnt(0)
	ds_write2_b64 v125, v[1:2], v[3:4] offset1:1
	v_mov_b32_e32 v4, s6
	buffer_load_dword v1, v4, s[0:3], 0 offen
	buffer_load_dword v2, v4, s[0:3], 0 offen offset:4
	buffer_load_dword v3, v4, s[0:3], 0 offen offset:8
	s_nop 0
	buffer_load_dword v4, v4, s[0:3], 0 offen offset:12
	v_readlane_b32 s6, v126, 12
	s_waitcnt vmcnt(0)
	ds_write2_b64 v117, v[1:2], v[3:4] offset0:66 offset1:67
	v_mov_b32_e32 v4, s40
	buffer_load_dword v1, v4, s[0:3], 0 offen
	buffer_load_dword v2, v4, s[0:3], 0 offen offset:4
	buffer_load_dword v3, v4, s[0:3], 0 offen offset:8
	s_nop 0
	buffer_load_dword v4, v4, s[0:3], 0 offen offset:12
	s_waitcnt vmcnt(0)
	ds_write2_b64 v117, v[1:2], v[3:4] offset0:68 offset1:69
	v_mov_b32_e32 v4, s6
	buffer_load_dword v1, v4, s[0:3], 0 offen
	buffer_load_dword v2, v4, s[0:3], 0 offen offset:4
	buffer_load_dword v3, v4, s[0:3], 0 offen offset:8
	s_nop 0
	buffer_load_dword v4, v4, s[0:3], 0 offen offset:12
	v_readlane_b32 s6, v126, 13
	s_waitcnt vmcnt(0)
	ds_write2_b64 v117, v[1:2], v[3:4] offset0:70 offset1:71
	v_mov_b32_e32 v4, s38
	buffer_load_dword v1, v4, s[0:3], 0 offen
	buffer_load_dword v2, v4, s[0:3], 0 offen offset:4
	buffer_load_dword v3, v4, s[0:3], 0 offen offset:8
	s_nop 0
	buffer_load_dword v4, v4, s[0:3], 0 offen offset:12
	s_waitcnt vmcnt(0)
	ds_write2_b64 v117, v[1:2], v[3:4] offset0:72 offset1:73
	;; [unrolled: 17-line block ×11, first 2 shown]
	v_mov_b32_e32 v4, s6
	buffer_load_dword v1, v4, s[0:3], 0 offen
	buffer_load_dword v2, v4, s[0:3], 0 offen offset:4
	buffer_load_dword v3, v4, s[0:3], 0 offen offset:8
	s_nop 0
	buffer_load_dword v4, v4, s[0:3], 0 offen offset:12
	s_waitcnt vmcnt(0)
	ds_write2_b64 v117, v[1:2], v[3:4] offset0:110 offset1:111
	v_mov_b32_e32 v4, s16
	buffer_load_dword v1, v4, s[0:3], 0 offen
	buffer_load_dword v2, v4, s[0:3], 0 offen offset:4
	buffer_load_dword v3, v4, s[0:3], 0 offen offset:8
	s_nop 0
	buffer_load_dword v4, v4, s[0:3], 0 offen offset:12
	s_waitcnt vmcnt(0)
	ds_write2_b64 v117, v[1:2], v[3:4] offset0:112 offset1:113
	;; [unrolled: 8-line block ×6, first 2 shown]
	ds_read2_b64 v[5:8], v125 offset1:1
	s_waitcnt lgkmcnt(0)
	v_cmp_neq_f64_e32 vcc, 0, v[5:6]
	v_cmp_neq_f64_e64 s[6:7], 0, v[7:8]
	s_or_b64 s[6:7], vcc, s[6:7]
	s_and_b64 exec, exec, s[6:7]
	s_cbranch_execz .LBB121_401
; %bb.396:
	v_cmp_ngt_f64_e64 s[6:7], |v[5:6]|, |v[7:8]|
                                        ; implicit-def: $vgpr1_vgpr2
	s_and_saveexec_b64 s[10:11], s[6:7]
	s_xor_b64 s[6:7], exec, s[10:11]
                                        ; implicit-def: $vgpr3_vgpr4
	s_cbranch_execz .LBB121_398
; %bb.397:
	v_div_scale_f64 v[1:2], s[10:11], v[7:8], v[7:8], v[5:6]
	v_rcp_f64_e32 v[3:4], v[1:2]
	v_fma_f64 v[9:10], -v[1:2], v[3:4], 1.0
	v_fma_f64 v[3:4], v[3:4], v[9:10], v[3:4]
	v_div_scale_f64 v[9:10], vcc, v[5:6], v[7:8], v[5:6]
	v_fma_f64 v[11:12], -v[1:2], v[3:4], 1.0
	v_fma_f64 v[3:4], v[3:4], v[11:12], v[3:4]
	v_mul_f64 v[11:12], v[9:10], v[3:4]
	v_fma_f64 v[1:2], -v[1:2], v[11:12], v[9:10]
	v_div_fmas_f64 v[1:2], v[1:2], v[3:4], v[11:12]
	v_div_fixup_f64 v[1:2], v[1:2], v[7:8], v[5:6]
	v_fma_f64 v[3:4], v[5:6], v[1:2], v[7:8]
	v_div_scale_f64 v[5:6], s[10:11], v[3:4], v[3:4], 1.0
	v_div_scale_f64 v[11:12], vcc, 1.0, v[3:4], 1.0
	v_rcp_f64_e32 v[7:8], v[5:6]
	v_fma_f64 v[9:10], -v[5:6], v[7:8], 1.0
	v_fma_f64 v[7:8], v[7:8], v[9:10], v[7:8]
	v_fma_f64 v[9:10], -v[5:6], v[7:8], 1.0
	v_fma_f64 v[7:8], v[7:8], v[9:10], v[7:8]
	v_mul_f64 v[9:10], v[11:12], v[7:8]
	v_fma_f64 v[5:6], -v[5:6], v[9:10], v[11:12]
	v_div_fmas_f64 v[5:6], v[5:6], v[7:8], v[9:10]
	v_div_fixup_f64 v[3:4], v[5:6], v[3:4], 1.0
                                        ; implicit-def: $vgpr5_vgpr6
	v_mul_f64 v[1:2], v[1:2], v[3:4]
	v_xor_b32_e32 v4, 0x80000000, v4
.LBB121_398:
	s_andn2_saveexec_b64 s[6:7], s[6:7]
	s_cbranch_execz .LBB121_400
; %bb.399:
	v_div_scale_f64 v[1:2], s[10:11], v[5:6], v[5:6], v[7:8]
	v_rcp_f64_e32 v[3:4], v[1:2]
	v_fma_f64 v[9:10], -v[1:2], v[3:4], 1.0
	v_fma_f64 v[3:4], v[3:4], v[9:10], v[3:4]
	v_div_scale_f64 v[9:10], vcc, v[7:8], v[5:6], v[7:8]
	v_fma_f64 v[11:12], -v[1:2], v[3:4], 1.0
	v_fma_f64 v[3:4], v[3:4], v[11:12], v[3:4]
	v_mul_f64 v[11:12], v[9:10], v[3:4]
	v_fma_f64 v[1:2], -v[1:2], v[11:12], v[9:10]
	v_div_fmas_f64 v[1:2], v[1:2], v[3:4], v[11:12]
	v_div_fixup_f64 v[3:4], v[1:2], v[5:6], v[7:8]
	v_fma_f64 v[1:2], v[7:8], v[3:4], v[5:6]
	v_div_scale_f64 v[5:6], s[10:11], v[1:2], v[1:2], 1.0
	v_div_scale_f64 v[11:12], vcc, 1.0, v[1:2], 1.0
	v_rcp_f64_e32 v[7:8], v[5:6]
	v_fma_f64 v[9:10], -v[5:6], v[7:8], 1.0
	v_fma_f64 v[7:8], v[7:8], v[9:10], v[7:8]
	v_fma_f64 v[9:10], -v[5:6], v[7:8], 1.0
	v_fma_f64 v[7:8], v[7:8], v[9:10], v[7:8]
	v_mul_f64 v[9:10], v[11:12], v[7:8]
	v_fma_f64 v[5:6], -v[5:6], v[9:10], v[11:12]
	v_div_fmas_f64 v[5:6], v[5:6], v[7:8], v[9:10]
	v_div_fixup_f64 v[1:2], v[5:6], v[1:2], 1.0
	v_mul_f64 v[3:4], v[3:4], -v[1:2]
.LBB121_400:
	s_or_b64 exec, exec, s[6:7]
	ds_write2_b64 v125, v[1:2], v[3:4] offset1:1
.LBB121_401:
	s_or_b64 exec, exec, s[8:9]
	s_waitcnt lgkmcnt(0)
	s_barrier
	ds_read2_b64 v[1:4], v125 offset1:1
	v_cmp_lt_u32_e32 vcc, 32, v0
	s_waitcnt lgkmcnt(0)
	buffer_store_dword v1, off, s[0:3], 0 offset:1776 ; 4-byte Folded Spill
	s_nop 0
	buffer_store_dword v2, off, s[0:3], 0 offset:1780 ; 4-byte Folded Spill
	buffer_store_dword v3, off, s[0:3], 0 offset:1784 ; 4-byte Folded Spill
	;; [unrolled: 1-line block ×3, first 2 shown]
	s_and_saveexec_b64 s[6:7], vcc
	s_cbranch_execz .LBB121_403
; %bb.402:
	buffer_load_dword v1, off, s[0:3], 0 offset:512
	buffer_load_dword v2, off, s[0:3], 0 offset:516
	;; [unrolled: 1-line block ×16, first 2 shown]
	buffer_load_dword v5, off, s[0:3], 0 offset:1776 ; 4-byte Folded Reload
	buffer_load_dword v6, off, s[0:3], 0 offset:1780 ; 4-byte Folded Reload
	;; [unrolled: 1-line block ×4, first 2 shown]
	s_waitcnt vmcnt(0)
	v_mul_f64 v[9:10], v[7:8], v[3:4]
	v_mul_f64 v[3:4], v[5:6], v[3:4]
	v_fma_f64 v[9:10], v[5:6], v[1:2], -v[9:10]
	v_fma_f64 v[11:12], v[7:8], v[1:2], v[3:4]
	buffer_store_dword v9, off, s[0:3], 0 offset:512
	buffer_store_dword v10, off, s[0:3], 0 offset:516
	buffer_store_dword v11, off, s[0:3], 0 offset:520
	buffer_store_dword v12, off, s[0:3], 0 offset:524
	ds_read2_b64 v[1:4], v117 offset0:66 offset1:67
	s_waitcnt lgkmcnt(0)
	v_mul_f64 v[25:26], v[3:4], v[11:12]
	v_fma_f64 v[25:26], v[1:2], v[9:10], -v[25:26]
	v_mul_f64 v[1:2], v[1:2], v[11:12]
	v_fma_f64 v[1:2], v[3:4], v[9:10], v[1:2]
	v_add_f64 v[3:4], v[13:14], -v[25:26]
	v_add_f64 v[1:2], v[15:16], -v[1:2]
	buffer_store_dword v3, off, s[0:3], 0 offset:528
	buffer_store_dword v4, off, s[0:3], 0 offset:532
	buffer_store_dword v1, off, s[0:3], 0 offset:536
	buffer_store_dword v2, off, s[0:3], 0 offset:540
	ds_read2_b64 v[1:4], v117 offset0:68 offset1:69
	s_waitcnt lgkmcnt(0)
	v_mul_f64 v[13:14], v[3:4], v[11:12]
	v_fma_f64 v[13:14], v[1:2], v[9:10], -v[13:14]
	v_mul_f64 v[1:2], v[1:2], v[11:12]
	v_fma_f64 v[1:2], v[3:4], v[9:10], v[1:2]
	v_add_f64 v[3:4], v[17:18], -v[13:14]
	v_add_f64 v[1:2], v[19:20], -v[1:2]
	;; [unrolled: 12-line block ×3, first 2 shown]
	buffer_store_dword v4, off, s[0:3], 0 offset:564
	buffer_store_dword v3, off, s[0:3], 0 offset:560
	buffer_store_dword v1, off, s[0:3], 0 offset:568
	buffer_store_dword v2, off, s[0:3], 0 offset:572
	ds_read2_b64 v[1:4], v117 offset0:72 offset1:73
	s_waitcnt lgkmcnt(0)
	v_mul_f64 v[13:14], v[3:4], v[11:12]
	v_fma_f64 v[13:14], v[1:2], v[9:10], -v[13:14]
	v_mul_f64 v[1:2], v[1:2], v[11:12]
	v_fma_f64 v[1:2], v[3:4], v[9:10], v[1:2]
	buffer_load_dword v3, off, s[0:3], 0 offset:576
	buffer_load_dword v4, off, s[0:3], 0 offset:580
	buffer_load_dword v15, off, s[0:3], 0 offset:584
	buffer_load_dword v16, off, s[0:3], 0 offset:588
	s_waitcnt vmcnt(2)
	v_add_f64 v[3:4], v[3:4], -v[13:14]
	s_waitcnt vmcnt(0)
	v_add_f64 v[1:2], v[15:16], -v[1:2]
	buffer_store_dword v4, off, s[0:3], 0 offset:580
	buffer_store_dword v3, off, s[0:3], 0 offset:576
	buffer_store_dword v2, off, s[0:3], 0 offset:588
	buffer_store_dword v1, off, s[0:3], 0 offset:584
	ds_read2_b64 v[1:4], v117 offset0:74 offset1:75
	s_waitcnt lgkmcnt(0)
	v_mul_f64 v[13:14], v[3:4], v[11:12]
	v_fma_f64 v[13:14], v[1:2], v[9:10], -v[13:14]
	v_mul_f64 v[1:2], v[1:2], v[11:12]
	v_fma_f64 v[1:2], v[3:4], v[9:10], v[1:2]
	buffer_load_dword v3, off, s[0:3], 0 offset:592
	buffer_load_dword v4, off, s[0:3], 0 offset:596
	buffer_load_dword v15, off, s[0:3], 0 offset:600
	buffer_load_dword v16, off, s[0:3], 0 offset:604
	s_waitcnt vmcnt(2)
	v_add_f64 v[3:4], v[3:4], -v[13:14]
	s_waitcnt vmcnt(0)
	v_add_f64 v[1:2], v[15:16], -v[1:2]
	;; [unrolled: 18-line block ×3, first 2 shown]
	buffer_store_dword v4, off, s[0:3], 0 offset:612
	buffer_store_dword v3, off, s[0:3], 0 offset:608
	;; [unrolled: 1-line block ×4, first 2 shown]
	ds_read2_b64 v[1:4], v117 offset0:78 offset1:79
	buffer_load_dword v9, off, s[0:3], 0 offset:512
	buffer_load_dword v10, off, s[0:3], 0 offset:516
	;; [unrolled: 1-line block ×4, first 2 shown]
	s_waitcnt vmcnt(0) lgkmcnt(0)
	v_mul_f64 v[13:14], v[3:4], v[11:12]
	v_fma_f64 v[13:14], v[1:2], v[9:10], -v[13:14]
	v_mul_f64 v[1:2], v[1:2], v[11:12]
	v_fma_f64 v[1:2], v[3:4], v[9:10], v[1:2]
	buffer_load_dword v4, off, s[0:3], 0 offset:628
	buffer_load_dword v3, off, s[0:3], 0 offset:624
	s_waitcnt vmcnt(0)
	v_add_f64 v[3:4], v[3:4], -v[13:14]
	buffer_load_dword v14, off, s[0:3], 0 offset:636
	buffer_load_dword v13, off, s[0:3], 0 offset:632
	s_waitcnt vmcnt(0)
	v_add_f64 v[1:2], v[13:14], -v[1:2]
	buffer_store_dword v4, off, s[0:3], 0 offset:628
	buffer_store_dword v3, off, s[0:3], 0 offset:624
	buffer_store_dword v2, off, s[0:3], 0 offset:636
	buffer_store_dword v1, off, s[0:3], 0 offset:632
	ds_read2_b64 v[1:4], v117 offset0:80 offset1:81
	s_waitcnt lgkmcnt(0)
	v_mul_f64 v[13:14], v[3:4], v[11:12]
	v_fma_f64 v[13:14], v[1:2], v[9:10], -v[13:14]
	v_mul_f64 v[1:2], v[1:2], v[11:12]
	v_fma_f64 v[1:2], v[3:4], v[9:10], v[1:2]
	buffer_load_dword v3, off, s[0:3], 0 offset:640
	buffer_load_dword v4, off, s[0:3], 0 offset:644
	buffer_load_dword v15, off, s[0:3], 0 offset:648
	buffer_load_dword v16, off, s[0:3], 0 offset:652
	s_waitcnt vmcnt(2)
	v_add_f64 v[3:4], v[3:4], -v[13:14]
	s_waitcnt vmcnt(0)
	v_add_f64 v[1:2], v[15:16], -v[1:2]
	buffer_store_dword v4, off, s[0:3], 0 offset:644
	buffer_store_dword v3, off, s[0:3], 0 offset:640
	buffer_store_dword v2, off, s[0:3], 0 offset:652
	buffer_store_dword v1, off, s[0:3], 0 offset:648
	ds_read2_b64 v[1:4], v117 offset0:82 offset1:83
	s_waitcnt lgkmcnt(0)
	v_mul_f64 v[13:14], v[3:4], v[11:12]
	v_fma_f64 v[13:14], v[1:2], v[9:10], -v[13:14]
	v_mul_f64 v[1:2], v[1:2], v[11:12]
	v_fma_f64 v[1:2], v[3:4], v[9:10], v[1:2]
	buffer_load_dword v3, off, s[0:3], 0 offset:656
	buffer_load_dword v4, off, s[0:3], 0 offset:660
	buffer_load_dword v15, off, s[0:3], 0 offset:664
	buffer_load_dword v16, off, s[0:3], 0 offset:668
	s_waitcnt vmcnt(2)
	v_add_f64 v[3:4], v[3:4], -v[13:14]
	;; [unrolled: 18-line block ×5, first 2 shown]
	s_waitcnt vmcnt(0)
	v_add_f64 v[1:2], v[9:10], -v[1:2]
	buffer_store_dword v4, off, s[0:3], 0 offset:708
	buffer_store_dword v3, off, s[0:3], 0 offset:704
	;; [unrolled: 1-line block ×4, first 2 shown]
	ds_read2_b64 v[1:4], v117 offset0:90 offset1:91
	buffer_load_dword v9, off, s[0:3], 0 offset:512
	buffer_load_dword v10, off, s[0:3], 0 offset:516
	;; [unrolled: 1-line block ×4, first 2 shown]
	s_waitcnt vmcnt(0) lgkmcnt(0)
	v_mul_f64 v[13:14], v[3:4], v[11:12]
	v_fma_f64 v[13:14], v[1:2], v[9:10], -v[13:14]
	v_mul_f64 v[1:2], v[1:2], v[11:12]
	v_fma_f64 v[1:2], v[3:4], v[9:10], v[1:2]
	buffer_load_dword v4, off, s[0:3], 0 offset:724
	buffer_load_dword v3, off, s[0:3], 0 offset:720
	s_waitcnt vmcnt(0)
	v_add_f64 v[3:4], v[3:4], -v[13:14]
	buffer_load_dword v14, off, s[0:3], 0 offset:732
	buffer_load_dword v13, off, s[0:3], 0 offset:728
	s_waitcnt vmcnt(0)
	v_add_f64 v[1:2], v[13:14], -v[1:2]
	buffer_store_dword v4, off, s[0:3], 0 offset:724
	buffer_store_dword v3, off, s[0:3], 0 offset:720
	buffer_store_dword v2, off, s[0:3], 0 offset:732
	buffer_store_dword v1, off, s[0:3], 0 offset:728
	ds_read2_b64 v[1:4], v117 offset0:92 offset1:93
	s_waitcnt lgkmcnt(0)
	v_mul_f64 v[13:14], v[3:4], v[11:12]
	v_fma_f64 v[13:14], v[1:2], v[9:10], -v[13:14]
	v_mul_f64 v[1:2], v[1:2], v[11:12]
	v_fma_f64 v[1:2], v[3:4], v[9:10], v[1:2]
	buffer_load_dword v3, off, s[0:3], 0 offset:736
	buffer_load_dword v4, off, s[0:3], 0 offset:740
	buffer_load_dword v15, off, s[0:3], 0 offset:744
	buffer_load_dword v16, off, s[0:3], 0 offset:748
	s_waitcnt vmcnt(2)
	v_add_f64 v[3:4], v[3:4], -v[13:14]
	s_waitcnt vmcnt(0)
	v_add_f64 v[1:2], v[15:16], -v[1:2]
	buffer_store_dword v4, off, s[0:3], 0 offset:740
	buffer_store_dword v3, off, s[0:3], 0 offset:736
	buffer_store_dword v2, off, s[0:3], 0 offset:748
	buffer_store_dword v1, off, s[0:3], 0 offset:744
	ds_read2_b64 v[1:4], v117 offset0:94 offset1:95
	s_waitcnt lgkmcnt(0)
	v_mul_f64 v[13:14], v[3:4], v[11:12]
	v_fma_f64 v[13:14], v[1:2], v[9:10], -v[13:14]
	v_mul_f64 v[1:2], v[1:2], v[11:12]
	v_fma_f64 v[1:2], v[3:4], v[9:10], v[1:2]
	buffer_load_dword v3, off, s[0:3], 0 offset:752
	buffer_load_dword v4, off, s[0:3], 0 offset:756
	buffer_load_dword v15, off, s[0:3], 0 offset:760
	buffer_load_dword v16, off, s[0:3], 0 offset:764
	s_waitcnt vmcnt(2)
	v_add_f64 v[3:4], v[3:4], -v[13:14]
	;; [unrolled: 18-line block ×5, first 2 shown]
	s_waitcnt vmcnt(0)
	v_add_f64 v[1:2], v[9:10], -v[1:2]
	buffer_store_dword v4, off, s[0:3], 0 offset:804
	buffer_store_dword v3, off, s[0:3], 0 offset:800
	;; [unrolled: 1-line block ×4, first 2 shown]
	ds_read2_b64 v[1:4], v117 offset0:102 offset1:103
	buffer_load_dword v9, off, s[0:3], 0 offset:512
	buffer_load_dword v10, off, s[0:3], 0 offset:516
	;; [unrolled: 1-line block ×4, first 2 shown]
	s_waitcnt vmcnt(0) lgkmcnt(0)
	v_mul_f64 v[13:14], v[3:4], v[11:12]
	v_fma_f64 v[13:14], v[1:2], v[9:10], -v[13:14]
	v_mul_f64 v[1:2], v[1:2], v[11:12]
	v_fma_f64 v[1:2], v[3:4], v[9:10], v[1:2]
	buffer_load_dword v4, off, s[0:3], 0 offset:820
	buffer_load_dword v3, off, s[0:3], 0 offset:816
	s_waitcnt vmcnt(0)
	v_add_f64 v[3:4], v[3:4], -v[13:14]
	buffer_load_dword v14, off, s[0:3], 0 offset:828
	buffer_load_dword v13, off, s[0:3], 0 offset:824
	s_waitcnt vmcnt(0)
	v_add_f64 v[1:2], v[13:14], -v[1:2]
	buffer_store_dword v4, off, s[0:3], 0 offset:820
	buffer_store_dword v3, off, s[0:3], 0 offset:816
	buffer_store_dword v2, off, s[0:3], 0 offset:828
	buffer_store_dword v1, off, s[0:3], 0 offset:824
	ds_read2_b64 v[1:4], v117 offset0:104 offset1:105
	s_waitcnt lgkmcnt(0)
	v_mul_f64 v[13:14], v[3:4], v[11:12]
	v_fma_f64 v[13:14], v[1:2], v[9:10], -v[13:14]
	v_mul_f64 v[1:2], v[1:2], v[11:12]
	v_fma_f64 v[1:2], v[3:4], v[9:10], v[1:2]
	buffer_load_dword v3, off, s[0:3], 0 offset:832
	buffer_load_dword v4, off, s[0:3], 0 offset:836
	buffer_load_dword v15, off, s[0:3], 0 offset:840
	buffer_load_dword v16, off, s[0:3], 0 offset:844
	s_waitcnt vmcnt(2)
	v_add_f64 v[3:4], v[3:4], -v[13:14]
	s_waitcnt vmcnt(0)
	v_add_f64 v[1:2], v[15:16], -v[1:2]
	buffer_store_dword v4, off, s[0:3], 0 offset:836
	buffer_store_dword v3, off, s[0:3], 0 offset:832
	buffer_store_dword v2, off, s[0:3], 0 offset:844
	buffer_store_dword v1, off, s[0:3], 0 offset:840
	ds_read2_b64 v[1:4], v117 offset0:106 offset1:107
	s_waitcnt lgkmcnt(0)
	v_mul_f64 v[13:14], v[3:4], v[11:12]
	v_fma_f64 v[13:14], v[1:2], v[9:10], -v[13:14]
	v_mul_f64 v[1:2], v[1:2], v[11:12]
	v_fma_f64 v[1:2], v[3:4], v[9:10], v[1:2]
	buffer_load_dword v3, off, s[0:3], 0 offset:848
	buffer_load_dword v4, off, s[0:3], 0 offset:852
	buffer_load_dword v15, off, s[0:3], 0 offset:856
	buffer_load_dword v16, off, s[0:3], 0 offset:860
	s_waitcnt vmcnt(2)
	v_add_f64 v[3:4], v[3:4], -v[13:14]
	s_waitcnt vmcnt(0)
	v_add_f64 v[1:2], v[15:16], -v[1:2]
	buffer_store_dword v4, off, s[0:3], 0 offset:852
	buffer_store_dword v3, off, s[0:3], 0 offset:848
	buffer_store_dword v2, off, s[0:3], 0 offset:860
	buffer_store_dword v1, off, s[0:3], 0 offset:856
	ds_read2_b64 v[1:4], v117 offset0:108 offset1:109
	s_waitcnt lgkmcnt(0)
	v_mul_f64 v[13:14], v[3:4], v[11:12]
	v_fma_f64 v[13:14], v[1:2], v[9:10], -v[13:14]
	v_mul_f64 v[1:2], v[1:2], v[11:12]
	v_fma_f64 v[1:2], v[3:4], v[9:10], v[1:2]
	buffer_load_dword v3, off, s[0:3], 0 offset:864
	buffer_load_dword v4, off, s[0:3], 0 offset:868
	buffer_load_dword v15, off, s[0:3], 0 offset:872
	buffer_load_dword v16, off, s[0:3], 0 offset:876
	s_waitcnt vmcnt(2)
	v_add_f64 v[3:4], v[3:4], -v[13:14]
	s_waitcnt vmcnt(0)
	v_add_f64 v[1:2], v[15:16], -v[1:2]
	buffer_store_dword v4, off, s[0:3], 0 offset:868
	buffer_store_dword v3, off, s[0:3], 0 offset:864
	buffer_store_dword v2, off, s[0:3], 0 offset:876
	buffer_store_dword v1, off, s[0:3], 0 offset:872
	ds_read2_b64 v[1:4], v117 offset0:110 offset1:111
	s_waitcnt lgkmcnt(0)
	v_mul_f64 v[13:14], v[3:4], v[11:12]
	v_fma_f64 v[13:14], v[1:2], v[9:10], -v[13:14]
	v_mul_f64 v[1:2], v[1:2], v[11:12]
	v_fma_f64 v[1:2], v[3:4], v[9:10], v[1:2]
	buffer_load_dword v3, off, s[0:3], 0 offset:880
	buffer_load_dword v4, off, s[0:3], 0 offset:884
	buffer_load_dword v15, off, s[0:3], 0 offset:888
	buffer_load_dword v16, off, s[0:3], 0 offset:892
	s_waitcnt vmcnt(2)
	v_add_f64 v[3:4], v[3:4], -v[13:14]
	s_waitcnt vmcnt(0)
	v_add_f64 v[1:2], v[15:16], -v[1:2]
	buffer_store_dword v4, off, s[0:3], 0 offset:884
	buffer_store_dword v3, off, s[0:3], 0 offset:880
	buffer_store_dword v2, off, s[0:3], 0 offset:892
	buffer_store_dword v1, off, s[0:3], 0 offset:888
	ds_read2_b64 v[1:4], v117 offset0:112 offset1:113
	s_waitcnt lgkmcnt(0)
	v_mul_f64 v[13:14], v[3:4], v[11:12]
	v_fma_f64 v[13:14], v[1:2], v[9:10], -v[13:14]
	v_mul_f64 v[1:2], v[1:2], v[11:12]
	v_fma_f64 v[1:2], v[3:4], v[9:10], v[1:2]
	buffer_load_dword v3, off, s[0:3], 0 offset:896
	buffer_load_dword v4, off, s[0:3], 0 offset:900
	buffer_load_dword v9, off, s[0:3], 0 offset:904
	buffer_load_dword v10, off, s[0:3], 0 offset:908
	s_waitcnt vmcnt(2)
	v_add_f64 v[3:4], v[3:4], -v[13:14]
	s_waitcnt vmcnt(0)
	v_add_f64 v[1:2], v[9:10], -v[1:2]
	buffer_store_dword v4, off, s[0:3], 0 offset:900
	buffer_store_dword v3, off, s[0:3], 0 offset:896
	;; [unrolled: 1-line block ×4, first 2 shown]
	ds_read2_b64 v[9:12], v117 offset0:114 offset1:115
	buffer_load_dword v13, off, s[0:3], 0 offset:512
	buffer_load_dword v14, off, s[0:3], 0 offset:516
	buffer_load_dword v15, off, s[0:3], 0 offset:520
	buffer_load_dword v16, off, s[0:3], 0 offset:524
	s_waitcnt vmcnt(0) lgkmcnt(0)
	v_mul_f64 v[1:2], v[11:12], v[15:16]
	v_fma_f64 v[17:18], v[9:10], v[13:14], -v[1:2]
	v_mul_f64 v[1:2], v[9:10], v[15:16]
	v_fma_f64 v[9:10], v[11:12], v[13:14], v[1:2]
	buffer_load_dword v2, off, s[0:3], 0 offset:916
	buffer_load_dword v1, off, s[0:3], 0 offset:912
	buffer_load_dword v4, off, s[0:3], 0 offset:924
	buffer_load_dword v3, off, s[0:3], 0 offset:920
	s_waitcnt vmcnt(2)
	v_add_f64 v[1:2], v[1:2], -v[17:18]
	s_waitcnt vmcnt(0)
	v_add_f64 v[3:4], v[3:4], -v[9:10]
	buffer_store_dword v2, off, s[0:3], 0 offset:916
	buffer_store_dword v1, off, s[0:3], 0 offset:912
	buffer_store_dword v4, off, s[0:3], 0 offset:924
	buffer_store_dword v3, off, s[0:3], 0 offset:920
	ds_read2_b64 v[1:4], v117 offset0:116 offset1:117
	s_waitcnt lgkmcnt(0)
	v_mul_f64 v[9:10], v[3:4], v[15:16]
	v_fma_f64 v[9:10], v[1:2], v[13:14], -v[9:10]
	v_mul_f64 v[1:2], v[1:2], v[15:16]
	v_fma_f64 v[1:2], v[3:4], v[13:14], v[1:2]
	buffer_load_dword v3, off, s[0:3], 0 offset:928
	buffer_load_dword v4, off, s[0:3], 0 offset:932
	buffer_load_dword v11, off, s[0:3], 0 offset:936
	buffer_load_dword v12, off, s[0:3], 0 offset:940
	s_waitcnt vmcnt(2)
	v_add_f64 v[3:4], v[3:4], -v[9:10]
	s_waitcnt vmcnt(0)
	v_add_f64 v[1:2], v[11:12], -v[1:2]
	buffer_store_dword v4, off, s[0:3], 0 offset:932
	buffer_store_dword v3, off, s[0:3], 0 offset:928
	buffer_store_dword v2, off, s[0:3], 0 offset:940
	buffer_store_dword v1, off, s[0:3], 0 offset:936
	ds_read2_b64 v[1:4], v117 offset0:118 offset1:119
	s_waitcnt lgkmcnt(0)
	;; [unrolled: 18-line block ×3, first 2 shown]
	v_mul_f64 v[9:10], v[3:4], v[15:16]
	v_fma_f64 v[11:12], v[1:2], v[13:14], -v[9:10]
	v_mul_f64 v[1:2], v[1:2], v[15:16]
	v_fma_f64 v[9:10], v[3:4], v[13:14], v[1:2]
	buffer_load_dword v1, off, s[0:3], 0 offset:960
	buffer_load_dword v2, off, s[0:3], 0 offset:964
	;; [unrolled: 1-line block ×4, first 2 shown]
	s_waitcnt vmcnt(2)
	v_add_f64 v[1:2], v[1:2], -v[11:12]
	s_waitcnt vmcnt(0)
	v_add_f64 v[3:4], v[3:4], -v[9:10]
	buffer_store_dword v2, off, s[0:3], 0 offset:964
	buffer_store_dword v1, off, s[0:3], 0 offset:960
	;; [unrolled: 1-line block ×4, first 2 shown]
.LBB121_403:
	s_or_b64 exec, exec, s[6:7]
	v_cmp_eq_u32_e32 vcc, 33, v0
	s_waitcnt vmcnt(0)
	s_barrier
	s_and_saveexec_b64 s[8:9], vcc
	s_cbranch_execz .LBB121_410
; %bb.404:
	v_readlane_b32 s6, v126, 11
	v_mov_b32_e32 v4, s6
	buffer_load_dword v1, v4, s[0:3], 0 offen
	buffer_load_dword v2, v4, s[0:3], 0 offen offset:4
	buffer_load_dword v3, v4, s[0:3], 0 offen offset:8
	s_nop 0
	buffer_load_dword v4, v4, s[0:3], 0 offen offset:12
	v_readlane_b32 s6, v126, 12
	s_waitcnt vmcnt(0)
	ds_write2_b64 v125, v[1:2], v[3:4] offset1:1
	v_mov_b32_e32 v4, s40
	buffer_load_dword v1, v4, s[0:3], 0 offen
	buffer_load_dword v2, v4, s[0:3], 0 offen offset:4
	buffer_load_dword v3, v4, s[0:3], 0 offen offset:8
	s_nop 0
	buffer_load_dword v4, v4, s[0:3], 0 offen offset:12
	s_waitcnt vmcnt(0)
	ds_write2_b64 v117, v[1:2], v[3:4] offset0:68 offset1:69
	v_mov_b32_e32 v4, s6
	buffer_load_dword v1, v4, s[0:3], 0 offen
	buffer_load_dword v2, v4, s[0:3], 0 offen offset:4
	buffer_load_dword v3, v4, s[0:3], 0 offen offset:8
	s_nop 0
	buffer_load_dword v4, v4, s[0:3], 0 offen offset:12
	v_readlane_b32 s6, v126, 13
	s_waitcnt vmcnt(0)
	ds_write2_b64 v117, v[1:2], v[3:4] offset0:70 offset1:71
	v_mov_b32_e32 v4, s38
	buffer_load_dword v1, v4, s[0:3], 0 offen
	buffer_load_dword v2, v4, s[0:3], 0 offen offset:4
	buffer_load_dword v3, v4, s[0:3], 0 offen offset:8
	s_nop 0
	buffer_load_dword v4, v4, s[0:3], 0 offen offset:12
	s_waitcnt vmcnt(0)
	ds_write2_b64 v117, v[1:2], v[3:4] offset0:72 offset1:73
	v_mov_b32_e32 v4, s6
	buffer_load_dword v1, v4, s[0:3], 0 offen
	buffer_load_dword v2, v4, s[0:3], 0 offen offset:4
	buffer_load_dword v3, v4, s[0:3], 0 offen offset:8
	s_nop 0
	buffer_load_dword v4, v4, s[0:3], 0 offen offset:12
	v_readlane_b32 s6, v126, 14
	s_waitcnt vmcnt(0)
	ds_write2_b64 v117, v[1:2], v[3:4] offset0:74 offset1:75
	;; [unrolled: 17-line block ×10, first 2 shown]
	v_mov_b32_e32 v4, s18
	buffer_load_dword v1, v4, s[0:3], 0 offen
	buffer_load_dword v2, v4, s[0:3], 0 offen offset:4
	buffer_load_dword v3, v4, s[0:3], 0 offen offset:8
	s_nop 0
	buffer_load_dword v4, v4, s[0:3], 0 offen offset:12
	s_waitcnt vmcnt(0)
	ds_write2_b64 v117, v[1:2], v[3:4] offset0:108 offset1:109
	v_mov_b32_e32 v4, s6
	buffer_load_dword v1, v4, s[0:3], 0 offen
	buffer_load_dword v2, v4, s[0:3], 0 offen offset:4
	buffer_load_dword v3, v4, s[0:3], 0 offen offset:8
	s_nop 0
	buffer_load_dword v4, v4, s[0:3], 0 offen offset:12
	s_waitcnt vmcnt(0)
	ds_write2_b64 v117, v[1:2], v[3:4] offset0:110 offset1:111
	;; [unrolled: 8-line block ×7, first 2 shown]
	ds_read2_b64 v[9:12], v125 offset1:1
	s_waitcnt lgkmcnt(0)
	v_cmp_neq_f64_e32 vcc, 0, v[9:10]
	v_cmp_neq_f64_e64 s[6:7], 0, v[11:12]
	s_or_b64 s[6:7], vcc, s[6:7]
	s_and_b64 exec, exec, s[6:7]
	s_cbranch_execz .LBB121_410
; %bb.405:
	v_cmp_ngt_f64_e64 s[6:7], |v[9:10]|, |v[11:12]|
                                        ; implicit-def: $vgpr1_vgpr2
	s_and_saveexec_b64 s[10:11], s[6:7]
	s_xor_b64 s[6:7], exec, s[10:11]
                                        ; implicit-def: $vgpr3_vgpr4
	s_cbranch_execz .LBB121_407
; %bb.406:
	v_div_scale_f64 v[1:2], s[10:11], v[11:12], v[11:12], v[9:10]
	v_rcp_f64_e32 v[3:4], v[1:2]
	v_fma_f64 v[13:14], -v[1:2], v[3:4], 1.0
	v_fma_f64 v[3:4], v[3:4], v[13:14], v[3:4]
	v_div_scale_f64 v[13:14], vcc, v[9:10], v[11:12], v[9:10]
	v_fma_f64 v[15:16], -v[1:2], v[3:4], 1.0
	v_fma_f64 v[3:4], v[3:4], v[15:16], v[3:4]
	v_mul_f64 v[15:16], v[13:14], v[3:4]
	v_fma_f64 v[1:2], -v[1:2], v[15:16], v[13:14]
	v_div_fmas_f64 v[1:2], v[1:2], v[3:4], v[15:16]
	v_div_fixup_f64 v[1:2], v[1:2], v[11:12], v[9:10]
	v_fma_f64 v[3:4], v[9:10], v[1:2], v[11:12]
	v_div_scale_f64 v[9:10], s[10:11], v[3:4], v[3:4], 1.0
	v_div_scale_f64 v[15:16], vcc, 1.0, v[3:4], 1.0
	v_rcp_f64_e32 v[11:12], v[9:10]
	v_fma_f64 v[13:14], -v[9:10], v[11:12], 1.0
	v_fma_f64 v[11:12], v[11:12], v[13:14], v[11:12]
	v_fma_f64 v[13:14], -v[9:10], v[11:12], 1.0
	v_fma_f64 v[11:12], v[11:12], v[13:14], v[11:12]
	v_mul_f64 v[13:14], v[15:16], v[11:12]
	v_fma_f64 v[9:10], -v[9:10], v[13:14], v[15:16]
	v_div_fmas_f64 v[9:10], v[9:10], v[11:12], v[13:14]
	v_div_fixup_f64 v[3:4], v[9:10], v[3:4], 1.0
                                        ; implicit-def: $vgpr9_vgpr10
	v_mul_f64 v[1:2], v[1:2], v[3:4]
	v_xor_b32_e32 v4, 0x80000000, v4
.LBB121_407:
	s_andn2_saveexec_b64 s[6:7], s[6:7]
	s_cbranch_execz .LBB121_409
; %bb.408:
	v_div_scale_f64 v[1:2], s[10:11], v[9:10], v[9:10], v[11:12]
	v_rcp_f64_e32 v[3:4], v[1:2]
	v_fma_f64 v[13:14], -v[1:2], v[3:4], 1.0
	v_fma_f64 v[3:4], v[3:4], v[13:14], v[3:4]
	v_div_scale_f64 v[13:14], vcc, v[11:12], v[9:10], v[11:12]
	v_fma_f64 v[15:16], -v[1:2], v[3:4], 1.0
	v_fma_f64 v[3:4], v[3:4], v[15:16], v[3:4]
	v_mul_f64 v[15:16], v[13:14], v[3:4]
	v_fma_f64 v[1:2], -v[1:2], v[15:16], v[13:14]
	v_div_fmas_f64 v[1:2], v[1:2], v[3:4], v[15:16]
	v_div_fixup_f64 v[3:4], v[1:2], v[9:10], v[11:12]
	v_fma_f64 v[1:2], v[11:12], v[3:4], v[9:10]
	v_div_scale_f64 v[9:10], s[10:11], v[1:2], v[1:2], 1.0
	v_div_scale_f64 v[15:16], vcc, 1.0, v[1:2], 1.0
	v_rcp_f64_e32 v[11:12], v[9:10]
	v_fma_f64 v[13:14], -v[9:10], v[11:12], 1.0
	v_fma_f64 v[11:12], v[11:12], v[13:14], v[11:12]
	v_fma_f64 v[13:14], -v[9:10], v[11:12], 1.0
	v_fma_f64 v[11:12], v[11:12], v[13:14], v[11:12]
	v_mul_f64 v[13:14], v[15:16], v[11:12]
	v_fma_f64 v[9:10], -v[9:10], v[13:14], v[15:16]
	v_div_fmas_f64 v[9:10], v[9:10], v[11:12], v[13:14]
	v_div_fixup_f64 v[1:2], v[9:10], v[1:2], 1.0
	v_mul_f64 v[3:4], v[3:4], -v[1:2]
.LBB121_409:
	s_or_b64 exec, exec, s[6:7]
	ds_write2_b64 v125, v[1:2], v[3:4] offset1:1
.LBB121_410:
	s_or_b64 exec, exec, s[8:9]
	s_waitcnt lgkmcnt(0)
	s_barrier
	ds_read2_b64 v[1:4], v125 offset1:1
	v_cmp_lt_u32_e32 vcc, 33, v0
	s_waitcnt lgkmcnt(0)
	buffer_store_dword v1, off, s[0:3], 0 offset:1792 ; 4-byte Folded Spill
	s_nop 0
	buffer_store_dword v2, off, s[0:3], 0 offset:1796 ; 4-byte Folded Spill
	buffer_store_dword v3, off, s[0:3], 0 offset:1800 ; 4-byte Folded Spill
	;; [unrolled: 1-line block ×3, first 2 shown]
	s_and_saveexec_b64 s[6:7], vcc
	s_cbranch_execz .LBB121_412
; %bb.411:
	buffer_load_dword v1, off, s[0:3], 0 offset:528
	buffer_load_dword v2, off, s[0:3], 0 offset:532
	;; [unrolled: 1-line block ×16, first 2 shown]
	buffer_load_dword v5, off, s[0:3], 0 offset:1792 ; 4-byte Folded Reload
	buffer_load_dword v6, off, s[0:3], 0 offset:1796 ; 4-byte Folded Reload
	buffer_load_dword v7, off, s[0:3], 0 offset:1800 ; 4-byte Folded Reload
	buffer_load_dword v8, off, s[0:3], 0 offset:1804 ; 4-byte Folded Reload
	s_waitcnt vmcnt(0)
	v_mul_f64 v[13:14], v[7:8], v[3:4]
	v_mul_f64 v[3:4], v[5:6], v[3:4]
	v_fma_f64 v[13:14], v[5:6], v[1:2], -v[13:14]
	v_fma_f64 v[15:16], v[7:8], v[1:2], v[3:4]
	buffer_store_dword v13, off, s[0:3], 0 offset:528
	buffer_store_dword v14, off, s[0:3], 0 offset:532
	buffer_store_dword v15, off, s[0:3], 0 offset:536
	buffer_store_dword v16, off, s[0:3], 0 offset:540
	ds_read2_b64 v[1:4], v117 offset0:68 offset1:69
	s_waitcnt lgkmcnt(0)
	v_mul_f64 v[29:30], v[3:4], v[15:16]
	v_fma_f64 v[29:30], v[1:2], v[13:14], -v[29:30]
	v_mul_f64 v[1:2], v[1:2], v[15:16]
	v_fma_f64 v[1:2], v[3:4], v[13:14], v[1:2]
	v_add_f64 v[3:4], v[17:18], -v[29:30]
	v_add_f64 v[1:2], v[19:20], -v[1:2]
	buffer_store_dword v3, off, s[0:3], 0 offset:544
	buffer_store_dword v4, off, s[0:3], 0 offset:548
	buffer_store_dword v1, off, s[0:3], 0 offset:552
	buffer_store_dword v2, off, s[0:3], 0 offset:556
	ds_read2_b64 v[1:4], v117 offset0:70 offset1:71
	s_waitcnt lgkmcnt(0)
	v_mul_f64 v[17:18], v[3:4], v[15:16]
	v_fma_f64 v[17:18], v[1:2], v[13:14], -v[17:18]
	v_mul_f64 v[1:2], v[1:2], v[15:16]
	v_fma_f64 v[1:2], v[3:4], v[13:14], v[1:2]
	v_add_f64 v[3:4], v[21:22], -v[17:18]
	v_add_f64 v[1:2], v[23:24], -v[1:2]
	;; [unrolled: 12-line block ×3, first 2 shown]
	buffer_store_dword v4, off, s[0:3], 0 offset:580
	buffer_store_dword v3, off, s[0:3], 0 offset:576
	buffer_store_dword v1, off, s[0:3], 0 offset:584
	buffer_store_dword v2, off, s[0:3], 0 offset:588
	ds_read2_b64 v[1:4], v117 offset0:74 offset1:75
	s_waitcnt lgkmcnt(0)
	v_mul_f64 v[17:18], v[3:4], v[15:16]
	v_fma_f64 v[17:18], v[1:2], v[13:14], -v[17:18]
	v_mul_f64 v[1:2], v[1:2], v[15:16]
	v_fma_f64 v[1:2], v[3:4], v[13:14], v[1:2]
	buffer_load_dword v3, off, s[0:3], 0 offset:592
	buffer_load_dword v4, off, s[0:3], 0 offset:596
	buffer_load_dword v19, off, s[0:3], 0 offset:600
	buffer_load_dword v20, off, s[0:3], 0 offset:604
	s_waitcnt vmcnt(2)
	v_add_f64 v[3:4], v[3:4], -v[17:18]
	s_waitcnt vmcnt(0)
	v_add_f64 v[1:2], v[19:20], -v[1:2]
	buffer_store_dword v4, off, s[0:3], 0 offset:596
	buffer_store_dword v3, off, s[0:3], 0 offset:592
	buffer_store_dword v2, off, s[0:3], 0 offset:604
	buffer_store_dword v1, off, s[0:3], 0 offset:600
	ds_read2_b64 v[1:4], v117 offset0:76 offset1:77
	s_waitcnt lgkmcnt(0)
	v_mul_f64 v[17:18], v[3:4], v[15:16]
	v_fma_f64 v[17:18], v[1:2], v[13:14], -v[17:18]
	v_mul_f64 v[1:2], v[1:2], v[15:16]
	v_fma_f64 v[1:2], v[3:4], v[13:14], v[1:2]
	buffer_load_dword v3, off, s[0:3], 0 offset:608
	buffer_load_dword v4, off, s[0:3], 0 offset:612
	buffer_load_dword v19, off, s[0:3], 0 offset:616
	buffer_load_dword v20, off, s[0:3], 0 offset:620
	s_waitcnt vmcnt(2)
	v_add_f64 v[3:4], v[3:4], -v[17:18]
	s_waitcnt vmcnt(0)
	v_add_f64 v[1:2], v[19:20], -v[1:2]
	;; [unrolled: 18-line block ×3, first 2 shown]
	buffer_store_dword v4, off, s[0:3], 0 offset:628
	buffer_store_dword v3, off, s[0:3], 0 offset:624
	;; [unrolled: 1-line block ×4, first 2 shown]
	ds_read2_b64 v[1:4], v117 offset0:80 offset1:81
	buffer_load_dword v13, off, s[0:3], 0 offset:528
	buffer_load_dword v14, off, s[0:3], 0 offset:532
	;; [unrolled: 1-line block ×4, first 2 shown]
	s_waitcnt vmcnt(0) lgkmcnt(0)
	v_mul_f64 v[17:18], v[3:4], v[15:16]
	v_fma_f64 v[17:18], v[1:2], v[13:14], -v[17:18]
	v_mul_f64 v[1:2], v[1:2], v[15:16]
	v_fma_f64 v[1:2], v[3:4], v[13:14], v[1:2]
	buffer_load_dword v4, off, s[0:3], 0 offset:644
	buffer_load_dword v3, off, s[0:3], 0 offset:640
	s_waitcnt vmcnt(0)
	v_add_f64 v[3:4], v[3:4], -v[17:18]
	buffer_load_dword v18, off, s[0:3], 0 offset:652
	buffer_load_dword v17, off, s[0:3], 0 offset:648
	s_waitcnt vmcnt(0)
	v_add_f64 v[1:2], v[17:18], -v[1:2]
	buffer_store_dword v4, off, s[0:3], 0 offset:644
	buffer_store_dword v3, off, s[0:3], 0 offset:640
	buffer_store_dword v2, off, s[0:3], 0 offset:652
	buffer_store_dword v1, off, s[0:3], 0 offset:648
	ds_read2_b64 v[1:4], v117 offset0:82 offset1:83
	s_waitcnt lgkmcnt(0)
	v_mul_f64 v[17:18], v[3:4], v[15:16]
	v_fma_f64 v[17:18], v[1:2], v[13:14], -v[17:18]
	v_mul_f64 v[1:2], v[1:2], v[15:16]
	v_fma_f64 v[1:2], v[3:4], v[13:14], v[1:2]
	buffer_load_dword v3, off, s[0:3], 0 offset:656
	buffer_load_dword v4, off, s[0:3], 0 offset:660
	buffer_load_dword v19, off, s[0:3], 0 offset:664
	buffer_load_dword v20, off, s[0:3], 0 offset:668
	s_waitcnt vmcnt(2)
	v_add_f64 v[3:4], v[3:4], -v[17:18]
	s_waitcnt vmcnt(0)
	v_add_f64 v[1:2], v[19:20], -v[1:2]
	buffer_store_dword v4, off, s[0:3], 0 offset:660
	buffer_store_dword v3, off, s[0:3], 0 offset:656
	buffer_store_dword v2, off, s[0:3], 0 offset:668
	buffer_store_dword v1, off, s[0:3], 0 offset:664
	ds_read2_b64 v[1:4], v117 offset0:84 offset1:85
	s_waitcnt lgkmcnt(0)
	v_mul_f64 v[17:18], v[3:4], v[15:16]
	v_fma_f64 v[17:18], v[1:2], v[13:14], -v[17:18]
	v_mul_f64 v[1:2], v[1:2], v[15:16]
	v_fma_f64 v[1:2], v[3:4], v[13:14], v[1:2]
	buffer_load_dword v3, off, s[0:3], 0 offset:672
	buffer_load_dword v4, off, s[0:3], 0 offset:676
	buffer_load_dword v19, off, s[0:3], 0 offset:680
	buffer_load_dword v20, off, s[0:3], 0 offset:684
	s_waitcnt vmcnt(2)
	v_add_f64 v[3:4], v[3:4], -v[17:18]
	;; [unrolled: 18-line block ×5, first 2 shown]
	s_waitcnt vmcnt(0)
	v_add_f64 v[1:2], v[13:14], -v[1:2]
	buffer_store_dword v4, off, s[0:3], 0 offset:724
	buffer_store_dword v3, off, s[0:3], 0 offset:720
	;; [unrolled: 1-line block ×4, first 2 shown]
	ds_read2_b64 v[1:4], v117 offset0:92 offset1:93
	buffer_load_dword v13, off, s[0:3], 0 offset:528
	buffer_load_dword v14, off, s[0:3], 0 offset:532
	;; [unrolled: 1-line block ×4, first 2 shown]
	s_waitcnt vmcnt(0) lgkmcnt(0)
	v_mul_f64 v[17:18], v[3:4], v[15:16]
	v_fma_f64 v[17:18], v[1:2], v[13:14], -v[17:18]
	v_mul_f64 v[1:2], v[1:2], v[15:16]
	v_fma_f64 v[1:2], v[3:4], v[13:14], v[1:2]
	buffer_load_dword v4, off, s[0:3], 0 offset:740
	buffer_load_dword v3, off, s[0:3], 0 offset:736
	s_waitcnt vmcnt(0)
	v_add_f64 v[3:4], v[3:4], -v[17:18]
	buffer_load_dword v18, off, s[0:3], 0 offset:748
	buffer_load_dword v17, off, s[0:3], 0 offset:744
	s_waitcnt vmcnt(0)
	v_add_f64 v[1:2], v[17:18], -v[1:2]
	buffer_store_dword v4, off, s[0:3], 0 offset:740
	buffer_store_dword v3, off, s[0:3], 0 offset:736
	buffer_store_dword v2, off, s[0:3], 0 offset:748
	buffer_store_dword v1, off, s[0:3], 0 offset:744
	ds_read2_b64 v[1:4], v117 offset0:94 offset1:95
	s_waitcnt lgkmcnt(0)
	v_mul_f64 v[17:18], v[3:4], v[15:16]
	v_fma_f64 v[17:18], v[1:2], v[13:14], -v[17:18]
	v_mul_f64 v[1:2], v[1:2], v[15:16]
	v_fma_f64 v[1:2], v[3:4], v[13:14], v[1:2]
	buffer_load_dword v3, off, s[0:3], 0 offset:752
	buffer_load_dword v4, off, s[0:3], 0 offset:756
	buffer_load_dword v19, off, s[0:3], 0 offset:760
	buffer_load_dword v20, off, s[0:3], 0 offset:764
	s_waitcnt vmcnt(2)
	v_add_f64 v[3:4], v[3:4], -v[17:18]
	s_waitcnt vmcnt(0)
	v_add_f64 v[1:2], v[19:20], -v[1:2]
	buffer_store_dword v4, off, s[0:3], 0 offset:756
	buffer_store_dword v3, off, s[0:3], 0 offset:752
	buffer_store_dword v2, off, s[0:3], 0 offset:764
	buffer_store_dword v1, off, s[0:3], 0 offset:760
	ds_read2_b64 v[1:4], v117 offset0:96 offset1:97
	s_waitcnt lgkmcnt(0)
	v_mul_f64 v[17:18], v[3:4], v[15:16]
	v_fma_f64 v[17:18], v[1:2], v[13:14], -v[17:18]
	v_mul_f64 v[1:2], v[1:2], v[15:16]
	v_fma_f64 v[1:2], v[3:4], v[13:14], v[1:2]
	buffer_load_dword v3, off, s[0:3], 0 offset:768
	buffer_load_dword v4, off, s[0:3], 0 offset:772
	buffer_load_dword v19, off, s[0:3], 0 offset:776
	buffer_load_dword v20, off, s[0:3], 0 offset:780
	s_waitcnt vmcnt(2)
	v_add_f64 v[3:4], v[3:4], -v[17:18]
	;; [unrolled: 18-line block ×5, first 2 shown]
	s_waitcnt vmcnt(0)
	v_add_f64 v[1:2], v[13:14], -v[1:2]
	buffer_store_dword v4, off, s[0:3], 0 offset:820
	buffer_store_dword v3, off, s[0:3], 0 offset:816
	;; [unrolled: 1-line block ×4, first 2 shown]
	ds_read2_b64 v[1:4], v117 offset0:104 offset1:105
	buffer_load_dword v13, off, s[0:3], 0 offset:528
	buffer_load_dword v14, off, s[0:3], 0 offset:532
	buffer_load_dword v15, off, s[0:3], 0 offset:536
	buffer_load_dword v16, off, s[0:3], 0 offset:540
	s_waitcnt vmcnt(0) lgkmcnt(0)
	v_mul_f64 v[17:18], v[3:4], v[15:16]
	v_fma_f64 v[17:18], v[1:2], v[13:14], -v[17:18]
	v_mul_f64 v[1:2], v[1:2], v[15:16]
	v_fma_f64 v[1:2], v[3:4], v[13:14], v[1:2]
	buffer_load_dword v4, off, s[0:3], 0 offset:836
	buffer_load_dword v3, off, s[0:3], 0 offset:832
	s_waitcnt vmcnt(0)
	v_add_f64 v[3:4], v[3:4], -v[17:18]
	buffer_load_dword v18, off, s[0:3], 0 offset:844
	buffer_load_dword v17, off, s[0:3], 0 offset:840
	s_waitcnt vmcnt(0)
	v_add_f64 v[1:2], v[17:18], -v[1:2]
	buffer_store_dword v4, off, s[0:3], 0 offset:836
	buffer_store_dword v3, off, s[0:3], 0 offset:832
	buffer_store_dword v2, off, s[0:3], 0 offset:844
	buffer_store_dword v1, off, s[0:3], 0 offset:840
	ds_read2_b64 v[1:4], v117 offset0:106 offset1:107
	s_waitcnt lgkmcnt(0)
	v_mul_f64 v[17:18], v[3:4], v[15:16]
	v_fma_f64 v[17:18], v[1:2], v[13:14], -v[17:18]
	v_mul_f64 v[1:2], v[1:2], v[15:16]
	v_fma_f64 v[1:2], v[3:4], v[13:14], v[1:2]
	buffer_load_dword v3, off, s[0:3], 0 offset:848
	buffer_load_dword v4, off, s[0:3], 0 offset:852
	buffer_load_dword v19, off, s[0:3], 0 offset:856
	buffer_load_dword v20, off, s[0:3], 0 offset:860
	s_waitcnt vmcnt(2)
	v_add_f64 v[3:4], v[3:4], -v[17:18]
	s_waitcnt vmcnt(0)
	v_add_f64 v[1:2], v[19:20], -v[1:2]
	buffer_store_dword v4, off, s[0:3], 0 offset:852
	buffer_store_dword v3, off, s[0:3], 0 offset:848
	buffer_store_dword v2, off, s[0:3], 0 offset:860
	buffer_store_dword v1, off, s[0:3], 0 offset:856
	ds_read2_b64 v[1:4], v117 offset0:108 offset1:109
	s_waitcnt lgkmcnt(0)
	v_mul_f64 v[17:18], v[3:4], v[15:16]
	v_fma_f64 v[17:18], v[1:2], v[13:14], -v[17:18]
	v_mul_f64 v[1:2], v[1:2], v[15:16]
	v_fma_f64 v[1:2], v[3:4], v[13:14], v[1:2]
	buffer_load_dword v3, off, s[0:3], 0 offset:864
	buffer_load_dword v4, off, s[0:3], 0 offset:868
	buffer_load_dword v19, off, s[0:3], 0 offset:872
	buffer_load_dword v20, off, s[0:3], 0 offset:876
	s_waitcnt vmcnt(2)
	v_add_f64 v[3:4], v[3:4], -v[17:18]
	;; [unrolled: 18-line block ×5, first 2 shown]
	s_waitcnt vmcnt(0)
	v_add_f64 v[1:2], v[13:14], -v[1:2]
	buffer_store_dword v4, off, s[0:3], 0 offset:916
	buffer_store_dword v3, off, s[0:3], 0 offset:912
	;; [unrolled: 1-line block ×4, first 2 shown]
	ds_read2_b64 v[13:16], v117 offset0:116 offset1:117
	buffer_load_dword v17, off, s[0:3], 0 offset:528
	buffer_load_dword v18, off, s[0:3], 0 offset:532
	;; [unrolled: 1-line block ×4, first 2 shown]
	s_waitcnt vmcnt(0) lgkmcnt(0)
	v_mul_f64 v[1:2], v[15:16], v[19:20]
	v_fma_f64 v[21:22], v[13:14], v[17:18], -v[1:2]
	v_mul_f64 v[1:2], v[13:14], v[19:20]
	v_fma_f64 v[13:14], v[15:16], v[17:18], v[1:2]
	buffer_load_dword v2, off, s[0:3], 0 offset:932
	buffer_load_dword v1, off, s[0:3], 0 offset:928
	;; [unrolled: 1-line block ×4, first 2 shown]
	s_waitcnt vmcnt(2)
	v_add_f64 v[1:2], v[1:2], -v[21:22]
	s_waitcnt vmcnt(0)
	v_add_f64 v[3:4], v[3:4], -v[13:14]
	buffer_store_dword v2, off, s[0:3], 0 offset:932
	buffer_store_dword v1, off, s[0:3], 0 offset:928
	;; [unrolled: 1-line block ×4, first 2 shown]
	ds_read2_b64 v[1:4], v117 offset0:118 offset1:119
	s_waitcnt lgkmcnt(0)
	v_mul_f64 v[13:14], v[3:4], v[19:20]
	v_fma_f64 v[13:14], v[1:2], v[17:18], -v[13:14]
	v_mul_f64 v[1:2], v[1:2], v[19:20]
	v_fma_f64 v[1:2], v[3:4], v[17:18], v[1:2]
	buffer_load_dword v3, off, s[0:3], 0 offset:944
	buffer_load_dword v4, off, s[0:3], 0 offset:948
	;; [unrolled: 1-line block ×4, first 2 shown]
	s_waitcnt vmcnt(2)
	v_add_f64 v[3:4], v[3:4], -v[13:14]
	s_waitcnt vmcnt(0)
	v_add_f64 v[1:2], v[15:16], -v[1:2]
	buffer_store_dword v4, off, s[0:3], 0 offset:948
	buffer_store_dword v3, off, s[0:3], 0 offset:944
	;; [unrolled: 1-line block ×4, first 2 shown]
	ds_read2_b64 v[1:4], v117 offset0:120 offset1:121
	s_waitcnt lgkmcnt(0)
	v_mul_f64 v[13:14], v[3:4], v[19:20]
	v_fma_f64 v[15:16], v[1:2], v[17:18], -v[13:14]
	v_mul_f64 v[1:2], v[1:2], v[19:20]
	v_fma_f64 v[13:14], v[3:4], v[17:18], v[1:2]
	buffer_load_dword v1, off, s[0:3], 0 offset:960
	buffer_load_dword v2, off, s[0:3], 0 offset:964
	buffer_load_dword v3, off, s[0:3], 0 offset:968
	buffer_load_dword v4, off, s[0:3], 0 offset:972
	s_waitcnt vmcnt(2)
	v_add_f64 v[1:2], v[1:2], -v[15:16]
	s_waitcnt vmcnt(0)
	v_add_f64 v[3:4], v[3:4], -v[13:14]
	buffer_store_dword v2, off, s[0:3], 0 offset:964
	buffer_store_dword v1, off, s[0:3], 0 offset:960
	;; [unrolled: 1-line block ×4, first 2 shown]
.LBB121_412:
	s_or_b64 exec, exec, s[6:7]
	v_cmp_eq_u32_e32 vcc, 34, v0
	s_waitcnt vmcnt(0)
	s_barrier
	s_and_saveexec_b64 s[8:9], vcc
	s_cbranch_execz .LBB121_419
; %bb.413:
	v_mov_b32_e32 v4, s40
	buffer_load_dword v1, v4, s[0:3], 0 offen
	buffer_load_dword v2, v4, s[0:3], 0 offen offset:4
	buffer_load_dword v3, v4, s[0:3], 0 offen offset:8
	s_nop 0
	buffer_load_dword v4, v4, s[0:3], 0 offen offset:12
	v_readlane_b32 s6, v126, 12
	s_waitcnt vmcnt(0)
	ds_write2_b64 v125, v[1:2], v[3:4] offset1:1
	v_mov_b32_e32 v4, s6
	buffer_load_dword v1, v4, s[0:3], 0 offen
	buffer_load_dword v2, v4, s[0:3], 0 offen offset:4
	buffer_load_dword v3, v4, s[0:3], 0 offen offset:8
	s_nop 0
	buffer_load_dword v4, v4, s[0:3], 0 offen offset:12
	v_readlane_b32 s6, v126, 13
	s_waitcnt vmcnt(0)
	ds_write2_b64 v117, v[1:2], v[3:4] offset0:70 offset1:71
	v_mov_b32_e32 v4, s38
	buffer_load_dword v1, v4, s[0:3], 0 offen
	buffer_load_dword v2, v4, s[0:3], 0 offen offset:4
	buffer_load_dword v3, v4, s[0:3], 0 offen offset:8
	s_nop 0
	buffer_load_dword v4, v4, s[0:3], 0 offen offset:12
	s_waitcnt vmcnt(0)
	ds_write2_b64 v117, v[1:2], v[3:4] offset0:72 offset1:73
	v_mov_b32_e32 v4, s6
	buffer_load_dword v1, v4, s[0:3], 0 offen
	buffer_load_dword v2, v4, s[0:3], 0 offen offset:4
	buffer_load_dword v3, v4, s[0:3], 0 offen offset:8
	s_nop 0
	buffer_load_dword v4, v4, s[0:3], 0 offen offset:12
	v_readlane_b32 s6, v126, 14
	s_waitcnt vmcnt(0)
	ds_write2_b64 v117, v[1:2], v[3:4] offset0:74 offset1:75
	v_mov_b32_e32 v4, s36
	buffer_load_dword v1, v4, s[0:3], 0 offen
	buffer_load_dword v2, v4, s[0:3], 0 offen offset:4
	buffer_load_dword v3, v4, s[0:3], 0 offen offset:8
	s_nop 0
	buffer_load_dword v4, v4, s[0:3], 0 offen offset:12
	s_waitcnt vmcnt(0)
	ds_write2_b64 v117, v[1:2], v[3:4] offset0:76 offset1:77
	;; [unrolled: 17-line block ×10, first 2 shown]
	v_mov_b32_e32 v4, s6
	buffer_load_dword v1, v4, s[0:3], 0 offen
	buffer_load_dword v2, v4, s[0:3], 0 offen offset:4
	buffer_load_dword v3, v4, s[0:3], 0 offen offset:8
	s_nop 0
	buffer_load_dword v4, v4, s[0:3], 0 offen offset:12
	s_waitcnt vmcnt(0)
	ds_write2_b64 v117, v[1:2], v[3:4] offset0:110 offset1:111
	v_mov_b32_e32 v4, s16
	buffer_load_dword v1, v4, s[0:3], 0 offen
	buffer_load_dword v2, v4, s[0:3], 0 offen offset:4
	buffer_load_dword v3, v4, s[0:3], 0 offen offset:8
	s_nop 0
	buffer_load_dword v4, v4, s[0:3], 0 offen offset:12
	s_waitcnt vmcnt(0)
	ds_write2_b64 v117, v[1:2], v[3:4] offset0:112 offset1:113
	;; [unrolled: 8-line block ×6, first 2 shown]
	ds_read2_b64 v[13:16], v125 offset1:1
	s_waitcnt lgkmcnt(0)
	v_cmp_neq_f64_e32 vcc, 0, v[13:14]
	v_cmp_neq_f64_e64 s[6:7], 0, v[15:16]
	s_or_b64 s[6:7], vcc, s[6:7]
	s_and_b64 exec, exec, s[6:7]
	s_cbranch_execz .LBB121_419
; %bb.414:
	v_cmp_ngt_f64_e64 s[6:7], |v[13:14]|, |v[15:16]|
                                        ; implicit-def: $vgpr1_vgpr2
	s_and_saveexec_b64 s[10:11], s[6:7]
	s_xor_b64 s[6:7], exec, s[10:11]
                                        ; implicit-def: $vgpr3_vgpr4
	s_cbranch_execz .LBB121_416
; %bb.415:
	v_div_scale_f64 v[1:2], s[10:11], v[15:16], v[15:16], v[13:14]
	v_rcp_f64_e32 v[3:4], v[1:2]
	v_fma_f64 v[17:18], -v[1:2], v[3:4], 1.0
	v_fma_f64 v[3:4], v[3:4], v[17:18], v[3:4]
	v_div_scale_f64 v[17:18], vcc, v[13:14], v[15:16], v[13:14]
	v_fma_f64 v[19:20], -v[1:2], v[3:4], 1.0
	v_fma_f64 v[3:4], v[3:4], v[19:20], v[3:4]
	v_mul_f64 v[19:20], v[17:18], v[3:4]
	v_fma_f64 v[1:2], -v[1:2], v[19:20], v[17:18]
	v_div_fmas_f64 v[1:2], v[1:2], v[3:4], v[19:20]
	v_div_fixup_f64 v[1:2], v[1:2], v[15:16], v[13:14]
	v_fma_f64 v[3:4], v[13:14], v[1:2], v[15:16]
	v_div_scale_f64 v[13:14], s[10:11], v[3:4], v[3:4], 1.0
	v_div_scale_f64 v[19:20], vcc, 1.0, v[3:4], 1.0
	v_rcp_f64_e32 v[15:16], v[13:14]
	v_fma_f64 v[17:18], -v[13:14], v[15:16], 1.0
	v_fma_f64 v[15:16], v[15:16], v[17:18], v[15:16]
	v_fma_f64 v[17:18], -v[13:14], v[15:16], 1.0
	v_fma_f64 v[15:16], v[15:16], v[17:18], v[15:16]
	v_mul_f64 v[17:18], v[19:20], v[15:16]
	v_fma_f64 v[13:14], -v[13:14], v[17:18], v[19:20]
	v_div_fmas_f64 v[13:14], v[13:14], v[15:16], v[17:18]
	v_div_fixup_f64 v[3:4], v[13:14], v[3:4], 1.0
                                        ; implicit-def: $vgpr13_vgpr14
	v_mul_f64 v[1:2], v[1:2], v[3:4]
	v_xor_b32_e32 v4, 0x80000000, v4
.LBB121_416:
	s_andn2_saveexec_b64 s[6:7], s[6:7]
	s_cbranch_execz .LBB121_418
; %bb.417:
	v_div_scale_f64 v[1:2], s[10:11], v[13:14], v[13:14], v[15:16]
	v_rcp_f64_e32 v[3:4], v[1:2]
	v_fma_f64 v[17:18], -v[1:2], v[3:4], 1.0
	v_fma_f64 v[3:4], v[3:4], v[17:18], v[3:4]
	v_div_scale_f64 v[17:18], vcc, v[15:16], v[13:14], v[15:16]
	v_fma_f64 v[19:20], -v[1:2], v[3:4], 1.0
	v_fma_f64 v[3:4], v[3:4], v[19:20], v[3:4]
	v_mul_f64 v[19:20], v[17:18], v[3:4]
	v_fma_f64 v[1:2], -v[1:2], v[19:20], v[17:18]
	v_div_fmas_f64 v[1:2], v[1:2], v[3:4], v[19:20]
	v_div_fixup_f64 v[3:4], v[1:2], v[13:14], v[15:16]
	v_fma_f64 v[1:2], v[15:16], v[3:4], v[13:14]
	v_div_scale_f64 v[13:14], s[10:11], v[1:2], v[1:2], 1.0
	v_div_scale_f64 v[19:20], vcc, 1.0, v[1:2], 1.0
	v_rcp_f64_e32 v[15:16], v[13:14]
	v_fma_f64 v[17:18], -v[13:14], v[15:16], 1.0
	v_fma_f64 v[15:16], v[15:16], v[17:18], v[15:16]
	v_fma_f64 v[17:18], -v[13:14], v[15:16], 1.0
	v_fma_f64 v[15:16], v[15:16], v[17:18], v[15:16]
	v_mul_f64 v[17:18], v[19:20], v[15:16]
	v_fma_f64 v[13:14], -v[13:14], v[17:18], v[19:20]
	v_div_fmas_f64 v[13:14], v[13:14], v[15:16], v[17:18]
	v_div_fixup_f64 v[1:2], v[13:14], v[1:2], 1.0
	v_mul_f64 v[3:4], v[3:4], -v[1:2]
.LBB121_418:
	s_or_b64 exec, exec, s[6:7]
	ds_write2_b64 v125, v[1:2], v[3:4] offset1:1
.LBB121_419:
	s_or_b64 exec, exec, s[8:9]
	s_waitcnt lgkmcnt(0)
	s_barrier
	ds_read2_b64 v[13:16], v125 offset1:1
	v_cmp_lt_u32_e32 vcc, 34, v0
	s_and_saveexec_b64 s[6:7], vcc
	s_cbranch_execz .LBB121_421
; %bb.420:
	buffer_load_dword v1, off, s[0:3], 0 offset:544
	buffer_load_dword v2, off, s[0:3], 0 offset:548
	;; [unrolled: 1-line block ×16, first 2 shown]
	s_waitcnt vmcnt(12) lgkmcnt(0)
	v_mul_f64 v[17:18], v[15:16], v[3:4]
	v_mul_f64 v[3:4], v[13:14], v[3:4]
	v_fma_f64 v[17:18], v[13:14], v[1:2], -v[17:18]
	v_fma_f64 v[19:20], v[15:16], v[1:2], v[3:4]
	buffer_store_dword v17, off, s[0:3], 0 offset:544
	buffer_store_dword v18, off, s[0:3], 0 offset:548
	buffer_store_dword v19, off, s[0:3], 0 offset:552
	buffer_store_dword v20, off, s[0:3], 0 offset:556
	ds_read2_b64 v[1:4], v117 offset0:70 offset1:71
	s_waitcnt lgkmcnt(0)
	v_mul_f64 v[33:34], v[3:4], v[19:20]
	v_fma_f64 v[33:34], v[1:2], v[17:18], -v[33:34]
	v_mul_f64 v[1:2], v[1:2], v[19:20]
	v_fma_f64 v[1:2], v[3:4], v[17:18], v[1:2]
	s_waitcnt vmcnt(14)
	v_add_f64 v[3:4], v[21:22], -v[33:34]
	s_waitcnt vmcnt(12)
	v_add_f64 v[1:2], v[23:24], -v[1:2]
	buffer_store_dword v3, off, s[0:3], 0 offset:560
	buffer_store_dword v4, off, s[0:3], 0 offset:564
	buffer_store_dword v1, off, s[0:3], 0 offset:568
	buffer_store_dword v2, off, s[0:3], 0 offset:572
	ds_read2_b64 v[1:4], v117 offset0:72 offset1:73
	s_waitcnt lgkmcnt(0)
	v_mul_f64 v[21:22], v[3:4], v[19:20]
	v_fma_f64 v[21:22], v[1:2], v[17:18], -v[21:22]
	v_mul_f64 v[1:2], v[1:2], v[19:20]
	v_fma_f64 v[1:2], v[3:4], v[17:18], v[1:2]
	s_waitcnt vmcnt(14)
	v_add_f64 v[3:4], v[25:26], -v[21:22]
	s_waitcnt vmcnt(12)
	v_add_f64 v[1:2], v[27:28], -v[1:2]
	;; [unrolled: 14-line block ×3, first 2 shown]
	buffer_store_dword v4, off, s[0:3], 0 offset:596
	buffer_store_dword v3, off, s[0:3], 0 offset:592
	buffer_store_dword v1, off, s[0:3], 0 offset:600
	buffer_store_dword v2, off, s[0:3], 0 offset:604
	ds_read2_b64 v[1:4], v117 offset0:76 offset1:77
	s_waitcnt lgkmcnt(0)
	v_mul_f64 v[21:22], v[3:4], v[19:20]
	v_fma_f64 v[21:22], v[1:2], v[17:18], -v[21:22]
	v_mul_f64 v[1:2], v[1:2], v[19:20]
	v_fma_f64 v[1:2], v[3:4], v[17:18], v[1:2]
	buffer_load_dword v3, off, s[0:3], 0 offset:608
	buffer_load_dword v4, off, s[0:3], 0 offset:612
	buffer_load_dword v23, off, s[0:3], 0 offset:616
	buffer_load_dword v24, off, s[0:3], 0 offset:620
	s_waitcnt vmcnt(2)
	v_add_f64 v[3:4], v[3:4], -v[21:22]
	s_waitcnt vmcnt(0)
	v_add_f64 v[1:2], v[23:24], -v[1:2]
	buffer_store_dword v4, off, s[0:3], 0 offset:612
	buffer_store_dword v3, off, s[0:3], 0 offset:608
	buffer_store_dword v2, off, s[0:3], 0 offset:620
	buffer_store_dword v1, off, s[0:3], 0 offset:616
	ds_read2_b64 v[1:4], v117 offset0:78 offset1:79
	s_waitcnt lgkmcnt(0)
	v_mul_f64 v[21:22], v[3:4], v[19:20]
	v_fma_f64 v[21:22], v[1:2], v[17:18], -v[21:22]
	v_mul_f64 v[1:2], v[1:2], v[19:20]
	v_fma_f64 v[1:2], v[3:4], v[17:18], v[1:2]
	buffer_load_dword v3, off, s[0:3], 0 offset:624
	buffer_load_dword v4, off, s[0:3], 0 offset:628
	buffer_load_dword v23, off, s[0:3], 0 offset:632
	buffer_load_dword v24, off, s[0:3], 0 offset:636
	s_waitcnt vmcnt(2)
	v_add_f64 v[3:4], v[3:4], -v[21:22]
	s_waitcnt vmcnt(0)
	v_add_f64 v[1:2], v[23:24], -v[1:2]
	;; [unrolled: 18-line block ×3, first 2 shown]
	buffer_store_dword v4, off, s[0:3], 0 offset:644
	buffer_store_dword v3, off, s[0:3], 0 offset:640
	;; [unrolled: 1-line block ×4, first 2 shown]
	ds_read2_b64 v[1:4], v117 offset0:82 offset1:83
	buffer_load_dword v17, off, s[0:3], 0 offset:544
	buffer_load_dword v18, off, s[0:3], 0 offset:548
	;; [unrolled: 1-line block ×4, first 2 shown]
	s_waitcnt vmcnt(0) lgkmcnt(0)
	v_mul_f64 v[21:22], v[3:4], v[19:20]
	v_fma_f64 v[21:22], v[1:2], v[17:18], -v[21:22]
	v_mul_f64 v[1:2], v[1:2], v[19:20]
	v_fma_f64 v[1:2], v[3:4], v[17:18], v[1:2]
	buffer_load_dword v4, off, s[0:3], 0 offset:660
	buffer_load_dword v3, off, s[0:3], 0 offset:656
	s_waitcnt vmcnt(0)
	v_add_f64 v[3:4], v[3:4], -v[21:22]
	buffer_load_dword v22, off, s[0:3], 0 offset:668
	buffer_load_dword v21, off, s[0:3], 0 offset:664
	s_waitcnt vmcnt(0)
	v_add_f64 v[1:2], v[21:22], -v[1:2]
	buffer_store_dword v4, off, s[0:3], 0 offset:660
	buffer_store_dword v3, off, s[0:3], 0 offset:656
	buffer_store_dword v2, off, s[0:3], 0 offset:668
	buffer_store_dword v1, off, s[0:3], 0 offset:664
	ds_read2_b64 v[1:4], v117 offset0:84 offset1:85
	s_waitcnt lgkmcnt(0)
	v_mul_f64 v[21:22], v[3:4], v[19:20]
	v_fma_f64 v[21:22], v[1:2], v[17:18], -v[21:22]
	v_mul_f64 v[1:2], v[1:2], v[19:20]
	v_fma_f64 v[1:2], v[3:4], v[17:18], v[1:2]
	buffer_load_dword v3, off, s[0:3], 0 offset:672
	buffer_load_dword v4, off, s[0:3], 0 offset:676
	buffer_load_dword v23, off, s[0:3], 0 offset:680
	buffer_load_dword v24, off, s[0:3], 0 offset:684
	s_waitcnt vmcnt(2)
	v_add_f64 v[3:4], v[3:4], -v[21:22]
	s_waitcnt vmcnt(0)
	v_add_f64 v[1:2], v[23:24], -v[1:2]
	buffer_store_dword v4, off, s[0:3], 0 offset:676
	buffer_store_dword v3, off, s[0:3], 0 offset:672
	buffer_store_dword v2, off, s[0:3], 0 offset:684
	buffer_store_dword v1, off, s[0:3], 0 offset:680
	ds_read2_b64 v[1:4], v117 offset0:86 offset1:87
	s_waitcnt lgkmcnt(0)
	v_mul_f64 v[21:22], v[3:4], v[19:20]
	v_fma_f64 v[21:22], v[1:2], v[17:18], -v[21:22]
	v_mul_f64 v[1:2], v[1:2], v[19:20]
	v_fma_f64 v[1:2], v[3:4], v[17:18], v[1:2]
	buffer_load_dword v3, off, s[0:3], 0 offset:688
	buffer_load_dword v4, off, s[0:3], 0 offset:692
	buffer_load_dword v23, off, s[0:3], 0 offset:696
	buffer_load_dword v24, off, s[0:3], 0 offset:700
	s_waitcnt vmcnt(2)
	v_add_f64 v[3:4], v[3:4], -v[21:22]
	;; [unrolled: 18-line block ×5, first 2 shown]
	s_waitcnt vmcnt(0)
	v_add_f64 v[1:2], v[17:18], -v[1:2]
	buffer_store_dword v4, off, s[0:3], 0 offset:740
	buffer_store_dword v3, off, s[0:3], 0 offset:736
	;; [unrolled: 1-line block ×4, first 2 shown]
	ds_read2_b64 v[1:4], v117 offset0:94 offset1:95
	buffer_load_dword v17, off, s[0:3], 0 offset:544
	buffer_load_dword v18, off, s[0:3], 0 offset:548
	;; [unrolled: 1-line block ×4, first 2 shown]
	s_waitcnt vmcnt(0) lgkmcnt(0)
	v_mul_f64 v[21:22], v[3:4], v[19:20]
	v_fma_f64 v[21:22], v[1:2], v[17:18], -v[21:22]
	v_mul_f64 v[1:2], v[1:2], v[19:20]
	v_fma_f64 v[1:2], v[3:4], v[17:18], v[1:2]
	buffer_load_dword v4, off, s[0:3], 0 offset:756
	buffer_load_dword v3, off, s[0:3], 0 offset:752
	s_waitcnt vmcnt(0)
	v_add_f64 v[3:4], v[3:4], -v[21:22]
	buffer_load_dword v22, off, s[0:3], 0 offset:764
	buffer_load_dword v21, off, s[0:3], 0 offset:760
	s_waitcnt vmcnt(0)
	v_add_f64 v[1:2], v[21:22], -v[1:2]
	buffer_store_dword v4, off, s[0:3], 0 offset:756
	buffer_store_dword v3, off, s[0:3], 0 offset:752
	buffer_store_dword v2, off, s[0:3], 0 offset:764
	buffer_store_dword v1, off, s[0:3], 0 offset:760
	ds_read2_b64 v[1:4], v117 offset0:96 offset1:97
	s_waitcnt lgkmcnt(0)
	v_mul_f64 v[21:22], v[3:4], v[19:20]
	v_fma_f64 v[21:22], v[1:2], v[17:18], -v[21:22]
	v_mul_f64 v[1:2], v[1:2], v[19:20]
	v_fma_f64 v[1:2], v[3:4], v[17:18], v[1:2]
	buffer_load_dword v3, off, s[0:3], 0 offset:768
	buffer_load_dword v4, off, s[0:3], 0 offset:772
	buffer_load_dword v23, off, s[0:3], 0 offset:776
	buffer_load_dword v24, off, s[0:3], 0 offset:780
	s_waitcnt vmcnt(2)
	v_add_f64 v[3:4], v[3:4], -v[21:22]
	s_waitcnt vmcnt(0)
	v_add_f64 v[1:2], v[23:24], -v[1:2]
	buffer_store_dword v4, off, s[0:3], 0 offset:772
	buffer_store_dword v3, off, s[0:3], 0 offset:768
	buffer_store_dword v2, off, s[0:3], 0 offset:780
	buffer_store_dword v1, off, s[0:3], 0 offset:776
	ds_read2_b64 v[1:4], v117 offset0:98 offset1:99
	s_waitcnt lgkmcnt(0)
	v_mul_f64 v[21:22], v[3:4], v[19:20]
	v_fma_f64 v[21:22], v[1:2], v[17:18], -v[21:22]
	v_mul_f64 v[1:2], v[1:2], v[19:20]
	v_fma_f64 v[1:2], v[3:4], v[17:18], v[1:2]
	buffer_load_dword v3, off, s[0:3], 0 offset:784
	buffer_load_dword v4, off, s[0:3], 0 offset:788
	buffer_load_dword v23, off, s[0:3], 0 offset:792
	buffer_load_dword v24, off, s[0:3], 0 offset:796
	s_waitcnt vmcnt(2)
	v_add_f64 v[3:4], v[3:4], -v[21:22]
	s_waitcnt vmcnt(0)
	v_add_f64 v[1:2], v[23:24], -v[1:2]
	buffer_store_dword v4, off, s[0:3], 0 offset:788
	buffer_store_dword v3, off, s[0:3], 0 offset:784
	buffer_store_dword v2, off, s[0:3], 0 offset:796
	buffer_store_dword v1, off, s[0:3], 0 offset:792
	ds_read2_b64 v[1:4], v117 offset0:100 offset1:101
	s_waitcnt lgkmcnt(0)
	v_mul_f64 v[21:22], v[3:4], v[19:20]
	v_fma_f64 v[21:22], v[1:2], v[17:18], -v[21:22]
	v_mul_f64 v[1:2], v[1:2], v[19:20]
	v_fma_f64 v[1:2], v[3:4], v[17:18], v[1:2]
	buffer_load_dword v3, off, s[0:3], 0 offset:800
	buffer_load_dword v4, off, s[0:3], 0 offset:804
	buffer_load_dword v23, off, s[0:3], 0 offset:808
	buffer_load_dword v24, off, s[0:3], 0 offset:812
	s_waitcnt vmcnt(2)
	v_add_f64 v[3:4], v[3:4], -v[21:22]
	s_waitcnt vmcnt(0)
	v_add_f64 v[1:2], v[23:24], -v[1:2]
	buffer_store_dword v4, off, s[0:3], 0 offset:804
	buffer_store_dword v3, off, s[0:3], 0 offset:800
	buffer_store_dword v2, off, s[0:3], 0 offset:812
	buffer_store_dword v1, off, s[0:3], 0 offset:808
	ds_read2_b64 v[1:4], v117 offset0:102 offset1:103
	s_waitcnt lgkmcnt(0)
	v_mul_f64 v[21:22], v[3:4], v[19:20]
	v_fma_f64 v[21:22], v[1:2], v[17:18], -v[21:22]
	v_mul_f64 v[1:2], v[1:2], v[19:20]
	v_fma_f64 v[1:2], v[3:4], v[17:18], v[1:2]
	buffer_load_dword v3, off, s[0:3], 0 offset:816
	buffer_load_dword v4, off, s[0:3], 0 offset:820
	buffer_load_dword v23, off, s[0:3], 0 offset:824
	buffer_load_dword v24, off, s[0:3], 0 offset:828
	s_waitcnt vmcnt(2)
	v_add_f64 v[3:4], v[3:4], -v[21:22]
	s_waitcnt vmcnt(0)
	v_add_f64 v[1:2], v[23:24], -v[1:2]
	buffer_store_dword v4, off, s[0:3], 0 offset:820
	buffer_store_dword v3, off, s[0:3], 0 offset:816
	buffer_store_dword v2, off, s[0:3], 0 offset:828
	buffer_store_dword v1, off, s[0:3], 0 offset:824
	ds_read2_b64 v[1:4], v117 offset0:104 offset1:105
	s_waitcnt lgkmcnt(0)
	v_mul_f64 v[21:22], v[3:4], v[19:20]
	v_fma_f64 v[21:22], v[1:2], v[17:18], -v[21:22]
	v_mul_f64 v[1:2], v[1:2], v[19:20]
	v_fma_f64 v[1:2], v[3:4], v[17:18], v[1:2]
	buffer_load_dword v3, off, s[0:3], 0 offset:832
	buffer_load_dword v4, off, s[0:3], 0 offset:836
	buffer_load_dword v17, off, s[0:3], 0 offset:840
	buffer_load_dword v18, off, s[0:3], 0 offset:844
	s_waitcnt vmcnt(2)
	v_add_f64 v[3:4], v[3:4], -v[21:22]
	s_waitcnt vmcnt(0)
	v_add_f64 v[1:2], v[17:18], -v[1:2]
	buffer_store_dword v4, off, s[0:3], 0 offset:836
	buffer_store_dword v3, off, s[0:3], 0 offset:832
	buffer_store_dword v2, off, s[0:3], 0 offset:844
	buffer_store_dword v1, off, s[0:3], 0 offset:840
	ds_read2_b64 v[1:4], v117 offset0:106 offset1:107
	buffer_load_dword v17, off, s[0:3], 0 offset:544
	buffer_load_dword v18, off, s[0:3], 0 offset:548
	;; [unrolled: 1-line block ×4, first 2 shown]
	s_waitcnt vmcnt(0) lgkmcnt(0)
	v_mul_f64 v[21:22], v[3:4], v[19:20]
	v_fma_f64 v[21:22], v[1:2], v[17:18], -v[21:22]
	v_mul_f64 v[1:2], v[1:2], v[19:20]
	v_fma_f64 v[1:2], v[3:4], v[17:18], v[1:2]
	buffer_load_dword v4, off, s[0:3], 0 offset:852
	buffer_load_dword v3, off, s[0:3], 0 offset:848
	s_waitcnt vmcnt(0)
	v_add_f64 v[3:4], v[3:4], -v[21:22]
	buffer_load_dword v22, off, s[0:3], 0 offset:860
	buffer_load_dword v21, off, s[0:3], 0 offset:856
	s_waitcnt vmcnt(0)
	v_add_f64 v[1:2], v[21:22], -v[1:2]
	buffer_store_dword v4, off, s[0:3], 0 offset:852
	buffer_store_dword v3, off, s[0:3], 0 offset:848
	buffer_store_dword v2, off, s[0:3], 0 offset:860
	buffer_store_dword v1, off, s[0:3], 0 offset:856
	ds_read2_b64 v[1:4], v117 offset0:108 offset1:109
	s_waitcnt lgkmcnt(0)
	v_mul_f64 v[21:22], v[3:4], v[19:20]
	v_fma_f64 v[21:22], v[1:2], v[17:18], -v[21:22]
	v_mul_f64 v[1:2], v[1:2], v[19:20]
	v_fma_f64 v[1:2], v[3:4], v[17:18], v[1:2]
	buffer_load_dword v3, off, s[0:3], 0 offset:864
	buffer_load_dword v4, off, s[0:3], 0 offset:868
	buffer_load_dword v23, off, s[0:3], 0 offset:872
	buffer_load_dword v24, off, s[0:3], 0 offset:876
	s_waitcnt vmcnt(2)
	v_add_f64 v[3:4], v[3:4], -v[21:22]
	s_waitcnt vmcnt(0)
	v_add_f64 v[1:2], v[23:24], -v[1:2]
	buffer_store_dword v4, off, s[0:3], 0 offset:868
	buffer_store_dword v3, off, s[0:3], 0 offset:864
	buffer_store_dword v2, off, s[0:3], 0 offset:876
	buffer_store_dword v1, off, s[0:3], 0 offset:872
	ds_read2_b64 v[1:4], v117 offset0:110 offset1:111
	s_waitcnt lgkmcnt(0)
	v_mul_f64 v[21:22], v[3:4], v[19:20]
	v_fma_f64 v[21:22], v[1:2], v[17:18], -v[21:22]
	v_mul_f64 v[1:2], v[1:2], v[19:20]
	v_fma_f64 v[1:2], v[3:4], v[17:18], v[1:2]
	buffer_load_dword v3, off, s[0:3], 0 offset:880
	buffer_load_dword v4, off, s[0:3], 0 offset:884
	buffer_load_dword v23, off, s[0:3], 0 offset:888
	buffer_load_dword v24, off, s[0:3], 0 offset:892
	s_waitcnt vmcnt(2)
	v_add_f64 v[3:4], v[3:4], -v[21:22]
	;; [unrolled: 18-line block ×5, first 2 shown]
	s_waitcnt vmcnt(0)
	v_add_f64 v[1:2], v[17:18], -v[1:2]
	buffer_store_dword v4, off, s[0:3], 0 offset:932
	buffer_store_dword v3, off, s[0:3], 0 offset:928
	;; [unrolled: 1-line block ×4, first 2 shown]
	ds_read2_b64 v[17:20], v117 offset0:118 offset1:119
	buffer_load_dword v21, off, s[0:3], 0 offset:544
	buffer_load_dword v22, off, s[0:3], 0 offset:548
	;; [unrolled: 1-line block ×4, first 2 shown]
	s_waitcnt vmcnt(0) lgkmcnt(0)
	v_mul_f64 v[1:2], v[19:20], v[23:24]
	v_fma_f64 v[25:26], v[17:18], v[21:22], -v[1:2]
	v_mul_f64 v[1:2], v[17:18], v[23:24]
	v_fma_f64 v[17:18], v[19:20], v[21:22], v[1:2]
	buffer_load_dword v2, off, s[0:3], 0 offset:948
	buffer_load_dword v1, off, s[0:3], 0 offset:944
	buffer_load_dword v4, off, s[0:3], 0 offset:956
	buffer_load_dword v3, off, s[0:3], 0 offset:952
	s_waitcnt vmcnt(2)
	v_add_f64 v[1:2], v[1:2], -v[25:26]
	s_waitcnt vmcnt(0)
	v_add_f64 v[3:4], v[3:4], -v[17:18]
	buffer_store_dword v2, off, s[0:3], 0 offset:948
	buffer_store_dword v1, off, s[0:3], 0 offset:944
	;; [unrolled: 1-line block ×4, first 2 shown]
	ds_read2_b64 v[1:4], v117 offset0:120 offset1:121
	s_waitcnt lgkmcnt(0)
	v_mul_f64 v[17:18], v[3:4], v[23:24]
	v_fma_f64 v[19:20], v[1:2], v[21:22], -v[17:18]
	v_mul_f64 v[1:2], v[1:2], v[23:24]
	v_fma_f64 v[17:18], v[3:4], v[21:22], v[1:2]
	buffer_load_dword v1, off, s[0:3], 0 offset:960
	buffer_load_dword v2, off, s[0:3], 0 offset:964
	;; [unrolled: 1-line block ×4, first 2 shown]
	s_waitcnt vmcnt(2)
	v_add_f64 v[1:2], v[1:2], -v[19:20]
	s_waitcnt vmcnt(0)
	v_add_f64 v[3:4], v[3:4], -v[17:18]
	buffer_store_dword v2, off, s[0:3], 0 offset:964
	buffer_store_dword v1, off, s[0:3], 0 offset:960
	;; [unrolled: 1-line block ×4, first 2 shown]
.LBB121_421:
	s_or_b64 exec, exec, s[6:7]
	v_cmp_eq_u32_e32 vcc, 35, v0
	s_waitcnt vmcnt(0) lgkmcnt(0)
	s_barrier
	s_and_saveexec_b64 s[8:9], vcc
	s_cbranch_execz .LBB121_428
; %bb.422:
	v_readlane_b32 s6, v126, 12
	v_mov_b32_e32 v4, s6
	buffer_load_dword v1, v4, s[0:3], 0 offen
	buffer_load_dword v2, v4, s[0:3], 0 offen offset:4
	buffer_load_dword v3, v4, s[0:3], 0 offen offset:8
	s_nop 0
	buffer_load_dword v4, v4, s[0:3], 0 offen offset:12
	v_readlane_b32 s6, v126, 13
	s_waitcnt vmcnt(0)
	ds_write2_b64 v125, v[1:2], v[3:4] offset1:1
	v_mov_b32_e32 v4, s38
	buffer_load_dword v1, v4, s[0:3], 0 offen
	buffer_load_dword v2, v4, s[0:3], 0 offen offset:4
	buffer_load_dword v3, v4, s[0:3], 0 offen offset:8
	s_nop 0
	buffer_load_dword v4, v4, s[0:3], 0 offen offset:12
	s_waitcnt vmcnt(0)
	ds_write2_b64 v117, v[1:2], v[3:4] offset0:72 offset1:73
	v_mov_b32_e32 v4, s6
	buffer_load_dword v1, v4, s[0:3], 0 offen
	buffer_load_dword v2, v4, s[0:3], 0 offen offset:4
	buffer_load_dword v3, v4, s[0:3], 0 offen offset:8
	s_nop 0
	buffer_load_dword v4, v4, s[0:3], 0 offen offset:12
	v_readlane_b32 s6, v126, 14
	s_waitcnt vmcnt(0)
	ds_write2_b64 v117, v[1:2], v[3:4] offset0:74 offset1:75
	v_mov_b32_e32 v4, s36
	buffer_load_dword v1, v4, s[0:3], 0 offen
	buffer_load_dword v2, v4, s[0:3], 0 offen offset:4
	buffer_load_dword v3, v4, s[0:3], 0 offen offset:8
	s_nop 0
	buffer_load_dword v4, v4, s[0:3], 0 offen offset:12
	s_waitcnt vmcnt(0)
	ds_write2_b64 v117, v[1:2], v[3:4] offset0:76 offset1:77
	v_mov_b32_e32 v4, s6
	buffer_load_dword v1, v4, s[0:3], 0 offen
	buffer_load_dword v2, v4, s[0:3], 0 offen offset:4
	buffer_load_dword v3, v4, s[0:3], 0 offen offset:8
	s_nop 0
	buffer_load_dword v4, v4, s[0:3], 0 offen offset:12
	v_readlane_b32 s6, v126, 15
	s_waitcnt vmcnt(0)
	ds_write2_b64 v117, v[1:2], v[3:4] offset0:78 offset1:79
	;; [unrolled: 17-line block ×9, first 2 shown]
	v_mov_b32_e32 v4, s18
	buffer_load_dword v1, v4, s[0:3], 0 offen
	buffer_load_dword v2, v4, s[0:3], 0 offen offset:4
	buffer_load_dword v3, v4, s[0:3], 0 offen offset:8
	s_nop 0
	buffer_load_dword v4, v4, s[0:3], 0 offen offset:12
	s_waitcnt vmcnt(0)
	ds_write2_b64 v117, v[1:2], v[3:4] offset0:108 offset1:109
	v_mov_b32_e32 v4, s6
	buffer_load_dword v1, v4, s[0:3], 0 offen
	buffer_load_dword v2, v4, s[0:3], 0 offen offset:4
	buffer_load_dword v3, v4, s[0:3], 0 offen offset:8
	s_nop 0
	buffer_load_dword v4, v4, s[0:3], 0 offen offset:12
	s_waitcnt vmcnt(0)
	ds_write2_b64 v117, v[1:2], v[3:4] offset0:110 offset1:111
	;; [unrolled: 8-line block ×7, first 2 shown]
	ds_read2_b64 v[17:20], v125 offset1:1
	s_waitcnt lgkmcnt(0)
	v_cmp_neq_f64_e32 vcc, 0, v[17:18]
	v_cmp_neq_f64_e64 s[6:7], 0, v[19:20]
	s_or_b64 s[6:7], vcc, s[6:7]
	s_and_b64 exec, exec, s[6:7]
	s_cbranch_execz .LBB121_428
; %bb.423:
	v_cmp_ngt_f64_e64 s[6:7], |v[17:18]|, |v[19:20]|
                                        ; implicit-def: $vgpr1_vgpr2
	s_and_saveexec_b64 s[10:11], s[6:7]
	s_xor_b64 s[6:7], exec, s[10:11]
                                        ; implicit-def: $vgpr3_vgpr4
	s_cbranch_execz .LBB121_425
; %bb.424:
	v_div_scale_f64 v[1:2], s[10:11], v[19:20], v[19:20], v[17:18]
	v_rcp_f64_e32 v[3:4], v[1:2]
	v_fma_f64 v[21:22], -v[1:2], v[3:4], 1.0
	v_fma_f64 v[3:4], v[3:4], v[21:22], v[3:4]
	v_div_scale_f64 v[21:22], vcc, v[17:18], v[19:20], v[17:18]
	v_fma_f64 v[23:24], -v[1:2], v[3:4], 1.0
	v_fma_f64 v[3:4], v[3:4], v[23:24], v[3:4]
	v_mul_f64 v[23:24], v[21:22], v[3:4]
	v_fma_f64 v[1:2], -v[1:2], v[23:24], v[21:22]
	v_div_fmas_f64 v[1:2], v[1:2], v[3:4], v[23:24]
	v_div_fixup_f64 v[1:2], v[1:2], v[19:20], v[17:18]
	v_fma_f64 v[3:4], v[17:18], v[1:2], v[19:20]
	v_div_scale_f64 v[17:18], s[10:11], v[3:4], v[3:4], 1.0
	v_div_scale_f64 v[23:24], vcc, 1.0, v[3:4], 1.0
	v_rcp_f64_e32 v[19:20], v[17:18]
	v_fma_f64 v[21:22], -v[17:18], v[19:20], 1.0
	v_fma_f64 v[19:20], v[19:20], v[21:22], v[19:20]
	v_fma_f64 v[21:22], -v[17:18], v[19:20], 1.0
	v_fma_f64 v[19:20], v[19:20], v[21:22], v[19:20]
	v_mul_f64 v[21:22], v[23:24], v[19:20]
	v_fma_f64 v[17:18], -v[17:18], v[21:22], v[23:24]
	v_div_fmas_f64 v[17:18], v[17:18], v[19:20], v[21:22]
	v_div_fixup_f64 v[3:4], v[17:18], v[3:4], 1.0
                                        ; implicit-def: $vgpr17_vgpr18
	v_mul_f64 v[1:2], v[1:2], v[3:4]
	v_xor_b32_e32 v4, 0x80000000, v4
.LBB121_425:
	s_andn2_saveexec_b64 s[6:7], s[6:7]
	s_cbranch_execz .LBB121_427
; %bb.426:
	v_div_scale_f64 v[1:2], s[10:11], v[17:18], v[17:18], v[19:20]
	v_rcp_f64_e32 v[3:4], v[1:2]
	v_fma_f64 v[21:22], -v[1:2], v[3:4], 1.0
	v_fma_f64 v[3:4], v[3:4], v[21:22], v[3:4]
	v_div_scale_f64 v[21:22], vcc, v[19:20], v[17:18], v[19:20]
	v_fma_f64 v[23:24], -v[1:2], v[3:4], 1.0
	v_fma_f64 v[3:4], v[3:4], v[23:24], v[3:4]
	v_mul_f64 v[23:24], v[21:22], v[3:4]
	v_fma_f64 v[1:2], -v[1:2], v[23:24], v[21:22]
	v_div_fmas_f64 v[1:2], v[1:2], v[3:4], v[23:24]
	v_div_fixup_f64 v[3:4], v[1:2], v[17:18], v[19:20]
	v_fma_f64 v[1:2], v[19:20], v[3:4], v[17:18]
	v_div_scale_f64 v[17:18], s[10:11], v[1:2], v[1:2], 1.0
	v_div_scale_f64 v[23:24], vcc, 1.0, v[1:2], 1.0
	v_rcp_f64_e32 v[19:20], v[17:18]
	v_fma_f64 v[21:22], -v[17:18], v[19:20], 1.0
	v_fma_f64 v[19:20], v[19:20], v[21:22], v[19:20]
	v_fma_f64 v[21:22], -v[17:18], v[19:20], 1.0
	v_fma_f64 v[19:20], v[19:20], v[21:22], v[19:20]
	v_mul_f64 v[21:22], v[23:24], v[19:20]
	v_fma_f64 v[17:18], -v[17:18], v[21:22], v[23:24]
	v_div_fmas_f64 v[17:18], v[17:18], v[19:20], v[21:22]
	v_div_fixup_f64 v[1:2], v[17:18], v[1:2], 1.0
	v_mul_f64 v[3:4], v[3:4], -v[1:2]
.LBB121_427:
	s_or_b64 exec, exec, s[6:7]
	ds_write2_b64 v125, v[1:2], v[3:4] offset1:1
.LBB121_428:
	s_or_b64 exec, exec, s[8:9]
	s_waitcnt lgkmcnt(0)
	s_barrier
	ds_read2_b64 v[17:20], v125 offset1:1
	v_cmp_lt_u32_e32 vcc, 35, v0
	s_and_saveexec_b64 s[6:7], vcc
	s_cbranch_execz .LBB121_430
; %bb.429:
	buffer_load_dword v1, off, s[0:3], 0 offset:560
	buffer_load_dword v2, off, s[0:3], 0 offset:564
	;; [unrolled: 1-line block ×16, first 2 shown]
	s_waitcnt vmcnt(12) lgkmcnt(0)
	v_mul_f64 v[21:22], v[19:20], v[3:4]
	v_mul_f64 v[3:4], v[17:18], v[3:4]
	v_fma_f64 v[21:22], v[17:18], v[1:2], -v[21:22]
	v_fma_f64 v[23:24], v[19:20], v[1:2], v[3:4]
	buffer_store_dword v21, off, s[0:3], 0 offset:560
	buffer_store_dword v22, off, s[0:3], 0 offset:564
	buffer_store_dword v23, off, s[0:3], 0 offset:568
	buffer_store_dword v24, off, s[0:3], 0 offset:572
	ds_read2_b64 v[1:4], v117 offset0:72 offset1:73
	s_waitcnt lgkmcnt(0)
	v_mul_f64 v[37:38], v[3:4], v[23:24]
	v_fma_f64 v[37:38], v[1:2], v[21:22], -v[37:38]
	v_mul_f64 v[1:2], v[1:2], v[23:24]
	v_fma_f64 v[1:2], v[3:4], v[21:22], v[1:2]
	s_waitcnt vmcnt(14)
	v_add_f64 v[3:4], v[25:26], -v[37:38]
	s_waitcnt vmcnt(12)
	v_add_f64 v[1:2], v[27:28], -v[1:2]
	buffer_store_dword v3, off, s[0:3], 0 offset:576
	buffer_store_dword v4, off, s[0:3], 0 offset:580
	buffer_store_dword v1, off, s[0:3], 0 offset:584
	buffer_store_dword v2, off, s[0:3], 0 offset:588
	ds_read2_b64 v[1:4], v117 offset0:74 offset1:75
	s_waitcnt lgkmcnt(0)
	v_mul_f64 v[25:26], v[3:4], v[23:24]
	v_fma_f64 v[25:26], v[1:2], v[21:22], -v[25:26]
	v_mul_f64 v[1:2], v[1:2], v[23:24]
	v_fma_f64 v[1:2], v[3:4], v[21:22], v[1:2]
	s_waitcnt vmcnt(14)
	v_add_f64 v[3:4], v[29:30], -v[25:26]
	s_waitcnt vmcnt(12)
	v_add_f64 v[1:2], v[31:32], -v[1:2]
	;; [unrolled: 14-line block ×3, first 2 shown]
	buffer_store_dword v4, off, s[0:3], 0 offset:612
	buffer_store_dword v3, off, s[0:3], 0 offset:608
	buffer_store_dword v1, off, s[0:3], 0 offset:616
	buffer_store_dword v2, off, s[0:3], 0 offset:620
	ds_read2_b64 v[1:4], v117 offset0:78 offset1:79
	s_waitcnt lgkmcnt(0)
	v_mul_f64 v[25:26], v[3:4], v[23:24]
	v_fma_f64 v[25:26], v[1:2], v[21:22], -v[25:26]
	v_mul_f64 v[1:2], v[1:2], v[23:24]
	v_fma_f64 v[1:2], v[3:4], v[21:22], v[1:2]
	buffer_load_dword v3, off, s[0:3], 0 offset:624
	buffer_load_dword v4, off, s[0:3], 0 offset:628
	buffer_load_dword v27, off, s[0:3], 0 offset:632
	buffer_load_dword v28, off, s[0:3], 0 offset:636
	s_waitcnt vmcnt(2)
	v_add_f64 v[3:4], v[3:4], -v[25:26]
	s_waitcnt vmcnt(0)
	v_add_f64 v[1:2], v[27:28], -v[1:2]
	buffer_store_dword v4, off, s[0:3], 0 offset:628
	buffer_store_dword v3, off, s[0:3], 0 offset:624
	buffer_store_dword v2, off, s[0:3], 0 offset:636
	buffer_store_dword v1, off, s[0:3], 0 offset:632
	ds_read2_b64 v[1:4], v117 offset0:80 offset1:81
	s_waitcnt lgkmcnt(0)
	v_mul_f64 v[25:26], v[3:4], v[23:24]
	v_fma_f64 v[25:26], v[1:2], v[21:22], -v[25:26]
	v_mul_f64 v[1:2], v[1:2], v[23:24]
	v_fma_f64 v[1:2], v[3:4], v[21:22], v[1:2]
	buffer_load_dword v3, off, s[0:3], 0 offset:640
	buffer_load_dword v4, off, s[0:3], 0 offset:644
	buffer_load_dword v27, off, s[0:3], 0 offset:648
	buffer_load_dword v28, off, s[0:3], 0 offset:652
	s_waitcnt vmcnt(2)
	v_add_f64 v[3:4], v[3:4], -v[25:26]
	s_waitcnt vmcnt(0)
	v_add_f64 v[1:2], v[27:28], -v[1:2]
	;; [unrolled: 18-line block ×3, first 2 shown]
	buffer_store_dword v4, off, s[0:3], 0 offset:660
	buffer_store_dword v3, off, s[0:3], 0 offset:656
	;; [unrolled: 1-line block ×4, first 2 shown]
	ds_read2_b64 v[1:4], v117 offset0:84 offset1:85
	buffer_load_dword v21, off, s[0:3], 0 offset:560
	buffer_load_dword v22, off, s[0:3], 0 offset:564
	;; [unrolled: 1-line block ×4, first 2 shown]
	s_waitcnt vmcnt(0) lgkmcnt(0)
	v_mul_f64 v[25:26], v[3:4], v[23:24]
	v_fma_f64 v[25:26], v[1:2], v[21:22], -v[25:26]
	v_mul_f64 v[1:2], v[1:2], v[23:24]
	v_fma_f64 v[1:2], v[3:4], v[21:22], v[1:2]
	buffer_load_dword v4, off, s[0:3], 0 offset:676
	buffer_load_dword v3, off, s[0:3], 0 offset:672
	s_waitcnt vmcnt(0)
	v_add_f64 v[3:4], v[3:4], -v[25:26]
	buffer_load_dword v26, off, s[0:3], 0 offset:684
	buffer_load_dword v25, off, s[0:3], 0 offset:680
	s_waitcnt vmcnt(0)
	v_add_f64 v[1:2], v[25:26], -v[1:2]
	buffer_store_dword v4, off, s[0:3], 0 offset:676
	buffer_store_dword v3, off, s[0:3], 0 offset:672
	buffer_store_dword v2, off, s[0:3], 0 offset:684
	buffer_store_dword v1, off, s[0:3], 0 offset:680
	ds_read2_b64 v[1:4], v117 offset0:86 offset1:87
	s_waitcnt lgkmcnt(0)
	v_mul_f64 v[25:26], v[3:4], v[23:24]
	v_fma_f64 v[25:26], v[1:2], v[21:22], -v[25:26]
	v_mul_f64 v[1:2], v[1:2], v[23:24]
	v_fma_f64 v[1:2], v[3:4], v[21:22], v[1:2]
	buffer_load_dword v3, off, s[0:3], 0 offset:688
	buffer_load_dword v4, off, s[0:3], 0 offset:692
	buffer_load_dword v27, off, s[0:3], 0 offset:696
	buffer_load_dword v28, off, s[0:3], 0 offset:700
	s_waitcnt vmcnt(2)
	v_add_f64 v[3:4], v[3:4], -v[25:26]
	s_waitcnt vmcnt(0)
	v_add_f64 v[1:2], v[27:28], -v[1:2]
	buffer_store_dword v4, off, s[0:3], 0 offset:692
	buffer_store_dword v3, off, s[0:3], 0 offset:688
	buffer_store_dword v2, off, s[0:3], 0 offset:700
	buffer_store_dword v1, off, s[0:3], 0 offset:696
	ds_read2_b64 v[1:4], v117 offset0:88 offset1:89
	s_waitcnt lgkmcnt(0)
	v_mul_f64 v[25:26], v[3:4], v[23:24]
	v_fma_f64 v[25:26], v[1:2], v[21:22], -v[25:26]
	v_mul_f64 v[1:2], v[1:2], v[23:24]
	v_fma_f64 v[1:2], v[3:4], v[21:22], v[1:2]
	buffer_load_dword v3, off, s[0:3], 0 offset:704
	buffer_load_dword v4, off, s[0:3], 0 offset:708
	buffer_load_dword v27, off, s[0:3], 0 offset:712
	buffer_load_dword v28, off, s[0:3], 0 offset:716
	s_waitcnt vmcnt(2)
	v_add_f64 v[3:4], v[3:4], -v[25:26]
	;; [unrolled: 18-line block ×5, first 2 shown]
	s_waitcnt vmcnt(0)
	v_add_f64 v[1:2], v[21:22], -v[1:2]
	buffer_store_dword v4, off, s[0:3], 0 offset:756
	buffer_store_dword v3, off, s[0:3], 0 offset:752
	;; [unrolled: 1-line block ×4, first 2 shown]
	ds_read2_b64 v[1:4], v117 offset0:96 offset1:97
	buffer_load_dword v21, off, s[0:3], 0 offset:560
	buffer_load_dword v22, off, s[0:3], 0 offset:564
	buffer_load_dword v23, off, s[0:3], 0 offset:568
	buffer_load_dword v24, off, s[0:3], 0 offset:572
	s_waitcnt vmcnt(0) lgkmcnt(0)
	v_mul_f64 v[25:26], v[3:4], v[23:24]
	v_fma_f64 v[25:26], v[1:2], v[21:22], -v[25:26]
	v_mul_f64 v[1:2], v[1:2], v[23:24]
	v_fma_f64 v[1:2], v[3:4], v[21:22], v[1:2]
	buffer_load_dword v4, off, s[0:3], 0 offset:772
	buffer_load_dword v3, off, s[0:3], 0 offset:768
	s_waitcnt vmcnt(0)
	v_add_f64 v[3:4], v[3:4], -v[25:26]
	buffer_load_dword v26, off, s[0:3], 0 offset:780
	buffer_load_dword v25, off, s[0:3], 0 offset:776
	s_waitcnt vmcnt(0)
	v_add_f64 v[1:2], v[25:26], -v[1:2]
	buffer_store_dword v4, off, s[0:3], 0 offset:772
	buffer_store_dword v3, off, s[0:3], 0 offset:768
	buffer_store_dword v2, off, s[0:3], 0 offset:780
	buffer_store_dword v1, off, s[0:3], 0 offset:776
	ds_read2_b64 v[1:4], v117 offset0:98 offset1:99
	s_waitcnt lgkmcnt(0)
	v_mul_f64 v[25:26], v[3:4], v[23:24]
	v_fma_f64 v[25:26], v[1:2], v[21:22], -v[25:26]
	v_mul_f64 v[1:2], v[1:2], v[23:24]
	v_fma_f64 v[1:2], v[3:4], v[21:22], v[1:2]
	buffer_load_dword v3, off, s[0:3], 0 offset:784
	buffer_load_dword v4, off, s[0:3], 0 offset:788
	buffer_load_dword v27, off, s[0:3], 0 offset:792
	buffer_load_dword v28, off, s[0:3], 0 offset:796
	s_waitcnt vmcnt(2)
	v_add_f64 v[3:4], v[3:4], -v[25:26]
	s_waitcnt vmcnt(0)
	v_add_f64 v[1:2], v[27:28], -v[1:2]
	buffer_store_dword v4, off, s[0:3], 0 offset:788
	buffer_store_dword v3, off, s[0:3], 0 offset:784
	buffer_store_dword v2, off, s[0:3], 0 offset:796
	buffer_store_dword v1, off, s[0:3], 0 offset:792
	ds_read2_b64 v[1:4], v117 offset0:100 offset1:101
	s_waitcnt lgkmcnt(0)
	v_mul_f64 v[25:26], v[3:4], v[23:24]
	v_fma_f64 v[25:26], v[1:2], v[21:22], -v[25:26]
	v_mul_f64 v[1:2], v[1:2], v[23:24]
	v_fma_f64 v[1:2], v[3:4], v[21:22], v[1:2]
	buffer_load_dword v3, off, s[0:3], 0 offset:800
	buffer_load_dword v4, off, s[0:3], 0 offset:804
	buffer_load_dword v27, off, s[0:3], 0 offset:808
	buffer_load_dword v28, off, s[0:3], 0 offset:812
	s_waitcnt vmcnt(2)
	v_add_f64 v[3:4], v[3:4], -v[25:26]
	;; [unrolled: 18-line block ×5, first 2 shown]
	s_waitcnt vmcnt(0)
	v_add_f64 v[1:2], v[21:22], -v[1:2]
	buffer_store_dword v4, off, s[0:3], 0 offset:852
	buffer_store_dword v3, off, s[0:3], 0 offset:848
	;; [unrolled: 1-line block ×4, first 2 shown]
	ds_read2_b64 v[1:4], v117 offset0:108 offset1:109
	buffer_load_dword v21, off, s[0:3], 0 offset:560
	buffer_load_dword v22, off, s[0:3], 0 offset:564
	;; [unrolled: 1-line block ×4, first 2 shown]
	s_waitcnt vmcnt(0) lgkmcnt(0)
	v_mul_f64 v[25:26], v[3:4], v[23:24]
	v_fma_f64 v[25:26], v[1:2], v[21:22], -v[25:26]
	v_mul_f64 v[1:2], v[1:2], v[23:24]
	v_fma_f64 v[1:2], v[3:4], v[21:22], v[1:2]
	buffer_load_dword v4, off, s[0:3], 0 offset:868
	buffer_load_dword v3, off, s[0:3], 0 offset:864
	s_waitcnt vmcnt(0)
	v_add_f64 v[3:4], v[3:4], -v[25:26]
	buffer_load_dword v26, off, s[0:3], 0 offset:876
	buffer_load_dword v25, off, s[0:3], 0 offset:872
	s_waitcnt vmcnt(0)
	v_add_f64 v[1:2], v[25:26], -v[1:2]
	buffer_store_dword v4, off, s[0:3], 0 offset:868
	buffer_store_dword v3, off, s[0:3], 0 offset:864
	buffer_store_dword v2, off, s[0:3], 0 offset:876
	buffer_store_dword v1, off, s[0:3], 0 offset:872
	ds_read2_b64 v[1:4], v117 offset0:110 offset1:111
	s_waitcnt lgkmcnt(0)
	v_mul_f64 v[25:26], v[3:4], v[23:24]
	v_fma_f64 v[25:26], v[1:2], v[21:22], -v[25:26]
	v_mul_f64 v[1:2], v[1:2], v[23:24]
	v_fma_f64 v[1:2], v[3:4], v[21:22], v[1:2]
	buffer_load_dword v3, off, s[0:3], 0 offset:880
	buffer_load_dword v4, off, s[0:3], 0 offset:884
	buffer_load_dword v27, off, s[0:3], 0 offset:888
	buffer_load_dword v28, off, s[0:3], 0 offset:892
	s_waitcnt vmcnt(2)
	v_add_f64 v[3:4], v[3:4], -v[25:26]
	s_waitcnt vmcnt(0)
	v_add_f64 v[1:2], v[27:28], -v[1:2]
	buffer_store_dword v4, off, s[0:3], 0 offset:884
	buffer_store_dword v3, off, s[0:3], 0 offset:880
	buffer_store_dword v2, off, s[0:3], 0 offset:892
	buffer_store_dword v1, off, s[0:3], 0 offset:888
	ds_read2_b64 v[1:4], v117 offset0:112 offset1:113
	s_waitcnt lgkmcnt(0)
	v_mul_f64 v[25:26], v[3:4], v[23:24]
	v_fma_f64 v[25:26], v[1:2], v[21:22], -v[25:26]
	v_mul_f64 v[1:2], v[1:2], v[23:24]
	v_fma_f64 v[1:2], v[3:4], v[21:22], v[1:2]
	buffer_load_dword v3, off, s[0:3], 0 offset:896
	buffer_load_dword v4, off, s[0:3], 0 offset:900
	buffer_load_dword v27, off, s[0:3], 0 offset:904
	buffer_load_dword v28, off, s[0:3], 0 offset:908
	s_waitcnt vmcnt(2)
	v_add_f64 v[3:4], v[3:4], -v[25:26]
	s_waitcnt vmcnt(0)
	v_add_f64 v[1:2], v[27:28], -v[1:2]
	buffer_store_dword v4, off, s[0:3], 0 offset:900
	buffer_store_dword v3, off, s[0:3], 0 offset:896
	buffer_store_dword v2, off, s[0:3], 0 offset:908
	buffer_store_dword v1, off, s[0:3], 0 offset:904
	ds_read2_b64 v[1:4], v117 offset0:114 offset1:115
	s_waitcnt lgkmcnt(0)
	v_mul_f64 v[25:26], v[3:4], v[23:24]
	v_fma_f64 v[25:26], v[1:2], v[21:22], -v[25:26]
	v_mul_f64 v[1:2], v[1:2], v[23:24]
	v_fma_f64 v[1:2], v[3:4], v[21:22], v[1:2]
	buffer_load_dword v3, off, s[0:3], 0 offset:912
	buffer_load_dword v4, off, s[0:3], 0 offset:916
	buffer_load_dword v27, off, s[0:3], 0 offset:920
	buffer_load_dword v28, off, s[0:3], 0 offset:924
	s_waitcnt vmcnt(2)
	v_add_f64 v[3:4], v[3:4], -v[25:26]
	s_waitcnt vmcnt(0)
	v_add_f64 v[1:2], v[27:28], -v[1:2]
	buffer_store_dword v4, off, s[0:3], 0 offset:916
	buffer_store_dword v3, off, s[0:3], 0 offset:912
	buffer_store_dword v2, off, s[0:3], 0 offset:924
	buffer_store_dword v1, off, s[0:3], 0 offset:920
	ds_read2_b64 v[1:4], v117 offset0:116 offset1:117
	s_waitcnt lgkmcnt(0)
	v_mul_f64 v[25:26], v[3:4], v[23:24]
	v_fma_f64 v[25:26], v[1:2], v[21:22], -v[25:26]
	v_mul_f64 v[1:2], v[1:2], v[23:24]
	v_fma_f64 v[1:2], v[3:4], v[21:22], v[1:2]
	buffer_load_dword v3, off, s[0:3], 0 offset:928
	buffer_load_dword v4, off, s[0:3], 0 offset:932
	buffer_load_dword v27, off, s[0:3], 0 offset:936
	buffer_load_dword v28, off, s[0:3], 0 offset:940
	s_waitcnt vmcnt(2)
	v_add_f64 v[3:4], v[3:4], -v[25:26]
	s_waitcnt vmcnt(0)
	v_add_f64 v[1:2], v[27:28], -v[1:2]
	buffer_store_dword v4, off, s[0:3], 0 offset:932
	buffer_store_dword v3, off, s[0:3], 0 offset:928
	buffer_store_dword v2, off, s[0:3], 0 offset:940
	buffer_store_dword v1, off, s[0:3], 0 offset:936
	ds_read2_b64 v[1:4], v117 offset0:118 offset1:119
	s_waitcnt lgkmcnt(0)
	v_mul_f64 v[25:26], v[3:4], v[23:24]
	v_fma_f64 v[25:26], v[1:2], v[21:22], -v[25:26]
	v_mul_f64 v[1:2], v[1:2], v[23:24]
	v_fma_f64 v[1:2], v[3:4], v[21:22], v[1:2]
	buffer_load_dword v3, off, s[0:3], 0 offset:944
	buffer_load_dword v4, off, s[0:3], 0 offset:948
	buffer_load_dword v21, off, s[0:3], 0 offset:952
	buffer_load_dword v22, off, s[0:3], 0 offset:956
	s_waitcnt vmcnt(2)
	v_add_f64 v[3:4], v[3:4], -v[25:26]
	s_waitcnt vmcnt(0)
	v_add_f64 v[1:2], v[21:22], -v[1:2]
	buffer_store_dword v4, off, s[0:3], 0 offset:948
	buffer_store_dword v3, off, s[0:3], 0 offset:944
	;; [unrolled: 1-line block ×4, first 2 shown]
	ds_read2_b64 v[21:24], v117 offset0:120 offset1:121
	buffer_load_dword v25, off, s[0:3], 0 offset:560
	buffer_load_dword v26, off, s[0:3], 0 offset:564
	buffer_load_dword v1, off, s[0:3], 0 offset:568
	buffer_load_dword v2, off, s[0:3], 0 offset:572
	s_waitcnt vmcnt(0) lgkmcnt(0)
	v_mul_f64 v[3:4], v[23:24], v[1:2]
	v_mul_f64 v[1:2], v[21:22], v[1:2]
	v_fma_f64 v[27:28], v[21:22], v[25:26], -v[3:4]
	v_fma_f64 v[21:22], v[23:24], v[25:26], v[1:2]
	buffer_load_dword v2, off, s[0:3], 0 offset:964
	buffer_load_dword v1, off, s[0:3], 0 offset:960
	s_waitcnt vmcnt(0)
	v_add_f64 v[23:24], v[1:2], -v[27:28]
	buffer_load_dword v2, off, s[0:3], 0 offset:972
	buffer_load_dword v1, off, s[0:3], 0 offset:968
	s_waitcnt vmcnt(0)
	v_add_f64 v[1:2], v[1:2], -v[21:22]
	buffer_store_dword v24, off, s[0:3], 0 offset:964
	buffer_store_dword v23, off, s[0:3], 0 offset:960
	;; [unrolled: 1-line block ×4, first 2 shown]
.LBB121_430:
	s_or_b64 exec, exec, s[6:7]
	v_cmp_eq_u32_e32 vcc, 36, v0
	s_waitcnt vmcnt(0) lgkmcnt(0)
	s_barrier
	s_and_saveexec_b64 s[8:9], vcc
	s_cbranch_execz .LBB121_437
; %bb.431:
	v_mov_b32_e32 v4, s38
	buffer_load_dword v1, v4, s[0:3], 0 offen
	buffer_load_dword v2, v4, s[0:3], 0 offen offset:4
	buffer_load_dword v3, v4, s[0:3], 0 offen offset:8
	s_nop 0
	buffer_load_dword v4, v4, s[0:3], 0 offen offset:12
	v_readlane_b32 s6, v126, 13
	s_waitcnt vmcnt(0)
	ds_write2_b64 v125, v[1:2], v[3:4] offset1:1
	v_mov_b32_e32 v4, s6
	buffer_load_dword v1, v4, s[0:3], 0 offen
	buffer_load_dword v2, v4, s[0:3], 0 offen offset:4
	buffer_load_dword v3, v4, s[0:3], 0 offen offset:8
	s_nop 0
	buffer_load_dword v4, v4, s[0:3], 0 offen offset:12
	v_readlane_b32 s6, v126, 14
	s_waitcnt vmcnt(0)
	ds_write2_b64 v117, v[1:2], v[3:4] offset0:74 offset1:75
	v_mov_b32_e32 v4, s36
	buffer_load_dword v1, v4, s[0:3], 0 offen
	buffer_load_dword v2, v4, s[0:3], 0 offen offset:4
	buffer_load_dword v3, v4, s[0:3], 0 offen offset:8
	s_nop 0
	buffer_load_dword v4, v4, s[0:3], 0 offen offset:12
	s_waitcnt vmcnt(0)
	ds_write2_b64 v117, v[1:2], v[3:4] offset0:76 offset1:77
	v_mov_b32_e32 v4, s6
	buffer_load_dword v1, v4, s[0:3], 0 offen
	buffer_load_dword v2, v4, s[0:3], 0 offen offset:4
	buffer_load_dword v3, v4, s[0:3], 0 offen offset:8
	s_nop 0
	buffer_load_dword v4, v4, s[0:3], 0 offen offset:12
	v_readlane_b32 s6, v126, 15
	s_waitcnt vmcnt(0)
	ds_write2_b64 v117, v[1:2], v[3:4] offset0:78 offset1:79
	v_mov_b32_e32 v4, s34
	buffer_load_dword v1, v4, s[0:3], 0 offen
	buffer_load_dword v2, v4, s[0:3], 0 offen offset:4
	buffer_load_dword v3, v4, s[0:3], 0 offen offset:8
	s_nop 0
	buffer_load_dword v4, v4, s[0:3], 0 offen offset:12
	s_waitcnt vmcnt(0)
	ds_write2_b64 v117, v[1:2], v[3:4] offset0:80 offset1:81
	;; [unrolled: 17-line block ×9, first 2 shown]
	v_mov_b32_e32 v4, s6
	buffer_load_dword v1, v4, s[0:3], 0 offen
	buffer_load_dword v2, v4, s[0:3], 0 offen offset:4
	buffer_load_dword v3, v4, s[0:3], 0 offen offset:8
	s_nop 0
	buffer_load_dword v4, v4, s[0:3], 0 offen offset:12
	s_waitcnt vmcnt(0)
	ds_write2_b64 v117, v[1:2], v[3:4] offset0:110 offset1:111
	v_mov_b32_e32 v4, s16
	buffer_load_dword v1, v4, s[0:3], 0 offen
	buffer_load_dword v2, v4, s[0:3], 0 offen offset:4
	buffer_load_dword v3, v4, s[0:3], 0 offen offset:8
	s_nop 0
	buffer_load_dword v4, v4, s[0:3], 0 offen offset:12
	s_waitcnt vmcnt(0)
	ds_write2_b64 v117, v[1:2], v[3:4] offset0:112 offset1:113
	;; [unrolled: 8-line block ×6, first 2 shown]
	ds_read2_b64 v[21:24], v125 offset1:1
	s_waitcnt lgkmcnt(0)
	v_cmp_neq_f64_e32 vcc, 0, v[21:22]
	v_cmp_neq_f64_e64 s[6:7], 0, v[23:24]
	s_or_b64 s[6:7], vcc, s[6:7]
	s_and_b64 exec, exec, s[6:7]
	s_cbranch_execz .LBB121_437
; %bb.432:
	v_cmp_ngt_f64_e64 s[6:7], |v[21:22]|, |v[23:24]|
                                        ; implicit-def: $vgpr1_vgpr2
	s_and_saveexec_b64 s[10:11], s[6:7]
	s_xor_b64 s[6:7], exec, s[10:11]
                                        ; implicit-def: $vgpr3_vgpr4
	s_cbranch_execz .LBB121_434
; %bb.433:
	v_div_scale_f64 v[1:2], s[10:11], v[23:24], v[23:24], v[21:22]
	v_rcp_f64_e32 v[3:4], v[1:2]
	v_fma_f64 v[25:26], -v[1:2], v[3:4], 1.0
	v_fma_f64 v[3:4], v[3:4], v[25:26], v[3:4]
	v_div_scale_f64 v[25:26], vcc, v[21:22], v[23:24], v[21:22]
	v_fma_f64 v[27:28], -v[1:2], v[3:4], 1.0
	v_fma_f64 v[3:4], v[3:4], v[27:28], v[3:4]
	v_mul_f64 v[27:28], v[25:26], v[3:4]
	v_fma_f64 v[1:2], -v[1:2], v[27:28], v[25:26]
	v_div_fmas_f64 v[1:2], v[1:2], v[3:4], v[27:28]
	v_div_fixup_f64 v[1:2], v[1:2], v[23:24], v[21:22]
	v_fma_f64 v[3:4], v[21:22], v[1:2], v[23:24]
	v_div_scale_f64 v[21:22], s[10:11], v[3:4], v[3:4], 1.0
	v_div_scale_f64 v[27:28], vcc, 1.0, v[3:4], 1.0
	v_rcp_f64_e32 v[23:24], v[21:22]
	v_fma_f64 v[25:26], -v[21:22], v[23:24], 1.0
	v_fma_f64 v[23:24], v[23:24], v[25:26], v[23:24]
	v_fma_f64 v[25:26], -v[21:22], v[23:24], 1.0
	v_fma_f64 v[23:24], v[23:24], v[25:26], v[23:24]
	v_mul_f64 v[25:26], v[27:28], v[23:24]
	v_fma_f64 v[21:22], -v[21:22], v[25:26], v[27:28]
	v_div_fmas_f64 v[21:22], v[21:22], v[23:24], v[25:26]
	v_div_fixup_f64 v[3:4], v[21:22], v[3:4], 1.0
                                        ; implicit-def: $vgpr21_vgpr22
	v_mul_f64 v[1:2], v[1:2], v[3:4]
	v_xor_b32_e32 v4, 0x80000000, v4
.LBB121_434:
	s_andn2_saveexec_b64 s[6:7], s[6:7]
	s_cbranch_execz .LBB121_436
; %bb.435:
	v_div_scale_f64 v[1:2], s[10:11], v[21:22], v[21:22], v[23:24]
	v_rcp_f64_e32 v[3:4], v[1:2]
	v_fma_f64 v[25:26], -v[1:2], v[3:4], 1.0
	v_fma_f64 v[3:4], v[3:4], v[25:26], v[3:4]
	v_div_scale_f64 v[25:26], vcc, v[23:24], v[21:22], v[23:24]
	v_fma_f64 v[27:28], -v[1:2], v[3:4], 1.0
	v_fma_f64 v[3:4], v[3:4], v[27:28], v[3:4]
	v_mul_f64 v[27:28], v[25:26], v[3:4]
	v_fma_f64 v[1:2], -v[1:2], v[27:28], v[25:26]
	v_div_fmas_f64 v[1:2], v[1:2], v[3:4], v[27:28]
	v_div_fixup_f64 v[3:4], v[1:2], v[21:22], v[23:24]
	v_fma_f64 v[1:2], v[23:24], v[3:4], v[21:22]
	v_div_scale_f64 v[21:22], s[10:11], v[1:2], v[1:2], 1.0
	v_div_scale_f64 v[27:28], vcc, 1.0, v[1:2], 1.0
	v_rcp_f64_e32 v[23:24], v[21:22]
	v_fma_f64 v[25:26], -v[21:22], v[23:24], 1.0
	v_fma_f64 v[23:24], v[23:24], v[25:26], v[23:24]
	v_fma_f64 v[25:26], -v[21:22], v[23:24], 1.0
	v_fma_f64 v[23:24], v[23:24], v[25:26], v[23:24]
	v_mul_f64 v[25:26], v[27:28], v[23:24]
	v_fma_f64 v[21:22], -v[21:22], v[25:26], v[27:28]
	v_div_fmas_f64 v[21:22], v[21:22], v[23:24], v[25:26]
	v_div_fixup_f64 v[1:2], v[21:22], v[1:2], 1.0
	v_mul_f64 v[3:4], v[3:4], -v[1:2]
.LBB121_436:
	s_or_b64 exec, exec, s[6:7]
	ds_write2_b64 v125, v[1:2], v[3:4] offset1:1
.LBB121_437:
	s_or_b64 exec, exec, s[8:9]
	s_waitcnt lgkmcnt(0)
	s_barrier
	ds_read2_b64 v[21:24], v125 offset1:1
	v_cmp_lt_u32_e32 vcc, 36, v0
	s_and_saveexec_b64 s[6:7], vcc
	s_cbranch_execz .LBB121_439
; %bb.438:
	buffer_load_dword v1, off, s[0:3], 0 offset:576
	buffer_load_dword v2, off, s[0:3], 0 offset:580
	;; [unrolled: 1-line block ×16, first 2 shown]
	s_waitcnt vmcnt(12) lgkmcnt(0)
	v_mul_f64 v[25:26], v[23:24], v[3:4]
	v_mul_f64 v[3:4], v[21:22], v[3:4]
	v_fma_f64 v[25:26], v[21:22], v[1:2], -v[25:26]
	v_fma_f64 v[27:28], v[23:24], v[1:2], v[3:4]
	buffer_store_dword v25, off, s[0:3], 0 offset:576
	buffer_store_dword v26, off, s[0:3], 0 offset:580
	buffer_store_dword v27, off, s[0:3], 0 offset:584
	buffer_store_dword v28, off, s[0:3], 0 offset:588
	ds_read2_b64 v[1:4], v117 offset0:74 offset1:75
	s_waitcnt lgkmcnt(0)
	v_mul_f64 v[41:42], v[3:4], v[27:28]
	v_fma_f64 v[41:42], v[1:2], v[25:26], -v[41:42]
	v_mul_f64 v[1:2], v[1:2], v[27:28]
	v_fma_f64 v[1:2], v[3:4], v[25:26], v[1:2]
	s_waitcnt vmcnt(14)
	v_add_f64 v[3:4], v[29:30], -v[41:42]
	s_waitcnt vmcnt(12)
	v_add_f64 v[1:2], v[31:32], -v[1:2]
	buffer_store_dword v3, off, s[0:3], 0 offset:592
	buffer_store_dword v4, off, s[0:3], 0 offset:596
	buffer_store_dword v1, off, s[0:3], 0 offset:600
	buffer_store_dword v2, off, s[0:3], 0 offset:604
	ds_read2_b64 v[1:4], v117 offset0:76 offset1:77
	s_waitcnt lgkmcnt(0)
	v_mul_f64 v[29:30], v[3:4], v[27:28]
	v_fma_f64 v[29:30], v[1:2], v[25:26], -v[29:30]
	v_mul_f64 v[1:2], v[1:2], v[27:28]
	v_fma_f64 v[1:2], v[3:4], v[25:26], v[1:2]
	s_waitcnt vmcnt(14)
	v_add_f64 v[3:4], v[33:34], -v[29:30]
	s_waitcnt vmcnt(12)
	v_add_f64 v[1:2], v[35:36], -v[1:2]
	;; [unrolled: 14-line block ×3, first 2 shown]
	buffer_store_dword v4, off, s[0:3], 0 offset:628
	buffer_store_dword v3, off, s[0:3], 0 offset:624
	buffer_store_dword v1, off, s[0:3], 0 offset:632
	buffer_store_dword v2, off, s[0:3], 0 offset:636
	ds_read2_b64 v[1:4], v117 offset0:80 offset1:81
	s_waitcnt lgkmcnt(0)
	v_mul_f64 v[29:30], v[3:4], v[27:28]
	v_fma_f64 v[29:30], v[1:2], v[25:26], -v[29:30]
	v_mul_f64 v[1:2], v[1:2], v[27:28]
	v_fma_f64 v[1:2], v[3:4], v[25:26], v[1:2]
	buffer_load_dword v3, off, s[0:3], 0 offset:640
	buffer_load_dword v4, off, s[0:3], 0 offset:644
	buffer_load_dword v31, off, s[0:3], 0 offset:648
	buffer_load_dword v32, off, s[0:3], 0 offset:652
	s_waitcnt vmcnt(2)
	v_add_f64 v[3:4], v[3:4], -v[29:30]
	s_waitcnt vmcnt(0)
	v_add_f64 v[1:2], v[31:32], -v[1:2]
	buffer_store_dword v4, off, s[0:3], 0 offset:644
	buffer_store_dword v3, off, s[0:3], 0 offset:640
	buffer_store_dword v2, off, s[0:3], 0 offset:652
	buffer_store_dword v1, off, s[0:3], 0 offset:648
	ds_read2_b64 v[1:4], v117 offset0:82 offset1:83
	s_waitcnt lgkmcnt(0)
	v_mul_f64 v[29:30], v[3:4], v[27:28]
	v_fma_f64 v[29:30], v[1:2], v[25:26], -v[29:30]
	v_mul_f64 v[1:2], v[1:2], v[27:28]
	v_fma_f64 v[1:2], v[3:4], v[25:26], v[1:2]
	buffer_load_dword v3, off, s[0:3], 0 offset:656
	buffer_load_dword v4, off, s[0:3], 0 offset:660
	buffer_load_dword v31, off, s[0:3], 0 offset:664
	buffer_load_dword v32, off, s[0:3], 0 offset:668
	s_waitcnt vmcnt(2)
	v_add_f64 v[3:4], v[3:4], -v[29:30]
	s_waitcnt vmcnt(0)
	v_add_f64 v[1:2], v[31:32], -v[1:2]
	;; [unrolled: 18-line block ×3, first 2 shown]
	buffer_store_dword v4, off, s[0:3], 0 offset:676
	buffer_store_dword v3, off, s[0:3], 0 offset:672
	;; [unrolled: 1-line block ×4, first 2 shown]
	ds_read2_b64 v[1:4], v117 offset0:86 offset1:87
	buffer_load_dword v25, off, s[0:3], 0 offset:576
	buffer_load_dword v26, off, s[0:3], 0 offset:580
	;; [unrolled: 1-line block ×4, first 2 shown]
	s_waitcnt vmcnt(0) lgkmcnt(0)
	v_mul_f64 v[29:30], v[3:4], v[27:28]
	v_fma_f64 v[29:30], v[1:2], v[25:26], -v[29:30]
	v_mul_f64 v[1:2], v[1:2], v[27:28]
	v_fma_f64 v[1:2], v[3:4], v[25:26], v[1:2]
	buffer_load_dword v4, off, s[0:3], 0 offset:692
	buffer_load_dword v3, off, s[0:3], 0 offset:688
	s_waitcnt vmcnt(0)
	v_add_f64 v[3:4], v[3:4], -v[29:30]
	buffer_load_dword v30, off, s[0:3], 0 offset:700
	buffer_load_dword v29, off, s[0:3], 0 offset:696
	s_waitcnt vmcnt(0)
	v_add_f64 v[1:2], v[29:30], -v[1:2]
	buffer_store_dword v4, off, s[0:3], 0 offset:692
	buffer_store_dword v3, off, s[0:3], 0 offset:688
	buffer_store_dword v2, off, s[0:3], 0 offset:700
	buffer_store_dword v1, off, s[0:3], 0 offset:696
	ds_read2_b64 v[1:4], v117 offset0:88 offset1:89
	s_waitcnt lgkmcnt(0)
	v_mul_f64 v[29:30], v[3:4], v[27:28]
	v_fma_f64 v[29:30], v[1:2], v[25:26], -v[29:30]
	v_mul_f64 v[1:2], v[1:2], v[27:28]
	v_fma_f64 v[1:2], v[3:4], v[25:26], v[1:2]
	buffer_load_dword v3, off, s[0:3], 0 offset:704
	buffer_load_dword v4, off, s[0:3], 0 offset:708
	buffer_load_dword v31, off, s[0:3], 0 offset:712
	buffer_load_dword v32, off, s[0:3], 0 offset:716
	s_waitcnt vmcnt(2)
	v_add_f64 v[3:4], v[3:4], -v[29:30]
	s_waitcnt vmcnt(0)
	v_add_f64 v[1:2], v[31:32], -v[1:2]
	buffer_store_dword v4, off, s[0:3], 0 offset:708
	buffer_store_dword v3, off, s[0:3], 0 offset:704
	buffer_store_dword v2, off, s[0:3], 0 offset:716
	buffer_store_dword v1, off, s[0:3], 0 offset:712
	ds_read2_b64 v[1:4], v117 offset0:90 offset1:91
	s_waitcnt lgkmcnt(0)
	v_mul_f64 v[29:30], v[3:4], v[27:28]
	v_fma_f64 v[29:30], v[1:2], v[25:26], -v[29:30]
	v_mul_f64 v[1:2], v[1:2], v[27:28]
	v_fma_f64 v[1:2], v[3:4], v[25:26], v[1:2]
	buffer_load_dword v3, off, s[0:3], 0 offset:720
	buffer_load_dword v4, off, s[0:3], 0 offset:724
	buffer_load_dword v31, off, s[0:3], 0 offset:728
	buffer_load_dword v32, off, s[0:3], 0 offset:732
	s_waitcnt vmcnt(2)
	v_add_f64 v[3:4], v[3:4], -v[29:30]
	;; [unrolled: 18-line block ×5, first 2 shown]
	s_waitcnt vmcnt(0)
	v_add_f64 v[1:2], v[25:26], -v[1:2]
	buffer_store_dword v4, off, s[0:3], 0 offset:772
	buffer_store_dword v3, off, s[0:3], 0 offset:768
	;; [unrolled: 1-line block ×4, first 2 shown]
	ds_read2_b64 v[1:4], v117 offset0:98 offset1:99
	buffer_load_dword v25, off, s[0:3], 0 offset:576
	buffer_load_dword v26, off, s[0:3], 0 offset:580
	;; [unrolled: 1-line block ×4, first 2 shown]
	s_waitcnt vmcnt(0) lgkmcnt(0)
	v_mul_f64 v[29:30], v[3:4], v[27:28]
	v_fma_f64 v[29:30], v[1:2], v[25:26], -v[29:30]
	v_mul_f64 v[1:2], v[1:2], v[27:28]
	v_fma_f64 v[1:2], v[3:4], v[25:26], v[1:2]
	buffer_load_dword v4, off, s[0:3], 0 offset:788
	buffer_load_dword v3, off, s[0:3], 0 offset:784
	s_waitcnt vmcnt(0)
	v_add_f64 v[3:4], v[3:4], -v[29:30]
	buffer_load_dword v30, off, s[0:3], 0 offset:796
	buffer_load_dword v29, off, s[0:3], 0 offset:792
	s_waitcnt vmcnt(0)
	v_add_f64 v[1:2], v[29:30], -v[1:2]
	buffer_store_dword v4, off, s[0:3], 0 offset:788
	buffer_store_dword v3, off, s[0:3], 0 offset:784
	buffer_store_dword v2, off, s[0:3], 0 offset:796
	buffer_store_dword v1, off, s[0:3], 0 offset:792
	ds_read2_b64 v[1:4], v117 offset0:100 offset1:101
	s_waitcnt lgkmcnt(0)
	v_mul_f64 v[29:30], v[3:4], v[27:28]
	v_fma_f64 v[29:30], v[1:2], v[25:26], -v[29:30]
	v_mul_f64 v[1:2], v[1:2], v[27:28]
	v_fma_f64 v[1:2], v[3:4], v[25:26], v[1:2]
	buffer_load_dword v3, off, s[0:3], 0 offset:800
	buffer_load_dword v4, off, s[0:3], 0 offset:804
	buffer_load_dword v31, off, s[0:3], 0 offset:808
	buffer_load_dword v32, off, s[0:3], 0 offset:812
	s_waitcnt vmcnt(2)
	v_add_f64 v[3:4], v[3:4], -v[29:30]
	s_waitcnt vmcnt(0)
	v_add_f64 v[1:2], v[31:32], -v[1:2]
	buffer_store_dword v4, off, s[0:3], 0 offset:804
	buffer_store_dword v3, off, s[0:3], 0 offset:800
	buffer_store_dword v2, off, s[0:3], 0 offset:812
	buffer_store_dword v1, off, s[0:3], 0 offset:808
	ds_read2_b64 v[1:4], v117 offset0:102 offset1:103
	s_waitcnt lgkmcnt(0)
	v_mul_f64 v[29:30], v[3:4], v[27:28]
	v_fma_f64 v[29:30], v[1:2], v[25:26], -v[29:30]
	v_mul_f64 v[1:2], v[1:2], v[27:28]
	v_fma_f64 v[1:2], v[3:4], v[25:26], v[1:2]
	buffer_load_dword v3, off, s[0:3], 0 offset:816
	buffer_load_dword v4, off, s[0:3], 0 offset:820
	buffer_load_dword v31, off, s[0:3], 0 offset:824
	buffer_load_dword v32, off, s[0:3], 0 offset:828
	s_waitcnt vmcnt(2)
	v_add_f64 v[3:4], v[3:4], -v[29:30]
	s_waitcnt vmcnt(0)
	v_add_f64 v[1:2], v[31:32], -v[1:2]
	buffer_store_dword v4, off, s[0:3], 0 offset:820
	buffer_store_dword v3, off, s[0:3], 0 offset:816
	buffer_store_dword v2, off, s[0:3], 0 offset:828
	buffer_store_dword v1, off, s[0:3], 0 offset:824
	ds_read2_b64 v[1:4], v117 offset0:104 offset1:105
	s_waitcnt lgkmcnt(0)
	v_mul_f64 v[29:30], v[3:4], v[27:28]
	v_fma_f64 v[29:30], v[1:2], v[25:26], -v[29:30]
	v_mul_f64 v[1:2], v[1:2], v[27:28]
	v_fma_f64 v[1:2], v[3:4], v[25:26], v[1:2]
	buffer_load_dword v3, off, s[0:3], 0 offset:832
	buffer_load_dword v4, off, s[0:3], 0 offset:836
	buffer_load_dword v31, off, s[0:3], 0 offset:840
	buffer_load_dword v32, off, s[0:3], 0 offset:844
	s_waitcnt vmcnt(2)
	v_add_f64 v[3:4], v[3:4], -v[29:30]
	s_waitcnt vmcnt(0)
	v_add_f64 v[1:2], v[31:32], -v[1:2]
	buffer_store_dword v4, off, s[0:3], 0 offset:836
	buffer_store_dword v3, off, s[0:3], 0 offset:832
	buffer_store_dword v2, off, s[0:3], 0 offset:844
	buffer_store_dword v1, off, s[0:3], 0 offset:840
	ds_read2_b64 v[1:4], v117 offset0:106 offset1:107
	s_waitcnt lgkmcnt(0)
	v_mul_f64 v[29:30], v[3:4], v[27:28]
	v_fma_f64 v[29:30], v[1:2], v[25:26], -v[29:30]
	v_mul_f64 v[1:2], v[1:2], v[27:28]
	v_fma_f64 v[1:2], v[3:4], v[25:26], v[1:2]
	buffer_load_dword v3, off, s[0:3], 0 offset:848
	buffer_load_dword v4, off, s[0:3], 0 offset:852
	buffer_load_dword v31, off, s[0:3], 0 offset:856
	buffer_load_dword v32, off, s[0:3], 0 offset:860
	s_waitcnt vmcnt(2)
	v_add_f64 v[3:4], v[3:4], -v[29:30]
	s_waitcnt vmcnt(0)
	v_add_f64 v[1:2], v[31:32], -v[1:2]
	buffer_store_dword v4, off, s[0:3], 0 offset:852
	buffer_store_dword v3, off, s[0:3], 0 offset:848
	buffer_store_dword v2, off, s[0:3], 0 offset:860
	buffer_store_dword v1, off, s[0:3], 0 offset:856
	ds_read2_b64 v[1:4], v117 offset0:108 offset1:109
	s_waitcnt lgkmcnt(0)
	v_mul_f64 v[29:30], v[3:4], v[27:28]
	v_fma_f64 v[29:30], v[1:2], v[25:26], -v[29:30]
	v_mul_f64 v[1:2], v[1:2], v[27:28]
	v_fma_f64 v[1:2], v[3:4], v[25:26], v[1:2]
	buffer_load_dword v3, off, s[0:3], 0 offset:864
	buffer_load_dword v4, off, s[0:3], 0 offset:868
	buffer_load_dword v25, off, s[0:3], 0 offset:872
	buffer_load_dword v26, off, s[0:3], 0 offset:876
	s_waitcnt vmcnt(2)
	v_add_f64 v[3:4], v[3:4], -v[29:30]
	s_waitcnt vmcnt(0)
	v_add_f64 v[1:2], v[25:26], -v[1:2]
	buffer_store_dword v4, off, s[0:3], 0 offset:868
	buffer_store_dword v3, off, s[0:3], 0 offset:864
	;; [unrolled: 1-line block ×4, first 2 shown]
	ds_read2_b64 v[25:28], v117 offset0:110 offset1:111
	buffer_load_dword v29, off, s[0:3], 0 offset:576
	buffer_load_dword v30, off, s[0:3], 0 offset:580
	;; [unrolled: 1-line block ×4, first 2 shown]
	s_waitcnt vmcnt(0) lgkmcnt(0)
	v_mul_f64 v[1:2], v[27:28], v[31:32]
	v_fma_f64 v[33:34], v[25:26], v[29:30], -v[1:2]
	v_mul_f64 v[1:2], v[25:26], v[31:32]
	v_fma_f64 v[25:26], v[27:28], v[29:30], v[1:2]
	buffer_load_dword v2, off, s[0:3], 0 offset:884
	buffer_load_dword v1, off, s[0:3], 0 offset:880
	buffer_load_dword v4, off, s[0:3], 0 offset:892
	buffer_load_dword v3, off, s[0:3], 0 offset:888
	s_waitcnt vmcnt(2)
	v_add_f64 v[1:2], v[1:2], -v[33:34]
	s_waitcnt vmcnt(0)
	v_add_f64 v[3:4], v[3:4], -v[25:26]
	buffer_store_dword v2, off, s[0:3], 0 offset:884
	buffer_store_dword v1, off, s[0:3], 0 offset:880
	buffer_store_dword v4, off, s[0:3], 0 offset:892
	buffer_store_dword v3, off, s[0:3], 0 offset:888
	ds_read2_b64 v[1:4], v117 offset0:112 offset1:113
	s_waitcnt lgkmcnt(0)
	v_mul_f64 v[25:26], v[3:4], v[31:32]
	v_fma_f64 v[25:26], v[1:2], v[29:30], -v[25:26]
	v_mul_f64 v[1:2], v[1:2], v[31:32]
	v_fma_f64 v[1:2], v[3:4], v[29:30], v[1:2]
	buffer_load_dword v3, off, s[0:3], 0 offset:896
	buffer_load_dword v4, off, s[0:3], 0 offset:900
	buffer_load_dword v27, off, s[0:3], 0 offset:904
	buffer_load_dword v28, off, s[0:3], 0 offset:908
	s_waitcnt vmcnt(2)
	v_add_f64 v[3:4], v[3:4], -v[25:26]
	s_waitcnt vmcnt(0)
	v_add_f64 v[1:2], v[27:28], -v[1:2]
	buffer_store_dword v4, off, s[0:3], 0 offset:900
	buffer_store_dword v3, off, s[0:3], 0 offset:896
	buffer_store_dword v2, off, s[0:3], 0 offset:908
	buffer_store_dword v1, off, s[0:3], 0 offset:904
	ds_read2_b64 v[1:4], v117 offset0:114 offset1:115
	s_waitcnt lgkmcnt(0)
	v_mul_f64 v[25:26], v[3:4], v[31:32]
	v_fma_f64 v[25:26], v[1:2], v[29:30], -v[25:26]
	v_mul_f64 v[1:2], v[1:2], v[31:32]
	v_fma_f64 v[1:2], v[3:4], v[29:30], v[1:2]
	buffer_load_dword v3, off, s[0:3], 0 offset:912
	buffer_load_dword v4, off, s[0:3], 0 offset:916
	buffer_load_dword v27, off, s[0:3], 0 offset:920
	buffer_load_dword v28, off, s[0:3], 0 offset:924
	s_waitcnt vmcnt(2)
	v_add_f64 v[3:4], v[3:4], -v[25:26]
	s_waitcnt vmcnt(0)
	v_add_f64 v[1:2], v[27:28], -v[1:2]
	buffer_store_dword v4, off, s[0:3], 0 offset:916
	buffer_store_dword v3, off, s[0:3], 0 offset:912
	buffer_store_dword v2, off, s[0:3], 0 offset:924
	buffer_store_dword v1, off, s[0:3], 0 offset:920
	ds_read2_b64 v[1:4], v117 offset0:116 offset1:117
	s_waitcnt lgkmcnt(0)
	v_mul_f64 v[25:26], v[3:4], v[31:32]
	v_fma_f64 v[25:26], v[1:2], v[29:30], -v[25:26]
	v_mul_f64 v[1:2], v[1:2], v[31:32]
	v_fma_f64 v[1:2], v[3:4], v[29:30], v[1:2]
	buffer_load_dword v3, off, s[0:3], 0 offset:928
	buffer_load_dword v4, off, s[0:3], 0 offset:932
	buffer_load_dword v27, off, s[0:3], 0 offset:936
	buffer_load_dword v28, off, s[0:3], 0 offset:940
	s_waitcnt vmcnt(2)
	v_add_f64 v[3:4], v[3:4], -v[25:26]
	s_waitcnt vmcnt(0)
	v_add_f64 v[1:2], v[27:28], -v[1:2]
	buffer_store_dword v4, off, s[0:3], 0 offset:932
	buffer_store_dword v3, off, s[0:3], 0 offset:928
	buffer_store_dword v2, off, s[0:3], 0 offset:940
	buffer_store_dword v1, off, s[0:3], 0 offset:936
	ds_read2_b64 v[1:4], v117 offset0:118 offset1:119
	s_waitcnt lgkmcnt(0)
	v_mul_f64 v[25:26], v[3:4], v[31:32]
	v_fma_f64 v[25:26], v[1:2], v[29:30], -v[25:26]
	v_mul_f64 v[1:2], v[1:2], v[31:32]
	v_fma_f64 v[1:2], v[3:4], v[29:30], v[1:2]
	buffer_load_dword v3, off, s[0:3], 0 offset:944
	buffer_load_dword v4, off, s[0:3], 0 offset:948
	buffer_load_dword v27, off, s[0:3], 0 offset:952
	buffer_load_dword v28, off, s[0:3], 0 offset:956
	s_waitcnt vmcnt(2)
	v_add_f64 v[3:4], v[3:4], -v[25:26]
	s_waitcnt vmcnt(0)
	v_add_f64 v[1:2], v[27:28], -v[1:2]
	buffer_store_dword v4, off, s[0:3], 0 offset:948
	buffer_store_dword v3, off, s[0:3], 0 offset:944
	buffer_store_dword v2, off, s[0:3], 0 offset:956
	buffer_store_dword v1, off, s[0:3], 0 offset:952
	ds_read2_b64 v[1:4], v117 offset0:120 offset1:121
	s_waitcnt lgkmcnt(0)
	v_mul_f64 v[25:26], v[3:4], v[31:32]
	v_fma_f64 v[27:28], v[1:2], v[29:30], -v[25:26]
	v_mul_f64 v[1:2], v[1:2], v[31:32]
	v_fma_f64 v[25:26], v[3:4], v[29:30], v[1:2]
	buffer_load_dword v1, off, s[0:3], 0 offset:960
	buffer_load_dword v2, off, s[0:3], 0 offset:964
	;; [unrolled: 1-line block ×4, first 2 shown]
	s_waitcnt vmcnt(2)
	v_add_f64 v[1:2], v[1:2], -v[27:28]
	s_waitcnt vmcnt(0)
	v_add_f64 v[3:4], v[3:4], -v[25:26]
	buffer_store_dword v2, off, s[0:3], 0 offset:964
	buffer_store_dword v1, off, s[0:3], 0 offset:960
	;; [unrolled: 1-line block ×4, first 2 shown]
.LBB121_439:
	s_or_b64 exec, exec, s[6:7]
	v_cmp_eq_u32_e32 vcc, 37, v0
	s_waitcnt vmcnt(0) lgkmcnt(0)
	s_barrier
	s_and_saveexec_b64 s[8:9], vcc
	s_cbranch_execz .LBB121_446
; %bb.440:
	v_readlane_b32 s6, v126, 13
	v_mov_b32_e32 v4, s6
	buffer_load_dword v1, v4, s[0:3], 0 offen
	buffer_load_dword v2, v4, s[0:3], 0 offen offset:4
	buffer_load_dword v3, v4, s[0:3], 0 offen offset:8
	s_nop 0
	buffer_load_dword v4, v4, s[0:3], 0 offen offset:12
	v_readlane_b32 s6, v126, 14
	s_waitcnt vmcnt(0)
	ds_write2_b64 v125, v[1:2], v[3:4] offset1:1
	v_mov_b32_e32 v4, s36
	buffer_load_dword v1, v4, s[0:3], 0 offen
	buffer_load_dword v2, v4, s[0:3], 0 offen offset:4
	buffer_load_dword v3, v4, s[0:3], 0 offen offset:8
	s_nop 0
	buffer_load_dword v4, v4, s[0:3], 0 offen offset:12
	s_waitcnt vmcnt(0)
	ds_write2_b64 v117, v[1:2], v[3:4] offset0:76 offset1:77
	v_mov_b32_e32 v4, s6
	buffer_load_dword v1, v4, s[0:3], 0 offen
	buffer_load_dword v2, v4, s[0:3], 0 offen offset:4
	buffer_load_dword v3, v4, s[0:3], 0 offen offset:8
	s_nop 0
	buffer_load_dword v4, v4, s[0:3], 0 offen offset:12
	v_readlane_b32 s6, v126, 15
	s_waitcnt vmcnt(0)
	ds_write2_b64 v117, v[1:2], v[3:4] offset0:78 offset1:79
	v_mov_b32_e32 v4, s34
	buffer_load_dword v1, v4, s[0:3], 0 offen
	buffer_load_dword v2, v4, s[0:3], 0 offen offset:4
	buffer_load_dword v3, v4, s[0:3], 0 offen offset:8
	s_nop 0
	buffer_load_dword v4, v4, s[0:3], 0 offen offset:12
	s_waitcnt vmcnt(0)
	ds_write2_b64 v117, v[1:2], v[3:4] offset0:80 offset1:81
	v_mov_b32_e32 v4, s6
	buffer_load_dword v1, v4, s[0:3], 0 offen
	buffer_load_dword v2, v4, s[0:3], 0 offen offset:4
	buffer_load_dword v3, v4, s[0:3], 0 offen offset:8
	s_nop 0
	buffer_load_dword v4, v4, s[0:3], 0 offen offset:12
	v_readlane_b32 s6, v126, 16
	s_waitcnt vmcnt(0)
	ds_write2_b64 v117, v[1:2], v[3:4] offset0:82 offset1:83
	;; [unrolled: 17-line block ×8, first 2 shown]
	v_mov_b32_e32 v4, s18
	buffer_load_dword v1, v4, s[0:3], 0 offen
	buffer_load_dword v2, v4, s[0:3], 0 offen offset:4
	buffer_load_dword v3, v4, s[0:3], 0 offen offset:8
	s_nop 0
	buffer_load_dword v4, v4, s[0:3], 0 offen offset:12
	s_waitcnt vmcnt(0)
	ds_write2_b64 v117, v[1:2], v[3:4] offset0:108 offset1:109
	v_mov_b32_e32 v4, s6
	buffer_load_dword v1, v4, s[0:3], 0 offen
	buffer_load_dword v2, v4, s[0:3], 0 offen offset:4
	buffer_load_dword v3, v4, s[0:3], 0 offen offset:8
	s_nop 0
	buffer_load_dword v4, v4, s[0:3], 0 offen offset:12
	s_waitcnt vmcnt(0)
	ds_write2_b64 v117, v[1:2], v[3:4] offset0:110 offset1:111
	;; [unrolled: 8-line block ×7, first 2 shown]
	ds_read2_b64 v[25:28], v125 offset1:1
	s_waitcnt lgkmcnt(0)
	v_cmp_neq_f64_e32 vcc, 0, v[25:26]
	v_cmp_neq_f64_e64 s[6:7], 0, v[27:28]
	s_or_b64 s[6:7], vcc, s[6:7]
	s_and_b64 exec, exec, s[6:7]
	s_cbranch_execz .LBB121_446
; %bb.441:
	v_cmp_ngt_f64_e64 s[6:7], |v[25:26]|, |v[27:28]|
                                        ; implicit-def: $vgpr1_vgpr2
	s_and_saveexec_b64 s[10:11], s[6:7]
	s_xor_b64 s[6:7], exec, s[10:11]
                                        ; implicit-def: $vgpr3_vgpr4
	s_cbranch_execz .LBB121_443
; %bb.442:
	v_div_scale_f64 v[1:2], s[10:11], v[27:28], v[27:28], v[25:26]
	v_rcp_f64_e32 v[3:4], v[1:2]
	v_fma_f64 v[29:30], -v[1:2], v[3:4], 1.0
	v_fma_f64 v[3:4], v[3:4], v[29:30], v[3:4]
	v_div_scale_f64 v[29:30], vcc, v[25:26], v[27:28], v[25:26]
	v_fma_f64 v[31:32], -v[1:2], v[3:4], 1.0
	v_fma_f64 v[3:4], v[3:4], v[31:32], v[3:4]
	v_mul_f64 v[31:32], v[29:30], v[3:4]
	v_fma_f64 v[1:2], -v[1:2], v[31:32], v[29:30]
	v_div_fmas_f64 v[1:2], v[1:2], v[3:4], v[31:32]
	v_div_fixup_f64 v[1:2], v[1:2], v[27:28], v[25:26]
	v_fma_f64 v[3:4], v[25:26], v[1:2], v[27:28]
	v_div_scale_f64 v[25:26], s[10:11], v[3:4], v[3:4], 1.0
	v_div_scale_f64 v[31:32], vcc, 1.0, v[3:4], 1.0
	v_rcp_f64_e32 v[27:28], v[25:26]
	v_fma_f64 v[29:30], -v[25:26], v[27:28], 1.0
	v_fma_f64 v[27:28], v[27:28], v[29:30], v[27:28]
	v_fma_f64 v[29:30], -v[25:26], v[27:28], 1.0
	v_fma_f64 v[27:28], v[27:28], v[29:30], v[27:28]
	v_mul_f64 v[29:30], v[31:32], v[27:28]
	v_fma_f64 v[25:26], -v[25:26], v[29:30], v[31:32]
	v_div_fmas_f64 v[25:26], v[25:26], v[27:28], v[29:30]
	v_div_fixup_f64 v[3:4], v[25:26], v[3:4], 1.0
                                        ; implicit-def: $vgpr25_vgpr26
	v_mul_f64 v[1:2], v[1:2], v[3:4]
	v_xor_b32_e32 v4, 0x80000000, v4
.LBB121_443:
	s_andn2_saveexec_b64 s[6:7], s[6:7]
	s_cbranch_execz .LBB121_445
; %bb.444:
	v_div_scale_f64 v[1:2], s[10:11], v[25:26], v[25:26], v[27:28]
	v_rcp_f64_e32 v[3:4], v[1:2]
	v_fma_f64 v[29:30], -v[1:2], v[3:4], 1.0
	v_fma_f64 v[3:4], v[3:4], v[29:30], v[3:4]
	v_div_scale_f64 v[29:30], vcc, v[27:28], v[25:26], v[27:28]
	v_fma_f64 v[31:32], -v[1:2], v[3:4], 1.0
	v_fma_f64 v[3:4], v[3:4], v[31:32], v[3:4]
	v_mul_f64 v[31:32], v[29:30], v[3:4]
	v_fma_f64 v[1:2], -v[1:2], v[31:32], v[29:30]
	v_div_fmas_f64 v[1:2], v[1:2], v[3:4], v[31:32]
	v_div_fixup_f64 v[3:4], v[1:2], v[25:26], v[27:28]
	v_fma_f64 v[1:2], v[27:28], v[3:4], v[25:26]
	v_div_scale_f64 v[25:26], s[10:11], v[1:2], v[1:2], 1.0
	v_div_scale_f64 v[31:32], vcc, 1.0, v[1:2], 1.0
	v_rcp_f64_e32 v[27:28], v[25:26]
	v_fma_f64 v[29:30], -v[25:26], v[27:28], 1.0
	v_fma_f64 v[27:28], v[27:28], v[29:30], v[27:28]
	v_fma_f64 v[29:30], -v[25:26], v[27:28], 1.0
	v_fma_f64 v[27:28], v[27:28], v[29:30], v[27:28]
	v_mul_f64 v[29:30], v[31:32], v[27:28]
	v_fma_f64 v[25:26], -v[25:26], v[29:30], v[31:32]
	v_div_fmas_f64 v[25:26], v[25:26], v[27:28], v[29:30]
	v_div_fixup_f64 v[1:2], v[25:26], v[1:2], 1.0
	v_mul_f64 v[3:4], v[3:4], -v[1:2]
.LBB121_445:
	s_or_b64 exec, exec, s[6:7]
	ds_write2_b64 v125, v[1:2], v[3:4] offset1:1
.LBB121_446:
	s_or_b64 exec, exec, s[8:9]
	s_waitcnt lgkmcnt(0)
	s_barrier
	ds_read2_b64 v[25:28], v125 offset1:1
	v_cmp_lt_u32_e32 vcc, 37, v0
	s_and_saveexec_b64 s[6:7], vcc
	s_cbranch_execz .LBB121_448
; %bb.447:
	buffer_load_dword v1, off, s[0:3], 0 offset:592
	buffer_load_dword v2, off, s[0:3], 0 offset:596
	;; [unrolled: 1-line block ×16, first 2 shown]
	s_waitcnt vmcnt(12) lgkmcnt(0)
	v_mul_f64 v[29:30], v[27:28], v[3:4]
	v_mul_f64 v[3:4], v[25:26], v[3:4]
	v_fma_f64 v[29:30], v[25:26], v[1:2], -v[29:30]
	v_fma_f64 v[31:32], v[27:28], v[1:2], v[3:4]
	buffer_store_dword v29, off, s[0:3], 0 offset:592
	buffer_store_dword v30, off, s[0:3], 0 offset:596
	buffer_store_dword v31, off, s[0:3], 0 offset:600
	buffer_store_dword v32, off, s[0:3], 0 offset:604
	ds_read2_b64 v[1:4], v117 offset0:76 offset1:77
	s_waitcnt lgkmcnt(0)
	v_mul_f64 v[45:46], v[3:4], v[31:32]
	v_fma_f64 v[45:46], v[1:2], v[29:30], -v[45:46]
	v_mul_f64 v[1:2], v[1:2], v[31:32]
	v_fma_f64 v[1:2], v[3:4], v[29:30], v[1:2]
	s_waitcnt vmcnt(14)
	v_add_f64 v[3:4], v[33:34], -v[45:46]
	s_waitcnt vmcnt(12)
	v_add_f64 v[1:2], v[35:36], -v[1:2]
	buffer_store_dword v3, off, s[0:3], 0 offset:608
	buffer_store_dword v4, off, s[0:3], 0 offset:612
	buffer_store_dword v1, off, s[0:3], 0 offset:616
	buffer_store_dword v2, off, s[0:3], 0 offset:620
	ds_read2_b64 v[1:4], v117 offset0:78 offset1:79
	s_waitcnt lgkmcnt(0)
	v_mul_f64 v[33:34], v[3:4], v[31:32]
	v_fma_f64 v[33:34], v[1:2], v[29:30], -v[33:34]
	v_mul_f64 v[1:2], v[1:2], v[31:32]
	v_fma_f64 v[1:2], v[3:4], v[29:30], v[1:2]
	s_waitcnt vmcnt(14)
	v_add_f64 v[3:4], v[37:38], -v[33:34]
	s_waitcnt vmcnt(12)
	v_add_f64 v[1:2], v[39:40], -v[1:2]
	buffer_store_dword v3, off, s[0:3], 0 offset:624
	buffer_store_dword v4, off, s[0:3], 0 offset:628
	buffer_store_dword v1, off, s[0:3], 0 offset:632
	buffer_store_dword v2, off, s[0:3], 0 offset:636
	ds_read2_b64 v[1:4], v117 offset0:80 offset1:81
	s_waitcnt lgkmcnt(0)
	v_mul_f64 v[33:34], v[3:4], v[31:32]
	v_fma_f64 v[33:34], v[1:2], v[29:30], -v[33:34]
	v_mul_f64 v[1:2], v[1:2], v[31:32]
	v_fma_f64 v[1:2], v[3:4], v[29:30], v[1:2]
	s_waitcnt vmcnt(14)
	v_add_f64 v[3:4], v[41:42], -v[33:34]
	s_waitcnt vmcnt(12)
	v_add_f64 v[1:2], v[43:44], -v[1:2]
	buffer_store_dword v4, off, s[0:3], 0 offset:644
	buffer_store_dword v3, off, s[0:3], 0 offset:640
	buffer_store_dword v1, off, s[0:3], 0 offset:648
	buffer_store_dword v2, off, s[0:3], 0 offset:652
	ds_read2_b64 v[1:4], v117 offset0:82 offset1:83
	s_waitcnt lgkmcnt(0)
	v_mul_f64 v[33:34], v[3:4], v[31:32]
	v_fma_f64 v[33:34], v[1:2], v[29:30], -v[33:34]
	v_mul_f64 v[1:2], v[1:2], v[31:32]
	v_fma_f64 v[1:2], v[3:4], v[29:30], v[1:2]
	buffer_load_dword v3, off, s[0:3], 0 offset:656
	buffer_load_dword v4, off, s[0:3], 0 offset:660
	buffer_load_dword v35, off, s[0:3], 0 offset:664
	buffer_load_dword v36, off, s[0:3], 0 offset:668
	s_waitcnt vmcnt(2)
	v_add_f64 v[3:4], v[3:4], -v[33:34]
	s_waitcnt vmcnt(0)
	v_add_f64 v[1:2], v[35:36], -v[1:2]
	buffer_store_dword v4, off, s[0:3], 0 offset:660
	buffer_store_dword v3, off, s[0:3], 0 offset:656
	buffer_store_dword v2, off, s[0:3], 0 offset:668
	buffer_store_dword v1, off, s[0:3], 0 offset:664
	ds_read2_b64 v[1:4], v117 offset0:84 offset1:85
	s_waitcnt lgkmcnt(0)
	v_mul_f64 v[33:34], v[3:4], v[31:32]
	v_fma_f64 v[33:34], v[1:2], v[29:30], -v[33:34]
	v_mul_f64 v[1:2], v[1:2], v[31:32]
	v_fma_f64 v[1:2], v[3:4], v[29:30], v[1:2]
	buffer_load_dword v3, off, s[0:3], 0 offset:672
	buffer_load_dword v4, off, s[0:3], 0 offset:676
	buffer_load_dword v35, off, s[0:3], 0 offset:680
	buffer_load_dword v36, off, s[0:3], 0 offset:684
	s_waitcnt vmcnt(2)
	v_add_f64 v[3:4], v[3:4], -v[33:34]
	s_waitcnt vmcnt(0)
	v_add_f64 v[1:2], v[35:36], -v[1:2]
	;; [unrolled: 18-line block ×3, first 2 shown]
	buffer_store_dword v4, off, s[0:3], 0 offset:692
	buffer_store_dword v3, off, s[0:3], 0 offset:688
	;; [unrolled: 1-line block ×4, first 2 shown]
	ds_read2_b64 v[1:4], v117 offset0:88 offset1:89
	buffer_load_dword v29, off, s[0:3], 0 offset:592
	buffer_load_dword v30, off, s[0:3], 0 offset:596
	;; [unrolled: 1-line block ×4, first 2 shown]
	s_waitcnt vmcnt(0) lgkmcnt(0)
	v_mul_f64 v[33:34], v[3:4], v[31:32]
	v_fma_f64 v[33:34], v[1:2], v[29:30], -v[33:34]
	v_mul_f64 v[1:2], v[1:2], v[31:32]
	v_fma_f64 v[1:2], v[3:4], v[29:30], v[1:2]
	buffer_load_dword v4, off, s[0:3], 0 offset:708
	buffer_load_dword v3, off, s[0:3], 0 offset:704
	s_waitcnt vmcnt(0)
	v_add_f64 v[3:4], v[3:4], -v[33:34]
	buffer_load_dword v34, off, s[0:3], 0 offset:716
	buffer_load_dword v33, off, s[0:3], 0 offset:712
	s_waitcnt vmcnt(0)
	v_add_f64 v[1:2], v[33:34], -v[1:2]
	buffer_store_dword v4, off, s[0:3], 0 offset:708
	buffer_store_dword v3, off, s[0:3], 0 offset:704
	buffer_store_dword v2, off, s[0:3], 0 offset:716
	buffer_store_dword v1, off, s[0:3], 0 offset:712
	ds_read2_b64 v[1:4], v117 offset0:90 offset1:91
	s_waitcnt lgkmcnt(0)
	v_mul_f64 v[33:34], v[3:4], v[31:32]
	v_fma_f64 v[33:34], v[1:2], v[29:30], -v[33:34]
	v_mul_f64 v[1:2], v[1:2], v[31:32]
	v_fma_f64 v[1:2], v[3:4], v[29:30], v[1:2]
	buffer_load_dword v3, off, s[0:3], 0 offset:720
	buffer_load_dword v4, off, s[0:3], 0 offset:724
	buffer_load_dword v35, off, s[0:3], 0 offset:728
	buffer_load_dword v36, off, s[0:3], 0 offset:732
	s_waitcnt vmcnt(2)
	v_add_f64 v[3:4], v[3:4], -v[33:34]
	s_waitcnt vmcnt(0)
	v_add_f64 v[1:2], v[35:36], -v[1:2]
	buffer_store_dword v4, off, s[0:3], 0 offset:724
	buffer_store_dword v3, off, s[0:3], 0 offset:720
	buffer_store_dword v2, off, s[0:3], 0 offset:732
	buffer_store_dword v1, off, s[0:3], 0 offset:728
	ds_read2_b64 v[1:4], v117 offset0:92 offset1:93
	s_waitcnt lgkmcnt(0)
	v_mul_f64 v[33:34], v[3:4], v[31:32]
	v_fma_f64 v[33:34], v[1:2], v[29:30], -v[33:34]
	v_mul_f64 v[1:2], v[1:2], v[31:32]
	v_fma_f64 v[1:2], v[3:4], v[29:30], v[1:2]
	buffer_load_dword v3, off, s[0:3], 0 offset:736
	buffer_load_dword v4, off, s[0:3], 0 offset:740
	buffer_load_dword v35, off, s[0:3], 0 offset:744
	buffer_load_dword v36, off, s[0:3], 0 offset:748
	s_waitcnt vmcnt(2)
	v_add_f64 v[3:4], v[3:4], -v[33:34]
	;; [unrolled: 18-line block ×5, first 2 shown]
	s_waitcnt vmcnt(0)
	v_add_f64 v[1:2], v[29:30], -v[1:2]
	buffer_store_dword v4, off, s[0:3], 0 offset:788
	buffer_store_dword v3, off, s[0:3], 0 offset:784
	;; [unrolled: 1-line block ×4, first 2 shown]
	ds_read2_b64 v[1:4], v117 offset0:100 offset1:101
	buffer_load_dword v29, off, s[0:3], 0 offset:592
	buffer_load_dword v30, off, s[0:3], 0 offset:596
	;; [unrolled: 1-line block ×4, first 2 shown]
	s_waitcnt vmcnt(0) lgkmcnt(0)
	v_mul_f64 v[33:34], v[3:4], v[31:32]
	v_fma_f64 v[33:34], v[1:2], v[29:30], -v[33:34]
	v_mul_f64 v[1:2], v[1:2], v[31:32]
	v_fma_f64 v[1:2], v[3:4], v[29:30], v[1:2]
	buffer_load_dword v4, off, s[0:3], 0 offset:804
	buffer_load_dword v3, off, s[0:3], 0 offset:800
	s_waitcnt vmcnt(0)
	v_add_f64 v[3:4], v[3:4], -v[33:34]
	buffer_load_dword v34, off, s[0:3], 0 offset:812
	buffer_load_dword v33, off, s[0:3], 0 offset:808
	s_waitcnt vmcnt(0)
	v_add_f64 v[1:2], v[33:34], -v[1:2]
	buffer_store_dword v4, off, s[0:3], 0 offset:804
	buffer_store_dword v3, off, s[0:3], 0 offset:800
	buffer_store_dword v2, off, s[0:3], 0 offset:812
	buffer_store_dword v1, off, s[0:3], 0 offset:808
	ds_read2_b64 v[1:4], v117 offset0:102 offset1:103
	s_waitcnt lgkmcnt(0)
	v_mul_f64 v[33:34], v[3:4], v[31:32]
	v_fma_f64 v[33:34], v[1:2], v[29:30], -v[33:34]
	v_mul_f64 v[1:2], v[1:2], v[31:32]
	v_fma_f64 v[1:2], v[3:4], v[29:30], v[1:2]
	buffer_load_dword v3, off, s[0:3], 0 offset:816
	buffer_load_dword v4, off, s[0:3], 0 offset:820
	buffer_load_dword v35, off, s[0:3], 0 offset:824
	buffer_load_dword v36, off, s[0:3], 0 offset:828
	s_waitcnt vmcnt(2)
	v_add_f64 v[3:4], v[3:4], -v[33:34]
	s_waitcnt vmcnt(0)
	v_add_f64 v[1:2], v[35:36], -v[1:2]
	buffer_store_dword v4, off, s[0:3], 0 offset:820
	buffer_store_dword v3, off, s[0:3], 0 offset:816
	buffer_store_dword v2, off, s[0:3], 0 offset:828
	buffer_store_dword v1, off, s[0:3], 0 offset:824
	ds_read2_b64 v[1:4], v117 offset0:104 offset1:105
	s_waitcnt lgkmcnt(0)
	v_mul_f64 v[33:34], v[3:4], v[31:32]
	v_fma_f64 v[33:34], v[1:2], v[29:30], -v[33:34]
	v_mul_f64 v[1:2], v[1:2], v[31:32]
	v_fma_f64 v[1:2], v[3:4], v[29:30], v[1:2]
	buffer_load_dword v3, off, s[0:3], 0 offset:832
	buffer_load_dword v4, off, s[0:3], 0 offset:836
	buffer_load_dword v35, off, s[0:3], 0 offset:840
	buffer_load_dword v36, off, s[0:3], 0 offset:844
	s_waitcnt vmcnt(2)
	v_add_f64 v[3:4], v[3:4], -v[33:34]
	;; [unrolled: 18-line block ×5, first 2 shown]
	s_waitcnt vmcnt(0)
	v_add_f64 v[1:2], v[29:30], -v[1:2]
	buffer_store_dword v4, off, s[0:3], 0 offset:884
	buffer_store_dword v3, off, s[0:3], 0 offset:880
	;; [unrolled: 1-line block ×4, first 2 shown]
	ds_read2_b64 v[29:32], v117 offset0:112 offset1:113
	buffer_load_dword v33, off, s[0:3], 0 offset:592
	buffer_load_dword v34, off, s[0:3], 0 offset:596
	;; [unrolled: 1-line block ×4, first 2 shown]
	s_waitcnt vmcnt(0) lgkmcnt(0)
	v_mul_f64 v[1:2], v[31:32], v[35:36]
	v_fma_f64 v[37:38], v[29:30], v[33:34], -v[1:2]
	v_mul_f64 v[1:2], v[29:30], v[35:36]
	v_fma_f64 v[29:30], v[31:32], v[33:34], v[1:2]
	buffer_load_dword v2, off, s[0:3], 0 offset:900
	buffer_load_dword v1, off, s[0:3], 0 offset:896
	buffer_load_dword v4, off, s[0:3], 0 offset:908
	buffer_load_dword v3, off, s[0:3], 0 offset:904
	s_waitcnt vmcnt(2)
	v_add_f64 v[1:2], v[1:2], -v[37:38]
	s_waitcnt vmcnt(0)
	v_add_f64 v[3:4], v[3:4], -v[29:30]
	buffer_store_dword v2, off, s[0:3], 0 offset:900
	buffer_store_dword v1, off, s[0:3], 0 offset:896
	buffer_store_dword v4, off, s[0:3], 0 offset:908
	buffer_store_dword v3, off, s[0:3], 0 offset:904
	ds_read2_b64 v[1:4], v117 offset0:114 offset1:115
	s_waitcnt lgkmcnt(0)
	v_mul_f64 v[29:30], v[3:4], v[35:36]
	v_fma_f64 v[29:30], v[1:2], v[33:34], -v[29:30]
	v_mul_f64 v[1:2], v[1:2], v[35:36]
	v_fma_f64 v[1:2], v[3:4], v[33:34], v[1:2]
	buffer_load_dword v3, off, s[0:3], 0 offset:912
	buffer_load_dword v4, off, s[0:3], 0 offset:916
	buffer_load_dword v31, off, s[0:3], 0 offset:920
	buffer_load_dword v32, off, s[0:3], 0 offset:924
	s_waitcnt vmcnt(2)
	v_add_f64 v[3:4], v[3:4], -v[29:30]
	s_waitcnt vmcnt(0)
	v_add_f64 v[1:2], v[31:32], -v[1:2]
	buffer_store_dword v4, off, s[0:3], 0 offset:916
	buffer_store_dword v3, off, s[0:3], 0 offset:912
	buffer_store_dword v2, off, s[0:3], 0 offset:924
	buffer_store_dword v1, off, s[0:3], 0 offset:920
	ds_read2_b64 v[1:4], v117 offset0:116 offset1:117
	s_waitcnt lgkmcnt(0)
	;; [unrolled: 18-line block ×4, first 2 shown]
	v_mul_f64 v[29:30], v[3:4], v[35:36]
	v_fma_f64 v[31:32], v[1:2], v[33:34], -v[29:30]
	v_mul_f64 v[1:2], v[1:2], v[35:36]
	v_fma_f64 v[29:30], v[3:4], v[33:34], v[1:2]
	buffer_load_dword v1, off, s[0:3], 0 offset:960
	buffer_load_dword v2, off, s[0:3], 0 offset:964
	buffer_load_dword v3, off, s[0:3], 0 offset:968
	buffer_load_dword v4, off, s[0:3], 0 offset:972
	s_waitcnt vmcnt(2)
	v_add_f64 v[1:2], v[1:2], -v[31:32]
	s_waitcnt vmcnt(0)
	v_add_f64 v[3:4], v[3:4], -v[29:30]
	buffer_store_dword v2, off, s[0:3], 0 offset:964
	buffer_store_dword v1, off, s[0:3], 0 offset:960
	;; [unrolled: 1-line block ×4, first 2 shown]
.LBB121_448:
	s_or_b64 exec, exec, s[6:7]
	v_cmp_eq_u32_e32 vcc, 38, v0
	s_waitcnt vmcnt(0) lgkmcnt(0)
	s_barrier
	s_and_saveexec_b64 s[8:9], vcc
	s_cbranch_execz .LBB121_455
; %bb.449:
	v_mov_b32_e32 v4, s36
	buffer_load_dword v1, v4, s[0:3], 0 offen
	buffer_load_dword v2, v4, s[0:3], 0 offen offset:4
	buffer_load_dword v3, v4, s[0:3], 0 offen offset:8
	s_nop 0
	buffer_load_dword v4, v4, s[0:3], 0 offen offset:12
	v_readlane_b32 s6, v126, 14
	s_waitcnt vmcnt(0)
	ds_write2_b64 v125, v[1:2], v[3:4] offset1:1
	v_mov_b32_e32 v4, s6
	buffer_load_dword v1, v4, s[0:3], 0 offen
	buffer_load_dword v2, v4, s[0:3], 0 offen offset:4
	buffer_load_dword v3, v4, s[0:3], 0 offen offset:8
	s_nop 0
	buffer_load_dword v4, v4, s[0:3], 0 offen offset:12
	v_readlane_b32 s6, v126, 15
	s_waitcnt vmcnt(0)
	ds_write2_b64 v117, v[1:2], v[3:4] offset0:78 offset1:79
	v_mov_b32_e32 v4, s34
	buffer_load_dword v1, v4, s[0:3], 0 offen
	buffer_load_dword v2, v4, s[0:3], 0 offen offset:4
	buffer_load_dword v3, v4, s[0:3], 0 offen offset:8
	s_nop 0
	buffer_load_dword v4, v4, s[0:3], 0 offen offset:12
	s_waitcnt vmcnt(0)
	ds_write2_b64 v117, v[1:2], v[3:4] offset0:80 offset1:81
	v_mov_b32_e32 v4, s6
	buffer_load_dword v1, v4, s[0:3], 0 offen
	buffer_load_dword v2, v4, s[0:3], 0 offen offset:4
	buffer_load_dword v3, v4, s[0:3], 0 offen offset:8
	s_nop 0
	buffer_load_dword v4, v4, s[0:3], 0 offen offset:12
	v_readlane_b32 s6, v126, 16
	s_waitcnt vmcnt(0)
	ds_write2_b64 v117, v[1:2], v[3:4] offset0:82 offset1:83
	v_mov_b32_e32 v4, s30
	buffer_load_dword v1, v4, s[0:3], 0 offen
	buffer_load_dword v2, v4, s[0:3], 0 offen offset:4
	buffer_load_dword v3, v4, s[0:3], 0 offen offset:8
	s_nop 0
	buffer_load_dword v4, v4, s[0:3], 0 offen offset:12
	s_waitcnt vmcnt(0)
	ds_write2_b64 v117, v[1:2], v[3:4] offset0:84 offset1:85
	;; [unrolled: 17-line block ×8, first 2 shown]
	v_mov_b32_e32 v4, s6
	buffer_load_dword v1, v4, s[0:3], 0 offen
	buffer_load_dword v2, v4, s[0:3], 0 offen offset:4
	buffer_load_dword v3, v4, s[0:3], 0 offen offset:8
	s_nop 0
	buffer_load_dword v4, v4, s[0:3], 0 offen offset:12
	s_waitcnt vmcnt(0)
	ds_write2_b64 v117, v[1:2], v[3:4] offset0:110 offset1:111
	v_mov_b32_e32 v4, s16
	buffer_load_dword v1, v4, s[0:3], 0 offen
	buffer_load_dword v2, v4, s[0:3], 0 offen offset:4
	buffer_load_dword v3, v4, s[0:3], 0 offen offset:8
	s_nop 0
	buffer_load_dword v4, v4, s[0:3], 0 offen offset:12
	s_waitcnt vmcnt(0)
	ds_write2_b64 v117, v[1:2], v[3:4] offset0:112 offset1:113
	;; [unrolled: 8-line block ×6, first 2 shown]
	ds_read2_b64 v[29:32], v125 offset1:1
	s_waitcnt lgkmcnt(0)
	v_cmp_neq_f64_e32 vcc, 0, v[29:30]
	v_cmp_neq_f64_e64 s[6:7], 0, v[31:32]
	s_or_b64 s[6:7], vcc, s[6:7]
	s_and_b64 exec, exec, s[6:7]
	s_cbranch_execz .LBB121_455
; %bb.450:
	v_cmp_ngt_f64_e64 s[6:7], |v[29:30]|, |v[31:32]|
                                        ; implicit-def: $vgpr1_vgpr2
	s_and_saveexec_b64 s[10:11], s[6:7]
	s_xor_b64 s[6:7], exec, s[10:11]
                                        ; implicit-def: $vgpr3_vgpr4
	s_cbranch_execz .LBB121_452
; %bb.451:
	v_div_scale_f64 v[1:2], s[10:11], v[31:32], v[31:32], v[29:30]
	v_rcp_f64_e32 v[3:4], v[1:2]
	v_fma_f64 v[33:34], -v[1:2], v[3:4], 1.0
	v_fma_f64 v[3:4], v[3:4], v[33:34], v[3:4]
	v_div_scale_f64 v[33:34], vcc, v[29:30], v[31:32], v[29:30]
	v_fma_f64 v[35:36], -v[1:2], v[3:4], 1.0
	v_fma_f64 v[3:4], v[3:4], v[35:36], v[3:4]
	v_mul_f64 v[35:36], v[33:34], v[3:4]
	v_fma_f64 v[1:2], -v[1:2], v[35:36], v[33:34]
	v_div_fmas_f64 v[1:2], v[1:2], v[3:4], v[35:36]
	v_div_fixup_f64 v[1:2], v[1:2], v[31:32], v[29:30]
	v_fma_f64 v[3:4], v[29:30], v[1:2], v[31:32]
	v_div_scale_f64 v[29:30], s[10:11], v[3:4], v[3:4], 1.0
	v_div_scale_f64 v[35:36], vcc, 1.0, v[3:4], 1.0
	v_rcp_f64_e32 v[31:32], v[29:30]
	v_fma_f64 v[33:34], -v[29:30], v[31:32], 1.0
	v_fma_f64 v[31:32], v[31:32], v[33:34], v[31:32]
	v_fma_f64 v[33:34], -v[29:30], v[31:32], 1.0
	v_fma_f64 v[31:32], v[31:32], v[33:34], v[31:32]
	v_mul_f64 v[33:34], v[35:36], v[31:32]
	v_fma_f64 v[29:30], -v[29:30], v[33:34], v[35:36]
	v_div_fmas_f64 v[29:30], v[29:30], v[31:32], v[33:34]
	v_div_fixup_f64 v[3:4], v[29:30], v[3:4], 1.0
                                        ; implicit-def: $vgpr29_vgpr30
	v_mul_f64 v[1:2], v[1:2], v[3:4]
	v_xor_b32_e32 v4, 0x80000000, v4
.LBB121_452:
	s_andn2_saveexec_b64 s[6:7], s[6:7]
	s_cbranch_execz .LBB121_454
; %bb.453:
	v_div_scale_f64 v[1:2], s[10:11], v[29:30], v[29:30], v[31:32]
	v_rcp_f64_e32 v[3:4], v[1:2]
	v_fma_f64 v[33:34], -v[1:2], v[3:4], 1.0
	v_fma_f64 v[3:4], v[3:4], v[33:34], v[3:4]
	v_div_scale_f64 v[33:34], vcc, v[31:32], v[29:30], v[31:32]
	v_fma_f64 v[35:36], -v[1:2], v[3:4], 1.0
	v_fma_f64 v[3:4], v[3:4], v[35:36], v[3:4]
	v_mul_f64 v[35:36], v[33:34], v[3:4]
	v_fma_f64 v[1:2], -v[1:2], v[35:36], v[33:34]
	v_div_fmas_f64 v[1:2], v[1:2], v[3:4], v[35:36]
	v_div_fixup_f64 v[3:4], v[1:2], v[29:30], v[31:32]
	v_fma_f64 v[1:2], v[31:32], v[3:4], v[29:30]
	v_div_scale_f64 v[29:30], s[10:11], v[1:2], v[1:2], 1.0
	v_div_scale_f64 v[35:36], vcc, 1.0, v[1:2], 1.0
	v_rcp_f64_e32 v[31:32], v[29:30]
	v_fma_f64 v[33:34], -v[29:30], v[31:32], 1.0
	v_fma_f64 v[31:32], v[31:32], v[33:34], v[31:32]
	v_fma_f64 v[33:34], -v[29:30], v[31:32], 1.0
	v_fma_f64 v[31:32], v[31:32], v[33:34], v[31:32]
	v_mul_f64 v[33:34], v[35:36], v[31:32]
	v_fma_f64 v[29:30], -v[29:30], v[33:34], v[35:36]
	v_div_fmas_f64 v[29:30], v[29:30], v[31:32], v[33:34]
	v_div_fixup_f64 v[1:2], v[29:30], v[1:2], 1.0
	v_mul_f64 v[3:4], v[3:4], -v[1:2]
.LBB121_454:
	s_or_b64 exec, exec, s[6:7]
	ds_write2_b64 v125, v[1:2], v[3:4] offset1:1
.LBB121_455:
	s_or_b64 exec, exec, s[8:9]
	s_waitcnt lgkmcnt(0)
	s_barrier
	ds_read2_b64 v[29:32], v125 offset1:1
	v_cmp_lt_u32_e32 vcc, 38, v0
	s_and_saveexec_b64 s[6:7], vcc
	s_cbranch_execz .LBB121_457
; %bb.456:
	buffer_load_dword v1, off, s[0:3], 0 offset:608
	buffer_load_dword v2, off, s[0:3], 0 offset:612
	;; [unrolled: 1-line block ×16, first 2 shown]
	s_waitcnt vmcnt(12) lgkmcnt(0)
	v_mul_f64 v[33:34], v[31:32], v[3:4]
	v_mul_f64 v[3:4], v[29:30], v[3:4]
	v_fma_f64 v[33:34], v[29:30], v[1:2], -v[33:34]
	v_fma_f64 v[35:36], v[31:32], v[1:2], v[3:4]
	buffer_store_dword v33, off, s[0:3], 0 offset:608
	buffer_store_dword v34, off, s[0:3], 0 offset:612
	buffer_store_dword v35, off, s[0:3], 0 offset:616
	buffer_store_dword v36, off, s[0:3], 0 offset:620
	ds_read2_b64 v[1:4], v117 offset0:78 offset1:79
	s_waitcnt lgkmcnt(0)
	v_mul_f64 v[49:50], v[3:4], v[35:36]
	v_fma_f64 v[49:50], v[1:2], v[33:34], -v[49:50]
	v_mul_f64 v[1:2], v[1:2], v[35:36]
	v_fma_f64 v[1:2], v[3:4], v[33:34], v[1:2]
	s_waitcnt vmcnt(14)
	v_add_f64 v[3:4], v[37:38], -v[49:50]
	s_waitcnt vmcnt(12)
	v_add_f64 v[1:2], v[39:40], -v[1:2]
	buffer_store_dword v3, off, s[0:3], 0 offset:624
	buffer_store_dword v4, off, s[0:3], 0 offset:628
	buffer_store_dword v1, off, s[0:3], 0 offset:632
	buffer_store_dword v2, off, s[0:3], 0 offset:636
	ds_read2_b64 v[1:4], v117 offset0:80 offset1:81
	s_waitcnt lgkmcnt(0)
	v_mul_f64 v[37:38], v[3:4], v[35:36]
	v_fma_f64 v[37:38], v[1:2], v[33:34], -v[37:38]
	v_mul_f64 v[1:2], v[1:2], v[35:36]
	v_fma_f64 v[1:2], v[3:4], v[33:34], v[1:2]
	s_waitcnt vmcnt(14)
	v_add_f64 v[3:4], v[41:42], -v[37:38]
	s_waitcnt vmcnt(12)
	v_add_f64 v[1:2], v[43:44], -v[1:2]
	;; [unrolled: 14-line block ×3, first 2 shown]
	buffer_store_dword v4, off, s[0:3], 0 offset:660
	buffer_store_dword v3, off, s[0:3], 0 offset:656
	buffer_store_dword v1, off, s[0:3], 0 offset:664
	buffer_store_dword v2, off, s[0:3], 0 offset:668
	ds_read2_b64 v[1:4], v117 offset0:84 offset1:85
	s_waitcnt lgkmcnt(0)
	v_mul_f64 v[37:38], v[3:4], v[35:36]
	v_fma_f64 v[37:38], v[1:2], v[33:34], -v[37:38]
	v_mul_f64 v[1:2], v[1:2], v[35:36]
	v_fma_f64 v[1:2], v[3:4], v[33:34], v[1:2]
	buffer_load_dword v3, off, s[0:3], 0 offset:672
	buffer_load_dword v4, off, s[0:3], 0 offset:676
	buffer_load_dword v39, off, s[0:3], 0 offset:680
	buffer_load_dword v40, off, s[0:3], 0 offset:684
	s_waitcnt vmcnt(2)
	v_add_f64 v[3:4], v[3:4], -v[37:38]
	s_waitcnt vmcnt(0)
	v_add_f64 v[1:2], v[39:40], -v[1:2]
	buffer_store_dword v4, off, s[0:3], 0 offset:676
	buffer_store_dword v3, off, s[0:3], 0 offset:672
	buffer_store_dword v2, off, s[0:3], 0 offset:684
	buffer_store_dword v1, off, s[0:3], 0 offset:680
	ds_read2_b64 v[1:4], v117 offset0:86 offset1:87
	s_waitcnt lgkmcnt(0)
	v_mul_f64 v[37:38], v[3:4], v[35:36]
	v_fma_f64 v[37:38], v[1:2], v[33:34], -v[37:38]
	v_mul_f64 v[1:2], v[1:2], v[35:36]
	v_fma_f64 v[1:2], v[3:4], v[33:34], v[1:2]
	buffer_load_dword v3, off, s[0:3], 0 offset:688
	buffer_load_dword v4, off, s[0:3], 0 offset:692
	buffer_load_dword v39, off, s[0:3], 0 offset:696
	buffer_load_dword v40, off, s[0:3], 0 offset:700
	s_waitcnt vmcnt(2)
	v_add_f64 v[3:4], v[3:4], -v[37:38]
	s_waitcnt vmcnt(0)
	v_add_f64 v[1:2], v[39:40], -v[1:2]
	;; [unrolled: 18-line block ×3, first 2 shown]
	buffer_store_dword v4, off, s[0:3], 0 offset:708
	buffer_store_dword v3, off, s[0:3], 0 offset:704
	;; [unrolled: 1-line block ×4, first 2 shown]
	ds_read2_b64 v[1:4], v117 offset0:90 offset1:91
	buffer_load_dword v33, off, s[0:3], 0 offset:608
	buffer_load_dword v34, off, s[0:3], 0 offset:612
	;; [unrolled: 1-line block ×4, first 2 shown]
	s_waitcnt vmcnt(0) lgkmcnt(0)
	v_mul_f64 v[37:38], v[3:4], v[35:36]
	v_fma_f64 v[37:38], v[1:2], v[33:34], -v[37:38]
	v_mul_f64 v[1:2], v[1:2], v[35:36]
	v_fma_f64 v[1:2], v[3:4], v[33:34], v[1:2]
	buffer_load_dword v4, off, s[0:3], 0 offset:724
	buffer_load_dword v3, off, s[0:3], 0 offset:720
	s_waitcnt vmcnt(0)
	v_add_f64 v[3:4], v[3:4], -v[37:38]
	buffer_load_dword v38, off, s[0:3], 0 offset:732
	buffer_load_dword v37, off, s[0:3], 0 offset:728
	s_waitcnt vmcnt(0)
	v_add_f64 v[1:2], v[37:38], -v[1:2]
	buffer_store_dword v4, off, s[0:3], 0 offset:724
	buffer_store_dword v3, off, s[0:3], 0 offset:720
	buffer_store_dword v2, off, s[0:3], 0 offset:732
	buffer_store_dword v1, off, s[0:3], 0 offset:728
	ds_read2_b64 v[1:4], v117 offset0:92 offset1:93
	s_waitcnt lgkmcnt(0)
	v_mul_f64 v[37:38], v[3:4], v[35:36]
	v_fma_f64 v[37:38], v[1:2], v[33:34], -v[37:38]
	v_mul_f64 v[1:2], v[1:2], v[35:36]
	v_fma_f64 v[1:2], v[3:4], v[33:34], v[1:2]
	buffer_load_dword v3, off, s[0:3], 0 offset:736
	buffer_load_dword v4, off, s[0:3], 0 offset:740
	buffer_load_dword v39, off, s[0:3], 0 offset:744
	buffer_load_dword v40, off, s[0:3], 0 offset:748
	s_waitcnt vmcnt(2)
	v_add_f64 v[3:4], v[3:4], -v[37:38]
	s_waitcnt vmcnt(0)
	v_add_f64 v[1:2], v[39:40], -v[1:2]
	buffer_store_dword v4, off, s[0:3], 0 offset:740
	buffer_store_dword v3, off, s[0:3], 0 offset:736
	buffer_store_dword v2, off, s[0:3], 0 offset:748
	buffer_store_dword v1, off, s[0:3], 0 offset:744
	ds_read2_b64 v[1:4], v117 offset0:94 offset1:95
	s_waitcnt lgkmcnt(0)
	v_mul_f64 v[37:38], v[3:4], v[35:36]
	v_fma_f64 v[37:38], v[1:2], v[33:34], -v[37:38]
	v_mul_f64 v[1:2], v[1:2], v[35:36]
	v_fma_f64 v[1:2], v[3:4], v[33:34], v[1:2]
	buffer_load_dword v3, off, s[0:3], 0 offset:752
	buffer_load_dword v4, off, s[0:3], 0 offset:756
	buffer_load_dword v39, off, s[0:3], 0 offset:760
	buffer_load_dword v40, off, s[0:3], 0 offset:764
	s_waitcnt vmcnt(2)
	v_add_f64 v[3:4], v[3:4], -v[37:38]
	;; [unrolled: 18-line block ×5, first 2 shown]
	s_waitcnt vmcnt(0)
	v_add_f64 v[1:2], v[33:34], -v[1:2]
	buffer_store_dword v4, off, s[0:3], 0 offset:804
	buffer_store_dword v3, off, s[0:3], 0 offset:800
	buffer_store_dword v2, off, s[0:3], 0 offset:812
	buffer_store_dword v1, off, s[0:3], 0 offset:808
	ds_read2_b64 v[1:4], v117 offset0:102 offset1:103
	buffer_load_dword v33, off, s[0:3], 0 offset:608
	buffer_load_dword v34, off, s[0:3], 0 offset:612
	;; [unrolled: 1-line block ×4, first 2 shown]
	s_waitcnt vmcnt(0) lgkmcnt(0)
	v_mul_f64 v[37:38], v[3:4], v[35:36]
	v_fma_f64 v[37:38], v[1:2], v[33:34], -v[37:38]
	v_mul_f64 v[1:2], v[1:2], v[35:36]
	v_fma_f64 v[1:2], v[3:4], v[33:34], v[1:2]
	buffer_load_dword v4, off, s[0:3], 0 offset:820
	buffer_load_dword v3, off, s[0:3], 0 offset:816
	s_waitcnt vmcnt(0)
	v_add_f64 v[3:4], v[3:4], -v[37:38]
	buffer_load_dword v38, off, s[0:3], 0 offset:828
	buffer_load_dword v37, off, s[0:3], 0 offset:824
	s_waitcnt vmcnt(0)
	v_add_f64 v[1:2], v[37:38], -v[1:2]
	buffer_store_dword v4, off, s[0:3], 0 offset:820
	buffer_store_dword v3, off, s[0:3], 0 offset:816
	buffer_store_dword v2, off, s[0:3], 0 offset:828
	buffer_store_dword v1, off, s[0:3], 0 offset:824
	ds_read2_b64 v[1:4], v117 offset0:104 offset1:105
	s_waitcnt lgkmcnt(0)
	v_mul_f64 v[37:38], v[3:4], v[35:36]
	v_fma_f64 v[37:38], v[1:2], v[33:34], -v[37:38]
	v_mul_f64 v[1:2], v[1:2], v[35:36]
	v_fma_f64 v[1:2], v[3:4], v[33:34], v[1:2]
	buffer_load_dword v3, off, s[0:3], 0 offset:832
	buffer_load_dword v4, off, s[0:3], 0 offset:836
	buffer_load_dword v39, off, s[0:3], 0 offset:840
	buffer_load_dword v40, off, s[0:3], 0 offset:844
	s_waitcnt vmcnt(2)
	v_add_f64 v[3:4], v[3:4], -v[37:38]
	s_waitcnt vmcnt(0)
	v_add_f64 v[1:2], v[39:40], -v[1:2]
	buffer_store_dword v4, off, s[0:3], 0 offset:836
	buffer_store_dword v3, off, s[0:3], 0 offset:832
	buffer_store_dword v2, off, s[0:3], 0 offset:844
	buffer_store_dword v1, off, s[0:3], 0 offset:840
	ds_read2_b64 v[1:4], v117 offset0:106 offset1:107
	s_waitcnt lgkmcnt(0)
	v_mul_f64 v[37:38], v[3:4], v[35:36]
	v_fma_f64 v[37:38], v[1:2], v[33:34], -v[37:38]
	v_mul_f64 v[1:2], v[1:2], v[35:36]
	v_fma_f64 v[1:2], v[3:4], v[33:34], v[1:2]
	buffer_load_dword v3, off, s[0:3], 0 offset:848
	buffer_load_dword v4, off, s[0:3], 0 offset:852
	buffer_load_dword v39, off, s[0:3], 0 offset:856
	buffer_load_dword v40, off, s[0:3], 0 offset:860
	s_waitcnt vmcnt(2)
	v_add_f64 v[3:4], v[3:4], -v[37:38]
	;; [unrolled: 18-line block ×5, first 2 shown]
	s_waitcnt vmcnt(0)
	v_add_f64 v[1:2], v[33:34], -v[1:2]
	buffer_store_dword v4, off, s[0:3], 0 offset:900
	buffer_store_dword v3, off, s[0:3], 0 offset:896
	;; [unrolled: 1-line block ×4, first 2 shown]
	ds_read2_b64 v[33:36], v117 offset0:114 offset1:115
	buffer_load_dword v37, off, s[0:3], 0 offset:608
	buffer_load_dword v38, off, s[0:3], 0 offset:612
	;; [unrolled: 1-line block ×4, first 2 shown]
	s_waitcnt vmcnt(0) lgkmcnt(0)
	v_mul_f64 v[1:2], v[35:36], v[39:40]
	v_fma_f64 v[41:42], v[33:34], v[37:38], -v[1:2]
	v_mul_f64 v[1:2], v[33:34], v[39:40]
	v_fma_f64 v[33:34], v[35:36], v[37:38], v[1:2]
	buffer_load_dword v2, off, s[0:3], 0 offset:916
	buffer_load_dword v1, off, s[0:3], 0 offset:912
	buffer_load_dword v4, off, s[0:3], 0 offset:924
	buffer_load_dword v3, off, s[0:3], 0 offset:920
	s_waitcnt vmcnt(2)
	v_add_f64 v[1:2], v[1:2], -v[41:42]
	s_waitcnt vmcnt(0)
	v_add_f64 v[3:4], v[3:4], -v[33:34]
	buffer_store_dword v2, off, s[0:3], 0 offset:916
	buffer_store_dword v1, off, s[0:3], 0 offset:912
	buffer_store_dword v4, off, s[0:3], 0 offset:924
	buffer_store_dword v3, off, s[0:3], 0 offset:920
	ds_read2_b64 v[1:4], v117 offset0:116 offset1:117
	s_waitcnt lgkmcnt(0)
	v_mul_f64 v[33:34], v[3:4], v[39:40]
	v_fma_f64 v[33:34], v[1:2], v[37:38], -v[33:34]
	v_mul_f64 v[1:2], v[1:2], v[39:40]
	v_fma_f64 v[1:2], v[3:4], v[37:38], v[1:2]
	buffer_load_dword v3, off, s[0:3], 0 offset:928
	buffer_load_dword v4, off, s[0:3], 0 offset:932
	buffer_load_dword v35, off, s[0:3], 0 offset:936
	buffer_load_dword v36, off, s[0:3], 0 offset:940
	s_waitcnt vmcnt(2)
	v_add_f64 v[3:4], v[3:4], -v[33:34]
	s_waitcnt vmcnt(0)
	v_add_f64 v[1:2], v[35:36], -v[1:2]
	buffer_store_dword v4, off, s[0:3], 0 offset:932
	buffer_store_dword v3, off, s[0:3], 0 offset:928
	buffer_store_dword v2, off, s[0:3], 0 offset:940
	buffer_store_dword v1, off, s[0:3], 0 offset:936
	ds_read2_b64 v[1:4], v117 offset0:118 offset1:119
	s_waitcnt lgkmcnt(0)
	;; [unrolled: 18-line block ×3, first 2 shown]
	v_mul_f64 v[33:34], v[3:4], v[39:40]
	v_fma_f64 v[35:36], v[1:2], v[37:38], -v[33:34]
	v_mul_f64 v[1:2], v[1:2], v[39:40]
	v_fma_f64 v[33:34], v[3:4], v[37:38], v[1:2]
	buffer_load_dword v1, off, s[0:3], 0 offset:960
	buffer_load_dword v2, off, s[0:3], 0 offset:964
	;; [unrolled: 1-line block ×4, first 2 shown]
	s_waitcnt vmcnt(2)
	v_add_f64 v[1:2], v[1:2], -v[35:36]
	s_waitcnt vmcnt(0)
	v_add_f64 v[3:4], v[3:4], -v[33:34]
	buffer_store_dword v2, off, s[0:3], 0 offset:964
	buffer_store_dword v1, off, s[0:3], 0 offset:960
	;; [unrolled: 1-line block ×4, first 2 shown]
.LBB121_457:
	s_or_b64 exec, exec, s[6:7]
	v_cmp_eq_u32_e32 vcc, 39, v0
	s_waitcnt vmcnt(0) lgkmcnt(0)
	s_barrier
	s_and_saveexec_b64 s[8:9], vcc
	s_cbranch_execz .LBB121_464
; %bb.458:
	v_readlane_b32 s6, v126, 14
	v_mov_b32_e32 v4, s6
	buffer_load_dword v1, v4, s[0:3], 0 offen
	buffer_load_dword v2, v4, s[0:3], 0 offen offset:4
	buffer_load_dword v3, v4, s[0:3], 0 offen offset:8
	s_nop 0
	buffer_load_dword v4, v4, s[0:3], 0 offen offset:12
	v_readlane_b32 s6, v126, 15
	s_waitcnt vmcnt(0)
	ds_write2_b64 v125, v[1:2], v[3:4] offset1:1
	v_mov_b32_e32 v4, s34
	buffer_load_dword v1, v4, s[0:3], 0 offen
	buffer_load_dword v2, v4, s[0:3], 0 offen offset:4
	buffer_load_dword v3, v4, s[0:3], 0 offen offset:8
	s_nop 0
	buffer_load_dword v4, v4, s[0:3], 0 offen offset:12
	s_waitcnt vmcnt(0)
	ds_write2_b64 v117, v[1:2], v[3:4] offset0:80 offset1:81
	v_mov_b32_e32 v4, s6
	buffer_load_dword v1, v4, s[0:3], 0 offen
	buffer_load_dword v2, v4, s[0:3], 0 offen offset:4
	buffer_load_dword v3, v4, s[0:3], 0 offen offset:8
	s_nop 0
	buffer_load_dword v4, v4, s[0:3], 0 offen offset:12
	v_readlane_b32 s6, v126, 16
	s_waitcnt vmcnt(0)
	ds_write2_b64 v117, v[1:2], v[3:4] offset0:82 offset1:83
	v_mov_b32_e32 v4, s30
	buffer_load_dword v1, v4, s[0:3], 0 offen
	buffer_load_dword v2, v4, s[0:3], 0 offen offset:4
	buffer_load_dword v3, v4, s[0:3], 0 offen offset:8
	s_nop 0
	buffer_load_dword v4, v4, s[0:3], 0 offen offset:12
	s_waitcnt vmcnt(0)
	ds_write2_b64 v117, v[1:2], v[3:4] offset0:84 offset1:85
	v_mov_b32_e32 v4, s6
	buffer_load_dword v1, v4, s[0:3], 0 offen
	buffer_load_dword v2, v4, s[0:3], 0 offen offset:4
	buffer_load_dword v3, v4, s[0:3], 0 offen offset:8
	s_nop 0
	buffer_load_dword v4, v4, s[0:3], 0 offen offset:12
	v_readlane_b32 s6, v126, 17
	s_waitcnt vmcnt(0)
	ds_write2_b64 v117, v[1:2], v[3:4] offset0:86 offset1:87
	;; [unrolled: 17-line block ×7, first 2 shown]
	v_mov_b32_e32 v4, s18
	buffer_load_dword v1, v4, s[0:3], 0 offen
	buffer_load_dword v2, v4, s[0:3], 0 offen offset:4
	buffer_load_dword v3, v4, s[0:3], 0 offen offset:8
	s_nop 0
	buffer_load_dword v4, v4, s[0:3], 0 offen offset:12
	s_waitcnt vmcnt(0)
	ds_write2_b64 v117, v[1:2], v[3:4] offset0:108 offset1:109
	v_mov_b32_e32 v4, s6
	buffer_load_dword v1, v4, s[0:3], 0 offen
	buffer_load_dword v2, v4, s[0:3], 0 offen offset:4
	buffer_load_dword v3, v4, s[0:3], 0 offen offset:8
	s_nop 0
	buffer_load_dword v4, v4, s[0:3], 0 offen offset:12
	s_waitcnt vmcnt(0)
	ds_write2_b64 v117, v[1:2], v[3:4] offset0:110 offset1:111
	;; [unrolled: 8-line block ×7, first 2 shown]
	ds_read2_b64 v[33:36], v125 offset1:1
	s_waitcnt lgkmcnt(0)
	v_cmp_neq_f64_e32 vcc, 0, v[33:34]
	v_cmp_neq_f64_e64 s[6:7], 0, v[35:36]
	s_or_b64 s[6:7], vcc, s[6:7]
	s_and_b64 exec, exec, s[6:7]
	s_cbranch_execz .LBB121_464
; %bb.459:
	v_cmp_ngt_f64_e64 s[6:7], |v[33:34]|, |v[35:36]|
                                        ; implicit-def: $vgpr1_vgpr2
	s_and_saveexec_b64 s[10:11], s[6:7]
	s_xor_b64 s[6:7], exec, s[10:11]
                                        ; implicit-def: $vgpr3_vgpr4
	s_cbranch_execz .LBB121_461
; %bb.460:
	v_div_scale_f64 v[1:2], s[10:11], v[35:36], v[35:36], v[33:34]
	v_rcp_f64_e32 v[3:4], v[1:2]
	v_fma_f64 v[37:38], -v[1:2], v[3:4], 1.0
	v_fma_f64 v[3:4], v[3:4], v[37:38], v[3:4]
	v_div_scale_f64 v[37:38], vcc, v[33:34], v[35:36], v[33:34]
	v_fma_f64 v[39:40], -v[1:2], v[3:4], 1.0
	v_fma_f64 v[3:4], v[3:4], v[39:40], v[3:4]
	v_mul_f64 v[39:40], v[37:38], v[3:4]
	v_fma_f64 v[1:2], -v[1:2], v[39:40], v[37:38]
	v_div_fmas_f64 v[1:2], v[1:2], v[3:4], v[39:40]
	v_div_fixup_f64 v[1:2], v[1:2], v[35:36], v[33:34]
	v_fma_f64 v[3:4], v[33:34], v[1:2], v[35:36]
	v_div_scale_f64 v[33:34], s[10:11], v[3:4], v[3:4], 1.0
	v_div_scale_f64 v[39:40], vcc, 1.0, v[3:4], 1.0
	v_rcp_f64_e32 v[35:36], v[33:34]
	v_fma_f64 v[37:38], -v[33:34], v[35:36], 1.0
	v_fma_f64 v[35:36], v[35:36], v[37:38], v[35:36]
	v_fma_f64 v[37:38], -v[33:34], v[35:36], 1.0
	v_fma_f64 v[35:36], v[35:36], v[37:38], v[35:36]
	v_mul_f64 v[37:38], v[39:40], v[35:36]
	v_fma_f64 v[33:34], -v[33:34], v[37:38], v[39:40]
	v_div_fmas_f64 v[33:34], v[33:34], v[35:36], v[37:38]
	v_div_fixup_f64 v[3:4], v[33:34], v[3:4], 1.0
                                        ; implicit-def: $vgpr33_vgpr34
	v_mul_f64 v[1:2], v[1:2], v[3:4]
	v_xor_b32_e32 v4, 0x80000000, v4
.LBB121_461:
	s_andn2_saveexec_b64 s[6:7], s[6:7]
	s_cbranch_execz .LBB121_463
; %bb.462:
	v_div_scale_f64 v[1:2], s[10:11], v[33:34], v[33:34], v[35:36]
	v_rcp_f64_e32 v[3:4], v[1:2]
	v_fma_f64 v[37:38], -v[1:2], v[3:4], 1.0
	v_fma_f64 v[3:4], v[3:4], v[37:38], v[3:4]
	v_div_scale_f64 v[37:38], vcc, v[35:36], v[33:34], v[35:36]
	v_fma_f64 v[39:40], -v[1:2], v[3:4], 1.0
	v_fma_f64 v[3:4], v[3:4], v[39:40], v[3:4]
	v_mul_f64 v[39:40], v[37:38], v[3:4]
	v_fma_f64 v[1:2], -v[1:2], v[39:40], v[37:38]
	v_div_fmas_f64 v[1:2], v[1:2], v[3:4], v[39:40]
	v_div_fixup_f64 v[3:4], v[1:2], v[33:34], v[35:36]
	v_fma_f64 v[1:2], v[35:36], v[3:4], v[33:34]
	v_div_scale_f64 v[33:34], s[10:11], v[1:2], v[1:2], 1.0
	v_div_scale_f64 v[39:40], vcc, 1.0, v[1:2], 1.0
	v_rcp_f64_e32 v[35:36], v[33:34]
	v_fma_f64 v[37:38], -v[33:34], v[35:36], 1.0
	v_fma_f64 v[35:36], v[35:36], v[37:38], v[35:36]
	v_fma_f64 v[37:38], -v[33:34], v[35:36], 1.0
	v_fma_f64 v[35:36], v[35:36], v[37:38], v[35:36]
	v_mul_f64 v[37:38], v[39:40], v[35:36]
	v_fma_f64 v[33:34], -v[33:34], v[37:38], v[39:40]
	v_div_fmas_f64 v[33:34], v[33:34], v[35:36], v[37:38]
	v_div_fixup_f64 v[1:2], v[33:34], v[1:2], 1.0
	v_mul_f64 v[3:4], v[3:4], -v[1:2]
.LBB121_463:
	s_or_b64 exec, exec, s[6:7]
	ds_write2_b64 v125, v[1:2], v[3:4] offset1:1
.LBB121_464:
	s_or_b64 exec, exec, s[8:9]
	s_waitcnt lgkmcnt(0)
	s_barrier
	ds_read2_b64 v[33:36], v125 offset1:1
	v_cmp_lt_u32_e32 vcc, 39, v0
	s_and_saveexec_b64 s[6:7], vcc
	s_cbranch_execz .LBB121_466
; %bb.465:
	buffer_load_dword v1, off, s[0:3], 0 offset:624
	buffer_load_dword v2, off, s[0:3], 0 offset:628
	;; [unrolled: 1-line block ×16, first 2 shown]
	s_waitcnt vmcnt(12) lgkmcnt(0)
	v_mul_f64 v[37:38], v[35:36], v[3:4]
	v_mul_f64 v[3:4], v[33:34], v[3:4]
	v_fma_f64 v[37:38], v[33:34], v[1:2], -v[37:38]
	v_fma_f64 v[39:40], v[35:36], v[1:2], v[3:4]
	buffer_store_dword v37, off, s[0:3], 0 offset:624
	buffer_store_dword v38, off, s[0:3], 0 offset:628
	buffer_store_dword v39, off, s[0:3], 0 offset:632
	buffer_store_dword v40, off, s[0:3], 0 offset:636
	ds_read2_b64 v[1:4], v117 offset0:80 offset1:81
	s_waitcnt lgkmcnt(0)
	v_mul_f64 v[53:54], v[3:4], v[39:40]
	v_fma_f64 v[53:54], v[1:2], v[37:38], -v[53:54]
	v_mul_f64 v[1:2], v[1:2], v[39:40]
	v_fma_f64 v[1:2], v[3:4], v[37:38], v[1:2]
	s_waitcnt vmcnt(14)
	v_add_f64 v[3:4], v[41:42], -v[53:54]
	s_waitcnt vmcnt(12)
	v_add_f64 v[1:2], v[43:44], -v[1:2]
	buffer_store_dword v3, off, s[0:3], 0 offset:640
	buffer_store_dword v4, off, s[0:3], 0 offset:644
	buffer_store_dword v1, off, s[0:3], 0 offset:648
	buffer_store_dword v2, off, s[0:3], 0 offset:652
	ds_read2_b64 v[1:4], v117 offset0:82 offset1:83
	s_waitcnt lgkmcnt(0)
	v_mul_f64 v[41:42], v[3:4], v[39:40]
	v_fma_f64 v[41:42], v[1:2], v[37:38], -v[41:42]
	v_mul_f64 v[1:2], v[1:2], v[39:40]
	v_fma_f64 v[1:2], v[3:4], v[37:38], v[1:2]
	s_waitcnt vmcnt(14)
	v_add_f64 v[3:4], v[45:46], -v[41:42]
	s_waitcnt vmcnt(12)
	v_add_f64 v[1:2], v[47:48], -v[1:2]
	;; [unrolled: 14-line block ×3, first 2 shown]
	buffer_store_dword v4, off, s[0:3], 0 offset:676
	buffer_store_dword v3, off, s[0:3], 0 offset:672
	buffer_store_dword v1, off, s[0:3], 0 offset:680
	buffer_store_dword v2, off, s[0:3], 0 offset:684
	ds_read2_b64 v[1:4], v117 offset0:86 offset1:87
	s_waitcnt lgkmcnt(0)
	v_mul_f64 v[41:42], v[3:4], v[39:40]
	v_fma_f64 v[41:42], v[1:2], v[37:38], -v[41:42]
	v_mul_f64 v[1:2], v[1:2], v[39:40]
	v_fma_f64 v[1:2], v[3:4], v[37:38], v[1:2]
	buffer_load_dword v3, off, s[0:3], 0 offset:688
	buffer_load_dword v4, off, s[0:3], 0 offset:692
	buffer_load_dword v43, off, s[0:3], 0 offset:696
	buffer_load_dword v44, off, s[0:3], 0 offset:700
	s_waitcnt vmcnt(2)
	v_add_f64 v[3:4], v[3:4], -v[41:42]
	s_waitcnt vmcnt(0)
	v_add_f64 v[1:2], v[43:44], -v[1:2]
	buffer_store_dword v4, off, s[0:3], 0 offset:692
	buffer_store_dword v3, off, s[0:3], 0 offset:688
	buffer_store_dword v2, off, s[0:3], 0 offset:700
	buffer_store_dword v1, off, s[0:3], 0 offset:696
	ds_read2_b64 v[1:4], v117 offset0:88 offset1:89
	s_waitcnt lgkmcnt(0)
	v_mul_f64 v[41:42], v[3:4], v[39:40]
	v_fma_f64 v[41:42], v[1:2], v[37:38], -v[41:42]
	v_mul_f64 v[1:2], v[1:2], v[39:40]
	v_fma_f64 v[1:2], v[3:4], v[37:38], v[1:2]
	buffer_load_dword v3, off, s[0:3], 0 offset:704
	buffer_load_dword v4, off, s[0:3], 0 offset:708
	buffer_load_dword v43, off, s[0:3], 0 offset:712
	buffer_load_dword v44, off, s[0:3], 0 offset:716
	s_waitcnt vmcnt(2)
	v_add_f64 v[3:4], v[3:4], -v[41:42]
	s_waitcnt vmcnt(0)
	v_add_f64 v[1:2], v[43:44], -v[1:2]
	;; [unrolled: 18-line block ×3, first 2 shown]
	buffer_store_dword v4, off, s[0:3], 0 offset:724
	buffer_store_dword v3, off, s[0:3], 0 offset:720
	;; [unrolled: 1-line block ×4, first 2 shown]
	ds_read2_b64 v[1:4], v117 offset0:92 offset1:93
	buffer_load_dword v37, off, s[0:3], 0 offset:624
	buffer_load_dword v38, off, s[0:3], 0 offset:628
	buffer_load_dword v39, off, s[0:3], 0 offset:632
	buffer_load_dword v40, off, s[0:3], 0 offset:636
	s_waitcnt vmcnt(0) lgkmcnt(0)
	v_mul_f64 v[41:42], v[3:4], v[39:40]
	v_fma_f64 v[41:42], v[1:2], v[37:38], -v[41:42]
	v_mul_f64 v[1:2], v[1:2], v[39:40]
	v_fma_f64 v[1:2], v[3:4], v[37:38], v[1:2]
	buffer_load_dword v4, off, s[0:3], 0 offset:740
	buffer_load_dword v3, off, s[0:3], 0 offset:736
	s_waitcnt vmcnt(0)
	v_add_f64 v[3:4], v[3:4], -v[41:42]
	buffer_load_dword v42, off, s[0:3], 0 offset:748
	buffer_load_dword v41, off, s[0:3], 0 offset:744
	s_waitcnt vmcnt(0)
	v_add_f64 v[1:2], v[41:42], -v[1:2]
	buffer_store_dword v4, off, s[0:3], 0 offset:740
	buffer_store_dword v3, off, s[0:3], 0 offset:736
	buffer_store_dword v2, off, s[0:3], 0 offset:748
	buffer_store_dword v1, off, s[0:3], 0 offset:744
	ds_read2_b64 v[1:4], v117 offset0:94 offset1:95
	s_waitcnt lgkmcnt(0)
	v_mul_f64 v[41:42], v[3:4], v[39:40]
	v_fma_f64 v[41:42], v[1:2], v[37:38], -v[41:42]
	v_mul_f64 v[1:2], v[1:2], v[39:40]
	v_fma_f64 v[1:2], v[3:4], v[37:38], v[1:2]
	buffer_load_dword v3, off, s[0:3], 0 offset:752
	buffer_load_dword v4, off, s[0:3], 0 offset:756
	buffer_load_dword v43, off, s[0:3], 0 offset:760
	buffer_load_dword v44, off, s[0:3], 0 offset:764
	s_waitcnt vmcnt(2)
	v_add_f64 v[3:4], v[3:4], -v[41:42]
	s_waitcnt vmcnt(0)
	v_add_f64 v[1:2], v[43:44], -v[1:2]
	buffer_store_dword v4, off, s[0:3], 0 offset:756
	buffer_store_dword v3, off, s[0:3], 0 offset:752
	buffer_store_dword v2, off, s[0:3], 0 offset:764
	buffer_store_dword v1, off, s[0:3], 0 offset:760
	ds_read2_b64 v[1:4], v117 offset0:96 offset1:97
	s_waitcnt lgkmcnt(0)
	v_mul_f64 v[41:42], v[3:4], v[39:40]
	v_fma_f64 v[41:42], v[1:2], v[37:38], -v[41:42]
	v_mul_f64 v[1:2], v[1:2], v[39:40]
	v_fma_f64 v[1:2], v[3:4], v[37:38], v[1:2]
	buffer_load_dword v3, off, s[0:3], 0 offset:768
	buffer_load_dword v4, off, s[0:3], 0 offset:772
	buffer_load_dword v43, off, s[0:3], 0 offset:776
	buffer_load_dword v44, off, s[0:3], 0 offset:780
	s_waitcnt vmcnt(2)
	v_add_f64 v[3:4], v[3:4], -v[41:42]
	;; [unrolled: 18-line block ×5, first 2 shown]
	s_waitcnt vmcnt(0)
	v_add_f64 v[1:2], v[37:38], -v[1:2]
	buffer_store_dword v4, off, s[0:3], 0 offset:820
	buffer_store_dword v3, off, s[0:3], 0 offset:816
	;; [unrolled: 1-line block ×4, first 2 shown]
	ds_read2_b64 v[1:4], v117 offset0:104 offset1:105
	buffer_load_dword v37, off, s[0:3], 0 offset:624
	buffer_load_dword v38, off, s[0:3], 0 offset:628
	;; [unrolled: 1-line block ×4, first 2 shown]
	s_waitcnt vmcnt(0) lgkmcnt(0)
	v_mul_f64 v[41:42], v[3:4], v[39:40]
	v_fma_f64 v[41:42], v[1:2], v[37:38], -v[41:42]
	v_mul_f64 v[1:2], v[1:2], v[39:40]
	v_fma_f64 v[1:2], v[3:4], v[37:38], v[1:2]
	buffer_load_dword v4, off, s[0:3], 0 offset:836
	buffer_load_dword v3, off, s[0:3], 0 offset:832
	s_waitcnt vmcnt(0)
	v_add_f64 v[3:4], v[3:4], -v[41:42]
	buffer_load_dword v42, off, s[0:3], 0 offset:844
	buffer_load_dword v41, off, s[0:3], 0 offset:840
	s_waitcnt vmcnt(0)
	v_add_f64 v[1:2], v[41:42], -v[1:2]
	buffer_store_dword v4, off, s[0:3], 0 offset:836
	buffer_store_dword v3, off, s[0:3], 0 offset:832
	buffer_store_dword v2, off, s[0:3], 0 offset:844
	buffer_store_dword v1, off, s[0:3], 0 offset:840
	ds_read2_b64 v[1:4], v117 offset0:106 offset1:107
	s_waitcnt lgkmcnt(0)
	v_mul_f64 v[41:42], v[3:4], v[39:40]
	v_fma_f64 v[41:42], v[1:2], v[37:38], -v[41:42]
	v_mul_f64 v[1:2], v[1:2], v[39:40]
	v_fma_f64 v[1:2], v[3:4], v[37:38], v[1:2]
	buffer_load_dword v3, off, s[0:3], 0 offset:848
	buffer_load_dword v4, off, s[0:3], 0 offset:852
	buffer_load_dword v43, off, s[0:3], 0 offset:856
	buffer_load_dword v44, off, s[0:3], 0 offset:860
	s_waitcnt vmcnt(2)
	v_add_f64 v[3:4], v[3:4], -v[41:42]
	s_waitcnt vmcnt(0)
	v_add_f64 v[1:2], v[43:44], -v[1:2]
	buffer_store_dword v4, off, s[0:3], 0 offset:852
	buffer_store_dword v3, off, s[0:3], 0 offset:848
	buffer_store_dword v2, off, s[0:3], 0 offset:860
	buffer_store_dword v1, off, s[0:3], 0 offset:856
	ds_read2_b64 v[1:4], v117 offset0:108 offset1:109
	s_waitcnt lgkmcnt(0)
	v_mul_f64 v[41:42], v[3:4], v[39:40]
	v_fma_f64 v[41:42], v[1:2], v[37:38], -v[41:42]
	v_mul_f64 v[1:2], v[1:2], v[39:40]
	v_fma_f64 v[1:2], v[3:4], v[37:38], v[1:2]
	buffer_load_dword v3, off, s[0:3], 0 offset:864
	buffer_load_dword v4, off, s[0:3], 0 offset:868
	buffer_load_dword v43, off, s[0:3], 0 offset:872
	buffer_load_dword v44, off, s[0:3], 0 offset:876
	s_waitcnt vmcnt(2)
	v_add_f64 v[3:4], v[3:4], -v[41:42]
	;; [unrolled: 18-line block ×5, first 2 shown]
	s_waitcnt vmcnt(0)
	v_add_f64 v[1:2], v[37:38], -v[1:2]
	buffer_store_dword v4, off, s[0:3], 0 offset:916
	buffer_store_dword v3, off, s[0:3], 0 offset:912
	;; [unrolled: 1-line block ×4, first 2 shown]
	ds_read2_b64 v[37:40], v117 offset0:116 offset1:117
	buffer_load_dword v41, off, s[0:3], 0 offset:624
	buffer_load_dword v42, off, s[0:3], 0 offset:628
	;; [unrolled: 1-line block ×4, first 2 shown]
	s_waitcnt vmcnt(0) lgkmcnt(0)
	v_mul_f64 v[1:2], v[39:40], v[43:44]
	v_fma_f64 v[45:46], v[37:38], v[41:42], -v[1:2]
	v_mul_f64 v[1:2], v[37:38], v[43:44]
	v_fma_f64 v[37:38], v[39:40], v[41:42], v[1:2]
	buffer_load_dword v2, off, s[0:3], 0 offset:932
	buffer_load_dword v1, off, s[0:3], 0 offset:928
	;; [unrolled: 1-line block ×4, first 2 shown]
	s_waitcnt vmcnt(2)
	v_add_f64 v[1:2], v[1:2], -v[45:46]
	s_waitcnt vmcnt(0)
	v_add_f64 v[3:4], v[3:4], -v[37:38]
	buffer_store_dword v2, off, s[0:3], 0 offset:932
	buffer_store_dword v1, off, s[0:3], 0 offset:928
	;; [unrolled: 1-line block ×4, first 2 shown]
	ds_read2_b64 v[1:4], v117 offset0:118 offset1:119
	s_waitcnt lgkmcnt(0)
	v_mul_f64 v[37:38], v[3:4], v[43:44]
	v_fma_f64 v[37:38], v[1:2], v[41:42], -v[37:38]
	v_mul_f64 v[1:2], v[1:2], v[43:44]
	v_fma_f64 v[1:2], v[3:4], v[41:42], v[1:2]
	buffer_load_dword v3, off, s[0:3], 0 offset:944
	buffer_load_dword v4, off, s[0:3], 0 offset:948
	;; [unrolled: 1-line block ×4, first 2 shown]
	s_waitcnt vmcnt(2)
	v_add_f64 v[3:4], v[3:4], -v[37:38]
	s_waitcnt vmcnt(0)
	v_add_f64 v[1:2], v[39:40], -v[1:2]
	buffer_store_dword v4, off, s[0:3], 0 offset:948
	buffer_store_dword v3, off, s[0:3], 0 offset:944
	;; [unrolled: 1-line block ×4, first 2 shown]
	ds_read2_b64 v[1:4], v117 offset0:120 offset1:121
	s_waitcnt lgkmcnt(0)
	v_mul_f64 v[37:38], v[3:4], v[43:44]
	v_fma_f64 v[39:40], v[1:2], v[41:42], -v[37:38]
	v_mul_f64 v[1:2], v[1:2], v[43:44]
	v_fma_f64 v[37:38], v[3:4], v[41:42], v[1:2]
	buffer_load_dword v1, off, s[0:3], 0 offset:960
	buffer_load_dword v2, off, s[0:3], 0 offset:964
	;; [unrolled: 1-line block ×4, first 2 shown]
	s_waitcnt vmcnt(2)
	v_add_f64 v[1:2], v[1:2], -v[39:40]
	s_waitcnt vmcnt(0)
	v_add_f64 v[3:4], v[3:4], -v[37:38]
	buffer_store_dword v2, off, s[0:3], 0 offset:964
	buffer_store_dword v1, off, s[0:3], 0 offset:960
	;; [unrolled: 1-line block ×4, first 2 shown]
.LBB121_466:
	s_or_b64 exec, exec, s[6:7]
	v_cmp_eq_u32_e32 vcc, 40, v0
	s_waitcnt vmcnt(0) lgkmcnt(0)
	s_barrier
	s_and_saveexec_b64 s[8:9], vcc
	s_cbranch_execz .LBB121_473
; %bb.467:
	v_mov_b32_e32 v4, s34
	buffer_load_dword v1, v4, s[0:3], 0 offen
	buffer_load_dword v2, v4, s[0:3], 0 offen offset:4
	buffer_load_dword v3, v4, s[0:3], 0 offen offset:8
	s_nop 0
	buffer_load_dword v4, v4, s[0:3], 0 offen offset:12
	v_readlane_b32 s6, v126, 15
	s_waitcnt vmcnt(0)
	ds_write2_b64 v125, v[1:2], v[3:4] offset1:1
	v_mov_b32_e32 v4, s6
	buffer_load_dword v1, v4, s[0:3], 0 offen
	buffer_load_dword v2, v4, s[0:3], 0 offen offset:4
	buffer_load_dword v3, v4, s[0:3], 0 offen offset:8
	s_nop 0
	buffer_load_dword v4, v4, s[0:3], 0 offen offset:12
	v_readlane_b32 s6, v126, 16
	s_waitcnt vmcnt(0)
	ds_write2_b64 v117, v[1:2], v[3:4] offset0:82 offset1:83
	v_mov_b32_e32 v4, s30
	buffer_load_dword v1, v4, s[0:3], 0 offen
	buffer_load_dword v2, v4, s[0:3], 0 offen offset:4
	buffer_load_dword v3, v4, s[0:3], 0 offen offset:8
	s_nop 0
	buffer_load_dword v4, v4, s[0:3], 0 offen offset:12
	s_waitcnt vmcnt(0)
	ds_write2_b64 v117, v[1:2], v[3:4] offset0:84 offset1:85
	v_mov_b32_e32 v4, s6
	buffer_load_dword v1, v4, s[0:3], 0 offen
	buffer_load_dword v2, v4, s[0:3], 0 offen offset:4
	buffer_load_dword v3, v4, s[0:3], 0 offen offset:8
	s_nop 0
	buffer_load_dword v4, v4, s[0:3], 0 offen offset:12
	v_readlane_b32 s6, v126, 17
	s_waitcnt vmcnt(0)
	ds_write2_b64 v117, v[1:2], v[3:4] offset0:86 offset1:87
	v_mov_b32_e32 v4, s28
	buffer_load_dword v1, v4, s[0:3], 0 offen
	buffer_load_dword v2, v4, s[0:3], 0 offen offset:4
	buffer_load_dword v3, v4, s[0:3], 0 offen offset:8
	s_nop 0
	buffer_load_dword v4, v4, s[0:3], 0 offen offset:12
	s_waitcnt vmcnt(0)
	ds_write2_b64 v117, v[1:2], v[3:4] offset0:88 offset1:89
	;; [unrolled: 17-line block ×7, first 2 shown]
	v_mov_b32_e32 v4, s6
	buffer_load_dword v1, v4, s[0:3], 0 offen
	buffer_load_dword v2, v4, s[0:3], 0 offen offset:4
	buffer_load_dword v3, v4, s[0:3], 0 offen offset:8
	s_nop 0
	buffer_load_dword v4, v4, s[0:3], 0 offen offset:12
	s_waitcnt vmcnt(0)
	ds_write2_b64 v117, v[1:2], v[3:4] offset0:110 offset1:111
	v_mov_b32_e32 v4, s16
	buffer_load_dword v1, v4, s[0:3], 0 offen
	buffer_load_dword v2, v4, s[0:3], 0 offen offset:4
	buffer_load_dword v3, v4, s[0:3], 0 offen offset:8
	s_nop 0
	buffer_load_dword v4, v4, s[0:3], 0 offen offset:12
	s_waitcnt vmcnt(0)
	ds_write2_b64 v117, v[1:2], v[3:4] offset0:112 offset1:113
	;; [unrolled: 8-line block ×6, first 2 shown]
	ds_read2_b64 v[37:40], v125 offset1:1
	s_waitcnt lgkmcnt(0)
	v_cmp_neq_f64_e32 vcc, 0, v[37:38]
	v_cmp_neq_f64_e64 s[6:7], 0, v[39:40]
	s_or_b64 s[6:7], vcc, s[6:7]
	s_and_b64 exec, exec, s[6:7]
	s_cbranch_execz .LBB121_473
; %bb.468:
	v_cmp_ngt_f64_e64 s[6:7], |v[37:38]|, |v[39:40]|
                                        ; implicit-def: $vgpr1_vgpr2
	s_and_saveexec_b64 s[10:11], s[6:7]
	s_xor_b64 s[6:7], exec, s[10:11]
                                        ; implicit-def: $vgpr3_vgpr4
	s_cbranch_execz .LBB121_470
; %bb.469:
	v_div_scale_f64 v[1:2], s[10:11], v[39:40], v[39:40], v[37:38]
	v_rcp_f64_e32 v[3:4], v[1:2]
	v_fma_f64 v[41:42], -v[1:2], v[3:4], 1.0
	v_fma_f64 v[3:4], v[3:4], v[41:42], v[3:4]
	v_div_scale_f64 v[41:42], vcc, v[37:38], v[39:40], v[37:38]
	v_fma_f64 v[43:44], -v[1:2], v[3:4], 1.0
	v_fma_f64 v[3:4], v[3:4], v[43:44], v[3:4]
	v_mul_f64 v[43:44], v[41:42], v[3:4]
	v_fma_f64 v[1:2], -v[1:2], v[43:44], v[41:42]
	v_div_fmas_f64 v[1:2], v[1:2], v[3:4], v[43:44]
	v_div_fixup_f64 v[1:2], v[1:2], v[39:40], v[37:38]
	v_fma_f64 v[3:4], v[37:38], v[1:2], v[39:40]
	v_div_scale_f64 v[37:38], s[10:11], v[3:4], v[3:4], 1.0
	v_div_scale_f64 v[43:44], vcc, 1.0, v[3:4], 1.0
	v_rcp_f64_e32 v[39:40], v[37:38]
	v_fma_f64 v[41:42], -v[37:38], v[39:40], 1.0
	v_fma_f64 v[39:40], v[39:40], v[41:42], v[39:40]
	v_fma_f64 v[41:42], -v[37:38], v[39:40], 1.0
	v_fma_f64 v[39:40], v[39:40], v[41:42], v[39:40]
	v_mul_f64 v[41:42], v[43:44], v[39:40]
	v_fma_f64 v[37:38], -v[37:38], v[41:42], v[43:44]
	v_div_fmas_f64 v[37:38], v[37:38], v[39:40], v[41:42]
	v_div_fixup_f64 v[3:4], v[37:38], v[3:4], 1.0
                                        ; implicit-def: $vgpr37_vgpr38
	v_mul_f64 v[1:2], v[1:2], v[3:4]
	v_xor_b32_e32 v4, 0x80000000, v4
.LBB121_470:
	s_andn2_saveexec_b64 s[6:7], s[6:7]
	s_cbranch_execz .LBB121_472
; %bb.471:
	v_div_scale_f64 v[1:2], s[10:11], v[37:38], v[37:38], v[39:40]
	v_rcp_f64_e32 v[3:4], v[1:2]
	v_fma_f64 v[41:42], -v[1:2], v[3:4], 1.0
	v_fma_f64 v[3:4], v[3:4], v[41:42], v[3:4]
	v_div_scale_f64 v[41:42], vcc, v[39:40], v[37:38], v[39:40]
	v_fma_f64 v[43:44], -v[1:2], v[3:4], 1.0
	v_fma_f64 v[3:4], v[3:4], v[43:44], v[3:4]
	v_mul_f64 v[43:44], v[41:42], v[3:4]
	v_fma_f64 v[1:2], -v[1:2], v[43:44], v[41:42]
	v_div_fmas_f64 v[1:2], v[1:2], v[3:4], v[43:44]
	v_div_fixup_f64 v[3:4], v[1:2], v[37:38], v[39:40]
	v_fma_f64 v[1:2], v[39:40], v[3:4], v[37:38]
	v_div_scale_f64 v[37:38], s[10:11], v[1:2], v[1:2], 1.0
	v_div_scale_f64 v[43:44], vcc, 1.0, v[1:2], 1.0
	v_rcp_f64_e32 v[39:40], v[37:38]
	v_fma_f64 v[41:42], -v[37:38], v[39:40], 1.0
	v_fma_f64 v[39:40], v[39:40], v[41:42], v[39:40]
	v_fma_f64 v[41:42], -v[37:38], v[39:40], 1.0
	v_fma_f64 v[39:40], v[39:40], v[41:42], v[39:40]
	v_mul_f64 v[41:42], v[43:44], v[39:40]
	v_fma_f64 v[37:38], -v[37:38], v[41:42], v[43:44]
	v_div_fmas_f64 v[37:38], v[37:38], v[39:40], v[41:42]
	v_div_fixup_f64 v[1:2], v[37:38], v[1:2], 1.0
	v_mul_f64 v[3:4], v[3:4], -v[1:2]
.LBB121_472:
	s_or_b64 exec, exec, s[6:7]
	ds_write2_b64 v125, v[1:2], v[3:4] offset1:1
.LBB121_473:
	s_or_b64 exec, exec, s[8:9]
	s_waitcnt lgkmcnt(0)
	s_barrier
	ds_read2_b64 v[37:40], v125 offset1:1
	v_cmp_lt_u32_e32 vcc, 40, v0
	s_and_saveexec_b64 s[6:7], vcc
	s_cbranch_execz .LBB121_475
; %bb.474:
	buffer_load_dword v1, off, s[0:3], 0 offset:640
	buffer_load_dword v2, off, s[0:3], 0 offset:644
	;; [unrolled: 1-line block ×16, first 2 shown]
	s_waitcnt vmcnt(12) lgkmcnt(0)
	v_mul_f64 v[41:42], v[39:40], v[3:4]
	v_mul_f64 v[3:4], v[37:38], v[3:4]
	v_fma_f64 v[41:42], v[37:38], v[1:2], -v[41:42]
	v_fma_f64 v[43:44], v[39:40], v[1:2], v[3:4]
	buffer_store_dword v41, off, s[0:3], 0 offset:640
	buffer_store_dword v42, off, s[0:3], 0 offset:644
	buffer_store_dword v43, off, s[0:3], 0 offset:648
	buffer_store_dword v44, off, s[0:3], 0 offset:652
	ds_read2_b64 v[1:4], v117 offset0:82 offset1:83
	s_waitcnt lgkmcnt(0)
	v_mul_f64 v[57:58], v[3:4], v[43:44]
	v_fma_f64 v[57:58], v[1:2], v[41:42], -v[57:58]
	v_mul_f64 v[1:2], v[1:2], v[43:44]
	v_fma_f64 v[1:2], v[3:4], v[41:42], v[1:2]
	s_waitcnt vmcnt(14)
	v_add_f64 v[3:4], v[45:46], -v[57:58]
	s_waitcnt vmcnt(12)
	v_add_f64 v[1:2], v[47:48], -v[1:2]
	buffer_store_dword v3, off, s[0:3], 0 offset:656
	buffer_store_dword v4, off, s[0:3], 0 offset:660
	buffer_store_dword v1, off, s[0:3], 0 offset:664
	buffer_store_dword v2, off, s[0:3], 0 offset:668
	ds_read2_b64 v[1:4], v117 offset0:84 offset1:85
	s_waitcnt lgkmcnt(0)
	v_mul_f64 v[45:46], v[3:4], v[43:44]
	v_fma_f64 v[45:46], v[1:2], v[41:42], -v[45:46]
	v_mul_f64 v[1:2], v[1:2], v[43:44]
	v_fma_f64 v[1:2], v[3:4], v[41:42], v[1:2]
	s_waitcnt vmcnt(14)
	v_add_f64 v[3:4], v[49:50], -v[45:46]
	s_waitcnt vmcnt(12)
	v_add_f64 v[1:2], v[51:52], -v[1:2]
	;; [unrolled: 14-line block ×3, first 2 shown]
	buffer_store_dword v4, off, s[0:3], 0 offset:692
	buffer_store_dword v3, off, s[0:3], 0 offset:688
	buffer_store_dword v1, off, s[0:3], 0 offset:696
	buffer_store_dword v2, off, s[0:3], 0 offset:700
	ds_read2_b64 v[1:4], v117 offset0:88 offset1:89
	s_waitcnt lgkmcnt(0)
	v_mul_f64 v[45:46], v[3:4], v[43:44]
	v_fma_f64 v[45:46], v[1:2], v[41:42], -v[45:46]
	v_mul_f64 v[1:2], v[1:2], v[43:44]
	v_fma_f64 v[1:2], v[3:4], v[41:42], v[1:2]
	buffer_load_dword v3, off, s[0:3], 0 offset:704
	buffer_load_dword v4, off, s[0:3], 0 offset:708
	buffer_load_dword v47, off, s[0:3], 0 offset:712
	buffer_load_dword v48, off, s[0:3], 0 offset:716
	s_waitcnt vmcnt(2)
	v_add_f64 v[3:4], v[3:4], -v[45:46]
	s_waitcnt vmcnt(0)
	v_add_f64 v[1:2], v[47:48], -v[1:2]
	buffer_store_dword v4, off, s[0:3], 0 offset:708
	buffer_store_dword v3, off, s[0:3], 0 offset:704
	buffer_store_dword v2, off, s[0:3], 0 offset:716
	buffer_store_dword v1, off, s[0:3], 0 offset:712
	ds_read2_b64 v[1:4], v117 offset0:90 offset1:91
	s_waitcnt lgkmcnt(0)
	v_mul_f64 v[45:46], v[3:4], v[43:44]
	v_fma_f64 v[45:46], v[1:2], v[41:42], -v[45:46]
	v_mul_f64 v[1:2], v[1:2], v[43:44]
	v_fma_f64 v[1:2], v[3:4], v[41:42], v[1:2]
	buffer_load_dword v3, off, s[0:3], 0 offset:720
	buffer_load_dword v4, off, s[0:3], 0 offset:724
	buffer_load_dword v47, off, s[0:3], 0 offset:728
	buffer_load_dword v48, off, s[0:3], 0 offset:732
	s_waitcnt vmcnt(2)
	v_add_f64 v[3:4], v[3:4], -v[45:46]
	s_waitcnt vmcnt(0)
	v_add_f64 v[1:2], v[47:48], -v[1:2]
	buffer_store_dword v4, off, s[0:3], 0 offset:724
	buffer_store_dword v3, off, s[0:3], 0 offset:720
	buffer_store_dword v2, off, s[0:3], 0 offset:732
	buffer_store_dword v1, off, s[0:3], 0 offset:728
	ds_read2_b64 v[1:4], v117 offset0:92 offset1:93
	s_waitcnt lgkmcnt(0)
	v_mul_f64 v[45:46], v[3:4], v[43:44]
	v_fma_f64 v[45:46], v[1:2], v[41:42], -v[45:46]
	v_mul_f64 v[1:2], v[1:2], v[43:44]
	v_fma_f64 v[1:2], v[3:4], v[41:42], v[1:2]
	buffer_load_dword v3, off, s[0:3], 0 offset:736
	buffer_load_dword v4, off, s[0:3], 0 offset:740
	buffer_load_dword v41, off, s[0:3], 0 offset:744
	buffer_load_dword v42, off, s[0:3], 0 offset:748
	s_waitcnt vmcnt(2)
	v_add_f64 v[3:4], v[3:4], -v[45:46]
	s_waitcnt vmcnt(0)
	v_add_f64 v[1:2], v[41:42], -v[1:2]
	buffer_store_dword v4, off, s[0:3], 0 offset:740
	buffer_store_dword v3, off, s[0:3], 0 offset:736
	;; [unrolled: 1-line block ×4, first 2 shown]
	ds_read2_b64 v[1:4], v117 offset0:94 offset1:95
	buffer_load_dword v41, off, s[0:3], 0 offset:640
	buffer_load_dword v42, off, s[0:3], 0 offset:644
	;; [unrolled: 1-line block ×4, first 2 shown]
	s_waitcnt vmcnt(0) lgkmcnt(0)
	v_mul_f64 v[45:46], v[3:4], v[43:44]
	v_fma_f64 v[45:46], v[1:2], v[41:42], -v[45:46]
	v_mul_f64 v[1:2], v[1:2], v[43:44]
	v_fma_f64 v[1:2], v[3:4], v[41:42], v[1:2]
	buffer_load_dword v4, off, s[0:3], 0 offset:756
	buffer_load_dword v3, off, s[0:3], 0 offset:752
	s_waitcnt vmcnt(0)
	v_add_f64 v[3:4], v[3:4], -v[45:46]
	buffer_load_dword v46, off, s[0:3], 0 offset:764
	buffer_load_dword v45, off, s[0:3], 0 offset:760
	s_waitcnt vmcnt(0)
	v_add_f64 v[1:2], v[45:46], -v[1:2]
	buffer_store_dword v4, off, s[0:3], 0 offset:756
	buffer_store_dword v3, off, s[0:3], 0 offset:752
	buffer_store_dword v2, off, s[0:3], 0 offset:764
	buffer_store_dword v1, off, s[0:3], 0 offset:760
	ds_read2_b64 v[1:4], v117 offset0:96 offset1:97
	s_waitcnt lgkmcnt(0)
	v_mul_f64 v[45:46], v[3:4], v[43:44]
	v_fma_f64 v[45:46], v[1:2], v[41:42], -v[45:46]
	v_mul_f64 v[1:2], v[1:2], v[43:44]
	v_fma_f64 v[1:2], v[3:4], v[41:42], v[1:2]
	buffer_load_dword v3, off, s[0:3], 0 offset:768
	buffer_load_dword v4, off, s[0:3], 0 offset:772
	buffer_load_dword v47, off, s[0:3], 0 offset:776
	buffer_load_dword v48, off, s[0:3], 0 offset:780
	s_waitcnt vmcnt(2)
	v_add_f64 v[3:4], v[3:4], -v[45:46]
	s_waitcnt vmcnt(0)
	v_add_f64 v[1:2], v[47:48], -v[1:2]
	buffer_store_dword v4, off, s[0:3], 0 offset:772
	buffer_store_dword v3, off, s[0:3], 0 offset:768
	buffer_store_dword v2, off, s[0:3], 0 offset:780
	buffer_store_dword v1, off, s[0:3], 0 offset:776
	ds_read2_b64 v[1:4], v117 offset0:98 offset1:99
	s_waitcnt lgkmcnt(0)
	v_mul_f64 v[45:46], v[3:4], v[43:44]
	v_fma_f64 v[45:46], v[1:2], v[41:42], -v[45:46]
	v_mul_f64 v[1:2], v[1:2], v[43:44]
	v_fma_f64 v[1:2], v[3:4], v[41:42], v[1:2]
	buffer_load_dword v3, off, s[0:3], 0 offset:784
	buffer_load_dword v4, off, s[0:3], 0 offset:788
	buffer_load_dword v47, off, s[0:3], 0 offset:792
	buffer_load_dword v48, off, s[0:3], 0 offset:796
	s_waitcnt vmcnt(2)
	v_add_f64 v[3:4], v[3:4], -v[45:46]
	;; [unrolled: 18-line block ×5, first 2 shown]
	s_waitcnt vmcnt(0)
	v_add_f64 v[1:2], v[41:42], -v[1:2]
	buffer_store_dword v4, off, s[0:3], 0 offset:836
	buffer_store_dword v3, off, s[0:3], 0 offset:832
	;; [unrolled: 1-line block ×4, first 2 shown]
	ds_read2_b64 v[1:4], v117 offset0:106 offset1:107
	buffer_load_dword v41, off, s[0:3], 0 offset:640
	buffer_load_dword v42, off, s[0:3], 0 offset:644
	;; [unrolled: 1-line block ×4, first 2 shown]
	s_waitcnt vmcnt(0) lgkmcnt(0)
	v_mul_f64 v[45:46], v[3:4], v[43:44]
	v_fma_f64 v[45:46], v[1:2], v[41:42], -v[45:46]
	v_mul_f64 v[1:2], v[1:2], v[43:44]
	v_fma_f64 v[1:2], v[3:4], v[41:42], v[1:2]
	buffer_load_dword v4, off, s[0:3], 0 offset:852
	buffer_load_dword v3, off, s[0:3], 0 offset:848
	s_waitcnt vmcnt(0)
	v_add_f64 v[3:4], v[3:4], -v[45:46]
	buffer_load_dword v46, off, s[0:3], 0 offset:860
	buffer_load_dword v45, off, s[0:3], 0 offset:856
	s_waitcnt vmcnt(0)
	v_add_f64 v[1:2], v[45:46], -v[1:2]
	buffer_store_dword v4, off, s[0:3], 0 offset:852
	buffer_store_dword v3, off, s[0:3], 0 offset:848
	buffer_store_dword v2, off, s[0:3], 0 offset:860
	buffer_store_dword v1, off, s[0:3], 0 offset:856
	ds_read2_b64 v[1:4], v117 offset0:108 offset1:109
	s_waitcnt lgkmcnt(0)
	v_mul_f64 v[45:46], v[3:4], v[43:44]
	v_fma_f64 v[45:46], v[1:2], v[41:42], -v[45:46]
	v_mul_f64 v[1:2], v[1:2], v[43:44]
	v_fma_f64 v[1:2], v[3:4], v[41:42], v[1:2]
	buffer_load_dword v3, off, s[0:3], 0 offset:864
	buffer_load_dword v4, off, s[0:3], 0 offset:868
	buffer_load_dword v47, off, s[0:3], 0 offset:872
	buffer_load_dword v48, off, s[0:3], 0 offset:876
	s_waitcnt vmcnt(2)
	v_add_f64 v[3:4], v[3:4], -v[45:46]
	s_waitcnt vmcnt(0)
	v_add_f64 v[1:2], v[47:48], -v[1:2]
	buffer_store_dword v4, off, s[0:3], 0 offset:868
	buffer_store_dword v3, off, s[0:3], 0 offset:864
	buffer_store_dword v2, off, s[0:3], 0 offset:876
	buffer_store_dword v1, off, s[0:3], 0 offset:872
	ds_read2_b64 v[1:4], v117 offset0:110 offset1:111
	s_waitcnt lgkmcnt(0)
	v_mul_f64 v[45:46], v[3:4], v[43:44]
	v_fma_f64 v[45:46], v[1:2], v[41:42], -v[45:46]
	v_mul_f64 v[1:2], v[1:2], v[43:44]
	v_fma_f64 v[1:2], v[3:4], v[41:42], v[1:2]
	buffer_load_dword v3, off, s[0:3], 0 offset:880
	buffer_load_dword v4, off, s[0:3], 0 offset:884
	buffer_load_dword v47, off, s[0:3], 0 offset:888
	buffer_load_dword v48, off, s[0:3], 0 offset:892
	s_waitcnt vmcnt(2)
	v_add_f64 v[3:4], v[3:4], -v[45:46]
	;; [unrolled: 18-line block ×5, first 2 shown]
	s_waitcnt vmcnt(0)
	v_add_f64 v[1:2], v[41:42], -v[1:2]
	buffer_store_dword v4, off, s[0:3], 0 offset:932
	buffer_store_dword v3, off, s[0:3], 0 offset:928
	;; [unrolled: 1-line block ×4, first 2 shown]
	ds_read2_b64 v[1:4], v117 offset0:118 offset1:119
	buffer_load_dword v41, off, s[0:3], 0 offset:640
	buffer_load_dword v42, off, s[0:3], 0 offset:644
	;; [unrolled: 1-line block ×4, first 2 shown]
	s_waitcnt vmcnt(0) lgkmcnt(0)
	v_mul_f64 v[45:46], v[3:4], v[43:44]
	v_fma_f64 v[47:48], v[1:2], v[41:42], -v[45:46]
	v_mul_f64 v[1:2], v[1:2], v[43:44]
	v_fma_f64 v[45:46], v[3:4], v[41:42], v[1:2]
	buffer_load_dword v2, off, s[0:3], 0 offset:948
	buffer_load_dword v1, off, s[0:3], 0 offset:944
	buffer_load_dword v4, off, s[0:3], 0 offset:956
	buffer_load_dword v3, off, s[0:3], 0 offset:952
	s_waitcnt vmcnt(2)
	v_add_f64 v[1:2], v[1:2], -v[47:48]
	s_waitcnt vmcnt(0)
	v_add_f64 v[3:4], v[3:4], -v[45:46]
	buffer_store_dword v2, off, s[0:3], 0 offset:948
	buffer_store_dword v1, off, s[0:3], 0 offset:944
	;; [unrolled: 1-line block ×4, first 2 shown]
	ds_read2_b64 v[1:4], v117 offset0:120 offset1:121
	s_waitcnt lgkmcnt(0)
	v_mul_f64 v[45:46], v[3:4], v[43:44]
	v_fma_f64 v[45:46], v[1:2], v[41:42], -v[45:46]
	v_mul_f64 v[1:2], v[1:2], v[43:44]
	buffer_load_dword v47, off, s[0:3], 0 offset:960
	buffer_load_dword v48, off, s[0:3], 0 offset:964
	;; [unrolled: 1-line block ×4, first 2 shown]
	v_fma_f64 v[41:42], v[3:4], v[41:42], v[1:2]
	s_waitcnt vmcnt(2)
	v_add_f64 v[1:2], v[47:48], -v[45:46]
	s_waitcnt vmcnt(0)
	v_add_f64 v[3:4], v[43:44], -v[41:42]
	buffer_store_dword v2, off, s[0:3], 0 offset:964
	buffer_store_dword v1, off, s[0:3], 0 offset:960
	;; [unrolled: 1-line block ×4, first 2 shown]
.LBB121_475:
	s_or_b64 exec, exec, s[6:7]
	v_cmp_eq_u32_e32 vcc, 41, v0
	s_waitcnt vmcnt(0) lgkmcnt(0)
	s_barrier
	s_and_saveexec_b64 s[8:9], vcc
	s_cbranch_execz .LBB121_482
; %bb.476:
	v_readlane_b32 s6, v126, 15
	v_mov_b32_e32 v4, s6
	buffer_load_dword v1, v4, s[0:3], 0 offen
	buffer_load_dword v2, v4, s[0:3], 0 offen offset:4
	buffer_load_dword v3, v4, s[0:3], 0 offen offset:8
	s_nop 0
	buffer_load_dword v4, v4, s[0:3], 0 offen offset:12
	v_readlane_b32 s6, v126, 16
	s_waitcnt vmcnt(0)
	ds_write2_b64 v125, v[1:2], v[3:4] offset1:1
	v_mov_b32_e32 v4, s30
	buffer_load_dword v1, v4, s[0:3], 0 offen
	buffer_load_dword v2, v4, s[0:3], 0 offen offset:4
	buffer_load_dword v3, v4, s[0:3], 0 offen offset:8
	s_nop 0
	buffer_load_dword v4, v4, s[0:3], 0 offen offset:12
	s_waitcnt vmcnt(0)
	ds_write2_b64 v117, v[1:2], v[3:4] offset0:84 offset1:85
	v_mov_b32_e32 v4, s6
	buffer_load_dword v1, v4, s[0:3], 0 offen
	buffer_load_dword v2, v4, s[0:3], 0 offen offset:4
	buffer_load_dword v3, v4, s[0:3], 0 offen offset:8
	s_nop 0
	buffer_load_dword v4, v4, s[0:3], 0 offen offset:12
	v_readlane_b32 s6, v126, 17
	s_waitcnt vmcnt(0)
	ds_write2_b64 v117, v[1:2], v[3:4] offset0:86 offset1:87
	v_mov_b32_e32 v4, s28
	buffer_load_dword v1, v4, s[0:3], 0 offen
	buffer_load_dword v2, v4, s[0:3], 0 offen offset:4
	buffer_load_dword v3, v4, s[0:3], 0 offen offset:8
	s_nop 0
	buffer_load_dword v4, v4, s[0:3], 0 offen offset:12
	s_waitcnt vmcnt(0)
	ds_write2_b64 v117, v[1:2], v[3:4] offset0:88 offset1:89
	v_mov_b32_e32 v4, s6
	buffer_load_dword v1, v4, s[0:3], 0 offen
	buffer_load_dword v2, v4, s[0:3], 0 offen offset:4
	buffer_load_dword v3, v4, s[0:3], 0 offen offset:8
	s_nop 0
	buffer_load_dword v4, v4, s[0:3], 0 offen offset:12
	v_readlane_b32 s6, v126, 18
	s_waitcnt vmcnt(0)
	ds_write2_b64 v117, v[1:2], v[3:4] offset0:90 offset1:91
	;; [unrolled: 17-line block ×6, first 2 shown]
	v_mov_b32_e32 v4, s18
	buffer_load_dword v1, v4, s[0:3], 0 offen
	buffer_load_dword v2, v4, s[0:3], 0 offen offset:4
	buffer_load_dword v3, v4, s[0:3], 0 offen offset:8
	s_nop 0
	buffer_load_dword v4, v4, s[0:3], 0 offen offset:12
	s_waitcnt vmcnt(0)
	ds_write2_b64 v117, v[1:2], v[3:4] offset0:108 offset1:109
	v_mov_b32_e32 v4, s6
	buffer_load_dword v1, v4, s[0:3], 0 offen
	buffer_load_dword v2, v4, s[0:3], 0 offen offset:4
	buffer_load_dword v3, v4, s[0:3], 0 offen offset:8
	s_nop 0
	buffer_load_dword v4, v4, s[0:3], 0 offen offset:12
	s_waitcnt vmcnt(0)
	ds_write2_b64 v117, v[1:2], v[3:4] offset0:110 offset1:111
	;; [unrolled: 8-line block ×7, first 2 shown]
	ds_read2_b64 v[41:44], v125 offset1:1
	s_waitcnt lgkmcnt(0)
	v_cmp_neq_f64_e32 vcc, 0, v[41:42]
	v_cmp_neq_f64_e64 s[6:7], 0, v[43:44]
	s_or_b64 s[6:7], vcc, s[6:7]
	s_and_b64 exec, exec, s[6:7]
	s_cbranch_execz .LBB121_482
; %bb.477:
	v_cmp_ngt_f64_e64 s[6:7], |v[41:42]|, |v[43:44]|
                                        ; implicit-def: $vgpr1_vgpr2
	s_and_saveexec_b64 s[10:11], s[6:7]
	s_xor_b64 s[6:7], exec, s[10:11]
                                        ; implicit-def: $vgpr3_vgpr4
	s_cbranch_execz .LBB121_479
; %bb.478:
	v_div_scale_f64 v[1:2], s[10:11], v[43:44], v[43:44], v[41:42]
	v_rcp_f64_e32 v[3:4], v[1:2]
	v_fma_f64 v[45:46], -v[1:2], v[3:4], 1.0
	v_fma_f64 v[3:4], v[3:4], v[45:46], v[3:4]
	v_div_scale_f64 v[45:46], vcc, v[41:42], v[43:44], v[41:42]
	v_fma_f64 v[47:48], -v[1:2], v[3:4], 1.0
	v_fma_f64 v[3:4], v[3:4], v[47:48], v[3:4]
	v_mul_f64 v[47:48], v[45:46], v[3:4]
	v_fma_f64 v[1:2], -v[1:2], v[47:48], v[45:46]
	v_div_fmas_f64 v[1:2], v[1:2], v[3:4], v[47:48]
	v_div_fixup_f64 v[1:2], v[1:2], v[43:44], v[41:42]
	v_fma_f64 v[3:4], v[41:42], v[1:2], v[43:44]
	v_div_scale_f64 v[41:42], s[10:11], v[3:4], v[3:4], 1.0
	v_div_scale_f64 v[47:48], vcc, 1.0, v[3:4], 1.0
	v_rcp_f64_e32 v[43:44], v[41:42]
	v_fma_f64 v[45:46], -v[41:42], v[43:44], 1.0
	v_fma_f64 v[43:44], v[43:44], v[45:46], v[43:44]
	v_fma_f64 v[45:46], -v[41:42], v[43:44], 1.0
	v_fma_f64 v[43:44], v[43:44], v[45:46], v[43:44]
	v_mul_f64 v[45:46], v[47:48], v[43:44]
	v_fma_f64 v[41:42], -v[41:42], v[45:46], v[47:48]
	v_div_fmas_f64 v[41:42], v[41:42], v[43:44], v[45:46]
	v_div_fixup_f64 v[3:4], v[41:42], v[3:4], 1.0
                                        ; implicit-def: $vgpr41_vgpr42
	v_mul_f64 v[1:2], v[1:2], v[3:4]
	v_xor_b32_e32 v4, 0x80000000, v4
.LBB121_479:
	s_andn2_saveexec_b64 s[6:7], s[6:7]
	s_cbranch_execz .LBB121_481
; %bb.480:
	v_div_scale_f64 v[1:2], s[10:11], v[41:42], v[41:42], v[43:44]
	v_rcp_f64_e32 v[3:4], v[1:2]
	v_fma_f64 v[45:46], -v[1:2], v[3:4], 1.0
	v_fma_f64 v[3:4], v[3:4], v[45:46], v[3:4]
	v_div_scale_f64 v[45:46], vcc, v[43:44], v[41:42], v[43:44]
	v_fma_f64 v[47:48], -v[1:2], v[3:4], 1.0
	v_fma_f64 v[3:4], v[3:4], v[47:48], v[3:4]
	v_mul_f64 v[47:48], v[45:46], v[3:4]
	v_fma_f64 v[1:2], -v[1:2], v[47:48], v[45:46]
	v_div_fmas_f64 v[1:2], v[1:2], v[3:4], v[47:48]
	v_div_fixup_f64 v[3:4], v[1:2], v[41:42], v[43:44]
	v_fma_f64 v[1:2], v[43:44], v[3:4], v[41:42]
	v_div_scale_f64 v[41:42], s[10:11], v[1:2], v[1:2], 1.0
	v_div_scale_f64 v[47:48], vcc, 1.0, v[1:2], 1.0
	v_rcp_f64_e32 v[43:44], v[41:42]
	v_fma_f64 v[45:46], -v[41:42], v[43:44], 1.0
	v_fma_f64 v[43:44], v[43:44], v[45:46], v[43:44]
	v_fma_f64 v[45:46], -v[41:42], v[43:44], 1.0
	v_fma_f64 v[43:44], v[43:44], v[45:46], v[43:44]
	v_mul_f64 v[45:46], v[47:48], v[43:44]
	v_fma_f64 v[41:42], -v[41:42], v[45:46], v[47:48]
	v_div_fmas_f64 v[41:42], v[41:42], v[43:44], v[45:46]
	v_div_fixup_f64 v[1:2], v[41:42], v[1:2], 1.0
	v_mul_f64 v[3:4], v[3:4], -v[1:2]
.LBB121_481:
	s_or_b64 exec, exec, s[6:7]
	ds_write2_b64 v125, v[1:2], v[3:4] offset1:1
.LBB121_482:
	s_or_b64 exec, exec, s[8:9]
	s_waitcnt lgkmcnt(0)
	s_barrier
	ds_read2_b64 v[41:44], v125 offset1:1
	v_cmp_lt_u32_e32 vcc, 41, v0
	s_and_saveexec_b64 s[6:7], vcc
	s_cbranch_execz .LBB121_484
; %bb.483:
	buffer_load_dword v1, off, s[0:3], 0 offset:656
	buffer_load_dword v2, off, s[0:3], 0 offset:660
	;; [unrolled: 1-line block ×16, first 2 shown]
	s_waitcnt vmcnt(12) lgkmcnt(0)
	v_mul_f64 v[45:46], v[43:44], v[3:4]
	v_mul_f64 v[3:4], v[41:42], v[3:4]
	v_fma_f64 v[45:46], v[41:42], v[1:2], -v[45:46]
	v_fma_f64 v[47:48], v[43:44], v[1:2], v[3:4]
	buffer_store_dword v45, off, s[0:3], 0 offset:656
	buffer_store_dword v46, off, s[0:3], 0 offset:660
	buffer_store_dword v47, off, s[0:3], 0 offset:664
	buffer_store_dword v48, off, s[0:3], 0 offset:668
	ds_read2_b64 v[1:4], v117 offset0:84 offset1:85
	s_waitcnt lgkmcnt(0)
	v_mul_f64 v[61:62], v[3:4], v[47:48]
	v_fma_f64 v[61:62], v[1:2], v[45:46], -v[61:62]
	v_mul_f64 v[1:2], v[1:2], v[47:48]
	v_fma_f64 v[1:2], v[3:4], v[45:46], v[1:2]
	s_waitcnt vmcnt(14)
	v_add_f64 v[3:4], v[49:50], -v[61:62]
	s_waitcnt vmcnt(12)
	v_add_f64 v[1:2], v[51:52], -v[1:2]
	buffer_store_dword v3, off, s[0:3], 0 offset:672
	buffer_store_dword v4, off, s[0:3], 0 offset:676
	buffer_store_dword v1, off, s[0:3], 0 offset:680
	buffer_store_dword v2, off, s[0:3], 0 offset:684
	ds_read2_b64 v[1:4], v117 offset0:86 offset1:87
	s_waitcnt lgkmcnt(0)
	v_mul_f64 v[49:50], v[3:4], v[47:48]
	v_fma_f64 v[49:50], v[1:2], v[45:46], -v[49:50]
	v_mul_f64 v[1:2], v[1:2], v[47:48]
	v_fma_f64 v[1:2], v[3:4], v[45:46], v[1:2]
	s_waitcnt vmcnt(14)
	v_add_f64 v[3:4], v[53:54], -v[49:50]
	s_waitcnt vmcnt(12)
	v_add_f64 v[1:2], v[55:56], -v[1:2]
	;; [unrolled: 14-line block ×3, first 2 shown]
	buffer_store_dword v4, off, s[0:3], 0 offset:708
	buffer_store_dword v3, off, s[0:3], 0 offset:704
	buffer_store_dword v1, off, s[0:3], 0 offset:712
	buffer_store_dword v2, off, s[0:3], 0 offset:716
	ds_read2_b64 v[1:4], v117 offset0:90 offset1:91
	s_waitcnt lgkmcnt(0)
	v_mul_f64 v[49:50], v[3:4], v[47:48]
	v_fma_f64 v[49:50], v[1:2], v[45:46], -v[49:50]
	v_mul_f64 v[1:2], v[1:2], v[47:48]
	v_fma_f64 v[1:2], v[3:4], v[45:46], v[1:2]
	buffer_load_dword v3, off, s[0:3], 0 offset:720
	buffer_load_dword v4, off, s[0:3], 0 offset:724
	buffer_load_dword v51, off, s[0:3], 0 offset:728
	buffer_load_dword v52, off, s[0:3], 0 offset:732
	s_waitcnt vmcnt(2)
	v_add_f64 v[3:4], v[3:4], -v[49:50]
	s_waitcnt vmcnt(0)
	v_add_f64 v[1:2], v[51:52], -v[1:2]
	buffer_store_dword v4, off, s[0:3], 0 offset:724
	buffer_store_dword v3, off, s[0:3], 0 offset:720
	buffer_store_dword v2, off, s[0:3], 0 offset:732
	buffer_store_dword v1, off, s[0:3], 0 offset:728
	ds_read2_b64 v[1:4], v117 offset0:92 offset1:93
	s_waitcnt lgkmcnt(0)
	v_mul_f64 v[49:50], v[3:4], v[47:48]
	v_fma_f64 v[49:50], v[1:2], v[45:46], -v[49:50]
	v_mul_f64 v[1:2], v[1:2], v[47:48]
	v_fma_f64 v[1:2], v[3:4], v[45:46], v[1:2]
	buffer_load_dword v3, off, s[0:3], 0 offset:736
	buffer_load_dword v4, off, s[0:3], 0 offset:740
	buffer_load_dword v51, off, s[0:3], 0 offset:744
	buffer_load_dword v52, off, s[0:3], 0 offset:748
	s_waitcnt vmcnt(2)
	v_add_f64 v[3:4], v[3:4], -v[49:50]
	s_waitcnt vmcnt(0)
	v_add_f64 v[1:2], v[51:52], -v[1:2]
	;; [unrolled: 18-line block ×3, first 2 shown]
	buffer_store_dword v4, off, s[0:3], 0 offset:756
	buffer_store_dword v3, off, s[0:3], 0 offset:752
	;; [unrolled: 1-line block ×4, first 2 shown]
	ds_read2_b64 v[1:4], v117 offset0:96 offset1:97
	buffer_load_dword v45, off, s[0:3], 0 offset:656
	buffer_load_dword v46, off, s[0:3], 0 offset:660
	;; [unrolled: 1-line block ×4, first 2 shown]
	s_waitcnt vmcnt(0) lgkmcnt(0)
	v_mul_f64 v[49:50], v[3:4], v[47:48]
	v_fma_f64 v[49:50], v[1:2], v[45:46], -v[49:50]
	v_mul_f64 v[1:2], v[1:2], v[47:48]
	v_fma_f64 v[1:2], v[3:4], v[45:46], v[1:2]
	buffer_load_dword v4, off, s[0:3], 0 offset:772
	buffer_load_dword v3, off, s[0:3], 0 offset:768
	s_waitcnt vmcnt(0)
	v_add_f64 v[3:4], v[3:4], -v[49:50]
	buffer_load_dword v50, off, s[0:3], 0 offset:780
	buffer_load_dword v49, off, s[0:3], 0 offset:776
	s_waitcnt vmcnt(0)
	v_add_f64 v[1:2], v[49:50], -v[1:2]
	buffer_store_dword v4, off, s[0:3], 0 offset:772
	buffer_store_dword v3, off, s[0:3], 0 offset:768
	buffer_store_dword v2, off, s[0:3], 0 offset:780
	buffer_store_dword v1, off, s[0:3], 0 offset:776
	ds_read2_b64 v[1:4], v117 offset0:98 offset1:99
	s_waitcnt lgkmcnt(0)
	v_mul_f64 v[49:50], v[3:4], v[47:48]
	v_fma_f64 v[49:50], v[1:2], v[45:46], -v[49:50]
	v_mul_f64 v[1:2], v[1:2], v[47:48]
	v_fma_f64 v[1:2], v[3:4], v[45:46], v[1:2]
	buffer_load_dword v3, off, s[0:3], 0 offset:784
	buffer_load_dword v4, off, s[0:3], 0 offset:788
	buffer_load_dword v51, off, s[0:3], 0 offset:792
	buffer_load_dword v52, off, s[0:3], 0 offset:796
	s_waitcnt vmcnt(2)
	v_add_f64 v[3:4], v[3:4], -v[49:50]
	s_waitcnt vmcnt(0)
	v_add_f64 v[1:2], v[51:52], -v[1:2]
	buffer_store_dword v4, off, s[0:3], 0 offset:788
	buffer_store_dword v3, off, s[0:3], 0 offset:784
	buffer_store_dword v2, off, s[0:3], 0 offset:796
	buffer_store_dword v1, off, s[0:3], 0 offset:792
	ds_read2_b64 v[1:4], v117 offset0:100 offset1:101
	s_waitcnt lgkmcnt(0)
	v_mul_f64 v[49:50], v[3:4], v[47:48]
	v_fma_f64 v[49:50], v[1:2], v[45:46], -v[49:50]
	v_mul_f64 v[1:2], v[1:2], v[47:48]
	v_fma_f64 v[1:2], v[3:4], v[45:46], v[1:2]
	buffer_load_dword v3, off, s[0:3], 0 offset:800
	buffer_load_dword v4, off, s[0:3], 0 offset:804
	buffer_load_dword v51, off, s[0:3], 0 offset:808
	buffer_load_dword v52, off, s[0:3], 0 offset:812
	s_waitcnt vmcnt(2)
	v_add_f64 v[3:4], v[3:4], -v[49:50]
	;; [unrolled: 18-line block ×5, first 2 shown]
	s_waitcnt vmcnt(0)
	v_add_f64 v[1:2], v[45:46], -v[1:2]
	buffer_store_dword v4, off, s[0:3], 0 offset:852
	buffer_store_dword v3, off, s[0:3], 0 offset:848
	buffer_store_dword v2, off, s[0:3], 0 offset:860
	buffer_store_dword v1, off, s[0:3], 0 offset:856
	ds_read2_b64 v[1:4], v117 offset0:108 offset1:109
	buffer_load_dword v45, off, s[0:3], 0 offset:656
	buffer_load_dword v46, off, s[0:3], 0 offset:660
	;; [unrolled: 1-line block ×4, first 2 shown]
	s_waitcnt vmcnt(0) lgkmcnt(0)
	v_mul_f64 v[49:50], v[3:4], v[47:48]
	v_fma_f64 v[49:50], v[1:2], v[45:46], -v[49:50]
	v_mul_f64 v[1:2], v[1:2], v[47:48]
	v_fma_f64 v[1:2], v[3:4], v[45:46], v[1:2]
	buffer_load_dword v4, off, s[0:3], 0 offset:868
	buffer_load_dword v3, off, s[0:3], 0 offset:864
	s_waitcnt vmcnt(0)
	v_add_f64 v[3:4], v[3:4], -v[49:50]
	buffer_load_dword v50, off, s[0:3], 0 offset:876
	buffer_load_dword v49, off, s[0:3], 0 offset:872
	s_waitcnt vmcnt(0)
	v_add_f64 v[1:2], v[49:50], -v[1:2]
	buffer_store_dword v4, off, s[0:3], 0 offset:868
	buffer_store_dword v3, off, s[0:3], 0 offset:864
	buffer_store_dword v2, off, s[0:3], 0 offset:876
	buffer_store_dword v1, off, s[0:3], 0 offset:872
	ds_read2_b64 v[1:4], v117 offset0:110 offset1:111
	s_waitcnt lgkmcnt(0)
	v_mul_f64 v[49:50], v[3:4], v[47:48]
	v_fma_f64 v[49:50], v[1:2], v[45:46], -v[49:50]
	v_mul_f64 v[1:2], v[1:2], v[47:48]
	v_fma_f64 v[1:2], v[3:4], v[45:46], v[1:2]
	buffer_load_dword v3, off, s[0:3], 0 offset:880
	buffer_load_dword v4, off, s[0:3], 0 offset:884
	buffer_load_dword v51, off, s[0:3], 0 offset:888
	buffer_load_dword v52, off, s[0:3], 0 offset:892
	s_waitcnt vmcnt(2)
	v_add_f64 v[3:4], v[3:4], -v[49:50]
	s_waitcnt vmcnt(0)
	v_add_f64 v[1:2], v[51:52], -v[1:2]
	buffer_store_dword v4, off, s[0:3], 0 offset:884
	buffer_store_dword v3, off, s[0:3], 0 offset:880
	buffer_store_dword v2, off, s[0:3], 0 offset:892
	buffer_store_dword v1, off, s[0:3], 0 offset:888
	ds_read2_b64 v[1:4], v117 offset0:112 offset1:113
	s_waitcnt lgkmcnt(0)
	v_mul_f64 v[49:50], v[3:4], v[47:48]
	v_fma_f64 v[49:50], v[1:2], v[45:46], -v[49:50]
	v_mul_f64 v[1:2], v[1:2], v[47:48]
	v_fma_f64 v[1:2], v[3:4], v[45:46], v[1:2]
	buffer_load_dword v3, off, s[0:3], 0 offset:896
	buffer_load_dword v4, off, s[0:3], 0 offset:900
	buffer_load_dword v51, off, s[0:3], 0 offset:904
	buffer_load_dword v52, off, s[0:3], 0 offset:908
	s_waitcnt vmcnt(2)
	v_add_f64 v[3:4], v[3:4], -v[49:50]
	;; [unrolled: 18-line block ×5, first 2 shown]
	s_waitcnt vmcnt(0)
	v_add_f64 v[1:2], v[45:46], -v[1:2]
	buffer_store_dword v4, off, s[0:3], 0 offset:948
	buffer_store_dword v3, off, s[0:3], 0 offset:944
	;; [unrolled: 1-line block ×4, first 2 shown]
	ds_read2_b64 v[1:4], v117 offset0:120 offset1:121
	buffer_load_dword v45, off, s[0:3], 0 offset:656
	buffer_load_dword v46, off, s[0:3], 0 offset:660
	;; [unrolled: 1-line block ×4, first 2 shown]
	s_waitcnt vmcnt(0) lgkmcnt(0)
	v_mul_f64 v[47:48], v[3:4], v[49:50]
	v_fma_f64 v[47:48], v[1:2], v[45:46], -v[47:48]
	v_mul_f64 v[1:2], v[1:2], v[49:50]
	v_fma_f64 v[45:46], v[3:4], v[45:46], v[1:2]
	buffer_load_dword v2, off, s[0:3], 0 offset:964
	buffer_load_dword v1, off, s[0:3], 0 offset:960
	s_waitcnt vmcnt(0)
	v_add_f64 v[47:48], v[1:2], -v[47:48]
	buffer_load_dword v2, off, s[0:3], 0 offset:972
	buffer_load_dword v1, off, s[0:3], 0 offset:968
	s_waitcnt vmcnt(0)
	v_add_f64 v[1:2], v[1:2], -v[45:46]
	buffer_store_dword v48, off, s[0:3], 0 offset:964
	buffer_store_dword v47, off, s[0:3], 0 offset:960
	;; [unrolled: 1-line block ×4, first 2 shown]
.LBB121_484:
	s_or_b64 exec, exec, s[6:7]
	v_cmp_eq_u32_e32 vcc, 42, v0
	s_waitcnt vmcnt(0) lgkmcnt(0)
	s_barrier
	s_and_saveexec_b64 s[8:9], vcc
	s_cbranch_execz .LBB121_491
; %bb.485:
	v_mov_b32_e32 v4, s30
	buffer_load_dword v1, v4, s[0:3], 0 offen
	buffer_load_dword v2, v4, s[0:3], 0 offen offset:4
	buffer_load_dword v3, v4, s[0:3], 0 offen offset:8
	s_nop 0
	buffer_load_dword v4, v4, s[0:3], 0 offen offset:12
	v_readlane_b32 s6, v126, 16
	s_waitcnt vmcnt(0)
	ds_write2_b64 v125, v[1:2], v[3:4] offset1:1
	v_mov_b32_e32 v4, s6
	buffer_load_dword v1, v4, s[0:3], 0 offen
	buffer_load_dword v2, v4, s[0:3], 0 offen offset:4
	buffer_load_dword v3, v4, s[0:3], 0 offen offset:8
	s_nop 0
	buffer_load_dword v4, v4, s[0:3], 0 offen offset:12
	v_readlane_b32 s6, v126, 17
	s_waitcnt vmcnt(0)
	ds_write2_b64 v117, v[1:2], v[3:4] offset0:86 offset1:87
	v_mov_b32_e32 v4, s28
	buffer_load_dword v1, v4, s[0:3], 0 offen
	buffer_load_dword v2, v4, s[0:3], 0 offen offset:4
	buffer_load_dword v3, v4, s[0:3], 0 offen offset:8
	s_nop 0
	buffer_load_dword v4, v4, s[0:3], 0 offen offset:12
	s_waitcnt vmcnt(0)
	ds_write2_b64 v117, v[1:2], v[3:4] offset0:88 offset1:89
	v_mov_b32_e32 v4, s6
	buffer_load_dword v1, v4, s[0:3], 0 offen
	buffer_load_dword v2, v4, s[0:3], 0 offen offset:4
	buffer_load_dword v3, v4, s[0:3], 0 offen offset:8
	s_nop 0
	buffer_load_dword v4, v4, s[0:3], 0 offen offset:12
	v_readlane_b32 s6, v126, 18
	s_waitcnt vmcnt(0)
	ds_write2_b64 v117, v[1:2], v[3:4] offset0:90 offset1:91
	v_mov_b32_e32 v4, s26
	buffer_load_dword v1, v4, s[0:3], 0 offen
	buffer_load_dword v2, v4, s[0:3], 0 offen offset:4
	buffer_load_dword v3, v4, s[0:3], 0 offen offset:8
	s_nop 0
	buffer_load_dword v4, v4, s[0:3], 0 offen offset:12
	s_waitcnt vmcnt(0)
	ds_write2_b64 v117, v[1:2], v[3:4] offset0:92 offset1:93
	v_mov_b32_e32 v4, s6
	buffer_load_dword v1, v4, s[0:3], 0 offen
	buffer_load_dword v2, v4, s[0:3], 0 offen offset:4
	buffer_load_dword v3, v4, s[0:3], 0 offen offset:8
	s_nop 0
	buffer_load_dword v4, v4, s[0:3], 0 offen offset:12
	v_readlane_b32 s6, v126, 19
	s_waitcnt vmcnt(0)
	ds_write2_b64 v117, v[1:2], v[3:4] offset0:94 offset1:95
	v_mov_b32_e32 v4, s24
	buffer_load_dword v1, v4, s[0:3], 0 offen
	buffer_load_dword v2, v4, s[0:3], 0 offen offset:4
	buffer_load_dword v3, v4, s[0:3], 0 offen offset:8
	s_nop 0
	buffer_load_dword v4, v4, s[0:3], 0 offen offset:12
	s_waitcnt vmcnt(0)
	ds_write2_b64 v117, v[1:2], v[3:4] offset0:96 offset1:97
	v_mov_b32_e32 v4, s6
	buffer_load_dword v1, v4, s[0:3], 0 offen
	buffer_load_dword v2, v4, s[0:3], 0 offen offset:4
	buffer_load_dword v3, v4, s[0:3], 0 offen offset:8
	s_nop 0
	buffer_load_dword v4, v4, s[0:3], 0 offen offset:12
	v_readlane_b32 s6, v126, 20
	s_waitcnt vmcnt(0)
	ds_write2_b64 v117, v[1:2], v[3:4] offset0:98 offset1:99
	v_mov_b32_e32 v4, s22
	buffer_load_dword v1, v4, s[0:3], 0 offen
	buffer_load_dword v2, v4, s[0:3], 0 offen offset:4
	buffer_load_dword v3, v4, s[0:3], 0 offen offset:8
	s_nop 0
	buffer_load_dword v4, v4, s[0:3], 0 offen offset:12
	s_waitcnt vmcnt(0)
	ds_write2_b64 v117, v[1:2], v[3:4] offset0:100 offset1:101
	v_mov_b32_e32 v4, s6
	buffer_load_dword v1, v4, s[0:3], 0 offen
	buffer_load_dword v2, v4, s[0:3], 0 offen offset:4
	buffer_load_dword v3, v4, s[0:3], 0 offen offset:8
	s_nop 0
	buffer_load_dword v4, v4, s[0:3], 0 offen offset:12
	v_readlane_b32 s6, v126, 21
	s_waitcnt vmcnt(0)
	ds_write2_b64 v117, v[1:2], v[3:4] offset0:102 offset1:103
	v_mov_b32_e32 v4, s20
	buffer_load_dword v1, v4, s[0:3], 0 offen
	buffer_load_dword v2, v4, s[0:3], 0 offen offset:4
	buffer_load_dword v3, v4, s[0:3], 0 offen offset:8
	s_nop 0
	buffer_load_dword v4, v4, s[0:3], 0 offen offset:12
	s_waitcnt vmcnt(0)
	ds_write2_b64 v117, v[1:2], v[3:4] offset0:104 offset1:105
	v_mov_b32_e32 v4, s6
	buffer_load_dword v1, v4, s[0:3], 0 offen
	buffer_load_dword v2, v4, s[0:3], 0 offen offset:4
	buffer_load_dword v3, v4, s[0:3], 0 offen offset:8
	s_nop 0
	buffer_load_dword v4, v4, s[0:3], 0 offen offset:12
	v_readlane_b32 s6, v126, 22
	s_waitcnt vmcnt(0)
	ds_write2_b64 v117, v[1:2], v[3:4] offset0:106 offset1:107
	v_mov_b32_e32 v4, s18
	buffer_load_dword v1, v4, s[0:3], 0 offen
	buffer_load_dword v2, v4, s[0:3], 0 offen offset:4
	buffer_load_dword v3, v4, s[0:3], 0 offen offset:8
	s_nop 0
	buffer_load_dword v4, v4, s[0:3], 0 offen offset:12
	s_waitcnt vmcnt(0)
	ds_write2_b64 v117, v[1:2], v[3:4] offset0:108 offset1:109
	v_mov_b32_e32 v4, s6
	buffer_load_dword v1, v4, s[0:3], 0 offen
	buffer_load_dword v2, v4, s[0:3], 0 offen offset:4
	buffer_load_dword v3, v4, s[0:3], 0 offen offset:8
	s_nop 0
	buffer_load_dword v4, v4, s[0:3], 0 offen offset:12
	s_waitcnt vmcnt(0)
	ds_write2_b64 v117, v[1:2], v[3:4] offset0:110 offset1:111
	v_mov_b32_e32 v4, s16
	buffer_load_dword v1, v4, s[0:3], 0 offen
	buffer_load_dword v2, v4, s[0:3], 0 offen offset:4
	buffer_load_dword v3, v4, s[0:3], 0 offen offset:8
	s_nop 0
	buffer_load_dword v4, v4, s[0:3], 0 offen offset:12
	s_waitcnt vmcnt(0)
	ds_write2_b64 v117, v[1:2], v[3:4] offset0:112 offset1:113
	v_mov_b32_e32 v4, s79
	buffer_load_dword v1, v4, s[0:3], 0 offen
	buffer_load_dword v2, v4, s[0:3], 0 offen offset:4
	buffer_load_dword v3, v4, s[0:3], 0 offen offset:8
	s_nop 0
	buffer_load_dword v4, v4, s[0:3], 0 offen offset:12
	s_waitcnt vmcnt(0)
	ds_write2_b64 v117, v[1:2], v[3:4] offset0:114 offset1:115
	v_mov_b32_e32 v4, s14
	buffer_load_dword v1, v4, s[0:3], 0 offen
	buffer_load_dword v2, v4, s[0:3], 0 offen offset:4
	buffer_load_dword v3, v4, s[0:3], 0 offen offset:8
	s_nop 0
	buffer_load_dword v4, v4, s[0:3], 0 offen offset:12
	s_waitcnt vmcnt(0)
	ds_write2_b64 v117, v[1:2], v[3:4] offset0:116 offset1:117
	v_mov_b32_e32 v4, s42
	buffer_load_dword v1, v4, s[0:3], 0 offen
	buffer_load_dword v2, v4, s[0:3], 0 offen offset:4
	buffer_load_dword v3, v4, s[0:3], 0 offen offset:8
	s_nop 0
	buffer_load_dword v4, v4, s[0:3], 0 offen offset:12
	s_waitcnt vmcnt(0)
	ds_write2_b64 v117, v[1:2], v[3:4] offset0:118 offset1:119
	v_mov_b32_e32 v4, s71
	buffer_load_dword v1, v4, s[0:3], 0 offen
	buffer_load_dword v2, v4, s[0:3], 0 offen offset:4
	buffer_load_dword v3, v4, s[0:3], 0 offen offset:8
	s_nop 0
	buffer_load_dword v4, v4, s[0:3], 0 offen offset:12
	s_waitcnt vmcnt(0)
	ds_write2_b64 v117, v[1:2], v[3:4] offset0:120 offset1:121
	ds_read2_b64 v[45:48], v125 offset1:1
	s_waitcnt lgkmcnt(0)
	v_cmp_neq_f64_e32 vcc, 0, v[45:46]
	v_cmp_neq_f64_e64 s[6:7], 0, v[47:48]
	s_or_b64 s[6:7], vcc, s[6:7]
	s_and_b64 exec, exec, s[6:7]
	s_cbranch_execz .LBB121_491
; %bb.486:
	v_cmp_ngt_f64_e64 s[6:7], |v[45:46]|, |v[47:48]|
                                        ; implicit-def: $vgpr1_vgpr2
	s_and_saveexec_b64 s[10:11], s[6:7]
	s_xor_b64 s[6:7], exec, s[10:11]
                                        ; implicit-def: $vgpr3_vgpr4
	s_cbranch_execz .LBB121_488
; %bb.487:
	v_div_scale_f64 v[1:2], s[10:11], v[47:48], v[47:48], v[45:46]
	v_rcp_f64_e32 v[3:4], v[1:2]
	v_fma_f64 v[49:50], -v[1:2], v[3:4], 1.0
	v_fma_f64 v[3:4], v[3:4], v[49:50], v[3:4]
	v_div_scale_f64 v[49:50], vcc, v[45:46], v[47:48], v[45:46]
	v_fma_f64 v[51:52], -v[1:2], v[3:4], 1.0
	v_fma_f64 v[3:4], v[3:4], v[51:52], v[3:4]
	v_mul_f64 v[51:52], v[49:50], v[3:4]
	v_fma_f64 v[1:2], -v[1:2], v[51:52], v[49:50]
	v_div_fmas_f64 v[1:2], v[1:2], v[3:4], v[51:52]
	v_div_fixup_f64 v[1:2], v[1:2], v[47:48], v[45:46]
	v_fma_f64 v[3:4], v[45:46], v[1:2], v[47:48]
	v_div_scale_f64 v[45:46], s[10:11], v[3:4], v[3:4], 1.0
	v_div_scale_f64 v[51:52], vcc, 1.0, v[3:4], 1.0
	v_rcp_f64_e32 v[47:48], v[45:46]
	v_fma_f64 v[49:50], -v[45:46], v[47:48], 1.0
	v_fma_f64 v[47:48], v[47:48], v[49:50], v[47:48]
	v_fma_f64 v[49:50], -v[45:46], v[47:48], 1.0
	v_fma_f64 v[47:48], v[47:48], v[49:50], v[47:48]
	v_mul_f64 v[49:50], v[51:52], v[47:48]
	v_fma_f64 v[45:46], -v[45:46], v[49:50], v[51:52]
	v_div_fmas_f64 v[45:46], v[45:46], v[47:48], v[49:50]
	v_div_fixup_f64 v[3:4], v[45:46], v[3:4], 1.0
                                        ; implicit-def: $vgpr45_vgpr46
	v_mul_f64 v[1:2], v[1:2], v[3:4]
	v_xor_b32_e32 v4, 0x80000000, v4
.LBB121_488:
	s_andn2_saveexec_b64 s[6:7], s[6:7]
	s_cbranch_execz .LBB121_490
; %bb.489:
	v_div_scale_f64 v[1:2], s[10:11], v[45:46], v[45:46], v[47:48]
	v_rcp_f64_e32 v[3:4], v[1:2]
	v_fma_f64 v[49:50], -v[1:2], v[3:4], 1.0
	v_fma_f64 v[3:4], v[3:4], v[49:50], v[3:4]
	v_div_scale_f64 v[49:50], vcc, v[47:48], v[45:46], v[47:48]
	v_fma_f64 v[51:52], -v[1:2], v[3:4], 1.0
	v_fma_f64 v[3:4], v[3:4], v[51:52], v[3:4]
	v_mul_f64 v[51:52], v[49:50], v[3:4]
	v_fma_f64 v[1:2], -v[1:2], v[51:52], v[49:50]
	v_div_fmas_f64 v[1:2], v[1:2], v[3:4], v[51:52]
	v_div_fixup_f64 v[3:4], v[1:2], v[45:46], v[47:48]
	v_fma_f64 v[1:2], v[47:48], v[3:4], v[45:46]
	v_div_scale_f64 v[45:46], s[10:11], v[1:2], v[1:2], 1.0
	v_div_scale_f64 v[51:52], vcc, 1.0, v[1:2], 1.0
	v_rcp_f64_e32 v[47:48], v[45:46]
	v_fma_f64 v[49:50], -v[45:46], v[47:48], 1.0
	v_fma_f64 v[47:48], v[47:48], v[49:50], v[47:48]
	v_fma_f64 v[49:50], -v[45:46], v[47:48], 1.0
	v_fma_f64 v[47:48], v[47:48], v[49:50], v[47:48]
	v_mul_f64 v[49:50], v[51:52], v[47:48]
	v_fma_f64 v[45:46], -v[45:46], v[49:50], v[51:52]
	v_div_fmas_f64 v[45:46], v[45:46], v[47:48], v[49:50]
	v_div_fixup_f64 v[1:2], v[45:46], v[1:2], 1.0
	v_mul_f64 v[3:4], v[3:4], -v[1:2]
.LBB121_490:
	s_or_b64 exec, exec, s[6:7]
	ds_write2_b64 v125, v[1:2], v[3:4] offset1:1
.LBB121_491:
	s_or_b64 exec, exec, s[8:9]
	s_waitcnt lgkmcnt(0)
	s_barrier
	ds_read2_b64 v[45:48], v125 offset1:1
	v_cmp_lt_u32_e32 vcc, 42, v0
	s_and_saveexec_b64 s[6:7], vcc
	s_cbranch_execz .LBB121_493
; %bb.492:
	buffer_load_dword v1, off, s[0:3], 0 offset:672
	buffer_load_dword v2, off, s[0:3], 0 offset:676
	;; [unrolled: 1-line block ×16, first 2 shown]
	s_waitcnt vmcnt(12) lgkmcnt(0)
	v_mul_f64 v[49:50], v[47:48], v[3:4]
	v_mul_f64 v[3:4], v[45:46], v[3:4]
	v_fma_f64 v[49:50], v[45:46], v[1:2], -v[49:50]
	v_fma_f64 v[51:52], v[47:48], v[1:2], v[3:4]
	buffer_store_dword v49, off, s[0:3], 0 offset:672
	buffer_store_dword v50, off, s[0:3], 0 offset:676
	buffer_store_dword v51, off, s[0:3], 0 offset:680
	buffer_store_dword v52, off, s[0:3], 0 offset:684
	ds_read2_b64 v[1:4], v117 offset0:86 offset1:87
	s_waitcnt lgkmcnt(0)
	v_mul_f64 v[65:66], v[3:4], v[51:52]
	v_fma_f64 v[65:66], v[1:2], v[49:50], -v[65:66]
	v_mul_f64 v[1:2], v[1:2], v[51:52]
	v_fma_f64 v[1:2], v[3:4], v[49:50], v[1:2]
	s_waitcnt vmcnt(14)
	v_add_f64 v[3:4], v[53:54], -v[65:66]
	s_waitcnt vmcnt(12)
	v_add_f64 v[1:2], v[55:56], -v[1:2]
	buffer_store_dword v3, off, s[0:3], 0 offset:688
	buffer_store_dword v4, off, s[0:3], 0 offset:692
	buffer_store_dword v1, off, s[0:3], 0 offset:696
	buffer_store_dword v2, off, s[0:3], 0 offset:700
	ds_read2_b64 v[1:4], v117 offset0:88 offset1:89
	s_waitcnt lgkmcnt(0)
	v_mul_f64 v[53:54], v[3:4], v[51:52]
	v_fma_f64 v[53:54], v[1:2], v[49:50], -v[53:54]
	v_mul_f64 v[1:2], v[1:2], v[51:52]
	v_fma_f64 v[1:2], v[3:4], v[49:50], v[1:2]
	s_waitcnt vmcnt(14)
	v_add_f64 v[3:4], v[57:58], -v[53:54]
	s_waitcnt vmcnt(12)
	v_add_f64 v[1:2], v[59:60], -v[1:2]
	;; [unrolled: 14-line block ×3, first 2 shown]
	buffer_store_dword v4, off, s[0:3], 0 offset:724
	buffer_store_dword v3, off, s[0:3], 0 offset:720
	buffer_store_dword v1, off, s[0:3], 0 offset:728
	buffer_store_dword v2, off, s[0:3], 0 offset:732
	ds_read2_b64 v[1:4], v117 offset0:92 offset1:93
	s_waitcnt lgkmcnt(0)
	v_mul_f64 v[53:54], v[3:4], v[51:52]
	v_fma_f64 v[53:54], v[1:2], v[49:50], -v[53:54]
	v_mul_f64 v[1:2], v[1:2], v[51:52]
	v_fma_f64 v[1:2], v[3:4], v[49:50], v[1:2]
	buffer_load_dword v3, off, s[0:3], 0 offset:736
	buffer_load_dword v4, off, s[0:3], 0 offset:740
	buffer_load_dword v55, off, s[0:3], 0 offset:744
	buffer_load_dword v56, off, s[0:3], 0 offset:748
	s_waitcnt vmcnt(2)
	v_add_f64 v[3:4], v[3:4], -v[53:54]
	s_waitcnt vmcnt(0)
	v_add_f64 v[1:2], v[55:56], -v[1:2]
	buffer_store_dword v4, off, s[0:3], 0 offset:740
	buffer_store_dword v3, off, s[0:3], 0 offset:736
	buffer_store_dword v2, off, s[0:3], 0 offset:748
	buffer_store_dword v1, off, s[0:3], 0 offset:744
	ds_read2_b64 v[1:4], v117 offset0:94 offset1:95
	s_waitcnt lgkmcnt(0)
	v_mul_f64 v[53:54], v[3:4], v[51:52]
	v_fma_f64 v[53:54], v[1:2], v[49:50], -v[53:54]
	v_mul_f64 v[1:2], v[1:2], v[51:52]
	v_fma_f64 v[1:2], v[3:4], v[49:50], v[1:2]
	buffer_load_dword v3, off, s[0:3], 0 offset:752
	buffer_load_dword v4, off, s[0:3], 0 offset:756
	buffer_load_dword v55, off, s[0:3], 0 offset:760
	buffer_load_dword v56, off, s[0:3], 0 offset:764
	s_waitcnt vmcnt(2)
	v_add_f64 v[3:4], v[3:4], -v[53:54]
	s_waitcnt vmcnt(0)
	v_add_f64 v[1:2], v[55:56], -v[1:2]
	;; [unrolled: 18-line block ×3, first 2 shown]
	buffer_store_dword v4, off, s[0:3], 0 offset:772
	buffer_store_dword v3, off, s[0:3], 0 offset:768
	;; [unrolled: 1-line block ×4, first 2 shown]
	ds_read2_b64 v[1:4], v117 offset0:98 offset1:99
	buffer_load_dword v49, off, s[0:3], 0 offset:672
	buffer_load_dword v50, off, s[0:3], 0 offset:676
	;; [unrolled: 1-line block ×4, first 2 shown]
	s_waitcnt vmcnt(0) lgkmcnt(0)
	v_mul_f64 v[53:54], v[3:4], v[51:52]
	v_fma_f64 v[53:54], v[1:2], v[49:50], -v[53:54]
	v_mul_f64 v[1:2], v[1:2], v[51:52]
	v_fma_f64 v[1:2], v[3:4], v[49:50], v[1:2]
	buffer_load_dword v4, off, s[0:3], 0 offset:788
	buffer_load_dword v3, off, s[0:3], 0 offset:784
	s_waitcnt vmcnt(0)
	v_add_f64 v[3:4], v[3:4], -v[53:54]
	buffer_load_dword v54, off, s[0:3], 0 offset:796
	buffer_load_dword v53, off, s[0:3], 0 offset:792
	s_waitcnt vmcnt(0)
	v_add_f64 v[1:2], v[53:54], -v[1:2]
	buffer_store_dword v4, off, s[0:3], 0 offset:788
	buffer_store_dword v3, off, s[0:3], 0 offset:784
	buffer_store_dword v2, off, s[0:3], 0 offset:796
	buffer_store_dword v1, off, s[0:3], 0 offset:792
	ds_read2_b64 v[1:4], v117 offset0:100 offset1:101
	s_waitcnt lgkmcnt(0)
	v_mul_f64 v[53:54], v[3:4], v[51:52]
	v_fma_f64 v[53:54], v[1:2], v[49:50], -v[53:54]
	v_mul_f64 v[1:2], v[1:2], v[51:52]
	v_fma_f64 v[1:2], v[3:4], v[49:50], v[1:2]
	buffer_load_dword v3, off, s[0:3], 0 offset:800
	buffer_load_dword v4, off, s[0:3], 0 offset:804
	buffer_load_dword v55, off, s[0:3], 0 offset:808
	buffer_load_dword v56, off, s[0:3], 0 offset:812
	s_waitcnt vmcnt(2)
	v_add_f64 v[3:4], v[3:4], -v[53:54]
	s_waitcnt vmcnt(0)
	v_add_f64 v[1:2], v[55:56], -v[1:2]
	buffer_store_dword v4, off, s[0:3], 0 offset:804
	buffer_store_dword v3, off, s[0:3], 0 offset:800
	buffer_store_dword v2, off, s[0:3], 0 offset:812
	buffer_store_dword v1, off, s[0:3], 0 offset:808
	ds_read2_b64 v[1:4], v117 offset0:102 offset1:103
	s_waitcnt lgkmcnt(0)
	v_mul_f64 v[53:54], v[3:4], v[51:52]
	v_fma_f64 v[53:54], v[1:2], v[49:50], -v[53:54]
	v_mul_f64 v[1:2], v[1:2], v[51:52]
	v_fma_f64 v[1:2], v[3:4], v[49:50], v[1:2]
	buffer_load_dword v3, off, s[0:3], 0 offset:816
	buffer_load_dword v4, off, s[0:3], 0 offset:820
	buffer_load_dword v55, off, s[0:3], 0 offset:824
	buffer_load_dword v56, off, s[0:3], 0 offset:828
	s_waitcnt vmcnt(2)
	v_add_f64 v[3:4], v[3:4], -v[53:54]
	;; [unrolled: 18-line block ×5, first 2 shown]
	s_waitcnt vmcnt(0)
	v_add_f64 v[1:2], v[49:50], -v[1:2]
	buffer_store_dword v4, off, s[0:3], 0 offset:868
	buffer_store_dword v3, off, s[0:3], 0 offset:864
	;; [unrolled: 1-line block ×4, first 2 shown]
	ds_read2_b64 v[1:4], v117 offset0:110 offset1:111
	buffer_load_dword v49, off, s[0:3], 0 offset:672
	buffer_load_dword v50, off, s[0:3], 0 offset:676
	buffer_load_dword v53, off, s[0:3], 0 offset:680
	buffer_load_dword v54, off, s[0:3], 0 offset:684
	s_waitcnt vmcnt(0) lgkmcnt(0)
	v_mul_f64 v[51:52], v[3:4], v[53:54]
	v_fma_f64 v[51:52], v[1:2], v[49:50], -v[51:52]
	v_mul_f64 v[1:2], v[1:2], v[53:54]
	v_fma_f64 v[1:2], v[3:4], v[49:50], v[1:2]
	buffer_load_dword v4, off, s[0:3], 0 offset:884
	buffer_load_dword v3, off, s[0:3], 0 offset:880
	s_waitcnt vmcnt(0)
	v_add_f64 v[3:4], v[3:4], -v[51:52]
	buffer_load_dword v52, off, s[0:3], 0 offset:892
	buffer_load_dword v51, off, s[0:3], 0 offset:888
	s_waitcnt vmcnt(0)
	v_add_f64 v[1:2], v[51:52], -v[1:2]
	buffer_store_dword v4, off, s[0:3], 0 offset:884
	buffer_store_dword v3, off, s[0:3], 0 offset:880
	buffer_store_dword v2, off, s[0:3], 0 offset:892
	buffer_store_dword v1, off, s[0:3], 0 offset:888
	ds_read2_b64 v[1:4], v117 offset0:112 offset1:113
	s_waitcnt lgkmcnt(0)
	v_mul_f64 v[51:52], v[3:4], v[53:54]
	v_fma_f64 v[51:52], v[1:2], v[49:50], -v[51:52]
	v_mul_f64 v[1:2], v[1:2], v[53:54]
	v_fma_f64 v[1:2], v[3:4], v[49:50], v[1:2]
	buffer_load_dword v3, off, s[0:3], 0 offset:896
	buffer_load_dword v4, off, s[0:3], 0 offset:900
	buffer_load_dword v55, off, s[0:3], 0 offset:904
	buffer_load_dword v56, off, s[0:3], 0 offset:908
	s_waitcnt vmcnt(2)
	v_add_f64 v[3:4], v[3:4], -v[51:52]
	s_waitcnt vmcnt(0)
	v_add_f64 v[1:2], v[55:56], -v[1:2]
	buffer_store_dword v4, off, s[0:3], 0 offset:900
	buffer_store_dword v3, off, s[0:3], 0 offset:896
	buffer_store_dword v2, off, s[0:3], 0 offset:908
	buffer_store_dword v1, off, s[0:3], 0 offset:904
	ds_read2_b64 v[1:4], v117 offset0:114 offset1:115
	s_waitcnt lgkmcnt(0)
	v_mul_f64 v[51:52], v[3:4], v[53:54]
	v_fma_f64 v[51:52], v[1:2], v[49:50], -v[51:52]
	v_mul_f64 v[1:2], v[1:2], v[53:54]
	v_fma_f64 v[1:2], v[3:4], v[49:50], v[1:2]
	buffer_load_dword v3, off, s[0:3], 0 offset:912
	buffer_load_dword v4, off, s[0:3], 0 offset:916
	buffer_load_dword v55, off, s[0:3], 0 offset:920
	buffer_load_dword v56, off, s[0:3], 0 offset:924
	s_waitcnt vmcnt(2)
	v_add_f64 v[3:4], v[3:4], -v[51:52]
	;; [unrolled: 18-line block ×4, first 2 shown]
	s_waitcnt vmcnt(0)
	v_add_f64 v[1:2], v[55:56], -v[1:2]
	buffer_store_dword v4, off, s[0:3], 0 offset:948
	buffer_store_dword v3, off, s[0:3], 0 offset:944
	;; [unrolled: 1-line block ×4, first 2 shown]
	ds_read2_b64 v[1:4], v117 offset0:120 offset1:121
	s_waitcnt lgkmcnt(0)
	v_mul_f64 v[51:52], v[3:4], v[53:54]
	v_fma_f64 v[51:52], v[1:2], v[49:50], -v[51:52]
	v_mul_f64 v[1:2], v[1:2], v[53:54]
	buffer_load_dword v55, off, s[0:3], 0 offset:960
	buffer_load_dword v56, off, s[0:3], 0 offset:964
	;; [unrolled: 1-line block ×4, first 2 shown]
	v_fma_f64 v[49:50], v[3:4], v[49:50], v[1:2]
	s_waitcnt vmcnt(2)
	v_add_f64 v[1:2], v[55:56], -v[51:52]
	s_waitcnt vmcnt(0)
	v_add_f64 v[3:4], v[53:54], -v[49:50]
	buffer_store_dword v2, off, s[0:3], 0 offset:964
	buffer_store_dword v1, off, s[0:3], 0 offset:960
	;; [unrolled: 1-line block ×4, first 2 shown]
.LBB121_493:
	s_or_b64 exec, exec, s[6:7]
	v_cmp_eq_u32_e32 vcc, 43, v0
	s_waitcnt vmcnt(0) lgkmcnt(0)
	s_barrier
	s_and_saveexec_b64 s[8:9], vcc
	s_cbranch_execz .LBB121_500
; %bb.494:
	v_readlane_b32 s6, v126, 16
	v_mov_b32_e32 v4, s6
	buffer_load_dword v1, v4, s[0:3], 0 offen
	buffer_load_dword v2, v4, s[0:3], 0 offen offset:4
	buffer_load_dword v3, v4, s[0:3], 0 offen offset:8
	s_nop 0
	buffer_load_dword v4, v4, s[0:3], 0 offen offset:12
	v_readlane_b32 s6, v126, 17
	s_waitcnt vmcnt(0)
	ds_write2_b64 v125, v[1:2], v[3:4] offset1:1
	v_mov_b32_e32 v4, s28
	buffer_load_dword v1, v4, s[0:3], 0 offen
	buffer_load_dword v2, v4, s[0:3], 0 offen offset:4
	buffer_load_dword v3, v4, s[0:3], 0 offen offset:8
	s_nop 0
	buffer_load_dword v4, v4, s[0:3], 0 offen offset:12
	s_waitcnt vmcnt(0)
	ds_write2_b64 v117, v[1:2], v[3:4] offset0:88 offset1:89
	v_mov_b32_e32 v4, s6
	buffer_load_dword v1, v4, s[0:3], 0 offen
	buffer_load_dword v2, v4, s[0:3], 0 offen offset:4
	buffer_load_dword v3, v4, s[0:3], 0 offen offset:8
	s_nop 0
	buffer_load_dword v4, v4, s[0:3], 0 offen offset:12
	v_readlane_b32 s6, v126, 18
	s_waitcnt vmcnt(0)
	ds_write2_b64 v117, v[1:2], v[3:4] offset0:90 offset1:91
	v_mov_b32_e32 v4, s26
	buffer_load_dword v1, v4, s[0:3], 0 offen
	buffer_load_dword v2, v4, s[0:3], 0 offen offset:4
	buffer_load_dword v3, v4, s[0:3], 0 offen offset:8
	s_nop 0
	buffer_load_dword v4, v4, s[0:3], 0 offen offset:12
	s_waitcnt vmcnt(0)
	ds_write2_b64 v117, v[1:2], v[3:4] offset0:92 offset1:93
	v_mov_b32_e32 v4, s6
	buffer_load_dword v1, v4, s[0:3], 0 offen
	buffer_load_dword v2, v4, s[0:3], 0 offen offset:4
	buffer_load_dword v3, v4, s[0:3], 0 offen offset:8
	s_nop 0
	buffer_load_dword v4, v4, s[0:3], 0 offen offset:12
	v_readlane_b32 s6, v126, 19
	s_waitcnt vmcnt(0)
	ds_write2_b64 v117, v[1:2], v[3:4] offset0:94 offset1:95
	v_mov_b32_e32 v4, s24
	buffer_load_dword v1, v4, s[0:3], 0 offen
	buffer_load_dword v2, v4, s[0:3], 0 offen offset:4
	buffer_load_dword v3, v4, s[0:3], 0 offen offset:8
	s_nop 0
	buffer_load_dword v4, v4, s[0:3], 0 offen offset:12
	s_waitcnt vmcnt(0)
	ds_write2_b64 v117, v[1:2], v[3:4] offset0:96 offset1:97
	v_mov_b32_e32 v4, s6
	buffer_load_dword v1, v4, s[0:3], 0 offen
	buffer_load_dword v2, v4, s[0:3], 0 offen offset:4
	buffer_load_dword v3, v4, s[0:3], 0 offen offset:8
	s_nop 0
	buffer_load_dword v4, v4, s[0:3], 0 offen offset:12
	v_readlane_b32 s6, v126, 20
	s_waitcnt vmcnt(0)
	ds_write2_b64 v117, v[1:2], v[3:4] offset0:98 offset1:99
	v_mov_b32_e32 v4, s22
	buffer_load_dword v1, v4, s[0:3], 0 offen
	buffer_load_dword v2, v4, s[0:3], 0 offen offset:4
	buffer_load_dword v3, v4, s[0:3], 0 offen offset:8
	s_nop 0
	buffer_load_dword v4, v4, s[0:3], 0 offen offset:12
	s_waitcnt vmcnt(0)
	ds_write2_b64 v117, v[1:2], v[3:4] offset0:100 offset1:101
	v_mov_b32_e32 v4, s6
	buffer_load_dword v1, v4, s[0:3], 0 offen
	buffer_load_dword v2, v4, s[0:3], 0 offen offset:4
	buffer_load_dword v3, v4, s[0:3], 0 offen offset:8
	s_nop 0
	buffer_load_dword v4, v4, s[0:3], 0 offen offset:12
	v_readlane_b32 s6, v126, 21
	s_waitcnt vmcnt(0)
	ds_write2_b64 v117, v[1:2], v[3:4] offset0:102 offset1:103
	v_mov_b32_e32 v4, s20
	buffer_load_dword v1, v4, s[0:3], 0 offen
	buffer_load_dword v2, v4, s[0:3], 0 offen offset:4
	buffer_load_dword v3, v4, s[0:3], 0 offen offset:8
	s_nop 0
	buffer_load_dword v4, v4, s[0:3], 0 offen offset:12
	s_waitcnt vmcnt(0)
	ds_write2_b64 v117, v[1:2], v[3:4] offset0:104 offset1:105
	v_mov_b32_e32 v4, s6
	buffer_load_dword v1, v4, s[0:3], 0 offen
	buffer_load_dword v2, v4, s[0:3], 0 offen offset:4
	buffer_load_dword v3, v4, s[0:3], 0 offen offset:8
	s_nop 0
	buffer_load_dword v4, v4, s[0:3], 0 offen offset:12
	v_readlane_b32 s6, v126, 22
	s_waitcnt vmcnt(0)
	ds_write2_b64 v117, v[1:2], v[3:4] offset0:106 offset1:107
	v_mov_b32_e32 v4, s18
	buffer_load_dword v1, v4, s[0:3], 0 offen
	buffer_load_dword v2, v4, s[0:3], 0 offen offset:4
	buffer_load_dword v3, v4, s[0:3], 0 offen offset:8
	s_nop 0
	buffer_load_dword v4, v4, s[0:3], 0 offen offset:12
	s_waitcnt vmcnt(0)
	ds_write2_b64 v117, v[1:2], v[3:4] offset0:108 offset1:109
	v_mov_b32_e32 v4, s6
	buffer_load_dword v1, v4, s[0:3], 0 offen
	buffer_load_dword v2, v4, s[0:3], 0 offen offset:4
	buffer_load_dword v3, v4, s[0:3], 0 offen offset:8
	s_nop 0
	buffer_load_dword v4, v4, s[0:3], 0 offen offset:12
	s_waitcnt vmcnt(0)
	ds_write2_b64 v117, v[1:2], v[3:4] offset0:110 offset1:111
	;; [unrolled: 8-line block ×7, first 2 shown]
	ds_read2_b64 v[49:52], v125 offset1:1
	s_waitcnt lgkmcnt(0)
	v_cmp_neq_f64_e32 vcc, 0, v[49:50]
	v_cmp_neq_f64_e64 s[6:7], 0, v[51:52]
	s_or_b64 s[6:7], vcc, s[6:7]
	s_and_b64 exec, exec, s[6:7]
	s_cbranch_execz .LBB121_500
; %bb.495:
	v_cmp_ngt_f64_e64 s[6:7], |v[49:50]|, |v[51:52]|
                                        ; implicit-def: $vgpr1_vgpr2
	s_and_saveexec_b64 s[10:11], s[6:7]
	s_xor_b64 s[6:7], exec, s[10:11]
                                        ; implicit-def: $vgpr3_vgpr4
	s_cbranch_execz .LBB121_497
; %bb.496:
	v_div_scale_f64 v[1:2], s[10:11], v[51:52], v[51:52], v[49:50]
	v_rcp_f64_e32 v[3:4], v[1:2]
	v_fma_f64 v[53:54], -v[1:2], v[3:4], 1.0
	v_fma_f64 v[3:4], v[3:4], v[53:54], v[3:4]
	v_div_scale_f64 v[53:54], vcc, v[49:50], v[51:52], v[49:50]
	v_fma_f64 v[55:56], -v[1:2], v[3:4], 1.0
	v_fma_f64 v[3:4], v[3:4], v[55:56], v[3:4]
	v_mul_f64 v[55:56], v[53:54], v[3:4]
	v_fma_f64 v[1:2], -v[1:2], v[55:56], v[53:54]
	v_div_fmas_f64 v[1:2], v[1:2], v[3:4], v[55:56]
	v_div_fixup_f64 v[1:2], v[1:2], v[51:52], v[49:50]
	v_fma_f64 v[3:4], v[49:50], v[1:2], v[51:52]
	v_div_scale_f64 v[49:50], s[10:11], v[3:4], v[3:4], 1.0
	v_div_scale_f64 v[55:56], vcc, 1.0, v[3:4], 1.0
	v_rcp_f64_e32 v[51:52], v[49:50]
	v_fma_f64 v[53:54], -v[49:50], v[51:52], 1.0
	v_fma_f64 v[51:52], v[51:52], v[53:54], v[51:52]
	v_fma_f64 v[53:54], -v[49:50], v[51:52], 1.0
	v_fma_f64 v[51:52], v[51:52], v[53:54], v[51:52]
	v_mul_f64 v[53:54], v[55:56], v[51:52]
	v_fma_f64 v[49:50], -v[49:50], v[53:54], v[55:56]
	v_div_fmas_f64 v[49:50], v[49:50], v[51:52], v[53:54]
	v_div_fixup_f64 v[3:4], v[49:50], v[3:4], 1.0
                                        ; implicit-def: $vgpr49_vgpr50
	v_mul_f64 v[1:2], v[1:2], v[3:4]
	v_xor_b32_e32 v4, 0x80000000, v4
.LBB121_497:
	s_andn2_saveexec_b64 s[6:7], s[6:7]
	s_cbranch_execz .LBB121_499
; %bb.498:
	v_div_scale_f64 v[1:2], s[10:11], v[49:50], v[49:50], v[51:52]
	v_rcp_f64_e32 v[3:4], v[1:2]
	v_fma_f64 v[53:54], -v[1:2], v[3:4], 1.0
	v_fma_f64 v[3:4], v[3:4], v[53:54], v[3:4]
	v_div_scale_f64 v[53:54], vcc, v[51:52], v[49:50], v[51:52]
	v_fma_f64 v[55:56], -v[1:2], v[3:4], 1.0
	v_fma_f64 v[3:4], v[3:4], v[55:56], v[3:4]
	v_mul_f64 v[55:56], v[53:54], v[3:4]
	v_fma_f64 v[1:2], -v[1:2], v[55:56], v[53:54]
	v_div_fmas_f64 v[1:2], v[1:2], v[3:4], v[55:56]
	v_div_fixup_f64 v[3:4], v[1:2], v[49:50], v[51:52]
	v_fma_f64 v[1:2], v[51:52], v[3:4], v[49:50]
	v_div_scale_f64 v[49:50], s[10:11], v[1:2], v[1:2], 1.0
	v_div_scale_f64 v[55:56], vcc, 1.0, v[1:2], 1.0
	v_rcp_f64_e32 v[51:52], v[49:50]
	v_fma_f64 v[53:54], -v[49:50], v[51:52], 1.0
	v_fma_f64 v[51:52], v[51:52], v[53:54], v[51:52]
	v_fma_f64 v[53:54], -v[49:50], v[51:52], 1.0
	v_fma_f64 v[51:52], v[51:52], v[53:54], v[51:52]
	v_mul_f64 v[53:54], v[55:56], v[51:52]
	v_fma_f64 v[49:50], -v[49:50], v[53:54], v[55:56]
	v_div_fmas_f64 v[49:50], v[49:50], v[51:52], v[53:54]
	v_div_fixup_f64 v[1:2], v[49:50], v[1:2], 1.0
	v_mul_f64 v[3:4], v[3:4], -v[1:2]
.LBB121_499:
	s_or_b64 exec, exec, s[6:7]
	ds_write2_b64 v125, v[1:2], v[3:4] offset1:1
.LBB121_500:
	s_or_b64 exec, exec, s[8:9]
	s_waitcnt lgkmcnt(0)
	s_barrier
	ds_read2_b64 v[49:52], v125 offset1:1
	v_cmp_lt_u32_e32 vcc, 43, v0
	s_and_saveexec_b64 s[6:7], vcc
	s_cbranch_execz .LBB121_502
; %bb.501:
	buffer_load_dword v1, off, s[0:3], 0 offset:688
	buffer_load_dword v2, off, s[0:3], 0 offset:692
	;; [unrolled: 1-line block ×16, first 2 shown]
	s_waitcnt vmcnt(12) lgkmcnt(0)
	v_mul_f64 v[53:54], v[51:52], v[3:4]
	v_mul_f64 v[3:4], v[49:50], v[3:4]
	v_fma_f64 v[53:54], v[49:50], v[1:2], -v[53:54]
	v_fma_f64 v[55:56], v[51:52], v[1:2], v[3:4]
	buffer_store_dword v53, off, s[0:3], 0 offset:688
	buffer_store_dword v54, off, s[0:3], 0 offset:692
	buffer_store_dword v55, off, s[0:3], 0 offset:696
	buffer_store_dword v56, off, s[0:3], 0 offset:700
	ds_read2_b64 v[1:4], v117 offset0:88 offset1:89
	s_waitcnt lgkmcnt(0)
	v_mul_f64 v[69:70], v[3:4], v[55:56]
	v_fma_f64 v[69:70], v[1:2], v[53:54], -v[69:70]
	v_mul_f64 v[1:2], v[1:2], v[55:56]
	v_fma_f64 v[1:2], v[3:4], v[53:54], v[1:2]
	s_waitcnt vmcnt(14)
	v_add_f64 v[3:4], v[57:58], -v[69:70]
	s_waitcnt vmcnt(12)
	v_add_f64 v[1:2], v[59:60], -v[1:2]
	buffer_store_dword v3, off, s[0:3], 0 offset:704
	buffer_store_dword v4, off, s[0:3], 0 offset:708
	buffer_store_dword v1, off, s[0:3], 0 offset:712
	buffer_store_dword v2, off, s[0:3], 0 offset:716
	ds_read2_b64 v[1:4], v117 offset0:90 offset1:91
	s_waitcnt lgkmcnt(0)
	v_mul_f64 v[57:58], v[3:4], v[55:56]
	v_fma_f64 v[57:58], v[1:2], v[53:54], -v[57:58]
	v_mul_f64 v[1:2], v[1:2], v[55:56]
	v_fma_f64 v[1:2], v[3:4], v[53:54], v[1:2]
	s_waitcnt vmcnt(14)
	v_add_f64 v[3:4], v[61:62], -v[57:58]
	s_waitcnt vmcnt(12)
	v_add_f64 v[1:2], v[63:64], -v[1:2]
	;; [unrolled: 14-line block ×3, first 2 shown]
	buffer_store_dword v4, off, s[0:3], 0 offset:740
	buffer_store_dword v3, off, s[0:3], 0 offset:736
	buffer_store_dword v1, off, s[0:3], 0 offset:744
	buffer_store_dword v2, off, s[0:3], 0 offset:748
	ds_read2_b64 v[1:4], v117 offset0:94 offset1:95
	s_waitcnt lgkmcnt(0)
	v_mul_f64 v[57:58], v[3:4], v[55:56]
	v_fma_f64 v[57:58], v[1:2], v[53:54], -v[57:58]
	v_mul_f64 v[1:2], v[1:2], v[55:56]
	v_fma_f64 v[1:2], v[3:4], v[53:54], v[1:2]
	buffer_load_dword v3, off, s[0:3], 0 offset:752
	buffer_load_dword v4, off, s[0:3], 0 offset:756
	buffer_load_dword v59, off, s[0:3], 0 offset:760
	buffer_load_dword v60, off, s[0:3], 0 offset:764
	s_waitcnt vmcnt(2)
	v_add_f64 v[3:4], v[3:4], -v[57:58]
	s_waitcnt vmcnt(0)
	v_add_f64 v[1:2], v[59:60], -v[1:2]
	buffer_store_dword v4, off, s[0:3], 0 offset:756
	buffer_store_dword v3, off, s[0:3], 0 offset:752
	buffer_store_dword v2, off, s[0:3], 0 offset:764
	buffer_store_dword v1, off, s[0:3], 0 offset:760
	ds_read2_b64 v[1:4], v117 offset0:96 offset1:97
	s_waitcnt lgkmcnt(0)
	v_mul_f64 v[57:58], v[3:4], v[55:56]
	v_fma_f64 v[57:58], v[1:2], v[53:54], -v[57:58]
	v_mul_f64 v[1:2], v[1:2], v[55:56]
	v_fma_f64 v[1:2], v[3:4], v[53:54], v[1:2]
	buffer_load_dword v3, off, s[0:3], 0 offset:768
	buffer_load_dword v4, off, s[0:3], 0 offset:772
	buffer_load_dword v59, off, s[0:3], 0 offset:776
	buffer_load_dword v60, off, s[0:3], 0 offset:780
	s_waitcnt vmcnt(2)
	v_add_f64 v[3:4], v[3:4], -v[57:58]
	s_waitcnt vmcnt(0)
	v_add_f64 v[1:2], v[59:60], -v[1:2]
	;; [unrolled: 18-line block ×3, first 2 shown]
	buffer_store_dword v4, off, s[0:3], 0 offset:788
	buffer_store_dword v3, off, s[0:3], 0 offset:784
	;; [unrolled: 1-line block ×4, first 2 shown]
	ds_read2_b64 v[1:4], v117 offset0:100 offset1:101
	buffer_load_dword v53, off, s[0:3], 0 offset:688
	buffer_load_dword v54, off, s[0:3], 0 offset:692
	;; [unrolled: 1-line block ×4, first 2 shown]
	s_waitcnt vmcnt(0) lgkmcnt(0)
	v_mul_f64 v[57:58], v[3:4], v[55:56]
	v_fma_f64 v[57:58], v[1:2], v[53:54], -v[57:58]
	v_mul_f64 v[1:2], v[1:2], v[55:56]
	v_fma_f64 v[1:2], v[3:4], v[53:54], v[1:2]
	buffer_load_dword v4, off, s[0:3], 0 offset:804
	buffer_load_dword v3, off, s[0:3], 0 offset:800
	s_waitcnt vmcnt(0)
	v_add_f64 v[3:4], v[3:4], -v[57:58]
	buffer_load_dword v58, off, s[0:3], 0 offset:812
	buffer_load_dword v57, off, s[0:3], 0 offset:808
	s_waitcnt vmcnt(0)
	v_add_f64 v[1:2], v[57:58], -v[1:2]
	buffer_store_dword v4, off, s[0:3], 0 offset:804
	buffer_store_dword v3, off, s[0:3], 0 offset:800
	buffer_store_dword v2, off, s[0:3], 0 offset:812
	buffer_store_dword v1, off, s[0:3], 0 offset:808
	ds_read2_b64 v[1:4], v117 offset0:102 offset1:103
	s_waitcnt lgkmcnt(0)
	v_mul_f64 v[57:58], v[3:4], v[55:56]
	v_fma_f64 v[57:58], v[1:2], v[53:54], -v[57:58]
	v_mul_f64 v[1:2], v[1:2], v[55:56]
	v_fma_f64 v[1:2], v[3:4], v[53:54], v[1:2]
	buffer_load_dword v3, off, s[0:3], 0 offset:816
	buffer_load_dword v4, off, s[0:3], 0 offset:820
	buffer_load_dword v59, off, s[0:3], 0 offset:824
	buffer_load_dword v60, off, s[0:3], 0 offset:828
	s_waitcnt vmcnt(2)
	v_add_f64 v[3:4], v[3:4], -v[57:58]
	s_waitcnt vmcnt(0)
	v_add_f64 v[1:2], v[59:60], -v[1:2]
	buffer_store_dword v4, off, s[0:3], 0 offset:820
	buffer_store_dword v3, off, s[0:3], 0 offset:816
	buffer_store_dword v2, off, s[0:3], 0 offset:828
	buffer_store_dword v1, off, s[0:3], 0 offset:824
	ds_read2_b64 v[1:4], v117 offset0:104 offset1:105
	s_waitcnt lgkmcnt(0)
	v_mul_f64 v[57:58], v[3:4], v[55:56]
	v_fma_f64 v[57:58], v[1:2], v[53:54], -v[57:58]
	v_mul_f64 v[1:2], v[1:2], v[55:56]
	v_fma_f64 v[1:2], v[3:4], v[53:54], v[1:2]
	buffer_load_dword v3, off, s[0:3], 0 offset:832
	buffer_load_dword v4, off, s[0:3], 0 offset:836
	buffer_load_dword v59, off, s[0:3], 0 offset:840
	buffer_load_dword v60, off, s[0:3], 0 offset:844
	s_waitcnt vmcnt(2)
	v_add_f64 v[3:4], v[3:4], -v[57:58]
	;; [unrolled: 18-line block ×5, first 2 shown]
	s_waitcnt vmcnt(0)
	v_add_f64 v[1:2], v[53:54], -v[1:2]
	buffer_store_dword v4, off, s[0:3], 0 offset:884
	buffer_store_dword v3, off, s[0:3], 0 offset:880
	;; [unrolled: 1-line block ×4, first 2 shown]
	ds_read2_b64 v[1:4], v117 offset0:112 offset1:113
	buffer_load_dword v53, off, s[0:3], 0 offset:688
	buffer_load_dword v54, off, s[0:3], 0 offset:692
	;; [unrolled: 1-line block ×4, first 2 shown]
	s_waitcnt vmcnt(0) lgkmcnt(0)
	v_mul_f64 v[55:56], v[3:4], v[57:58]
	v_fma_f64 v[55:56], v[1:2], v[53:54], -v[55:56]
	v_mul_f64 v[1:2], v[1:2], v[57:58]
	v_fma_f64 v[1:2], v[3:4], v[53:54], v[1:2]
	buffer_load_dword v4, off, s[0:3], 0 offset:900
	buffer_load_dword v3, off, s[0:3], 0 offset:896
	s_waitcnt vmcnt(0)
	v_add_f64 v[3:4], v[3:4], -v[55:56]
	buffer_load_dword v56, off, s[0:3], 0 offset:908
	buffer_load_dword v55, off, s[0:3], 0 offset:904
	s_waitcnt vmcnt(0)
	v_add_f64 v[1:2], v[55:56], -v[1:2]
	buffer_store_dword v4, off, s[0:3], 0 offset:900
	buffer_store_dword v3, off, s[0:3], 0 offset:896
	buffer_store_dword v2, off, s[0:3], 0 offset:908
	buffer_store_dword v1, off, s[0:3], 0 offset:904
	ds_read2_b64 v[1:4], v117 offset0:114 offset1:115
	s_waitcnt lgkmcnt(0)
	v_mul_f64 v[55:56], v[3:4], v[57:58]
	v_fma_f64 v[55:56], v[1:2], v[53:54], -v[55:56]
	v_mul_f64 v[1:2], v[1:2], v[57:58]
	v_fma_f64 v[1:2], v[3:4], v[53:54], v[1:2]
	buffer_load_dword v3, off, s[0:3], 0 offset:912
	buffer_load_dword v4, off, s[0:3], 0 offset:916
	buffer_load_dword v59, off, s[0:3], 0 offset:920
	buffer_load_dword v60, off, s[0:3], 0 offset:924
	s_waitcnt vmcnt(2)
	v_add_f64 v[3:4], v[3:4], -v[55:56]
	s_waitcnt vmcnt(0)
	v_add_f64 v[1:2], v[59:60], -v[1:2]
	buffer_store_dword v4, off, s[0:3], 0 offset:916
	buffer_store_dword v3, off, s[0:3], 0 offset:912
	buffer_store_dword v2, off, s[0:3], 0 offset:924
	buffer_store_dword v1, off, s[0:3], 0 offset:920
	ds_read2_b64 v[1:4], v117 offset0:116 offset1:117
	s_waitcnt lgkmcnt(0)
	v_mul_f64 v[55:56], v[3:4], v[57:58]
	v_fma_f64 v[55:56], v[1:2], v[53:54], -v[55:56]
	v_mul_f64 v[1:2], v[1:2], v[57:58]
	v_fma_f64 v[1:2], v[3:4], v[53:54], v[1:2]
	buffer_load_dword v3, off, s[0:3], 0 offset:928
	buffer_load_dword v4, off, s[0:3], 0 offset:932
	buffer_load_dword v59, off, s[0:3], 0 offset:936
	buffer_load_dword v60, off, s[0:3], 0 offset:940
	s_waitcnt vmcnt(2)
	v_add_f64 v[3:4], v[3:4], -v[55:56]
	;; [unrolled: 18-line block ×3, first 2 shown]
	s_waitcnt vmcnt(0)
	v_add_f64 v[1:2], v[59:60], -v[1:2]
	buffer_store_dword v4, off, s[0:3], 0 offset:948
	buffer_store_dword v3, off, s[0:3], 0 offset:944
	;; [unrolled: 1-line block ×4, first 2 shown]
	ds_read2_b64 v[1:4], v117 offset0:120 offset1:121
	s_waitcnt lgkmcnt(0)
	v_mul_f64 v[55:56], v[3:4], v[57:58]
	v_fma_f64 v[55:56], v[1:2], v[53:54], -v[55:56]
	v_mul_f64 v[1:2], v[1:2], v[57:58]
	buffer_load_dword v59, off, s[0:3], 0 offset:960
	buffer_load_dword v60, off, s[0:3], 0 offset:964
	;; [unrolled: 1-line block ×4, first 2 shown]
	v_fma_f64 v[53:54], v[3:4], v[53:54], v[1:2]
	s_waitcnt vmcnt(2)
	v_add_f64 v[1:2], v[59:60], -v[55:56]
	s_waitcnt vmcnt(0)
	v_add_f64 v[3:4], v[57:58], -v[53:54]
	buffer_store_dword v2, off, s[0:3], 0 offset:964
	buffer_store_dword v1, off, s[0:3], 0 offset:960
	;; [unrolled: 1-line block ×4, first 2 shown]
.LBB121_502:
	s_or_b64 exec, exec, s[6:7]
	v_cmp_eq_u32_e32 vcc, 44, v0
	s_waitcnt vmcnt(0) lgkmcnt(0)
	s_barrier
	s_and_saveexec_b64 s[8:9], vcc
	s_cbranch_execz .LBB121_509
; %bb.503:
	v_mov_b32_e32 v4, s28
	buffer_load_dword v1, v4, s[0:3], 0 offen
	buffer_load_dword v2, v4, s[0:3], 0 offen offset:4
	buffer_load_dword v3, v4, s[0:3], 0 offen offset:8
	s_nop 0
	buffer_load_dword v4, v4, s[0:3], 0 offen offset:12
	v_readlane_b32 s6, v126, 17
	s_waitcnt vmcnt(0)
	ds_write2_b64 v125, v[1:2], v[3:4] offset1:1
	v_mov_b32_e32 v4, s6
	buffer_load_dword v1, v4, s[0:3], 0 offen
	buffer_load_dword v2, v4, s[0:3], 0 offen offset:4
	buffer_load_dword v3, v4, s[0:3], 0 offen offset:8
	s_nop 0
	buffer_load_dword v4, v4, s[0:3], 0 offen offset:12
	v_readlane_b32 s6, v126, 18
	s_waitcnt vmcnt(0)
	ds_write2_b64 v117, v[1:2], v[3:4] offset0:90 offset1:91
	v_mov_b32_e32 v4, s26
	buffer_load_dword v1, v4, s[0:3], 0 offen
	buffer_load_dword v2, v4, s[0:3], 0 offen offset:4
	buffer_load_dword v3, v4, s[0:3], 0 offen offset:8
	s_nop 0
	buffer_load_dword v4, v4, s[0:3], 0 offen offset:12
	s_waitcnt vmcnt(0)
	ds_write2_b64 v117, v[1:2], v[3:4] offset0:92 offset1:93
	v_mov_b32_e32 v4, s6
	buffer_load_dword v1, v4, s[0:3], 0 offen
	buffer_load_dword v2, v4, s[0:3], 0 offen offset:4
	buffer_load_dword v3, v4, s[0:3], 0 offen offset:8
	s_nop 0
	buffer_load_dword v4, v4, s[0:3], 0 offen offset:12
	v_readlane_b32 s6, v126, 19
	s_waitcnt vmcnt(0)
	ds_write2_b64 v117, v[1:2], v[3:4] offset0:94 offset1:95
	v_mov_b32_e32 v4, s24
	buffer_load_dword v1, v4, s[0:3], 0 offen
	buffer_load_dword v2, v4, s[0:3], 0 offen offset:4
	buffer_load_dword v3, v4, s[0:3], 0 offen offset:8
	s_nop 0
	buffer_load_dword v4, v4, s[0:3], 0 offen offset:12
	s_waitcnt vmcnt(0)
	ds_write2_b64 v117, v[1:2], v[3:4] offset0:96 offset1:97
	;; [unrolled: 17-line block ×5, first 2 shown]
	v_mov_b32_e32 v4, s6
	buffer_load_dword v1, v4, s[0:3], 0 offen
	buffer_load_dword v2, v4, s[0:3], 0 offen offset:4
	buffer_load_dword v3, v4, s[0:3], 0 offen offset:8
	s_nop 0
	buffer_load_dword v4, v4, s[0:3], 0 offen offset:12
	s_waitcnt vmcnt(0)
	ds_write2_b64 v117, v[1:2], v[3:4] offset0:110 offset1:111
	v_mov_b32_e32 v4, s16
	buffer_load_dword v1, v4, s[0:3], 0 offen
	buffer_load_dword v2, v4, s[0:3], 0 offen offset:4
	buffer_load_dword v3, v4, s[0:3], 0 offen offset:8
	s_nop 0
	buffer_load_dword v4, v4, s[0:3], 0 offen offset:12
	s_waitcnt vmcnt(0)
	ds_write2_b64 v117, v[1:2], v[3:4] offset0:112 offset1:113
	;; [unrolled: 8-line block ×6, first 2 shown]
	ds_read2_b64 v[53:56], v125 offset1:1
	s_waitcnt lgkmcnt(0)
	v_cmp_neq_f64_e32 vcc, 0, v[53:54]
	v_cmp_neq_f64_e64 s[6:7], 0, v[55:56]
	s_or_b64 s[6:7], vcc, s[6:7]
	s_and_b64 exec, exec, s[6:7]
	s_cbranch_execz .LBB121_509
; %bb.504:
	v_cmp_ngt_f64_e64 s[6:7], |v[53:54]|, |v[55:56]|
                                        ; implicit-def: $vgpr1_vgpr2
	s_and_saveexec_b64 s[10:11], s[6:7]
	s_xor_b64 s[6:7], exec, s[10:11]
                                        ; implicit-def: $vgpr3_vgpr4
	s_cbranch_execz .LBB121_506
; %bb.505:
	v_div_scale_f64 v[1:2], s[10:11], v[55:56], v[55:56], v[53:54]
	v_rcp_f64_e32 v[3:4], v[1:2]
	v_fma_f64 v[57:58], -v[1:2], v[3:4], 1.0
	v_fma_f64 v[3:4], v[3:4], v[57:58], v[3:4]
	v_div_scale_f64 v[57:58], vcc, v[53:54], v[55:56], v[53:54]
	v_fma_f64 v[59:60], -v[1:2], v[3:4], 1.0
	v_fma_f64 v[3:4], v[3:4], v[59:60], v[3:4]
	v_mul_f64 v[59:60], v[57:58], v[3:4]
	v_fma_f64 v[1:2], -v[1:2], v[59:60], v[57:58]
	v_div_fmas_f64 v[1:2], v[1:2], v[3:4], v[59:60]
	v_div_fixup_f64 v[1:2], v[1:2], v[55:56], v[53:54]
	v_fma_f64 v[3:4], v[53:54], v[1:2], v[55:56]
	v_div_scale_f64 v[53:54], s[10:11], v[3:4], v[3:4], 1.0
	v_div_scale_f64 v[59:60], vcc, 1.0, v[3:4], 1.0
	v_rcp_f64_e32 v[55:56], v[53:54]
	v_fma_f64 v[57:58], -v[53:54], v[55:56], 1.0
	v_fma_f64 v[55:56], v[55:56], v[57:58], v[55:56]
	v_fma_f64 v[57:58], -v[53:54], v[55:56], 1.0
	v_fma_f64 v[55:56], v[55:56], v[57:58], v[55:56]
	v_mul_f64 v[57:58], v[59:60], v[55:56]
	v_fma_f64 v[53:54], -v[53:54], v[57:58], v[59:60]
	v_div_fmas_f64 v[53:54], v[53:54], v[55:56], v[57:58]
	v_div_fixup_f64 v[3:4], v[53:54], v[3:4], 1.0
                                        ; implicit-def: $vgpr53_vgpr54
	v_mul_f64 v[1:2], v[1:2], v[3:4]
	v_xor_b32_e32 v4, 0x80000000, v4
.LBB121_506:
	s_andn2_saveexec_b64 s[6:7], s[6:7]
	s_cbranch_execz .LBB121_508
; %bb.507:
	v_div_scale_f64 v[1:2], s[10:11], v[53:54], v[53:54], v[55:56]
	v_rcp_f64_e32 v[3:4], v[1:2]
	v_fma_f64 v[57:58], -v[1:2], v[3:4], 1.0
	v_fma_f64 v[3:4], v[3:4], v[57:58], v[3:4]
	v_div_scale_f64 v[57:58], vcc, v[55:56], v[53:54], v[55:56]
	v_fma_f64 v[59:60], -v[1:2], v[3:4], 1.0
	v_fma_f64 v[3:4], v[3:4], v[59:60], v[3:4]
	v_mul_f64 v[59:60], v[57:58], v[3:4]
	v_fma_f64 v[1:2], -v[1:2], v[59:60], v[57:58]
	v_div_fmas_f64 v[1:2], v[1:2], v[3:4], v[59:60]
	v_div_fixup_f64 v[3:4], v[1:2], v[53:54], v[55:56]
	v_fma_f64 v[1:2], v[55:56], v[3:4], v[53:54]
	v_div_scale_f64 v[53:54], s[10:11], v[1:2], v[1:2], 1.0
	v_div_scale_f64 v[59:60], vcc, 1.0, v[1:2], 1.0
	v_rcp_f64_e32 v[55:56], v[53:54]
	v_fma_f64 v[57:58], -v[53:54], v[55:56], 1.0
	v_fma_f64 v[55:56], v[55:56], v[57:58], v[55:56]
	v_fma_f64 v[57:58], -v[53:54], v[55:56], 1.0
	v_fma_f64 v[55:56], v[55:56], v[57:58], v[55:56]
	v_mul_f64 v[57:58], v[59:60], v[55:56]
	v_fma_f64 v[53:54], -v[53:54], v[57:58], v[59:60]
	v_div_fmas_f64 v[53:54], v[53:54], v[55:56], v[57:58]
	v_div_fixup_f64 v[1:2], v[53:54], v[1:2], 1.0
	v_mul_f64 v[3:4], v[3:4], -v[1:2]
.LBB121_508:
	s_or_b64 exec, exec, s[6:7]
	ds_write2_b64 v125, v[1:2], v[3:4] offset1:1
.LBB121_509:
	s_or_b64 exec, exec, s[8:9]
	s_waitcnt lgkmcnt(0)
	s_barrier
	ds_read2_b64 v[53:56], v125 offset1:1
	v_cmp_lt_u32_e32 vcc, 44, v0
	s_and_saveexec_b64 s[6:7], vcc
	s_cbranch_execz .LBB121_511
; %bb.510:
	buffer_load_dword v1, off, s[0:3], 0 offset:704
	buffer_load_dword v2, off, s[0:3], 0 offset:708
	;; [unrolled: 1-line block ×16, first 2 shown]
	s_waitcnt vmcnt(12) lgkmcnt(0)
	v_mul_f64 v[57:58], v[55:56], v[3:4]
	v_mul_f64 v[3:4], v[53:54], v[3:4]
	v_fma_f64 v[57:58], v[53:54], v[1:2], -v[57:58]
	v_fma_f64 v[59:60], v[55:56], v[1:2], v[3:4]
	buffer_store_dword v57, off, s[0:3], 0 offset:704
	buffer_store_dword v58, off, s[0:3], 0 offset:708
	buffer_store_dword v59, off, s[0:3], 0 offset:712
	buffer_store_dword v60, off, s[0:3], 0 offset:716
	ds_read2_b64 v[1:4], v117 offset0:90 offset1:91
	s_waitcnt lgkmcnt(0)
	v_mul_f64 v[73:74], v[3:4], v[59:60]
	v_fma_f64 v[73:74], v[1:2], v[57:58], -v[73:74]
	v_mul_f64 v[1:2], v[1:2], v[59:60]
	v_fma_f64 v[1:2], v[3:4], v[57:58], v[1:2]
	s_waitcnt vmcnt(14)
	v_add_f64 v[3:4], v[61:62], -v[73:74]
	s_waitcnt vmcnt(12)
	v_add_f64 v[1:2], v[63:64], -v[1:2]
	buffer_store_dword v3, off, s[0:3], 0 offset:720
	buffer_store_dword v4, off, s[0:3], 0 offset:724
	buffer_store_dword v1, off, s[0:3], 0 offset:728
	buffer_store_dword v2, off, s[0:3], 0 offset:732
	ds_read2_b64 v[1:4], v117 offset0:92 offset1:93
	s_waitcnt lgkmcnt(0)
	v_mul_f64 v[61:62], v[3:4], v[59:60]
	v_fma_f64 v[61:62], v[1:2], v[57:58], -v[61:62]
	v_mul_f64 v[1:2], v[1:2], v[59:60]
	v_fma_f64 v[1:2], v[3:4], v[57:58], v[1:2]
	s_waitcnt vmcnt(14)
	v_add_f64 v[3:4], v[65:66], -v[61:62]
	s_waitcnt vmcnt(12)
	v_add_f64 v[1:2], v[67:68], -v[1:2]
	;; [unrolled: 14-line block ×3, first 2 shown]
	buffer_store_dword v4, off, s[0:3], 0 offset:756
	buffer_store_dword v3, off, s[0:3], 0 offset:752
	buffer_store_dword v1, off, s[0:3], 0 offset:760
	buffer_store_dword v2, off, s[0:3], 0 offset:764
	ds_read2_b64 v[1:4], v117 offset0:96 offset1:97
	s_waitcnt lgkmcnt(0)
	v_mul_f64 v[61:62], v[3:4], v[59:60]
	v_fma_f64 v[61:62], v[1:2], v[57:58], -v[61:62]
	v_mul_f64 v[1:2], v[1:2], v[59:60]
	v_fma_f64 v[1:2], v[3:4], v[57:58], v[1:2]
	buffer_load_dword v3, off, s[0:3], 0 offset:768
	buffer_load_dword v4, off, s[0:3], 0 offset:772
	buffer_load_dword v63, off, s[0:3], 0 offset:776
	buffer_load_dword v64, off, s[0:3], 0 offset:780
	s_waitcnt vmcnt(2)
	v_add_f64 v[3:4], v[3:4], -v[61:62]
	s_waitcnt vmcnt(0)
	v_add_f64 v[1:2], v[63:64], -v[1:2]
	buffer_store_dword v4, off, s[0:3], 0 offset:772
	buffer_store_dword v3, off, s[0:3], 0 offset:768
	buffer_store_dword v2, off, s[0:3], 0 offset:780
	buffer_store_dword v1, off, s[0:3], 0 offset:776
	ds_read2_b64 v[1:4], v117 offset0:98 offset1:99
	s_waitcnt lgkmcnt(0)
	v_mul_f64 v[61:62], v[3:4], v[59:60]
	v_fma_f64 v[61:62], v[1:2], v[57:58], -v[61:62]
	v_mul_f64 v[1:2], v[1:2], v[59:60]
	v_fma_f64 v[1:2], v[3:4], v[57:58], v[1:2]
	buffer_load_dword v3, off, s[0:3], 0 offset:784
	buffer_load_dword v4, off, s[0:3], 0 offset:788
	buffer_load_dword v63, off, s[0:3], 0 offset:792
	buffer_load_dword v64, off, s[0:3], 0 offset:796
	s_waitcnt vmcnt(2)
	v_add_f64 v[3:4], v[3:4], -v[61:62]
	s_waitcnt vmcnt(0)
	v_add_f64 v[1:2], v[63:64], -v[1:2]
	;; [unrolled: 18-line block ×3, first 2 shown]
	buffer_store_dword v4, off, s[0:3], 0 offset:804
	buffer_store_dword v3, off, s[0:3], 0 offset:800
	;; [unrolled: 1-line block ×4, first 2 shown]
	ds_read2_b64 v[1:4], v117 offset0:102 offset1:103
	buffer_load_dword v57, off, s[0:3], 0 offset:704
	buffer_load_dword v58, off, s[0:3], 0 offset:708
	;; [unrolled: 1-line block ×4, first 2 shown]
	s_waitcnt vmcnt(0) lgkmcnt(0)
	v_mul_f64 v[61:62], v[3:4], v[59:60]
	v_fma_f64 v[61:62], v[1:2], v[57:58], -v[61:62]
	v_mul_f64 v[1:2], v[1:2], v[59:60]
	v_fma_f64 v[1:2], v[3:4], v[57:58], v[1:2]
	buffer_load_dword v4, off, s[0:3], 0 offset:820
	buffer_load_dword v3, off, s[0:3], 0 offset:816
	s_waitcnt vmcnt(0)
	v_add_f64 v[3:4], v[3:4], -v[61:62]
	buffer_load_dword v62, off, s[0:3], 0 offset:828
	buffer_load_dword v61, off, s[0:3], 0 offset:824
	s_waitcnt vmcnt(0)
	v_add_f64 v[1:2], v[61:62], -v[1:2]
	buffer_store_dword v4, off, s[0:3], 0 offset:820
	buffer_store_dword v3, off, s[0:3], 0 offset:816
	buffer_store_dword v2, off, s[0:3], 0 offset:828
	buffer_store_dword v1, off, s[0:3], 0 offset:824
	ds_read2_b64 v[1:4], v117 offset0:104 offset1:105
	s_waitcnt lgkmcnt(0)
	v_mul_f64 v[61:62], v[3:4], v[59:60]
	v_fma_f64 v[61:62], v[1:2], v[57:58], -v[61:62]
	v_mul_f64 v[1:2], v[1:2], v[59:60]
	v_fma_f64 v[1:2], v[3:4], v[57:58], v[1:2]
	buffer_load_dword v3, off, s[0:3], 0 offset:832
	buffer_load_dword v4, off, s[0:3], 0 offset:836
	buffer_load_dword v63, off, s[0:3], 0 offset:840
	buffer_load_dword v64, off, s[0:3], 0 offset:844
	s_waitcnt vmcnt(2)
	v_add_f64 v[3:4], v[3:4], -v[61:62]
	s_waitcnt vmcnt(0)
	v_add_f64 v[1:2], v[63:64], -v[1:2]
	buffer_store_dword v4, off, s[0:3], 0 offset:836
	buffer_store_dword v3, off, s[0:3], 0 offset:832
	buffer_store_dword v2, off, s[0:3], 0 offset:844
	buffer_store_dword v1, off, s[0:3], 0 offset:840
	ds_read2_b64 v[1:4], v117 offset0:106 offset1:107
	s_waitcnt lgkmcnt(0)
	v_mul_f64 v[61:62], v[3:4], v[59:60]
	v_fma_f64 v[61:62], v[1:2], v[57:58], -v[61:62]
	v_mul_f64 v[1:2], v[1:2], v[59:60]
	v_fma_f64 v[1:2], v[3:4], v[57:58], v[1:2]
	buffer_load_dword v3, off, s[0:3], 0 offset:848
	buffer_load_dword v4, off, s[0:3], 0 offset:852
	buffer_load_dword v63, off, s[0:3], 0 offset:856
	buffer_load_dword v64, off, s[0:3], 0 offset:860
	s_waitcnt vmcnt(2)
	v_add_f64 v[3:4], v[3:4], -v[61:62]
	;; [unrolled: 18-line block ×5, first 2 shown]
	s_waitcnt vmcnt(0)
	v_add_f64 v[1:2], v[57:58], -v[1:2]
	buffer_store_dword v4, off, s[0:3], 0 offset:900
	buffer_store_dword v3, off, s[0:3], 0 offset:896
	;; [unrolled: 1-line block ×4, first 2 shown]
	ds_read2_b64 v[1:4], v117 offset0:114 offset1:115
	buffer_load_dword v57, off, s[0:3], 0 offset:704
	buffer_load_dword v58, off, s[0:3], 0 offset:708
	;; [unrolled: 1-line block ×4, first 2 shown]
	s_waitcnt vmcnt(0) lgkmcnt(0)
	v_mul_f64 v[59:60], v[3:4], v[61:62]
	v_fma_f64 v[59:60], v[1:2], v[57:58], -v[59:60]
	v_mul_f64 v[1:2], v[1:2], v[61:62]
	v_fma_f64 v[1:2], v[3:4], v[57:58], v[1:2]
	buffer_load_dword v4, off, s[0:3], 0 offset:916
	buffer_load_dword v3, off, s[0:3], 0 offset:912
	s_waitcnt vmcnt(0)
	v_add_f64 v[3:4], v[3:4], -v[59:60]
	buffer_load_dword v60, off, s[0:3], 0 offset:924
	buffer_load_dword v59, off, s[0:3], 0 offset:920
	s_waitcnt vmcnt(0)
	v_add_f64 v[1:2], v[59:60], -v[1:2]
	buffer_store_dword v4, off, s[0:3], 0 offset:916
	buffer_store_dword v3, off, s[0:3], 0 offset:912
	;; [unrolled: 1-line block ×4, first 2 shown]
	ds_read2_b64 v[1:4], v117 offset0:116 offset1:117
	s_waitcnt lgkmcnt(0)
	v_mul_f64 v[59:60], v[3:4], v[61:62]
	v_fma_f64 v[59:60], v[1:2], v[57:58], -v[59:60]
	v_mul_f64 v[1:2], v[1:2], v[61:62]
	v_fma_f64 v[1:2], v[3:4], v[57:58], v[1:2]
	buffer_load_dword v3, off, s[0:3], 0 offset:928
	buffer_load_dword v4, off, s[0:3], 0 offset:932
	;; [unrolled: 1-line block ×4, first 2 shown]
	s_waitcnt vmcnt(2)
	v_add_f64 v[3:4], v[3:4], -v[59:60]
	s_waitcnt vmcnt(0)
	v_add_f64 v[1:2], v[63:64], -v[1:2]
	buffer_store_dword v4, off, s[0:3], 0 offset:932
	buffer_store_dword v3, off, s[0:3], 0 offset:928
	;; [unrolled: 1-line block ×4, first 2 shown]
	ds_read2_b64 v[1:4], v117 offset0:118 offset1:119
	s_waitcnt lgkmcnt(0)
	v_mul_f64 v[59:60], v[3:4], v[61:62]
	v_fma_f64 v[59:60], v[1:2], v[57:58], -v[59:60]
	v_mul_f64 v[1:2], v[1:2], v[61:62]
	v_fma_f64 v[1:2], v[3:4], v[57:58], v[1:2]
	buffer_load_dword v3, off, s[0:3], 0 offset:944
	buffer_load_dword v4, off, s[0:3], 0 offset:948
	;; [unrolled: 1-line block ×4, first 2 shown]
	s_waitcnt vmcnt(2)
	v_add_f64 v[3:4], v[3:4], -v[59:60]
	s_waitcnt vmcnt(0)
	v_add_f64 v[1:2], v[63:64], -v[1:2]
	buffer_store_dword v4, off, s[0:3], 0 offset:948
	buffer_store_dword v3, off, s[0:3], 0 offset:944
	;; [unrolled: 1-line block ×4, first 2 shown]
	ds_read2_b64 v[1:4], v117 offset0:120 offset1:121
	s_waitcnt lgkmcnt(0)
	v_mul_f64 v[59:60], v[3:4], v[61:62]
	v_fma_f64 v[59:60], v[1:2], v[57:58], -v[59:60]
	v_mul_f64 v[1:2], v[1:2], v[61:62]
	buffer_load_dword v63, off, s[0:3], 0 offset:960
	buffer_load_dword v64, off, s[0:3], 0 offset:964
	;; [unrolled: 1-line block ×4, first 2 shown]
	v_fma_f64 v[57:58], v[3:4], v[57:58], v[1:2]
	s_waitcnt vmcnt(2)
	v_add_f64 v[1:2], v[63:64], -v[59:60]
	s_waitcnt vmcnt(0)
	v_add_f64 v[3:4], v[61:62], -v[57:58]
	buffer_store_dword v2, off, s[0:3], 0 offset:964
	buffer_store_dword v1, off, s[0:3], 0 offset:960
	;; [unrolled: 1-line block ×4, first 2 shown]
.LBB121_511:
	s_or_b64 exec, exec, s[6:7]
	v_cmp_eq_u32_e32 vcc, 45, v0
	s_waitcnt vmcnt(0) lgkmcnt(0)
	s_barrier
	s_and_saveexec_b64 s[8:9], vcc
	s_cbranch_execz .LBB121_518
; %bb.512:
	v_readlane_b32 s6, v126, 17
	v_mov_b32_e32 v4, s6
	buffer_load_dword v1, v4, s[0:3], 0 offen
	buffer_load_dword v2, v4, s[0:3], 0 offen offset:4
	buffer_load_dword v3, v4, s[0:3], 0 offen offset:8
	s_nop 0
	buffer_load_dword v4, v4, s[0:3], 0 offen offset:12
	v_readlane_b32 s6, v126, 18
	s_waitcnt vmcnt(0)
	ds_write2_b64 v125, v[1:2], v[3:4] offset1:1
	v_mov_b32_e32 v4, s26
	buffer_load_dword v1, v4, s[0:3], 0 offen
	buffer_load_dword v2, v4, s[0:3], 0 offen offset:4
	buffer_load_dword v3, v4, s[0:3], 0 offen offset:8
	s_nop 0
	buffer_load_dword v4, v4, s[0:3], 0 offen offset:12
	s_waitcnt vmcnt(0)
	ds_write2_b64 v117, v[1:2], v[3:4] offset0:92 offset1:93
	v_mov_b32_e32 v4, s6
	buffer_load_dword v1, v4, s[0:3], 0 offen
	buffer_load_dword v2, v4, s[0:3], 0 offen offset:4
	buffer_load_dword v3, v4, s[0:3], 0 offen offset:8
	s_nop 0
	buffer_load_dword v4, v4, s[0:3], 0 offen offset:12
	v_readlane_b32 s6, v126, 19
	s_waitcnt vmcnt(0)
	ds_write2_b64 v117, v[1:2], v[3:4] offset0:94 offset1:95
	v_mov_b32_e32 v4, s24
	buffer_load_dword v1, v4, s[0:3], 0 offen
	buffer_load_dword v2, v4, s[0:3], 0 offen offset:4
	buffer_load_dword v3, v4, s[0:3], 0 offen offset:8
	s_nop 0
	buffer_load_dword v4, v4, s[0:3], 0 offen offset:12
	s_waitcnt vmcnt(0)
	ds_write2_b64 v117, v[1:2], v[3:4] offset0:96 offset1:97
	v_mov_b32_e32 v4, s6
	buffer_load_dword v1, v4, s[0:3], 0 offen
	buffer_load_dword v2, v4, s[0:3], 0 offen offset:4
	buffer_load_dword v3, v4, s[0:3], 0 offen offset:8
	s_nop 0
	buffer_load_dword v4, v4, s[0:3], 0 offen offset:12
	v_readlane_b32 s6, v126, 20
	s_waitcnt vmcnt(0)
	ds_write2_b64 v117, v[1:2], v[3:4] offset0:98 offset1:99
	;; [unrolled: 17-line block ×4, first 2 shown]
	v_mov_b32_e32 v4, s18
	buffer_load_dword v1, v4, s[0:3], 0 offen
	buffer_load_dword v2, v4, s[0:3], 0 offen offset:4
	buffer_load_dword v3, v4, s[0:3], 0 offen offset:8
	s_nop 0
	buffer_load_dword v4, v4, s[0:3], 0 offen offset:12
	s_waitcnt vmcnt(0)
	ds_write2_b64 v117, v[1:2], v[3:4] offset0:108 offset1:109
	v_mov_b32_e32 v4, s6
	buffer_load_dword v1, v4, s[0:3], 0 offen
	buffer_load_dword v2, v4, s[0:3], 0 offen offset:4
	buffer_load_dword v3, v4, s[0:3], 0 offen offset:8
	s_nop 0
	buffer_load_dword v4, v4, s[0:3], 0 offen offset:12
	s_waitcnt vmcnt(0)
	ds_write2_b64 v117, v[1:2], v[3:4] offset0:110 offset1:111
	;; [unrolled: 8-line block ×7, first 2 shown]
	ds_read2_b64 v[57:60], v125 offset1:1
	s_waitcnt lgkmcnt(0)
	v_cmp_neq_f64_e32 vcc, 0, v[57:58]
	v_cmp_neq_f64_e64 s[6:7], 0, v[59:60]
	s_or_b64 s[6:7], vcc, s[6:7]
	s_and_b64 exec, exec, s[6:7]
	s_cbranch_execz .LBB121_518
; %bb.513:
	v_cmp_ngt_f64_e64 s[6:7], |v[57:58]|, |v[59:60]|
                                        ; implicit-def: $vgpr1_vgpr2
	s_and_saveexec_b64 s[10:11], s[6:7]
	s_xor_b64 s[6:7], exec, s[10:11]
                                        ; implicit-def: $vgpr3_vgpr4
	s_cbranch_execz .LBB121_515
; %bb.514:
	v_div_scale_f64 v[1:2], s[10:11], v[59:60], v[59:60], v[57:58]
	v_rcp_f64_e32 v[3:4], v[1:2]
	v_fma_f64 v[61:62], -v[1:2], v[3:4], 1.0
	v_fma_f64 v[3:4], v[3:4], v[61:62], v[3:4]
	v_div_scale_f64 v[61:62], vcc, v[57:58], v[59:60], v[57:58]
	v_fma_f64 v[63:64], -v[1:2], v[3:4], 1.0
	v_fma_f64 v[3:4], v[3:4], v[63:64], v[3:4]
	v_mul_f64 v[63:64], v[61:62], v[3:4]
	v_fma_f64 v[1:2], -v[1:2], v[63:64], v[61:62]
	v_div_fmas_f64 v[1:2], v[1:2], v[3:4], v[63:64]
	v_div_fixup_f64 v[1:2], v[1:2], v[59:60], v[57:58]
	v_fma_f64 v[3:4], v[57:58], v[1:2], v[59:60]
	v_div_scale_f64 v[57:58], s[10:11], v[3:4], v[3:4], 1.0
	v_div_scale_f64 v[63:64], vcc, 1.0, v[3:4], 1.0
	v_rcp_f64_e32 v[59:60], v[57:58]
	v_fma_f64 v[61:62], -v[57:58], v[59:60], 1.0
	v_fma_f64 v[59:60], v[59:60], v[61:62], v[59:60]
	v_fma_f64 v[61:62], -v[57:58], v[59:60], 1.0
	v_fma_f64 v[59:60], v[59:60], v[61:62], v[59:60]
	v_mul_f64 v[61:62], v[63:64], v[59:60]
	v_fma_f64 v[57:58], -v[57:58], v[61:62], v[63:64]
	v_div_fmas_f64 v[57:58], v[57:58], v[59:60], v[61:62]
	v_div_fixup_f64 v[3:4], v[57:58], v[3:4], 1.0
                                        ; implicit-def: $vgpr57_vgpr58
	v_mul_f64 v[1:2], v[1:2], v[3:4]
	v_xor_b32_e32 v4, 0x80000000, v4
.LBB121_515:
	s_andn2_saveexec_b64 s[6:7], s[6:7]
	s_cbranch_execz .LBB121_517
; %bb.516:
	v_div_scale_f64 v[1:2], s[10:11], v[57:58], v[57:58], v[59:60]
	v_rcp_f64_e32 v[3:4], v[1:2]
	v_fma_f64 v[61:62], -v[1:2], v[3:4], 1.0
	v_fma_f64 v[3:4], v[3:4], v[61:62], v[3:4]
	v_div_scale_f64 v[61:62], vcc, v[59:60], v[57:58], v[59:60]
	v_fma_f64 v[63:64], -v[1:2], v[3:4], 1.0
	v_fma_f64 v[3:4], v[3:4], v[63:64], v[3:4]
	v_mul_f64 v[63:64], v[61:62], v[3:4]
	v_fma_f64 v[1:2], -v[1:2], v[63:64], v[61:62]
	v_div_fmas_f64 v[1:2], v[1:2], v[3:4], v[63:64]
	v_div_fixup_f64 v[3:4], v[1:2], v[57:58], v[59:60]
	v_fma_f64 v[1:2], v[59:60], v[3:4], v[57:58]
	v_div_scale_f64 v[57:58], s[10:11], v[1:2], v[1:2], 1.0
	v_div_scale_f64 v[63:64], vcc, 1.0, v[1:2], 1.0
	v_rcp_f64_e32 v[59:60], v[57:58]
	v_fma_f64 v[61:62], -v[57:58], v[59:60], 1.0
	v_fma_f64 v[59:60], v[59:60], v[61:62], v[59:60]
	v_fma_f64 v[61:62], -v[57:58], v[59:60], 1.0
	v_fma_f64 v[59:60], v[59:60], v[61:62], v[59:60]
	v_mul_f64 v[61:62], v[63:64], v[59:60]
	v_fma_f64 v[57:58], -v[57:58], v[61:62], v[63:64]
	v_div_fmas_f64 v[57:58], v[57:58], v[59:60], v[61:62]
	v_div_fixup_f64 v[1:2], v[57:58], v[1:2], 1.0
	v_mul_f64 v[3:4], v[3:4], -v[1:2]
.LBB121_517:
	s_or_b64 exec, exec, s[6:7]
	ds_write2_b64 v125, v[1:2], v[3:4] offset1:1
.LBB121_518:
	s_or_b64 exec, exec, s[8:9]
	s_waitcnt lgkmcnt(0)
	s_barrier
	ds_read2_b64 v[57:60], v125 offset1:1
	v_cmp_lt_u32_e32 vcc, 45, v0
	s_and_saveexec_b64 s[6:7], vcc
	s_cbranch_execz .LBB121_520
; %bb.519:
	buffer_load_dword v1, off, s[0:3], 0 offset:720
	buffer_load_dword v2, off, s[0:3], 0 offset:724
	;; [unrolled: 1-line block ×16, first 2 shown]
	s_waitcnt vmcnt(12) lgkmcnt(0)
	v_mul_f64 v[61:62], v[59:60], v[3:4]
	v_mul_f64 v[3:4], v[57:58], v[3:4]
	v_fma_f64 v[61:62], v[57:58], v[1:2], -v[61:62]
	v_fma_f64 v[63:64], v[59:60], v[1:2], v[3:4]
	buffer_store_dword v61, off, s[0:3], 0 offset:720
	buffer_store_dword v62, off, s[0:3], 0 offset:724
	buffer_store_dword v63, off, s[0:3], 0 offset:728
	buffer_store_dword v64, off, s[0:3], 0 offset:732
	ds_read2_b64 v[1:4], v117 offset0:92 offset1:93
	s_waitcnt lgkmcnt(0)
	v_mul_f64 v[77:78], v[3:4], v[63:64]
	v_fma_f64 v[77:78], v[1:2], v[61:62], -v[77:78]
	v_mul_f64 v[1:2], v[1:2], v[63:64]
	v_fma_f64 v[1:2], v[3:4], v[61:62], v[1:2]
	s_waitcnt vmcnt(14)
	v_add_f64 v[3:4], v[65:66], -v[77:78]
	s_waitcnt vmcnt(12)
	v_add_f64 v[1:2], v[67:68], -v[1:2]
	buffer_store_dword v3, off, s[0:3], 0 offset:736
	buffer_store_dword v4, off, s[0:3], 0 offset:740
	buffer_store_dword v1, off, s[0:3], 0 offset:744
	buffer_store_dword v2, off, s[0:3], 0 offset:748
	ds_read2_b64 v[1:4], v117 offset0:94 offset1:95
	s_waitcnt lgkmcnt(0)
	v_mul_f64 v[65:66], v[3:4], v[63:64]
	v_fma_f64 v[65:66], v[1:2], v[61:62], -v[65:66]
	v_mul_f64 v[1:2], v[1:2], v[63:64]
	v_fma_f64 v[1:2], v[3:4], v[61:62], v[1:2]
	s_waitcnt vmcnt(14)
	v_add_f64 v[3:4], v[69:70], -v[65:66]
	s_waitcnt vmcnt(12)
	v_add_f64 v[1:2], v[71:72], -v[1:2]
	;; [unrolled: 14-line block ×3, first 2 shown]
	buffer_store_dword v4, off, s[0:3], 0 offset:772
	buffer_store_dword v3, off, s[0:3], 0 offset:768
	buffer_store_dword v1, off, s[0:3], 0 offset:776
	buffer_store_dword v2, off, s[0:3], 0 offset:780
	ds_read2_b64 v[1:4], v117 offset0:98 offset1:99
	s_waitcnt lgkmcnt(0)
	v_mul_f64 v[65:66], v[3:4], v[63:64]
	v_fma_f64 v[65:66], v[1:2], v[61:62], -v[65:66]
	v_mul_f64 v[1:2], v[1:2], v[63:64]
	v_fma_f64 v[1:2], v[3:4], v[61:62], v[1:2]
	buffer_load_dword v3, off, s[0:3], 0 offset:784
	buffer_load_dword v4, off, s[0:3], 0 offset:788
	buffer_load_dword v67, off, s[0:3], 0 offset:792
	buffer_load_dword v68, off, s[0:3], 0 offset:796
	s_waitcnt vmcnt(2)
	v_add_f64 v[3:4], v[3:4], -v[65:66]
	s_waitcnt vmcnt(0)
	v_add_f64 v[1:2], v[67:68], -v[1:2]
	buffer_store_dword v4, off, s[0:3], 0 offset:788
	buffer_store_dword v3, off, s[0:3], 0 offset:784
	buffer_store_dword v2, off, s[0:3], 0 offset:796
	buffer_store_dword v1, off, s[0:3], 0 offset:792
	ds_read2_b64 v[1:4], v117 offset0:100 offset1:101
	s_waitcnt lgkmcnt(0)
	v_mul_f64 v[65:66], v[3:4], v[63:64]
	v_fma_f64 v[65:66], v[1:2], v[61:62], -v[65:66]
	v_mul_f64 v[1:2], v[1:2], v[63:64]
	v_fma_f64 v[1:2], v[3:4], v[61:62], v[1:2]
	buffer_load_dword v3, off, s[0:3], 0 offset:800
	buffer_load_dword v4, off, s[0:3], 0 offset:804
	buffer_load_dword v67, off, s[0:3], 0 offset:808
	buffer_load_dword v68, off, s[0:3], 0 offset:812
	s_waitcnt vmcnt(2)
	v_add_f64 v[3:4], v[3:4], -v[65:66]
	s_waitcnt vmcnt(0)
	v_add_f64 v[1:2], v[67:68], -v[1:2]
	;; [unrolled: 18-line block ×3, first 2 shown]
	buffer_store_dword v4, off, s[0:3], 0 offset:820
	buffer_store_dword v3, off, s[0:3], 0 offset:816
	;; [unrolled: 1-line block ×4, first 2 shown]
	ds_read2_b64 v[1:4], v117 offset0:104 offset1:105
	buffer_load_dword v61, off, s[0:3], 0 offset:720
	buffer_load_dword v62, off, s[0:3], 0 offset:724
	buffer_load_dword v63, off, s[0:3], 0 offset:728
	buffer_load_dword v64, off, s[0:3], 0 offset:732
	s_waitcnt vmcnt(0) lgkmcnt(0)
	v_mul_f64 v[65:66], v[3:4], v[63:64]
	v_fma_f64 v[65:66], v[1:2], v[61:62], -v[65:66]
	v_mul_f64 v[1:2], v[1:2], v[63:64]
	v_fma_f64 v[1:2], v[3:4], v[61:62], v[1:2]
	buffer_load_dword v4, off, s[0:3], 0 offset:836
	buffer_load_dword v3, off, s[0:3], 0 offset:832
	s_waitcnt vmcnt(0)
	v_add_f64 v[3:4], v[3:4], -v[65:66]
	buffer_load_dword v66, off, s[0:3], 0 offset:844
	buffer_load_dword v65, off, s[0:3], 0 offset:840
	s_waitcnt vmcnt(0)
	v_add_f64 v[1:2], v[65:66], -v[1:2]
	buffer_store_dword v4, off, s[0:3], 0 offset:836
	buffer_store_dword v3, off, s[0:3], 0 offset:832
	buffer_store_dword v2, off, s[0:3], 0 offset:844
	buffer_store_dword v1, off, s[0:3], 0 offset:840
	ds_read2_b64 v[1:4], v117 offset0:106 offset1:107
	s_waitcnt lgkmcnt(0)
	v_mul_f64 v[65:66], v[3:4], v[63:64]
	v_fma_f64 v[65:66], v[1:2], v[61:62], -v[65:66]
	v_mul_f64 v[1:2], v[1:2], v[63:64]
	v_fma_f64 v[1:2], v[3:4], v[61:62], v[1:2]
	buffer_load_dword v3, off, s[0:3], 0 offset:848
	buffer_load_dword v4, off, s[0:3], 0 offset:852
	buffer_load_dword v67, off, s[0:3], 0 offset:856
	buffer_load_dword v68, off, s[0:3], 0 offset:860
	s_waitcnt vmcnt(2)
	v_add_f64 v[3:4], v[3:4], -v[65:66]
	s_waitcnt vmcnt(0)
	v_add_f64 v[1:2], v[67:68], -v[1:2]
	buffer_store_dword v4, off, s[0:3], 0 offset:852
	buffer_store_dword v3, off, s[0:3], 0 offset:848
	buffer_store_dword v2, off, s[0:3], 0 offset:860
	buffer_store_dword v1, off, s[0:3], 0 offset:856
	ds_read2_b64 v[1:4], v117 offset0:108 offset1:109
	s_waitcnt lgkmcnt(0)
	v_mul_f64 v[65:66], v[3:4], v[63:64]
	v_fma_f64 v[65:66], v[1:2], v[61:62], -v[65:66]
	v_mul_f64 v[1:2], v[1:2], v[63:64]
	v_fma_f64 v[1:2], v[3:4], v[61:62], v[1:2]
	buffer_load_dword v3, off, s[0:3], 0 offset:864
	buffer_load_dword v4, off, s[0:3], 0 offset:868
	buffer_load_dword v67, off, s[0:3], 0 offset:872
	buffer_load_dword v68, off, s[0:3], 0 offset:876
	s_waitcnt vmcnt(2)
	v_add_f64 v[3:4], v[3:4], -v[65:66]
	;; [unrolled: 18-line block ×5, first 2 shown]
	s_waitcnt vmcnt(0)
	v_add_f64 v[1:2], v[61:62], -v[1:2]
	buffer_store_dword v4, off, s[0:3], 0 offset:916
	buffer_store_dword v3, off, s[0:3], 0 offset:912
	buffer_store_dword v2, off, s[0:3], 0 offset:924
	buffer_store_dword v1, off, s[0:3], 0 offset:920
	ds_read2_b64 v[1:4], v117 offset0:116 offset1:117
	buffer_load_dword v61, off, s[0:3], 0 offset:720
	buffer_load_dword v62, off, s[0:3], 0 offset:724
	;; [unrolled: 1-line block ×4, first 2 shown]
	s_waitcnt vmcnt(0) lgkmcnt(0)
	v_mul_f64 v[63:64], v[3:4], v[65:66]
	v_fma_f64 v[63:64], v[1:2], v[61:62], -v[63:64]
	v_mul_f64 v[1:2], v[1:2], v[65:66]
	v_fma_f64 v[1:2], v[3:4], v[61:62], v[1:2]
	buffer_load_dword v4, off, s[0:3], 0 offset:932
	buffer_load_dword v3, off, s[0:3], 0 offset:928
	s_waitcnt vmcnt(0)
	v_add_f64 v[3:4], v[3:4], -v[63:64]
	buffer_load_dword v64, off, s[0:3], 0 offset:940
	buffer_load_dword v63, off, s[0:3], 0 offset:936
	s_waitcnt vmcnt(0)
	v_add_f64 v[1:2], v[63:64], -v[1:2]
	buffer_store_dword v4, off, s[0:3], 0 offset:932
	buffer_store_dword v3, off, s[0:3], 0 offset:928
	;; [unrolled: 1-line block ×4, first 2 shown]
	ds_read2_b64 v[1:4], v117 offset0:118 offset1:119
	s_waitcnt lgkmcnt(0)
	v_mul_f64 v[63:64], v[3:4], v[65:66]
	v_fma_f64 v[63:64], v[1:2], v[61:62], -v[63:64]
	v_mul_f64 v[1:2], v[1:2], v[65:66]
	v_fma_f64 v[1:2], v[3:4], v[61:62], v[1:2]
	buffer_load_dword v3, off, s[0:3], 0 offset:944
	buffer_load_dword v4, off, s[0:3], 0 offset:948
	;; [unrolled: 1-line block ×4, first 2 shown]
	s_waitcnt vmcnt(2)
	v_add_f64 v[3:4], v[3:4], -v[63:64]
	s_waitcnt vmcnt(0)
	v_add_f64 v[1:2], v[67:68], -v[1:2]
	buffer_store_dword v4, off, s[0:3], 0 offset:948
	buffer_store_dword v3, off, s[0:3], 0 offset:944
	;; [unrolled: 1-line block ×4, first 2 shown]
	ds_read2_b64 v[1:4], v117 offset0:120 offset1:121
	s_waitcnt lgkmcnt(0)
	v_mul_f64 v[63:64], v[3:4], v[65:66]
	v_fma_f64 v[63:64], v[1:2], v[61:62], -v[63:64]
	v_mul_f64 v[1:2], v[1:2], v[65:66]
	buffer_load_dword v67, off, s[0:3], 0 offset:960
	buffer_load_dword v68, off, s[0:3], 0 offset:964
	;; [unrolled: 1-line block ×4, first 2 shown]
	v_fma_f64 v[61:62], v[3:4], v[61:62], v[1:2]
	s_waitcnt vmcnt(2)
	v_add_f64 v[1:2], v[67:68], -v[63:64]
	s_waitcnt vmcnt(0)
	v_add_f64 v[3:4], v[65:66], -v[61:62]
	buffer_store_dword v2, off, s[0:3], 0 offset:964
	buffer_store_dword v1, off, s[0:3], 0 offset:960
	;; [unrolled: 1-line block ×4, first 2 shown]
.LBB121_520:
	s_or_b64 exec, exec, s[6:7]
	v_cmp_eq_u32_e32 vcc, 46, v0
	s_waitcnt vmcnt(0) lgkmcnt(0)
	s_barrier
	s_and_saveexec_b64 s[8:9], vcc
	s_cbranch_execz .LBB121_527
; %bb.521:
	v_mov_b32_e32 v4, s26
	buffer_load_dword v1, v4, s[0:3], 0 offen
	buffer_load_dword v2, v4, s[0:3], 0 offen offset:4
	buffer_load_dword v3, v4, s[0:3], 0 offen offset:8
	s_nop 0
	buffer_load_dword v4, v4, s[0:3], 0 offen offset:12
	v_readlane_b32 s6, v126, 18
	s_waitcnt vmcnt(0)
	ds_write2_b64 v125, v[1:2], v[3:4] offset1:1
	v_mov_b32_e32 v4, s6
	buffer_load_dword v1, v4, s[0:3], 0 offen
	buffer_load_dword v2, v4, s[0:3], 0 offen offset:4
	buffer_load_dword v3, v4, s[0:3], 0 offen offset:8
	s_nop 0
	buffer_load_dword v4, v4, s[0:3], 0 offen offset:12
	v_readlane_b32 s6, v126, 19
	s_waitcnt vmcnt(0)
	ds_write2_b64 v117, v[1:2], v[3:4] offset0:94 offset1:95
	v_mov_b32_e32 v4, s24
	buffer_load_dword v1, v4, s[0:3], 0 offen
	buffer_load_dword v2, v4, s[0:3], 0 offen offset:4
	buffer_load_dword v3, v4, s[0:3], 0 offen offset:8
	s_nop 0
	buffer_load_dword v4, v4, s[0:3], 0 offen offset:12
	s_waitcnt vmcnt(0)
	ds_write2_b64 v117, v[1:2], v[3:4] offset0:96 offset1:97
	v_mov_b32_e32 v4, s6
	buffer_load_dword v1, v4, s[0:3], 0 offen
	buffer_load_dword v2, v4, s[0:3], 0 offen offset:4
	buffer_load_dword v3, v4, s[0:3], 0 offen offset:8
	s_nop 0
	buffer_load_dword v4, v4, s[0:3], 0 offen offset:12
	v_readlane_b32 s6, v126, 20
	s_waitcnt vmcnt(0)
	ds_write2_b64 v117, v[1:2], v[3:4] offset0:98 offset1:99
	v_mov_b32_e32 v4, s22
	buffer_load_dword v1, v4, s[0:3], 0 offen
	buffer_load_dword v2, v4, s[0:3], 0 offen offset:4
	buffer_load_dword v3, v4, s[0:3], 0 offen offset:8
	s_nop 0
	buffer_load_dword v4, v4, s[0:3], 0 offen offset:12
	s_waitcnt vmcnt(0)
	ds_write2_b64 v117, v[1:2], v[3:4] offset0:100 offset1:101
	;; [unrolled: 17-line block ×4, first 2 shown]
	v_mov_b32_e32 v4, s6
	buffer_load_dword v1, v4, s[0:3], 0 offen
	buffer_load_dword v2, v4, s[0:3], 0 offen offset:4
	buffer_load_dword v3, v4, s[0:3], 0 offen offset:8
	s_nop 0
	buffer_load_dword v4, v4, s[0:3], 0 offen offset:12
	s_waitcnt vmcnt(0)
	ds_write2_b64 v117, v[1:2], v[3:4] offset0:110 offset1:111
	v_mov_b32_e32 v4, s16
	buffer_load_dword v1, v4, s[0:3], 0 offen
	buffer_load_dword v2, v4, s[0:3], 0 offen offset:4
	buffer_load_dword v3, v4, s[0:3], 0 offen offset:8
	s_nop 0
	buffer_load_dword v4, v4, s[0:3], 0 offen offset:12
	s_waitcnt vmcnt(0)
	ds_write2_b64 v117, v[1:2], v[3:4] offset0:112 offset1:113
	;; [unrolled: 8-line block ×6, first 2 shown]
	ds_read2_b64 v[61:64], v125 offset1:1
	s_waitcnt lgkmcnt(0)
	v_cmp_neq_f64_e32 vcc, 0, v[61:62]
	v_cmp_neq_f64_e64 s[6:7], 0, v[63:64]
	s_or_b64 s[6:7], vcc, s[6:7]
	s_and_b64 exec, exec, s[6:7]
	s_cbranch_execz .LBB121_527
; %bb.522:
	v_cmp_ngt_f64_e64 s[6:7], |v[61:62]|, |v[63:64]|
                                        ; implicit-def: $vgpr1_vgpr2
	s_and_saveexec_b64 s[10:11], s[6:7]
	s_xor_b64 s[6:7], exec, s[10:11]
                                        ; implicit-def: $vgpr3_vgpr4
	s_cbranch_execz .LBB121_524
; %bb.523:
	v_div_scale_f64 v[1:2], s[10:11], v[63:64], v[63:64], v[61:62]
	v_rcp_f64_e32 v[3:4], v[1:2]
	v_fma_f64 v[65:66], -v[1:2], v[3:4], 1.0
	v_fma_f64 v[3:4], v[3:4], v[65:66], v[3:4]
	v_div_scale_f64 v[65:66], vcc, v[61:62], v[63:64], v[61:62]
	v_fma_f64 v[67:68], -v[1:2], v[3:4], 1.0
	v_fma_f64 v[3:4], v[3:4], v[67:68], v[3:4]
	v_mul_f64 v[67:68], v[65:66], v[3:4]
	v_fma_f64 v[1:2], -v[1:2], v[67:68], v[65:66]
	v_div_fmas_f64 v[1:2], v[1:2], v[3:4], v[67:68]
	v_div_fixup_f64 v[1:2], v[1:2], v[63:64], v[61:62]
	v_fma_f64 v[3:4], v[61:62], v[1:2], v[63:64]
	v_div_scale_f64 v[61:62], s[10:11], v[3:4], v[3:4], 1.0
	v_div_scale_f64 v[67:68], vcc, 1.0, v[3:4], 1.0
	v_rcp_f64_e32 v[63:64], v[61:62]
	v_fma_f64 v[65:66], -v[61:62], v[63:64], 1.0
	v_fma_f64 v[63:64], v[63:64], v[65:66], v[63:64]
	v_fma_f64 v[65:66], -v[61:62], v[63:64], 1.0
	v_fma_f64 v[63:64], v[63:64], v[65:66], v[63:64]
	v_mul_f64 v[65:66], v[67:68], v[63:64]
	v_fma_f64 v[61:62], -v[61:62], v[65:66], v[67:68]
	v_div_fmas_f64 v[61:62], v[61:62], v[63:64], v[65:66]
	v_div_fixup_f64 v[3:4], v[61:62], v[3:4], 1.0
                                        ; implicit-def: $vgpr61_vgpr62
	v_mul_f64 v[1:2], v[1:2], v[3:4]
	v_xor_b32_e32 v4, 0x80000000, v4
.LBB121_524:
	s_andn2_saveexec_b64 s[6:7], s[6:7]
	s_cbranch_execz .LBB121_526
; %bb.525:
	v_div_scale_f64 v[1:2], s[10:11], v[61:62], v[61:62], v[63:64]
	v_rcp_f64_e32 v[3:4], v[1:2]
	v_fma_f64 v[65:66], -v[1:2], v[3:4], 1.0
	v_fma_f64 v[3:4], v[3:4], v[65:66], v[3:4]
	v_div_scale_f64 v[65:66], vcc, v[63:64], v[61:62], v[63:64]
	v_fma_f64 v[67:68], -v[1:2], v[3:4], 1.0
	v_fma_f64 v[3:4], v[3:4], v[67:68], v[3:4]
	v_mul_f64 v[67:68], v[65:66], v[3:4]
	v_fma_f64 v[1:2], -v[1:2], v[67:68], v[65:66]
	v_div_fmas_f64 v[1:2], v[1:2], v[3:4], v[67:68]
	v_div_fixup_f64 v[3:4], v[1:2], v[61:62], v[63:64]
	v_fma_f64 v[1:2], v[63:64], v[3:4], v[61:62]
	v_div_scale_f64 v[61:62], s[10:11], v[1:2], v[1:2], 1.0
	v_div_scale_f64 v[67:68], vcc, 1.0, v[1:2], 1.0
	v_rcp_f64_e32 v[63:64], v[61:62]
	v_fma_f64 v[65:66], -v[61:62], v[63:64], 1.0
	v_fma_f64 v[63:64], v[63:64], v[65:66], v[63:64]
	v_fma_f64 v[65:66], -v[61:62], v[63:64], 1.0
	v_fma_f64 v[63:64], v[63:64], v[65:66], v[63:64]
	v_mul_f64 v[65:66], v[67:68], v[63:64]
	v_fma_f64 v[61:62], -v[61:62], v[65:66], v[67:68]
	v_div_fmas_f64 v[61:62], v[61:62], v[63:64], v[65:66]
	v_div_fixup_f64 v[1:2], v[61:62], v[1:2], 1.0
	v_mul_f64 v[3:4], v[3:4], -v[1:2]
.LBB121_526:
	s_or_b64 exec, exec, s[6:7]
	ds_write2_b64 v125, v[1:2], v[3:4] offset1:1
.LBB121_527:
	s_or_b64 exec, exec, s[8:9]
	s_waitcnt lgkmcnt(0)
	s_barrier
	ds_read2_b64 v[61:64], v125 offset1:1
	v_cmp_lt_u32_e32 vcc, 46, v0
	s_and_saveexec_b64 s[6:7], vcc
	s_cbranch_execz .LBB121_529
; %bb.528:
	buffer_load_dword v1, off, s[0:3], 0 offset:736
	buffer_load_dword v2, off, s[0:3], 0 offset:740
	;; [unrolled: 1-line block ×16, first 2 shown]
	s_waitcnt vmcnt(12) lgkmcnt(0)
	v_mul_f64 v[65:66], v[63:64], v[3:4]
	v_mul_f64 v[3:4], v[61:62], v[3:4]
	v_fma_f64 v[65:66], v[61:62], v[1:2], -v[65:66]
	v_fma_f64 v[67:68], v[63:64], v[1:2], v[3:4]
	buffer_store_dword v65, off, s[0:3], 0 offset:736
	buffer_store_dword v66, off, s[0:3], 0 offset:740
	buffer_store_dword v67, off, s[0:3], 0 offset:744
	buffer_store_dword v68, off, s[0:3], 0 offset:748
	ds_read2_b64 v[1:4], v117 offset0:94 offset1:95
	s_waitcnt lgkmcnt(0)
	v_mul_f64 v[81:82], v[3:4], v[67:68]
	v_fma_f64 v[81:82], v[1:2], v[65:66], -v[81:82]
	v_mul_f64 v[1:2], v[1:2], v[67:68]
	v_fma_f64 v[1:2], v[3:4], v[65:66], v[1:2]
	s_waitcnt vmcnt(14)
	v_add_f64 v[3:4], v[69:70], -v[81:82]
	s_waitcnt vmcnt(12)
	v_add_f64 v[1:2], v[71:72], -v[1:2]
	buffer_store_dword v3, off, s[0:3], 0 offset:752
	buffer_store_dword v4, off, s[0:3], 0 offset:756
	buffer_store_dword v1, off, s[0:3], 0 offset:760
	buffer_store_dword v2, off, s[0:3], 0 offset:764
	ds_read2_b64 v[1:4], v117 offset0:96 offset1:97
	s_waitcnt lgkmcnt(0)
	v_mul_f64 v[69:70], v[3:4], v[67:68]
	v_fma_f64 v[69:70], v[1:2], v[65:66], -v[69:70]
	v_mul_f64 v[1:2], v[1:2], v[67:68]
	v_fma_f64 v[1:2], v[3:4], v[65:66], v[1:2]
	s_waitcnt vmcnt(14)
	v_add_f64 v[3:4], v[73:74], -v[69:70]
	s_waitcnt vmcnt(12)
	v_add_f64 v[1:2], v[75:76], -v[1:2]
	;; [unrolled: 14-line block ×3, first 2 shown]
	buffer_store_dword v4, off, s[0:3], 0 offset:788
	buffer_store_dword v3, off, s[0:3], 0 offset:784
	buffer_store_dword v1, off, s[0:3], 0 offset:792
	buffer_store_dword v2, off, s[0:3], 0 offset:796
	ds_read2_b64 v[1:4], v117 offset0:100 offset1:101
	s_waitcnt lgkmcnt(0)
	v_mul_f64 v[69:70], v[3:4], v[67:68]
	v_fma_f64 v[69:70], v[1:2], v[65:66], -v[69:70]
	v_mul_f64 v[1:2], v[1:2], v[67:68]
	v_fma_f64 v[1:2], v[3:4], v[65:66], v[1:2]
	buffer_load_dword v3, off, s[0:3], 0 offset:800
	buffer_load_dword v4, off, s[0:3], 0 offset:804
	buffer_load_dword v71, off, s[0:3], 0 offset:808
	buffer_load_dword v72, off, s[0:3], 0 offset:812
	s_waitcnt vmcnt(2)
	v_add_f64 v[3:4], v[3:4], -v[69:70]
	s_waitcnt vmcnt(0)
	v_add_f64 v[1:2], v[71:72], -v[1:2]
	buffer_store_dword v4, off, s[0:3], 0 offset:804
	buffer_store_dword v3, off, s[0:3], 0 offset:800
	buffer_store_dword v2, off, s[0:3], 0 offset:812
	buffer_store_dword v1, off, s[0:3], 0 offset:808
	ds_read2_b64 v[1:4], v117 offset0:102 offset1:103
	s_waitcnt lgkmcnt(0)
	v_mul_f64 v[69:70], v[3:4], v[67:68]
	v_fma_f64 v[69:70], v[1:2], v[65:66], -v[69:70]
	v_mul_f64 v[1:2], v[1:2], v[67:68]
	v_fma_f64 v[1:2], v[3:4], v[65:66], v[1:2]
	buffer_load_dword v3, off, s[0:3], 0 offset:816
	buffer_load_dword v4, off, s[0:3], 0 offset:820
	buffer_load_dword v71, off, s[0:3], 0 offset:824
	buffer_load_dword v72, off, s[0:3], 0 offset:828
	s_waitcnt vmcnt(2)
	v_add_f64 v[3:4], v[3:4], -v[69:70]
	s_waitcnt vmcnt(0)
	v_add_f64 v[1:2], v[71:72], -v[1:2]
	;; [unrolled: 18-line block ×3, first 2 shown]
	buffer_store_dword v4, off, s[0:3], 0 offset:836
	buffer_store_dword v3, off, s[0:3], 0 offset:832
	buffer_store_dword v2, off, s[0:3], 0 offset:844
	buffer_store_dword v1, off, s[0:3], 0 offset:840
	ds_read2_b64 v[1:4], v117 offset0:106 offset1:107
	buffer_load_dword v65, off, s[0:3], 0 offset:736
	buffer_load_dword v66, off, s[0:3], 0 offset:740
	;; [unrolled: 1-line block ×4, first 2 shown]
	s_waitcnt vmcnt(0) lgkmcnt(0)
	v_mul_f64 v[69:70], v[3:4], v[67:68]
	v_fma_f64 v[69:70], v[1:2], v[65:66], -v[69:70]
	v_mul_f64 v[1:2], v[1:2], v[67:68]
	v_fma_f64 v[1:2], v[3:4], v[65:66], v[1:2]
	buffer_load_dword v4, off, s[0:3], 0 offset:852
	buffer_load_dword v3, off, s[0:3], 0 offset:848
	s_waitcnt vmcnt(0)
	v_add_f64 v[3:4], v[3:4], -v[69:70]
	buffer_load_dword v70, off, s[0:3], 0 offset:860
	buffer_load_dword v69, off, s[0:3], 0 offset:856
	s_waitcnt vmcnt(0)
	v_add_f64 v[1:2], v[69:70], -v[1:2]
	buffer_store_dword v4, off, s[0:3], 0 offset:852
	buffer_store_dword v3, off, s[0:3], 0 offset:848
	buffer_store_dword v2, off, s[0:3], 0 offset:860
	buffer_store_dword v1, off, s[0:3], 0 offset:856
	ds_read2_b64 v[1:4], v117 offset0:108 offset1:109
	s_waitcnt lgkmcnt(0)
	v_mul_f64 v[69:70], v[3:4], v[67:68]
	v_fma_f64 v[69:70], v[1:2], v[65:66], -v[69:70]
	v_mul_f64 v[1:2], v[1:2], v[67:68]
	v_fma_f64 v[1:2], v[3:4], v[65:66], v[1:2]
	buffer_load_dword v3, off, s[0:3], 0 offset:864
	buffer_load_dword v4, off, s[0:3], 0 offset:868
	buffer_load_dword v71, off, s[0:3], 0 offset:872
	buffer_load_dword v72, off, s[0:3], 0 offset:876
	s_waitcnt vmcnt(2)
	v_add_f64 v[3:4], v[3:4], -v[69:70]
	s_waitcnt vmcnt(0)
	v_add_f64 v[1:2], v[71:72], -v[1:2]
	buffer_store_dword v4, off, s[0:3], 0 offset:868
	buffer_store_dword v3, off, s[0:3], 0 offset:864
	buffer_store_dword v2, off, s[0:3], 0 offset:876
	buffer_store_dword v1, off, s[0:3], 0 offset:872
	ds_read2_b64 v[1:4], v117 offset0:110 offset1:111
	s_waitcnt lgkmcnt(0)
	v_mul_f64 v[69:70], v[3:4], v[67:68]
	v_fma_f64 v[69:70], v[1:2], v[65:66], -v[69:70]
	v_mul_f64 v[1:2], v[1:2], v[67:68]
	v_fma_f64 v[1:2], v[3:4], v[65:66], v[1:2]
	buffer_load_dword v3, off, s[0:3], 0 offset:880
	buffer_load_dword v4, off, s[0:3], 0 offset:884
	buffer_load_dword v71, off, s[0:3], 0 offset:888
	buffer_load_dword v72, off, s[0:3], 0 offset:892
	s_waitcnt vmcnt(2)
	v_add_f64 v[3:4], v[3:4], -v[69:70]
	;; [unrolled: 18-line block ×5, first 2 shown]
	s_waitcnt vmcnt(0)
	v_add_f64 v[1:2], v[65:66], -v[1:2]
	buffer_store_dword v4, off, s[0:3], 0 offset:932
	buffer_store_dword v3, off, s[0:3], 0 offset:928
	;; [unrolled: 1-line block ×4, first 2 shown]
	ds_read2_b64 v[1:4], v117 offset0:118 offset1:119
	buffer_load_dword v65, off, s[0:3], 0 offset:736
	buffer_load_dword v66, off, s[0:3], 0 offset:740
	;; [unrolled: 1-line block ×4, first 2 shown]
	s_waitcnt vmcnt(0) lgkmcnt(0)
	v_mul_f64 v[67:68], v[3:4], v[69:70]
	v_fma_f64 v[67:68], v[1:2], v[65:66], -v[67:68]
	v_mul_f64 v[1:2], v[1:2], v[69:70]
	v_fma_f64 v[1:2], v[3:4], v[65:66], v[1:2]
	buffer_load_dword v4, off, s[0:3], 0 offset:948
	buffer_load_dword v3, off, s[0:3], 0 offset:944
	s_waitcnt vmcnt(0)
	v_add_f64 v[3:4], v[3:4], -v[67:68]
	buffer_load_dword v68, off, s[0:3], 0 offset:956
	buffer_load_dword v67, off, s[0:3], 0 offset:952
	s_waitcnt vmcnt(0)
	v_add_f64 v[1:2], v[67:68], -v[1:2]
	buffer_store_dword v4, off, s[0:3], 0 offset:948
	buffer_store_dword v3, off, s[0:3], 0 offset:944
	;; [unrolled: 1-line block ×4, first 2 shown]
	ds_read2_b64 v[1:4], v117 offset0:120 offset1:121
	s_waitcnt lgkmcnt(0)
	v_mul_f64 v[67:68], v[3:4], v[69:70]
	v_fma_f64 v[67:68], v[1:2], v[65:66], -v[67:68]
	v_mul_f64 v[1:2], v[1:2], v[69:70]
	buffer_load_dword v71, off, s[0:3], 0 offset:960
	buffer_load_dword v72, off, s[0:3], 0 offset:964
	;; [unrolled: 1-line block ×4, first 2 shown]
	v_fma_f64 v[65:66], v[3:4], v[65:66], v[1:2]
	s_waitcnt vmcnt(2)
	v_add_f64 v[1:2], v[71:72], -v[67:68]
	s_waitcnt vmcnt(0)
	v_add_f64 v[3:4], v[69:70], -v[65:66]
	buffer_store_dword v2, off, s[0:3], 0 offset:964
	buffer_store_dword v1, off, s[0:3], 0 offset:960
	;; [unrolled: 1-line block ×4, first 2 shown]
.LBB121_529:
	s_or_b64 exec, exec, s[6:7]
	v_cmp_eq_u32_e32 vcc, 47, v0
	s_waitcnt vmcnt(0) lgkmcnt(0)
	s_barrier
	s_and_saveexec_b64 s[8:9], vcc
	s_cbranch_execz .LBB121_536
; %bb.530:
	v_readlane_b32 s6, v126, 18
	v_mov_b32_e32 v4, s6
	buffer_load_dword v1, v4, s[0:3], 0 offen
	buffer_load_dword v2, v4, s[0:3], 0 offen offset:4
	buffer_load_dword v3, v4, s[0:3], 0 offen offset:8
	s_nop 0
	buffer_load_dword v4, v4, s[0:3], 0 offen offset:12
	v_readlane_b32 s6, v126, 19
	s_waitcnt vmcnt(0)
	ds_write2_b64 v125, v[1:2], v[3:4] offset1:1
	v_mov_b32_e32 v4, s24
	buffer_load_dword v1, v4, s[0:3], 0 offen
	buffer_load_dword v2, v4, s[0:3], 0 offen offset:4
	buffer_load_dword v3, v4, s[0:3], 0 offen offset:8
	s_nop 0
	buffer_load_dword v4, v4, s[0:3], 0 offen offset:12
	s_waitcnt vmcnt(0)
	ds_write2_b64 v117, v[1:2], v[3:4] offset0:96 offset1:97
	v_mov_b32_e32 v4, s6
	buffer_load_dword v1, v4, s[0:3], 0 offen
	buffer_load_dword v2, v4, s[0:3], 0 offen offset:4
	buffer_load_dword v3, v4, s[0:3], 0 offen offset:8
	s_nop 0
	buffer_load_dword v4, v4, s[0:3], 0 offen offset:12
	v_readlane_b32 s6, v126, 20
	s_waitcnt vmcnt(0)
	ds_write2_b64 v117, v[1:2], v[3:4] offset0:98 offset1:99
	v_mov_b32_e32 v4, s22
	buffer_load_dword v1, v4, s[0:3], 0 offen
	buffer_load_dword v2, v4, s[0:3], 0 offen offset:4
	buffer_load_dword v3, v4, s[0:3], 0 offen offset:8
	s_nop 0
	buffer_load_dword v4, v4, s[0:3], 0 offen offset:12
	s_waitcnt vmcnt(0)
	ds_write2_b64 v117, v[1:2], v[3:4] offset0:100 offset1:101
	v_mov_b32_e32 v4, s6
	buffer_load_dword v1, v4, s[0:3], 0 offen
	buffer_load_dword v2, v4, s[0:3], 0 offen offset:4
	buffer_load_dword v3, v4, s[0:3], 0 offen offset:8
	s_nop 0
	buffer_load_dword v4, v4, s[0:3], 0 offen offset:12
	v_readlane_b32 s6, v126, 21
	s_waitcnt vmcnt(0)
	ds_write2_b64 v117, v[1:2], v[3:4] offset0:102 offset1:103
	;; [unrolled: 17-line block ×3, first 2 shown]
	v_mov_b32_e32 v4, s18
	buffer_load_dword v1, v4, s[0:3], 0 offen
	buffer_load_dword v2, v4, s[0:3], 0 offen offset:4
	buffer_load_dword v3, v4, s[0:3], 0 offen offset:8
	s_nop 0
	buffer_load_dword v4, v4, s[0:3], 0 offen offset:12
	s_waitcnt vmcnt(0)
	ds_write2_b64 v117, v[1:2], v[3:4] offset0:108 offset1:109
	v_mov_b32_e32 v4, s6
	buffer_load_dword v1, v4, s[0:3], 0 offen
	buffer_load_dword v2, v4, s[0:3], 0 offen offset:4
	buffer_load_dword v3, v4, s[0:3], 0 offen offset:8
	s_nop 0
	buffer_load_dword v4, v4, s[0:3], 0 offen offset:12
	s_waitcnt vmcnt(0)
	ds_write2_b64 v117, v[1:2], v[3:4] offset0:110 offset1:111
	;; [unrolled: 8-line block ×7, first 2 shown]
	ds_read2_b64 v[65:68], v125 offset1:1
	s_waitcnt lgkmcnt(0)
	v_cmp_neq_f64_e32 vcc, 0, v[65:66]
	v_cmp_neq_f64_e64 s[6:7], 0, v[67:68]
	s_or_b64 s[6:7], vcc, s[6:7]
	s_and_b64 exec, exec, s[6:7]
	s_cbranch_execz .LBB121_536
; %bb.531:
	v_cmp_ngt_f64_e64 s[6:7], |v[65:66]|, |v[67:68]|
                                        ; implicit-def: $vgpr1_vgpr2
	s_and_saveexec_b64 s[10:11], s[6:7]
	s_xor_b64 s[6:7], exec, s[10:11]
                                        ; implicit-def: $vgpr3_vgpr4
	s_cbranch_execz .LBB121_533
; %bb.532:
	v_div_scale_f64 v[1:2], s[10:11], v[67:68], v[67:68], v[65:66]
	v_rcp_f64_e32 v[3:4], v[1:2]
	v_fma_f64 v[69:70], -v[1:2], v[3:4], 1.0
	v_fma_f64 v[3:4], v[3:4], v[69:70], v[3:4]
	v_div_scale_f64 v[69:70], vcc, v[65:66], v[67:68], v[65:66]
	v_fma_f64 v[71:72], -v[1:2], v[3:4], 1.0
	v_fma_f64 v[3:4], v[3:4], v[71:72], v[3:4]
	v_mul_f64 v[71:72], v[69:70], v[3:4]
	v_fma_f64 v[1:2], -v[1:2], v[71:72], v[69:70]
	v_div_fmas_f64 v[1:2], v[1:2], v[3:4], v[71:72]
	v_div_fixup_f64 v[1:2], v[1:2], v[67:68], v[65:66]
	v_fma_f64 v[3:4], v[65:66], v[1:2], v[67:68]
	v_div_scale_f64 v[65:66], s[10:11], v[3:4], v[3:4], 1.0
	v_div_scale_f64 v[71:72], vcc, 1.0, v[3:4], 1.0
	v_rcp_f64_e32 v[67:68], v[65:66]
	v_fma_f64 v[69:70], -v[65:66], v[67:68], 1.0
	v_fma_f64 v[67:68], v[67:68], v[69:70], v[67:68]
	v_fma_f64 v[69:70], -v[65:66], v[67:68], 1.0
	v_fma_f64 v[67:68], v[67:68], v[69:70], v[67:68]
	v_mul_f64 v[69:70], v[71:72], v[67:68]
	v_fma_f64 v[65:66], -v[65:66], v[69:70], v[71:72]
	v_div_fmas_f64 v[65:66], v[65:66], v[67:68], v[69:70]
	v_div_fixup_f64 v[3:4], v[65:66], v[3:4], 1.0
                                        ; implicit-def: $vgpr65_vgpr66
	v_mul_f64 v[1:2], v[1:2], v[3:4]
	v_xor_b32_e32 v4, 0x80000000, v4
.LBB121_533:
	s_andn2_saveexec_b64 s[6:7], s[6:7]
	s_cbranch_execz .LBB121_535
; %bb.534:
	v_div_scale_f64 v[1:2], s[10:11], v[65:66], v[65:66], v[67:68]
	v_rcp_f64_e32 v[3:4], v[1:2]
	v_fma_f64 v[69:70], -v[1:2], v[3:4], 1.0
	v_fma_f64 v[3:4], v[3:4], v[69:70], v[3:4]
	v_div_scale_f64 v[69:70], vcc, v[67:68], v[65:66], v[67:68]
	v_fma_f64 v[71:72], -v[1:2], v[3:4], 1.0
	v_fma_f64 v[3:4], v[3:4], v[71:72], v[3:4]
	v_mul_f64 v[71:72], v[69:70], v[3:4]
	v_fma_f64 v[1:2], -v[1:2], v[71:72], v[69:70]
	v_div_fmas_f64 v[1:2], v[1:2], v[3:4], v[71:72]
	v_div_fixup_f64 v[3:4], v[1:2], v[65:66], v[67:68]
	v_fma_f64 v[1:2], v[67:68], v[3:4], v[65:66]
	v_div_scale_f64 v[65:66], s[10:11], v[1:2], v[1:2], 1.0
	v_div_scale_f64 v[71:72], vcc, 1.0, v[1:2], 1.0
	v_rcp_f64_e32 v[67:68], v[65:66]
	v_fma_f64 v[69:70], -v[65:66], v[67:68], 1.0
	v_fma_f64 v[67:68], v[67:68], v[69:70], v[67:68]
	v_fma_f64 v[69:70], -v[65:66], v[67:68], 1.0
	v_fma_f64 v[67:68], v[67:68], v[69:70], v[67:68]
	v_mul_f64 v[69:70], v[71:72], v[67:68]
	v_fma_f64 v[65:66], -v[65:66], v[69:70], v[71:72]
	v_div_fmas_f64 v[65:66], v[65:66], v[67:68], v[69:70]
	v_div_fixup_f64 v[1:2], v[65:66], v[1:2], 1.0
	v_mul_f64 v[3:4], v[3:4], -v[1:2]
.LBB121_535:
	s_or_b64 exec, exec, s[6:7]
	ds_write2_b64 v125, v[1:2], v[3:4] offset1:1
.LBB121_536:
	s_or_b64 exec, exec, s[8:9]
	s_waitcnt lgkmcnt(0)
	s_barrier
	ds_read2_b64 v[65:68], v125 offset1:1
	v_cmp_lt_u32_e32 vcc, 47, v0
	s_and_saveexec_b64 s[6:7], vcc
	s_cbranch_execz .LBB121_538
; %bb.537:
	buffer_load_dword v1, off, s[0:3], 0 offset:752
	buffer_load_dword v2, off, s[0:3], 0 offset:756
	;; [unrolled: 1-line block ×16, first 2 shown]
	s_waitcnt vmcnt(12) lgkmcnt(0)
	v_mul_f64 v[69:70], v[67:68], v[3:4]
	v_mul_f64 v[3:4], v[65:66], v[3:4]
	v_fma_f64 v[69:70], v[65:66], v[1:2], -v[69:70]
	v_fma_f64 v[71:72], v[67:68], v[1:2], v[3:4]
	buffer_store_dword v69, off, s[0:3], 0 offset:752
	buffer_store_dword v70, off, s[0:3], 0 offset:756
	buffer_store_dword v71, off, s[0:3], 0 offset:760
	buffer_store_dword v72, off, s[0:3], 0 offset:764
	ds_read2_b64 v[1:4], v117 offset0:96 offset1:97
	s_waitcnt lgkmcnt(0)
	v_mul_f64 v[85:86], v[3:4], v[71:72]
	v_fma_f64 v[85:86], v[1:2], v[69:70], -v[85:86]
	v_mul_f64 v[1:2], v[1:2], v[71:72]
	v_fma_f64 v[1:2], v[3:4], v[69:70], v[1:2]
	s_waitcnt vmcnt(14)
	v_add_f64 v[3:4], v[73:74], -v[85:86]
	s_waitcnt vmcnt(12)
	v_add_f64 v[1:2], v[75:76], -v[1:2]
	buffer_store_dword v3, off, s[0:3], 0 offset:768
	buffer_store_dword v4, off, s[0:3], 0 offset:772
	buffer_store_dword v1, off, s[0:3], 0 offset:776
	buffer_store_dword v2, off, s[0:3], 0 offset:780
	ds_read2_b64 v[1:4], v117 offset0:98 offset1:99
	s_waitcnt lgkmcnt(0)
	v_mul_f64 v[73:74], v[3:4], v[71:72]
	v_fma_f64 v[73:74], v[1:2], v[69:70], -v[73:74]
	v_mul_f64 v[1:2], v[1:2], v[71:72]
	v_fma_f64 v[1:2], v[3:4], v[69:70], v[1:2]
	s_waitcnt vmcnt(14)
	v_add_f64 v[3:4], v[77:78], -v[73:74]
	s_waitcnt vmcnt(12)
	v_add_f64 v[1:2], v[79:80], -v[1:2]
	;; [unrolled: 14-line block ×3, first 2 shown]
	buffer_store_dword v4, off, s[0:3], 0 offset:804
	buffer_store_dword v3, off, s[0:3], 0 offset:800
	buffer_store_dword v1, off, s[0:3], 0 offset:808
	buffer_store_dword v2, off, s[0:3], 0 offset:812
	ds_read2_b64 v[1:4], v117 offset0:102 offset1:103
	s_waitcnt lgkmcnt(0)
	v_mul_f64 v[73:74], v[3:4], v[71:72]
	v_fma_f64 v[73:74], v[1:2], v[69:70], -v[73:74]
	v_mul_f64 v[1:2], v[1:2], v[71:72]
	v_fma_f64 v[1:2], v[3:4], v[69:70], v[1:2]
	buffer_load_dword v3, off, s[0:3], 0 offset:816
	buffer_load_dword v4, off, s[0:3], 0 offset:820
	buffer_load_dword v75, off, s[0:3], 0 offset:824
	buffer_load_dword v76, off, s[0:3], 0 offset:828
	s_waitcnt vmcnt(2)
	v_add_f64 v[3:4], v[3:4], -v[73:74]
	s_waitcnt vmcnt(0)
	v_add_f64 v[1:2], v[75:76], -v[1:2]
	buffer_store_dword v4, off, s[0:3], 0 offset:820
	buffer_store_dword v3, off, s[0:3], 0 offset:816
	buffer_store_dword v2, off, s[0:3], 0 offset:828
	buffer_store_dword v1, off, s[0:3], 0 offset:824
	ds_read2_b64 v[1:4], v117 offset0:104 offset1:105
	s_waitcnt lgkmcnt(0)
	v_mul_f64 v[73:74], v[3:4], v[71:72]
	v_fma_f64 v[73:74], v[1:2], v[69:70], -v[73:74]
	v_mul_f64 v[1:2], v[1:2], v[71:72]
	v_fma_f64 v[1:2], v[3:4], v[69:70], v[1:2]
	buffer_load_dword v3, off, s[0:3], 0 offset:832
	buffer_load_dword v4, off, s[0:3], 0 offset:836
	buffer_load_dword v75, off, s[0:3], 0 offset:840
	buffer_load_dword v76, off, s[0:3], 0 offset:844
	s_waitcnt vmcnt(2)
	v_add_f64 v[3:4], v[3:4], -v[73:74]
	s_waitcnt vmcnt(0)
	v_add_f64 v[1:2], v[75:76], -v[1:2]
	;; [unrolled: 18-line block ×3, first 2 shown]
	buffer_store_dword v4, off, s[0:3], 0 offset:852
	buffer_store_dword v3, off, s[0:3], 0 offset:848
	;; [unrolled: 1-line block ×4, first 2 shown]
	ds_read2_b64 v[1:4], v117 offset0:108 offset1:109
	buffer_load_dword v69, off, s[0:3], 0 offset:752
	buffer_load_dword v70, off, s[0:3], 0 offset:756
	;; [unrolled: 1-line block ×4, first 2 shown]
	s_waitcnt vmcnt(0) lgkmcnt(0)
	v_mul_f64 v[73:74], v[3:4], v[71:72]
	v_fma_f64 v[73:74], v[1:2], v[69:70], -v[73:74]
	v_mul_f64 v[1:2], v[1:2], v[71:72]
	v_fma_f64 v[1:2], v[3:4], v[69:70], v[1:2]
	buffer_load_dword v4, off, s[0:3], 0 offset:868
	buffer_load_dword v3, off, s[0:3], 0 offset:864
	s_waitcnt vmcnt(0)
	v_add_f64 v[3:4], v[3:4], -v[73:74]
	buffer_load_dword v74, off, s[0:3], 0 offset:876
	buffer_load_dword v73, off, s[0:3], 0 offset:872
	s_waitcnt vmcnt(0)
	v_add_f64 v[1:2], v[73:74], -v[1:2]
	buffer_store_dword v4, off, s[0:3], 0 offset:868
	buffer_store_dword v3, off, s[0:3], 0 offset:864
	buffer_store_dword v2, off, s[0:3], 0 offset:876
	buffer_store_dword v1, off, s[0:3], 0 offset:872
	ds_read2_b64 v[1:4], v117 offset0:110 offset1:111
	s_waitcnt lgkmcnt(0)
	v_mul_f64 v[73:74], v[3:4], v[71:72]
	v_fma_f64 v[73:74], v[1:2], v[69:70], -v[73:74]
	v_mul_f64 v[1:2], v[1:2], v[71:72]
	v_fma_f64 v[1:2], v[3:4], v[69:70], v[1:2]
	buffer_load_dword v3, off, s[0:3], 0 offset:880
	buffer_load_dword v4, off, s[0:3], 0 offset:884
	buffer_load_dword v75, off, s[0:3], 0 offset:888
	buffer_load_dword v76, off, s[0:3], 0 offset:892
	s_waitcnt vmcnt(2)
	v_add_f64 v[3:4], v[3:4], -v[73:74]
	s_waitcnt vmcnt(0)
	v_add_f64 v[1:2], v[75:76], -v[1:2]
	buffer_store_dword v4, off, s[0:3], 0 offset:884
	buffer_store_dword v3, off, s[0:3], 0 offset:880
	buffer_store_dword v2, off, s[0:3], 0 offset:892
	buffer_store_dword v1, off, s[0:3], 0 offset:888
	ds_read2_b64 v[1:4], v117 offset0:112 offset1:113
	s_waitcnt lgkmcnt(0)
	v_mul_f64 v[73:74], v[3:4], v[71:72]
	v_fma_f64 v[73:74], v[1:2], v[69:70], -v[73:74]
	v_mul_f64 v[1:2], v[1:2], v[71:72]
	v_fma_f64 v[1:2], v[3:4], v[69:70], v[1:2]
	buffer_load_dword v3, off, s[0:3], 0 offset:896
	buffer_load_dword v4, off, s[0:3], 0 offset:900
	buffer_load_dword v75, off, s[0:3], 0 offset:904
	buffer_load_dword v76, off, s[0:3], 0 offset:908
	s_waitcnt vmcnt(2)
	v_add_f64 v[3:4], v[3:4], -v[73:74]
	;; [unrolled: 18-line block ×5, first 2 shown]
	s_waitcnt vmcnt(0)
	v_add_f64 v[1:2], v[69:70], -v[1:2]
	buffer_store_dword v4, off, s[0:3], 0 offset:948
	buffer_store_dword v3, off, s[0:3], 0 offset:944
	;; [unrolled: 1-line block ×4, first 2 shown]
	ds_read2_b64 v[1:4], v117 offset0:120 offset1:121
	buffer_load_dword v69, off, s[0:3], 0 offset:752
	buffer_load_dword v70, off, s[0:3], 0 offset:756
	;; [unrolled: 1-line block ×4, first 2 shown]
	s_waitcnt vmcnt(0) lgkmcnt(0)
	v_mul_f64 v[73:74], v[3:4], v[71:72]
	v_fma_f64 v[73:74], v[1:2], v[69:70], -v[73:74]
	v_mul_f64 v[1:2], v[1:2], v[71:72]
	v_fma_f64 v[69:70], v[3:4], v[69:70], v[1:2]
	buffer_load_dword v2, off, s[0:3], 0 offset:964
	buffer_load_dword v1, off, s[0:3], 0 offset:960
	s_waitcnt vmcnt(0)
	v_add_f64 v[71:72], v[1:2], -v[73:74]
	buffer_load_dword v74, off, s[0:3], 0 offset:972
	buffer_load_dword v73, off, s[0:3], 0 offset:968
	s_waitcnt vmcnt(0)
	v_add_f64 v[1:2], v[73:74], -v[69:70]
	buffer_store_dword v72, off, s[0:3], 0 offset:964
	buffer_store_dword v71, off, s[0:3], 0 offset:960
	;; [unrolled: 1-line block ×4, first 2 shown]
.LBB121_538:
	s_or_b64 exec, exec, s[6:7]
	v_cmp_eq_u32_e32 vcc, 48, v0
	s_waitcnt vmcnt(0) lgkmcnt(0)
	s_barrier
	s_and_saveexec_b64 s[8:9], vcc
	s_cbranch_execz .LBB121_545
; %bb.539:
	v_mov_b32_e32 v4, s24
	buffer_load_dword v1, v4, s[0:3], 0 offen
	buffer_load_dword v2, v4, s[0:3], 0 offen offset:4
	buffer_load_dword v3, v4, s[0:3], 0 offen offset:8
	s_nop 0
	buffer_load_dword v4, v4, s[0:3], 0 offen offset:12
	v_readlane_b32 s6, v126, 19
	s_waitcnt vmcnt(0)
	ds_write2_b64 v125, v[1:2], v[3:4] offset1:1
	v_mov_b32_e32 v4, s6
	buffer_load_dword v1, v4, s[0:3], 0 offen
	buffer_load_dword v2, v4, s[0:3], 0 offen offset:4
	buffer_load_dword v3, v4, s[0:3], 0 offen offset:8
	s_nop 0
	buffer_load_dword v4, v4, s[0:3], 0 offen offset:12
	v_readlane_b32 s6, v126, 20
	s_waitcnt vmcnt(0)
	ds_write2_b64 v117, v[1:2], v[3:4] offset0:98 offset1:99
	v_mov_b32_e32 v4, s22
	buffer_load_dword v1, v4, s[0:3], 0 offen
	buffer_load_dword v2, v4, s[0:3], 0 offen offset:4
	buffer_load_dword v3, v4, s[0:3], 0 offen offset:8
	s_nop 0
	buffer_load_dword v4, v4, s[0:3], 0 offen offset:12
	s_waitcnt vmcnt(0)
	ds_write2_b64 v117, v[1:2], v[3:4] offset0:100 offset1:101
	v_mov_b32_e32 v4, s6
	buffer_load_dword v1, v4, s[0:3], 0 offen
	buffer_load_dword v2, v4, s[0:3], 0 offen offset:4
	buffer_load_dword v3, v4, s[0:3], 0 offen offset:8
	s_nop 0
	buffer_load_dword v4, v4, s[0:3], 0 offen offset:12
	v_readlane_b32 s6, v126, 21
	s_waitcnt vmcnt(0)
	ds_write2_b64 v117, v[1:2], v[3:4] offset0:102 offset1:103
	v_mov_b32_e32 v4, s20
	buffer_load_dword v1, v4, s[0:3], 0 offen
	buffer_load_dword v2, v4, s[0:3], 0 offen offset:4
	buffer_load_dword v3, v4, s[0:3], 0 offen offset:8
	s_nop 0
	buffer_load_dword v4, v4, s[0:3], 0 offen offset:12
	s_waitcnt vmcnt(0)
	ds_write2_b64 v117, v[1:2], v[3:4] offset0:104 offset1:105
	;; [unrolled: 17-line block ×3, first 2 shown]
	v_mov_b32_e32 v4, s6
	buffer_load_dword v1, v4, s[0:3], 0 offen
	buffer_load_dword v2, v4, s[0:3], 0 offen offset:4
	buffer_load_dword v3, v4, s[0:3], 0 offen offset:8
	s_nop 0
	buffer_load_dword v4, v4, s[0:3], 0 offen offset:12
	s_waitcnt vmcnt(0)
	ds_write2_b64 v117, v[1:2], v[3:4] offset0:110 offset1:111
	v_mov_b32_e32 v4, s16
	buffer_load_dword v1, v4, s[0:3], 0 offen
	buffer_load_dword v2, v4, s[0:3], 0 offen offset:4
	buffer_load_dword v3, v4, s[0:3], 0 offen offset:8
	s_nop 0
	buffer_load_dword v4, v4, s[0:3], 0 offen offset:12
	s_waitcnt vmcnt(0)
	ds_write2_b64 v117, v[1:2], v[3:4] offset0:112 offset1:113
	;; [unrolled: 8-line block ×6, first 2 shown]
	ds_read2_b64 v[69:72], v125 offset1:1
	s_waitcnt lgkmcnt(0)
	v_cmp_neq_f64_e32 vcc, 0, v[69:70]
	v_cmp_neq_f64_e64 s[6:7], 0, v[71:72]
	s_or_b64 s[6:7], vcc, s[6:7]
	s_and_b64 exec, exec, s[6:7]
	s_cbranch_execz .LBB121_545
; %bb.540:
	v_cmp_ngt_f64_e64 s[6:7], |v[69:70]|, |v[71:72]|
                                        ; implicit-def: $vgpr1_vgpr2
	s_and_saveexec_b64 s[10:11], s[6:7]
	s_xor_b64 s[6:7], exec, s[10:11]
                                        ; implicit-def: $vgpr3_vgpr4
	s_cbranch_execz .LBB121_542
; %bb.541:
	v_div_scale_f64 v[1:2], s[10:11], v[71:72], v[71:72], v[69:70]
	v_rcp_f64_e32 v[3:4], v[1:2]
	v_fma_f64 v[73:74], -v[1:2], v[3:4], 1.0
	v_fma_f64 v[3:4], v[3:4], v[73:74], v[3:4]
	v_div_scale_f64 v[73:74], vcc, v[69:70], v[71:72], v[69:70]
	v_fma_f64 v[75:76], -v[1:2], v[3:4], 1.0
	v_fma_f64 v[3:4], v[3:4], v[75:76], v[3:4]
	v_mul_f64 v[75:76], v[73:74], v[3:4]
	v_fma_f64 v[1:2], -v[1:2], v[75:76], v[73:74]
	v_div_fmas_f64 v[1:2], v[1:2], v[3:4], v[75:76]
	v_div_fixup_f64 v[1:2], v[1:2], v[71:72], v[69:70]
	v_fma_f64 v[3:4], v[69:70], v[1:2], v[71:72]
	v_div_scale_f64 v[69:70], s[10:11], v[3:4], v[3:4], 1.0
	v_div_scale_f64 v[75:76], vcc, 1.0, v[3:4], 1.0
	v_rcp_f64_e32 v[71:72], v[69:70]
	v_fma_f64 v[73:74], -v[69:70], v[71:72], 1.0
	v_fma_f64 v[71:72], v[71:72], v[73:74], v[71:72]
	v_fma_f64 v[73:74], -v[69:70], v[71:72], 1.0
	v_fma_f64 v[71:72], v[71:72], v[73:74], v[71:72]
	v_mul_f64 v[73:74], v[75:76], v[71:72]
	v_fma_f64 v[69:70], -v[69:70], v[73:74], v[75:76]
	v_div_fmas_f64 v[69:70], v[69:70], v[71:72], v[73:74]
	v_div_fixup_f64 v[3:4], v[69:70], v[3:4], 1.0
                                        ; implicit-def: $vgpr69_vgpr70
	v_mul_f64 v[1:2], v[1:2], v[3:4]
	v_xor_b32_e32 v4, 0x80000000, v4
.LBB121_542:
	s_andn2_saveexec_b64 s[6:7], s[6:7]
	s_cbranch_execz .LBB121_544
; %bb.543:
	v_div_scale_f64 v[1:2], s[10:11], v[69:70], v[69:70], v[71:72]
	v_rcp_f64_e32 v[3:4], v[1:2]
	v_fma_f64 v[73:74], -v[1:2], v[3:4], 1.0
	v_fma_f64 v[3:4], v[3:4], v[73:74], v[3:4]
	v_div_scale_f64 v[73:74], vcc, v[71:72], v[69:70], v[71:72]
	v_fma_f64 v[75:76], -v[1:2], v[3:4], 1.0
	v_fma_f64 v[3:4], v[3:4], v[75:76], v[3:4]
	v_mul_f64 v[75:76], v[73:74], v[3:4]
	v_fma_f64 v[1:2], -v[1:2], v[75:76], v[73:74]
	v_div_fmas_f64 v[1:2], v[1:2], v[3:4], v[75:76]
	v_div_fixup_f64 v[3:4], v[1:2], v[69:70], v[71:72]
	v_fma_f64 v[1:2], v[71:72], v[3:4], v[69:70]
	v_div_scale_f64 v[69:70], s[10:11], v[1:2], v[1:2], 1.0
	v_div_scale_f64 v[75:76], vcc, 1.0, v[1:2], 1.0
	v_rcp_f64_e32 v[71:72], v[69:70]
	v_fma_f64 v[73:74], -v[69:70], v[71:72], 1.0
	v_fma_f64 v[71:72], v[71:72], v[73:74], v[71:72]
	v_fma_f64 v[73:74], -v[69:70], v[71:72], 1.0
	v_fma_f64 v[71:72], v[71:72], v[73:74], v[71:72]
	v_mul_f64 v[73:74], v[75:76], v[71:72]
	v_fma_f64 v[69:70], -v[69:70], v[73:74], v[75:76]
	v_div_fmas_f64 v[69:70], v[69:70], v[71:72], v[73:74]
	v_div_fixup_f64 v[1:2], v[69:70], v[1:2], 1.0
	v_mul_f64 v[3:4], v[3:4], -v[1:2]
.LBB121_544:
	s_or_b64 exec, exec, s[6:7]
	ds_write2_b64 v125, v[1:2], v[3:4] offset1:1
.LBB121_545:
	s_or_b64 exec, exec, s[8:9]
	s_waitcnt lgkmcnt(0)
	s_barrier
	ds_read2_b64 v[69:72], v125 offset1:1
	v_cmp_lt_u32_e32 vcc, 48, v0
	s_and_saveexec_b64 s[6:7], vcc
	s_cbranch_execz .LBB121_547
; %bb.546:
	buffer_load_dword v1, off, s[0:3], 0 offset:768
	buffer_load_dword v2, off, s[0:3], 0 offset:772
	;; [unrolled: 1-line block ×16, first 2 shown]
	s_waitcnt vmcnt(12) lgkmcnt(0)
	v_mul_f64 v[73:74], v[71:72], v[3:4]
	v_mul_f64 v[3:4], v[69:70], v[3:4]
	v_fma_f64 v[73:74], v[69:70], v[1:2], -v[73:74]
	v_fma_f64 v[75:76], v[71:72], v[1:2], v[3:4]
	buffer_store_dword v73, off, s[0:3], 0 offset:768
	buffer_store_dword v74, off, s[0:3], 0 offset:772
	buffer_store_dword v75, off, s[0:3], 0 offset:776
	buffer_store_dword v76, off, s[0:3], 0 offset:780
	ds_read2_b64 v[1:4], v117 offset0:98 offset1:99
	s_waitcnt lgkmcnt(0)
	v_mul_f64 v[89:90], v[3:4], v[75:76]
	v_fma_f64 v[89:90], v[1:2], v[73:74], -v[89:90]
	v_mul_f64 v[1:2], v[1:2], v[75:76]
	v_fma_f64 v[1:2], v[3:4], v[73:74], v[1:2]
	s_waitcnt vmcnt(14)
	v_add_f64 v[3:4], v[77:78], -v[89:90]
	s_waitcnt vmcnt(12)
	v_add_f64 v[1:2], v[79:80], -v[1:2]
	buffer_store_dword v3, off, s[0:3], 0 offset:784
	buffer_store_dword v4, off, s[0:3], 0 offset:788
	buffer_store_dword v1, off, s[0:3], 0 offset:792
	buffer_store_dword v2, off, s[0:3], 0 offset:796
	ds_read2_b64 v[1:4], v117 offset0:100 offset1:101
	s_waitcnt lgkmcnt(0)
	v_mul_f64 v[77:78], v[3:4], v[75:76]
	v_fma_f64 v[77:78], v[1:2], v[73:74], -v[77:78]
	v_mul_f64 v[1:2], v[1:2], v[75:76]
	v_fma_f64 v[1:2], v[3:4], v[73:74], v[1:2]
	s_waitcnt vmcnt(14)
	v_add_f64 v[3:4], v[81:82], -v[77:78]
	s_waitcnt vmcnt(12)
	v_add_f64 v[1:2], v[83:84], -v[1:2]
	buffer_store_dword v3, off, s[0:3], 0 offset:800
	buffer_store_dword v4, off, s[0:3], 0 offset:804
	buffer_store_dword v1, off, s[0:3], 0 offset:808
	buffer_store_dword v2, off, s[0:3], 0 offset:812
	ds_read2_b64 v[1:4], v117 offset0:102 offset1:103
	s_waitcnt lgkmcnt(0)
	v_mul_f64 v[77:78], v[3:4], v[75:76]
	v_fma_f64 v[77:78], v[1:2], v[73:74], -v[77:78]
	v_mul_f64 v[1:2], v[1:2], v[75:76]
	v_fma_f64 v[1:2], v[3:4], v[73:74], v[1:2]
	s_waitcnt vmcnt(14)
	v_add_f64 v[3:4], v[85:86], -v[77:78]
	s_waitcnt vmcnt(12)
	v_add_f64 v[1:2], v[87:88], -v[1:2]
	buffer_store_dword v4, off, s[0:3], 0 offset:820
	buffer_store_dword v3, off, s[0:3], 0 offset:816
	buffer_store_dword v1, off, s[0:3], 0 offset:824
	buffer_store_dword v2, off, s[0:3], 0 offset:828
	ds_read2_b64 v[1:4], v117 offset0:104 offset1:105
	s_waitcnt lgkmcnt(0)
	v_mul_f64 v[77:78], v[3:4], v[75:76]
	v_fma_f64 v[77:78], v[1:2], v[73:74], -v[77:78]
	v_mul_f64 v[1:2], v[1:2], v[75:76]
	v_fma_f64 v[1:2], v[3:4], v[73:74], v[1:2]
	buffer_load_dword v3, off, s[0:3], 0 offset:832
	buffer_load_dword v4, off, s[0:3], 0 offset:836
	buffer_load_dword v79, off, s[0:3], 0 offset:840
	buffer_load_dword v80, off, s[0:3], 0 offset:844
	s_waitcnt vmcnt(2)
	v_add_f64 v[3:4], v[3:4], -v[77:78]
	s_waitcnt vmcnt(0)
	v_add_f64 v[1:2], v[79:80], -v[1:2]
	buffer_store_dword v4, off, s[0:3], 0 offset:836
	buffer_store_dword v3, off, s[0:3], 0 offset:832
	buffer_store_dword v2, off, s[0:3], 0 offset:844
	buffer_store_dword v1, off, s[0:3], 0 offset:840
	ds_read2_b64 v[1:4], v117 offset0:106 offset1:107
	s_waitcnt lgkmcnt(0)
	v_mul_f64 v[77:78], v[3:4], v[75:76]
	v_fma_f64 v[77:78], v[1:2], v[73:74], -v[77:78]
	v_mul_f64 v[1:2], v[1:2], v[75:76]
	v_fma_f64 v[1:2], v[3:4], v[73:74], v[1:2]
	buffer_load_dword v3, off, s[0:3], 0 offset:848
	buffer_load_dword v4, off, s[0:3], 0 offset:852
	buffer_load_dword v79, off, s[0:3], 0 offset:856
	buffer_load_dword v80, off, s[0:3], 0 offset:860
	s_waitcnt vmcnt(2)
	v_add_f64 v[3:4], v[3:4], -v[77:78]
	s_waitcnt vmcnt(0)
	v_add_f64 v[1:2], v[79:80], -v[1:2]
	;; [unrolled: 18-line block ×3, first 2 shown]
	buffer_store_dword v4, off, s[0:3], 0 offset:868
	buffer_store_dword v3, off, s[0:3], 0 offset:864
	;; [unrolled: 1-line block ×4, first 2 shown]
	ds_read2_b64 v[1:4], v117 offset0:110 offset1:111
	buffer_load_dword v73, off, s[0:3], 0 offset:768
	buffer_load_dword v74, off, s[0:3], 0 offset:772
	;; [unrolled: 1-line block ×4, first 2 shown]
	s_waitcnt vmcnt(0) lgkmcnt(0)
	v_mul_f64 v[77:78], v[3:4], v[75:76]
	v_fma_f64 v[77:78], v[1:2], v[73:74], -v[77:78]
	v_mul_f64 v[1:2], v[1:2], v[75:76]
	v_fma_f64 v[1:2], v[3:4], v[73:74], v[1:2]
	buffer_load_dword v4, off, s[0:3], 0 offset:884
	buffer_load_dword v3, off, s[0:3], 0 offset:880
	s_waitcnt vmcnt(0)
	v_add_f64 v[3:4], v[3:4], -v[77:78]
	buffer_load_dword v78, off, s[0:3], 0 offset:892
	buffer_load_dword v77, off, s[0:3], 0 offset:888
	s_waitcnt vmcnt(0)
	v_add_f64 v[1:2], v[77:78], -v[1:2]
	buffer_store_dword v4, off, s[0:3], 0 offset:884
	buffer_store_dword v3, off, s[0:3], 0 offset:880
	buffer_store_dword v2, off, s[0:3], 0 offset:892
	buffer_store_dword v1, off, s[0:3], 0 offset:888
	ds_read2_b64 v[1:4], v117 offset0:112 offset1:113
	s_waitcnt lgkmcnt(0)
	v_mul_f64 v[77:78], v[3:4], v[75:76]
	v_fma_f64 v[77:78], v[1:2], v[73:74], -v[77:78]
	v_mul_f64 v[1:2], v[1:2], v[75:76]
	v_fma_f64 v[1:2], v[3:4], v[73:74], v[1:2]
	buffer_load_dword v3, off, s[0:3], 0 offset:896
	buffer_load_dword v4, off, s[0:3], 0 offset:900
	buffer_load_dword v79, off, s[0:3], 0 offset:904
	buffer_load_dword v80, off, s[0:3], 0 offset:908
	s_waitcnt vmcnt(2)
	v_add_f64 v[3:4], v[3:4], -v[77:78]
	s_waitcnt vmcnt(0)
	v_add_f64 v[1:2], v[79:80], -v[1:2]
	buffer_store_dword v4, off, s[0:3], 0 offset:900
	buffer_store_dword v3, off, s[0:3], 0 offset:896
	buffer_store_dword v2, off, s[0:3], 0 offset:908
	buffer_store_dword v1, off, s[0:3], 0 offset:904
	ds_read2_b64 v[1:4], v117 offset0:114 offset1:115
	s_waitcnt lgkmcnt(0)
	v_mul_f64 v[77:78], v[3:4], v[75:76]
	v_fma_f64 v[77:78], v[1:2], v[73:74], -v[77:78]
	v_mul_f64 v[1:2], v[1:2], v[75:76]
	v_fma_f64 v[1:2], v[3:4], v[73:74], v[1:2]
	buffer_load_dword v3, off, s[0:3], 0 offset:912
	buffer_load_dword v4, off, s[0:3], 0 offset:916
	buffer_load_dword v79, off, s[0:3], 0 offset:920
	buffer_load_dword v80, off, s[0:3], 0 offset:924
	s_waitcnt vmcnt(2)
	v_add_f64 v[3:4], v[3:4], -v[77:78]
	;; [unrolled: 18-line block ×4, first 2 shown]
	s_waitcnt vmcnt(0)
	v_add_f64 v[1:2], v[79:80], -v[1:2]
	buffer_store_dword v4, off, s[0:3], 0 offset:948
	buffer_store_dword v3, off, s[0:3], 0 offset:944
	;; [unrolled: 1-line block ×4, first 2 shown]
	ds_read2_b64 v[1:4], v117 offset0:120 offset1:121
	s_waitcnt lgkmcnt(0)
	v_mul_f64 v[77:78], v[3:4], v[75:76]
	v_fma_f64 v[77:78], v[1:2], v[73:74], -v[77:78]
	v_mul_f64 v[1:2], v[1:2], v[75:76]
	buffer_load_dword v79, off, s[0:3], 0 offset:960
	buffer_load_dword v80, off, s[0:3], 0 offset:964
	;; [unrolled: 1-line block ×4, first 2 shown]
	v_fma_f64 v[73:74], v[3:4], v[73:74], v[1:2]
	s_waitcnt vmcnt(2)
	v_add_f64 v[1:2], v[79:80], -v[77:78]
	s_waitcnt vmcnt(0)
	v_add_f64 v[3:4], v[75:76], -v[73:74]
	buffer_store_dword v2, off, s[0:3], 0 offset:964
	buffer_store_dword v1, off, s[0:3], 0 offset:960
	;; [unrolled: 1-line block ×4, first 2 shown]
.LBB121_547:
	s_or_b64 exec, exec, s[6:7]
	v_cmp_eq_u32_e32 vcc, 49, v0
	s_waitcnt vmcnt(0) lgkmcnt(0)
	s_barrier
	s_and_saveexec_b64 s[8:9], vcc
	s_cbranch_execz .LBB121_554
; %bb.548:
	v_readlane_b32 s6, v126, 19
	v_mov_b32_e32 v4, s6
	buffer_load_dword v1, v4, s[0:3], 0 offen
	buffer_load_dword v2, v4, s[0:3], 0 offen offset:4
	buffer_load_dword v3, v4, s[0:3], 0 offen offset:8
	s_nop 0
	buffer_load_dword v4, v4, s[0:3], 0 offen offset:12
	v_readlane_b32 s6, v126, 20
	s_waitcnt vmcnt(0)
	ds_write2_b64 v125, v[1:2], v[3:4] offset1:1
	v_mov_b32_e32 v4, s22
	buffer_load_dword v1, v4, s[0:3], 0 offen
	buffer_load_dword v2, v4, s[0:3], 0 offen offset:4
	buffer_load_dword v3, v4, s[0:3], 0 offen offset:8
	s_nop 0
	buffer_load_dword v4, v4, s[0:3], 0 offen offset:12
	s_waitcnt vmcnt(0)
	ds_write2_b64 v117, v[1:2], v[3:4] offset0:100 offset1:101
	v_mov_b32_e32 v4, s6
	buffer_load_dword v1, v4, s[0:3], 0 offen
	buffer_load_dword v2, v4, s[0:3], 0 offen offset:4
	buffer_load_dword v3, v4, s[0:3], 0 offen offset:8
	s_nop 0
	buffer_load_dword v4, v4, s[0:3], 0 offen offset:12
	v_readlane_b32 s6, v126, 21
	s_waitcnt vmcnt(0)
	ds_write2_b64 v117, v[1:2], v[3:4] offset0:102 offset1:103
	v_mov_b32_e32 v4, s20
	buffer_load_dword v1, v4, s[0:3], 0 offen
	buffer_load_dword v2, v4, s[0:3], 0 offen offset:4
	buffer_load_dword v3, v4, s[0:3], 0 offen offset:8
	s_nop 0
	buffer_load_dword v4, v4, s[0:3], 0 offen offset:12
	s_waitcnt vmcnt(0)
	ds_write2_b64 v117, v[1:2], v[3:4] offset0:104 offset1:105
	v_mov_b32_e32 v4, s6
	buffer_load_dword v1, v4, s[0:3], 0 offen
	buffer_load_dword v2, v4, s[0:3], 0 offen offset:4
	buffer_load_dword v3, v4, s[0:3], 0 offen offset:8
	s_nop 0
	buffer_load_dword v4, v4, s[0:3], 0 offen offset:12
	v_readlane_b32 s6, v126, 22
	s_waitcnt vmcnt(0)
	ds_write2_b64 v117, v[1:2], v[3:4] offset0:106 offset1:107
	v_mov_b32_e32 v4, s18
	buffer_load_dword v1, v4, s[0:3], 0 offen
	buffer_load_dword v2, v4, s[0:3], 0 offen offset:4
	buffer_load_dword v3, v4, s[0:3], 0 offen offset:8
	s_nop 0
	buffer_load_dword v4, v4, s[0:3], 0 offen offset:12
	s_waitcnt vmcnt(0)
	ds_write2_b64 v117, v[1:2], v[3:4] offset0:108 offset1:109
	v_mov_b32_e32 v4, s6
	buffer_load_dword v1, v4, s[0:3], 0 offen
	buffer_load_dword v2, v4, s[0:3], 0 offen offset:4
	buffer_load_dword v3, v4, s[0:3], 0 offen offset:8
	s_nop 0
	buffer_load_dword v4, v4, s[0:3], 0 offen offset:12
	;; [unrolled: 8-line block ×7, first 2 shown]
	s_waitcnt vmcnt(0)
	ds_write2_b64 v117, v[1:2], v[3:4] offset0:120 offset1:121
	ds_read2_b64 v[73:76], v125 offset1:1
	s_waitcnt lgkmcnt(0)
	v_cmp_neq_f64_e32 vcc, 0, v[73:74]
	v_cmp_neq_f64_e64 s[6:7], 0, v[75:76]
	s_or_b64 s[6:7], vcc, s[6:7]
	s_and_b64 exec, exec, s[6:7]
	s_cbranch_execz .LBB121_554
; %bb.549:
	v_cmp_ngt_f64_e64 s[6:7], |v[73:74]|, |v[75:76]|
                                        ; implicit-def: $vgpr1_vgpr2
	s_and_saveexec_b64 s[10:11], s[6:7]
	s_xor_b64 s[6:7], exec, s[10:11]
                                        ; implicit-def: $vgpr3_vgpr4
	s_cbranch_execz .LBB121_551
; %bb.550:
	v_div_scale_f64 v[1:2], s[10:11], v[75:76], v[75:76], v[73:74]
	v_rcp_f64_e32 v[3:4], v[1:2]
	v_fma_f64 v[77:78], -v[1:2], v[3:4], 1.0
	v_fma_f64 v[3:4], v[3:4], v[77:78], v[3:4]
	v_div_scale_f64 v[77:78], vcc, v[73:74], v[75:76], v[73:74]
	v_fma_f64 v[79:80], -v[1:2], v[3:4], 1.0
	v_fma_f64 v[3:4], v[3:4], v[79:80], v[3:4]
	v_mul_f64 v[79:80], v[77:78], v[3:4]
	v_fma_f64 v[1:2], -v[1:2], v[79:80], v[77:78]
	v_div_fmas_f64 v[1:2], v[1:2], v[3:4], v[79:80]
	v_div_fixup_f64 v[1:2], v[1:2], v[75:76], v[73:74]
	v_fma_f64 v[3:4], v[73:74], v[1:2], v[75:76]
	v_div_scale_f64 v[73:74], s[10:11], v[3:4], v[3:4], 1.0
	v_div_scale_f64 v[79:80], vcc, 1.0, v[3:4], 1.0
	v_rcp_f64_e32 v[75:76], v[73:74]
	v_fma_f64 v[77:78], -v[73:74], v[75:76], 1.0
	v_fma_f64 v[75:76], v[75:76], v[77:78], v[75:76]
	v_fma_f64 v[77:78], -v[73:74], v[75:76], 1.0
	v_fma_f64 v[75:76], v[75:76], v[77:78], v[75:76]
	v_mul_f64 v[77:78], v[79:80], v[75:76]
	v_fma_f64 v[73:74], -v[73:74], v[77:78], v[79:80]
	v_div_fmas_f64 v[73:74], v[73:74], v[75:76], v[77:78]
	v_div_fixup_f64 v[3:4], v[73:74], v[3:4], 1.0
                                        ; implicit-def: $vgpr73_vgpr74
	v_mul_f64 v[1:2], v[1:2], v[3:4]
	v_xor_b32_e32 v4, 0x80000000, v4
.LBB121_551:
	s_andn2_saveexec_b64 s[6:7], s[6:7]
	s_cbranch_execz .LBB121_553
; %bb.552:
	v_div_scale_f64 v[1:2], s[10:11], v[73:74], v[73:74], v[75:76]
	v_rcp_f64_e32 v[3:4], v[1:2]
	v_fma_f64 v[77:78], -v[1:2], v[3:4], 1.0
	v_fma_f64 v[3:4], v[3:4], v[77:78], v[3:4]
	v_div_scale_f64 v[77:78], vcc, v[75:76], v[73:74], v[75:76]
	v_fma_f64 v[79:80], -v[1:2], v[3:4], 1.0
	v_fma_f64 v[3:4], v[3:4], v[79:80], v[3:4]
	v_mul_f64 v[79:80], v[77:78], v[3:4]
	v_fma_f64 v[1:2], -v[1:2], v[79:80], v[77:78]
	v_div_fmas_f64 v[1:2], v[1:2], v[3:4], v[79:80]
	v_div_fixup_f64 v[3:4], v[1:2], v[73:74], v[75:76]
	v_fma_f64 v[1:2], v[75:76], v[3:4], v[73:74]
	v_div_scale_f64 v[73:74], s[10:11], v[1:2], v[1:2], 1.0
	v_div_scale_f64 v[79:80], vcc, 1.0, v[1:2], 1.0
	v_rcp_f64_e32 v[75:76], v[73:74]
	v_fma_f64 v[77:78], -v[73:74], v[75:76], 1.0
	v_fma_f64 v[75:76], v[75:76], v[77:78], v[75:76]
	v_fma_f64 v[77:78], -v[73:74], v[75:76], 1.0
	v_fma_f64 v[75:76], v[75:76], v[77:78], v[75:76]
	v_mul_f64 v[77:78], v[79:80], v[75:76]
	v_fma_f64 v[73:74], -v[73:74], v[77:78], v[79:80]
	v_div_fmas_f64 v[73:74], v[73:74], v[75:76], v[77:78]
	v_div_fixup_f64 v[1:2], v[73:74], v[1:2], 1.0
	v_mul_f64 v[3:4], v[3:4], -v[1:2]
.LBB121_553:
	s_or_b64 exec, exec, s[6:7]
	ds_write2_b64 v125, v[1:2], v[3:4] offset1:1
.LBB121_554:
	s_or_b64 exec, exec, s[8:9]
	s_waitcnt lgkmcnt(0)
	s_barrier
	ds_read2_b64 v[73:76], v125 offset1:1
	v_cmp_lt_u32_e32 vcc, 49, v0
	s_and_saveexec_b64 s[6:7], vcc
	s_cbranch_execz .LBB121_556
; %bb.555:
	buffer_load_dword v1, off, s[0:3], 0 offset:784
	buffer_load_dword v2, off, s[0:3], 0 offset:788
	;; [unrolled: 1-line block ×16, first 2 shown]
	s_waitcnt vmcnt(12) lgkmcnt(0)
	v_mul_f64 v[77:78], v[75:76], v[3:4]
	v_mul_f64 v[3:4], v[73:74], v[3:4]
	v_fma_f64 v[77:78], v[73:74], v[1:2], -v[77:78]
	v_fma_f64 v[79:80], v[75:76], v[1:2], v[3:4]
	buffer_store_dword v77, off, s[0:3], 0 offset:784
	buffer_store_dword v78, off, s[0:3], 0 offset:788
	buffer_store_dword v79, off, s[0:3], 0 offset:792
	buffer_store_dword v80, off, s[0:3], 0 offset:796
	ds_read2_b64 v[1:4], v117 offset0:100 offset1:101
	s_waitcnt lgkmcnt(0)
	v_mul_f64 v[93:94], v[3:4], v[79:80]
	v_fma_f64 v[93:94], v[1:2], v[77:78], -v[93:94]
	v_mul_f64 v[1:2], v[1:2], v[79:80]
	v_fma_f64 v[1:2], v[3:4], v[77:78], v[1:2]
	s_waitcnt vmcnt(14)
	v_add_f64 v[3:4], v[81:82], -v[93:94]
	s_waitcnt vmcnt(12)
	v_add_f64 v[1:2], v[83:84], -v[1:2]
	buffer_store_dword v3, off, s[0:3], 0 offset:800
	buffer_store_dword v4, off, s[0:3], 0 offset:804
	buffer_store_dword v1, off, s[0:3], 0 offset:808
	buffer_store_dword v2, off, s[0:3], 0 offset:812
	ds_read2_b64 v[1:4], v117 offset0:102 offset1:103
	s_waitcnt lgkmcnt(0)
	v_mul_f64 v[81:82], v[3:4], v[79:80]
	v_fma_f64 v[81:82], v[1:2], v[77:78], -v[81:82]
	v_mul_f64 v[1:2], v[1:2], v[79:80]
	v_fma_f64 v[1:2], v[3:4], v[77:78], v[1:2]
	s_waitcnt vmcnt(14)
	v_add_f64 v[3:4], v[85:86], -v[81:82]
	s_waitcnt vmcnt(12)
	v_add_f64 v[1:2], v[87:88], -v[1:2]
	;; [unrolled: 14-line block ×3, first 2 shown]
	buffer_store_dword v4, off, s[0:3], 0 offset:836
	buffer_store_dword v3, off, s[0:3], 0 offset:832
	buffer_store_dword v1, off, s[0:3], 0 offset:840
	buffer_store_dword v2, off, s[0:3], 0 offset:844
	ds_read2_b64 v[1:4], v117 offset0:106 offset1:107
	s_waitcnt lgkmcnt(0)
	v_mul_f64 v[81:82], v[3:4], v[79:80]
	v_fma_f64 v[81:82], v[1:2], v[77:78], -v[81:82]
	v_mul_f64 v[1:2], v[1:2], v[79:80]
	v_fma_f64 v[1:2], v[3:4], v[77:78], v[1:2]
	buffer_load_dword v3, off, s[0:3], 0 offset:848
	buffer_load_dword v4, off, s[0:3], 0 offset:852
	buffer_load_dword v83, off, s[0:3], 0 offset:856
	buffer_load_dword v84, off, s[0:3], 0 offset:860
	s_waitcnt vmcnt(2)
	v_add_f64 v[3:4], v[3:4], -v[81:82]
	s_waitcnt vmcnt(0)
	v_add_f64 v[1:2], v[83:84], -v[1:2]
	buffer_store_dword v4, off, s[0:3], 0 offset:852
	buffer_store_dword v3, off, s[0:3], 0 offset:848
	buffer_store_dword v2, off, s[0:3], 0 offset:860
	buffer_store_dword v1, off, s[0:3], 0 offset:856
	ds_read2_b64 v[1:4], v117 offset0:108 offset1:109
	s_waitcnt lgkmcnt(0)
	v_mul_f64 v[81:82], v[3:4], v[79:80]
	v_fma_f64 v[81:82], v[1:2], v[77:78], -v[81:82]
	v_mul_f64 v[1:2], v[1:2], v[79:80]
	v_fma_f64 v[1:2], v[3:4], v[77:78], v[1:2]
	buffer_load_dword v3, off, s[0:3], 0 offset:864
	buffer_load_dword v4, off, s[0:3], 0 offset:868
	buffer_load_dword v83, off, s[0:3], 0 offset:872
	buffer_load_dword v84, off, s[0:3], 0 offset:876
	s_waitcnt vmcnt(2)
	v_add_f64 v[3:4], v[3:4], -v[81:82]
	s_waitcnt vmcnt(0)
	v_add_f64 v[1:2], v[83:84], -v[1:2]
	;; [unrolled: 18-line block ×3, first 2 shown]
	buffer_store_dword v4, off, s[0:3], 0 offset:884
	buffer_store_dword v3, off, s[0:3], 0 offset:880
	;; [unrolled: 1-line block ×4, first 2 shown]
	ds_read2_b64 v[1:4], v117 offset0:112 offset1:113
	buffer_load_dword v77, off, s[0:3], 0 offset:784
	buffer_load_dword v78, off, s[0:3], 0 offset:788
	;; [unrolled: 1-line block ×4, first 2 shown]
	s_waitcnt vmcnt(0) lgkmcnt(0)
	v_mul_f64 v[79:80], v[3:4], v[81:82]
	v_fma_f64 v[79:80], v[1:2], v[77:78], -v[79:80]
	v_mul_f64 v[1:2], v[1:2], v[81:82]
	v_fma_f64 v[1:2], v[3:4], v[77:78], v[1:2]
	buffer_load_dword v4, off, s[0:3], 0 offset:900
	buffer_load_dword v3, off, s[0:3], 0 offset:896
	s_waitcnt vmcnt(0)
	v_add_f64 v[3:4], v[3:4], -v[79:80]
	buffer_load_dword v80, off, s[0:3], 0 offset:908
	buffer_load_dword v79, off, s[0:3], 0 offset:904
	s_waitcnt vmcnt(0)
	v_add_f64 v[1:2], v[79:80], -v[1:2]
	buffer_store_dword v4, off, s[0:3], 0 offset:900
	buffer_store_dword v3, off, s[0:3], 0 offset:896
	buffer_store_dword v2, off, s[0:3], 0 offset:908
	buffer_store_dword v1, off, s[0:3], 0 offset:904
	ds_read2_b64 v[1:4], v117 offset0:114 offset1:115
	s_waitcnt lgkmcnt(0)
	v_mul_f64 v[79:80], v[3:4], v[81:82]
	v_fma_f64 v[79:80], v[1:2], v[77:78], -v[79:80]
	v_mul_f64 v[1:2], v[1:2], v[81:82]
	v_fma_f64 v[1:2], v[3:4], v[77:78], v[1:2]
	buffer_load_dword v3, off, s[0:3], 0 offset:912
	buffer_load_dword v4, off, s[0:3], 0 offset:916
	buffer_load_dword v83, off, s[0:3], 0 offset:920
	buffer_load_dword v84, off, s[0:3], 0 offset:924
	s_waitcnt vmcnt(2)
	v_add_f64 v[3:4], v[3:4], -v[79:80]
	s_waitcnt vmcnt(0)
	v_add_f64 v[1:2], v[83:84], -v[1:2]
	buffer_store_dword v4, off, s[0:3], 0 offset:916
	buffer_store_dword v3, off, s[0:3], 0 offset:912
	buffer_store_dword v2, off, s[0:3], 0 offset:924
	buffer_store_dword v1, off, s[0:3], 0 offset:920
	ds_read2_b64 v[1:4], v117 offset0:116 offset1:117
	s_waitcnt lgkmcnt(0)
	v_mul_f64 v[79:80], v[3:4], v[81:82]
	v_fma_f64 v[79:80], v[1:2], v[77:78], -v[79:80]
	v_mul_f64 v[1:2], v[1:2], v[81:82]
	v_fma_f64 v[1:2], v[3:4], v[77:78], v[1:2]
	buffer_load_dword v3, off, s[0:3], 0 offset:928
	buffer_load_dword v4, off, s[0:3], 0 offset:932
	buffer_load_dword v83, off, s[0:3], 0 offset:936
	buffer_load_dword v84, off, s[0:3], 0 offset:940
	s_waitcnt vmcnt(2)
	v_add_f64 v[3:4], v[3:4], -v[79:80]
	;; [unrolled: 18-line block ×3, first 2 shown]
	s_waitcnt vmcnt(0)
	v_add_f64 v[1:2], v[83:84], -v[1:2]
	buffer_store_dword v4, off, s[0:3], 0 offset:948
	buffer_store_dword v3, off, s[0:3], 0 offset:944
	;; [unrolled: 1-line block ×4, first 2 shown]
	ds_read2_b64 v[1:4], v117 offset0:120 offset1:121
	s_waitcnt lgkmcnt(0)
	v_mul_f64 v[79:80], v[3:4], v[81:82]
	v_fma_f64 v[79:80], v[1:2], v[77:78], -v[79:80]
	v_mul_f64 v[1:2], v[1:2], v[81:82]
	buffer_load_dword v83, off, s[0:3], 0 offset:960
	buffer_load_dword v84, off, s[0:3], 0 offset:964
	;; [unrolled: 1-line block ×4, first 2 shown]
	v_fma_f64 v[77:78], v[3:4], v[77:78], v[1:2]
	s_waitcnt vmcnt(2)
	v_add_f64 v[1:2], v[83:84], -v[79:80]
	s_waitcnt vmcnt(0)
	v_add_f64 v[3:4], v[81:82], -v[77:78]
	buffer_store_dword v2, off, s[0:3], 0 offset:964
	buffer_store_dword v1, off, s[0:3], 0 offset:960
	;; [unrolled: 1-line block ×4, first 2 shown]
.LBB121_556:
	s_or_b64 exec, exec, s[6:7]
	v_cmp_eq_u32_e32 vcc, 50, v0
	s_waitcnt vmcnt(0) lgkmcnt(0)
	s_barrier
	s_and_saveexec_b64 s[8:9], vcc
	s_cbranch_execz .LBB121_563
; %bb.557:
	v_mov_b32_e32 v4, s22
	buffer_load_dword v1, v4, s[0:3], 0 offen
	buffer_load_dword v2, v4, s[0:3], 0 offen offset:4
	buffer_load_dword v3, v4, s[0:3], 0 offen offset:8
	s_nop 0
	buffer_load_dword v4, v4, s[0:3], 0 offen offset:12
	v_readlane_b32 s6, v126, 20
	s_waitcnt vmcnt(0)
	ds_write2_b64 v125, v[1:2], v[3:4] offset1:1
	v_mov_b32_e32 v4, s6
	buffer_load_dword v1, v4, s[0:3], 0 offen
	buffer_load_dword v2, v4, s[0:3], 0 offen offset:4
	buffer_load_dword v3, v4, s[0:3], 0 offen offset:8
	s_nop 0
	buffer_load_dword v4, v4, s[0:3], 0 offen offset:12
	v_readlane_b32 s6, v126, 21
	s_waitcnt vmcnt(0)
	ds_write2_b64 v117, v[1:2], v[3:4] offset0:102 offset1:103
	v_mov_b32_e32 v4, s20
	buffer_load_dword v1, v4, s[0:3], 0 offen
	buffer_load_dword v2, v4, s[0:3], 0 offen offset:4
	buffer_load_dword v3, v4, s[0:3], 0 offen offset:8
	s_nop 0
	buffer_load_dword v4, v4, s[0:3], 0 offen offset:12
	s_waitcnt vmcnt(0)
	ds_write2_b64 v117, v[1:2], v[3:4] offset0:104 offset1:105
	v_mov_b32_e32 v4, s6
	buffer_load_dword v1, v4, s[0:3], 0 offen
	buffer_load_dword v2, v4, s[0:3], 0 offen offset:4
	buffer_load_dword v3, v4, s[0:3], 0 offen offset:8
	s_nop 0
	buffer_load_dword v4, v4, s[0:3], 0 offen offset:12
	v_readlane_b32 s6, v126, 22
	s_waitcnt vmcnt(0)
	ds_write2_b64 v117, v[1:2], v[3:4] offset0:106 offset1:107
	v_mov_b32_e32 v4, s18
	buffer_load_dword v1, v4, s[0:3], 0 offen
	buffer_load_dword v2, v4, s[0:3], 0 offen offset:4
	buffer_load_dword v3, v4, s[0:3], 0 offen offset:8
	s_nop 0
	buffer_load_dword v4, v4, s[0:3], 0 offen offset:12
	s_waitcnt vmcnt(0)
	ds_write2_b64 v117, v[1:2], v[3:4] offset0:108 offset1:109
	v_mov_b32_e32 v4, s6
	buffer_load_dword v1, v4, s[0:3], 0 offen
	buffer_load_dword v2, v4, s[0:3], 0 offen offset:4
	buffer_load_dword v3, v4, s[0:3], 0 offen offset:8
	s_nop 0
	buffer_load_dword v4, v4, s[0:3], 0 offen offset:12
	;; [unrolled: 8-line block ×7, first 2 shown]
	s_waitcnt vmcnt(0)
	ds_write2_b64 v117, v[1:2], v[3:4] offset0:120 offset1:121
	ds_read2_b64 v[77:80], v125 offset1:1
	s_waitcnt lgkmcnt(0)
	v_cmp_neq_f64_e32 vcc, 0, v[77:78]
	v_cmp_neq_f64_e64 s[6:7], 0, v[79:80]
	s_or_b64 s[6:7], vcc, s[6:7]
	s_and_b64 exec, exec, s[6:7]
	s_cbranch_execz .LBB121_563
; %bb.558:
	v_cmp_ngt_f64_e64 s[6:7], |v[77:78]|, |v[79:80]|
                                        ; implicit-def: $vgpr1_vgpr2
	s_and_saveexec_b64 s[10:11], s[6:7]
	s_xor_b64 s[6:7], exec, s[10:11]
                                        ; implicit-def: $vgpr3_vgpr4
	s_cbranch_execz .LBB121_560
; %bb.559:
	v_div_scale_f64 v[1:2], s[10:11], v[79:80], v[79:80], v[77:78]
	v_rcp_f64_e32 v[3:4], v[1:2]
	v_fma_f64 v[81:82], -v[1:2], v[3:4], 1.0
	v_fma_f64 v[3:4], v[3:4], v[81:82], v[3:4]
	v_div_scale_f64 v[81:82], vcc, v[77:78], v[79:80], v[77:78]
	v_fma_f64 v[83:84], -v[1:2], v[3:4], 1.0
	v_fma_f64 v[3:4], v[3:4], v[83:84], v[3:4]
	v_mul_f64 v[83:84], v[81:82], v[3:4]
	v_fma_f64 v[1:2], -v[1:2], v[83:84], v[81:82]
	v_div_fmas_f64 v[1:2], v[1:2], v[3:4], v[83:84]
	v_div_fixup_f64 v[1:2], v[1:2], v[79:80], v[77:78]
	v_fma_f64 v[3:4], v[77:78], v[1:2], v[79:80]
	v_div_scale_f64 v[77:78], s[10:11], v[3:4], v[3:4], 1.0
	v_div_scale_f64 v[83:84], vcc, 1.0, v[3:4], 1.0
	v_rcp_f64_e32 v[79:80], v[77:78]
	v_fma_f64 v[81:82], -v[77:78], v[79:80], 1.0
	v_fma_f64 v[79:80], v[79:80], v[81:82], v[79:80]
	v_fma_f64 v[81:82], -v[77:78], v[79:80], 1.0
	v_fma_f64 v[79:80], v[79:80], v[81:82], v[79:80]
	v_mul_f64 v[81:82], v[83:84], v[79:80]
	v_fma_f64 v[77:78], -v[77:78], v[81:82], v[83:84]
	v_div_fmas_f64 v[77:78], v[77:78], v[79:80], v[81:82]
	v_div_fixup_f64 v[3:4], v[77:78], v[3:4], 1.0
                                        ; implicit-def: $vgpr77_vgpr78
	v_mul_f64 v[1:2], v[1:2], v[3:4]
	v_xor_b32_e32 v4, 0x80000000, v4
.LBB121_560:
	s_andn2_saveexec_b64 s[6:7], s[6:7]
	s_cbranch_execz .LBB121_562
; %bb.561:
	v_div_scale_f64 v[1:2], s[10:11], v[77:78], v[77:78], v[79:80]
	v_rcp_f64_e32 v[3:4], v[1:2]
	v_fma_f64 v[81:82], -v[1:2], v[3:4], 1.0
	v_fma_f64 v[3:4], v[3:4], v[81:82], v[3:4]
	v_div_scale_f64 v[81:82], vcc, v[79:80], v[77:78], v[79:80]
	v_fma_f64 v[83:84], -v[1:2], v[3:4], 1.0
	v_fma_f64 v[3:4], v[3:4], v[83:84], v[3:4]
	v_mul_f64 v[83:84], v[81:82], v[3:4]
	v_fma_f64 v[1:2], -v[1:2], v[83:84], v[81:82]
	v_div_fmas_f64 v[1:2], v[1:2], v[3:4], v[83:84]
	v_div_fixup_f64 v[3:4], v[1:2], v[77:78], v[79:80]
	v_fma_f64 v[1:2], v[79:80], v[3:4], v[77:78]
	v_div_scale_f64 v[77:78], s[10:11], v[1:2], v[1:2], 1.0
	v_div_scale_f64 v[83:84], vcc, 1.0, v[1:2], 1.0
	v_rcp_f64_e32 v[79:80], v[77:78]
	v_fma_f64 v[81:82], -v[77:78], v[79:80], 1.0
	v_fma_f64 v[79:80], v[79:80], v[81:82], v[79:80]
	v_fma_f64 v[81:82], -v[77:78], v[79:80], 1.0
	v_fma_f64 v[79:80], v[79:80], v[81:82], v[79:80]
	v_mul_f64 v[81:82], v[83:84], v[79:80]
	v_fma_f64 v[77:78], -v[77:78], v[81:82], v[83:84]
	v_div_fmas_f64 v[77:78], v[77:78], v[79:80], v[81:82]
	v_div_fixup_f64 v[1:2], v[77:78], v[1:2], 1.0
	v_mul_f64 v[3:4], v[3:4], -v[1:2]
.LBB121_562:
	s_or_b64 exec, exec, s[6:7]
	ds_write2_b64 v125, v[1:2], v[3:4] offset1:1
.LBB121_563:
	s_or_b64 exec, exec, s[8:9]
	s_waitcnt lgkmcnt(0)
	s_barrier
	ds_read2_b64 v[77:80], v125 offset1:1
	v_cmp_lt_u32_e32 vcc, 50, v0
	s_and_saveexec_b64 s[6:7], vcc
	s_cbranch_execz .LBB121_565
; %bb.564:
	buffer_load_dword v1, off, s[0:3], 0 offset:800
	buffer_load_dword v2, off, s[0:3], 0 offset:804
	;; [unrolled: 1-line block ×16, first 2 shown]
	s_waitcnt vmcnt(12) lgkmcnt(0)
	v_mul_f64 v[81:82], v[79:80], v[3:4]
	v_mul_f64 v[3:4], v[77:78], v[3:4]
	v_fma_f64 v[81:82], v[77:78], v[1:2], -v[81:82]
	v_fma_f64 v[83:84], v[79:80], v[1:2], v[3:4]
	buffer_store_dword v81, off, s[0:3], 0 offset:800
	buffer_store_dword v82, off, s[0:3], 0 offset:804
	buffer_store_dword v83, off, s[0:3], 0 offset:808
	buffer_store_dword v84, off, s[0:3], 0 offset:812
	ds_read2_b64 v[1:4], v117 offset0:102 offset1:103
	s_waitcnt lgkmcnt(0)
	v_mul_f64 v[97:98], v[3:4], v[83:84]
	v_fma_f64 v[97:98], v[1:2], v[81:82], -v[97:98]
	v_mul_f64 v[1:2], v[1:2], v[83:84]
	v_fma_f64 v[1:2], v[3:4], v[81:82], v[1:2]
	s_waitcnt vmcnt(14)
	v_add_f64 v[3:4], v[85:86], -v[97:98]
	s_waitcnt vmcnt(12)
	v_add_f64 v[1:2], v[87:88], -v[1:2]
	buffer_store_dword v3, off, s[0:3], 0 offset:816
	buffer_store_dword v4, off, s[0:3], 0 offset:820
	buffer_store_dword v1, off, s[0:3], 0 offset:824
	buffer_store_dword v2, off, s[0:3], 0 offset:828
	ds_read2_b64 v[1:4], v117 offset0:104 offset1:105
	s_waitcnt lgkmcnt(0)
	v_mul_f64 v[85:86], v[3:4], v[83:84]
	v_fma_f64 v[85:86], v[1:2], v[81:82], -v[85:86]
	v_mul_f64 v[1:2], v[1:2], v[83:84]
	v_fma_f64 v[1:2], v[3:4], v[81:82], v[1:2]
	s_waitcnt vmcnt(14)
	v_add_f64 v[3:4], v[89:90], -v[85:86]
	s_waitcnt vmcnt(12)
	v_add_f64 v[1:2], v[91:92], -v[1:2]
	;; [unrolled: 14-line block ×3, first 2 shown]
	buffer_store_dword v4, off, s[0:3], 0 offset:852
	buffer_store_dword v3, off, s[0:3], 0 offset:848
	buffer_store_dword v1, off, s[0:3], 0 offset:856
	buffer_store_dword v2, off, s[0:3], 0 offset:860
	ds_read2_b64 v[1:4], v117 offset0:108 offset1:109
	s_waitcnt lgkmcnt(0)
	v_mul_f64 v[85:86], v[3:4], v[83:84]
	v_fma_f64 v[85:86], v[1:2], v[81:82], -v[85:86]
	v_mul_f64 v[1:2], v[1:2], v[83:84]
	v_fma_f64 v[1:2], v[3:4], v[81:82], v[1:2]
	buffer_load_dword v3, off, s[0:3], 0 offset:864
	buffer_load_dword v4, off, s[0:3], 0 offset:868
	buffer_load_dword v87, off, s[0:3], 0 offset:872
	buffer_load_dword v88, off, s[0:3], 0 offset:876
	s_waitcnt vmcnt(2)
	v_add_f64 v[3:4], v[3:4], -v[85:86]
	s_waitcnt vmcnt(0)
	v_add_f64 v[1:2], v[87:88], -v[1:2]
	buffer_store_dword v4, off, s[0:3], 0 offset:868
	buffer_store_dword v3, off, s[0:3], 0 offset:864
	buffer_store_dword v2, off, s[0:3], 0 offset:876
	buffer_store_dword v1, off, s[0:3], 0 offset:872
	ds_read2_b64 v[1:4], v117 offset0:110 offset1:111
	s_waitcnt lgkmcnt(0)
	v_mul_f64 v[85:86], v[3:4], v[83:84]
	v_fma_f64 v[85:86], v[1:2], v[81:82], -v[85:86]
	v_mul_f64 v[1:2], v[1:2], v[83:84]
	v_fma_f64 v[1:2], v[3:4], v[81:82], v[1:2]
	buffer_load_dword v3, off, s[0:3], 0 offset:880
	buffer_load_dword v4, off, s[0:3], 0 offset:884
	buffer_load_dword v87, off, s[0:3], 0 offset:888
	buffer_load_dword v88, off, s[0:3], 0 offset:892
	s_waitcnt vmcnt(2)
	v_add_f64 v[3:4], v[3:4], -v[85:86]
	s_waitcnt vmcnt(0)
	v_add_f64 v[1:2], v[87:88], -v[1:2]
	;; [unrolled: 18-line block ×3, first 2 shown]
	buffer_store_dword v4, off, s[0:3], 0 offset:900
	buffer_store_dword v3, off, s[0:3], 0 offset:896
	buffer_store_dword v2, off, s[0:3], 0 offset:908
	buffer_store_dword v1, off, s[0:3], 0 offset:904
	ds_read2_b64 v[1:4], v117 offset0:114 offset1:115
	buffer_load_dword v81, off, s[0:3], 0 offset:800
	buffer_load_dword v82, off, s[0:3], 0 offset:804
	;; [unrolled: 1-line block ×4, first 2 shown]
	s_waitcnt vmcnt(0) lgkmcnt(0)
	v_mul_f64 v[83:84], v[3:4], v[85:86]
	v_fma_f64 v[83:84], v[1:2], v[81:82], -v[83:84]
	v_mul_f64 v[1:2], v[1:2], v[85:86]
	v_fma_f64 v[1:2], v[3:4], v[81:82], v[1:2]
	buffer_load_dword v4, off, s[0:3], 0 offset:916
	buffer_load_dword v3, off, s[0:3], 0 offset:912
	s_waitcnt vmcnt(0)
	v_add_f64 v[3:4], v[3:4], -v[83:84]
	buffer_load_dword v84, off, s[0:3], 0 offset:924
	buffer_load_dword v83, off, s[0:3], 0 offset:920
	s_waitcnt vmcnt(0)
	v_add_f64 v[1:2], v[83:84], -v[1:2]
	buffer_store_dword v4, off, s[0:3], 0 offset:916
	buffer_store_dword v3, off, s[0:3], 0 offset:912
	;; [unrolled: 1-line block ×4, first 2 shown]
	ds_read2_b64 v[1:4], v117 offset0:116 offset1:117
	s_waitcnt lgkmcnt(0)
	v_mul_f64 v[83:84], v[3:4], v[85:86]
	v_fma_f64 v[83:84], v[1:2], v[81:82], -v[83:84]
	v_mul_f64 v[1:2], v[1:2], v[85:86]
	v_fma_f64 v[1:2], v[3:4], v[81:82], v[1:2]
	buffer_load_dword v3, off, s[0:3], 0 offset:928
	buffer_load_dword v4, off, s[0:3], 0 offset:932
	;; [unrolled: 1-line block ×4, first 2 shown]
	s_waitcnt vmcnt(2)
	v_add_f64 v[3:4], v[3:4], -v[83:84]
	s_waitcnt vmcnt(0)
	v_add_f64 v[1:2], v[87:88], -v[1:2]
	buffer_store_dword v4, off, s[0:3], 0 offset:932
	buffer_store_dword v3, off, s[0:3], 0 offset:928
	;; [unrolled: 1-line block ×4, first 2 shown]
	ds_read2_b64 v[1:4], v117 offset0:118 offset1:119
	s_waitcnt lgkmcnt(0)
	v_mul_f64 v[83:84], v[3:4], v[85:86]
	v_fma_f64 v[83:84], v[1:2], v[81:82], -v[83:84]
	v_mul_f64 v[1:2], v[1:2], v[85:86]
	v_fma_f64 v[1:2], v[3:4], v[81:82], v[1:2]
	buffer_load_dword v3, off, s[0:3], 0 offset:944
	buffer_load_dword v4, off, s[0:3], 0 offset:948
	;; [unrolled: 1-line block ×4, first 2 shown]
	s_waitcnt vmcnt(2)
	v_add_f64 v[3:4], v[3:4], -v[83:84]
	s_waitcnt vmcnt(0)
	v_add_f64 v[1:2], v[87:88], -v[1:2]
	buffer_store_dword v4, off, s[0:3], 0 offset:948
	buffer_store_dword v3, off, s[0:3], 0 offset:944
	;; [unrolled: 1-line block ×4, first 2 shown]
	ds_read2_b64 v[1:4], v117 offset0:120 offset1:121
	s_waitcnt lgkmcnt(0)
	v_mul_f64 v[83:84], v[3:4], v[85:86]
	v_fma_f64 v[83:84], v[1:2], v[81:82], -v[83:84]
	v_mul_f64 v[1:2], v[1:2], v[85:86]
	buffer_load_dword v87, off, s[0:3], 0 offset:960
	buffer_load_dword v88, off, s[0:3], 0 offset:964
	;; [unrolled: 1-line block ×4, first 2 shown]
	v_fma_f64 v[81:82], v[3:4], v[81:82], v[1:2]
	s_waitcnt vmcnt(2)
	v_add_f64 v[1:2], v[87:88], -v[83:84]
	s_waitcnt vmcnt(0)
	v_add_f64 v[3:4], v[85:86], -v[81:82]
	buffer_store_dword v2, off, s[0:3], 0 offset:964
	buffer_store_dword v1, off, s[0:3], 0 offset:960
	;; [unrolled: 1-line block ×4, first 2 shown]
.LBB121_565:
	s_or_b64 exec, exec, s[6:7]
	v_cmp_eq_u32_e32 vcc, 51, v0
	s_waitcnt vmcnt(0) lgkmcnt(0)
	s_barrier
	s_and_saveexec_b64 s[8:9], vcc
	s_cbranch_execz .LBB121_572
; %bb.566:
	v_readlane_b32 s6, v126, 20
	v_mov_b32_e32 v4, s6
	buffer_load_dword v1, v4, s[0:3], 0 offen
	buffer_load_dword v2, v4, s[0:3], 0 offen offset:4
	buffer_load_dword v3, v4, s[0:3], 0 offen offset:8
	s_nop 0
	buffer_load_dword v4, v4, s[0:3], 0 offen offset:12
	v_readlane_b32 s6, v126, 21
	s_waitcnt vmcnt(0)
	ds_write2_b64 v125, v[1:2], v[3:4] offset1:1
	v_mov_b32_e32 v4, s20
	buffer_load_dword v1, v4, s[0:3], 0 offen
	buffer_load_dword v2, v4, s[0:3], 0 offen offset:4
	buffer_load_dword v3, v4, s[0:3], 0 offen offset:8
	s_nop 0
	buffer_load_dword v4, v4, s[0:3], 0 offen offset:12
	s_waitcnt vmcnt(0)
	ds_write2_b64 v117, v[1:2], v[3:4] offset0:104 offset1:105
	v_mov_b32_e32 v4, s6
	buffer_load_dword v1, v4, s[0:3], 0 offen
	buffer_load_dword v2, v4, s[0:3], 0 offen offset:4
	buffer_load_dword v3, v4, s[0:3], 0 offen offset:8
	s_nop 0
	buffer_load_dword v4, v4, s[0:3], 0 offen offset:12
	v_readlane_b32 s6, v126, 22
	s_waitcnt vmcnt(0)
	ds_write2_b64 v117, v[1:2], v[3:4] offset0:106 offset1:107
	v_mov_b32_e32 v4, s18
	buffer_load_dword v1, v4, s[0:3], 0 offen
	buffer_load_dword v2, v4, s[0:3], 0 offen offset:4
	buffer_load_dword v3, v4, s[0:3], 0 offen offset:8
	s_nop 0
	buffer_load_dword v4, v4, s[0:3], 0 offen offset:12
	s_waitcnt vmcnt(0)
	ds_write2_b64 v117, v[1:2], v[3:4] offset0:108 offset1:109
	v_mov_b32_e32 v4, s6
	buffer_load_dword v1, v4, s[0:3], 0 offen
	buffer_load_dword v2, v4, s[0:3], 0 offen offset:4
	buffer_load_dword v3, v4, s[0:3], 0 offen offset:8
	s_nop 0
	buffer_load_dword v4, v4, s[0:3], 0 offen offset:12
	;; [unrolled: 8-line block ×7, first 2 shown]
	s_waitcnt vmcnt(0)
	ds_write2_b64 v117, v[1:2], v[3:4] offset0:120 offset1:121
	ds_read2_b64 v[81:84], v125 offset1:1
	s_waitcnt lgkmcnt(0)
	v_cmp_neq_f64_e32 vcc, 0, v[81:82]
	v_cmp_neq_f64_e64 s[6:7], 0, v[83:84]
	s_or_b64 s[6:7], vcc, s[6:7]
	s_and_b64 exec, exec, s[6:7]
	s_cbranch_execz .LBB121_572
; %bb.567:
	v_cmp_ngt_f64_e64 s[6:7], |v[81:82]|, |v[83:84]|
                                        ; implicit-def: $vgpr1_vgpr2
	s_and_saveexec_b64 s[10:11], s[6:7]
	s_xor_b64 s[6:7], exec, s[10:11]
                                        ; implicit-def: $vgpr3_vgpr4
	s_cbranch_execz .LBB121_569
; %bb.568:
	v_div_scale_f64 v[1:2], s[10:11], v[83:84], v[83:84], v[81:82]
	v_rcp_f64_e32 v[3:4], v[1:2]
	v_fma_f64 v[85:86], -v[1:2], v[3:4], 1.0
	v_fma_f64 v[3:4], v[3:4], v[85:86], v[3:4]
	v_div_scale_f64 v[85:86], vcc, v[81:82], v[83:84], v[81:82]
	v_fma_f64 v[87:88], -v[1:2], v[3:4], 1.0
	v_fma_f64 v[3:4], v[3:4], v[87:88], v[3:4]
	v_mul_f64 v[87:88], v[85:86], v[3:4]
	v_fma_f64 v[1:2], -v[1:2], v[87:88], v[85:86]
	v_div_fmas_f64 v[1:2], v[1:2], v[3:4], v[87:88]
	v_div_fixup_f64 v[1:2], v[1:2], v[83:84], v[81:82]
	v_fma_f64 v[3:4], v[81:82], v[1:2], v[83:84]
	v_div_scale_f64 v[81:82], s[10:11], v[3:4], v[3:4], 1.0
	v_div_scale_f64 v[87:88], vcc, 1.0, v[3:4], 1.0
	v_rcp_f64_e32 v[83:84], v[81:82]
	v_fma_f64 v[85:86], -v[81:82], v[83:84], 1.0
	v_fma_f64 v[83:84], v[83:84], v[85:86], v[83:84]
	v_fma_f64 v[85:86], -v[81:82], v[83:84], 1.0
	v_fma_f64 v[83:84], v[83:84], v[85:86], v[83:84]
	v_mul_f64 v[85:86], v[87:88], v[83:84]
	v_fma_f64 v[81:82], -v[81:82], v[85:86], v[87:88]
	v_div_fmas_f64 v[81:82], v[81:82], v[83:84], v[85:86]
	v_div_fixup_f64 v[3:4], v[81:82], v[3:4], 1.0
                                        ; implicit-def: $vgpr81_vgpr82
	v_mul_f64 v[1:2], v[1:2], v[3:4]
	v_xor_b32_e32 v4, 0x80000000, v4
.LBB121_569:
	s_andn2_saveexec_b64 s[6:7], s[6:7]
	s_cbranch_execz .LBB121_571
; %bb.570:
	v_div_scale_f64 v[1:2], s[10:11], v[81:82], v[81:82], v[83:84]
	v_rcp_f64_e32 v[3:4], v[1:2]
	v_fma_f64 v[85:86], -v[1:2], v[3:4], 1.0
	v_fma_f64 v[3:4], v[3:4], v[85:86], v[3:4]
	v_div_scale_f64 v[85:86], vcc, v[83:84], v[81:82], v[83:84]
	v_fma_f64 v[87:88], -v[1:2], v[3:4], 1.0
	v_fma_f64 v[3:4], v[3:4], v[87:88], v[3:4]
	v_mul_f64 v[87:88], v[85:86], v[3:4]
	v_fma_f64 v[1:2], -v[1:2], v[87:88], v[85:86]
	v_div_fmas_f64 v[1:2], v[1:2], v[3:4], v[87:88]
	v_div_fixup_f64 v[3:4], v[1:2], v[81:82], v[83:84]
	v_fma_f64 v[1:2], v[83:84], v[3:4], v[81:82]
	v_div_scale_f64 v[81:82], s[10:11], v[1:2], v[1:2], 1.0
	v_div_scale_f64 v[87:88], vcc, 1.0, v[1:2], 1.0
	v_rcp_f64_e32 v[83:84], v[81:82]
	v_fma_f64 v[85:86], -v[81:82], v[83:84], 1.0
	v_fma_f64 v[83:84], v[83:84], v[85:86], v[83:84]
	v_fma_f64 v[85:86], -v[81:82], v[83:84], 1.0
	v_fma_f64 v[83:84], v[83:84], v[85:86], v[83:84]
	v_mul_f64 v[85:86], v[87:88], v[83:84]
	v_fma_f64 v[81:82], -v[81:82], v[85:86], v[87:88]
	v_div_fmas_f64 v[81:82], v[81:82], v[83:84], v[85:86]
	v_div_fixup_f64 v[1:2], v[81:82], v[1:2], 1.0
	v_mul_f64 v[3:4], v[3:4], -v[1:2]
.LBB121_571:
	s_or_b64 exec, exec, s[6:7]
	ds_write2_b64 v125, v[1:2], v[3:4] offset1:1
.LBB121_572:
	s_or_b64 exec, exec, s[8:9]
	s_waitcnt lgkmcnt(0)
	s_barrier
	ds_read2_b64 v[81:84], v125 offset1:1
	v_cmp_lt_u32_e32 vcc, 51, v0
	s_and_saveexec_b64 s[6:7], vcc
	s_cbranch_execz .LBB121_574
; %bb.573:
	buffer_load_dword v1, off, s[0:3], 0 offset:816
	buffer_load_dword v2, off, s[0:3], 0 offset:820
	;; [unrolled: 1-line block ×16, first 2 shown]
	s_waitcnt vmcnt(12) lgkmcnt(0)
	v_mul_f64 v[85:86], v[83:84], v[3:4]
	v_mul_f64 v[3:4], v[81:82], v[3:4]
	v_fma_f64 v[85:86], v[81:82], v[1:2], -v[85:86]
	v_fma_f64 v[87:88], v[83:84], v[1:2], v[3:4]
	buffer_store_dword v85, off, s[0:3], 0 offset:816
	buffer_store_dword v86, off, s[0:3], 0 offset:820
	buffer_store_dword v87, off, s[0:3], 0 offset:824
	buffer_store_dword v88, off, s[0:3], 0 offset:828
	ds_read2_b64 v[1:4], v117 offset0:104 offset1:105
	s_waitcnt lgkmcnt(0)
	v_mul_f64 v[101:102], v[3:4], v[87:88]
	v_fma_f64 v[101:102], v[1:2], v[85:86], -v[101:102]
	v_mul_f64 v[1:2], v[1:2], v[87:88]
	v_fma_f64 v[1:2], v[3:4], v[85:86], v[1:2]
	s_waitcnt vmcnt(14)
	v_add_f64 v[3:4], v[89:90], -v[101:102]
	s_waitcnt vmcnt(12)
	v_add_f64 v[1:2], v[91:92], -v[1:2]
	buffer_store_dword v3, off, s[0:3], 0 offset:832
	buffer_store_dword v4, off, s[0:3], 0 offset:836
	buffer_store_dword v1, off, s[0:3], 0 offset:840
	buffer_store_dword v2, off, s[0:3], 0 offset:844
	ds_read2_b64 v[1:4], v117 offset0:106 offset1:107
	s_waitcnt lgkmcnt(0)
	v_mul_f64 v[89:90], v[3:4], v[87:88]
	v_fma_f64 v[89:90], v[1:2], v[85:86], -v[89:90]
	v_mul_f64 v[1:2], v[1:2], v[87:88]
	v_fma_f64 v[1:2], v[3:4], v[85:86], v[1:2]
	s_waitcnt vmcnt(14)
	v_add_f64 v[3:4], v[93:94], -v[89:90]
	s_waitcnt vmcnt(12)
	v_add_f64 v[1:2], v[95:96], -v[1:2]
	;; [unrolled: 14-line block ×3, first 2 shown]
	buffer_store_dword v4, off, s[0:3], 0 offset:868
	buffer_store_dword v3, off, s[0:3], 0 offset:864
	buffer_store_dword v1, off, s[0:3], 0 offset:872
	buffer_store_dword v2, off, s[0:3], 0 offset:876
	ds_read2_b64 v[1:4], v117 offset0:110 offset1:111
	s_waitcnt lgkmcnt(0)
	v_mul_f64 v[89:90], v[3:4], v[87:88]
	v_fma_f64 v[89:90], v[1:2], v[85:86], -v[89:90]
	v_mul_f64 v[1:2], v[1:2], v[87:88]
	v_fma_f64 v[1:2], v[3:4], v[85:86], v[1:2]
	buffer_load_dword v3, off, s[0:3], 0 offset:880
	buffer_load_dword v4, off, s[0:3], 0 offset:884
	buffer_load_dword v91, off, s[0:3], 0 offset:888
	buffer_load_dword v92, off, s[0:3], 0 offset:892
	s_waitcnt vmcnt(2)
	v_add_f64 v[3:4], v[3:4], -v[89:90]
	s_waitcnt vmcnt(0)
	v_add_f64 v[1:2], v[91:92], -v[1:2]
	buffer_store_dword v4, off, s[0:3], 0 offset:884
	buffer_store_dword v3, off, s[0:3], 0 offset:880
	buffer_store_dword v2, off, s[0:3], 0 offset:892
	buffer_store_dword v1, off, s[0:3], 0 offset:888
	ds_read2_b64 v[1:4], v117 offset0:112 offset1:113
	s_waitcnt lgkmcnt(0)
	v_mul_f64 v[89:90], v[3:4], v[87:88]
	v_fma_f64 v[89:90], v[1:2], v[85:86], -v[89:90]
	v_mul_f64 v[1:2], v[1:2], v[87:88]
	v_fma_f64 v[1:2], v[3:4], v[85:86], v[1:2]
	buffer_load_dword v3, off, s[0:3], 0 offset:896
	buffer_load_dword v4, off, s[0:3], 0 offset:900
	buffer_load_dword v91, off, s[0:3], 0 offset:904
	buffer_load_dword v92, off, s[0:3], 0 offset:908
	s_waitcnt vmcnt(2)
	v_add_f64 v[3:4], v[3:4], -v[89:90]
	s_waitcnt vmcnt(0)
	v_add_f64 v[1:2], v[91:92], -v[1:2]
	;; [unrolled: 18-line block ×3, first 2 shown]
	buffer_store_dword v4, off, s[0:3], 0 offset:916
	buffer_store_dword v3, off, s[0:3], 0 offset:912
	;; [unrolled: 1-line block ×4, first 2 shown]
	ds_read2_b64 v[1:4], v117 offset0:116 offset1:117
	buffer_load_dword v85, off, s[0:3], 0 offset:816
	buffer_load_dword v86, off, s[0:3], 0 offset:820
	;; [unrolled: 1-line block ×4, first 2 shown]
	s_waitcnt vmcnt(0) lgkmcnt(0)
	v_mul_f64 v[87:88], v[3:4], v[89:90]
	v_fma_f64 v[87:88], v[1:2], v[85:86], -v[87:88]
	v_mul_f64 v[1:2], v[1:2], v[89:90]
	v_fma_f64 v[1:2], v[3:4], v[85:86], v[1:2]
	buffer_load_dword v4, off, s[0:3], 0 offset:932
	buffer_load_dword v3, off, s[0:3], 0 offset:928
	s_waitcnt vmcnt(0)
	v_add_f64 v[3:4], v[3:4], -v[87:88]
	buffer_load_dword v88, off, s[0:3], 0 offset:940
	buffer_load_dword v87, off, s[0:3], 0 offset:936
	s_waitcnt vmcnt(0)
	v_add_f64 v[1:2], v[87:88], -v[1:2]
	buffer_store_dword v4, off, s[0:3], 0 offset:932
	buffer_store_dword v3, off, s[0:3], 0 offset:928
	;; [unrolled: 1-line block ×4, first 2 shown]
	ds_read2_b64 v[1:4], v117 offset0:118 offset1:119
	s_waitcnt lgkmcnt(0)
	v_mul_f64 v[87:88], v[3:4], v[89:90]
	v_fma_f64 v[87:88], v[1:2], v[85:86], -v[87:88]
	v_mul_f64 v[1:2], v[1:2], v[89:90]
	v_fma_f64 v[1:2], v[3:4], v[85:86], v[1:2]
	buffer_load_dword v3, off, s[0:3], 0 offset:944
	buffer_load_dword v4, off, s[0:3], 0 offset:948
	;; [unrolled: 1-line block ×4, first 2 shown]
	s_waitcnt vmcnt(2)
	v_add_f64 v[3:4], v[3:4], -v[87:88]
	s_waitcnt vmcnt(0)
	v_add_f64 v[1:2], v[91:92], -v[1:2]
	buffer_store_dword v4, off, s[0:3], 0 offset:948
	buffer_store_dword v3, off, s[0:3], 0 offset:944
	;; [unrolled: 1-line block ×4, first 2 shown]
	ds_read2_b64 v[1:4], v117 offset0:120 offset1:121
	s_waitcnt lgkmcnt(0)
	v_mul_f64 v[87:88], v[3:4], v[89:90]
	v_fma_f64 v[87:88], v[1:2], v[85:86], -v[87:88]
	v_mul_f64 v[1:2], v[1:2], v[89:90]
	v_fma_f64 v[85:86], v[3:4], v[85:86], v[1:2]
	buffer_load_dword v1, off, s[0:3], 0 offset:960
	buffer_load_dword v2, off, s[0:3], 0 offset:964
	;; [unrolled: 1-line block ×4, first 2 shown]
	s_waitcnt vmcnt(2)
	v_add_f64 v[1:2], v[1:2], -v[87:88]
	s_waitcnt vmcnt(0)
	v_add_f64 v[3:4], v[3:4], -v[85:86]
	buffer_store_dword v2, off, s[0:3], 0 offset:964
	buffer_store_dword v1, off, s[0:3], 0 offset:960
	;; [unrolled: 1-line block ×4, first 2 shown]
.LBB121_574:
	s_or_b64 exec, exec, s[6:7]
	v_cmp_eq_u32_e32 vcc, 52, v0
	s_waitcnt vmcnt(0) lgkmcnt(0)
	s_barrier
	s_and_saveexec_b64 s[8:9], vcc
	s_cbranch_execz .LBB121_581
; %bb.575:
	v_mov_b32_e32 v4, s20
	buffer_load_dword v1, v4, s[0:3], 0 offen
	buffer_load_dword v2, v4, s[0:3], 0 offen offset:4
	buffer_load_dword v3, v4, s[0:3], 0 offen offset:8
	s_nop 0
	buffer_load_dword v4, v4, s[0:3], 0 offen offset:12
	v_readlane_b32 s6, v126, 21
	s_waitcnt vmcnt(0)
	ds_write2_b64 v125, v[1:2], v[3:4] offset1:1
	v_mov_b32_e32 v4, s6
	buffer_load_dword v1, v4, s[0:3], 0 offen
	buffer_load_dword v2, v4, s[0:3], 0 offen offset:4
	buffer_load_dword v3, v4, s[0:3], 0 offen offset:8
	s_nop 0
	buffer_load_dword v4, v4, s[0:3], 0 offen offset:12
	v_readlane_b32 s6, v126, 22
	s_waitcnt vmcnt(0)
	ds_write2_b64 v117, v[1:2], v[3:4] offset0:106 offset1:107
	v_mov_b32_e32 v4, s18
	buffer_load_dword v1, v4, s[0:3], 0 offen
	buffer_load_dword v2, v4, s[0:3], 0 offen offset:4
	buffer_load_dword v3, v4, s[0:3], 0 offen offset:8
	s_nop 0
	buffer_load_dword v4, v4, s[0:3], 0 offen offset:12
	s_waitcnt vmcnt(0)
	ds_write2_b64 v117, v[1:2], v[3:4] offset0:108 offset1:109
	v_mov_b32_e32 v4, s6
	buffer_load_dword v1, v4, s[0:3], 0 offen
	buffer_load_dword v2, v4, s[0:3], 0 offen offset:4
	buffer_load_dword v3, v4, s[0:3], 0 offen offset:8
	s_nop 0
	buffer_load_dword v4, v4, s[0:3], 0 offen offset:12
	;; [unrolled: 8-line block ×7, first 2 shown]
	s_waitcnt vmcnt(0)
	ds_write2_b64 v117, v[1:2], v[3:4] offset0:120 offset1:121
	ds_read2_b64 v[85:88], v125 offset1:1
	s_waitcnt lgkmcnt(0)
	v_cmp_neq_f64_e32 vcc, 0, v[85:86]
	v_cmp_neq_f64_e64 s[6:7], 0, v[87:88]
	s_or_b64 s[6:7], vcc, s[6:7]
	s_and_b64 exec, exec, s[6:7]
	s_cbranch_execz .LBB121_581
; %bb.576:
	v_cmp_ngt_f64_e64 s[6:7], |v[85:86]|, |v[87:88]|
                                        ; implicit-def: $vgpr1_vgpr2
	s_and_saveexec_b64 s[10:11], s[6:7]
	s_xor_b64 s[6:7], exec, s[10:11]
                                        ; implicit-def: $vgpr3_vgpr4
	s_cbranch_execz .LBB121_578
; %bb.577:
	v_div_scale_f64 v[1:2], s[10:11], v[87:88], v[87:88], v[85:86]
	v_rcp_f64_e32 v[3:4], v[1:2]
	v_fma_f64 v[89:90], -v[1:2], v[3:4], 1.0
	v_fma_f64 v[3:4], v[3:4], v[89:90], v[3:4]
	v_div_scale_f64 v[89:90], vcc, v[85:86], v[87:88], v[85:86]
	v_fma_f64 v[91:92], -v[1:2], v[3:4], 1.0
	v_fma_f64 v[3:4], v[3:4], v[91:92], v[3:4]
	v_mul_f64 v[91:92], v[89:90], v[3:4]
	v_fma_f64 v[1:2], -v[1:2], v[91:92], v[89:90]
	v_div_fmas_f64 v[1:2], v[1:2], v[3:4], v[91:92]
	v_div_fixup_f64 v[1:2], v[1:2], v[87:88], v[85:86]
	v_fma_f64 v[3:4], v[85:86], v[1:2], v[87:88]
	v_div_scale_f64 v[85:86], s[10:11], v[3:4], v[3:4], 1.0
	v_div_scale_f64 v[91:92], vcc, 1.0, v[3:4], 1.0
	v_rcp_f64_e32 v[87:88], v[85:86]
	v_fma_f64 v[89:90], -v[85:86], v[87:88], 1.0
	v_fma_f64 v[87:88], v[87:88], v[89:90], v[87:88]
	v_fma_f64 v[89:90], -v[85:86], v[87:88], 1.0
	v_fma_f64 v[87:88], v[87:88], v[89:90], v[87:88]
	v_mul_f64 v[89:90], v[91:92], v[87:88]
	v_fma_f64 v[85:86], -v[85:86], v[89:90], v[91:92]
	v_div_fmas_f64 v[85:86], v[85:86], v[87:88], v[89:90]
	v_div_fixup_f64 v[3:4], v[85:86], v[3:4], 1.0
                                        ; implicit-def: $vgpr85_vgpr86
	v_mul_f64 v[1:2], v[1:2], v[3:4]
	v_xor_b32_e32 v4, 0x80000000, v4
.LBB121_578:
	s_andn2_saveexec_b64 s[6:7], s[6:7]
	s_cbranch_execz .LBB121_580
; %bb.579:
	v_div_scale_f64 v[1:2], s[10:11], v[85:86], v[85:86], v[87:88]
	v_rcp_f64_e32 v[3:4], v[1:2]
	v_fma_f64 v[89:90], -v[1:2], v[3:4], 1.0
	v_fma_f64 v[3:4], v[3:4], v[89:90], v[3:4]
	v_div_scale_f64 v[89:90], vcc, v[87:88], v[85:86], v[87:88]
	v_fma_f64 v[91:92], -v[1:2], v[3:4], 1.0
	v_fma_f64 v[3:4], v[3:4], v[91:92], v[3:4]
	v_mul_f64 v[91:92], v[89:90], v[3:4]
	v_fma_f64 v[1:2], -v[1:2], v[91:92], v[89:90]
	v_div_fmas_f64 v[1:2], v[1:2], v[3:4], v[91:92]
	v_div_fixup_f64 v[3:4], v[1:2], v[85:86], v[87:88]
	v_fma_f64 v[1:2], v[87:88], v[3:4], v[85:86]
	v_div_scale_f64 v[85:86], s[10:11], v[1:2], v[1:2], 1.0
	v_div_scale_f64 v[91:92], vcc, 1.0, v[1:2], 1.0
	v_rcp_f64_e32 v[87:88], v[85:86]
	v_fma_f64 v[89:90], -v[85:86], v[87:88], 1.0
	v_fma_f64 v[87:88], v[87:88], v[89:90], v[87:88]
	v_fma_f64 v[89:90], -v[85:86], v[87:88], 1.0
	v_fma_f64 v[87:88], v[87:88], v[89:90], v[87:88]
	v_mul_f64 v[89:90], v[91:92], v[87:88]
	v_fma_f64 v[85:86], -v[85:86], v[89:90], v[91:92]
	v_div_fmas_f64 v[85:86], v[85:86], v[87:88], v[89:90]
	v_div_fixup_f64 v[1:2], v[85:86], v[1:2], 1.0
	v_mul_f64 v[3:4], v[3:4], -v[1:2]
.LBB121_580:
	s_or_b64 exec, exec, s[6:7]
	ds_write2_b64 v125, v[1:2], v[3:4] offset1:1
.LBB121_581:
	s_or_b64 exec, exec, s[8:9]
	s_waitcnt lgkmcnt(0)
	s_barrier
	ds_read2_b64 v[85:88], v125 offset1:1
	v_cmp_lt_u32_e32 vcc, 52, v0
	s_and_saveexec_b64 s[6:7], vcc
	s_cbranch_execz .LBB121_583
; %bb.582:
	buffer_load_dword v1, off, s[0:3], 0 offset:832
	buffer_load_dword v2, off, s[0:3], 0 offset:836
	;; [unrolled: 1-line block ×16, first 2 shown]
	s_waitcnt vmcnt(12) lgkmcnt(0)
	v_mul_f64 v[89:90], v[87:88], v[3:4]
	v_mul_f64 v[3:4], v[85:86], v[3:4]
	v_fma_f64 v[89:90], v[85:86], v[1:2], -v[89:90]
	v_fma_f64 v[91:92], v[87:88], v[1:2], v[3:4]
	buffer_store_dword v89, off, s[0:3], 0 offset:832
	buffer_store_dword v90, off, s[0:3], 0 offset:836
	buffer_store_dword v91, off, s[0:3], 0 offset:840
	buffer_store_dword v92, off, s[0:3], 0 offset:844
	ds_read2_b64 v[1:4], v117 offset0:106 offset1:107
	s_waitcnt lgkmcnt(0)
	v_mul_f64 v[105:106], v[3:4], v[91:92]
	v_fma_f64 v[105:106], v[1:2], v[89:90], -v[105:106]
	v_mul_f64 v[1:2], v[1:2], v[91:92]
	v_fma_f64 v[1:2], v[3:4], v[89:90], v[1:2]
	s_waitcnt vmcnt(14)
	v_add_f64 v[3:4], v[93:94], -v[105:106]
	s_waitcnt vmcnt(12)
	v_add_f64 v[1:2], v[95:96], -v[1:2]
	buffer_store_dword v3, off, s[0:3], 0 offset:848
	buffer_store_dword v4, off, s[0:3], 0 offset:852
	buffer_store_dword v1, off, s[0:3], 0 offset:856
	buffer_store_dword v2, off, s[0:3], 0 offset:860
	ds_read2_b64 v[1:4], v117 offset0:108 offset1:109
	s_waitcnt lgkmcnt(0)
	v_mul_f64 v[93:94], v[3:4], v[91:92]
	v_fma_f64 v[93:94], v[1:2], v[89:90], -v[93:94]
	v_mul_f64 v[1:2], v[1:2], v[91:92]
	v_fma_f64 v[1:2], v[3:4], v[89:90], v[1:2]
	s_waitcnt vmcnt(14)
	v_add_f64 v[3:4], v[97:98], -v[93:94]
	s_waitcnt vmcnt(12)
	v_add_f64 v[1:2], v[99:100], -v[1:2]
	;; [unrolled: 14-line block ×3, first 2 shown]
	buffer_store_dword v4, off, s[0:3], 0 offset:884
	buffer_store_dword v3, off, s[0:3], 0 offset:880
	buffer_store_dword v1, off, s[0:3], 0 offset:888
	buffer_store_dword v2, off, s[0:3], 0 offset:892
	ds_read2_b64 v[1:4], v117 offset0:112 offset1:113
	s_waitcnt lgkmcnt(0)
	v_mul_f64 v[93:94], v[3:4], v[91:92]
	v_fma_f64 v[93:94], v[1:2], v[89:90], -v[93:94]
	v_mul_f64 v[1:2], v[1:2], v[91:92]
	v_fma_f64 v[1:2], v[3:4], v[89:90], v[1:2]
	buffer_load_dword v3, off, s[0:3], 0 offset:896
	buffer_load_dword v4, off, s[0:3], 0 offset:900
	buffer_load_dword v95, off, s[0:3], 0 offset:904
	buffer_load_dword v96, off, s[0:3], 0 offset:908
	s_waitcnt vmcnt(2)
	v_add_f64 v[3:4], v[3:4], -v[93:94]
	s_waitcnt vmcnt(0)
	v_add_f64 v[1:2], v[95:96], -v[1:2]
	buffer_store_dword v4, off, s[0:3], 0 offset:900
	buffer_store_dword v3, off, s[0:3], 0 offset:896
	buffer_store_dword v2, off, s[0:3], 0 offset:908
	buffer_store_dword v1, off, s[0:3], 0 offset:904
	ds_read2_b64 v[1:4], v117 offset0:114 offset1:115
	s_waitcnt lgkmcnt(0)
	v_mul_f64 v[93:94], v[3:4], v[91:92]
	v_fma_f64 v[93:94], v[1:2], v[89:90], -v[93:94]
	v_mul_f64 v[1:2], v[1:2], v[91:92]
	v_fma_f64 v[1:2], v[3:4], v[89:90], v[1:2]
	buffer_load_dword v3, off, s[0:3], 0 offset:912
	buffer_load_dword v4, off, s[0:3], 0 offset:916
	buffer_load_dword v95, off, s[0:3], 0 offset:920
	buffer_load_dword v96, off, s[0:3], 0 offset:924
	s_waitcnt vmcnt(2)
	v_add_f64 v[3:4], v[3:4], -v[93:94]
	s_waitcnt vmcnt(0)
	v_add_f64 v[1:2], v[95:96], -v[1:2]
	;; [unrolled: 18-line block ×3, first 2 shown]
	buffer_store_dword v4, off, s[0:3], 0 offset:932
	buffer_store_dword v3, off, s[0:3], 0 offset:928
	;; [unrolled: 1-line block ×4, first 2 shown]
	ds_read2_b64 v[1:4], v117 offset0:118 offset1:119
	buffer_load_dword v89, off, s[0:3], 0 offset:832
	buffer_load_dword v90, off, s[0:3], 0 offset:836
	;; [unrolled: 1-line block ×4, first 2 shown]
	s_waitcnt vmcnt(0) lgkmcnt(0)
	v_mul_f64 v[91:92], v[3:4], v[93:94]
	v_fma_f64 v[91:92], v[1:2], v[89:90], -v[91:92]
	v_mul_f64 v[1:2], v[1:2], v[93:94]
	v_fma_f64 v[1:2], v[3:4], v[89:90], v[1:2]
	buffer_load_dword v4, off, s[0:3], 0 offset:948
	buffer_load_dword v3, off, s[0:3], 0 offset:944
	s_waitcnt vmcnt(0)
	v_add_f64 v[3:4], v[3:4], -v[91:92]
	buffer_load_dword v92, off, s[0:3], 0 offset:956
	buffer_load_dword v91, off, s[0:3], 0 offset:952
	s_waitcnt vmcnt(0)
	v_add_f64 v[1:2], v[91:92], -v[1:2]
	buffer_store_dword v4, off, s[0:3], 0 offset:948
	buffer_store_dword v3, off, s[0:3], 0 offset:944
	;; [unrolled: 1-line block ×4, first 2 shown]
	ds_read2_b64 v[1:4], v117 offset0:120 offset1:121
	s_waitcnt lgkmcnt(0)
	v_mul_f64 v[91:92], v[3:4], v[93:94]
	v_fma_f64 v[91:92], v[1:2], v[89:90], -v[91:92]
	v_mul_f64 v[1:2], v[1:2], v[93:94]
	v_fma_f64 v[89:90], v[3:4], v[89:90], v[1:2]
	buffer_load_dword v1, off, s[0:3], 0 offset:960
	buffer_load_dword v2, off, s[0:3], 0 offset:964
	;; [unrolled: 1-line block ×4, first 2 shown]
	s_waitcnt vmcnt(2)
	v_add_f64 v[1:2], v[1:2], -v[91:92]
	s_waitcnt vmcnt(0)
	v_add_f64 v[3:4], v[3:4], -v[89:90]
	buffer_store_dword v2, off, s[0:3], 0 offset:964
	buffer_store_dword v1, off, s[0:3], 0 offset:960
	;; [unrolled: 1-line block ×4, first 2 shown]
.LBB121_583:
	s_or_b64 exec, exec, s[6:7]
	v_cmp_eq_u32_e32 vcc, 53, v0
	s_waitcnt vmcnt(0) lgkmcnt(0)
	s_barrier
	s_and_saveexec_b64 s[8:9], vcc
	s_cbranch_execz .LBB121_590
; %bb.584:
	v_readlane_b32 s6, v126, 21
	v_mov_b32_e32 v4, s6
	buffer_load_dword v1, v4, s[0:3], 0 offen
	buffer_load_dword v2, v4, s[0:3], 0 offen offset:4
	buffer_load_dword v3, v4, s[0:3], 0 offen offset:8
	s_nop 0
	buffer_load_dword v4, v4, s[0:3], 0 offen offset:12
	v_readlane_b32 s6, v126, 22
	s_waitcnt vmcnt(0)
	ds_write2_b64 v125, v[1:2], v[3:4] offset1:1
	v_mov_b32_e32 v4, s18
	buffer_load_dword v1, v4, s[0:3], 0 offen
	buffer_load_dword v2, v4, s[0:3], 0 offen offset:4
	buffer_load_dword v3, v4, s[0:3], 0 offen offset:8
	s_nop 0
	buffer_load_dword v4, v4, s[0:3], 0 offen offset:12
	s_waitcnt vmcnt(0)
	ds_write2_b64 v117, v[1:2], v[3:4] offset0:108 offset1:109
	v_mov_b32_e32 v4, s6
	buffer_load_dword v1, v4, s[0:3], 0 offen
	buffer_load_dword v2, v4, s[0:3], 0 offen offset:4
	buffer_load_dword v3, v4, s[0:3], 0 offen offset:8
	s_nop 0
	buffer_load_dword v4, v4, s[0:3], 0 offen offset:12
	s_waitcnt vmcnt(0)
	ds_write2_b64 v117, v[1:2], v[3:4] offset0:110 offset1:111
	;; [unrolled: 8-line block ×7, first 2 shown]
	ds_read2_b64 v[89:92], v125 offset1:1
	s_waitcnt lgkmcnt(0)
	v_cmp_neq_f64_e32 vcc, 0, v[89:90]
	v_cmp_neq_f64_e64 s[6:7], 0, v[91:92]
	s_or_b64 s[6:7], vcc, s[6:7]
	s_and_b64 exec, exec, s[6:7]
	s_cbranch_execz .LBB121_590
; %bb.585:
	v_cmp_ngt_f64_e64 s[6:7], |v[89:90]|, |v[91:92]|
                                        ; implicit-def: $vgpr1_vgpr2
	s_and_saveexec_b64 s[10:11], s[6:7]
	s_xor_b64 s[6:7], exec, s[10:11]
                                        ; implicit-def: $vgpr3_vgpr4
	s_cbranch_execz .LBB121_587
; %bb.586:
	v_div_scale_f64 v[1:2], s[10:11], v[91:92], v[91:92], v[89:90]
	v_rcp_f64_e32 v[3:4], v[1:2]
	v_fma_f64 v[93:94], -v[1:2], v[3:4], 1.0
	v_fma_f64 v[3:4], v[3:4], v[93:94], v[3:4]
	v_div_scale_f64 v[93:94], vcc, v[89:90], v[91:92], v[89:90]
	v_fma_f64 v[95:96], -v[1:2], v[3:4], 1.0
	v_fma_f64 v[3:4], v[3:4], v[95:96], v[3:4]
	v_mul_f64 v[95:96], v[93:94], v[3:4]
	v_fma_f64 v[1:2], -v[1:2], v[95:96], v[93:94]
	v_div_fmas_f64 v[1:2], v[1:2], v[3:4], v[95:96]
	v_div_fixup_f64 v[1:2], v[1:2], v[91:92], v[89:90]
	v_fma_f64 v[3:4], v[89:90], v[1:2], v[91:92]
	v_div_scale_f64 v[89:90], s[10:11], v[3:4], v[3:4], 1.0
	v_div_scale_f64 v[95:96], vcc, 1.0, v[3:4], 1.0
	v_rcp_f64_e32 v[91:92], v[89:90]
	v_fma_f64 v[93:94], -v[89:90], v[91:92], 1.0
	v_fma_f64 v[91:92], v[91:92], v[93:94], v[91:92]
	v_fma_f64 v[93:94], -v[89:90], v[91:92], 1.0
	v_fma_f64 v[91:92], v[91:92], v[93:94], v[91:92]
	v_mul_f64 v[93:94], v[95:96], v[91:92]
	v_fma_f64 v[89:90], -v[89:90], v[93:94], v[95:96]
	v_div_fmas_f64 v[89:90], v[89:90], v[91:92], v[93:94]
	v_div_fixup_f64 v[3:4], v[89:90], v[3:4], 1.0
                                        ; implicit-def: $vgpr89_vgpr90
	v_mul_f64 v[1:2], v[1:2], v[3:4]
	v_xor_b32_e32 v4, 0x80000000, v4
.LBB121_587:
	s_andn2_saveexec_b64 s[6:7], s[6:7]
	s_cbranch_execz .LBB121_589
; %bb.588:
	v_div_scale_f64 v[1:2], s[10:11], v[89:90], v[89:90], v[91:92]
	v_rcp_f64_e32 v[3:4], v[1:2]
	v_fma_f64 v[93:94], -v[1:2], v[3:4], 1.0
	v_fma_f64 v[3:4], v[3:4], v[93:94], v[3:4]
	v_div_scale_f64 v[93:94], vcc, v[91:92], v[89:90], v[91:92]
	v_fma_f64 v[95:96], -v[1:2], v[3:4], 1.0
	v_fma_f64 v[3:4], v[3:4], v[95:96], v[3:4]
	v_mul_f64 v[95:96], v[93:94], v[3:4]
	v_fma_f64 v[1:2], -v[1:2], v[95:96], v[93:94]
	v_div_fmas_f64 v[1:2], v[1:2], v[3:4], v[95:96]
	v_div_fixup_f64 v[3:4], v[1:2], v[89:90], v[91:92]
	v_fma_f64 v[1:2], v[91:92], v[3:4], v[89:90]
	v_div_scale_f64 v[89:90], s[10:11], v[1:2], v[1:2], 1.0
	v_div_scale_f64 v[95:96], vcc, 1.0, v[1:2], 1.0
	v_rcp_f64_e32 v[91:92], v[89:90]
	v_fma_f64 v[93:94], -v[89:90], v[91:92], 1.0
	v_fma_f64 v[91:92], v[91:92], v[93:94], v[91:92]
	v_fma_f64 v[93:94], -v[89:90], v[91:92], 1.0
	v_fma_f64 v[91:92], v[91:92], v[93:94], v[91:92]
	v_mul_f64 v[93:94], v[95:96], v[91:92]
	v_fma_f64 v[89:90], -v[89:90], v[93:94], v[95:96]
	v_div_fmas_f64 v[89:90], v[89:90], v[91:92], v[93:94]
	v_div_fixup_f64 v[1:2], v[89:90], v[1:2], 1.0
	v_mul_f64 v[3:4], v[3:4], -v[1:2]
.LBB121_589:
	s_or_b64 exec, exec, s[6:7]
	ds_write2_b64 v125, v[1:2], v[3:4] offset1:1
.LBB121_590:
	s_or_b64 exec, exec, s[8:9]
	s_waitcnt lgkmcnt(0)
	s_barrier
	ds_read2_b64 v[89:92], v125 offset1:1
	v_cmp_lt_u32_e32 vcc, 53, v0
	s_and_saveexec_b64 s[6:7], vcc
	s_cbranch_execz .LBB121_592
; %bb.591:
	buffer_load_dword v1, off, s[0:3], 0 offset:848
	buffer_load_dword v2, off, s[0:3], 0 offset:852
	;; [unrolled: 1-line block ×16, first 2 shown]
	s_waitcnt vmcnt(12) lgkmcnt(0)
	v_mul_f64 v[93:94], v[91:92], v[3:4]
	v_mul_f64 v[3:4], v[89:90], v[3:4]
	v_fma_f64 v[93:94], v[89:90], v[1:2], -v[93:94]
	v_fma_f64 v[95:96], v[91:92], v[1:2], v[3:4]
	buffer_store_dword v93, off, s[0:3], 0 offset:848
	buffer_store_dword v94, off, s[0:3], 0 offset:852
	buffer_store_dword v95, off, s[0:3], 0 offset:856
	buffer_store_dword v96, off, s[0:3], 0 offset:860
	ds_read2_b64 v[1:4], v117 offset0:108 offset1:109
	s_waitcnt lgkmcnt(0)
	v_mul_f64 v[109:110], v[3:4], v[95:96]
	v_fma_f64 v[109:110], v[1:2], v[93:94], -v[109:110]
	v_mul_f64 v[1:2], v[1:2], v[95:96]
	v_fma_f64 v[1:2], v[3:4], v[93:94], v[1:2]
	s_waitcnt vmcnt(14)
	v_add_f64 v[3:4], v[97:98], -v[109:110]
	s_waitcnt vmcnt(12)
	v_add_f64 v[1:2], v[99:100], -v[1:2]
	buffer_store_dword v3, off, s[0:3], 0 offset:864
	buffer_store_dword v4, off, s[0:3], 0 offset:868
	buffer_store_dword v1, off, s[0:3], 0 offset:872
	buffer_store_dword v2, off, s[0:3], 0 offset:876
	ds_read2_b64 v[1:4], v117 offset0:110 offset1:111
	s_waitcnt lgkmcnt(0)
	v_mul_f64 v[97:98], v[3:4], v[95:96]
	v_fma_f64 v[97:98], v[1:2], v[93:94], -v[97:98]
	v_mul_f64 v[1:2], v[1:2], v[95:96]
	v_fma_f64 v[1:2], v[3:4], v[93:94], v[1:2]
	s_waitcnt vmcnt(14)
	v_add_f64 v[3:4], v[101:102], -v[97:98]
	s_waitcnt vmcnt(12)
	v_add_f64 v[1:2], v[103:104], -v[1:2]
	;; [unrolled: 14-line block ×3, first 2 shown]
	buffer_store_dword v4, off, s[0:3], 0 offset:900
	buffer_store_dword v3, off, s[0:3], 0 offset:896
	buffer_store_dword v1, off, s[0:3], 0 offset:904
	buffer_store_dword v2, off, s[0:3], 0 offset:908
	ds_read2_b64 v[1:4], v117 offset0:114 offset1:115
	s_waitcnt lgkmcnt(0)
	v_mul_f64 v[97:98], v[3:4], v[95:96]
	v_fma_f64 v[97:98], v[1:2], v[93:94], -v[97:98]
	v_mul_f64 v[1:2], v[1:2], v[95:96]
	v_fma_f64 v[1:2], v[3:4], v[93:94], v[1:2]
	buffer_load_dword v3, off, s[0:3], 0 offset:912
	buffer_load_dword v4, off, s[0:3], 0 offset:916
	buffer_load_dword v99, off, s[0:3], 0 offset:920
	buffer_load_dword v100, off, s[0:3], 0 offset:924
	s_waitcnt vmcnt(2)
	v_add_f64 v[3:4], v[3:4], -v[97:98]
	s_waitcnt vmcnt(0)
	v_add_f64 v[1:2], v[99:100], -v[1:2]
	buffer_store_dword v4, off, s[0:3], 0 offset:916
	buffer_store_dword v3, off, s[0:3], 0 offset:912
	buffer_store_dword v2, off, s[0:3], 0 offset:924
	buffer_store_dword v1, off, s[0:3], 0 offset:920
	ds_read2_b64 v[1:4], v117 offset0:116 offset1:117
	s_waitcnt lgkmcnt(0)
	v_mul_f64 v[97:98], v[3:4], v[95:96]
	v_fma_f64 v[97:98], v[1:2], v[93:94], -v[97:98]
	v_mul_f64 v[1:2], v[1:2], v[95:96]
	v_fma_f64 v[1:2], v[3:4], v[93:94], v[1:2]
	buffer_load_dword v3, off, s[0:3], 0 offset:928
	buffer_load_dword v4, off, s[0:3], 0 offset:932
	buffer_load_dword v99, off, s[0:3], 0 offset:936
	buffer_load_dword v100, off, s[0:3], 0 offset:940
	s_waitcnt vmcnt(2)
	v_add_f64 v[3:4], v[3:4], -v[97:98]
	s_waitcnt vmcnt(0)
	v_add_f64 v[1:2], v[99:100], -v[1:2]
	;; [unrolled: 18-line block ×3, first 2 shown]
	buffer_store_dword v4, off, s[0:3], 0 offset:948
	buffer_store_dword v3, off, s[0:3], 0 offset:944
	;; [unrolled: 1-line block ×4, first 2 shown]
	ds_read2_b64 v[1:4], v117 offset0:120 offset1:121
	buffer_load_dword v93, off, s[0:3], 0 offset:848
	buffer_load_dword v94, off, s[0:3], 0 offset:852
	;; [unrolled: 1-line block ×4, first 2 shown]
	s_waitcnt vmcnt(0) lgkmcnt(0)
	v_mul_f64 v[97:98], v[3:4], v[95:96]
	v_fma_f64 v[97:98], v[1:2], v[93:94], -v[97:98]
	v_mul_f64 v[1:2], v[1:2], v[95:96]
	v_fma_f64 v[1:2], v[3:4], v[93:94], v[1:2]
	buffer_load_dword v4, off, s[0:3], 0 offset:964
	buffer_load_dword v3, off, s[0:3], 0 offset:960
	;; [unrolled: 1-line block ×4, first 2 shown]
	s_waitcnt vmcnt(2)
	v_add_f64 v[3:4], v[3:4], -v[97:98]
	s_waitcnt vmcnt(0)
	v_add_f64 v[1:2], v[93:94], -v[1:2]
	buffer_store_dword v4, off, s[0:3], 0 offset:964
	buffer_store_dword v3, off, s[0:3], 0 offset:960
	;; [unrolled: 1-line block ×4, first 2 shown]
.LBB121_592:
	s_or_b64 exec, exec, s[6:7]
	v_cmp_eq_u32_e32 vcc, 54, v0
	s_waitcnt vmcnt(0) lgkmcnt(0)
	s_barrier
	s_and_saveexec_b64 s[8:9], vcc
	s_cbranch_execz .LBB121_599
; %bb.593:
	v_mov_b32_e32 v4, s18
	buffer_load_dword v1, v4, s[0:3], 0 offen
	buffer_load_dword v2, v4, s[0:3], 0 offen offset:4
	buffer_load_dword v3, v4, s[0:3], 0 offen offset:8
	s_nop 0
	buffer_load_dword v4, v4, s[0:3], 0 offen offset:12
	v_readlane_b32 s6, v126, 22
	s_waitcnt vmcnt(0)
	ds_write2_b64 v125, v[1:2], v[3:4] offset1:1
	v_mov_b32_e32 v4, s6
	buffer_load_dword v1, v4, s[0:3], 0 offen
	buffer_load_dword v2, v4, s[0:3], 0 offen offset:4
	buffer_load_dword v3, v4, s[0:3], 0 offen offset:8
	s_nop 0
	buffer_load_dword v4, v4, s[0:3], 0 offen offset:12
	s_waitcnt vmcnt(0)
	ds_write2_b64 v117, v[1:2], v[3:4] offset0:110 offset1:111
	v_mov_b32_e32 v4, s16
	buffer_load_dword v1, v4, s[0:3], 0 offen
	buffer_load_dword v2, v4, s[0:3], 0 offen offset:4
	buffer_load_dword v3, v4, s[0:3], 0 offen offset:8
	s_nop 0
	buffer_load_dword v4, v4, s[0:3], 0 offen offset:12
	s_waitcnt vmcnt(0)
	ds_write2_b64 v117, v[1:2], v[3:4] offset0:112 offset1:113
	;; [unrolled: 8-line block ×6, first 2 shown]
	ds_read2_b64 v[93:96], v125 offset1:1
	s_waitcnt lgkmcnt(0)
	v_cmp_neq_f64_e32 vcc, 0, v[93:94]
	v_cmp_neq_f64_e64 s[6:7], 0, v[95:96]
	s_or_b64 s[6:7], vcc, s[6:7]
	s_and_b64 exec, exec, s[6:7]
	s_cbranch_execz .LBB121_599
; %bb.594:
	v_cmp_ngt_f64_e64 s[6:7], |v[93:94]|, |v[95:96]|
                                        ; implicit-def: $vgpr1_vgpr2
	s_and_saveexec_b64 s[10:11], s[6:7]
	s_xor_b64 s[6:7], exec, s[10:11]
                                        ; implicit-def: $vgpr3_vgpr4
	s_cbranch_execz .LBB121_596
; %bb.595:
	v_div_scale_f64 v[1:2], s[10:11], v[95:96], v[95:96], v[93:94]
	v_rcp_f64_e32 v[3:4], v[1:2]
	v_fma_f64 v[97:98], -v[1:2], v[3:4], 1.0
	v_fma_f64 v[3:4], v[3:4], v[97:98], v[3:4]
	v_div_scale_f64 v[97:98], vcc, v[93:94], v[95:96], v[93:94]
	v_fma_f64 v[99:100], -v[1:2], v[3:4], 1.0
	v_fma_f64 v[3:4], v[3:4], v[99:100], v[3:4]
	v_mul_f64 v[99:100], v[97:98], v[3:4]
	v_fma_f64 v[1:2], -v[1:2], v[99:100], v[97:98]
	v_div_fmas_f64 v[1:2], v[1:2], v[3:4], v[99:100]
	v_div_fixup_f64 v[1:2], v[1:2], v[95:96], v[93:94]
	v_fma_f64 v[3:4], v[93:94], v[1:2], v[95:96]
	v_div_scale_f64 v[93:94], s[10:11], v[3:4], v[3:4], 1.0
	v_div_scale_f64 v[99:100], vcc, 1.0, v[3:4], 1.0
	v_rcp_f64_e32 v[95:96], v[93:94]
	v_fma_f64 v[97:98], -v[93:94], v[95:96], 1.0
	v_fma_f64 v[95:96], v[95:96], v[97:98], v[95:96]
	v_fma_f64 v[97:98], -v[93:94], v[95:96], 1.0
	v_fma_f64 v[95:96], v[95:96], v[97:98], v[95:96]
	v_mul_f64 v[97:98], v[99:100], v[95:96]
	v_fma_f64 v[93:94], -v[93:94], v[97:98], v[99:100]
	v_div_fmas_f64 v[93:94], v[93:94], v[95:96], v[97:98]
	v_div_fixup_f64 v[3:4], v[93:94], v[3:4], 1.0
                                        ; implicit-def: $vgpr93_vgpr94
	v_mul_f64 v[1:2], v[1:2], v[3:4]
	v_xor_b32_e32 v4, 0x80000000, v4
.LBB121_596:
	s_andn2_saveexec_b64 s[6:7], s[6:7]
	s_cbranch_execz .LBB121_598
; %bb.597:
	v_div_scale_f64 v[1:2], s[10:11], v[93:94], v[93:94], v[95:96]
	v_rcp_f64_e32 v[3:4], v[1:2]
	v_fma_f64 v[97:98], -v[1:2], v[3:4], 1.0
	v_fma_f64 v[3:4], v[3:4], v[97:98], v[3:4]
	v_div_scale_f64 v[97:98], vcc, v[95:96], v[93:94], v[95:96]
	v_fma_f64 v[99:100], -v[1:2], v[3:4], 1.0
	v_fma_f64 v[3:4], v[3:4], v[99:100], v[3:4]
	v_mul_f64 v[99:100], v[97:98], v[3:4]
	v_fma_f64 v[1:2], -v[1:2], v[99:100], v[97:98]
	v_div_fmas_f64 v[1:2], v[1:2], v[3:4], v[99:100]
	v_div_fixup_f64 v[3:4], v[1:2], v[93:94], v[95:96]
	v_fma_f64 v[1:2], v[95:96], v[3:4], v[93:94]
	v_div_scale_f64 v[93:94], s[10:11], v[1:2], v[1:2], 1.0
	v_div_scale_f64 v[99:100], vcc, 1.0, v[1:2], 1.0
	v_rcp_f64_e32 v[95:96], v[93:94]
	v_fma_f64 v[97:98], -v[93:94], v[95:96], 1.0
	v_fma_f64 v[95:96], v[95:96], v[97:98], v[95:96]
	v_fma_f64 v[97:98], -v[93:94], v[95:96], 1.0
	v_fma_f64 v[95:96], v[95:96], v[97:98], v[95:96]
	v_mul_f64 v[97:98], v[99:100], v[95:96]
	v_fma_f64 v[93:94], -v[93:94], v[97:98], v[99:100]
	v_div_fmas_f64 v[93:94], v[93:94], v[95:96], v[97:98]
	v_div_fixup_f64 v[1:2], v[93:94], v[1:2], 1.0
	v_mul_f64 v[3:4], v[3:4], -v[1:2]
.LBB121_598:
	s_or_b64 exec, exec, s[6:7]
	ds_write2_b64 v125, v[1:2], v[3:4] offset1:1
.LBB121_599:
	s_or_b64 exec, exec, s[8:9]
	s_waitcnt lgkmcnt(0)
	s_barrier
	ds_read2_b64 v[93:96], v125 offset1:1
	v_cmp_lt_u32_e32 vcc, 54, v0
	s_and_saveexec_b64 s[6:7], vcc
	s_cbranch_execz .LBB121_601
; %bb.600:
	buffer_load_dword v1, off, s[0:3], 0 offset:864
	buffer_load_dword v2, off, s[0:3], 0 offset:868
	;; [unrolled: 1-line block ×16, first 2 shown]
	s_waitcnt vmcnt(12) lgkmcnt(0)
	v_mul_f64 v[97:98], v[95:96], v[3:4]
	v_mul_f64 v[3:4], v[93:94], v[3:4]
	v_fma_f64 v[97:98], v[93:94], v[1:2], -v[97:98]
	v_fma_f64 v[99:100], v[95:96], v[1:2], v[3:4]
	buffer_store_dword v97, off, s[0:3], 0 offset:864
	buffer_store_dword v98, off, s[0:3], 0 offset:868
	buffer_store_dword v99, off, s[0:3], 0 offset:872
	buffer_store_dword v100, off, s[0:3], 0 offset:876
	ds_read2_b64 v[1:4], v117 offset0:110 offset1:111
	s_waitcnt lgkmcnt(0)
	v_mul_f64 v[113:114], v[3:4], v[99:100]
	v_fma_f64 v[113:114], v[1:2], v[97:98], -v[113:114]
	v_mul_f64 v[1:2], v[1:2], v[99:100]
	v_fma_f64 v[1:2], v[3:4], v[97:98], v[1:2]
	s_waitcnt vmcnt(14)
	v_add_f64 v[3:4], v[101:102], -v[113:114]
	s_waitcnt vmcnt(12)
	v_add_f64 v[1:2], v[103:104], -v[1:2]
	buffer_store_dword v3, off, s[0:3], 0 offset:880
	buffer_store_dword v4, off, s[0:3], 0 offset:884
	buffer_store_dword v1, off, s[0:3], 0 offset:888
	buffer_store_dword v2, off, s[0:3], 0 offset:892
	ds_read2_b64 v[1:4], v117 offset0:112 offset1:113
	s_waitcnt lgkmcnt(0)
	v_mul_f64 v[101:102], v[3:4], v[99:100]
	v_fma_f64 v[101:102], v[1:2], v[97:98], -v[101:102]
	v_mul_f64 v[1:2], v[1:2], v[99:100]
	v_fma_f64 v[1:2], v[3:4], v[97:98], v[1:2]
	s_waitcnt vmcnt(14)
	v_add_f64 v[3:4], v[105:106], -v[101:102]
	s_waitcnt vmcnt(12)
	v_add_f64 v[1:2], v[107:108], -v[1:2]
	;; [unrolled: 14-line block ×3, first 2 shown]
	buffer_store_dword v4, off, s[0:3], 0 offset:916
	buffer_store_dword v3, off, s[0:3], 0 offset:912
	buffer_store_dword v1, off, s[0:3], 0 offset:920
	buffer_store_dword v2, off, s[0:3], 0 offset:924
	ds_read2_b64 v[1:4], v117 offset0:116 offset1:117
	s_waitcnt lgkmcnt(0)
	v_mul_f64 v[101:102], v[3:4], v[99:100]
	v_fma_f64 v[101:102], v[1:2], v[97:98], -v[101:102]
	v_mul_f64 v[1:2], v[1:2], v[99:100]
	v_fma_f64 v[1:2], v[3:4], v[97:98], v[1:2]
	buffer_load_dword v3, off, s[0:3], 0 offset:928
	buffer_load_dword v4, off, s[0:3], 0 offset:932
	buffer_load_dword v103, off, s[0:3], 0 offset:936
	buffer_load_dword v104, off, s[0:3], 0 offset:940
	s_waitcnt vmcnt(2)
	v_add_f64 v[3:4], v[3:4], -v[101:102]
	s_waitcnt vmcnt(0)
	v_add_f64 v[1:2], v[103:104], -v[1:2]
	buffer_store_dword v4, off, s[0:3], 0 offset:932
	buffer_store_dword v3, off, s[0:3], 0 offset:928
	buffer_store_dword v2, off, s[0:3], 0 offset:940
	buffer_store_dword v1, off, s[0:3], 0 offset:936
	ds_read2_b64 v[1:4], v117 offset0:118 offset1:119
	s_waitcnt lgkmcnt(0)
	v_mul_f64 v[101:102], v[3:4], v[99:100]
	v_fma_f64 v[101:102], v[1:2], v[97:98], -v[101:102]
	v_mul_f64 v[1:2], v[1:2], v[99:100]
	v_fma_f64 v[1:2], v[3:4], v[97:98], v[1:2]
	buffer_load_dword v3, off, s[0:3], 0 offset:944
	buffer_load_dword v4, off, s[0:3], 0 offset:948
	buffer_load_dword v103, off, s[0:3], 0 offset:952
	buffer_load_dword v104, off, s[0:3], 0 offset:956
	s_waitcnt vmcnt(2)
	v_add_f64 v[3:4], v[3:4], -v[101:102]
	s_waitcnt vmcnt(0)
	v_add_f64 v[1:2], v[103:104], -v[1:2]
	;; [unrolled: 18-line block ×3, first 2 shown]
	buffer_store_dword v4, off, s[0:3], 0 offset:964
	buffer_store_dword v3, off, s[0:3], 0 offset:960
	;; [unrolled: 1-line block ×4, first 2 shown]
.LBB121_601:
	s_or_b64 exec, exec, s[6:7]
	v_cmp_eq_u32_e32 vcc, 55, v0
	s_waitcnt vmcnt(0) lgkmcnt(0)
	s_barrier
	s_and_saveexec_b64 s[8:9], vcc
	s_cbranch_execz .LBB121_608
; %bb.602:
	v_readlane_b32 s6, v126, 22
	v_mov_b32_e32 v4, s6
	buffer_load_dword v1, v4, s[0:3], 0 offen
	buffer_load_dword v2, v4, s[0:3], 0 offen offset:4
	buffer_load_dword v3, v4, s[0:3], 0 offen offset:8
	s_nop 0
	buffer_load_dword v4, v4, s[0:3], 0 offen offset:12
	s_waitcnt vmcnt(0)
	ds_write2_b64 v125, v[1:2], v[3:4] offset1:1
	v_mov_b32_e32 v4, s16
	buffer_load_dword v1, v4, s[0:3], 0 offen
	buffer_load_dword v2, v4, s[0:3], 0 offen offset:4
	buffer_load_dword v3, v4, s[0:3], 0 offen offset:8
	s_nop 0
	buffer_load_dword v4, v4, s[0:3], 0 offen offset:12
	s_waitcnt vmcnt(0)
	ds_write2_b64 v117, v[1:2], v[3:4] offset0:112 offset1:113
	v_mov_b32_e32 v4, s79
	buffer_load_dword v1, v4, s[0:3], 0 offen
	buffer_load_dword v2, v4, s[0:3], 0 offen offset:4
	buffer_load_dword v3, v4, s[0:3], 0 offen offset:8
	s_nop 0
	buffer_load_dword v4, v4, s[0:3], 0 offen offset:12
	s_waitcnt vmcnt(0)
	ds_write2_b64 v117, v[1:2], v[3:4] offset0:114 offset1:115
	v_mov_b32_e32 v4, s14
	buffer_load_dword v1, v4, s[0:3], 0 offen
	buffer_load_dword v2, v4, s[0:3], 0 offen offset:4
	buffer_load_dword v3, v4, s[0:3], 0 offen offset:8
	s_nop 0
	buffer_load_dword v4, v4, s[0:3], 0 offen offset:12
	s_waitcnt vmcnt(0)
	ds_write2_b64 v117, v[1:2], v[3:4] offset0:116 offset1:117
	v_mov_b32_e32 v4, s42
	buffer_load_dword v1, v4, s[0:3], 0 offen
	buffer_load_dword v2, v4, s[0:3], 0 offen offset:4
	buffer_load_dword v3, v4, s[0:3], 0 offen offset:8
	s_nop 0
	buffer_load_dword v4, v4, s[0:3], 0 offen offset:12
	s_waitcnt vmcnt(0)
	ds_write2_b64 v117, v[1:2], v[3:4] offset0:118 offset1:119
	v_mov_b32_e32 v4, s71
	buffer_load_dword v1, v4, s[0:3], 0 offen
	buffer_load_dword v2, v4, s[0:3], 0 offen offset:4
	buffer_load_dword v3, v4, s[0:3], 0 offen offset:8
	s_nop 0
	buffer_load_dword v4, v4, s[0:3], 0 offen offset:12
	s_waitcnt vmcnt(0)
	ds_write2_b64 v117, v[1:2], v[3:4] offset0:120 offset1:121
	ds_read2_b64 v[97:100], v125 offset1:1
	s_waitcnt lgkmcnt(0)
	v_cmp_neq_f64_e32 vcc, 0, v[97:98]
	v_cmp_neq_f64_e64 s[6:7], 0, v[99:100]
	s_or_b64 s[6:7], vcc, s[6:7]
	s_and_b64 exec, exec, s[6:7]
	s_cbranch_execz .LBB121_608
; %bb.603:
	v_cmp_ngt_f64_e64 s[6:7], |v[97:98]|, |v[99:100]|
                                        ; implicit-def: $vgpr1_vgpr2
	s_and_saveexec_b64 s[10:11], s[6:7]
	s_xor_b64 s[6:7], exec, s[10:11]
                                        ; implicit-def: $vgpr3_vgpr4
	s_cbranch_execz .LBB121_605
; %bb.604:
	v_div_scale_f64 v[1:2], s[10:11], v[99:100], v[99:100], v[97:98]
	v_rcp_f64_e32 v[3:4], v[1:2]
	v_fma_f64 v[101:102], -v[1:2], v[3:4], 1.0
	v_fma_f64 v[3:4], v[3:4], v[101:102], v[3:4]
	v_div_scale_f64 v[101:102], vcc, v[97:98], v[99:100], v[97:98]
	v_fma_f64 v[103:104], -v[1:2], v[3:4], 1.0
	v_fma_f64 v[3:4], v[3:4], v[103:104], v[3:4]
	v_mul_f64 v[103:104], v[101:102], v[3:4]
	v_fma_f64 v[1:2], -v[1:2], v[103:104], v[101:102]
	v_div_fmas_f64 v[1:2], v[1:2], v[3:4], v[103:104]
	v_div_fixup_f64 v[1:2], v[1:2], v[99:100], v[97:98]
	v_fma_f64 v[3:4], v[97:98], v[1:2], v[99:100]
	v_div_scale_f64 v[97:98], s[10:11], v[3:4], v[3:4], 1.0
	v_div_scale_f64 v[103:104], vcc, 1.0, v[3:4], 1.0
	v_rcp_f64_e32 v[99:100], v[97:98]
	v_fma_f64 v[101:102], -v[97:98], v[99:100], 1.0
	v_fma_f64 v[99:100], v[99:100], v[101:102], v[99:100]
	v_fma_f64 v[101:102], -v[97:98], v[99:100], 1.0
	v_fma_f64 v[99:100], v[99:100], v[101:102], v[99:100]
	v_mul_f64 v[101:102], v[103:104], v[99:100]
	v_fma_f64 v[97:98], -v[97:98], v[101:102], v[103:104]
	v_div_fmas_f64 v[97:98], v[97:98], v[99:100], v[101:102]
	v_div_fixup_f64 v[3:4], v[97:98], v[3:4], 1.0
                                        ; implicit-def: $vgpr97_vgpr98
	v_mul_f64 v[1:2], v[1:2], v[3:4]
	v_xor_b32_e32 v4, 0x80000000, v4
.LBB121_605:
	s_andn2_saveexec_b64 s[6:7], s[6:7]
	s_cbranch_execz .LBB121_607
; %bb.606:
	v_div_scale_f64 v[1:2], s[10:11], v[97:98], v[97:98], v[99:100]
	v_rcp_f64_e32 v[3:4], v[1:2]
	v_fma_f64 v[101:102], -v[1:2], v[3:4], 1.0
	v_fma_f64 v[3:4], v[3:4], v[101:102], v[3:4]
	v_div_scale_f64 v[101:102], vcc, v[99:100], v[97:98], v[99:100]
	v_fma_f64 v[103:104], -v[1:2], v[3:4], 1.0
	v_fma_f64 v[3:4], v[3:4], v[103:104], v[3:4]
	v_mul_f64 v[103:104], v[101:102], v[3:4]
	v_fma_f64 v[1:2], -v[1:2], v[103:104], v[101:102]
	v_div_fmas_f64 v[1:2], v[1:2], v[3:4], v[103:104]
	v_div_fixup_f64 v[3:4], v[1:2], v[97:98], v[99:100]
	v_fma_f64 v[1:2], v[99:100], v[3:4], v[97:98]
	v_div_scale_f64 v[97:98], s[10:11], v[1:2], v[1:2], 1.0
	v_div_scale_f64 v[103:104], vcc, 1.0, v[1:2], 1.0
	v_rcp_f64_e32 v[99:100], v[97:98]
	v_fma_f64 v[101:102], -v[97:98], v[99:100], 1.0
	v_fma_f64 v[99:100], v[99:100], v[101:102], v[99:100]
	v_fma_f64 v[101:102], -v[97:98], v[99:100], 1.0
	v_fma_f64 v[99:100], v[99:100], v[101:102], v[99:100]
	v_mul_f64 v[101:102], v[103:104], v[99:100]
	v_fma_f64 v[97:98], -v[97:98], v[101:102], v[103:104]
	v_div_fmas_f64 v[97:98], v[97:98], v[99:100], v[101:102]
	v_div_fixup_f64 v[1:2], v[97:98], v[1:2], 1.0
	v_mul_f64 v[3:4], v[3:4], -v[1:2]
.LBB121_607:
	s_or_b64 exec, exec, s[6:7]
	ds_write2_b64 v125, v[1:2], v[3:4] offset1:1
.LBB121_608:
	s_or_b64 exec, exec, s[8:9]
	s_waitcnt lgkmcnt(0)
	s_barrier
	ds_read2_b64 v[97:100], v125 offset1:1
	v_cmp_lt_u32_e32 vcc, 55, v0
	s_and_saveexec_b64 s[6:7], vcc
	s_cbranch_execz .LBB121_610
; %bb.609:
	buffer_load_dword v1, off, s[0:3], 0 offset:880
	buffer_load_dword v2, off, s[0:3], 0 offset:884
	;; [unrolled: 1-line block ×16, first 2 shown]
	s_waitcnt vmcnt(12) lgkmcnt(0)
	v_mul_f64 v[113:114], v[99:100], v[3:4]
	v_mul_f64 v[3:4], v[97:98], v[3:4]
	v_fma_f64 v[113:114], v[97:98], v[1:2], -v[113:114]
	v_fma_f64 v[115:116], v[99:100], v[1:2], v[3:4]
	buffer_store_dword v113, off, s[0:3], 0 offset:880
	buffer_store_dword v114, off, s[0:3], 0 offset:884
	buffer_store_dword v115, off, s[0:3], 0 offset:888
	buffer_store_dword v116, off, s[0:3], 0 offset:892
	ds_read2_b64 v[1:4], v117 offset0:112 offset1:113
	s_waitcnt lgkmcnt(0)
	v_mul_f64 v[118:119], v[3:4], v[115:116]
	v_fma_f64 v[118:119], v[1:2], v[113:114], -v[118:119]
	v_mul_f64 v[1:2], v[1:2], v[115:116]
	v_fma_f64 v[1:2], v[3:4], v[113:114], v[1:2]
	s_waitcnt vmcnt(14)
	v_add_f64 v[3:4], v[101:102], -v[118:119]
	s_waitcnt vmcnt(12)
	v_add_f64 v[1:2], v[103:104], -v[1:2]
	buffer_store_dword v3, off, s[0:3], 0 offset:896
	buffer_store_dword v4, off, s[0:3], 0 offset:900
	buffer_store_dword v1, off, s[0:3], 0 offset:904
	buffer_store_dword v2, off, s[0:3], 0 offset:908
	ds_read2_b64 v[1:4], v117 offset0:114 offset1:115
	s_waitcnt lgkmcnt(0)
	v_mul_f64 v[101:102], v[3:4], v[115:116]
	v_fma_f64 v[101:102], v[1:2], v[113:114], -v[101:102]
	v_mul_f64 v[1:2], v[1:2], v[115:116]
	v_fma_f64 v[1:2], v[3:4], v[113:114], v[1:2]
	s_waitcnt vmcnt(14)
	v_add_f64 v[3:4], v[105:106], -v[101:102]
	s_waitcnt vmcnt(12)
	v_add_f64 v[1:2], v[107:108], -v[1:2]
	;; [unrolled: 14-line block ×3, first 2 shown]
	buffer_store_dword v4, off, s[0:3], 0 offset:932
	buffer_store_dword v3, off, s[0:3], 0 offset:928
	;; [unrolled: 1-line block ×4, first 2 shown]
	ds_read2_b64 v[1:4], v117 offset0:118 offset1:119
	s_waitcnt lgkmcnt(0)
	v_mul_f64 v[101:102], v[3:4], v[115:116]
	v_fma_f64 v[101:102], v[1:2], v[113:114], -v[101:102]
	v_mul_f64 v[1:2], v[1:2], v[115:116]
	v_fma_f64 v[1:2], v[3:4], v[113:114], v[1:2]
	buffer_load_dword v3, off, s[0:3], 0 offset:944
	buffer_load_dword v4, off, s[0:3], 0 offset:948
	;; [unrolled: 1-line block ×4, first 2 shown]
	s_waitcnt vmcnt(2)
	v_add_f64 v[3:4], v[3:4], -v[101:102]
	s_waitcnt vmcnt(0)
	v_add_f64 v[1:2], v[103:104], -v[1:2]
	buffer_store_dword v4, off, s[0:3], 0 offset:948
	buffer_store_dword v3, off, s[0:3], 0 offset:944
	;; [unrolled: 1-line block ×4, first 2 shown]
	ds_read2_b64 v[1:4], v117 offset0:120 offset1:121
	s_waitcnt lgkmcnt(0)
	v_mul_f64 v[101:102], v[3:4], v[115:116]
	v_fma_f64 v[101:102], v[1:2], v[113:114], -v[101:102]
	v_mul_f64 v[1:2], v[1:2], v[115:116]
	v_fma_f64 v[1:2], v[3:4], v[113:114], v[1:2]
	buffer_load_dword v3, off, s[0:3], 0 offset:960
	buffer_load_dword v4, off, s[0:3], 0 offset:964
	;; [unrolled: 1-line block ×4, first 2 shown]
	s_waitcnt vmcnt(2)
	v_add_f64 v[3:4], v[3:4], -v[101:102]
	s_waitcnt vmcnt(0)
	v_add_f64 v[1:2], v[103:104], -v[1:2]
	buffer_store_dword v4, off, s[0:3], 0 offset:964
	buffer_store_dword v3, off, s[0:3], 0 offset:960
	;; [unrolled: 1-line block ×4, first 2 shown]
.LBB121_610:
	s_or_b64 exec, exec, s[6:7]
	v_cmp_eq_u32_e32 vcc, 56, v0
	s_waitcnt vmcnt(0) lgkmcnt(0)
	s_barrier
	s_and_saveexec_b64 s[8:9], vcc
	s_cbranch_execz .LBB121_617
; %bb.611:
	v_mov_b32_e32 v4, s16
	buffer_load_dword v1, v4, s[0:3], 0 offen
	buffer_load_dword v2, v4, s[0:3], 0 offen offset:4
	buffer_load_dword v3, v4, s[0:3], 0 offen offset:8
	s_nop 0
	buffer_load_dword v4, v4, s[0:3], 0 offen offset:12
	s_waitcnt vmcnt(0)
	ds_write2_b64 v125, v[1:2], v[3:4] offset1:1
	v_mov_b32_e32 v4, s79
	buffer_load_dword v1, v4, s[0:3], 0 offen
	buffer_load_dword v2, v4, s[0:3], 0 offen offset:4
	buffer_load_dword v3, v4, s[0:3], 0 offen offset:8
	s_nop 0
	buffer_load_dword v4, v4, s[0:3], 0 offen offset:12
	s_waitcnt vmcnt(0)
	ds_write2_b64 v117, v[1:2], v[3:4] offset0:114 offset1:115
	v_mov_b32_e32 v4, s14
	buffer_load_dword v1, v4, s[0:3], 0 offen
	buffer_load_dword v2, v4, s[0:3], 0 offen offset:4
	buffer_load_dword v3, v4, s[0:3], 0 offen offset:8
	s_nop 0
	buffer_load_dword v4, v4, s[0:3], 0 offen offset:12
	s_waitcnt vmcnt(0)
	ds_write2_b64 v117, v[1:2], v[3:4] offset0:116 offset1:117
	v_mov_b32_e32 v4, s42
	buffer_load_dword v1, v4, s[0:3], 0 offen
	buffer_load_dword v2, v4, s[0:3], 0 offen offset:4
	buffer_load_dword v3, v4, s[0:3], 0 offen offset:8
	s_nop 0
	buffer_load_dword v4, v4, s[0:3], 0 offen offset:12
	s_waitcnt vmcnt(0)
	ds_write2_b64 v117, v[1:2], v[3:4] offset0:118 offset1:119
	v_mov_b32_e32 v4, s71
	buffer_load_dword v1, v4, s[0:3], 0 offen
	buffer_load_dword v2, v4, s[0:3], 0 offen offset:4
	buffer_load_dword v3, v4, s[0:3], 0 offen offset:8
	s_nop 0
	buffer_load_dword v4, v4, s[0:3], 0 offen offset:12
	s_waitcnt vmcnt(0)
	ds_write2_b64 v117, v[1:2], v[3:4] offset0:120 offset1:121
	ds_read2_b64 v[101:104], v125 offset1:1
	s_waitcnt lgkmcnt(0)
	v_cmp_neq_f64_e32 vcc, 0, v[101:102]
	v_cmp_neq_f64_e64 s[6:7], 0, v[103:104]
	s_or_b64 s[6:7], vcc, s[6:7]
	s_and_b64 exec, exec, s[6:7]
	s_cbranch_execz .LBB121_617
; %bb.612:
	v_cmp_ngt_f64_e64 s[6:7], |v[101:102]|, |v[103:104]|
                                        ; implicit-def: $vgpr1_vgpr2
	s_and_saveexec_b64 s[10:11], s[6:7]
	s_xor_b64 s[6:7], exec, s[10:11]
                                        ; implicit-def: $vgpr3_vgpr4
	s_cbranch_execz .LBB121_614
; %bb.613:
	v_div_scale_f64 v[1:2], s[10:11], v[103:104], v[103:104], v[101:102]
	v_rcp_f64_e32 v[3:4], v[1:2]
	v_fma_f64 v[105:106], -v[1:2], v[3:4], 1.0
	v_fma_f64 v[3:4], v[3:4], v[105:106], v[3:4]
	v_div_scale_f64 v[105:106], vcc, v[101:102], v[103:104], v[101:102]
	v_fma_f64 v[107:108], -v[1:2], v[3:4], 1.0
	v_fma_f64 v[3:4], v[3:4], v[107:108], v[3:4]
	v_mul_f64 v[107:108], v[105:106], v[3:4]
	v_fma_f64 v[1:2], -v[1:2], v[107:108], v[105:106]
	v_div_fmas_f64 v[1:2], v[1:2], v[3:4], v[107:108]
	v_div_fixup_f64 v[1:2], v[1:2], v[103:104], v[101:102]
	v_fma_f64 v[3:4], v[101:102], v[1:2], v[103:104]
	v_div_scale_f64 v[101:102], s[10:11], v[3:4], v[3:4], 1.0
	v_div_scale_f64 v[107:108], vcc, 1.0, v[3:4], 1.0
	v_rcp_f64_e32 v[103:104], v[101:102]
	v_fma_f64 v[105:106], -v[101:102], v[103:104], 1.0
	v_fma_f64 v[103:104], v[103:104], v[105:106], v[103:104]
	v_fma_f64 v[105:106], -v[101:102], v[103:104], 1.0
	v_fma_f64 v[103:104], v[103:104], v[105:106], v[103:104]
	v_mul_f64 v[105:106], v[107:108], v[103:104]
	v_fma_f64 v[101:102], -v[101:102], v[105:106], v[107:108]
	v_div_fmas_f64 v[101:102], v[101:102], v[103:104], v[105:106]
	v_div_fixup_f64 v[3:4], v[101:102], v[3:4], 1.0
                                        ; implicit-def: $vgpr101_vgpr102
	v_mul_f64 v[1:2], v[1:2], v[3:4]
	v_xor_b32_e32 v4, 0x80000000, v4
.LBB121_614:
	s_andn2_saveexec_b64 s[6:7], s[6:7]
	s_cbranch_execz .LBB121_616
; %bb.615:
	v_div_scale_f64 v[1:2], s[10:11], v[101:102], v[101:102], v[103:104]
	v_rcp_f64_e32 v[3:4], v[1:2]
	v_fma_f64 v[105:106], -v[1:2], v[3:4], 1.0
	v_fma_f64 v[3:4], v[3:4], v[105:106], v[3:4]
	v_div_scale_f64 v[105:106], vcc, v[103:104], v[101:102], v[103:104]
	v_fma_f64 v[107:108], -v[1:2], v[3:4], 1.0
	v_fma_f64 v[3:4], v[3:4], v[107:108], v[3:4]
	v_mul_f64 v[107:108], v[105:106], v[3:4]
	v_fma_f64 v[1:2], -v[1:2], v[107:108], v[105:106]
	v_div_fmas_f64 v[1:2], v[1:2], v[3:4], v[107:108]
	v_div_fixup_f64 v[3:4], v[1:2], v[101:102], v[103:104]
	v_fma_f64 v[1:2], v[103:104], v[3:4], v[101:102]
	v_div_scale_f64 v[101:102], s[10:11], v[1:2], v[1:2], 1.0
	v_div_scale_f64 v[107:108], vcc, 1.0, v[1:2], 1.0
	v_rcp_f64_e32 v[103:104], v[101:102]
	v_fma_f64 v[105:106], -v[101:102], v[103:104], 1.0
	v_fma_f64 v[103:104], v[103:104], v[105:106], v[103:104]
	v_fma_f64 v[105:106], -v[101:102], v[103:104], 1.0
	v_fma_f64 v[103:104], v[103:104], v[105:106], v[103:104]
	v_mul_f64 v[105:106], v[107:108], v[103:104]
	v_fma_f64 v[101:102], -v[101:102], v[105:106], v[107:108]
	v_div_fmas_f64 v[101:102], v[101:102], v[103:104], v[105:106]
	v_div_fixup_f64 v[1:2], v[101:102], v[1:2], 1.0
	v_mul_f64 v[3:4], v[3:4], -v[1:2]
.LBB121_616:
	s_or_b64 exec, exec, s[6:7]
	ds_write2_b64 v125, v[1:2], v[3:4] offset1:1
.LBB121_617:
	s_or_b64 exec, exec, s[8:9]
	s_waitcnt lgkmcnt(0)
	s_barrier
	ds_read2_b64 v[101:104], v125 offset1:1
	v_cmp_lt_u32_e32 vcc, 56, v0
	s_and_saveexec_b64 s[6:7], vcc
	s_cbranch_execz .LBB121_619
; %bb.618:
	buffer_load_dword v1, off, s[0:3], 0 offset:896
	buffer_load_dword v2, off, s[0:3], 0 offset:900
	;; [unrolled: 1-line block ×16, first 2 shown]
	s_waitcnt vmcnt(12) lgkmcnt(0)
	v_mul_f64 v[118:119], v[103:104], v[3:4]
	v_mul_f64 v[3:4], v[101:102], v[3:4]
	v_fma_f64 v[118:119], v[101:102], v[1:2], -v[118:119]
	v_fma_f64 v[5:6], v[103:104], v[1:2], v[3:4]
	buffer_store_dword v118, off, s[0:3], 0 offset:896
	buffer_store_dword v119, off, s[0:3], 0 offset:900
	buffer_store_dword v5, off, s[0:3], 0 offset:904
	buffer_store_dword v6, off, s[0:3], 0 offset:908
	ds_read2_b64 v[1:4], v117 offset0:114 offset1:115
	s_waitcnt lgkmcnt(0)
	v_mul_f64 v[7:8], v[3:4], v[5:6]
	v_fma_f64 v[7:8], v[1:2], v[118:119], -v[7:8]
	v_mul_f64 v[1:2], v[1:2], v[5:6]
	v_fma_f64 v[1:2], v[3:4], v[118:119], v[1:2]
	s_waitcnt vmcnt(14)
	v_add_f64 v[3:4], v[105:106], -v[7:8]
	s_waitcnt vmcnt(12)
	v_add_f64 v[1:2], v[107:108], -v[1:2]
	buffer_store_dword v3, off, s[0:3], 0 offset:912
	buffer_store_dword v4, off, s[0:3], 0 offset:916
	buffer_store_dword v1, off, s[0:3], 0 offset:920
	buffer_store_dword v2, off, s[0:3], 0 offset:924
	ds_read2_b64 v[1:4], v117 offset0:116 offset1:117
	s_waitcnt lgkmcnt(0)
	v_mul_f64 v[7:8], v[3:4], v[5:6]
	v_fma_f64 v[7:8], v[1:2], v[118:119], -v[7:8]
	v_mul_f64 v[1:2], v[1:2], v[5:6]
	v_fma_f64 v[1:2], v[3:4], v[118:119], v[1:2]
	s_waitcnt vmcnt(14)
	v_add_f64 v[3:4], v[109:110], -v[7:8]
	s_waitcnt vmcnt(12)
	v_add_f64 v[1:2], v[111:112], -v[1:2]
	;; [unrolled: 14-line block ×3, first 2 shown]
	buffer_store_dword v4, off, s[0:3], 0 offset:948
	buffer_store_dword v3, off, s[0:3], 0 offset:944
	buffer_store_dword v1, off, s[0:3], 0 offset:952
	buffer_store_dword v2, off, s[0:3], 0 offset:956
	ds_read2_b64 v[1:4], v117 offset0:120 offset1:121
	s_waitcnt lgkmcnt(0)
	v_mul_f64 v[7:8], v[3:4], v[5:6]
	v_fma_f64 v[107:108], v[1:2], v[118:119], -v[7:8]
	v_mul_f64 v[1:2], v[1:2], v[5:6]
	v_fma_f64 v[105:106], v[3:4], v[118:119], v[1:2]
	buffer_load_dword v1, off, s[0:3], 0 offset:960
	buffer_load_dword v2, off, s[0:3], 0 offset:964
	;; [unrolled: 1-line block ×4, first 2 shown]
	s_waitcnt vmcnt(2)
	v_add_f64 v[1:2], v[1:2], -v[107:108]
	s_waitcnt vmcnt(0)
	v_add_f64 v[3:4], v[3:4], -v[105:106]
	buffer_store_dword v2, off, s[0:3], 0 offset:964
	buffer_store_dword v1, off, s[0:3], 0 offset:960
	buffer_store_dword v4, off, s[0:3], 0 offset:972
	buffer_store_dword v3, off, s[0:3], 0 offset:968
.LBB121_619:
	s_or_b64 exec, exec, s[6:7]
	v_cmp_eq_u32_e32 vcc, 57, v0
	s_waitcnt vmcnt(0) lgkmcnt(0)
	s_barrier
	s_and_saveexec_b64 s[8:9], vcc
	s_cbranch_execz .LBB121_626
; %bb.620:
	v_mov_b32_e32 v4, s79
	buffer_load_dword v1, v4, s[0:3], 0 offen
	buffer_load_dword v2, v4, s[0:3], 0 offen offset:4
	buffer_load_dword v3, v4, s[0:3], 0 offen offset:8
	s_nop 0
	buffer_load_dword v4, v4, s[0:3], 0 offen offset:12
	s_waitcnt vmcnt(0)
	ds_write2_b64 v125, v[1:2], v[3:4] offset1:1
	v_mov_b32_e32 v4, s14
	buffer_load_dword v1, v4, s[0:3], 0 offen
	buffer_load_dword v2, v4, s[0:3], 0 offen offset:4
	buffer_load_dword v3, v4, s[0:3], 0 offen offset:8
	s_nop 0
	buffer_load_dword v4, v4, s[0:3], 0 offen offset:12
	s_waitcnt vmcnt(0)
	ds_write2_b64 v117, v[1:2], v[3:4] offset0:116 offset1:117
	v_mov_b32_e32 v4, s42
	buffer_load_dword v1, v4, s[0:3], 0 offen
	buffer_load_dword v2, v4, s[0:3], 0 offen offset:4
	buffer_load_dword v3, v4, s[0:3], 0 offen offset:8
	s_nop 0
	buffer_load_dword v4, v4, s[0:3], 0 offen offset:12
	s_waitcnt vmcnt(0)
	ds_write2_b64 v117, v[1:2], v[3:4] offset0:118 offset1:119
	;; [unrolled: 8-line block ×3, first 2 shown]
	ds_read2_b64 v[105:108], v125 offset1:1
	s_waitcnt lgkmcnt(0)
	v_cmp_neq_f64_e32 vcc, 0, v[105:106]
	v_cmp_neq_f64_e64 s[6:7], 0, v[107:108]
	s_or_b64 s[6:7], vcc, s[6:7]
	s_and_b64 exec, exec, s[6:7]
	s_cbranch_execz .LBB121_626
; %bb.621:
	v_cmp_ngt_f64_e64 s[6:7], |v[105:106]|, |v[107:108]|
                                        ; implicit-def: $vgpr1_vgpr2
	s_and_saveexec_b64 s[10:11], s[6:7]
	s_xor_b64 s[6:7], exec, s[10:11]
                                        ; implicit-def: $vgpr3_vgpr4
	s_cbranch_execz .LBB121_623
; %bb.622:
	v_div_scale_f64 v[1:2], s[10:11], v[107:108], v[107:108], v[105:106]
	v_rcp_f64_e32 v[3:4], v[1:2]
	v_fma_f64 v[5:6], -v[1:2], v[3:4], 1.0
	v_fma_f64 v[3:4], v[3:4], v[5:6], v[3:4]
	v_div_scale_f64 v[5:6], vcc, v[105:106], v[107:108], v[105:106]
	v_fma_f64 v[7:8], -v[1:2], v[3:4], 1.0
	v_fma_f64 v[3:4], v[3:4], v[7:8], v[3:4]
	v_mul_f64 v[7:8], v[5:6], v[3:4]
	v_fma_f64 v[1:2], -v[1:2], v[7:8], v[5:6]
	v_div_fmas_f64 v[1:2], v[1:2], v[3:4], v[7:8]
	v_div_fixup_f64 v[1:2], v[1:2], v[107:108], v[105:106]
	v_fma_f64 v[3:4], v[105:106], v[1:2], v[107:108]
	v_div_scale_f64 v[5:6], s[10:11], v[3:4], v[3:4], 1.0
	v_div_scale_f64 v[107:108], vcc, 1.0, v[3:4], 1.0
	v_rcp_f64_e32 v[7:8], v[5:6]
	v_fma_f64 v[105:106], -v[5:6], v[7:8], 1.0
	v_fma_f64 v[7:8], v[7:8], v[105:106], v[7:8]
	v_fma_f64 v[105:106], -v[5:6], v[7:8], 1.0
	v_fma_f64 v[7:8], v[7:8], v[105:106], v[7:8]
	v_mul_f64 v[105:106], v[107:108], v[7:8]
	v_fma_f64 v[5:6], -v[5:6], v[105:106], v[107:108]
	v_div_fmas_f64 v[5:6], v[5:6], v[7:8], v[105:106]
                                        ; implicit-def: $vgpr105_vgpr106
	v_div_fixup_f64 v[3:4], v[5:6], v[3:4], 1.0
	v_mul_f64 v[1:2], v[1:2], v[3:4]
	v_xor_b32_e32 v4, 0x80000000, v4
.LBB121_623:
	s_andn2_saveexec_b64 s[6:7], s[6:7]
	s_cbranch_execz .LBB121_625
; %bb.624:
	v_div_scale_f64 v[1:2], s[10:11], v[105:106], v[105:106], v[107:108]
	v_rcp_f64_e32 v[3:4], v[1:2]
	v_fma_f64 v[5:6], -v[1:2], v[3:4], 1.0
	v_fma_f64 v[3:4], v[3:4], v[5:6], v[3:4]
	v_div_scale_f64 v[5:6], vcc, v[107:108], v[105:106], v[107:108]
	v_fma_f64 v[7:8], -v[1:2], v[3:4], 1.0
	v_fma_f64 v[3:4], v[3:4], v[7:8], v[3:4]
	v_mul_f64 v[7:8], v[5:6], v[3:4]
	v_fma_f64 v[1:2], -v[1:2], v[7:8], v[5:6]
	v_div_fmas_f64 v[1:2], v[1:2], v[3:4], v[7:8]
	v_div_fixup_f64 v[3:4], v[1:2], v[105:106], v[107:108]
	v_fma_f64 v[1:2], v[107:108], v[3:4], v[105:106]
	v_div_scale_f64 v[5:6], s[10:11], v[1:2], v[1:2], 1.0
	v_div_scale_f64 v[107:108], vcc, 1.0, v[1:2], 1.0
	v_rcp_f64_e32 v[7:8], v[5:6]
	v_fma_f64 v[105:106], -v[5:6], v[7:8], 1.0
	v_fma_f64 v[7:8], v[7:8], v[105:106], v[7:8]
	v_fma_f64 v[105:106], -v[5:6], v[7:8], 1.0
	v_fma_f64 v[7:8], v[7:8], v[105:106], v[7:8]
	v_mul_f64 v[105:106], v[107:108], v[7:8]
	v_fma_f64 v[5:6], -v[5:6], v[105:106], v[107:108]
	v_div_fmas_f64 v[5:6], v[5:6], v[7:8], v[105:106]
	v_div_fixup_f64 v[1:2], v[5:6], v[1:2], 1.0
	v_mul_f64 v[3:4], v[3:4], -v[1:2]
.LBB121_625:
	s_or_b64 exec, exec, s[6:7]
	ds_write2_b64 v125, v[1:2], v[3:4] offset1:1
.LBB121_626:
	s_or_b64 exec, exec, s[8:9]
	s_waitcnt lgkmcnt(0)
	s_barrier
	ds_read2_b64 v[105:108], v125 offset1:1
	v_cmp_lt_u32_e32 vcc, 57, v0
	s_and_saveexec_b64 s[6:7], vcc
	s_cbranch_execz .LBB121_628
; %bb.627:
	buffer_load_dword v1, off, s[0:3], 0 offset:912
	buffer_load_dword v2, off, s[0:3], 0 offset:916
	;; [unrolled: 1-line block ×16, first 2 shown]
	s_waitcnt vmcnt(12) lgkmcnt(0)
	v_mul_f64 v[118:119], v[107:108], v[3:4]
	v_mul_f64 v[3:4], v[105:106], v[3:4]
	v_fma_f64 v[118:119], v[105:106], v[1:2], -v[118:119]
	v_fma_f64 v[9:10], v[107:108], v[1:2], v[3:4]
	buffer_store_dword v118, off, s[0:3], 0 offset:912
	buffer_store_dword v119, off, s[0:3], 0 offset:916
	buffer_store_dword v9, off, s[0:3], 0 offset:920
	buffer_store_dword v10, off, s[0:3], 0 offset:924
	ds_read2_b64 v[1:4], v117 offset0:116 offset1:117
	s_waitcnt lgkmcnt(0)
	v_mul_f64 v[11:12], v[3:4], v[9:10]
	v_fma_f64 v[11:12], v[1:2], v[118:119], -v[11:12]
	v_mul_f64 v[1:2], v[1:2], v[9:10]
	v_fma_f64 v[1:2], v[3:4], v[118:119], v[1:2]
	s_waitcnt vmcnt(14)
	v_add_f64 v[3:4], v[5:6], -v[11:12]
	s_waitcnt vmcnt(12)
	v_add_f64 v[1:2], v[7:8], -v[1:2]
	buffer_store_dword v3, off, s[0:3], 0 offset:928
	buffer_store_dword v4, off, s[0:3], 0 offset:932
	buffer_store_dword v1, off, s[0:3], 0 offset:936
	buffer_store_dword v2, off, s[0:3], 0 offset:940
	ds_read2_b64 v[1:4], v117 offset0:118 offset1:119
	s_waitcnt lgkmcnt(0)
	v_mul_f64 v[5:6], v[3:4], v[9:10]
	v_fma_f64 v[5:6], v[1:2], v[118:119], -v[5:6]
	v_mul_f64 v[1:2], v[1:2], v[9:10]
	v_fma_f64 v[1:2], v[3:4], v[118:119], v[1:2]
	s_waitcnt vmcnt(14)
	v_add_f64 v[3:4], v[109:110], -v[5:6]
	s_waitcnt vmcnt(12)
	v_add_f64 v[1:2], v[111:112], -v[1:2]
	;; [unrolled: 14-line block ×3, first 2 shown]
	buffer_store_dword v4, off, s[0:3], 0 offset:964
	buffer_store_dword v3, off, s[0:3], 0 offset:960
	;; [unrolled: 1-line block ×4, first 2 shown]
.LBB121_628:
	s_or_b64 exec, exec, s[6:7]
	v_cmp_eq_u32_e32 vcc, 58, v0
	s_waitcnt vmcnt(0) lgkmcnt(0)
	s_barrier
	s_and_saveexec_b64 s[8:9], vcc
	s_cbranch_execz .LBB121_635
; %bb.629:
	v_mov_b32_e32 v4, s14
	buffer_load_dword v1, v4, s[0:3], 0 offen
	buffer_load_dword v2, v4, s[0:3], 0 offen offset:4
	buffer_load_dword v3, v4, s[0:3], 0 offen offset:8
	s_nop 0
	buffer_load_dword v4, v4, s[0:3], 0 offen offset:12
	s_waitcnt vmcnt(0)
	ds_write2_b64 v125, v[1:2], v[3:4] offset1:1
	v_mov_b32_e32 v4, s42
	buffer_load_dword v1, v4, s[0:3], 0 offen
	buffer_load_dword v2, v4, s[0:3], 0 offen offset:4
	buffer_load_dword v3, v4, s[0:3], 0 offen offset:8
	s_nop 0
	buffer_load_dword v4, v4, s[0:3], 0 offen offset:12
	s_waitcnt vmcnt(0)
	ds_write2_b64 v117, v[1:2], v[3:4] offset0:118 offset1:119
	v_mov_b32_e32 v4, s71
	buffer_load_dword v1, v4, s[0:3], 0 offen
	buffer_load_dword v2, v4, s[0:3], 0 offen offset:4
	buffer_load_dword v3, v4, s[0:3], 0 offen offset:8
	s_nop 0
	buffer_load_dword v4, v4, s[0:3], 0 offen offset:12
	s_waitcnt vmcnt(0)
	ds_write2_b64 v117, v[1:2], v[3:4] offset0:120 offset1:121
	ds_read2_b64 v[109:112], v125 offset1:1
	s_waitcnt lgkmcnt(0)
	v_cmp_neq_f64_e32 vcc, 0, v[109:110]
	v_cmp_neq_f64_e64 s[6:7], 0, v[111:112]
	s_or_b64 s[6:7], vcc, s[6:7]
	s_and_b64 exec, exec, s[6:7]
	s_cbranch_execz .LBB121_635
; %bb.630:
	v_cmp_ngt_f64_e64 s[6:7], |v[109:110]|, |v[111:112]|
                                        ; implicit-def: $vgpr1_vgpr2
	s_and_saveexec_b64 s[10:11], s[6:7]
	s_xor_b64 s[6:7], exec, s[10:11]
                                        ; implicit-def: $vgpr3_vgpr4
	s_cbranch_execz .LBB121_632
; %bb.631:
	v_div_scale_f64 v[1:2], s[10:11], v[111:112], v[111:112], v[109:110]
	v_rcp_f64_e32 v[3:4], v[1:2]
	v_fma_f64 v[5:6], -v[1:2], v[3:4], 1.0
	v_fma_f64 v[3:4], v[3:4], v[5:6], v[3:4]
	v_div_scale_f64 v[5:6], vcc, v[109:110], v[111:112], v[109:110]
	v_fma_f64 v[7:8], -v[1:2], v[3:4], 1.0
	v_fma_f64 v[3:4], v[3:4], v[7:8], v[3:4]
	v_mul_f64 v[7:8], v[5:6], v[3:4]
	v_fma_f64 v[1:2], -v[1:2], v[7:8], v[5:6]
	v_div_fmas_f64 v[1:2], v[1:2], v[3:4], v[7:8]
	v_div_fixup_f64 v[1:2], v[1:2], v[111:112], v[109:110]
	v_fma_f64 v[3:4], v[109:110], v[1:2], v[111:112]
                                        ; implicit-def: $vgpr109_vgpr110
	v_div_scale_f64 v[5:6], s[10:11], v[3:4], v[3:4], 1.0
	v_div_scale_f64 v[11:12], vcc, 1.0, v[3:4], 1.0
	v_rcp_f64_e32 v[7:8], v[5:6]
	v_fma_f64 v[9:10], -v[5:6], v[7:8], 1.0
	v_fma_f64 v[7:8], v[7:8], v[9:10], v[7:8]
	v_fma_f64 v[9:10], -v[5:6], v[7:8], 1.0
	v_fma_f64 v[7:8], v[7:8], v[9:10], v[7:8]
	v_mul_f64 v[9:10], v[11:12], v[7:8]
	v_fma_f64 v[5:6], -v[5:6], v[9:10], v[11:12]
	v_div_fmas_f64 v[5:6], v[5:6], v[7:8], v[9:10]
	v_div_fixup_f64 v[3:4], v[5:6], v[3:4], 1.0
	v_mul_f64 v[1:2], v[1:2], v[3:4]
	v_xor_b32_e32 v4, 0x80000000, v4
.LBB121_632:
	s_andn2_saveexec_b64 s[6:7], s[6:7]
	s_cbranch_execz .LBB121_634
; %bb.633:
	v_div_scale_f64 v[1:2], s[10:11], v[109:110], v[109:110], v[111:112]
	v_rcp_f64_e32 v[3:4], v[1:2]
	v_fma_f64 v[5:6], -v[1:2], v[3:4], 1.0
	v_fma_f64 v[3:4], v[3:4], v[5:6], v[3:4]
	v_div_scale_f64 v[5:6], vcc, v[111:112], v[109:110], v[111:112]
	v_fma_f64 v[7:8], -v[1:2], v[3:4], 1.0
	v_fma_f64 v[3:4], v[3:4], v[7:8], v[3:4]
	v_mul_f64 v[7:8], v[5:6], v[3:4]
	v_fma_f64 v[1:2], -v[1:2], v[7:8], v[5:6]
	v_div_fmas_f64 v[1:2], v[1:2], v[3:4], v[7:8]
	v_div_fixup_f64 v[3:4], v[1:2], v[109:110], v[111:112]
	v_fma_f64 v[1:2], v[111:112], v[3:4], v[109:110]
	v_div_scale_f64 v[5:6], s[10:11], v[1:2], v[1:2], 1.0
	v_div_scale_f64 v[11:12], vcc, 1.0, v[1:2], 1.0
	v_rcp_f64_e32 v[7:8], v[5:6]
	v_fma_f64 v[9:10], -v[5:6], v[7:8], 1.0
	v_fma_f64 v[7:8], v[7:8], v[9:10], v[7:8]
	v_fma_f64 v[9:10], -v[5:6], v[7:8], 1.0
	v_fma_f64 v[7:8], v[7:8], v[9:10], v[7:8]
	v_mul_f64 v[9:10], v[11:12], v[7:8]
	v_fma_f64 v[5:6], -v[5:6], v[9:10], v[11:12]
	v_div_fmas_f64 v[5:6], v[5:6], v[7:8], v[9:10]
	v_div_fixup_f64 v[1:2], v[5:6], v[1:2], 1.0
	v_mul_f64 v[3:4], v[3:4], -v[1:2]
.LBB121_634:
	s_or_b64 exec, exec, s[6:7]
	ds_write2_b64 v125, v[1:2], v[3:4] offset1:1
.LBB121_635:
	s_or_b64 exec, exec, s[8:9]
	s_waitcnt lgkmcnt(0)
	s_barrier
	ds_read2_b64 v[109:112], v125 offset1:1
	v_cmp_lt_u32_e32 vcc, 58, v0
	s_and_saveexec_b64 s[6:7], vcc
	s_cbranch_execz .LBB121_637
; %bb.636:
	buffer_load_dword v1, off, s[0:3], 0 offset:928
	buffer_load_dword v2, off, s[0:3], 0 offset:932
	;; [unrolled: 1-line block ×12, first 2 shown]
	s_waitcnt vmcnt(8) lgkmcnt(0)
	v_mul_f64 v[113:114], v[111:112], v[3:4]
	v_mul_f64 v[3:4], v[109:110], v[3:4]
	v_fma_f64 v[113:114], v[109:110], v[1:2], -v[113:114]
	v_fma_f64 v[115:116], v[111:112], v[1:2], v[3:4]
	buffer_store_dword v113, off, s[0:3], 0 offset:928
	buffer_store_dword v114, off, s[0:3], 0 offset:932
	;; [unrolled: 1-line block ×4, first 2 shown]
	ds_read2_b64 v[1:4], v117 offset0:118 offset1:119
	s_waitcnt lgkmcnt(0)
	v_mul_f64 v[118:119], v[3:4], v[115:116]
	v_fma_f64 v[118:119], v[1:2], v[113:114], -v[118:119]
	v_mul_f64 v[1:2], v[1:2], v[115:116]
	v_fma_f64 v[1:2], v[3:4], v[113:114], v[1:2]
	s_waitcnt vmcnt(10)
	v_add_f64 v[3:4], v[5:6], -v[118:119]
	s_waitcnt vmcnt(8)
	v_add_f64 v[1:2], v[7:8], -v[1:2]
	buffer_store_dword v3, off, s[0:3], 0 offset:944
	buffer_store_dword v4, off, s[0:3], 0 offset:948
	;; [unrolled: 1-line block ×4, first 2 shown]
	ds_read2_b64 v[1:4], v117 offset0:120 offset1:121
	s_waitcnt lgkmcnt(0)
	v_mul_f64 v[5:6], v[3:4], v[115:116]
	v_fma_f64 v[5:6], v[1:2], v[113:114], -v[5:6]
	v_mul_f64 v[1:2], v[1:2], v[115:116]
	v_fma_f64 v[1:2], v[3:4], v[113:114], v[1:2]
	s_waitcnt vmcnt(10)
	v_add_f64 v[3:4], v[9:10], -v[5:6]
	s_waitcnt vmcnt(8)
	v_add_f64 v[1:2], v[11:12], -v[1:2]
	buffer_store_dword v3, off, s[0:3], 0 offset:960
	buffer_store_dword v4, off, s[0:3], 0 offset:964
	;; [unrolled: 1-line block ×4, first 2 shown]
.LBB121_637:
	s_or_b64 exec, exec, s[6:7]
	v_cmp_eq_u32_e32 vcc, 59, v0
	s_waitcnt vmcnt(0) lgkmcnt(0)
	s_barrier
	s_and_saveexec_b64 s[8:9], vcc
	s_cbranch_execz .LBB121_644
; %bb.638:
	v_mov_b32_e32 v4, s42
	buffer_load_dword v1, v4, s[0:3], 0 offen
	buffer_load_dword v2, v4, s[0:3], 0 offen offset:4
	buffer_load_dword v3, v4, s[0:3], 0 offen offset:8
	s_nop 0
	buffer_load_dword v4, v4, s[0:3], 0 offen offset:12
	s_waitcnt vmcnt(0)
	ds_write2_b64 v125, v[1:2], v[3:4] offset1:1
	v_mov_b32_e32 v4, s71
	buffer_load_dword v1, v4, s[0:3], 0 offen
	buffer_load_dword v2, v4, s[0:3], 0 offen offset:4
	buffer_load_dword v3, v4, s[0:3], 0 offen offset:8
	s_nop 0
	buffer_load_dword v4, v4, s[0:3], 0 offen offset:12
	s_waitcnt vmcnt(0)
	ds_write2_b64 v117, v[1:2], v[3:4] offset0:120 offset1:121
	ds_read2_b64 v[113:116], v125 offset1:1
	s_waitcnt lgkmcnt(0)
	v_cmp_neq_f64_e32 vcc, 0, v[113:114]
	v_cmp_neq_f64_e64 s[6:7], 0, v[115:116]
	s_or_b64 s[6:7], vcc, s[6:7]
	s_and_b64 exec, exec, s[6:7]
	s_cbranch_execz .LBB121_644
; %bb.639:
	v_cmp_ngt_f64_e64 s[6:7], |v[113:114]|, |v[115:116]|
                                        ; implicit-def: $vgpr1_vgpr2
	s_and_saveexec_b64 s[10:11], s[6:7]
	s_xor_b64 s[6:7], exec, s[10:11]
                                        ; implicit-def: $vgpr3_vgpr4
	s_cbranch_execz .LBB121_641
; %bb.640:
	v_div_scale_f64 v[1:2], s[10:11], v[115:116], v[115:116], v[113:114]
	v_rcp_f64_e32 v[3:4], v[1:2]
	v_fma_f64 v[5:6], -v[1:2], v[3:4], 1.0
	v_fma_f64 v[3:4], v[3:4], v[5:6], v[3:4]
	v_div_scale_f64 v[5:6], vcc, v[113:114], v[115:116], v[113:114]
	v_fma_f64 v[7:8], -v[1:2], v[3:4], 1.0
	v_fma_f64 v[3:4], v[3:4], v[7:8], v[3:4]
	v_mul_f64 v[7:8], v[5:6], v[3:4]
	v_fma_f64 v[1:2], -v[1:2], v[7:8], v[5:6]
	v_div_fmas_f64 v[1:2], v[1:2], v[3:4], v[7:8]
	v_div_fixup_f64 v[1:2], v[1:2], v[115:116], v[113:114]
	v_fma_f64 v[3:4], v[113:114], v[1:2], v[115:116]
                                        ; implicit-def: $vgpr113_vgpr114
	v_div_scale_f64 v[5:6], s[10:11], v[3:4], v[3:4], 1.0
	v_div_scale_f64 v[11:12], vcc, 1.0, v[3:4], 1.0
	v_rcp_f64_e32 v[7:8], v[5:6]
	v_fma_f64 v[9:10], -v[5:6], v[7:8], 1.0
	v_fma_f64 v[7:8], v[7:8], v[9:10], v[7:8]
	v_fma_f64 v[9:10], -v[5:6], v[7:8], 1.0
	v_fma_f64 v[7:8], v[7:8], v[9:10], v[7:8]
	v_mul_f64 v[9:10], v[11:12], v[7:8]
	v_fma_f64 v[5:6], -v[5:6], v[9:10], v[11:12]
	v_div_fmas_f64 v[5:6], v[5:6], v[7:8], v[9:10]
	v_div_fixup_f64 v[3:4], v[5:6], v[3:4], 1.0
	v_mul_f64 v[1:2], v[1:2], v[3:4]
	v_xor_b32_e32 v4, 0x80000000, v4
.LBB121_641:
	s_andn2_saveexec_b64 s[6:7], s[6:7]
	s_cbranch_execz .LBB121_643
; %bb.642:
	v_div_scale_f64 v[1:2], s[10:11], v[113:114], v[113:114], v[115:116]
	v_rcp_f64_e32 v[3:4], v[1:2]
	v_fma_f64 v[5:6], -v[1:2], v[3:4], 1.0
	v_fma_f64 v[3:4], v[3:4], v[5:6], v[3:4]
	v_div_scale_f64 v[5:6], vcc, v[115:116], v[113:114], v[115:116]
	v_fma_f64 v[7:8], -v[1:2], v[3:4], 1.0
	v_fma_f64 v[3:4], v[3:4], v[7:8], v[3:4]
	v_mul_f64 v[7:8], v[5:6], v[3:4]
	v_fma_f64 v[1:2], -v[1:2], v[7:8], v[5:6]
	v_div_fmas_f64 v[1:2], v[1:2], v[3:4], v[7:8]
	v_div_fixup_f64 v[3:4], v[1:2], v[113:114], v[115:116]
	v_fma_f64 v[1:2], v[115:116], v[3:4], v[113:114]
	v_div_scale_f64 v[5:6], s[10:11], v[1:2], v[1:2], 1.0
	v_div_scale_f64 v[11:12], vcc, 1.0, v[1:2], 1.0
	v_rcp_f64_e32 v[7:8], v[5:6]
	v_fma_f64 v[9:10], -v[5:6], v[7:8], 1.0
	v_fma_f64 v[7:8], v[7:8], v[9:10], v[7:8]
	v_fma_f64 v[9:10], -v[5:6], v[7:8], 1.0
	v_fma_f64 v[7:8], v[7:8], v[9:10], v[7:8]
	v_mul_f64 v[9:10], v[11:12], v[7:8]
	v_fma_f64 v[5:6], -v[5:6], v[9:10], v[11:12]
	v_div_fmas_f64 v[5:6], v[5:6], v[7:8], v[9:10]
	v_div_fixup_f64 v[1:2], v[5:6], v[1:2], 1.0
	v_mul_f64 v[3:4], v[3:4], -v[1:2]
.LBB121_643:
	s_or_b64 exec, exec, s[6:7]
	ds_write2_b64 v125, v[1:2], v[3:4] offset1:1
.LBB121_644:
	s_or_b64 exec, exec, s[8:9]
	s_waitcnt lgkmcnt(0)
	s_barrier
	ds_read2_b64 v[113:116], v125 offset1:1
	v_cmp_lt_u32_e32 vcc, 59, v0
	s_and_saveexec_b64 s[6:7], vcc
	s_cbranch_execz .LBB121_646
; %bb.645:
	buffer_load_dword v1, off, s[0:3], 0 offset:944
	buffer_load_dword v2, off, s[0:3], 0 offset:948
	;; [unrolled: 1-line block ×8, first 2 shown]
	s_waitcnt vmcnt(4) lgkmcnt(0)
	v_mul_f64 v[9:10], v[115:116], v[3:4]
	v_mul_f64 v[3:4], v[113:114], v[3:4]
	v_fma_f64 v[9:10], v[113:114], v[1:2], -v[9:10]
	v_fma_f64 v[11:12], v[115:116], v[1:2], v[3:4]
	buffer_store_dword v9, off, s[0:3], 0 offset:944
	buffer_store_dword v10, off, s[0:3], 0 offset:948
	;; [unrolled: 1-line block ×4, first 2 shown]
	ds_read2_b64 v[1:4], v117 offset0:120 offset1:121
	s_waitcnt lgkmcnt(0)
	v_mul_f64 v[117:118], v[3:4], v[11:12]
	v_fma_f64 v[117:118], v[1:2], v[9:10], -v[117:118]
	v_mul_f64 v[1:2], v[1:2], v[11:12]
	v_fma_f64 v[1:2], v[3:4], v[9:10], v[1:2]
	s_waitcnt vmcnt(6)
	v_add_f64 v[3:4], v[5:6], -v[117:118]
	s_waitcnt vmcnt(4)
	v_add_f64 v[1:2], v[7:8], -v[1:2]
	buffer_store_dword v3, off, s[0:3], 0 offset:960
	buffer_store_dword v4, off, s[0:3], 0 offset:964
	;; [unrolled: 1-line block ×4, first 2 shown]
.LBB121_646:
	s_or_b64 exec, exec, s[6:7]
	v_cmp_eq_u32_e32 vcc, 60, v0
	s_waitcnt vmcnt(0) lgkmcnt(0)
	s_barrier
	s_and_saveexec_b64 s[8:9], vcc
	s_cbranch_execz .LBB121_653
; %bb.647:
	v_mov_b32_e32 v1, s71
	buffer_load_dword v117, v1, s[0:3], 0 offen
	buffer_load_dword v118, v1, s[0:3], 0 offen offset:4
	buffer_load_dword v119, v1, s[0:3], 0 offen offset:8
	;; [unrolled: 1-line block ×3, first 2 shown]
	s_waitcnt vmcnt(2)
	v_cmp_neq_f64_e32 vcc, 0, v[117:118]
	s_waitcnt vmcnt(0)
	v_cmp_neq_f64_e64 s[6:7], 0, v[119:120]
	ds_write2_b64 v125, v[117:118], v[119:120] offset1:1
	s_or_b64 s[6:7], vcc, s[6:7]
	s_and_b64 exec, exec, s[6:7]
	s_cbranch_execz .LBB121_653
; %bb.648:
	v_cmp_ngt_f64_e64 s[6:7], |v[117:118]|, |v[119:120]|
                                        ; implicit-def: $vgpr1_vgpr2
	s_and_saveexec_b64 s[10:11], s[6:7]
	s_xor_b64 s[6:7], exec, s[10:11]
                                        ; implicit-def: $vgpr3_vgpr4
	s_cbranch_execz .LBB121_650
; %bb.649:
	v_div_scale_f64 v[1:2], s[10:11], v[119:120], v[119:120], v[117:118]
	v_rcp_f64_e32 v[3:4], v[1:2]
	v_fma_f64 v[5:6], -v[1:2], v[3:4], 1.0
	v_fma_f64 v[3:4], v[3:4], v[5:6], v[3:4]
	v_div_scale_f64 v[5:6], vcc, v[117:118], v[119:120], v[117:118]
	v_fma_f64 v[7:8], -v[1:2], v[3:4], 1.0
	v_fma_f64 v[3:4], v[3:4], v[7:8], v[3:4]
	v_mul_f64 v[7:8], v[5:6], v[3:4]
	v_fma_f64 v[1:2], -v[1:2], v[7:8], v[5:6]
	v_div_fmas_f64 v[1:2], v[1:2], v[3:4], v[7:8]
	v_div_fixup_f64 v[1:2], v[1:2], v[119:120], v[117:118]
	v_fma_f64 v[3:4], v[117:118], v[1:2], v[119:120]
                                        ; implicit-def: $vgpr117_vgpr118
                                        ; implicit-def: $vgpr119_vgpr120
	v_div_scale_f64 v[5:6], s[10:11], v[3:4], v[3:4], 1.0
	v_div_scale_f64 v[11:12], vcc, 1.0, v[3:4], 1.0
	v_rcp_f64_e32 v[7:8], v[5:6]
	v_fma_f64 v[9:10], -v[5:6], v[7:8], 1.0
	v_fma_f64 v[7:8], v[7:8], v[9:10], v[7:8]
	v_fma_f64 v[9:10], -v[5:6], v[7:8], 1.0
	v_fma_f64 v[7:8], v[7:8], v[9:10], v[7:8]
	v_mul_f64 v[9:10], v[11:12], v[7:8]
	v_fma_f64 v[5:6], -v[5:6], v[9:10], v[11:12]
	v_div_fmas_f64 v[5:6], v[5:6], v[7:8], v[9:10]
	v_div_fixup_f64 v[3:4], v[5:6], v[3:4], 1.0
	v_mul_f64 v[1:2], v[1:2], v[3:4]
	v_xor_b32_e32 v4, 0x80000000, v4
.LBB121_650:
	s_andn2_saveexec_b64 s[6:7], s[6:7]
	s_cbranch_execz .LBB121_652
; %bb.651:
	v_div_scale_f64 v[1:2], s[10:11], v[117:118], v[117:118], v[119:120]
	v_rcp_f64_e32 v[3:4], v[1:2]
	v_fma_f64 v[5:6], -v[1:2], v[3:4], 1.0
	v_fma_f64 v[3:4], v[3:4], v[5:6], v[3:4]
	v_div_scale_f64 v[5:6], vcc, v[119:120], v[117:118], v[119:120]
	v_fma_f64 v[7:8], -v[1:2], v[3:4], 1.0
	v_fma_f64 v[3:4], v[3:4], v[7:8], v[3:4]
	v_mul_f64 v[7:8], v[5:6], v[3:4]
	v_fma_f64 v[1:2], -v[1:2], v[7:8], v[5:6]
	v_div_fmas_f64 v[1:2], v[1:2], v[3:4], v[7:8]
	v_div_fixup_f64 v[3:4], v[1:2], v[117:118], v[119:120]
	v_fma_f64 v[1:2], v[119:120], v[3:4], v[117:118]
	v_div_scale_f64 v[5:6], s[10:11], v[1:2], v[1:2], 1.0
	v_div_scale_f64 v[11:12], vcc, 1.0, v[1:2], 1.0
	v_rcp_f64_e32 v[7:8], v[5:6]
	v_fma_f64 v[9:10], -v[5:6], v[7:8], 1.0
	v_fma_f64 v[7:8], v[7:8], v[9:10], v[7:8]
	v_fma_f64 v[9:10], -v[5:6], v[7:8], 1.0
	v_fma_f64 v[7:8], v[7:8], v[9:10], v[7:8]
	v_mul_f64 v[9:10], v[11:12], v[7:8]
	v_fma_f64 v[5:6], -v[5:6], v[9:10], v[11:12]
	v_div_fmas_f64 v[5:6], v[5:6], v[7:8], v[9:10]
	v_div_fixup_f64 v[1:2], v[5:6], v[1:2], 1.0
	v_mul_f64 v[3:4], v[3:4], -v[1:2]
.LBB121_652:
	s_or_b64 exec, exec, s[6:7]
	ds_write2_b64 v125, v[1:2], v[3:4] offset1:1
.LBB121_653:
	s_or_b64 exec, exec, s[8:9]
	s_waitcnt lgkmcnt(0)
	s_barrier
	ds_read2_b64 v[117:120], v125 offset1:1
	v_cmp_lt_u32_e32 vcc, 60, v0
	s_and_saveexec_b64 s[6:7], vcc
	s_cbranch_execz .LBB121_655
; %bb.654:
	buffer_load_dword v0, off, s[0:3], 0 offset:968
	buffer_load_dword v1, off, s[0:3], 0 offset:972
	;; [unrolled: 1-line block ×4, first 2 shown]
	s_waitcnt vmcnt(2) lgkmcnt(0)
	v_mul_f64 v[4:5], v[119:120], v[0:1]
	v_mul_f64 v[0:1], v[117:118], v[0:1]
	s_waitcnt vmcnt(0)
	v_fma_f64 v[4:5], v[117:118], v[2:3], -v[4:5]
	v_fma_f64 v[0:1], v[119:120], v[2:3], v[0:1]
	buffer_store_dword v4, off, s[0:3], 0 offset:960
	buffer_store_dword v5, off, s[0:3], 0 offset:964
	;; [unrolled: 1-line block ×4, first 2 shown]
.LBB121_655:
	s_or_b64 exec, exec, s[6:7]
	s_waitcnt vmcnt(0) lgkmcnt(0)
	s_barrier
	s_and_saveexec_b64 s[6:7], s[4:5]
	s_cbranch_execz .LBB121_658
; %bb.656:
	buffer_load_dword v0, off, s[0:3], 0 offset:1456 ; 4-byte Folded Reload
	buffer_load_dword v1, off, s[0:3], 0 offset:1460 ; 4-byte Folded Reload
	;; [unrolled: 1-line block ×4, first 2 shown]
                                        ; implicit-def: $vgpr127 : SGPR spill to VGPR lane
	s_mov_b32 s43, s70
	s_mov_b32 s37, s76
	;; [unrolled: 1-line block ×18, first 2 shown]
	s_waitcnt vmcnt(2)
	v_cmp_eq_f64_e64 s[4:5], 0, v[0:1]
	v_writelane_b32 v126, s4, 23
	v_writelane_b32 v126, s5, 24
	s_waitcnt vmcnt(0)
	v_cmp_eq_f64_e64 s[4:5], 0, v[2:3]
	buffer_load_dword v0, off, s[0:3], 0 offset:1808 ; 4-byte Folded Reload
	buffer_load_dword v1, off, s[0:3], 0 offset:1812 ; 4-byte Folded Reload
	;; [unrolled: 1-line block ×4, first 2 shown]
	v_writelane_b32 v126, s4, 25
	v_writelane_b32 v126, s5, 26
	s_waitcnt vmcnt(2)
	v_cmp_neq_f64_e64 s[4:5], 0, v[0:1]
	v_writelane_b32 v126, s4, 27
	v_writelane_b32 v126, s5, 28
	s_waitcnt vmcnt(0)
	v_cmp_neq_f64_e64 s[4:5], 0, v[2:3]
	buffer_load_dword v0, off, s[0:3], 0 offset:1824 ; 4-byte Folded Reload
	buffer_load_dword v1, off, s[0:3], 0 offset:1828 ; 4-byte Folded Reload
	buffer_load_dword v2, off, s[0:3], 0 offset:1832 ; 4-byte Folded Reload
	buffer_load_dword v3, off, s[0:3], 0 offset:1836 ; 4-byte Folded Reload
	v_writelane_b32 v126, s4, 29
	v_writelane_b32 v126, s5, 30
	s_waitcnt vmcnt(2)
	v_cmp_eq_f64_e64 s[4:5], 0, v[0:1]
	v_writelane_b32 v126, s4, 31
	v_writelane_b32 v126, s5, 32
	s_waitcnt vmcnt(0)
	v_cmp_eq_f64_e64 s[4:5], 0, v[2:3]
	buffer_load_dword v0, off, s[0:3], 0 offset:1840 ; 4-byte Folded Reload
	buffer_load_dword v1, off, s[0:3], 0 offset:1844 ; 4-byte Folded Reload
	buffer_load_dword v2, off, s[0:3], 0 offset:1848 ; 4-byte Folded Reload
	buffer_load_dword v3, off, s[0:3], 0 offset:1852 ; 4-byte Folded Reload
	v_writelane_b32 v126, s4, 33
	v_writelane_b32 v126, s5, 34
	s_waitcnt vmcnt(2)
	v_cmp_eq_f64_e64 s[4:5], 0, v[0:1]
	v_writelane_b32 v126, s4, 35
	v_writelane_b32 v126, s5, 36
	s_waitcnt vmcnt(0)
	v_cmp_eq_f64_e64 s[4:5], 0, v[2:3]
	;; [unrolled: 12-line block ×13, first 2 shown]
	buffer_load_dword v0, off, s[0:3], 0 offset:1600 ; 4-byte Folded Reload
	buffer_load_dword v1, off, s[0:3], 0 offset:1604 ; 4-byte Folded Reload
	;; [unrolled: 1-line block ×4, first 2 shown]
	v_writelane_b32 v127, s4, 17
	v_writelane_b32 v127, s5, 18
	;; [unrolled: 1-line block ×4, first 2 shown]
	s_mov_b64 s[78:79], s[82:83]
	s_waitcnt vmcnt(2)
	v_cmp_eq_f64_e64 s[4:5], 0, v[0:1]
	v_writelane_b32 v127, s4, 21
	v_writelane_b32 v127, s5, 22
	s_waitcnt vmcnt(0)
	v_cmp_eq_f64_e64 s[4:5], 0, v[2:3]
	buffer_load_dword v0, off, s[0:3], 0 offset:1616 ; 4-byte Folded Reload
	buffer_load_dword v1, off, s[0:3], 0 offset:1620 ; 4-byte Folded Reload
	;; [unrolled: 1-line block ×4, first 2 shown]
	v_writelane_b32 v127, s4, 23
	v_writelane_b32 v127, s5, 24
	;; [unrolled: 1-line block ×3, first 2 shown]
	s_waitcnt vmcnt(2)
	v_cmp_eq_f64_e64 s[4:5], 0, v[0:1]
	s_waitcnt vmcnt(0)
	v_cmp_eq_f64_e64 s[70:71], 0, v[2:3]
	buffer_load_dword v0, off, s[0:3], 0 offset:1904 ; 4-byte Folded Reload
	buffer_load_dword v1, off, s[0:3], 0 offset:1908 ; 4-byte Folded Reload
	buffer_load_dword v2, off, s[0:3], 0 offset:1912 ; 4-byte Folded Reload
	buffer_load_dword v3, off, s[0:3], 0 offset:1916 ; 4-byte Folded Reload
	v_writelane_b32 v127, s4, 26
	v_writelane_b32 v127, s5, 27
	;; [unrolled: 1-line block ×4, first 2 shown]
	s_waitcnt vmcnt(2)
	v_cmp_eq_f64_e64 s[68:69], 0, v[0:1]
	s_waitcnt vmcnt(0)
	v_cmp_eq_f64_e64 s[66:67], 0, v[2:3]
	buffer_load_dword v0, off, s[0:3], 0 offset:1632 ; 4-byte Folded Reload
	buffer_load_dword v1, off, s[0:3], 0 offset:1636 ; 4-byte Folded Reload
	buffer_load_dword v2, off, s[0:3], 0 offset:1640 ; 4-byte Folded Reload
	buffer_load_dword v3, off, s[0:3], 0 offset:1644 ; 4-byte Folded Reload
	s_waitcnt vmcnt(2)
	v_cmp_eq_f64_e64 s[80:81], 0, v[0:1]
	s_waitcnt vmcnt(0)
	v_cmp_eq_f64_e64 s[82:83], 0, v[2:3]
	buffer_load_dword v0, off, s[0:3], 0 offset:1920 ; 4-byte Folded Reload
	buffer_load_dword v1, off, s[0:3], 0 offset:1924 ; 4-byte Folded Reload
	buffer_load_dword v2, off, s[0:3], 0 offset:1928 ; 4-byte Folded Reload
	buffer_load_dword v3, off, s[0:3], 0 offset:1932 ; 4-byte Folded Reload
	s_waitcnt vmcnt(2)
	v_cmp_eq_f64_e64 s[84:85], 0, v[0:1]
	s_waitcnt vmcnt(0)
	v_cmp_eq_f64_e64 s[86:87], 0, v[2:3]
	buffer_load_dword v0, off, s[0:3], 0 offset:1648 ; 4-byte Folded Reload
	buffer_load_dword v1, off, s[0:3], 0 offset:1652 ; 4-byte Folded Reload
	buffer_load_dword v2, off, s[0:3], 0 offset:1656 ; 4-byte Folded Reload
	buffer_load_dword v3, off, s[0:3], 0 offset:1660 ; 4-byte Folded Reload
	s_waitcnt vmcnt(2)
	v_cmp_eq_f64_e64 s[88:89], 0, v[0:1]
	s_waitcnt vmcnt(0)
	v_cmp_eq_f64_e64 s[90:91], 0, v[2:3]
	buffer_load_dword v0, off, s[0:3], 0 offset:1936 ; 4-byte Folded Reload
	buffer_load_dword v1, off, s[0:3], 0 offset:1940 ; 4-byte Folded Reload
	buffer_load_dword v2, off, s[0:3], 0 offset:1944 ; 4-byte Folded Reload
	buffer_load_dword v3, off, s[0:3], 0 offset:1948 ; 4-byte Folded Reload
	s_waitcnt vmcnt(2)
	v_cmp_eq_f64_e64 s[92:93], 0, v[0:1]
	s_waitcnt vmcnt(0)
	v_cmp_eq_f64_e64 s[94:95], 0, v[2:3]
	buffer_load_dword v0, off, s[0:3], 0 offset:1664 ; 4-byte Folded Reload
	buffer_load_dword v1, off, s[0:3], 0 offset:1668 ; 4-byte Folded Reload
	buffer_load_dword v2, off, s[0:3], 0 offset:1672 ; 4-byte Folded Reload
	buffer_load_dword v3, off, s[0:3], 0 offset:1676 ; 4-byte Folded Reload
	s_waitcnt vmcnt(2)
	v_cmp_eq_f64_e64 s[96:97], 0, v[0:1]
	s_waitcnt vmcnt(0)
	v_cmp_eq_f64_e64 s[64:65], 0, v[2:3]
	buffer_load_dword v0, off, s[0:3], 0 offset:1680 ; 4-byte Folded Reload
	buffer_load_dword v1, off, s[0:3], 0 offset:1684 ; 4-byte Folded Reload
	buffer_load_dword v2, off, s[0:3], 0 offset:1688 ; 4-byte Folded Reload
	buffer_load_dword v3, off, s[0:3], 0 offset:1692 ; 4-byte Folded Reload
	s_waitcnt vmcnt(2)
	v_cmp_eq_f64_e64 s[62:63], 0, v[0:1]
	s_waitcnt vmcnt(0)
	v_cmp_eq_f64_e64 s[60:61], 0, v[2:3]
	buffer_load_dword v0, off, s[0:3], 0 offset:1696 ; 4-byte Folded Reload
	buffer_load_dword v1, off, s[0:3], 0 offset:1700 ; 4-byte Folded Reload
	buffer_load_dword v2, off, s[0:3], 0 offset:1704 ; 4-byte Folded Reload
	buffer_load_dword v3, off, s[0:3], 0 offset:1708 ; 4-byte Folded Reload
	s_waitcnt vmcnt(2)
	v_cmp_eq_f64_e64 s[58:59], 0, v[0:1]
	s_waitcnt vmcnt(0)
	v_cmp_eq_f64_e64 s[56:57], 0, v[2:3]
	buffer_load_dword v0, off, s[0:3], 0 offset:1712 ; 4-byte Folded Reload
	buffer_load_dword v1, off, s[0:3], 0 offset:1716 ; 4-byte Folded Reload
	buffer_load_dword v2, off, s[0:3], 0 offset:1720 ; 4-byte Folded Reload
	buffer_load_dword v3, off, s[0:3], 0 offset:1724 ; 4-byte Folded Reload
	s_waitcnt vmcnt(2)
	v_cmp_eq_f64_e64 s[54:55], 0, v[0:1]
	s_waitcnt vmcnt(0)
	v_cmp_eq_f64_e64 s[52:53], 0, v[2:3]
	buffer_load_dword v0, off, s[0:3], 0 offset:1952 ; 4-byte Folded Reload
	buffer_load_dword v1, off, s[0:3], 0 offset:1956 ; 4-byte Folded Reload
	buffer_load_dword v2, off, s[0:3], 0 offset:1960 ; 4-byte Folded Reload
	buffer_load_dword v3, off, s[0:3], 0 offset:1964 ; 4-byte Folded Reload
	s_waitcnt vmcnt(2)
	v_cmp_eq_f64_e64 s[50:51], 0, v[0:1]
	s_waitcnt vmcnt(0)
	v_cmp_eq_f64_e64 s[48:49], 0, v[2:3]
	buffer_load_dword v0, off, s[0:3], 0 offset:1968 ; 4-byte Folded Reload
	buffer_load_dword v1, off, s[0:3], 0 offset:1972 ; 4-byte Folded Reload
	buffer_load_dword v2, off, s[0:3], 0 offset:1976 ; 4-byte Folded Reload
	buffer_load_dword v3, off, s[0:3], 0 offset:1980 ; 4-byte Folded Reload
	s_waitcnt vmcnt(2)
	v_cmp_eq_f64_e64 s[46:47], 0, v[0:1]
	s_waitcnt vmcnt(0)
	v_cmp_eq_f64_e64 s[44:45], 0, v[2:3]
	buffer_load_dword v0, off, s[0:3], 0 offset:1728 ; 4-byte Folded Reload
	buffer_load_dword v1, off, s[0:3], 0 offset:1732 ; 4-byte Folded Reload
	buffer_load_dword v2, off, s[0:3], 0 offset:1736 ; 4-byte Folded Reload
	buffer_load_dword v3, off, s[0:3], 0 offset:1740 ; 4-byte Folded Reload
	s_waitcnt vmcnt(2)
	v_cmp_eq_f64_e64 s[12:13], 0, v[0:1]
	s_waitcnt vmcnt(0)
	v_cmp_eq_f64_e64 s[10:11], 0, v[2:3]
	buffer_load_dword v0, off, s[0:3], 0 offset:1984 ; 4-byte Folded Reload
	buffer_load_dword v1, off, s[0:3], 0 offset:1988 ; 4-byte Folded Reload
	buffer_load_dword v2, off, s[0:3], 0 offset:1992 ; 4-byte Folded Reload
	buffer_load_dword v3, off, s[0:3], 0 offset:1996 ; 4-byte Folded Reload
	s_waitcnt vmcnt(2)
	v_cmp_eq_f64_e64 s[8:9], 0, v[0:1]
	s_waitcnt vmcnt(0)
	v_cmp_eq_f64_e64 s[6:7], 0, v[2:3]
	buffer_load_dword v0, off, s[0:3], 0 offset:1744 ; 4-byte Folded Reload
	buffer_load_dword v1, off, s[0:3], 0 offset:1748 ; 4-byte Folded Reload
	buffer_load_dword v2, off, s[0:3], 0 offset:1752 ; 4-byte Folded Reload
	buffer_load_dword v3, off, s[0:3], 0 offset:1756 ; 4-byte Folded Reload
	s_waitcnt vmcnt(2)
	v_cmp_eq_f64_e64 s[4:5], 0, v[0:1]
	v_lshlrev_b64 v[0:1], 2, v[123:124]
	v_add_co_u32_e32 v123, vcc, s78, v0
	v_writelane_b32 v127, s4, 30
	v_writelane_b32 v127, s5, 31
	s_waitcnt vmcnt(0)
	v_cmp_eq_f64_e64 s[4:5], 0, v[2:3]
	v_mov_b32_e32 v2, s79
	v_readlane_b32 s78, v126, 29
	v_addc_co_u32_e32 v124, vcc, v2, v1, vcc
	v_readlane_b32 s79, v126, 30
	buffer_load_dword v1, off, s[0:3], 0 offset:1760 ; 4-byte Folded Reload
	buffer_load_dword v2, off, s[0:3], 0 offset:1764 ; 4-byte Folded Reload
	;; [unrolled: 1-line block ×4, first 2 shown]
	v_writelane_b32 v127, s4, 32
	v_writelane_b32 v127, s5, 33
	v_readlane_b32 s4, v126, 27
	v_readlane_b32 s5, v126, 28
	s_or_b64 vcc, s[4:5], s[78:79]
	v_readlane_b32 s4, v126, 23
	v_readlane_b32 s78, v126, 25
	;; [unrolled: 1-line block ×4, first 2 shown]
	s_and_b64 s[4:5], s[4:5], s[78:79]
	v_cndmask_b32_e64 v0, 0, 1, s[4:5]
	s_or_b64 vcc, vcc, s[4:5]
	v_readlane_b32 s4, v126, 31
	v_readlane_b32 s78, v126, 33
	v_cndmask_b32_e32 v0, 2, v0, vcc
	v_readlane_b32 s5, v126, 32
	v_readlane_b32 s79, v126, 34
	s_and_b64 s[4:5], s[4:5], s[78:79]
	v_cmp_eq_u32_e32 vcc, 0, v0
	s_and_b64 s[4:5], s[4:5], vcc
	v_cndmask_b32_e64 v0, v0, 3, s[4:5]
	v_readlane_b32 s4, v126, 35
	v_readlane_b32 s78, v126, 37
	v_readlane_b32 s5, v126, 36
	v_readlane_b32 s79, v126, 38
	s_and_b64 s[4:5], s[4:5], s[78:79]
	v_cmp_eq_u32_e32 vcc, 0, v0
	s_and_b64 s[4:5], s[4:5], vcc
	v_cndmask_b32_e64 v0, v0, 4, s[4:5]
	v_readlane_b32 s4, v126, 39
	v_readlane_b32 s78, v126, 41
	;; [unrolled: 8-line block ×14, first 2 shown]
	s_and_b64 s[4:5], s[4:5], s[70:71]
	v_cmp_eq_u32_e32 vcc, 0, v0
	s_and_b64 s[4:5], s[4:5], vcc
	v_cndmask_b32_e64 v0, v0, 17, s[4:5]
	s_and_b64 s[4:5], s[68:69], s[66:67]
	v_cmp_eq_u32_e32 vcc, 0, v0
	s_and_b64 s[4:5], s[4:5], vcc
	v_cndmask_b32_e64 v0, v0, 18, s[4:5]
	;; [unrolled: 4-line block ×13, first 2 shown]
	s_and_b64 s[4:5], s[8:9], s[6:7]
	s_waitcnt vmcnt(2)
	v_cmp_eq_f64_e64 s[6:7], 0, v[1:2]
	s_waitcnt vmcnt(0)
	v_cmp_eq_f64_e64 s[8:9], 0, v[3:4]
	buffer_load_dword v1, off, s[0:3], 0 offset:1776 ; 4-byte Folded Reload
	buffer_load_dword v2, off, s[0:3], 0 offset:1780 ; 4-byte Folded Reload
	;; [unrolled: 1-line block ×4, first 2 shown]
	v_cmp_eq_u32_e32 vcc, 0, v0
	s_and_b64 s[4:5], s[4:5], vcc
	v_cndmask_b32_e64 v0, v0, 30, s[4:5]
	v_readlane_b32 s4, v127, 30
	v_readlane_b32 s10, v127, 32
	;; [unrolled: 1-line block ×4, first 2 shown]
	s_and_b64 s[12:13], s[4:5], s[10:11]
	v_cmp_eq_u32_e64 s[10:11], 0, v0
	s_and_b64 s[10:11], s[12:13], s[10:11]
	v_cndmask_b32_e64 v0, v0, 31, s[10:11]
	s_and_b64 s[12:13], s[6:7], s[8:9]
	v_cmp_eq_u32_e64 s[6:7], 0, v0
	s_and_b64 s[6:7], s[12:13], s[6:7]
	v_cndmask_b32_e64 v0, v0, 32, s[6:7]
	v_cmp_eq_f64_e64 s[6:7], 0, v[15:16]
	v_readlane_b32 s78, v127, 20
	v_readlane_b32 s79, v127, 19
	;; [unrolled: 1-line block ×3, first 2 shown]
	s_mov_b32 s70, s43
	s_mov_b32 s69, s76
	;; [unrolled: 1-line block ×18, first 2 shown]
	s_waitcnt vmcnt(2)
	v_cmp_eq_f64_e32 vcc, 0, v[1:2]
	s_waitcnt vmcnt(0)
	v_cmp_eq_f64_e64 s[4:5], 0, v[3:4]
	buffer_load_dword v1, off, s[0:3], 0 offset:1792 ; 4-byte Folded Reload
	buffer_load_dword v2, off, s[0:3], 0 offset:1796 ; 4-byte Folded Reload
	;; [unrolled: 1-line block ×4, first 2 shown]
	s_and_b64 s[12:13], vcc, s[4:5]
	v_cmp_eq_f64_e64 s[4:5], 0, v[13:14]
	v_cmp_eq_u32_e32 vcc, 0, v0
	s_and_b64 s[12:13], s[12:13], vcc
	v_cndmask_b32_e64 v0, v0, 33, s[12:13]
	v_cmp_eq_u32_e32 vcc, 0, v0
	s_waitcnt vmcnt(2)
	v_cmp_eq_f64_e64 s[8:9], 0, v[1:2]
	global_load_dword v1, v[123:124], off
	s_waitcnt vmcnt(1)
	v_cmp_eq_f64_e64 s[10:11], 0, v[3:4]
	s_and_b64 s[12:13], s[8:9], s[10:11]
	v_cmp_eq_f64_e64 s[8:9], 0, v[17:18]
	v_cmp_eq_f64_e64 s[10:11], 0, v[19:20]
	s_and_b64 s[12:13], s[12:13], vcc
	v_cndmask_b32_e64 v0, v0, 34, s[12:13]
	s_and_b64 s[12:13], s[4:5], s[6:7]
	v_cmp_eq_f64_e64 s[4:5], 0, v[21:22]
	v_cmp_eq_f64_e64 s[6:7], 0, v[23:24]
	v_cmp_eq_u32_e32 vcc, 0, v0
	s_and_b64 s[12:13], s[12:13], vcc
	v_cndmask_b32_e64 v0, v0, 35, s[12:13]
	s_and_b64 s[12:13], s[8:9], s[10:11]
	v_cmp_eq_f64_e64 s[8:9], 0, v[25:26]
	v_cmp_eq_f64_e64 s[10:11], 0, v[27:28]
	v_cmp_eq_u32_e32 vcc, 0, v0
	;; [unrolled: 6-line block ×11, first 2 shown]
	s_and_b64 s[12:13], s[12:13], vcc
	v_cndmask_b32_e64 v0, v0, 45, s[12:13]
	s_and_b64 s[12:13], s[8:9], s[10:11]
	v_cmp_eq_u32_e32 vcc, 0, v0
	s_and_b64 s[12:13], s[12:13], vcc
	v_cmp_eq_f64_e64 s[8:9], 0, v[65:66]
	v_cmp_eq_f64_e64 s[10:11], 0, v[67:68]
	v_cndmask_b32_e64 v0, v0, 46, s[12:13]
	s_and_b64 s[4:5], s[4:5], s[6:7]
	v_cmp_eq_u32_e32 vcc, 0, v0
	s_and_b64 s[4:5], s[4:5], vcc
	v_cndmask_b32_e64 v0, v0, 47, s[4:5]
	v_cmp_eq_f64_e32 vcc, 0, v[69:70]
	v_cmp_eq_f64_e64 s[4:5], 0, v[71:72]
	s_and_b64 s[12:13], s[8:9], s[10:11]
	v_cmp_eq_f64_e64 s[8:9], 0, v[73:74]
	v_cmp_eq_f64_e64 s[10:11], 0, v[75:76]
	v_cmp_eq_u32_e64 s[6:7], 0, v0
	s_and_b64 s[6:7], s[12:13], s[6:7]
	v_cndmask_b32_e64 v0, v0, 48, s[6:7]
	v_cmp_eq_f64_e64 s[6:7], 0, v[79:80]
	s_and_b64 s[12:13], vcc, s[4:5]
	v_cmp_eq_f64_e64 s[4:5], 0, v[77:78]
	v_cmp_eq_u32_e32 vcc, 0, v0
	s_and_b64 s[12:13], s[12:13], vcc
	v_cndmask_b32_e64 v0, v0, 49, s[12:13]
	s_and_b64 s[12:13], s[8:9], s[10:11]
	v_cmp_eq_f64_e64 s[8:9], 0, v[81:82]
	v_cmp_eq_f64_e64 s[10:11], 0, v[83:84]
	v_cmp_eq_u32_e32 vcc, 0, v0
	s_and_b64 s[12:13], s[12:13], vcc
	v_cndmask_b32_e64 v0, v0, 50, s[12:13]
	s_and_b64 s[12:13], s[4:5], s[6:7]
	v_cmp_eq_f64_e64 s[4:5], 0, v[85:86]
	;; [unrolled: 6-line block ×9, first 2 shown]
	v_cmp_eq_f64_e64 s[10:11], 0, v[115:116]
	v_cmp_eq_u32_e32 vcc, 0, v0
	s_and_b64 s[12:13], s[12:13], vcc
	v_cndmask_b32_e64 v0, v0, 58, s[12:13]
	s_and_b64 s[12:13], s[4:5], s[6:7]
	v_cmp_eq_f64_e32 vcc, 0, v[117:118]
	v_cmp_eq_f64_e64 s[4:5], 0, v[119:120]
	v_cmp_eq_u32_e64 s[6:7], 0, v0
	s_and_b64 s[6:7], s[12:13], s[6:7]
	v_cndmask_b32_e64 v0, v0, 59, s[6:7]
	s_and_b64 s[8:9], s[8:9], s[10:11]
	v_cmp_eq_u32_e64 s[6:7], 0, v0
	s_and_b64 s[6:7], s[8:9], s[6:7]
	v_cndmask_b32_e64 v0, v0, 60, s[6:7]
	s_and_b64 s[4:5], vcc, s[4:5]
	v_cmp_eq_u32_e32 vcc, 0, v0
	s_and_b64 s[4:5], s[4:5], vcc
	v_cndmask_b32_e64 v0, v0, 61, s[4:5]
	v_readlane_b32 s6, v127, 28
	s_waitcnt vmcnt(0)
	v_cmp_eq_u32_e32 vcc, 0, v1
	v_cmp_ne_u32_e64 s[4:5], 0, v0
	v_readlane_b32 s7, v127, 29
	s_and_b64 s[4:5], vcc, s[4:5]
	s_and_b64 exec, exec, s[4:5]
	s_cbranch_execz .LBB121_658
; %bb.657:
	v_add_u32_e32 v0, s75, v0
	global_store_dword v[123:124], v0, off
.LBB121_658:
	s_or_b64 exec, exec, s[6:7]
	buffer_load_dword v0, off, s[0:3], 0
	buffer_load_dword v1, off, s[0:3], 0 offset:4
	buffer_load_dword v2, off, s[0:3], 0 offset:8
	;; [unrolled: 1-line block ×3, first 2 shown]
	v_readlane_b32 s4, v126, 0
	s_waitcnt vmcnt(0)
	global_store_dwordx4 v[121:122], v[0:3], off
	s_nop 0
	v_mov_b32_e32 v3, s94
	buffer_load_dword v0, v3, s[0:3], 0 offen
	buffer_load_dword v1, v3, s[0:3], 0 offen offset:4
	buffer_load_dword v2, v3, s[0:3], 0 offen offset:8
	s_nop 0
	buffer_load_dword v3, v3, s[0:3], 0 offen offset:12
	s_nop 0
	buffer_load_dword v4, off, s[0:3], 0 offset:976 ; 4-byte Folded Reload
	buffer_load_dword v5, off, s[0:3], 0 offset:980 ; 4-byte Folded Reload
	s_waitcnt vmcnt(0)
	global_store_dwordx4 v[4:5], v[0:3], off
	s_nop 0
	v_mov_b32_e32 v3, s93
	buffer_load_dword v0, v3, s[0:3], 0 offen
	buffer_load_dword v1, v3, s[0:3], 0 offen offset:4
	buffer_load_dword v2, v3, s[0:3], 0 offen offset:8
	s_nop 0
	buffer_load_dword v3, v3, s[0:3], 0 offen offset:12
	s_nop 0
	buffer_load_dword v4, off, s[0:3], 0 offset:984 ; 4-byte Folded Reload
	buffer_load_dword v5, off, s[0:3], 0 offset:988 ; 4-byte Folded Reload
	;; [unrolled: 12-line block ×16, first 2 shown]
	v_readlane_b32 s4, v126, 1
	s_waitcnt vmcnt(0)
	global_store_dwordx4 v[4:5], v[0:3], off
	s_nop 0
	v_mov_b32_e32 v3, s77
	buffer_load_dword v0, v3, s[0:3], 0 offen
	buffer_load_dword v1, v3, s[0:3], 0 offen offset:4
	buffer_load_dword v2, v3, s[0:3], 0 offen offset:8
	s_nop 0
	buffer_load_dword v3, v3, s[0:3], 0 offen offset:12
	s_nop 0
	buffer_load_dword v4, off, s[0:3], 0 offset:1104 ; 4-byte Folded Reload
	buffer_load_dword v5, off, s[0:3], 0 offset:1108 ; 4-byte Folded Reload
	s_waitcnt vmcnt(0)
	global_store_dwordx4 v[4:5], v[0:3], off
	s_nop 0
	v_mov_b32_e32 v3, s76
	buffer_load_dword v0, v3, s[0:3], 0 offen
	buffer_load_dword v1, v3, s[0:3], 0 offen offset:4
	buffer_load_dword v2, v3, s[0:3], 0 offen offset:8
	s_nop 0
	buffer_load_dword v3, v3, s[0:3], 0 offen offset:12
	s_nop 0
	buffer_load_dword v4, off, s[0:3], 0 offset:1112 ; 4-byte Folded Reload
	buffer_load_dword v5, off, s[0:3], 0 offset:1116 ; 4-byte Folded Reload
	;; [unrolled: 12-line block ×4, first 2 shown]
	v_readlane_b32 s4, v126, 2
	s_waitcnt vmcnt(0)
	global_store_dwordx4 v[4:5], v[0:3], off
	s_nop 0
	v_mov_b32_e32 v3, s4
	buffer_load_dword v0, v3, s[0:3], 0 offen
	buffer_load_dword v1, v3, s[0:3], 0 offen offset:4
	buffer_load_dword v2, v3, s[0:3], 0 offen offset:8
	s_nop 0
	buffer_load_dword v3, v3, s[0:3], 0 offen offset:12
	s_nop 0
	buffer_load_dword v4, off, s[0:3], 0 offset:1128 ; 4-byte Folded Reload
	buffer_load_dword v5, off, s[0:3], 0 offset:1132 ; 4-byte Folded Reload
	v_readlane_b32 s4, v126, 3
	s_waitcnt vmcnt(0)
	global_store_dwordx4 v[4:5], v[0:3], off
	s_nop 0
	v_mov_b32_e32 v3, s4
	buffer_load_dword v0, v3, s[0:3], 0 offen
	buffer_load_dword v1, v3, s[0:3], 0 offen offset:4
	buffer_load_dword v2, v3, s[0:3], 0 offen offset:8
	s_nop 0
	buffer_load_dword v3, v3, s[0:3], 0 offen offset:12
	s_nop 0
	buffer_load_dword v4, off, s[0:3], 0 offset:1144 ; 4-byte Folded Reload
	buffer_load_dword v5, off, s[0:3], 0 offset:1148 ; 4-byte Folded Reload
	;; [unrolled: 13-line block ×4, first 2 shown]
	s_waitcnt vmcnt(0)
	global_store_dwordx4 v[4:5], v[0:3], off
	s_nop 0
	v_mov_b32_e32 v3, s4
	buffer_load_dword v0, v3, s[0:3], 0 offen
	buffer_load_dword v1, v3, s[0:3], 0 offen offset:4
	buffer_load_dword v2, v3, s[0:3], 0 offen offset:8
	s_nop 0
	buffer_load_dword v3, v3, s[0:3], 0 offen offset:12
	s_nop 0
	buffer_load_dword v4, off, s[0:3], 0 offset:1168 ; 4-byte Folded Reload
	buffer_load_dword v5, off, s[0:3], 0 offset:1172 ; 4-byte Folded Reload
	v_readlane_b32 s4, v126, 6
	s_waitcnt vmcnt(0)
	global_store_dwordx4 v[4:5], v[0:3], off
	s_nop 0
	v_mov_b32_e32 v3, s4
	buffer_load_dword v0, v3, s[0:3], 0 offen
	buffer_load_dword v1, v3, s[0:3], 0 offen offset:4
	buffer_load_dword v2, v3, s[0:3], 0 offen offset:8
	s_nop 0
	buffer_load_dword v3, v3, s[0:3], 0 offen offset:12
	s_nop 0
	buffer_load_dword v4, off, s[0:3], 0 offset:1176 ; 4-byte Folded Reload
	buffer_load_dword v5, off, s[0:3], 0 offset:1180 ; 4-byte Folded Reload
	v_readlane_b32 s4, v126, 7
	;; [unrolled: 13-line block ×4, first 2 shown]
	s_waitcnt vmcnt(0)
	global_store_dwordx4 v[4:5], v[0:3], off
	s_nop 0
	v_mov_b32_e32 v3, s72
	buffer_load_dword v0, v3, s[0:3], 0 offen
	buffer_load_dword v1, v3, s[0:3], 0 offen offset:4
	buffer_load_dword v2, v3, s[0:3], 0 offen offset:8
	s_nop 0
	buffer_load_dword v3, v3, s[0:3], 0 offen offset:12
	s_nop 0
	buffer_load_dword v4, off, s[0:3], 0 offset:1192 ; 4-byte Folded Reload
	buffer_load_dword v5, off, s[0:3], 0 offset:1196 ; 4-byte Folded Reload
	s_waitcnt vmcnt(0)
	global_store_dwordx4 v[4:5], v[0:3], off
	s_nop 0
	v_mov_b32_e32 v3, s4
	buffer_load_dword v0, v3, s[0:3], 0 offen
	buffer_load_dword v1, v3, s[0:3], 0 offen offset:4
	buffer_load_dword v2, v3, s[0:3], 0 offen offset:8
	s_nop 0
	buffer_load_dword v3, v3, s[0:3], 0 offen offset:12
	s_nop 0
	buffer_load_dword v4, off, s[0:3], 0 offset:1208 ; 4-byte Folded Reload
	buffer_load_dword v5, off, s[0:3], 0 offset:1212 ; 4-byte Folded Reload
	v_readlane_b32 s4, v126, 10
	s_waitcnt vmcnt(0)
	global_store_dwordx4 v[4:5], v[0:3], off
	s_nop 0
	v_mov_b32_e32 v3, s70
	buffer_load_dword v0, v3, s[0:3], 0 offen
	buffer_load_dword v1, v3, s[0:3], 0 offen offset:4
	buffer_load_dword v2, v3, s[0:3], 0 offen offset:8
	s_nop 0
	buffer_load_dword v3, v3, s[0:3], 0 offen offset:12
	s_nop 0
	buffer_load_dword v4, off, s[0:3], 0 offset:1216 ; 4-byte Folded Reload
	buffer_load_dword v5, off, s[0:3], 0 offset:1220 ; 4-byte Folded Reload
	s_waitcnt vmcnt(0)
	global_store_dwordx4 v[4:5], v[0:3], off
	v_mov_b32_e32 v4, s4
	buffer_load_dword v0, v4, s[0:3], 0 offen
	buffer_load_dword v1, v4, s[0:3], 0 offen offset:4
	buffer_load_dword v2, v4, s[0:3], 0 offen offset:8
	;; [unrolled: 1-line block ×3, first 2 shown]
                                        ; kill: killed $vgpr4
	s_nop 0
	buffer_load_dword v4, off, s[0:3], 0 offset:1224 ; 4-byte Folded Reload
	buffer_load_dword v5, off, s[0:3], 0 offset:1228 ; 4-byte Folded Reload
	v_readlane_b32 s4, v126, 11
	s_waitcnt vmcnt(0)
	global_store_dwordx4 v[4:5], v[0:3], off
	v_mov_b32_e32 v4, s4
	buffer_load_dword v0, v4, s[0:3], 0 offen
	buffer_load_dword v1, v4, s[0:3], 0 offen offset:4
	buffer_load_dword v2, v4, s[0:3], 0 offen offset:8
	buffer_load_dword v3, v4, s[0:3], 0 offen offset:12
                                        ; kill: killed $vgpr4
	s_nop 0
	buffer_load_dword v4, off, s[0:3], 0 offset:1232 ; 4-byte Folded Reload
	buffer_load_dword v5, off, s[0:3], 0 offset:1236 ; 4-byte Folded Reload
	v_readlane_b32 s4, v126, 12
	s_waitcnt vmcnt(0)
	global_store_dwordx4 v[4:5], v[0:3], off
	v_mov_b32_e32 v4, s40
	buffer_load_dword v0, v4, s[0:3], 0 offen
	buffer_load_dword v1, v4, s[0:3], 0 offen offset:4
	buffer_load_dword v2, v4, s[0:3], 0 offen offset:8
	buffer_load_dword v3, v4, s[0:3], 0 offen offset:12
                                        ; kill: killed $vgpr4
	s_nop 0
	buffer_load_dword v4, off, s[0:3], 0 offset:1240 ; 4-byte Folded Reload
	buffer_load_dword v5, off, s[0:3], 0 offset:1244 ; 4-byte Folded Reload
	s_waitcnt vmcnt(0)
	global_store_dwordx4 v[4:5], v[0:3], off
	v_mov_b32_e32 v4, s4
	buffer_load_dword v0, v4, s[0:3], 0 offen
	buffer_load_dword v1, v4, s[0:3], 0 offen offset:4
	buffer_load_dword v2, v4, s[0:3], 0 offen offset:8
	buffer_load_dword v3, v4, s[0:3], 0 offen offset:12
                                        ; kill: killed $vgpr4
	s_nop 0
	buffer_load_dword v4, off, s[0:3], 0 offset:1248 ; 4-byte Folded Reload
	buffer_load_dword v5, off, s[0:3], 0 offset:1252 ; 4-byte Folded Reload
	v_readlane_b32 s4, v126, 13
	s_waitcnt vmcnt(0)
	global_store_dwordx4 v[4:5], v[0:3], off
	v_mov_b32_e32 v4, s38
	buffer_load_dword v0, v4, s[0:3], 0 offen
	buffer_load_dword v1, v4, s[0:3], 0 offen offset:4
	buffer_load_dword v2, v4, s[0:3], 0 offen offset:8
	buffer_load_dword v3, v4, s[0:3], 0 offen offset:12
                                        ; kill: killed $vgpr4
	s_nop 0
	buffer_load_dword v4, off, s[0:3], 0 offset:1256 ; 4-byte Folded Reload
	buffer_load_dword v5, off, s[0:3], 0 offset:1260 ; 4-byte Folded Reload
	;; [unrolled: 23-line block ×11, first 2 shown]
	s_waitcnt vmcnt(0)
	global_store_dwordx4 v[4:5], v[0:3], off
	v_mov_b32_e32 v4, s4
	buffer_load_dword v0, v4, s[0:3], 0 offen
	buffer_load_dword v1, v4, s[0:3], 0 offen offset:4
	buffer_load_dword v2, v4, s[0:3], 0 offen offset:8
	buffer_load_dword v3, v4, s[0:3], 0 offen offset:12
                                        ; kill: killed $vgpr4
	s_nop 0
	buffer_load_dword v4, off, s[0:3], 0 offset:1408 ; 4-byte Folded Reload
	buffer_load_dword v5, off, s[0:3], 0 offset:1412 ; 4-byte Folded Reload
	s_waitcnt vmcnt(0)
	global_store_dwordx4 v[4:5], v[0:3], off
	v_mov_b32_e32 v4, s16
	buffer_load_dword v0, v4, s[0:3], 0 offen
	buffer_load_dword v1, v4, s[0:3], 0 offen offset:4
	buffer_load_dword v2, v4, s[0:3], 0 offen offset:8
	buffer_load_dword v3, v4, s[0:3], 0 offen offset:12
                                        ; kill: killed $vgpr4
	s_nop 0
	buffer_load_dword v4, off, s[0:3], 0 offset:1432 ; 4-byte Folded Reload
	buffer_load_dword v5, off, s[0:3], 0 offset:1436 ; 4-byte Folded Reload
	;; [unrolled: 11-line block ×6, first 2 shown]
	s_waitcnt vmcnt(0)
	global_store_dwordx4 v[4:5], v[0:3], off
.LBB121_659:
	s_endpgm
	.section	.rodata,"a",@progbits
	.p2align	6, 0x0
	.amdhsa_kernel _ZN9rocsolver6v33100L23getf2_npvt_small_kernelILi61E19rocblas_complex_numIdEiiPS3_EEvT1_T3_lS5_lPT2_S5_S5_
		.amdhsa_group_segment_fixed_size 0
		.amdhsa_private_segment_fixed_size 2016
		.amdhsa_kernarg_size 312
		.amdhsa_user_sgpr_count 6
		.amdhsa_user_sgpr_private_segment_buffer 1
		.amdhsa_user_sgpr_dispatch_ptr 0
		.amdhsa_user_sgpr_queue_ptr 0
		.amdhsa_user_sgpr_kernarg_segment_ptr 1
		.amdhsa_user_sgpr_dispatch_id 0
		.amdhsa_user_sgpr_flat_scratch_init 0
		.amdhsa_user_sgpr_private_segment_size 0
		.amdhsa_uses_dynamic_stack 0
		.amdhsa_system_sgpr_private_segment_wavefront_offset 1
		.amdhsa_system_sgpr_workgroup_id_x 1
		.amdhsa_system_sgpr_workgroup_id_y 1
		.amdhsa_system_sgpr_workgroup_id_z 0
		.amdhsa_system_sgpr_workgroup_info 0
		.amdhsa_system_vgpr_workitem_id 1
		.amdhsa_next_free_vgpr 128
		.amdhsa_next_free_sgpr 100
		.amdhsa_reserve_vcc 1
		.amdhsa_reserve_flat_scratch 0
		.amdhsa_float_round_mode_32 0
		.amdhsa_float_round_mode_16_64 0
		.amdhsa_float_denorm_mode_32 3
		.amdhsa_float_denorm_mode_16_64 3
		.amdhsa_dx10_clamp 1
		.amdhsa_ieee_mode 1
		.amdhsa_fp16_overflow 0
		.amdhsa_exception_fp_ieee_invalid_op 0
		.amdhsa_exception_fp_denorm_src 0
		.amdhsa_exception_fp_ieee_div_zero 0
		.amdhsa_exception_fp_ieee_overflow 0
		.amdhsa_exception_fp_ieee_underflow 0
		.amdhsa_exception_fp_ieee_inexact 0
		.amdhsa_exception_int_div_zero 0
	.end_amdhsa_kernel
	.section	.text._ZN9rocsolver6v33100L23getf2_npvt_small_kernelILi61E19rocblas_complex_numIdEiiPS3_EEvT1_T3_lS5_lPT2_S5_S5_,"axG",@progbits,_ZN9rocsolver6v33100L23getf2_npvt_small_kernelILi61E19rocblas_complex_numIdEiiPS3_EEvT1_T3_lS5_lPT2_S5_S5_,comdat
.Lfunc_end121:
	.size	_ZN9rocsolver6v33100L23getf2_npvt_small_kernelILi61E19rocblas_complex_numIdEiiPS3_EEvT1_T3_lS5_lPT2_S5_S5_, .Lfunc_end121-_ZN9rocsolver6v33100L23getf2_npvt_small_kernelILi61E19rocblas_complex_numIdEiiPS3_EEvT1_T3_lS5_lPT2_S5_S5_
                                        ; -- End function
	.set _ZN9rocsolver6v33100L23getf2_npvt_small_kernelILi61E19rocblas_complex_numIdEiiPS3_EEvT1_T3_lS5_lPT2_S5_S5_.num_vgpr, 128
	.set _ZN9rocsolver6v33100L23getf2_npvt_small_kernelILi61E19rocblas_complex_numIdEiiPS3_EEvT1_T3_lS5_lPT2_S5_S5_.num_agpr, 0
	.set _ZN9rocsolver6v33100L23getf2_npvt_small_kernelILi61E19rocblas_complex_numIdEiiPS3_EEvT1_T3_lS5_lPT2_S5_S5_.numbered_sgpr, 100
	.set _ZN9rocsolver6v33100L23getf2_npvt_small_kernelILi61E19rocblas_complex_numIdEiiPS3_EEvT1_T3_lS5_lPT2_S5_S5_.num_named_barrier, 0
	.set _ZN9rocsolver6v33100L23getf2_npvt_small_kernelILi61E19rocblas_complex_numIdEiiPS3_EEvT1_T3_lS5_lPT2_S5_S5_.private_seg_size, 2016
	.set _ZN9rocsolver6v33100L23getf2_npvt_small_kernelILi61E19rocblas_complex_numIdEiiPS3_EEvT1_T3_lS5_lPT2_S5_S5_.uses_vcc, 1
	.set _ZN9rocsolver6v33100L23getf2_npvt_small_kernelILi61E19rocblas_complex_numIdEiiPS3_EEvT1_T3_lS5_lPT2_S5_S5_.uses_flat_scratch, 0
	.set _ZN9rocsolver6v33100L23getf2_npvt_small_kernelILi61E19rocblas_complex_numIdEiiPS3_EEvT1_T3_lS5_lPT2_S5_S5_.has_dyn_sized_stack, 0
	.set _ZN9rocsolver6v33100L23getf2_npvt_small_kernelILi61E19rocblas_complex_numIdEiiPS3_EEvT1_T3_lS5_lPT2_S5_S5_.has_recursion, 0
	.set _ZN9rocsolver6v33100L23getf2_npvt_small_kernelILi61E19rocblas_complex_numIdEiiPS3_EEvT1_T3_lS5_lPT2_S5_S5_.has_indirect_call, 0
	.section	.AMDGPU.csdata,"",@progbits
; Kernel info:
; codeLenInByte = 188396
; TotalNumSgprs: 104
; NumVgprs: 128
; ScratchSize: 2016
; MemoryBound: 0
; FloatMode: 240
; IeeeMode: 1
; LDSByteSize: 0 bytes/workgroup (compile time only)
; SGPRBlocks: 12
; VGPRBlocks: 31
; NumSGPRsForWavesPerEU: 104
; NumVGPRsForWavesPerEU: 128
; Occupancy: 2
; WaveLimiterHint : 1
; COMPUTE_PGM_RSRC2:SCRATCH_EN: 1
; COMPUTE_PGM_RSRC2:USER_SGPR: 6
; COMPUTE_PGM_RSRC2:TRAP_HANDLER: 0
; COMPUTE_PGM_RSRC2:TGID_X_EN: 1
; COMPUTE_PGM_RSRC2:TGID_Y_EN: 1
; COMPUTE_PGM_RSRC2:TGID_Z_EN: 0
; COMPUTE_PGM_RSRC2:TIDIG_COMP_CNT: 1
	.section	.text._ZN9rocsolver6v33100L18getf2_small_kernelILi62E19rocblas_complex_numIdEiiPS3_EEvT1_T3_lS5_lPS5_llPT2_S5_S5_S7_l,"axG",@progbits,_ZN9rocsolver6v33100L18getf2_small_kernelILi62E19rocblas_complex_numIdEiiPS3_EEvT1_T3_lS5_lPS5_llPT2_S5_S5_S7_l,comdat
	.globl	_ZN9rocsolver6v33100L18getf2_small_kernelILi62E19rocblas_complex_numIdEiiPS3_EEvT1_T3_lS5_lPS5_llPT2_S5_S5_S7_l ; -- Begin function _ZN9rocsolver6v33100L18getf2_small_kernelILi62E19rocblas_complex_numIdEiiPS3_EEvT1_T3_lS5_lPS5_llPT2_S5_S5_S7_l
	.p2align	8
	.type	_ZN9rocsolver6v33100L18getf2_small_kernelILi62E19rocblas_complex_numIdEiiPS3_EEvT1_T3_lS5_lPS5_llPT2_S5_S5_S7_l,@function
_ZN9rocsolver6v33100L18getf2_small_kernelILi62E19rocblas_complex_numIdEiiPS3_EEvT1_T3_lS5_lPS5_llPT2_S5_S5_S7_l: ; @_ZN9rocsolver6v33100L18getf2_small_kernelILi62E19rocblas_complex_numIdEiiPS3_EEvT1_T3_lS5_lPS5_llPT2_S5_S5_S7_l
; %bb.0:
	s_load_dword s6, s[4:5], 0x6c
	s_load_dwordx2 s[12:13], s[4:5], 0x48
	s_add_u32 s0, s0, s8
	s_addc_u32 s1, s1, 0
	s_waitcnt lgkmcnt(0)
	s_lshr_b32 s6, s6, 16
	s_mul_i32 s7, s7, s6
	v_add_u32_e32 v6, s7, v1
	v_cmp_gt_i32_e32 vcc, s12, v6
	s_and_saveexec_b64 s[6:7], vcc
	s_cbranch_execnz .LBB122_1
; %bb.1418:
	s_getpc_b64 s[98:99]
.Lpost_getpc36:
	s_add_u32 s98, s98, (.LBB122_1417-.Lpost_getpc36)&4294967295
	s_addc_u32 s99, s99, (.LBB122_1417-.Lpost_getpc36)>>32
	s_setpc_b64 s[98:99]
.LBB122_1:
	s_load_dwordx4 s[8:11], s[4:5], 0x50
	v_mov_b32_e32 v8, 0
	v_ashrrev_i32_e32 v7, 31, v6
	v_mov_b32_e32 v9, 0
	s_waitcnt lgkmcnt(0)
	s_cmp_eq_u64 s[8:9], 0
	s_cselect_b64 s[22:23], -1, 0
	s_and_b64 vcc, exec, s[22:23]
	s_cbranch_vccnz .LBB122_3
; %bb.2:
	v_mul_lo_u32 v4, s11, v6
	v_mul_lo_u32 v5, s10, v7
	v_mad_u64_u32 v[2:3], s[6:7], s10, v6, 0
	v_add3_u32 v3, v3, v5, v4
	v_lshlrev_b64 v[2:3], 2, v[2:3]
	v_mov_b32_e32 v4, s9
	v_add_co_u32_e32 v8, vcc, s8, v2
	v_addc_co_u32_e32 v9, vcc, v4, v3, vcc
.LBB122_3:
	s_load_dwordx8 s[24:31], s[4:5], 0x20
	s_load_dwordx4 s[16:19], s[4:5], 0x8
                                        ; implicit-def: $vgpr61 : SGPR spill to VGPR lane
	v_lshlrev_b32_e32 v11, 4, v0
	s_movk_i32 s20, 0x80
	s_movk_i32 s33, 0x110
	s_waitcnt lgkmcnt(0)
	s_mov_b64 s[8:9], s[28:29]
	s_mov_b64 s[10:11], s[30:31]
	;; [unrolled: 1-line block ×3, first 2 shown]
	v_writelane_b32 v61, s4, 0
	v_writelane_b32 v61, s5, 1
	;; [unrolled: 1-line block ×7, first 2 shown]
	v_mul_lo_u32 v4, s25, v6
	v_mul_lo_u32 v5, s24, v7
	v_writelane_b32 v61, s11, 7
	v_mad_u64_u32 v[2:3], s[6:7], s24, v6, 0
	s_load_dword s6, s[4:5], 0x18
	s_load_dword s65, s[4:5], 0x0
	v_mov_b32_e32 v10, s17
	v_add3_u32 v3, v3, v5, v4
	v_lshlrev_b64 v[2:3], 4, v[2:3]
	s_lshl_b64 s[8:9], s[18:19], 4
	v_add_co_u32_e32 v2, vcc, s16, v2
	v_addc_co_u32_e32 v3, vcc, v10, v3, vcc
	v_mov_b32_e32 v4, s9
	v_add_co_u32_e32 v14, vcc, s8, v2
	s_waitcnt lgkmcnt(0)
	s_add_i32 s7, s6, s6
	v_addc_co_u32_e32 v15, vcc, v3, v4, vcc
	v_add_u32_e32 v2, s7, v0
	v_add_co_u32_e32 v12, vcc, v14, v11
	v_add_u32_e32 v4, s6, v2
	v_addc_co_u32_e32 v13, vcc, 0, v15, vcc
	v_ashrrev_i32_e32 v5, 31, v4
	global_load_dwordx4 v[16:19], v[12:13], off
	v_lshlrev_b64 v[20:21], 4, v[4:5]
	v_add_u32_e32 v4, s6, v4
	v_add_co_u32_e32 v20, vcc, v14, v20
	v_addc_co_u32_e32 v21, vcc, v15, v21, vcc
	global_load_dwordx4 v[20:23], v[20:21], off
	v_ashrrev_i32_e32 v5, 31, v4
	v_add_u32_e32 v24, s6, v4
	v_lshlrev_b64 v[4:5], 4, v[4:5]
	v_ashrrev_i32_e32 v25, 31, v24
	v_add_co_u32_e32 v4, vcc, v14, v4
	v_addc_co_u32_e32 v5, vcc, v15, v5, vcc
	v_add_u32_e32 v28, s6, v24
	v_lshlrev_b64 v[30:31], 4, v[24:25]
	global_load_dwordx4 v[24:27], v[4:5], off
	v_ashrrev_i32_e32 v3, 31, v2
	v_lshlrev_b64 v[2:3], 4, v[2:3]
	v_ashrrev_i32_e32 v29, 31, v28
	v_add_co_u32_e32 v46, vcc, v14, v2
	v_addc_co_u32_e32 v47, vcc, v15, v3, vcc
	v_add_u32_e32 v4, s6, v28
	v_lshlrev_b64 v[28:29], 4, v[28:29]
	v_add_co_u32_e32 v38, vcc, v14, v30
	v_addc_co_u32_e32 v39, vcc, v15, v31, vcc
	v_writelane_b32 v61, s7, 8
	s_ashr_i32 s7, s6, 31
	v_add_co_u32_e32 v40, vcc, v14, v28
	s_lshl_b64 s[8:9], s[6:7], 4
	v_ashrrev_i32_e32 v5, 31, v4
	v_addc_co_u32_e32 v41, vcc, v15, v29, vcc
	v_mov_b32_e32 v10, s9
	v_add_u32_e32 v44, s6, v4
	v_lshlrev_b64 v[36:37], 4, v[4:5]
	global_load_dwordx4 v[2:5], v[12:13], off
	v_writelane_b32 v61, s8, 9
	v_add_co_u32_e32 v12, vcc, s8, v12
	v_ashrrev_i32_e32 v45, 31, v44
	v_addc_co_u32_e32 v13, vcc, v13, v10, vcc
	v_lshlrev_b64 v[48:49], 4, v[44:45]
	v_add_co_u32_e32 v50, vcc, v14, v36
	v_addc_co_u32_e32 v51, vcc, v15, v37, vcc
	global_load_dwordx4 v[28:31], v[38:39], off
	global_load_dwordx4 v[32:35], v[40:41], off
	s_nop 0
	global_load_dwordx4 v[36:39], v[12:13], off
	global_load_dwordx4 v[40:43], v[46:47], off
	v_add_co_u32_e32 v12, vcc, v14, v48
	v_addc_co_u32_e32 v13, vcc, v15, v49, vcc
	s_max_i32 s7, s65, 62
	s_load_dwordx2 s[4:5], s[4:5], 0x40
	v_writelane_b32 v61, s9, 10
	v_mov_b32_e32 v10, 0
	s_waitcnt vmcnt(7)
	buffer_store_dword v19, off, s[0:3], 0 offset:12
	buffer_store_dword v18, off, s[0:3], 0 offset:8
	;; [unrolled: 1-line block ×3, first 2 shown]
	buffer_store_dword v16, off, s[0:3], 0
	s_waitcnt vmcnt(10)
	buffer_store_dword v23, off, s[0:3], 0 offset:60
	buffer_store_dword v22, off, s[0:3], 0 offset:56
	;; [unrolled: 1-line block ×4, first 2 shown]
	global_load_dwordx4 v[16:19], v[50:51], off
	s_nop 0
	global_load_dwordx4 v[20:23], v[12:13], off
	v_add_u32_e32 v12, s6, v44
	v_ashrrev_i32_e32 v13, 31, v12
	v_lshlrev_b64 v[44:45], 4, v[12:13]
	v_add_u32_e32 v12, s6, v12
	v_add_co_u32_e32 v52, vcc, v14, v44
	v_ashrrev_i32_e32 v13, 31, v12
	v_addc_co_u32_e32 v53, vcc, v15, v45, vcc
	v_lshlrev_b64 v[44:45], 4, v[12:13]
	v_add_u32_e32 v12, s6, v12
	v_add_co_u32_e32 v54, vcc, v14, v44
	v_addc_co_u32_e32 v55, vcc, v15, v45, vcc
	global_load_dwordx4 v[44:47], v[52:53], off
	global_load_dwordx4 v[48:51], v[54:55], off
	v_ashrrev_i32_e32 v13, 31, v12
	v_lshlrev_b64 v[52:53], 4, v[12:13]
	v_add_u32_e32 v12, s6, v12
	v_add_co_u32_e32 v52, vcc, v14, v52
	v_addc_co_u32_e32 v53, vcc, v15, v53, vcc
	v_ashrrev_i32_e32 v13, 31, v12
	v_lshlrev_b64 v[56:57], 4, v[12:13]
	global_load_dwordx4 v[52:55], v[52:53], off
	v_add_co_u32_e32 v56, vcc, v14, v56
	v_addc_co_u32_e32 v57, vcc, v15, v57, vcc
	global_load_dwordx4 v[56:59], v[56:57], off
	v_add_u32_e32 v12, s6, v12
	v_ashrrev_i32_e32 v13, 31, v12
	s_waitcnt vmcnt(19)
	buffer_store_dword v27, off, s[0:3], 0 offset:76
	buffer_store_dword v26, off, s[0:3], 0 offset:72
	;; [unrolled: 1-line block ×4, first 2 shown]
	v_lshlrev_b64 v[24:25], 4, v[12:13]
	v_add_u32_e32 v12, s6, v12
	v_add_co_u32_e32 v24, vcc, v14, v24
	v_addc_co_u32_e32 v25, vcc, v15, v25, vcc
	global_load_dwordx4 v[24:27], v[24:25], off
	v_ashrrev_i32_e32 v13, 31, v12
	s_waitcnt lgkmcnt(0)
	v_writelane_b32 v61, s4, 11
	s_movk_i32 s18, 0x60
	s_movk_i32 s19, 0x70
	;; [unrolled: 1-line block ×26, first 2 shown]
	s_waitcnt vmcnt(20)
	buffer_store_dword v39, off, s[0:3], 0 offset:28
	buffer_store_dword v38, off, s[0:3], 0 offset:24
	buffer_store_dword v37, off, s[0:3], 0 offset:20
	buffer_store_dword v36, off, s[0:3], 0 offset:16
	s_waitcnt vmcnt(23)
	buffer_store_dword v43, off, s[0:3], 0 offset:44
	buffer_store_dword v42, off, s[0:3], 0 offset:40
	;; [unrolled: 1-line block ×12, first 2 shown]
	s_waitcnt vmcnt(26)
	buffer_store_dword v19, off, s[0:3], 0 offset:124
	buffer_store_dword v18, off, s[0:3], 0 offset:120
	buffer_store_dword v17, off, s[0:3], 0 offset:116
	buffer_store_dword v16, off, s[0:3], 0 offset:112
	s_waitcnt vmcnt(29)
	buffer_store_dword v23, off, s[0:3], 0 offset:140
	buffer_store_dword v22, off, s[0:3], 0 offset:136
	buffer_store_dword v21, off, s[0:3], 0 offset:132
	buffer_store_dword v20, off, s[0:3], 0 offset:128
	;; [unrolled: 5-line block ×6, first 2 shown]
	v_lshlrev_b64 v[16:17], 4, v[12:13]
	v_add_u32_e32 v12, s6, v12
	v_add_co_u32_e32 v16, vcc, v14, v16
	v_addc_co_u32_e32 v17, vcc, v15, v17, vcc
	global_load_dwordx4 v[16:19], v[16:17], off
	v_ashrrev_i32_e32 v13, 31, v12
	v_lshlrev_b64 v[20:21], 4, v[12:13]
	v_add_u32_e32 v12, s6, v12
	v_add_co_u32_e32 v28, vcc, v14, v20
	v_ashrrev_i32_e32 v13, 31, v12
	v_addc_co_u32_e32 v29, vcc, v15, v21, vcc
	v_lshlrev_b64 v[20:21], 4, v[12:13]
	v_add_u32_e32 v12, s6, v12
	s_waitcnt vmcnt(41)
	buffer_store_dword v27, off, s[0:3], 0 offset:220
	buffer_store_dword v26, off, s[0:3], 0 offset:216
	;; [unrolled: 1-line block ×4, first 2 shown]
	v_add_co_u32_e32 v30, vcc, v14, v20
	v_ashrrev_i32_e32 v13, 31, v12
	v_addc_co_u32_e32 v31, vcc, v15, v21, vcc
	global_load_dwordx4 v[20:23], v[28:29], off
	global_load_dwordx4 v[24:27], v[30:31], off
	v_lshlrev_b64 v[28:29], 4, v[12:13]
	v_add_u32_e32 v12, s6, v12
	v_add_co_u32_e32 v36, vcc, v14, v28
	v_ashrrev_i32_e32 v13, 31, v12
	v_addc_co_u32_e32 v37, vcc, v15, v29, vcc
	v_lshlrev_b64 v[28:29], 4, v[12:13]
	v_add_u32_e32 v12, s6, v12
	v_add_co_u32_e32 v38, vcc, v14, v28
	v_ashrrev_i32_e32 v13, 31, v12
	v_addc_co_u32_e32 v39, vcc, v15, v29, vcc
	global_load_dwordx4 v[28:31], v[36:37], off
	global_load_dwordx4 v[32:35], v[38:39], off
	v_lshlrev_b64 v[36:37], 4, v[12:13]
	v_add_u32_e32 v12, s6, v12
	v_add_co_u32_e32 v44, vcc, v14, v36
	v_ashrrev_i32_e32 v13, 31, v12
	v_addc_co_u32_e32 v45, vcc, v15, v37, vcc
	v_lshlrev_b64 v[36:37], 4, v[12:13]
	v_add_u32_e32 v12, s6, v12
	;; [unrolled: 12-line block ×3, first 2 shown]
	v_add_co_u32_e32 v54, vcc, v14, v44
	v_ashrrev_i32_e32 v13, 31, v12
	v_addc_co_u32_e32 v55, vcc, v15, v45, vcc
	global_load_dwordx4 v[44:47], v[52:53], off
	global_load_dwordx4 v[48:51], v[54:55], off
	v_lshlrev_b64 v[52:53], 4, v[12:13]
	v_add_u32_e32 v12, s6, v12
	v_ashrrev_i32_e32 v13, 31, v12
	v_add_co_u32_e32 v52, vcc, v14, v52
	v_lshlrev_b64 v[56:57], 4, v[12:13]
	v_addc_co_u32_e32 v53, vcc, v15, v53, vcc
	v_add_co_u32_e32 v56, vcc, v14, v56
	v_add_u32_e32 v12, s6, v12
	v_addc_co_u32_e32 v57, vcc, v15, v57, vcc
	v_ashrrev_i32_e32 v13, 31, v12
	global_load_dwordx4 v[52:55], v[52:53], off
	s_movk_i32 s51, 0x220
	global_load_dwordx4 v[56:59], v[56:57], off
	s_waitcnt vmcnt(14)
	buffer_store_dword v19, off, s[0:3], 0 offset:236
	buffer_store_dword v18, off, s[0:3], 0 offset:232
	;; [unrolled: 1-line block ×4, first 2 shown]
	v_lshlrev_b64 v[16:17], 4, v[12:13]
	v_add_u32_e32 v12, s6, v12
	v_add_co_u32_e32 v16, vcc, v14, v16
	v_addc_co_u32_e32 v17, vcc, v15, v17, vcc
	global_load_dwordx4 v[16:19], v[16:17], off
	v_ashrrev_i32_e32 v13, 31, v12
	s_waitcnt vmcnt(14)
	buffer_store_dword v23, off, s[0:3], 0 offset:252
	buffer_store_dword v22, off, s[0:3], 0 offset:248
	buffer_store_dword v21, off, s[0:3], 0 offset:244
	buffer_store_dword v20, off, s[0:3], 0 offset:240
	s_waitcnt vmcnt(17)
	buffer_store_dword v27, off, s[0:3], 0 offset:268
	buffer_store_dword v26, off, s[0:3], 0 offset:264
	buffer_store_dword v25, off, s[0:3], 0 offset:260
	buffer_store_dword v24, off, s[0:3], 0 offset:256
	;; [unrolled: 5-line block ×10, first 2 shown]
	v_lshlrev_b64 v[20:21], 4, v[12:13]
	v_add_u32_e32 v12, s6, v12
	v_add_co_u32_e32 v20, vcc, v14, v20
	v_addc_co_u32_e32 v21, vcc, v15, v21, vcc
	global_load_dwordx4 v[20:23], v[20:21], off
	v_ashrrev_i32_e32 v13, 31, v12
	s_waitcnt vmcnt(41)
	buffer_store_dword v19, off, s[0:3], 0 offset:412
	buffer_store_dword v18, off, s[0:3], 0 offset:408
	;; [unrolled: 1-line block ×4, first 2 shown]
	v_lshlrev_b64 v[16:17], 4, v[12:13]
	v_add_u32_e32 v12, s6, v12
	v_add_co_u32_e32 v28, vcc, v14, v16
	v_ashrrev_i32_e32 v13, 31, v12
	v_addc_co_u32_e32 v29, vcc, v15, v17, vcc
	v_lshlrev_b64 v[16:17], 4, v[12:13]
	v_add_u32_e32 v12, s6, v12
	v_add_co_u32_e32 v30, vcc, v14, v16
	v_ashrrev_i32_e32 v13, 31, v12
	v_addc_co_u32_e32 v31, vcc, v15, v17, vcc
	global_load_dwordx4 v[16:19], v[28:29], off
	global_load_dwordx4 v[24:27], v[30:31], off
	v_lshlrev_b64 v[28:29], 4, v[12:13]
	v_add_u32_e32 v12, s6, v12
	v_add_co_u32_e32 v36, vcc, v14, v28
	v_ashrrev_i32_e32 v13, 31, v12
	v_addc_co_u32_e32 v37, vcc, v15, v29, vcc
	v_lshlrev_b64 v[28:29], 4, v[12:13]
	v_add_u32_e32 v12, s6, v12
	v_add_co_u32_e32 v38, vcc, v14, v28
	v_ashrrev_i32_e32 v13, 31, v12
	v_addc_co_u32_e32 v39, vcc, v15, v29, vcc
	global_load_dwordx4 v[28:31], v[36:37], off
	global_load_dwordx4 v[32:35], v[38:39], off
	;; [unrolled: 12-line block ×3, first 2 shown]
	v_lshlrev_b64 v[44:45], 4, v[12:13]
	v_add_u32_e32 v12, s6, v12
	v_add_co_u32_e32 v52, vcc, v14, v44
	v_ashrrev_i32_e32 v13, 31, v12
	v_addc_co_u32_e32 v53, vcc, v15, v45, vcc
	v_lshlrev_b64 v[44:45], 4, v[12:13]
	v_add_u32_e32 v12, s6, v12
	v_add_co_u32_e32 v54, vcc, v14, v44
	v_addc_co_u32_e32 v55, vcc, v15, v45, vcc
	global_load_dwordx4 v[44:47], v[52:53], off
	global_load_dwordx4 v[48:51], v[54:55], off
	v_ashrrev_i32_e32 v13, 31, v12
	v_lshlrev_b64 v[52:53], 4, v[12:13]
	v_add_u32_e32 v12, s6, v12
	v_add_co_u32_e32 v52, vcc, v14, v52
	v_addc_co_u32_e32 v53, vcc, v15, v53, vcc
	v_ashrrev_i32_e32 v13, 31, v12
	v_lshlrev_b64 v[56:57], 4, v[12:13]
	global_load_dwordx4 v[52:55], v[52:53], off
	v_add_co_u32_e32 v56, vcc, v14, v56
	v_addc_co_u32_e32 v57, vcc, v15, v57, vcc
	global_load_dwordx4 v[56:59], v[56:57], off
	v_add_u32_e32 v12, s6, v12
	v_ashrrev_i32_e32 v13, 31, v12
	s_waitcnt vmcnt(14)
	buffer_store_dword v23, off, s[0:3], 0 offset:428
	buffer_store_dword v22, off, s[0:3], 0 offset:424
	;; [unrolled: 1-line block ×4, first 2 shown]
	v_lshlrev_b64 v[20:21], 4, v[12:13]
	v_add_u32_e32 v12, s6, v12
	v_add_co_u32_e32 v20, vcc, v14, v20
	v_addc_co_u32_e32 v21, vcc, v15, v21, vcc
	global_load_dwordx4 v[20:23], v[20:21], off
	v_ashrrev_i32_e32 v13, 31, v12
	s_waitcnt vmcnt(14)
	buffer_store_dword v19, off, s[0:3], 0 offset:444
	buffer_store_dword v18, off, s[0:3], 0 offset:440
	buffer_store_dword v17, off, s[0:3], 0 offset:436
	buffer_store_dword v16, off, s[0:3], 0 offset:432
	s_waitcnt vmcnt(17)
	buffer_store_dword v27, off, s[0:3], 0 offset:460
	buffer_store_dword v26, off, s[0:3], 0 offset:456
	buffer_store_dword v25, off, s[0:3], 0 offset:452
	buffer_store_dword v24, off, s[0:3], 0 offset:448
	;; [unrolled: 5-line block ×10, first 2 shown]
	v_lshlrev_b64 v[16:17], 4, v[12:13]
	v_add_u32_e32 v12, s6, v12
	v_add_co_u32_e32 v16, vcc, v14, v16
	v_addc_co_u32_e32 v17, vcc, v15, v17, vcc
	global_load_dwordx4 v[16:19], v[16:17], off
	v_ashrrev_i32_e32 v13, 31, v12
	s_waitcnt vmcnt(41)
	buffer_store_dword v23, off, s[0:3], 0 offset:604
	buffer_store_dword v22, off, s[0:3], 0 offset:600
	buffer_store_dword v21, off, s[0:3], 0 offset:596
	buffer_store_dword v20, off, s[0:3], 0 offset:592
	v_lshlrev_b64 v[20:21], 4, v[12:13]
	v_add_u32_e32 v12, s6, v12
	v_add_co_u32_e32 v28, vcc, v14, v20
	v_ashrrev_i32_e32 v13, 31, v12
	v_addc_co_u32_e32 v29, vcc, v15, v21, vcc
	v_lshlrev_b64 v[20:21], 4, v[12:13]
	v_add_u32_e32 v12, s6, v12
	v_add_co_u32_e32 v30, vcc, v14, v20
	v_ashrrev_i32_e32 v13, 31, v12
	v_addc_co_u32_e32 v31, vcc, v15, v21, vcc
	global_load_dwordx4 v[20:23], v[28:29], off
	global_load_dwordx4 v[24:27], v[30:31], off
	v_lshlrev_b64 v[28:29], 4, v[12:13]
	v_add_u32_e32 v12, s6, v12
	v_add_co_u32_e32 v36, vcc, v14, v28
	v_ashrrev_i32_e32 v13, 31, v12
	v_addc_co_u32_e32 v37, vcc, v15, v29, vcc
	v_lshlrev_b64 v[28:29], 4, v[12:13]
	v_add_u32_e32 v12, s6, v12
	v_add_co_u32_e32 v38, vcc, v14, v28
	v_ashrrev_i32_e32 v13, 31, v12
	v_addc_co_u32_e32 v39, vcc, v15, v29, vcc
	global_load_dwordx4 v[28:31], v[36:37], off
	global_load_dwordx4 v[32:35], v[38:39], off
	;; [unrolled: 12-line block ×4, first 2 shown]
	v_lshlrev_b64 v[52:53], 4, v[12:13]
	v_add_u32_e32 v12, s6, v12
	v_ashrrev_i32_e32 v13, 31, v12
	v_add_co_u32_e32 v52, vcc, v14, v52
	v_lshlrev_b64 v[56:57], 4, v[12:13]
	v_addc_co_u32_e32 v53, vcc, v15, v53, vcc
	v_add_co_u32_e32 v56, vcc, v14, v56
	v_add_u32_e32 v12, s6, v12
	v_addc_co_u32_e32 v57, vcc, v15, v57, vcc
	v_ashrrev_i32_e32 v13, 31, v12
	global_load_dwordx4 v[52:55], v[52:53], off
	s_movk_i32 s52, 0x230
	global_load_dwordx4 v[56:59], v[56:57], off
	s_waitcnt vmcnt(14)
	buffer_store_dword v19, off, s[0:3], 0 offset:620
	buffer_store_dword v18, off, s[0:3], 0 offset:616
	;; [unrolled: 1-line block ×4, first 2 shown]
	v_lshlrev_b64 v[16:17], 4, v[12:13]
	v_add_u32_e32 v12, s6, v12
	v_add_co_u32_e32 v16, vcc, v14, v16
	v_addc_co_u32_e32 v17, vcc, v15, v17, vcc
	global_load_dwordx4 v[16:19], v[16:17], off
	v_ashrrev_i32_e32 v13, 31, v12
	s_waitcnt vmcnt(14)
	buffer_store_dword v23, off, s[0:3], 0 offset:636
	buffer_store_dword v22, off, s[0:3], 0 offset:632
	buffer_store_dword v21, off, s[0:3], 0 offset:628
	buffer_store_dword v20, off, s[0:3], 0 offset:624
	s_waitcnt vmcnt(17)
	buffer_store_dword v27, off, s[0:3], 0 offset:652
	buffer_store_dword v26, off, s[0:3], 0 offset:648
	buffer_store_dword v25, off, s[0:3], 0 offset:644
	buffer_store_dword v24, off, s[0:3], 0 offset:640
	;; [unrolled: 5-line block ×10, first 2 shown]
	v_lshlrev_b64 v[20:21], 4, v[12:13]
	v_add_u32_e32 v12, s6, v12
	v_add_co_u32_e32 v20, vcc, v14, v20
	v_addc_co_u32_e32 v21, vcc, v15, v21, vcc
	v_ashrrev_i32_e32 v13, 31, v12
	global_load_dwordx4 v[20:23], v[20:21], off
	s_waitcnt vmcnt(41)
	buffer_store_dword v19, off, s[0:3], 0 offset:796
	buffer_store_dword v18, off, s[0:3], 0 offset:792
	;; [unrolled: 1-line block ×4, first 2 shown]
	v_lshlrev_b64 v[16:17], 4, v[12:13]
	v_add_u32_e32 v12, s6, v12
	v_add_co_u32_e32 v28, vcc, v14, v16
	v_ashrrev_i32_e32 v13, 31, v12
	v_addc_co_u32_e32 v29, vcc, v15, v17, vcc
	v_lshlrev_b64 v[16:17], 4, v[12:13]
	v_add_u32_e32 v12, s6, v12
	v_add_co_u32_e32 v30, vcc, v14, v16
	v_ashrrev_i32_e32 v13, 31, v12
	v_addc_co_u32_e32 v31, vcc, v15, v17, vcc
	global_load_dwordx4 v[16:19], v[28:29], off
	global_load_dwordx4 v[24:27], v[30:31], off
	v_lshlrev_b64 v[28:29], 4, v[12:13]
	v_add_u32_e32 v12, s6, v12
	v_add_co_u32_e32 v36, vcc, v14, v28
	v_ashrrev_i32_e32 v13, 31, v12
	v_addc_co_u32_e32 v37, vcc, v15, v29, vcc
	v_lshlrev_b64 v[28:29], 4, v[12:13]
	v_add_u32_e32 v12, s6, v12
	v_add_co_u32_e32 v38, vcc, v14, v28
	v_addc_co_u32_e32 v39, vcc, v15, v29, vcc
	global_load_dwordx4 v[28:31], v[36:37], off
	global_load_dwordx4 v[32:35], v[38:39], off
	v_ashrrev_i32_e32 v13, 31, v12
	v_lshlrev_b64 v[36:37], 4, v[12:13]
	v_add_u32_e32 v12, s6, v12
	v_add_co_u32_e32 v44, vcc, v14, v36
	v_ashrrev_i32_e32 v13, 31, v12
	v_addc_co_u32_e32 v45, vcc, v15, v37, vcc
	v_lshlrev_b64 v[36:37], 4, v[12:13]
	v_add_u32_e32 v12, s6, v12
	v_add_co_u32_e32 v46, vcc, v14, v36
	v_ashrrev_i32_e32 v13, 31, v12
	v_addc_co_u32_e32 v47, vcc, v15, v37, vcc
	global_load_dwordx4 v[36:39], v[44:45], off
	global_load_dwordx4 v[40:43], v[46:47], off
	v_lshlrev_b64 v[44:45], 4, v[12:13]
	v_add_u32_e32 v12, s6, v12
	v_add_co_u32_e32 v52, vcc, v14, v44
	v_ashrrev_i32_e32 v13, 31, v12
	v_addc_co_u32_e32 v53, vcc, v15, v45, vcc
	v_lshlrev_b64 v[44:45], 4, v[12:13]
	v_add_u32_e32 v12, s6, v12
	v_add_co_u32_e32 v54, vcc, v14, v44
	v_ashrrev_i32_e32 v13, 31, v12
	v_addc_co_u32_e32 v55, vcc, v15, v45, vcc
	global_load_dwordx4 v[44:47], v[52:53], off
	global_load_dwordx4 v[48:51], v[54:55], off
	v_lshlrev_b64 v[52:53], 4, v[12:13]
	v_add_u32_e32 v12, s6, v12
	v_ashrrev_i32_e32 v13, 31, v12
	v_add_co_u32_e32 v52, vcc, v14, v52
	v_lshlrev_b64 v[56:57], 4, v[12:13]
	v_add_u32_e32 v12, s6, v12
	v_addc_co_u32_e32 v53, vcc, v15, v53, vcc
	v_ashrrev_i32_e32 v13, 31, v12
	v_add_co_u32_e32 v56, vcc, v14, v56
	v_lshlrev_b64 v[12:13], 4, v[12:13]
	v_addc_co_u32_e32 v57, vcc, v15, v57, vcc
	v_add_co_u32_e32 v12, vcc, v14, v12
	global_load_dwordx4 v[52:55], v[52:53], off
	v_addc_co_u32_e32 v13, vcc, v15, v13, vcc
	global_load_dwordx4 v[56:59], v[56:57], off
	s_waitcnt vmcnt(14)
	buffer_store_dword v23, off, s[0:3], 0 offset:812
	buffer_store_dword v22, off, s[0:3], 0 offset:808
	buffer_store_dword v21, off, s[0:3], 0 offset:804
	buffer_store_dword v20, off, s[0:3], 0 offset:800
	s_waitcnt vmcnt(13)
	buffer_store_dword v19, off, s[0:3], 0 offset:828
	buffer_store_dword v18, off, s[0:3], 0 offset:824
	buffer_store_dword v17, off, s[0:3], 0 offset:820
	buffer_store_dword v16, off, s[0:3], 0 offset:816
	;; [unrolled: 5-line block ×3, first 2 shown]
	s_waitcnt vmcnt(19)
	buffer_store_dword v31, off, s[0:3], 0 offset:860
	buffer_store_dword v30, off, s[0:3], 0 offset:856
	global_load_dwordx4 v[17:20], v[12:13], off
	v_mul_lo_u32 v12, s7, v1
	buffer_store_dword v29, off, s[0:3], 0 offset:852
	buffer_store_dword v28, off, s[0:3], 0 offset:848
	s_waitcnt vmcnt(23)
	buffer_store_dword v35, off, s[0:3], 0 offset:876
	buffer_store_dword v34, off, s[0:3], 0 offset:872
	buffer_store_dword v33, off, s[0:3], 0 offset:868
	buffer_store_dword v32, off, s[0:3], 0 offset:864
	s_waitcnt vmcnt(26)
	buffer_store_dword v39, off, s[0:3], 0 offset:892
	buffer_store_dword v38, off, s[0:3], 0 offset:888
	buffer_store_dword v37, off, s[0:3], 0 offset:884
	buffer_store_dword v36, off, s[0:3], 0 offset:880
	s_waitcnt vmcnt(29)
	buffer_store_dword v43, off, s[0:3], 0 offset:908
	buffer_store_dword v42, off, s[0:3], 0 offset:904
	buffer_store_dword v41, off, s[0:3], 0 offset:900
	buffer_store_dword v40, off, s[0:3], 0 offset:896
	s_waitcnt vmcnt(32)
	buffer_store_dword v47, off, s[0:3], 0 offset:924
	buffer_store_dword v46, off, s[0:3], 0 offset:920
	buffer_store_dword v45, off, s[0:3], 0 offset:916
	buffer_store_dword v44, off, s[0:3], 0 offset:912
	s_waitcnt vmcnt(35)
	buffer_store_dword v51, off, s[0:3], 0 offset:940
	buffer_store_dword v50, off, s[0:3], 0 offset:936
	buffer_store_dword v49, off, s[0:3], 0 offset:932
	buffer_store_dword v48, off, s[0:3], 0 offset:928
	s_waitcnt vmcnt(38)
	buffer_store_dword v55, off, s[0:3], 0 offset:956
	buffer_store_dword v54, off, s[0:3], 0 offset:952
	v_lshl_add_u32 v16, v12, 4, 0
	v_add_u32_e32 v1, v16, v11
	buffer_store_dword v53, off, s[0:3], 0 offset:948
	buffer_store_dword v52, off, s[0:3], 0 offset:944
	s_waitcnt vmcnt(41)
	buffer_store_dword v59, off, s[0:3], 0 offset:972
	buffer_store_dword v58, off, s[0:3], 0 offset:968
	;; [unrolled: 1-line block ×4, first 2 shown]
	s_waitcnt vmcnt(30)
	buffer_store_dword v20, off, s[0:3], 0 offset:988
	buffer_store_dword v19, off, s[0:3], 0 offset:984
	;; [unrolled: 1-line block ×4, first 2 shown]
	ds_write2_b64 v1, v[2:3], v[4:5] offset1:1
	s_waitcnt vmcnt(0) lgkmcnt(0)
	s_barrier
	ds_read2_b64 v[1:4], v16 offset1:1
	s_movk_i32 s7, 0x50
	s_movk_i32 s86, 0x240
	;; [unrolled: 1-line block ×14, first 2 shown]
	s_cmp_lt_i32 s65, 2
	v_lshlrev_b32_e32 v12, 4, v12
	s_movk_i32 s47, 0x310
	s_movk_i32 s63, 0x320
	s_movk_i32 s64, 0x330
	s_movk_i32 s66, 0x340
	s_movk_i32 s85, 0x350
	s_movk_i32 s87, 0x360
	s_movk_i32 s21, 0x370
	s_movk_i32 s79, 0x380
	s_movk_i32 s80, 0x390
	s_movk_i32 s81, 0x3a0
	s_movk_i32 s82, 0x3b0
	s_movk_i32 s83, 0x3c0
	s_movk_i32 s84, 0x3d0
	v_writelane_b32 v61, s5, 12
	s_cbranch_scc1 .LBB122_6
; %bb.4:
	v_add3_u32 v5, v12, 0, 16
	s_mov_b32 s53, 1
	v_mov_b32_e32 v10, 0
.LBB122_5:                              ; =>This Inner Loop Header: Depth=1
	s_waitcnt lgkmcnt(0)
	v_cmp_gt_f64_e32 vcc, 0, v[3:4]
	v_cmp_gt_f64_e64 s[4:5], 0, v[1:2]
	ds_read2_b64 v[17:20], v5 offset1:1
	v_xor_b32_e32 v11, 0x80000000, v2
	v_xor_b32_e32 v13, 0x80000000, v4
	v_mov_b32_e32 v21, v1
	v_mov_b32_e32 v23, v3
	s_waitcnt lgkmcnt(0)
	v_mov_b32_e32 v25, v19
	v_cndmask_b32_e32 v24, v4, v13, vcc
	v_cndmask_b32_e64 v22, v2, v11, s[4:5]
	v_cmp_gt_f64_e32 vcc, 0, v[19:20]
	v_cmp_gt_f64_e64 s[4:5], 0, v[17:18]
	v_xor_b32_e32 v11, 0x80000000, v18
	v_xor_b32_e32 v13, 0x80000000, v20
	v_add_f64 v[21:22], v[21:22], v[23:24]
	v_mov_b32_e32 v23, v17
	v_add_u32_e32 v5, 16, v5
	v_cndmask_b32_e32 v26, v20, v13, vcc
	v_cndmask_b32_e64 v24, v18, v11, s[4:5]
	v_add_f64 v[23:24], v[23:24], v[25:26]
	v_mov_b32_e32 v11, s53
	s_add_i32 s53, s53, 1
	s_cmp_eq_u32 s65, s53
	v_cmp_lt_f64_e32 vcc, v[21:22], v[23:24]
	v_cndmask_b32_e32 v2, v2, v18, vcc
	v_cndmask_b32_e32 v1, v1, v17, vcc
	;; [unrolled: 1-line block ×5, first 2 shown]
	s_cbranch_scc0 .LBB122_5
.LBB122_6:
	s_waitcnt lgkmcnt(0)
	v_cmp_neq_f64_e32 vcc, 0, v[1:2]
	v_cmp_neq_f64_e64 s[4:5], 0, v[3:4]
	s_mov_b32 s11, s7
	s_mov_b32 s10, s18
	;; [unrolled: 1-line block ×57, first 2 shown]
	v_mov_b32_e32 v17, 1
	s_or_b64 s[16:17], vcc, s[4:5]
	v_mov_b32_e32 v5, 1
	s_mov_b32 s15, 16
	s_mov_b32 s14, 32
	;; [unrolled: 1-line block ×3, first 2 shown]
	s_and_saveexec_b64 s[4:5], s[16:17]
	s_mov_b32 s47, s18
	s_mov_b32 s63, s19
	;; [unrolled: 1-line block ×10, first 2 shown]
	s_cbranch_execz .LBB122_12
; %bb.7:
	v_cmp_ngt_f64_e64 s[16:17], |v[1:2]|, |v[3:4]|
	s_and_saveexec_b64 s[18:19], s[16:17]
	s_xor_b64 s[18:19], exec, s[18:19]
	s_cbranch_execz .LBB122_9
; %bb.8:
	v_div_scale_f64 v[17:18], s[16:17], v[3:4], v[3:4], v[1:2]
	v_rcp_f64_e32 v[19:20], v[17:18]
	v_fma_f64 v[21:22], -v[17:18], v[19:20], 1.0
	v_fma_f64 v[19:20], v[19:20], v[21:22], v[19:20]
	v_div_scale_f64 v[21:22], vcc, v[1:2], v[3:4], v[1:2]
	v_fma_f64 v[23:24], -v[17:18], v[19:20], 1.0
	v_fma_f64 v[19:20], v[19:20], v[23:24], v[19:20]
	v_mul_f64 v[23:24], v[21:22], v[19:20]
	v_fma_f64 v[17:18], -v[17:18], v[23:24], v[21:22]
	v_div_fmas_f64 v[17:18], v[17:18], v[19:20], v[23:24]
	v_div_fixup_f64 v[17:18], v[17:18], v[3:4], v[1:2]
	v_fma_f64 v[1:2], v[1:2], v[17:18], v[3:4]
	v_div_scale_f64 v[3:4], s[16:17], v[1:2], v[1:2], 1.0
	v_div_scale_f64 v[23:24], vcc, 1.0, v[1:2], 1.0
	v_rcp_f64_e32 v[19:20], v[3:4]
	v_fma_f64 v[21:22], -v[3:4], v[19:20], 1.0
	v_fma_f64 v[19:20], v[19:20], v[21:22], v[19:20]
	v_fma_f64 v[21:22], -v[3:4], v[19:20], 1.0
	v_fma_f64 v[19:20], v[19:20], v[21:22], v[19:20]
	v_mul_f64 v[21:22], v[23:24], v[19:20]
	v_fma_f64 v[3:4], -v[3:4], v[21:22], v[23:24]
	v_div_fmas_f64 v[3:4], v[3:4], v[19:20], v[21:22]
	v_div_fixup_f64 v[3:4], v[3:4], v[1:2], 1.0
	v_mul_f64 v[1:2], v[17:18], v[3:4]
	v_xor_b32_e32 v4, 0x80000000, v4
.LBB122_9:
	s_andn2_saveexec_b64 s[18:19], s[18:19]
	s_cbranch_execz .LBB122_11
; %bb.10:
	v_div_scale_f64 v[17:18], s[16:17], v[1:2], v[1:2], v[3:4]
	v_rcp_f64_e32 v[19:20], v[17:18]
	v_fma_f64 v[21:22], -v[17:18], v[19:20], 1.0
	v_fma_f64 v[19:20], v[19:20], v[21:22], v[19:20]
	v_div_scale_f64 v[21:22], vcc, v[3:4], v[1:2], v[3:4]
	v_fma_f64 v[23:24], -v[17:18], v[19:20], 1.0
	v_fma_f64 v[19:20], v[19:20], v[23:24], v[19:20]
	v_mul_f64 v[23:24], v[21:22], v[19:20]
	v_fma_f64 v[17:18], -v[17:18], v[23:24], v[21:22]
	v_div_fmas_f64 v[17:18], v[17:18], v[19:20], v[23:24]
	v_div_fixup_f64 v[17:18], v[17:18], v[1:2], v[3:4]
	v_fma_f64 v[1:2], v[3:4], v[17:18], v[1:2]
	v_div_scale_f64 v[3:4], s[16:17], v[1:2], v[1:2], 1.0
	v_div_scale_f64 v[23:24], vcc, 1.0, v[1:2], 1.0
	v_rcp_f64_e32 v[19:20], v[3:4]
	v_fma_f64 v[21:22], -v[3:4], v[19:20], 1.0
	v_fma_f64 v[19:20], v[19:20], v[21:22], v[19:20]
	v_fma_f64 v[21:22], -v[3:4], v[19:20], 1.0
	v_fma_f64 v[19:20], v[19:20], v[21:22], v[19:20]
	v_mul_f64 v[21:22], v[23:24], v[19:20]
	v_fma_f64 v[3:4], -v[3:4], v[21:22], v[23:24]
	v_div_fmas_f64 v[3:4], v[3:4], v[19:20], v[21:22]
	v_div_fixup_f64 v[1:2], v[3:4], v[1:2], 1.0
	v_mul_f64 v[3:4], v[17:18], -v[1:2]
.LBB122_11:
	s_or_b64 exec, exec, s[18:19]
	v_mov_b32_e32 v5, 0
	v_mov_b32_e32 v17, 2
.LBB122_12:
	s_or_b64 exec, exec, s[4:5]
	v_cmp_ne_u32_e32 vcc, v0, v10
                                        ; implicit-def: $vgpr19
	s_and_saveexec_b64 s[4:5], vcc
	s_xor_b64 s[4:5], exec, s[4:5]
	s_cbranch_execz .LBB122_18
; %bb.13:
	v_cmp_eq_u32_e32 vcc, 0, v0
	s_and_saveexec_b64 s[18:19], vcc
	s_cbranch_execz .LBB122_17
; %bb.14:
	v_cmp_ne_u32_e32 vcc, 0, v10
	s_xor_b64 s[16:17], s[22:23], -1
	s_and_b64 s[16:17], s[16:17], vcc
	s_and_saveexec_b64 s[24:25], s[16:17]
	s_cbranch_execz .LBB122_16
; %bb.15:
	v_ashrrev_i32_e32 v11, 31, v10
	v_lshlrev_b64 v[18:19], 2, v[10:11]
	v_add_co_u32_e32 v18, vcc, v8, v18
	v_addc_co_u32_e32 v19, vcc, v9, v19, vcc
	global_load_dword v0, v[18:19], off
	global_load_dword v11, v[8:9], off
	s_waitcnt vmcnt(1)
	global_store_dword v[8:9], v0, off
	s_waitcnt vmcnt(1)
	global_store_dword v[18:19], v11, off
.LBB122_16:
	s_or_b64 exec, exec, s[24:25]
	v_mov_b32_e32 v0, v10
.LBB122_17:
	s_or_b64 exec, exec, s[18:19]
	v_mov_b32_e32 v19, v0
                                        ; implicit-def: $vgpr0
.LBB122_18:
	s_or_saveexec_b64 s[4:5], s[4:5]
	v_mov_b32_e32 v18, v19
	s_xor_b64 exec, exec, s[4:5]
	s_cbranch_execz .LBB122_24
; %bb.19:
	s_mov_b32 s16, 16
	s_branch .LBB122_21
.LBB122_20:                             ;   in Loop: Header=BB122_21 Depth=1
	s_andn2_b64 vcc, exec, s[18:19]
	s_cbranch_vccz .LBB122_23
.LBB122_21:                             ; =>This Inner Loop Header: Depth=1
	v_mov_b32_e32 v10, s16
	buffer_load_dword v18, v10, s[0:3], 0 offen
	buffer_load_dword v19, v10, s[0:3], 0 offen offset:4
	buffer_load_dword v20, v10, s[0:3], 0 offen offset:8
	;; [unrolled: 1-line block ×19, first 2 shown]
	s_mov_b32 s17, s16
	v_add_u32_e32 v10, s16, v16
	s_cmpk_eq_i32 s16, 0x390
	s_mov_b64 s[18:19], -1
	s_waitcnt vmcnt(16)
	ds_write2_b64 v10, v[18:19], v[20:21] offset1:1
	s_waitcnt vmcnt(12)
	ds_write2_b64 v10, v[22:23], v[24:25] offset0:2 offset1:3
	s_waitcnt vmcnt(8)
	ds_write2_b64 v10, v[26:27], v[28:29] offset0:4 offset1:5
	;; [unrolled: 2-line block ×4, first 2 shown]
	s_cbranch_scc1 .LBB122_20
; %bb.22:                               ;   in Loop: Header=BB122_21 Depth=1
	v_mov_b32_e32 v11, s17
	buffer_load_dword v18, v11, s[0:3], 0 offen offset:80
	buffer_load_dword v19, v11, s[0:3], 0 offen offset:84
	;; [unrolled: 1-line block ×12, first 2 shown]
	s_addk_i32 s16, 0x80
	s_mov_b64 s[18:19], 0
	s_waitcnt vmcnt(8)
	ds_write2_b64 v10, v[18:19], v[20:21] offset0:10 offset1:11
	s_waitcnt vmcnt(4)
	ds_write2_b64 v10, v[22:23], v[24:25] offset0:12 offset1:13
	;; [unrolled: 2-line block ×3, first 2 shown]
	s_branch .LBB122_20
.LBB122_23:
	v_mov_b32_e32 v19, 0
	v_mov_b32_e32 v18, v0
.LBB122_24:
	s_or_b64 exec, exec, s[4:5]
	v_cmp_lt_i32_e32 vcc, 0, v19
	s_waitcnt vmcnt(0) lgkmcnt(0)
	s_barrier
	s_and_saveexec_b64 s[4:5], vcc
	s_cbranch_execz .LBB122_29
; %bb.25:
	buffer_load_dword v10, off, s[0:3], 0 offset:8
	buffer_load_dword v11, off, s[0:3], 0 offset:12
	buffer_load_dword v20, off, s[0:3], 0
	buffer_load_dword v21, off, s[0:3], 0 offset:4
	s_mov_b32 s24, 16
	s_waitcnt vmcnt(2)
	v_mul_f64 v[22:23], v[3:4], v[10:11]
	v_mul_f64 v[10:11], v[1:2], v[10:11]
	s_waitcnt vmcnt(0)
	v_fma_f64 v[0:1], v[1:2], v[20:21], -v[22:23]
	v_fma_f64 v[2:3], v[3:4], v[20:21], v[10:11]
	buffer_store_dword v0, off, s[0:3], 0
	buffer_store_dword v1, off, s[0:3], 0 offset:4
	buffer_store_dword v2, off, s[0:3], 0 offset:8
	;; [unrolled: 1-line block ×3, first 2 shown]
	s_branch .LBB122_27
.LBB122_26:                             ;   in Loop: Header=BB122_27 Depth=1
	s_andn2_b64 vcc, exec, s[18:19]
	s_cbranch_vccz .LBB122_29
.LBB122_27:                             ; =>This Inner Loop Header: Depth=1
	v_add_u32_e32 v4, s24, v16
	ds_read2_b64 v[20:23], v4 offset1:1
	ds_read2_b64 v[24:27], v4 offset0:2 offset1:3
	ds_read2_b64 v[28:31], v4 offset0:4 offset1:5
	;; [unrolled: 1-line block ×3, first 2 shown]
	v_mov_b32_e32 v13, s24
	s_waitcnt lgkmcnt(3)
	v_mul_f64 v[10:11], v[22:23], v[2:3]
	s_waitcnt lgkmcnt(2)
	v_mul_f64 v[38:39], v[26:27], v[2:3]
	v_mul_f64 v[40:41], v[24:25], v[2:3]
	;; [unrolled: 1-line block ×3, first 2 shown]
	s_waitcnt lgkmcnt(1)
	v_mul_f64 v[42:43], v[30:31], v[2:3]
	s_mov_b32 s16, s24
	s_cmpk_eq_i32 s24, 0x390
	s_mov_b64 s[18:19], -1
	v_fma_f64 v[10:11], v[20:21], v[0:1], -v[10:11]
	v_mul_f64 v[20:21], v[28:29], v[2:3]
	v_fma_f64 v[24:25], v[24:25], v[0:1], -v[38:39]
	v_fma_f64 v[26:27], v[26:27], v[0:1], v[40:41]
	s_waitcnt lgkmcnt(0)
	v_mul_f64 v[38:39], v[34:35], v[2:3]
	v_mul_f64 v[40:41], v[32:33], v[2:3]
	v_fma_f64 v[36:37], v[22:23], v[0:1], v[36:37]
	v_fma_f64 v[28:29], v[28:29], v[0:1], -v[42:43]
	v_fma_f64 v[30:31], v[30:31], v[0:1], v[20:21]
	ds_read2_b64 v[20:23], v4 offset0:8 offset1:9
	v_fma_f64 v[32:33], v[32:33], v[0:1], -v[38:39]
	v_fma_f64 v[34:35], v[34:35], v[0:1], v[40:41]
	s_waitcnt lgkmcnt(0)
	v_mul_f64 v[38:39], v[22:23], v[2:3]
	v_mul_f64 v[40:41], v[20:21], v[2:3]
	v_fma_f64 v[20:21], v[20:21], v[0:1], -v[38:39]
	v_fma_f64 v[22:23], v[22:23], v[0:1], v[40:41]
	buffer_load_dword v38, v13, s[0:3], 0 offen
	buffer_load_dword v39, v13, s[0:3], 0 offen offset:4
	buffer_load_dword v40, v13, s[0:3], 0 offen offset:8
	;; [unrolled: 1-line block ×7, first 2 shown]
	s_waitcnt vmcnt(6)
	v_add_f64 v[10:11], v[38:39], -v[10:11]
	s_waitcnt vmcnt(4)
	v_add_f64 v[36:37], v[40:41], -v[36:37]
	;; [unrolled: 2-line block ×4, first 2 shown]
	buffer_load_dword v38, v13, s[0:3], 0 offen offset:32
	buffer_load_dword v39, v13, s[0:3], 0 offen offset:36
	;; [unrolled: 1-line block ×8, first 2 shown]
	s_waitcnt vmcnt(6)
	v_add_f64 v[28:29], v[38:39], -v[28:29]
	s_waitcnt vmcnt(4)
	v_add_f64 v[30:31], v[40:41], -v[30:31]
	buffer_load_dword v38, v13, s[0:3], 0 offen offset:64
	buffer_load_dword v39, v13, s[0:3], 0 offen offset:68
	;; [unrolled: 1-line block ×4, first 2 shown]
	s_waitcnt vmcnt(6)
	v_add_f64 v[32:33], v[42:43], -v[32:33]
	s_waitcnt vmcnt(4)
	v_add_f64 v[34:35], v[44:45], -v[34:35]
	;; [unrolled: 2-line block ×4, first 2 shown]
	buffer_store_dword v10, v13, s[0:3], 0 offen
	buffer_store_dword v11, v13, s[0:3], 0 offen offset:4
	buffer_store_dword v36, v13, s[0:3], 0 offen offset:8
	;; [unrolled: 1-line block ×19, first 2 shown]
	s_cbranch_scc1 .LBB122_26
; %bb.28:                               ;   in Loop: Header=BB122_27 Depth=1
	v_mov_b32_e32 v13, s16
	buffer_load_dword v10, v13, s[0:3], 0 offen offset:80
	buffer_load_dword v11, v13, s[0:3], 0 offen offset:84
	;; [unrolled: 1-line block ×12, first 2 shown]
	ds_read2_b64 v[20:23], v4 offset0:10 offset1:11
	ds_read2_b64 v[24:27], v4 offset0:12 offset1:13
	;; [unrolled: 1-line block ×3, first 2 shown]
	s_addk_i32 s24, 0x80
	s_mov_b64 s[18:19], 0
	s_waitcnt lgkmcnt(2)
	v_mul_f64 v[42:43], v[22:23], v[2:3]
	v_mul_f64 v[44:45], v[20:21], v[2:3]
	s_waitcnt lgkmcnt(1)
	v_mul_f64 v[46:47], v[26:27], v[2:3]
	v_mul_f64 v[48:49], v[24:25], v[2:3]
	;; [unrolled: 3-line block ×3, first 2 shown]
	v_fma_f64 v[20:21], v[20:21], v[0:1], -v[42:43]
	v_fma_f64 v[22:23], v[22:23], v[0:1], v[44:45]
	v_fma_f64 v[24:25], v[24:25], v[0:1], -v[46:47]
	v_fma_f64 v[26:27], v[26:27], v[0:1], v[48:49]
	;; [unrolled: 2-line block ×3, first 2 shown]
	s_waitcnt vmcnt(10)
	v_add_f64 v[10:11], v[10:11], -v[20:21]
	s_waitcnt vmcnt(8)
	v_add_f64 v[20:21], v[32:33], -v[22:23]
	;; [unrolled: 2-line block ×6, first 2 shown]
	buffer_store_dword v10, v13, s[0:3], 0 offen offset:80
	buffer_store_dword v11, v13, s[0:3], 0 offen offset:84
	;; [unrolled: 1-line block ×12, first 2 shown]
	s_branch .LBB122_26
.LBB122_29:
	s_or_b64 exec, exec, s[4:5]
	v_mov_b32_e32 v3, s83
	s_waitcnt vmcnt(0)
	s_barrier
	buffer_load_dword v0, v3, s[0:3], 0 offen
	buffer_load_dword v1, v3, s[0:3], 0 offen offset:4
	buffer_load_dword v2, v3, s[0:3], 0 offen offset:8
	s_nop 0
	buffer_load_dword v3, v3, s[0:3], 0 offen offset:12
	v_lshl_add_u32 v4, v19, 4, v16
	s_cmp_lt_i32 s65, 3
	s_waitcnt vmcnt(0)
	ds_write2_b64 v4, v[0:1], v[2:3] offset1:1
	s_waitcnt lgkmcnt(0)
	s_barrier
	ds_read2_b64 v[0:3], v16 offset0:2 offset1:3
	v_mov_b32_e32 v4, 1
	s_cbranch_scc1 .LBB122_32
; %bb.30:
	v_add3_u32 v10, v12, 0, 32
	s_mov_b32 s16, 2
	v_mov_b32_e32 v4, 1
.LBB122_31:                             ; =>This Inner Loop Header: Depth=1
	s_waitcnt lgkmcnt(0)
	v_cmp_gt_f64_e32 vcc, 0, v[2:3]
	v_cmp_gt_f64_e64 s[4:5], 0, v[0:1]
	ds_read2_b64 v[20:23], v10 offset1:1
	v_xor_b32_e32 v11, 0x80000000, v1
	v_xor_b32_e32 v13, 0x80000000, v3
	v_mov_b32_e32 v24, v0
	v_mov_b32_e32 v26, v2
	s_waitcnt lgkmcnt(0)
	v_mov_b32_e32 v28, v22
	v_cndmask_b32_e32 v27, v3, v13, vcc
	v_cndmask_b32_e64 v25, v1, v11, s[4:5]
	v_cmp_gt_f64_e32 vcc, 0, v[22:23]
	v_cmp_gt_f64_e64 s[4:5], 0, v[20:21]
	v_xor_b32_e32 v11, 0x80000000, v21
	v_xor_b32_e32 v13, 0x80000000, v23
	v_add_f64 v[24:25], v[24:25], v[26:27]
	v_mov_b32_e32 v26, v20
	v_add_u32_e32 v10, 16, v10
	v_cndmask_b32_e32 v29, v23, v13, vcc
	v_cndmask_b32_e64 v27, v21, v11, s[4:5]
	v_add_f64 v[26:27], v[26:27], v[28:29]
	v_mov_b32_e32 v11, s16
	s_add_i32 s16, s16, 1
	s_cmp_lg_u32 s65, s16
	v_cmp_lt_f64_e32 vcc, v[24:25], v[26:27]
	v_cndmask_b32_e32 v1, v1, v21, vcc
	v_cndmask_b32_e32 v0, v0, v20, vcc
	;; [unrolled: 1-line block ×5, first 2 shown]
	s_cbranch_scc1 .LBB122_31
.LBB122_32:
	s_waitcnt lgkmcnt(0)
	v_cmp_neq_f64_e32 vcc, 0, v[0:1]
	v_cmp_neq_f64_e64 s[4:5], 0, v[2:3]
	s_or_b64 s[16:17], vcc, s[4:5]
	s_and_saveexec_b64 s[4:5], s[16:17]
	s_cbranch_execz .LBB122_38
; %bb.33:
	v_cmp_ngt_f64_e64 s[16:17], |v[0:1]|, |v[2:3]|
	s_and_saveexec_b64 s[18:19], s[16:17]
	s_xor_b64 s[18:19], exec, s[18:19]
	s_cbranch_execz .LBB122_35
; %bb.34:
	v_div_scale_f64 v[10:11], s[16:17], v[2:3], v[2:3], v[0:1]
	v_rcp_f64_e32 v[20:21], v[10:11]
	v_fma_f64 v[22:23], -v[10:11], v[20:21], 1.0
	v_fma_f64 v[20:21], v[20:21], v[22:23], v[20:21]
	v_div_scale_f64 v[22:23], vcc, v[0:1], v[2:3], v[0:1]
	v_fma_f64 v[24:25], -v[10:11], v[20:21], 1.0
	v_fma_f64 v[20:21], v[20:21], v[24:25], v[20:21]
	v_mul_f64 v[24:25], v[22:23], v[20:21]
	v_fma_f64 v[10:11], -v[10:11], v[24:25], v[22:23]
	v_div_fmas_f64 v[10:11], v[10:11], v[20:21], v[24:25]
	v_div_fixup_f64 v[10:11], v[10:11], v[2:3], v[0:1]
	v_fma_f64 v[0:1], v[0:1], v[10:11], v[2:3]
	v_div_scale_f64 v[2:3], s[16:17], v[0:1], v[0:1], 1.0
	v_div_scale_f64 v[24:25], vcc, 1.0, v[0:1], 1.0
	v_rcp_f64_e32 v[20:21], v[2:3]
	v_fma_f64 v[22:23], -v[2:3], v[20:21], 1.0
	v_fma_f64 v[20:21], v[20:21], v[22:23], v[20:21]
	v_fma_f64 v[22:23], -v[2:3], v[20:21], 1.0
	v_fma_f64 v[20:21], v[20:21], v[22:23], v[20:21]
	v_mul_f64 v[22:23], v[24:25], v[20:21]
	v_fma_f64 v[2:3], -v[2:3], v[22:23], v[24:25]
	v_div_fmas_f64 v[2:3], v[2:3], v[20:21], v[22:23]
	v_div_fixup_f64 v[2:3], v[2:3], v[0:1], 1.0
	v_mul_f64 v[0:1], v[10:11], v[2:3]
	v_xor_b32_e32 v3, 0x80000000, v3
.LBB122_35:
	s_andn2_saveexec_b64 s[18:19], s[18:19]
	s_cbranch_execz .LBB122_37
; %bb.36:
	v_div_scale_f64 v[10:11], s[16:17], v[0:1], v[0:1], v[2:3]
	v_rcp_f64_e32 v[20:21], v[10:11]
	v_fma_f64 v[22:23], -v[10:11], v[20:21], 1.0
	v_fma_f64 v[20:21], v[20:21], v[22:23], v[20:21]
	v_div_scale_f64 v[22:23], vcc, v[2:3], v[0:1], v[2:3]
	v_fma_f64 v[24:25], -v[10:11], v[20:21], 1.0
	v_fma_f64 v[20:21], v[20:21], v[24:25], v[20:21]
	v_mul_f64 v[24:25], v[22:23], v[20:21]
	v_fma_f64 v[10:11], -v[10:11], v[24:25], v[22:23]
	v_div_fmas_f64 v[10:11], v[10:11], v[20:21], v[24:25]
	v_div_fixup_f64 v[10:11], v[10:11], v[0:1], v[2:3]
	v_fma_f64 v[0:1], v[2:3], v[10:11], v[0:1]
	v_div_scale_f64 v[2:3], s[16:17], v[0:1], v[0:1], 1.0
	v_div_scale_f64 v[24:25], vcc, 1.0, v[0:1], 1.0
	v_rcp_f64_e32 v[20:21], v[2:3]
	v_fma_f64 v[22:23], -v[2:3], v[20:21], 1.0
	v_fma_f64 v[20:21], v[20:21], v[22:23], v[20:21]
	v_fma_f64 v[22:23], -v[2:3], v[20:21], 1.0
	v_fma_f64 v[20:21], v[20:21], v[22:23], v[20:21]
	v_mul_f64 v[22:23], v[24:25], v[20:21]
	v_fma_f64 v[2:3], -v[2:3], v[22:23], v[24:25]
	v_div_fmas_f64 v[2:3], v[2:3], v[20:21], v[22:23]
	v_div_fixup_f64 v[0:1], v[2:3], v[0:1], 1.0
	v_mul_f64 v[2:3], v[10:11], -v[0:1]
.LBB122_37:
	s_or_b64 exec, exec, s[18:19]
	v_mov_b32_e32 v17, v5
.LBB122_38:
	s_or_b64 exec, exec, s[4:5]
	v_cmp_ne_u32_e32 vcc, v19, v4
	s_and_saveexec_b64 s[4:5], vcc
	s_xor_b64 s[4:5], exec, s[4:5]
	s_cbranch_execz .LBB122_44
; %bb.39:
	v_cmp_eq_u32_e32 vcc, 1, v19
	s_and_saveexec_b64 s[18:19], vcc
	s_cbranch_execz .LBB122_43
; %bb.40:
	v_cmp_ne_u32_e32 vcc, 1, v4
	s_xor_b64 s[16:17], s[22:23], -1
	s_and_b64 s[16:17], s[16:17], vcc
	s_and_saveexec_b64 s[24:25], s[16:17]
	s_cbranch_execz .LBB122_42
; %bb.41:
	v_ashrrev_i32_e32 v5, 31, v4
	v_lshlrev_b64 v[10:11], 2, v[4:5]
	v_add_co_u32_e32 v10, vcc, v8, v10
	v_addc_co_u32_e32 v11, vcc, v9, v11, vcc
	global_load_dword v5, v[10:11], off
	global_load_dword v13, v[8:9], off offset:4
	s_waitcnt vmcnt(1)
	global_store_dword v[8:9], v5, off offset:4
	s_waitcnt vmcnt(1)
	global_store_dword v[10:11], v13, off
.LBB122_42:
	s_or_b64 exec, exec, s[24:25]
	v_mov_b32_e32 v19, v4
	v_mov_b32_e32 v18, v4
.LBB122_43:
	s_or_b64 exec, exec, s[18:19]
.LBB122_44:
	s_andn2_saveexec_b64 s[4:5], s[4:5]
	s_cbranch_execz .LBB122_48
; %bb.45:
	s_mov_b32 s18, 32
.LBB122_46:                             ; =>This Inner Loop Header: Depth=1
	v_mov_b32_e32 v13, s18
	buffer_load_dword v4, v13, s[0:3], 0 offen
	buffer_load_dword v5, v13, s[0:3], 0 offen offset:4
	buffer_load_dword v10, v13, s[0:3], 0 offen offset:8
	;; [unrolled: 1-line block ×15, first 2 shown]
	v_add_u32_e32 v31, s18, v16
	s_addk_i32 s18, 0xf0
	s_cmpk_eq_i32 s18, 0x3e0
	s_waitcnt vmcnt(12)
	ds_write2_b64 v31, v[4:5], v[10:11] offset1:1
	s_waitcnt vmcnt(8)
	ds_write2_b64 v31, v[19:20], v[21:22] offset0:2 offset1:3
	s_waitcnt vmcnt(4)
	ds_write2_b64 v31, v[23:24], v[25:26] offset0:4 offset1:5
	;; [unrolled: 2-line block ×3, first 2 shown]
	buffer_load_dword v5, v13, s[0:3], 0 offen offset:76
	buffer_load_dword v4, v13, s[0:3], 0 offen offset:72
	buffer_load_dword v11, v13, s[0:3], 0 offen offset:68
	buffer_load_dword v10, v13, s[0:3], 0 offen offset:64
	s_waitcnt vmcnt(0)
	ds_write2_b64 v31, v[10:11], v[4:5] offset0:8 offset1:9
	buffer_load_dword v5, v13, s[0:3], 0 offen offset:92
	buffer_load_dword v4, v13, s[0:3], 0 offen offset:88
	buffer_load_dword v11, v13, s[0:3], 0 offen offset:84
	buffer_load_dword v10, v13, s[0:3], 0 offen offset:80
	s_waitcnt vmcnt(0)
	ds_write2_b64 v31, v[10:11], v[4:5] offset0:10 offset1:11
	;; [unrolled: 6-line block ×11, first 2 shown]
	s_cbranch_scc0 .LBB122_46
; %bb.47:
	v_mov_b32_e32 v19, 1
.LBB122_48:
	s_or_b64 exec, exec, s[4:5]
	v_cmp_lt_i32_e32 vcc, 1, v19
	s_waitcnt vmcnt(0) lgkmcnt(0)
	s_barrier
	s_and_saveexec_b64 s[4:5], vcc
	s_cbranch_execz .LBB122_51
; %bb.49:
	buffer_load_dword v4, off, s[0:3], 0 offset:24
	buffer_load_dword v5, off, s[0:3], 0 offset:28
	;; [unrolled: 1-line block ×4, first 2 shown]
	s_mov_b32 s18, 32
	s_waitcnt vmcnt(2)
	v_mul_f64 v[20:21], v[2:3], v[4:5]
	v_mul_f64 v[4:5], v[0:1], v[4:5]
	s_waitcnt vmcnt(0)
	v_fma_f64 v[0:1], v[0:1], v[10:11], -v[20:21]
	v_fma_f64 v[2:3], v[2:3], v[10:11], v[4:5]
	buffer_store_dword v0, off, s[0:3], 0 offset:16
	buffer_store_dword v1, off, s[0:3], 0 offset:20
	;; [unrolled: 1-line block ×4, first 2 shown]
.LBB122_50:                             ; =>This Inner Loop Header: Depth=1
	v_add_u32_e32 v13, s18, v16
	ds_read2_b64 v[20:23], v13 offset1:1
	s_waitcnt lgkmcnt(0)
	v_mul_f64 v[4:5], v[22:23], v[2:3]
	v_mul_f64 v[2:3], v[20:21], v[2:3]
	v_fma_f64 v[10:11], v[20:21], v[0:1], -v[4:5]
	v_mov_b32_e32 v4, s18
	v_fma_f64 v[0:1], v[22:23], v[0:1], v[2:3]
	buffer_load_dword v2, v4, s[0:3], 0 offen
	buffer_load_dword v3, v4, s[0:3], 0 offen offset:4
	buffer_load_dword v20, v4, s[0:3], 0 offen offset:8
	;; [unrolled: 1-line block ×11, first 2 shown]
	s_addk_i32 s18, 0x60
	s_cmpk_lg_i32 s18, 0x3e0
	s_waitcnt vmcnt(10)
	v_add_f64 v[2:3], v[2:3], -v[10:11]
	s_waitcnt vmcnt(8)
	v_add_f64 v[0:1], v[20:21], -v[0:1]
	buffer_store_dword v3, v4, s[0:3], 0 offen offset:4
	buffer_store_dword v2, v4, s[0:3], 0 offen
	buffer_store_dword v1, v4, s[0:3], 0 offen offset:12
	buffer_store_dword v0, v4, s[0:3], 0 offen offset:8
	ds_read2_b64 v[20:23], v13 offset0:2 offset1:3
	buffer_load_dword v1, off, s[0:3], 0 offset:20
	buffer_load_dword v0, off, s[0:3], 0 offset:16
	;; [unrolled: 1-line block ×4, first 2 shown]
	s_waitcnt vmcnt(0) lgkmcnt(0)
	v_mul_f64 v[10:11], v[22:23], v[2:3]
	v_fma_f64 v[10:11], v[20:21], v[0:1], -v[10:11]
	v_mul_f64 v[20:21], v[20:21], v[2:3]
	v_add_f64 v[10:11], v[24:25], -v[10:11]
	v_fma_f64 v[20:21], v[22:23], v[0:1], v[20:21]
	v_add_f64 v[20:21], v[26:27], -v[20:21]
	buffer_store_dword v10, v4, s[0:3], 0 offen offset:16
	buffer_store_dword v11, v4, s[0:3], 0 offen offset:20
	;; [unrolled: 1-line block ×4, first 2 shown]
	ds_read2_b64 v[20:23], v13 offset0:4 offset1:5
	s_waitcnt lgkmcnt(0)
	v_mul_f64 v[10:11], v[22:23], v[2:3]
	v_fma_f64 v[10:11], v[20:21], v[0:1], -v[10:11]
	v_mul_f64 v[20:21], v[20:21], v[2:3]
	v_add_f64 v[10:11], v[28:29], -v[10:11]
	v_fma_f64 v[20:21], v[22:23], v[0:1], v[20:21]
	v_add_f64 v[20:21], v[30:31], -v[20:21]
	buffer_store_dword v11, v4, s[0:3], 0 offen offset:36
	buffer_store_dword v10, v4, s[0:3], 0 offen offset:32
	buffer_store_dword v21, v4, s[0:3], 0 offen offset:44
	buffer_store_dword v20, v4, s[0:3], 0 offen offset:40
	ds_read2_b64 v[20:23], v13 offset0:6 offset1:7
	s_waitcnt lgkmcnt(0)
	v_mul_f64 v[10:11], v[22:23], v[2:3]
	v_fma_f64 v[10:11], v[20:21], v[0:1], -v[10:11]
	v_mul_f64 v[20:21], v[20:21], v[2:3]
	v_fma_f64 v[20:21], v[22:23], v[0:1], v[20:21]
	buffer_load_dword v22, v4, s[0:3], 0 offen offset:48
	buffer_load_dword v23, v4, s[0:3], 0 offen offset:52
	buffer_load_dword v24, v4, s[0:3], 0 offen offset:56
	buffer_load_dword v25, v4, s[0:3], 0 offen offset:60
	s_waitcnt vmcnt(2)
	v_add_f64 v[10:11], v[22:23], -v[10:11]
	s_waitcnt vmcnt(0)
	v_add_f64 v[20:21], v[24:25], -v[20:21]
	buffer_store_dword v11, v4, s[0:3], 0 offen offset:52
	buffer_store_dword v10, v4, s[0:3], 0 offen offset:48
	buffer_store_dword v21, v4, s[0:3], 0 offen offset:60
	buffer_store_dword v20, v4, s[0:3], 0 offen offset:56
	ds_read2_b64 v[20:23], v13 offset0:8 offset1:9
	s_waitcnt lgkmcnt(0)
	v_mul_f64 v[10:11], v[22:23], v[2:3]
	v_fma_f64 v[10:11], v[20:21], v[0:1], -v[10:11]
	v_mul_f64 v[20:21], v[20:21], v[2:3]
	v_fma_f64 v[20:21], v[22:23], v[0:1], v[20:21]
	buffer_load_dword v22, v4, s[0:3], 0 offen offset:64
	buffer_load_dword v23, v4, s[0:3], 0 offen offset:68
	buffer_load_dword v24, v4, s[0:3], 0 offen offset:72
	buffer_load_dword v25, v4, s[0:3], 0 offen offset:76
	s_waitcnt vmcnt(2)
	v_add_f64 v[10:11], v[22:23], -v[10:11]
	s_waitcnt vmcnt(0)
	v_add_f64 v[20:21], v[24:25], -v[20:21]
	buffer_store_dword v11, v4, s[0:3], 0 offen offset:68
	buffer_store_dword v10, v4, s[0:3], 0 offen offset:64
	buffer_store_dword v21, v4, s[0:3], 0 offen offset:76
	buffer_store_dword v20, v4, s[0:3], 0 offen offset:72
	ds_read2_b64 v[20:23], v13 offset0:10 offset1:11
	s_waitcnt lgkmcnt(0)
	v_mul_f64 v[10:11], v[22:23], v[2:3]
	v_fma_f64 v[10:11], v[20:21], v[0:1], -v[10:11]
	v_mul_f64 v[20:21], v[20:21], v[2:3]
	v_fma_f64 v[20:21], v[22:23], v[0:1], v[20:21]
	buffer_load_dword v22, v4, s[0:3], 0 offen offset:80
	buffer_load_dword v23, v4, s[0:3], 0 offen offset:84
	buffer_load_dword v24, v4, s[0:3], 0 offen offset:88
	buffer_load_dword v25, v4, s[0:3], 0 offen offset:92
	s_waitcnt vmcnt(2)
	v_add_f64 v[10:11], v[22:23], -v[10:11]
	s_waitcnt vmcnt(0)
	v_add_f64 v[20:21], v[24:25], -v[20:21]
	buffer_store_dword v11, v4, s[0:3], 0 offen offset:84
	buffer_store_dword v10, v4, s[0:3], 0 offen offset:80
	;; [unrolled: 1-line block ×4, first 2 shown]
	s_cbranch_scc1 .LBB122_50
.LBB122_51:
	s_or_b64 exec, exec, s[4:5]
	v_mov_b32_e32 v3, s82
	s_waitcnt vmcnt(0)
	s_barrier
	buffer_load_dword v0, v3, s[0:3], 0 offen
	buffer_load_dword v1, v3, s[0:3], 0 offen offset:4
	buffer_load_dword v2, v3, s[0:3], 0 offen offset:8
	s_nop 0
	buffer_load_dword v3, v3, s[0:3], 0 offen offset:12
	v_lshl_add_u32 v4, v19, 4, v16
	s_cmp_lt_i32 s65, 4
	s_waitcnt vmcnt(0)
	ds_write2_b64 v4, v[0:1], v[2:3] offset1:1
	s_waitcnt lgkmcnt(0)
	s_barrier
	ds_read2_b64 v[0:3], v16 offset0:4 offset1:5
	v_mov_b32_e32 v4, 2
	s_cbranch_scc1 .LBB122_54
; %bb.52:
	v_add3_u32 v5, v12, 0, 48
	s_mov_b32 s16, 3
	v_mov_b32_e32 v4, 2
.LBB122_53:                             ; =>This Inner Loop Header: Depth=1
	s_waitcnt lgkmcnt(0)
	v_cmp_gt_f64_e32 vcc, 0, v[2:3]
	v_cmp_gt_f64_e64 s[4:5], 0, v[0:1]
	ds_read2_b64 v[20:23], v5 offset1:1
	v_xor_b32_e32 v11, 0x80000000, v1
	v_xor_b32_e32 v13, 0x80000000, v3
	v_mov_b32_e32 v10, v0
	v_mov_b32_e32 v24, v2
	s_waitcnt lgkmcnt(0)
	v_xor_b32_e32 v27, 0x80000000, v23
	v_cndmask_b32_e32 v25, v3, v13, vcc
	v_cndmask_b32_e64 v11, v1, v11, s[4:5]
	v_cmp_gt_f64_e32 vcc, 0, v[22:23]
	v_cmp_gt_f64_e64 s[4:5], 0, v[20:21]
	v_xor_b32_e32 v13, 0x80000000, v21
	v_add_f64 v[10:11], v[10:11], v[24:25]
	v_mov_b32_e32 v24, v20
	v_mov_b32_e32 v26, v22
	v_add_u32_e32 v5, 16, v5
	v_cndmask_b32_e32 v27, v23, v27, vcc
	v_cndmask_b32_e64 v25, v21, v13, s[4:5]
	v_add_f64 v[24:25], v[24:25], v[26:27]
	v_mov_b32_e32 v13, s16
	s_add_i32 s16, s16, 1
	s_cmp_lg_u32 s65, s16
	v_cmp_lt_f64_e32 vcc, v[10:11], v[24:25]
	v_cndmask_b32_e32 v1, v1, v21, vcc
	v_cndmask_b32_e32 v0, v0, v20, vcc
	;; [unrolled: 1-line block ×5, first 2 shown]
	s_cbranch_scc1 .LBB122_53
.LBB122_54:
	s_waitcnt lgkmcnt(0)
	v_cmp_eq_f64_e32 vcc, 0, v[0:1]
	v_cmp_eq_f64_e64 s[4:5], 0, v[2:3]
	s_and_b64 s[4:5], vcc, s[4:5]
	s_and_saveexec_b64 s[16:17], s[4:5]
	s_xor_b64 s[4:5], exec, s[16:17]
; %bb.55:
	v_cmp_ne_u32_e32 vcc, 0, v17
	v_cndmask_b32_e32 v17, 3, v17, vcc
; %bb.56:
	s_andn2_saveexec_b64 s[4:5], s[4:5]
	s_cbranch_execz .LBB122_62
; %bb.57:
	v_cmp_ngt_f64_e64 s[16:17], |v[0:1]|, |v[2:3]|
	s_and_saveexec_b64 s[18:19], s[16:17]
	s_xor_b64 s[18:19], exec, s[18:19]
	s_cbranch_execz .LBB122_59
; %bb.58:
	v_div_scale_f64 v[10:11], s[16:17], v[2:3], v[2:3], v[0:1]
	v_rcp_f64_e32 v[20:21], v[10:11]
	v_fma_f64 v[22:23], -v[10:11], v[20:21], 1.0
	v_fma_f64 v[20:21], v[20:21], v[22:23], v[20:21]
	v_div_scale_f64 v[22:23], vcc, v[0:1], v[2:3], v[0:1]
	v_fma_f64 v[24:25], -v[10:11], v[20:21], 1.0
	v_fma_f64 v[20:21], v[20:21], v[24:25], v[20:21]
	v_mul_f64 v[24:25], v[22:23], v[20:21]
	v_fma_f64 v[10:11], -v[10:11], v[24:25], v[22:23]
	v_div_fmas_f64 v[10:11], v[10:11], v[20:21], v[24:25]
	v_div_fixup_f64 v[10:11], v[10:11], v[2:3], v[0:1]
	v_fma_f64 v[0:1], v[0:1], v[10:11], v[2:3]
	v_div_scale_f64 v[2:3], s[16:17], v[0:1], v[0:1], 1.0
	v_div_scale_f64 v[24:25], vcc, 1.0, v[0:1], 1.0
	v_rcp_f64_e32 v[20:21], v[2:3]
	v_fma_f64 v[22:23], -v[2:3], v[20:21], 1.0
	v_fma_f64 v[20:21], v[20:21], v[22:23], v[20:21]
	v_fma_f64 v[22:23], -v[2:3], v[20:21], 1.0
	v_fma_f64 v[20:21], v[20:21], v[22:23], v[20:21]
	v_mul_f64 v[22:23], v[24:25], v[20:21]
	v_fma_f64 v[2:3], -v[2:3], v[22:23], v[24:25]
	v_div_fmas_f64 v[2:3], v[2:3], v[20:21], v[22:23]
	v_div_fixup_f64 v[2:3], v[2:3], v[0:1], 1.0
	v_mul_f64 v[0:1], v[10:11], v[2:3]
	v_xor_b32_e32 v3, 0x80000000, v3
.LBB122_59:
	s_andn2_saveexec_b64 s[18:19], s[18:19]
	s_cbranch_execz .LBB122_61
; %bb.60:
	v_div_scale_f64 v[10:11], s[16:17], v[0:1], v[0:1], v[2:3]
	v_rcp_f64_e32 v[20:21], v[10:11]
	v_fma_f64 v[22:23], -v[10:11], v[20:21], 1.0
	v_fma_f64 v[20:21], v[20:21], v[22:23], v[20:21]
	v_div_scale_f64 v[22:23], vcc, v[2:3], v[0:1], v[2:3]
	v_fma_f64 v[24:25], -v[10:11], v[20:21], 1.0
	v_fma_f64 v[20:21], v[20:21], v[24:25], v[20:21]
	v_mul_f64 v[24:25], v[22:23], v[20:21]
	v_fma_f64 v[10:11], -v[10:11], v[24:25], v[22:23]
	v_div_fmas_f64 v[10:11], v[10:11], v[20:21], v[24:25]
	v_div_fixup_f64 v[10:11], v[10:11], v[0:1], v[2:3]
	v_fma_f64 v[0:1], v[2:3], v[10:11], v[0:1]
	v_div_scale_f64 v[2:3], s[16:17], v[0:1], v[0:1], 1.0
	v_div_scale_f64 v[24:25], vcc, 1.0, v[0:1], 1.0
	v_rcp_f64_e32 v[20:21], v[2:3]
	v_fma_f64 v[22:23], -v[2:3], v[20:21], 1.0
	v_fma_f64 v[20:21], v[20:21], v[22:23], v[20:21]
	v_fma_f64 v[22:23], -v[2:3], v[20:21], 1.0
	v_fma_f64 v[20:21], v[20:21], v[22:23], v[20:21]
	v_mul_f64 v[22:23], v[24:25], v[20:21]
	v_fma_f64 v[2:3], -v[2:3], v[22:23], v[24:25]
	v_div_fmas_f64 v[2:3], v[2:3], v[20:21], v[22:23]
	v_div_fixup_f64 v[0:1], v[2:3], v[0:1], 1.0
	v_mul_f64 v[2:3], v[10:11], -v[0:1]
.LBB122_61:
	s_or_b64 exec, exec, s[18:19]
.LBB122_62:
	s_or_b64 exec, exec, s[4:5]
	v_cmp_ne_u32_e32 vcc, v19, v4
	s_and_saveexec_b64 s[4:5], vcc
	s_xor_b64 s[4:5], exec, s[4:5]
	s_cbranch_execz .LBB122_68
; %bb.63:
	v_cmp_eq_u32_e32 vcc, 2, v19
	s_and_saveexec_b64 s[18:19], vcc
	s_cbranch_execz .LBB122_67
; %bb.64:
	v_cmp_ne_u32_e32 vcc, 2, v4
	s_xor_b64 s[16:17], s[22:23], -1
	s_and_b64 s[16:17], s[16:17], vcc
	s_and_saveexec_b64 s[24:25], s[16:17]
	s_cbranch_execz .LBB122_66
; %bb.65:
	v_ashrrev_i32_e32 v5, 31, v4
	v_lshlrev_b64 v[10:11], 2, v[4:5]
	v_add_co_u32_e32 v10, vcc, v8, v10
	v_addc_co_u32_e32 v11, vcc, v9, v11, vcc
	global_load_dword v5, v[10:11], off
	global_load_dword v13, v[8:9], off offset:8
	s_waitcnt vmcnt(1)
	global_store_dword v[8:9], v5, off offset:8
	s_waitcnt vmcnt(1)
	global_store_dword v[10:11], v13, off
.LBB122_66:
	s_or_b64 exec, exec, s[24:25]
	v_mov_b32_e32 v19, v4
	v_mov_b32_e32 v18, v4
.LBB122_67:
	s_or_b64 exec, exec, s[18:19]
.LBB122_68:
	s_andn2_saveexec_b64 s[4:5], s[4:5]
	s_cbranch_execz .LBB122_74
; %bb.69:
	s_mov_b32 s16, 48
	s_branch .LBB122_71
.LBB122_70:                             ;   in Loop: Header=BB122_71 Depth=1
	s_andn2_b64 vcc, exec, s[18:19]
	s_cbranch_vccz .LBB122_73
.LBB122_71:                             ; =>This Inner Loop Header: Depth=1
	v_mov_b32_e32 v4, s16
	buffer_load_dword v10, v4, s[0:3], 0 offen
	buffer_load_dword v11, v4, s[0:3], 0 offen offset:4
	buffer_load_dword v19, v4, s[0:3], 0 offen offset:8
	;; [unrolled: 1-line block ×11, first 2 shown]
	s_mov_b32 s17, s16
	v_add_u32_e32 v4, s16, v16
	s_cmpk_eq_i32 s16, 0x3b0
	s_mov_b64 s[18:19], -1
	s_waitcnt vmcnt(8)
	ds_write2_b64 v4, v[10:11], v[19:20] offset1:1
	s_waitcnt vmcnt(4)
	ds_write2_b64 v4, v[21:22], v[23:24] offset0:2 offset1:3
	s_waitcnt vmcnt(0)
	ds_write2_b64 v4, v[25:26], v[27:28] offset0:4 offset1:5
	s_cbranch_scc1 .LBB122_70
; %bb.72:                               ;   in Loop: Header=BB122_71 Depth=1
	v_mov_b32_e32 v5, s17
	buffer_load_dword v10, v5, s[0:3], 0 offen offset:48
	buffer_load_dword v11, v5, s[0:3], 0 offen offset:52
	;; [unrolled: 1-line block ×20, first 2 shown]
	s_addk_i32 s16, 0x80
	s_mov_b64 s[18:19], 0
	s_waitcnt vmcnt(16)
	ds_write2_b64 v4, v[10:11], v[19:20] offset0:6 offset1:7
	s_waitcnt vmcnt(12)
	ds_write2_b64 v4, v[21:22], v[23:24] offset0:8 offset1:9
	;; [unrolled: 2-line block ×5, first 2 shown]
	s_branch .LBB122_70
.LBB122_73:
	v_mov_b32_e32 v19, 2
.LBB122_74:
	s_or_b64 exec, exec, s[4:5]
	v_cmp_lt_i32_e32 vcc, 2, v19
	s_waitcnt vmcnt(0) lgkmcnt(0)
	s_barrier
	s_and_saveexec_b64 s[4:5], vcc
	s_cbranch_execz .LBB122_79
; %bb.75:
	buffer_load_dword v4, off, s[0:3], 0 offset:40
	buffer_load_dword v5, off, s[0:3], 0 offset:44
	;; [unrolled: 1-line block ×4, first 2 shown]
	s_mov_b32 s24, 48
	s_waitcnt vmcnt(2)
	v_mul_f64 v[20:21], v[2:3], v[4:5]
	v_mul_f64 v[4:5], v[0:1], v[4:5]
	s_waitcnt vmcnt(0)
	v_fma_f64 v[0:1], v[0:1], v[10:11], -v[20:21]
	v_fma_f64 v[2:3], v[2:3], v[10:11], v[4:5]
	buffer_store_dword v0, off, s[0:3], 0 offset:32
	buffer_store_dword v1, off, s[0:3], 0 offset:36
	;; [unrolled: 1-line block ×4, first 2 shown]
	s_branch .LBB122_77
.LBB122_76:                             ;   in Loop: Header=BB122_77 Depth=1
	s_andn2_b64 vcc, exec, s[18:19]
	s_cbranch_vccz .LBB122_79
.LBB122_77:                             ; =>This Inner Loop Header: Depth=1
	v_mov_b32_e32 v5, s24
	buffer_load_dword v10, v5, s[0:3], 0 offen
	buffer_load_dword v11, v5, s[0:3], 0 offen offset:4
	buffer_load_dword v28, v5, s[0:3], 0 offen offset:8
	;; [unrolled: 1-line block ×3, first 2 shown]
	v_add_u32_e32 v4, s24, v16
	ds_read2_b64 v[20:23], v4 offset1:1
	ds_read2_b64 v[24:27], v4 offset0:2 offset1:3
	s_mov_b32 s16, s24
	s_cmpk_eq_i32 s24, 0x3b0
	s_mov_b64 s[18:19], -1
	s_waitcnt lgkmcnt(1)
	v_mul_f64 v[30:31], v[22:23], v[2:3]
	v_mul_f64 v[2:3], v[20:21], v[2:3]
	v_fma_f64 v[20:21], v[20:21], v[0:1], -v[30:31]
	v_fma_f64 v[0:1], v[22:23], v[0:1], v[2:3]
	buffer_load_dword v2, v5, s[0:3], 0 offen offset:20
	buffer_load_dword v22, v5, s[0:3], 0 offen offset:28
	;; [unrolled: 1-line block ×3, first 2 shown]
	s_waitcnt vmcnt(5)
	v_add_f64 v[10:11], v[10:11], -v[20:21]
	s_waitcnt vmcnt(3)
	v_add_f64 v[0:1], v[28:29], -v[0:1]
	buffer_store_dword v11, v5, s[0:3], 0 offen offset:4
	buffer_store_dword v10, v5, s[0:3], 0 offen
	buffer_store_dword v1, v5, s[0:3], 0 offen offset:12
	buffer_store_dword v0, v5, s[0:3], 0 offen offset:8
	buffer_load_dword v21, v5, s[0:3], 0 offen offset:24
	s_nop 0
	buffer_load_dword v11, v5, s[0:3], 0 offen offset:36
	buffer_load_dword v29, off, s[0:3], 0 offset:44
	buffer_load_dword v28, off, s[0:3], 0 offset:40
	;; [unrolled: 1-line block ×4, first 2 shown]
	buffer_load_dword v1, v5, s[0:3], 0 offen offset:16
	s_waitcnt vmcnt(3) lgkmcnt(0)
	v_mul_f64 v[33:34], v[26:27], v[28:29]
	v_mul_f64 v[28:29], v[24:25], v[28:29]
	s_waitcnt vmcnt(1)
	v_fma_f64 v[23:24], v[24:25], v[31:32], -v[33:34]
	v_fma_f64 v[25:26], v[26:27], v[31:32], v[28:29]
	s_waitcnt vmcnt(0)
	v_add_f64 v[0:1], v[1:2], -v[23:24]
	v_add_f64 v[2:3], v[21:22], -v[25:26]
	buffer_store_dword v1, v5, s[0:3], 0 offen offset:20
	buffer_store_dword v0, v5, s[0:3], 0 offen offset:16
	;; [unrolled: 1-line block ×4, first 2 shown]
	buffer_load_dword v31, v5, s[0:3], 0 offen offset:44
	s_nop 0
	buffer_load_dword v2, off, s[0:3], 0 offset:40
	buffer_load_dword v3, off, s[0:3], 0 offset:44
	buffer_load_dword v0, off, s[0:3], 0 offset:32
	buffer_load_dword v1, off, s[0:3], 0 offset:36
	buffer_load_dword v10, v5, s[0:3], 0 offen offset:32
	ds_read2_b64 v[20:23], v4 offset0:4 offset1:5
	s_waitcnt vmcnt(3) lgkmcnt(0)
	v_mul_f64 v[24:25], v[22:23], v[2:3]
	v_mul_f64 v[26:27], v[20:21], v[2:3]
	s_waitcnt vmcnt(1)
	v_fma_f64 v[20:21], v[20:21], v[0:1], -v[24:25]
	v_fma_f64 v[22:23], v[22:23], v[0:1], v[26:27]
	s_waitcnt vmcnt(0)
	v_add_f64 v[10:11], v[10:11], -v[20:21]
	v_add_f64 v[20:21], v[30:31], -v[22:23]
	buffer_store_dword v11, v5, s[0:3], 0 offen offset:36
	buffer_store_dword v10, v5, s[0:3], 0 offen offset:32
	;; [unrolled: 1-line block ×4, first 2 shown]
	s_cbranch_scc1 .LBB122_76
; %bb.78:                               ;   in Loop: Header=BB122_77 Depth=1
	v_mov_b32_e32 v13, s16
	buffer_load_dword v10, v13, s[0:3], 0 offen offset:48
	buffer_load_dword v11, v13, s[0:3], 0 offen offset:52
	;; [unrolled: 1-line block ×4, first 2 shown]
	ds_read2_b64 v[20:23], v4 offset0:6 offset1:7
	s_add_i32 s24, s24, 64
	s_mov_b64 s[18:19], 0
	s_waitcnt lgkmcnt(0)
	v_mul_f64 v[4:5], v[22:23], v[2:3]
	v_mul_f64 v[26:27], v[20:21], v[2:3]
	v_fma_f64 v[4:5], v[20:21], v[0:1], -v[4:5]
	v_fma_f64 v[20:21], v[22:23], v[0:1], v[26:27]
	s_waitcnt vmcnt(2)
	v_add_f64 v[4:5], v[10:11], -v[4:5]
	s_waitcnt vmcnt(0)
	v_add_f64 v[10:11], v[24:25], -v[20:21]
	buffer_store_dword v4, v13, s[0:3], 0 offen offset:48
	buffer_store_dword v5, v13, s[0:3], 0 offen offset:52
	;; [unrolled: 1-line block ×4, first 2 shown]
	s_branch .LBB122_76
.LBB122_79:
	s_or_b64 exec, exec, s[4:5]
	v_mov_b32_e32 v3, s81
	s_waitcnt vmcnt(0)
	s_barrier
	buffer_load_dword v0, v3, s[0:3], 0 offen
	buffer_load_dword v1, v3, s[0:3], 0 offen offset:4
	buffer_load_dword v2, v3, s[0:3], 0 offen offset:8
	s_nop 0
	buffer_load_dword v3, v3, s[0:3], 0 offen offset:12
	v_lshl_add_u32 v4, v19, 4, v16
	s_mov_b32 s16, 4
	s_cmp_lt_i32 s65, 5
	s_waitcnt vmcnt(0)
	ds_write2_b64 v4, v[0:1], v[2:3] offset1:1
	s_waitcnt lgkmcnt(0)
	s_barrier
	ds_read2_b64 v[0:3], v16 offset0:6 offset1:7
	v_mov_b32_e32 v4, 3
	s_cbranch_scc1 .LBB122_82
; %bb.80:
	v_add3_u32 v5, v12, 0, 64
	v_mov_b32_e32 v4, 3
.LBB122_81:                             ; =>This Inner Loop Header: Depth=1
	s_waitcnt lgkmcnt(0)
	v_cmp_gt_f64_e32 vcc, 0, v[2:3]
	v_cmp_gt_f64_e64 s[4:5], 0, v[0:1]
	ds_read2_b64 v[10:13], v5 offset1:1
	v_xor_b32_e32 v21, 0x80000000, v1
	v_xor_b32_e32 v23, 0x80000000, v3
	v_mov_b32_e32 v20, v0
	v_mov_b32_e32 v22, v2
	s_waitcnt lgkmcnt(0)
	v_xor_b32_e32 v25, 0x80000000, v13
	v_cndmask_b32_e32 v23, v3, v23, vcc
	v_cndmask_b32_e64 v21, v1, v21, s[4:5]
	v_cmp_gt_f64_e32 vcc, 0, v[12:13]
	v_cmp_gt_f64_e64 s[4:5], 0, v[10:11]
	v_add_f64 v[20:21], v[20:21], v[22:23]
	v_xor_b32_e32 v23, 0x80000000, v11
	v_mov_b32_e32 v22, v10
	v_mov_b32_e32 v24, v12
	v_add_u32_e32 v5, 16, v5
	v_cndmask_b32_e32 v25, v13, v25, vcc
	v_cndmask_b32_e64 v23, v11, v23, s[4:5]
	v_add_f64 v[22:23], v[22:23], v[24:25]
	v_mov_b32_e32 v24, s16
	s_add_i32 s16, s16, 1
	s_cmp_lg_u32 s65, s16
	v_cmp_lt_f64_e32 vcc, v[20:21], v[22:23]
	v_cndmask_b32_e32 v1, v1, v11, vcc
	v_cndmask_b32_e32 v0, v0, v10, vcc
	;; [unrolled: 1-line block ×5, first 2 shown]
	s_cbranch_scc1 .LBB122_81
.LBB122_82:
	s_waitcnt lgkmcnt(0)
	v_cmp_eq_f64_e32 vcc, 0, v[0:1]
	v_cmp_eq_f64_e64 s[4:5], 0, v[2:3]
	s_and_b64 s[4:5], vcc, s[4:5]
	s_and_saveexec_b64 s[16:17], s[4:5]
	s_xor_b64 s[4:5], exec, s[16:17]
; %bb.83:
	v_cmp_ne_u32_e32 vcc, 0, v17
	v_cndmask_b32_e32 v17, 4, v17, vcc
; %bb.84:
	s_andn2_saveexec_b64 s[4:5], s[4:5]
	s_cbranch_execz .LBB122_90
; %bb.85:
	v_cmp_ngt_f64_e64 s[16:17], |v[0:1]|, |v[2:3]|
	s_and_saveexec_b64 s[18:19], s[16:17]
	s_xor_b64 s[18:19], exec, s[18:19]
	s_cbranch_execz .LBB122_87
; %bb.86:
	v_div_scale_f64 v[10:11], s[16:17], v[2:3], v[2:3], v[0:1]
	v_rcp_f64_e32 v[12:13], v[10:11]
	v_fma_f64 v[20:21], -v[10:11], v[12:13], 1.0
	v_fma_f64 v[12:13], v[12:13], v[20:21], v[12:13]
	v_div_scale_f64 v[20:21], vcc, v[0:1], v[2:3], v[0:1]
	v_fma_f64 v[22:23], -v[10:11], v[12:13], 1.0
	v_fma_f64 v[12:13], v[12:13], v[22:23], v[12:13]
	v_mul_f64 v[22:23], v[20:21], v[12:13]
	v_fma_f64 v[10:11], -v[10:11], v[22:23], v[20:21]
	v_div_fmas_f64 v[10:11], v[10:11], v[12:13], v[22:23]
	v_div_fixup_f64 v[10:11], v[10:11], v[2:3], v[0:1]
	v_fma_f64 v[0:1], v[0:1], v[10:11], v[2:3]
	v_div_scale_f64 v[2:3], s[16:17], v[0:1], v[0:1], 1.0
	v_div_scale_f64 v[22:23], vcc, 1.0, v[0:1], 1.0
	v_rcp_f64_e32 v[12:13], v[2:3]
	v_fma_f64 v[20:21], -v[2:3], v[12:13], 1.0
	v_fma_f64 v[12:13], v[12:13], v[20:21], v[12:13]
	v_fma_f64 v[20:21], -v[2:3], v[12:13], 1.0
	v_fma_f64 v[12:13], v[12:13], v[20:21], v[12:13]
	v_mul_f64 v[20:21], v[22:23], v[12:13]
	v_fma_f64 v[2:3], -v[2:3], v[20:21], v[22:23]
	v_div_fmas_f64 v[2:3], v[2:3], v[12:13], v[20:21]
	v_div_fixup_f64 v[2:3], v[2:3], v[0:1], 1.0
	v_mul_f64 v[0:1], v[10:11], v[2:3]
	v_xor_b32_e32 v3, 0x80000000, v3
.LBB122_87:
	s_andn2_saveexec_b64 s[18:19], s[18:19]
	s_cbranch_execz .LBB122_89
; %bb.88:
	v_div_scale_f64 v[10:11], s[16:17], v[0:1], v[0:1], v[2:3]
	v_rcp_f64_e32 v[12:13], v[10:11]
	v_fma_f64 v[20:21], -v[10:11], v[12:13], 1.0
	v_fma_f64 v[12:13], v[12:13], v[20:21], v[12:13]
	v_div_scale_f64 v[20:21], vcc, v[2:3], v[0:1], v[2:3]
	v_fma_f64 v[22:23], -v[10:11], v[12:13], 1.0
	v_fma_f64 v[12:13], v[12:13], v[22:23], v[12:13]
	v_mul_f64 v[22:23], v[20:21], v[12:13]
	v_fma_f64 v[10:11], -v[10:11], v[22:23], v[20:21]
	v_div_fmas_f64 v[10:11], v[10:11], v[12:13], v[22:23]
	v_div_fixup_f64 v[10:11], v[10:11], v[0:1], v[2:3]
	v_fma_f64 v[0:1], v[2:3], v[10:11], v[0:1]
	v_div_scale_f64 v[2:3], s[16:17], v[0:1], v[0:1], 1.0
	v_div_scale_f64 v[22:23], vcc, 1.0, v[0:1], 1.0
	v_rcp_f64_e32 v[12:13], v[2:3]
	v_fma_f64 v[20:21], -v[2:3], v[12:13], 1.0
	v_fma_f64 v[12:13], v[12:13], v[20:21], v[12:13]
	v_fma_f64 v[20:21], -v[2:3], v[12:13], 1.0
	v_fma_f64 v[12:13], v[12:13], v[20:21], v[12:13]
	v_mul_f64 v[20:21], v[22:23], v[12:13]
	v_fma_f64 v[2:3], -v[2:3], v[20:21], v[22:23]
	v_div_fmas_f64 v[2:3], v[2:3], v[12:13], v[20:21]
	v_div_fixup_f64 v[0:1], v[2:3], v[0:1], 1.0
	v_mul_f64 v[2:3], v[10:11], -v[0:1]
.LBB122_89:
	s_or_b64 exec, exec, s[18:19]
.LBB122_90:
	s_or_b64 exec, exec, s[4:5]
	v_cmp_ne_u32_e32 vcc, v19, v4
	s_and_saveexec_b64 s[4:5], vcc
	s_xor_b64 s[4:5], exec, s[4:5]
	s_cbranch_execz .LBB122_96
; %bb.91:
	v_cmp_eq_u32_e32 vcc, 3, v19
	s_and_saveexec_b64 s[18:19], vcc
	s_cbranch_execz .LBB122_95
; %bb.92:
	v_cmp_ne_u32_e32 vcc, 3, v4
	s_xor_b64 s[16:17], s[22:23], -1
	s_and_b64 s[16:17], s[16:17], vcc
	s_and_saveexec_b64 s[24:25], s[16:17]
	s_cbranch_execz .LBB122_94
; %bb.93:
	v_ashrrev_i32_e32 v5, 31, v4
	v_lshlrev_b64 v[10:11], 2, v[4:5]
	v_add_co_u32_e32 v10, vcc, v8, v10
	v_addc_co_u32_e32 v11, vcc, v9, v11, vcc
	global_load_dword v5, v[10:11], off
	global_load_dword v12, v[8:9], off offset:12
	s_waitcnt vmcnt(1)
	global_store_dword v[8:9], v5, off offset:12
	s_waitcnt vmcnt(1)
	global_store_dword v[10:11], v12, off
.LBB122_94:
	s_or_b64 exec, exec, s[24:25]
	v_mov_b32_e32 v19, v4
	v_mov_b32_e32 v18, v4
.LBB122_95:
	s_or_b64 exec, exec, s[18:19]
.LBB122_96:
	s_andn2_saveexec_b64 s[4:5], s[4:5]
	s_cbranch_execz .LBB122_100
; %bb.97:
	s_mov_b32 s16, 64
.LBB122_98:                             ; =>This Inner Loop Header: Depth=1
	v_mov_b32_e32 v20, s16
	buffer_load_dword v4, v20, s[0:3], 0 offen
	buffer_load_dword v5, v20, s[0:3], 0 offen offset:4
	buffer_load_dword v10, v20, s[0:3], 0 offen offset:8
	;; [unrolled: 1-line block ×6, first 2 shown]
	s_nop 0
	buffer_load_dword v20, v20, s[0:3], 0 offen offset:28
	v_add_u32_e32 v21, s16, v16
	s_add_i32 s16, s16, 32
	s_cmpk_eq_i32 s16, 0x3e0
	s_waitcnt vmcnt(4)
	ds_write2_b64 v21, v[4:5], v[10:11] offset1:1
	s_waitcnt vmcnt(0)
	ds_write2_b64 v21, v[12:13], v[19:20] offset0:2 offset1:3
	s_cbranch_scc0 .LBB122_98
; %bb.99:
	v_mov_b32_e32 v19, 3
.LBB122_100:
	s_or_b64 exec, exec, s[4:5]
	v_cmp_lt_i32_e32 vcc, 3, v19
	s_waitcnt vmcnt(0) lgkmcnt(0)
	s_barrier
	s_and_saveexec_b64 s[4:5], vcc
	s_cbranch_execz .LBB122_103
; %bb.101:
	buffer_load_dword v4, off, s[0:3], 0 offset:56
	buffer_load_dword v5, off, s[0:3], 0 offset:60
	;; [unrolled: 1-line block ×4, first 2 shown]
	s_mov_b32 s16, 64
	s_waitcnt vmcnt(2)
	v_mul_f64 v[12:13], v[2:3], v[4:5]
	v_mul_f64 v[4:5], v[0:1], v[4:5]
	s_waitcnt vmcnt(0)
	v_fma_f64 v[0:1], v[0:1], v[10:11], -v[12:13]
	v_fma_f64 v[2:3], v[2:3], v[10:11], v[4:5]
	buffer_store_dword v0, off, s[0:3], 0 offset:48
	buffer_store_dword v1, off, s[0:3], 0 offset:52
	;; [unrolled: 1-line block ×4, first 2 shown]
.LBB122_102:                            ; =>This Inner Loop Header: Depth=1
	buffer_load_dword v4, off, s[0:3], 0 offset:56
	buffer_load_dword v5, off, s[0:3], 0 offset:60
	buffer_load_dword v20, off, s[0:3], 0 offset:48
	buffer_load_dword v21, off, s[0:3], 0 offset:52
	v_mov_b32_e32 v32, s16
	buffer_load_dword v22, v32, s[0:3], 0 offen
	buffer_load_dword v23, v32, s[0:3], 0 offen offset:4
	buffer_load_dword v24, v32, s[0:3], 0 offen offset:8
	;; [unrolled: 1-line block ×3, first 2 shown]
	v_add_u32_e32 v10, s16, v16
	ds_read2_b64 v[0:3], v10 offset1:1
	buffer_load_dword v26, v32, s[0:3], 0 offen offset:16
	buffer_load_dword v27, v32, s[0:3], 0 offen offset:20
	;; [unrolled: 1-line block ×4, first 2 shown]
	ds_read2_b64 v[10:13], v10 offset0:2 offset1:3
	s_add_i32 s16, s16, 32
	s_cmpk_lg_i32 s16, 0x3e0
	s_waitcnt vmcnt(10) lgkmcnt(1)
	v_mul_f64 v[30:31], v[2:3], v[4:5]
	v_mul_f64 v[4:5], v[0:1], v[4:5]
	s_waitcnt vmcnt(8)
	v_fma_f64 v[0:1], v[0:1], v[20:21], -v[30:31]
	v_fma_f64 v[2:3], v[2:3], v[20:21], v[4:5]
	s_waitcnt vmcnt(6)
	v_add_f64 v[0:1], v[22:23], -v[0:1]
	s_waitcnt vmcnt(4)
	v_add_f64 v[2:3], v[24:25], -v[2:3]
	buffer_store_dword v1, v32, s[0:3], 0 offen offset:4
	buffer_store_dword v0, v32, s[0:3], 0 offen
	buffer_store_dword v3, v32, s[0:3], 0 offen offset:12
	buffer_store_dword v2, v32, s[0:3], 0 offen offset:8
	buffer_load_dword v1, off, s[0:3], 0 offset:60
	s_nop 0
	buffer_load_dword v0, off, s[0:3], 0 offset:56
	buffer_load_dword v3, off, s[0:3], 0 offset:52
	;; [unrolled: 1-line block ×3, first 2 shown]
	s_waitcnt vmcnt(2) lgkmcnt(0)
	v_mul_f64 v[4:5], v[12:13], v[0:1]
	v_mul_f64 v[0:1], v[10:11], v[0:1]
	s_waitcnt vmcnt(0)
	v_fma_f64 v[4:5], v[10:11], v[2:3], -v[4:5]
	v_fma_f64 v[0:1], v[12:13], v[2:3], v[0:1]
	v_add_f64 v[2:3], v[26:27], -v[4:5]
	v_add_f64 v[0:1], v[28:29], -v[0:1]
	buffer_store_dword v3, v32, s[0:3], 0 offen offset:20
	buffer_store_dword v2, v32, s[0:3], 0 offen offset:16
	;; [unrolled: 1-line block ×4, first 2 shown]
	s_cbranch_scc1 .LBB122_102
.LBB122_103:
	s_or_b64 exec, exec, s[4:5]
	v_mov_b32_e32 v3, s86
	s_waitcnt vmcnt(0)
	s_barrier
	buffer_load_dword v0, v3, s[0:3], 0 offen
	buffer_load_dword v1, v3, s[0:3], 0 offen offset:4
	buffer_load_dword v2, v3, s[0:3], 0 offen offset:8
	s_nop 0
	buffer_load_dword v3, v3, s[0:3], 0 offen offset:12
	v_lshl_add_u32 v4, v19, 4, v16
	s_cmp_lt_i32 s65, 6
	s_waitcnt vmcnt(0)
	ds_write2_b64 v4, v[0:1], v[2:3] offset1:1
	s_waitcnt lgkmcnt(0)
	s_barrier
	ds_read2_b64 v[0:3], v16 offset0:8 offset1:9
	v_mov_b32_e32 v4, 4
	s_cbranch_scc1 .LBB122_106
; %bb.104:
	v_mov_b32_e32 v4, 4
	v_add_u32_e32 v5, 0x50, v16
	s_mov_b32 s16, 5
.LBB122_105:                            ; =>This Inner Loop Header: Depth=1
	s_waitcnt lgkmcnt(0)
	v_cmp_gt_f64_e32 vcc, 0, v[2:3]
	v_cmp_gt_f64_e64 s[4:5], 0, v[0:1]
	ds_read2_b64 v[10:13], v5 offset1:1
	v_xor_b32_e32 v21, 0x80000000, v1
	v_xor_b32_e32 v23, 0x80000000, v3
	v_mov_b32_e32 v20, v0
	v_mov_b32_e32 v22, v2
	s_waitcnt lgkmcnt(0)
	v_xor_b32_e32 v25, 0x80000000, v13
	v_cndmask_b32_e32 v23, v3, v23, vcc
	v_cndmask_b32_e64 v21, v1, v21, s[4:5]
	v_cmp_gt_f64_e32 vcc, 0, v[12:13]
	v_cmp_gt_f64_e64 s[4:5], 0, v[10:11]
	v_add_f64 v[20:21], v[20:21], v[22:23]
	v_xor_b32_e32 v23, 0x80000000, v11
	v_mov_b32_e32 v22, v10
	v_mov_b32_e32 v24, v12
	v_add_u32_e32 v5, 16, v5
	v_cndmask_b32_e32 v25, v13, v25, vcc
	v_cndmask_b32_e64 v23, v11, v23, s[4:5]
	v_add_f64 v[22:23], v[22:23], v[24:25]
	v_mov_b32_e32 v24, s16
	s_add_i32 s16, s16, 1
	s_cmp_lg_u32 s65, s16
	v_cmp_lt_f64_e32 vcc, v[20:21], v[22:23]
	v_cndmask_b32_e32 v1, v1, v11, vcc
	v_cndmask_b32_e32 v0, v0, v10, vcc
	;; [unrolled: 1-line block ×5, first 2 shown]
	s_cbranch_scc1 .LBB122_105
.LBB122_106:
	s_waitcnt lgkmcnt(0)
	v_cmp_eq_f64_e32 vcc, 0, v[0:1]
	v_cmp_eq_f64_e64 s[4:5], 0, v[2:3]
	s_and_b64 s[4:5], vcc, s[4:5]
	s_and_saveexec_b64 s[16:17], s[4:5]
	s_xor_b64 s[4:5], exec, s[16:17]
; %bb.107:
	v_cmp_ne_u32_e32 vcc, 0, v17
	v_cndmask_b32_e32 v17, 5, v17, vcc
; %bb.108:
	s_andn2_saveexec_b64 s[4:5], s[4:5]
	s_cbranch_execz .LBB122_114
; %bb.109:
	v_cmp_ngt_f64_e64 s[16:17], |v[0:1]|, |v[2:3]|
	s_and_saveexec_b64 s[18:19], s[16:17]
	s_xor_b64 s[18:19], exec, s[18:19]
	s_cbranch_execz .LBB122_111
; %bb.110:
	v_div_scale_f64 v[10:11], s[16:17], v[2:3], v[2:3], v[0:1]
	v_rcp_f64_e32 v[12:13], v[10:11]
	v_fma_f64 v[20:21], -v[10:11], v[12:13], 1.0
	v_fma_f64 v[12:13], v[12:13], v[20:21], v[12:13]
	v_div_scale_f64 v[20:21], vcc, v[0:1], v[2:3], v[0:1]
	v_fma_f64 v[22:23], -v[10:11], v[12:13], 1.0
	v_fma_f64 v[12:13], v[12:13], v[22:23], v[12:13]
	v_mul_f64 v[22:23], v[20:21], v[12:13]
	v_fma_f64 v[10:11], -v[10:11], v[22:23], v[20:21]
	v_div_fmas_f64 v[10:11], v[10:11], v[12:13], v[22:23]
	v_div_fixup_f64 v[10:11], v[10:11], v[2:3], v[0:1]
	v_fma_f64 v[0:1], v[0:1], v[10:11], v[2:3]
	v_div_scale_f64 v[2:3], s[16:17], v[0:1], v[0:1], 1.0
	v_div_scale_f64 v[22:23], vcc, 1.0, v[0:1], 1.0
	v_rcp_f64_e32 v[12:13], v[2:3]
	v_fma_f64 v[20:21], -v[2:3], v[12:13], 1.0
	v_fma_f64 v[12:13], v[12:13], v[20:21], v[12:13]
	v_fma_f64 v[20:21], -v[2:3], v[12:13], 1.0
	v_fma_f64 v[12:13], v[12:13], v[20:21], v[12:13]
	v_mul_f64 v[20:21], v[22:23], v[12:13]
	v_fma_f64 v[2:3], -v[2:3], v[20:21], v[22:23]
	v_div_fmas_f64 v[2:3], v[2:3], v[12:13], v[20:21]
	v_div_fixup_f64 v[2:3], v[2:3], v[0:1], 1.0
	v_mul_f64 v[0:1], v[10:11], v[2:3]
	v_xor_b32_e32 v3, 0x80000000, v3
.LBB122_111:
	s_andn2_saveexec_b64 s[18:19], s[18:19]
	s_cbranch_execz .LBB122_113
; %bb.112:
	v_div_scale_f64 v[10:11], s[16:17], v[0:1], v[0:1], v[2:3]
	v_rcp_f64_e32 v[12:13], v[10:11]
	v_fma_f64 v[20:21], -v[10:11], v[12:13], 1.0
	v_fma_f64 v[12:13], v[12:13], v[20:21], v[12:13]
	v_div_scale_f64 v[20:21], vcc, v[2:3], v[0:1], v[2:3]
	v_fma_f64 v[22:23], -v[10:11], v[12:13], 1.0
	v_fma_f64 v[12:13], v[12:13], v[22:23], v[12:13]
	v_mul_f64 v[22:23], v[20:21], v[12:13]
	v_fma_f64 v[10:11], -v[10:11], v[22:23], v[20:21]
	v_div_fmas_f64 v[10:11], v[10:11], v[12:13], v[22:23]
	v_div_fixup_f64 v[10:11], v[10:11], v[0:1], v[2:3]
	v_fma_f64 v[0:1], v[2:3], v[10:11], v[0:1]
	v_div_scale_f64 v[2:3], s[16:17], v[0:1], v[0:1], 1.0
	v_div_scale_f64 v[22:23], vcc, 1.0, v[0:1], 1.0
	v_rcp_f64_e32 v[12:13], v[2:3]
	v_fma_f64 v[20:21], -v[2:3], v[12:13], 1.0
	v_fma_f64 v[12:13], v[12:13], v[20:21], v[12:13]
	v_fma_f64 v[20:21], -v[2:3], v[12:13], 1.0
	v_fma_f64 v[12:13], v[12:13], v[20:21], v[12:13]
	v_mul_f64 v[20:21], v[22:23], v[12:13]
	v_fma_f64 v[2:3], -v[2:3], v[20:21], v[22:23]
	v_div_fmas_f64 v[2:3], v[2:3], v[12:13], v[20:21]
	v_div_fixup_f64 v[0:1], v[2:3], v[0:1], 1.0
	v_mul_f64 v[2:3], v[10:11], -v[0:1]
.LBB122_113:
	s_or_b64 exec, exec, s[18:19]
.LBB122_114:
	s_or_b64 exec, exec, s[4:5]
	v_cmp_ne_u32_e32 vcc, v19, v4
	s_and_saveexec_b64 s[4:5], vcc
	s_xor_b64 s[4:5], exec, s[4:5]
	s_cbranch_execz .LBB122_120
; %bb.115:
	v_cmp_eq_u32_e32 vcc, 4, v19
	s_and_saveexec_b64 s[18:19], vcc
	s_cbranch_execz .LBB122_119
; %bb.116:
	v_cmp_ne_u32_e32 vcc, 4, v4
	s_xor_b64 s[16:17], s[22:23], -1
	s_and_b64 s[16:17], s[16:17], vcc
	s_and_saveexec_b64 s[24:25], s[16:17]
	s_cbranch_execz .LBB122_118
; %bb.117:
	v_ashrrev_i32_e32 v5, 31, v4
	v_lshlrev_b64 v[10:11], 2, v[4:5]
	v_add_co_u32_e32 v10, vcc, v8, v10
	v_addc_co_u32_e32 v11, vcc, v9, v11, vcc
	global_load_dword v5, v[10:11], off
	global_load_dword v12, v[8:9], off offset:16
	s_waitcnt vmcnt(1)
	global_store_dword v[8:9], v5, off offset:16
	s_waitcnt vmcnt(1)
	global_store_dword v[10:11], v12, off
.LBB122_118:
	s_or_b64 exec, exec, s[24:25]
	v_mov_b32_e32 v19, v4
	v_mov_b32_e32 v18, v4
.LBB122_119:
	s_or_b64 exec, exec, s[18:19]
.LBB122_120:
	s_andn2_saveexec_b64 s[4:5], s[4:5]
	s_cbranch_execz .LBB122_124
; %bb.121:
	s_movk_i32 s16, 0x50
.LBB122_122:                            ; =>This Inner Loop Header: Depth=1
	v_mov_b32_e32 v24, s16
	buffer_load_dword v4, v24, s[0:3], 0 offen
	buffer_load_dword v5, v24, s[0:3], 0 offen offset:4
	buffer_load_dword v10, v24, s[0:3], 0 offen offset:8
	;; [unrolled: 1-line block ×10, first 2 shown]
	s_nop 0
	buffer_load_dword v24, v24, s[0:3], 0 offen offset:44
	v_add_u32_e32 v25, s16, v16
	s_add_i32 s16, s16, 48
	s_cmpk_eq_i32 s16, 0x3e0
	s_waitcnt vmcnt(8)
	ds_write2_b64 v25, v[4:5], v[10:11] offset1:1
	s_waitcnt vmcnt(4)
	ds_write2_b64 v25, v[12:13], v[19:20] offset0:2 offset1:3
	s_waitcnt vmcnt(0)
	ds_write2_b64 v25, v[21:22], v[23:24] offset0:4 offset1:5
	s_cbranch_scc0 .LBB122_122
; %bb.123:
	v_mov_b32_e32 v19, 4
.LBB122_124:
	s_or_b64 exec, exec, s[4:5]
	v_cmp_lt_i32_e32 vcc, 4, v19
	s_waitcnt vmcnt(0) lgkmcnt(0)
	s_barrier
	s_and_saveexec_b64 s[4:5], vcc
	s_cbranch_execz .LBB122_127
; %bb.125:
	buffer_load_dword v4, off, s[0:3], 0 offset:72
	buffer_load_dword v5, off, s[0:3], 0 offset:76
	;; [unrolled: 1-line block ×4, first 2 shown]
	s_movk_i32 s16, 0x50
	s_waitcnt vmcnt(2)
	v_mul_f64 v[12:13], v[2:3], v[4:5]
	v_mul_f64 v[4:5], v[0:1], v[4:5]
	s_waitcnt vmcnt(0)
	v_fma_f64 v[0:1], v[0:1], v[10:11], -v[12:13]
	v_fma_f64 v[2:3], v[2:3], v[10:11], v[4:5]
	buffer_store_dword v0, off, s[0:3], 0 offset:64
	buffer_store_dword v1, off, s[0:3], 0 offset:68
	;; [unrolled: 1-line block ×4, first 2 shown]
.LBB122_126:                            ; =>This Inner Loop Header: Depth=1
	buffer_load_dword v4, off, s[0:3], 0 offset:72
	buffer_load_dword v5, off, s[0:3], 0 offset:76
	buffer_load_dword v20, off, s[0:3], 0 offset:64
	buffer_load_dword v21, off, s[0:3], 0 offset:68
	v_mov_b32_e32 v32, s16
	buffer_load_dword v22, v32, s[0:3], 0 offen
	buffer_load_dword v23, v32, s[0:3], 0 offen offset:4
	buffer_load_dword v24, v32, s[0:3], 0 offen offset:8
	;; [unrolled: 1-line block ×3, first 2 shown]
	v_add_u32_e32 v33, s16, v16
	ds_read2_b64 v[0:3], v33 offset1:1
	buffer_load_dword v26, v32, s[0:3], 0 offen offset:16
	buffer_load_dword v27, v32, s[0:3], 0 offen offset:20
	buffer_load_dword v28, v32, s[0:3], 0 offen offset:24
	buffer_load_dword v29, v32, s[0:3], 0 offen offset:28
	ds_read2_b64 v[10:13], v33 offset0:2 offset1:3
	s_add_i32 s16, s16, 48
	s_cmpk_lg_i32 s16, 0x3e0
	s_waitcnt vmcnt(10) lgkmcnt(1)
	v_mul_f64 v[30:31], v[2:3], v[4:5]
	v_mul_f64 v[4:5], v[0:1], v[4:5]
	s_waitcnt vmcnt(8)
	v_fma_f64 v[0:1], v[0:1], v[20:21], -v[30:31]
	v_fma_f64 v[2:3], v[2:3], v[20:21], v[4:5]
	s_waitcnt vmcnt(6)
	v_add_f64 v[0:1], v[22:23], -v[0:1]
	s_waitcnt vmcnt(4)
	v_add_f64 v[2:3], v[24:25], -v[2:3]
	buffer_store_dword v1, v32, s[0:3], 0 offen offset:4
	buffer_store_dword v0, v32, s[0:3], 0 offen
	buffer_store_dword v3, v32, s[0:3], 0 offen offset:12
	buffer_store_dword v2, v32, s[0:3], 0 offen offset:8
	buffer_load_dword v1, off, s[0:3], 0 offset:76
	s_nop 0
	buffer_load_dword v0, off, s[0:3], 0 offset:72
	buffer_load_dword v3, off, s[0:3], 0 offset:68
	;; [unrolled: 1-line block ×3, first 2 shown]
	buffer_load_dword v4, v32, s[0:3], 0 offen offset:32
	buffer_load_dword v5, v32, s[0:3], 0 offen offset:36
	;; [unrolled: 1-line block ×4, first 2 shown]
	s_waitcnt vmcnt(6) lgkmcnt(0)
	v_mul_f64 v[22:23], v[12:13], v[0:1]
	v_mul_f64 v[0:1], v[10:11], v[0:1]
	s_waitcnt vmcnt(4)
	v_fma_f64 v[10:11], v[10:11], v[2:3], -v[22:23]
	v_fma_f64 v[0:1], v[12:13], v[2:3], v[0:1]
	v_add_f64 v[2:3], v[26:27], -v[10:11]
	v_add_f64 v[0:1], v[28:29], -v[0:1]
	buffer_store_dword v3, v32, s[0:3], 0 offen offset:20
	buffer_store_dword v2, v32, s[0:3], 0 offen offset:16
	;; [unrolled: 1-line block ×4, first 2 shown]
	buffer_load_dword v10, off, s[0:3], 0 offset:72
	buffer_load_dword v11, off, s[0:3], 0 offset:76
	;; [unrolled: 1-line block ×4, first 2 shown]
	ds_read2_b64 v[0:3], v33 offset0:4 offset1:5
	s_waitcnt vmcnt(2) lgkmcnt(0)
	v_mul_f64 v[22:23], v[2:3], v[10:11]
	v_mul_f64 v[10:11], v[0:1], v[10:11]
	s_waitcnt vmcnt(0)
	v_fma_f64 v[0:1], v[0:1], v[12:13], -v[22:23]
	v_fma_f64 v[2:3], v[2:3], v[12:13], v[10:11]
	v_add_f64 v[0:1], v[4:5], -v[0:1]
	v_add_f64 v[2:3], v[20:21], -v[2:3]
	buffer_store_dword v1, v32, s[0:3], 0 offen offset:36
	buffer_store_dword v0, v32, s[0:3], 0 offen offset:32
	;; [unrolled: 1-line block ×4, first 2 shown]
	s_cbranch_scc1 .LBB122_126
.LBB122_127:
	s_or_b64 exec, exec, s[4:5]
	v_mov_b32_e32 v3, s80
	s_waitcnt vmcnt(0)
	s_barrier
	buffer_load_dword v0, v3, s[0:3], 0 offen
	buffer_load_dword v1, v3, s[0:3], 0 offen offset:4
	buffer_load_dword v2, v3, s[0:3], 0 offen offset:8
	s_nop 0
	buffer_load_dword v3, v3, s[0:3], 0 offen offset:12
	v_lshl_add_u32 v4, v19, 4, v16
	s_cmp_lt_i32 s65, 7
	s_waitcnt vmcnt(0)
	ds_write2_b64 v4, v[0:1], v[2:3] offset1:1
	s_waitcnt lgkmcnt(0)
	s_barrier
	ds_read2_b64 v[0:3], v16 offset0:10 offset1:11
	v_mov_b32_e32 v4, 5
	s_cbranch_scc1 .LBB122_130
; %bb.128:
	v_add_u32_e32 v5, 0x60, v16
	s_mov_b32 s16, 6
	v_mov_b32_e32 v4, 5
.LBB122_129:                            ; =>This Inner Loop Header: Depth=1
	s_waitcnt lgkmcnt(0)
	v_cmp_gt_f64_e32 vcc, 0, v[2:3]
	v_cmp_gt_f64_e64 s[4:5], 0, v[0:1]
	ds_read2_b64 v[10:13], v5 offset1:1
	v_xor_b32_e32 v21, 0x80000000, v1
	v_xor_b32_e32 v23, 0x80000000, v3
	v_mov_b32_e32 v20, v0
	v_mov_b32_e32 v22, v2
	s_waitcnt lgkmcnt(0)
	v_xor_b32_e32 v25, 0x80000000, v13
	v_cndmask_b32_e32 v23, v3, v23, vcc
	v_cndmask_b32_e64 v21, v1, v21, s[4:5]
	v_cmp_gt_f64_e32 vcc, 0, v[12:13]
	v_cmp_gt_f64_e64 s[4:5], 0, v[10:11]
	v_add_f64 v[20:21], v[20:21], v[22:23]
	v_xor_b32_e32 v23, 0x80000000, v11
	v_mov_b32_e32 v22, v10
	v_mov_b32_e32 v24, v12
	v_add_u32_e32 v5, 16, v5
	v_cndmask_b32_e32 v25, v13, v25, vcc
	v_cndmask_b32_e64 v23, v11, v23, s[4:5]
	v_add_f64 v[22:23], v[22:23], v[24:25]
	v_mov_b32_e32 v24, s16
	s_add_i32 s16, s16, 1
	s_cmp_lg_u32 s65, s16
	v_cmp_lt_f64_e32 vcc, v[20:21], v[22:23]
	v_cndmask_b32_e32 v1, v1, v11, vcc
	v_cndmask_b32_e32 v0, v0, v10, vcc
	v_cndmask_b32_e32 v3, v3, v13, vcc
	v_cndmask_b32_e32 v2, v2, v12, vcc
	v_cndmask_b32_e32 v4, v4, v24, vcc
	s_cbranch_scc1 .LBB122_129
.LBB122_130:
	s_waitcnt lgkmcnt(0)
	v_cmp_eq_f64_e32 vcc, 0, v[0:1]
	v_cmp_eq_f64_e64 s[4:5], 0, v[2:3]
	s_and_b64 s[4:5], vcc, s[4:5]
	s_and_saveexec_b64 s[16:17], s[4:5]
	s_xor_b64 s[4:5], exec, s[16:17]
; %bb.131:
	v_cmp_ne_u32_e32 vcc, 0, v17
	v_cndmask_b32_e32 v17, 6, v17, vcc
; %bb.132:
	s_andn2_saveexec_b64 s[4:5], s[4:5]
	s_cbranch_execz .LBB122_138
; %bb.133:
	v_cmp_ngt_f64_e64 s[16:17], |v[0:1]|, |v[2:3]|
	s_and_saveexec_b64 s[18:19], s[16:17]
	s_xor_b64 s[18:19], exec, s[18:19]
	s_cbranch_execz .LBB122_135
; %bb.134:
	v_div_scale_f64 v[10:11], s[16:17], v[2:3], v[2:3], v[0:1]
	v_rcp_f64_e32 v[12:13], v[10:11]
	v_fma_f64 v[20:21], -v[10:11], v[12:13], 1.0
	v_fma_f64 v[12:13], v[12:13], v[20:21], v[12:13]
	v_div_scale_f64 v[20:21], vcc, v[0:1], v[2:3], v[0:1]
	v_fma_f64 v[22:23], -v[10:11], v[12:13], 1.0
	v_fma_f64 v[12:13], v[12:13], v[22:23], v[12:13]
	v_mul_f64 v[22:23], v[20:21], v[12:13]
	v_fma_f64 v[10:11], -v[10:11], v[22:23], v[20:21]
	v_div_fmas_f64 v[10:11], v[10:11], v[12:13], v[22:23]
	v_div_fixup_f64 v[10:11], v[10:11], v[2:3], v[0:1]
	v_fma_f64 v[0:1], v[0:1], v[10:11], v[2:3]
	v_div_scale_f64 v[2:3], s[16:17], v[0:1], v[0:1], 1.0
	v_div_scale_f64 v[22:23], vcc, 1.0, v[0:1], 1.0
	v_rcp_f64_e32 v[12:13], v[2:3]
	v_fma_f64 v[20:21], -v[2:3], v[12:13], 1.0
	v_fma_f64 v[12:13], v[12:13], v[20:21], v[12:13]
	v_fma_f64 v[20:21], -v[2:3], v[12:13], 1.0
	v_fma_f64 v[12:13], v[12:13], v[20:21], v[12:13]
	v_mul_f64 v[20:21], v[22:23], v[12:13]
	v_fma_f64 v[2:3], -v[2:3], v[20:21], v[22:23]
	v_div_fmas_f64 v[2:3], v[2:3], v[12:13], v[20:21]
	v_div_fixup_f64 v[2:3], v[2:3], v[0:1], 1.0
	v_mul_f64 v[0:1], v[10:11], v[2:3]
	v_xor_b32_e32 v3, 0x80000000, v3
.LBB122_135:
	s_andn2_saveexec_b64 s[18:19], s[18:19]
	s_cbranch_execz .LBB122_137
; %bb.136:
	v_div_scale_f64 v[10:11], s[16:17], v[0:1], v[0:1], v[2:3]
	v_rcp_f64_e32 v[12:13], v[10:11]
	v_fma_f64 v[20:21], -v[10:11], v[12:13], 1.0
	v_fma_f64 v[12:13], v[12:13], v[20:21], v[12:13]
	v_div_scale_f64 v[20:21], vcc, v[2:3], v[0:1], v[2:3]
	v_fma_f64 v[22:23], -v[10:11], v[12:13], 1.0
	v_fma_f64 v[12:13], v[12:13], v[22:23], v[12:13]
	v_mul_f64 v[22:23], v[20:21], v[12:13]
	v_fma_f64 v[10:11], -v[10:11], v[22:23], v[20:21]
	v_div_fmas_f64 v[10:11], v[10:11], v[12:13], v[22:23]
	v_div_fixup_f64 v[10:11], v[10:11], v[0:1], v[2:3]
	v_fma_f64 v[0:1], v[2:3], v[10:11], v[0:1]
	v_div_scale_f64 v[2:3], s[16:17], v[0:1], v[0:1], 1.0
	v_div_scale_f64 v[22:23], vcc, 1.0, v[0:1], 1.0
	v_rcp_f64_e32 v[12:13], v[2:3]
	v_fma_f64 v[20:21], -v[2:3], v[12:13], 1.0
	v_fma_f64 v[12:13], v[12:13], v[20:21], v[12:13]
	v_fma_f64 v[20:21], -v[2:3], v[12:13], 1.0
	v_fma_f64 v[12:13], v[12:13], v[20:21], v[12:13]
	v_mul_f64 v[20:21], v[22:23], v[12:13]
	v_fma_f64 v[2:3], -v[2:3], v[20:21], v[22:23]
	v_div_fmas_f64 v[2:3], v[2:3], v[12:13], v[20:21]
	v_div_fixup_f64 v[0:1], v[2:3], v[0:1], 1.0
	v_mul_f64 v[2:3], v[10:11], -v[0:1]
.LBB122_137:
	s_or_b64 exec, exec, s[18:19]
.LBB122_138:
	s_or_b64 exec, exec, s[4:5]
	v_cmp_ne_u32_e32 vcc, v19, v4
	s_and_saveexec_b64 s[4:5], vcc
	s_xor_b64 s[4:5], exec, s[4:5]
	s_cbranch_execz .LBB122_144
; %bb.139:
	v_cmp_eq_u32_e32 vcc, 5, v19
	s_and_saveexec_b64 s[18:19], vcc
	s_cbranch_execz .LBB122_143
; %bb.140:
	v_cmp_ne_u32_e32 vcc, 5, v4
	s_xor_b64 s[16:17], s[22:23], -1
	s_and_b64 s[16:17], s[16:17], vcc
	s_and_saveexec_b64 s[24:25], s[16:17]
	s_cbranch_execz .LBB122_142
; %bb.141:
	v_ashrrev_i32_e32 v5, 31, v4
	v_lshlrev_b64 v[10:11], 2, v[4:5]
	v_add_co_u32_e32 v10, vcc, v8, v10
	v_addc_co_u32_e32 v11, vcc, v9, v11, vcc
	global_load_dword v5, v[10:11], off
	global_load_dword v12, v[8:9], off offset:20
	s_waitcnt vmcnt(1)
	global_store_dword v[8:9], v5, off offset:20
	s_waitcnt vmcnt(1)
	global_store_dword v[10:11], v12, off
.LBB122_142:
	s_or_b64 exec, exec, s[24:25]
	v_mov_b32_e32 v19, v4
	v_mov_b32_e32 v18, v4
.LBB122_143:
	s_or_b64 exec, exec, s[18:19]
.LBB122_144:
	s_andn2_saveexec_b64 s[4:5], s[4:5]
	s_cbranch_execz .LBB122_148
; %bb.145:
	s_movk_i32 s18, 0x60
.LBB122_146:                            ; =>This Inner Loop Header: Depth=1
	v_mov_b32_e32 v29, s18
	buffer_load_dword v4, v29, s[0:3], 0 offen
	buffer_load_dword v5, v29, s[0:3], 0 offen offset:4
	buffer_load_dword v10, v29, s[0:3], 0 offen offset:8
	;; [unrolled: 1-line block ×15, first 2 shown]
	v_add_u32_e32 v30, s18, v16
	s_addk_i32 s18, 0xe0
	s_cmpk_eq_i32 s18, 0x3e0
	s_waitcnt vmcnt(12)
	ds_write2_b64 v30, v[4:5], v[10:11] offset1:1
	s_waitcnt vmcnt(8)
	ds_write2_b64 v30, v[12:13], v[19:20] offset0:2 offset1:3
	s_waitcnt vmcnt(4)
	ds_write2_b64 v30, v[21:22], v[23:24] offset0:4 offset1:5
	;; [unrolled: 2-line block ×3, first 2 shown]
	buffer_load_dword v5, v29, s[0:3], 0 offen offset:76
	buffer_load_dword v4, v29, s[0:3], 0 offen offset:72
	buffer_load_dword v11, v29, s[0:3], 0 offen offset:68
	buffer_load_dword v10, v29, s[0:3], 0 offen offset:64
	s_waitcnt vmcnt(0)
	ds_write2_b64 v30, v[10:11], v[4:5] offset0:8 offset1:9
	buffer_load_dword v5, v29, s[0:3], 0 offen offset:92
	buffer_load_dword v4, v29, s[0:3], 0 offen offset:88
	buffer_load_dword v11, v29, s[0:3], 0 offen offset:84
	buffer_load_dword v10, v29, s[0:3], 0 offen offset:80
	s_waitcnt vmcnt(0)
	ds_write2_b64 v30, v[10:11], v[4:5] offset0:10 offset1:11
	buffer_load_dword v5, v29, s[0:3], 0 offen offset:108
	buffer_load_dword v4, v29, s[0:3], 0 offen offset:104
	buffer_load_dword v11, v29, s[0:3], 0 offen offset:100
	buffer_load_dword v10, v29, s[0:3], 0 offen offset:96
	s_waitcnt vmcnt(0)
	ds_write2_b64 v30, v[10:11], v[4:5] offset0:12 offset1:13
	buffer_load_dword v5, v29, s[0:3], 0 offen offset:124
	buffer_load_dword v4, v29, s[0:3], 0 offen offset:120
	buffer_load_dword v11, v29, s[0:3], 0 offen offset:116
	buffer_load_dword v10, v29, s[0:3], 0 offen offset:112
	s_waitcnt vmcnt(0)
	ds_write2_b64 v30, v[10:11], v[4:5] offset0:14 offset1:15
	buffer_load_dword v4, v29, s[0:3], 0 offen offset:128
	buffer_load_dword v5, v29, s[0:3], 0 offen offset:132
	buffer_load_dword v10, v29, s[0:3], 0 offen offset:136
	buffer_load_dword v11, v29, s[0:3], 0 offen offset:140
	s_waitcnt vmcnt(0)
	ds_write2_b64 v30, v[4:5], v[10:11] offset0:16 offset1:17
	buffer_load_dword v4, v29, s[0:3], 0 offen offset:144
	buffer_load_dword v5, v29, s[0:3], 0 offen offset:148
	buffer_load_dword v10, v29, s[0:3], 0 offen offset:152
	buffer_load_dword v11, v29, s[0:3], 0 offen offset:156
	s_waitcnt vmcnt(0)
	ds_write2_b64 v30, v[4:5], v[10:11] offset0:18 offset1:19
	buffer_load_dword v4, v29, s[0:3], 0 offen offset:160
	buffer_load_dword v5, v29, s[0:3], 0 offen offset:164
	buffer_load_dword v10, v29, s[0:3], 0 offen offset:168
	buffer_load_dword v11, v29, s[0:3], 0 offen offset:172
	s_waitcnt vmcnt(0)
	ds_write2_b64 v30, v[4:5], v[10:11] offset0:20 offset1:21
	buffer_load_dword v4, v29, s[0:3], 0 offen offset:176
	buffer_load_dword v5, v29, s[0:3], 0 offen offset:180
	buffer_load_dword v10, v29, s[0:3], 0 offen offset:184
	buffer_load_dword v11, v29, s[0:3], 0 offen offset:188
	s_waitcnt vmcnt(0)
	ds_write2_b64 v30, v[4:5], v[10:11] offset0:22 offset1:23
	buffer_load_dword v4, v29, s[0:3], 0 offen offset:192
	buffer_load_dword v5, v29, s[0:3], 0 offen offset:196
	buffer_load_dword v10, v29, s[0:3], 0 offen offset:200
	buffer_load_dword v11, v29, s[0:3], 0 offen offset:204
	s_waitcnt vmcnt(0)
	ds_write2_b64 v30, v[4:5], v[10:11] offset0:24 offset1:25
	buffer_load_dword v4, v29, s[0:3], 0 offen offset:208
	buffer_load_dword v5, v29, s[0:3], 0 offen offset:212
	buffer_load_dword v10, v29, s[0:3], 0 offen offset:216
	buffer_load_dword v11, v29, s[0:3], 0 offen offset:220
	s_waitcnt vmcnt(0)
	ds_write2_b64 v30, v[4:5], v[10:11] offset0:26 offset1:27
	s_cbranch_scc0 .LBB122_146
; %bb.147:
	v_mov_b32_e32 v19, 5
.LBB122_148:
	s_or_b64 exec, exec, s[4:5]
	v_cmp_lt_i32_e32 vcc, 5, v19
	s_waitcnt vmcnt(0) lgkmcnt(0)
	s_barrier
	s_and_saveexec_b64 s[4:5], vcc
	s_cbranch_execz .LBB122_151
; %bb.149:
	buffer_load_dword v4, off, s[0:3], 0 offset:88
	buffer_load_dword v5, off, s[0:3], 0 offset:92
	;; [unrolled: 1-line block ×4, first 2 shown]
	s_movk_i32 s18, 0x60
	s_waitcnt vmcnt(2)
	v_mul_f64 v[12:13], v[2:3], v[4:5]
	v_mul_f64 v[4:5], v[0:1], v[4:5]
	s_waitcnt vmcnt(0)
	v_fma_f64 v[0:1], v[0:1], v[10:11], -v[12:13]
	v_fma_f64 v[2:3], v[2:3], v[10:11], v[4:5]
	buffer_store_dword v0, off, s[0:3], 0 offset:80
	buffer_store_dword v1, off, s[0:3], 0 offset:84
	;; [unrolled: 1-line block ×4, first 2 shown]
.LBB122_150:                            ; =>This Inner Loop Header: Depth=1
	v_mov_b32_e32 v4, s18
	buffer_load_dword v24, v4, s[0:3], 0 offen
	buffer_load_dword v25, v4, s[0:3], 0 offen offset:4
	buffer_load_dword v26, v4, s[0:3], 0 offen offset:8
	buffer_load_dword v27, v4, s[0:3], 0 offen offset:12
	v_add_u32_e32 v5, s18, v16
	ds_read2_b64 v[10:13], v5 offset1:1
	ds_read2_b64 v[20:23], v5 offset0:2 offset1:3
	buffer_load_dword v28, v4, s[0:3], 0 offen offset:16
	buffer_load_dword v30, v4, s[0:3], 0 offen offset:24
	;; [unrolled: 1-line block ×8, first 2 shown]
	s_addk_i32 s18, 0x70
	s_cmpk_lg_i32 s18, 0x3e0
	s_waitcnt lgkmcnt(1)
	v_mul_f64 v[38:39], v[12:13], v[2:3]
	v_mul_f64 v[2:3], v[10:11], v[2:3]
	v_fma_f64 v[10:11], v[10:11], v[0:1], -v[38:39]
	v_fma_f64 v[0:1], v[12:13], v[0:1], v[2:3]
	s_waitcnt vmcnt(10)
	v_add_f64 v[2:3], v[24:25], -v[10:11]
	s_waitcnt vmcnt(8)
	v_add_f64 v[0:1], v[26:27], -v[0:1]
	buffer_store_dword v3, v4, s[0:3], 0 offen offset:4
	buffer_store_dword v2, v4, s[0:3], 0 offen
	buffer_store_dword v1, v4, s[0:3], 0 offen offset:12
	buffer_store_dword v0, v4, s[0:3], 0 offen offset:8
	buffer_load_dword v1, off, s[0:3], 0 offset:92
	s_nop 0
	buffer_load_dword v0, off, s[0:3], 0 offset:88
	buffer_load_dword v3, off, s[0:3], 0 offset:84
	;; [unrolled: 1-line block ×3, first 2 shown]
	buffer_load_dword v32, v4, s[0:3], 0 offen offset:32
	buffer_load_dword v36, v4, s[0:3], 0 offen offset:44
	;; [unrolled: 1-line block ×4, first 2 shown]
	s_waitcnt vmcnt(6) lgkmcnt(0)
	v_mul_f64 v[10:11], v[22:23], v[0:1]
	v_mul_f64 v[0:1], v[20:21], v[0:1]
	s_waitcnt vmcnt(4)
	v_fma_f64 v[10:11], v[20:21], v[2:3], -v[10:11]
	v_fma_f64 v[0:1], v[22:23], v[2:3], v[0:1]
	v_add_f64 v[2:3], v[28:29], -v[10:11]
	v_add_f64 v[0:1], v[30:31], -v[0:1]
	buffer_store_dword v3, v4, s[0:3], 0 offen offset:20
	buffer_store_dword v2, v4, s[0:3], 0 offen offset:16
	buffer_store_dword v1, v4, s[0:3], 0 offen offset:28
	buffer_store_dword v0, v4, s[0:3], 0 offen offset:24
	buffer_load_dword v20, off, s[0:3], 0 offset:88
	buffer_load_dword v21, off, s[0:3], 0 offset:92
	buffer_load_dword v22, off, s[0:3], 0 offset:80
	buffer_load_dword v23, off, s[0:3], 0 offset:84
	ds_read2_b64 v[0:3], v5 offset0:4 offset1:5
	ds_read2_b64 v[10:13], v5 offset0:6 offset1:7
	s_waitcnt vmcnt(2) lgkmcnt(1)
	v_mul_f64 v[25:26], v[2:3], v[20:21]
	v_mul_f64 v[20:21], v[0:1], v[20:21]
	s_waitcnt vmcnt(0)
	v_fma_f64 v[0:1], v[0:1], v[22:23], -v[25:26]
	v_fma_f64 v[2:3], v[2:3], v[22:23], v[20:21]
	v_add_f64 v[0:1], v[32:33], -v[0:1]
	v_add_f64 v[2:3], v[35:36], -v[2:3]
	buffer_store_dword v1, v4, s[0:3], 0 offen offset:36
	buffer_store_dword v0, v4, s[0:3], 0 offen offset:32
	;; [unrolled: 1-line block ×4, first 2 shown]
	buffer_load_dword v0, off, s[0:3], 0 offset:88
	s_nop 0
	buffer_load_dword v1, off, s[0:3], 0 offset:92
	buffer_load_dword v2, off, s[0:3], 0 offset:80
	;; [unrolled: 1-line block ×3, first 2 shown]
	buffer_load_dword v33, v4, s[0:3], 0 offen offset:48
	buffer_load_dword v21, v4, s[0:3], 0 offen offset:68
	;; [unrolled: 1-line block ×4, first 2 shown]
	s_waitcnt vmcnt(6) lgkmcnt(0)
	v_mul_f64 v[22:23], v[12:13], v[0:1]
	v_mul_f64 v[0:1], v[10:11], v[0:1]
	s_waitcnt vmcnt(4)
	v_fma_f64 v[10:11], v[10:11], v[2:3], -v[22:23]
	v_fma_f64 v[0:1], v[12:13], v[2:3], v[0:1]
	s_waitcnt vmcnt(3)
	v_add_f64 v[2:3], v[33:34], -v[10:11]
	v_add_f64 v[0:1], v[37:38], -v[0:1]
	buffer_store_dword v3, v4, s[0:3], 0 offen offset:52
	buffer_store_dword v2, v4, s[0:3], 0 offen offset:48
	;; [unrolled: 1-line block ×4, first 2 shown]
	buffer_load_dword v22, off, s[0:3], 0 offset:88
	buffer_load_dword v23, off, s[0:3], 0 offset:92
	;; [unrolled: 1-line block ×4, first 2 shown]
	buffer_load_dword v20, v4, s[0:3], 0 offen offset:64
	buffer_load_dword v25, v4, s[0:3], 0 offen offset:76
	ds_read2_b64 v[0:3], v5 offset0:8 offset1:9
	ds_read2_b64 v[10:13], v5 offset0:10 offset1:11
	buffer_load_dword v31, v4, s[0:3], 0 offen offset:88
	buffer_load_dword v28, v4, s[0:3], 0 offen offset:100
	s_waitcnt vmcnt(6) lgkmcnt(1)
	v_mul_f64 v[32:33], v[2:3], v[22:23]
	v_mul_f64 v[22:23], v[0:1], v[22:23]
	s_waitcnt vmcnt(4)
	v_fma_f64 v[0:1], v[0:1], v[29:30], -v[32:33]
	v_fma_f64 v[2:3], v[2:3], v[29:30], v[22:23]
	s_waitcnt vmcnt(3)
	v_add_f64 v[0:1], v[20:21], -v[0:1]
	s_waitcnt vmcnt(2)
	v_add_f64 v[2:3], v[24:25], -v[2:3]
	buffer_store_dword v1, v4, s[0:3], 0 offen offset:68
	buffer_store_dword v0, v4, s[0:3], 0 offen offset:64
	;; [unrolled: 1-line block ×4, first 2 shown]
	buffer_load_dword v2, off, s[0:3], 0 offset:88
	s_nop 0
	buffer_load_dword v3, off, s[0:3], 0 offset:92
	buffer_load_dword v0, off, s[0:3], 0 offset:80
	buffer_load_dword v1, off, s[0:3], 0 offset:84
	buffer_load_dword v25, v4, s[0:3], 0 offen offset:80
	buffer_load_dword v32, v4, s[0:3], 0 offen offset:92
	;; [unrolled: 1-line block ×4, first 2 shown]
	ds_read2_b64 v[20:23], v5 offset0:12 offset1:13
	s_waitcnt vmcnt(6) lgkmcnt(1)
	v_mul_f64 v[33:34], v[12:13], v[2:3]
	v_mul_f64 v[35:36], v[10:11], v[2:3]
	s_waitcnt lgkmcnt(0)
	v_mul_f64 v[37:38], v[22:23], v[2:3]
	v_mul_f64 v[39:40], v[20:21], v[2:3]
	s_waitcnt vmcnt(4)
	v_fma_f64 v[10:11], v[10:11], v[0:1], -v[33:34]
	v_fma_f64 v[12:13], v[12:13], v[0:1], v[35:36]
	v_fma_f64 v[20:21], v[20:21], v[0:1], -v[37:38]
	v_fma_f64 v[22:23], v[22:23], v[0:1], v[39:40]
	s_waitcnt vmcnt(3)
	v_add_f64 v[10:11], v[25:26], -v[10:11]
	s_waitcnt vmcnt(2)
	v_add_f64 v[12:13], v[31:32], -v[12:13]
	v_add_f64 v[20:21], v[27:28], -v[20:21]
	s_waitcnt vmcnt(0)
	v_add_f64 v[22:23], v[29:30], -v[22:23]
	buffer_store_dword v11, v4, s[0:3], 0 offen offset:84
	buffer_store_dword v10, v4, s[0:3], 0 offen offset:80
	;; [unrolled: 1-line block ×8, first 2 shown]
	s_cbranch_scc1 .LBB122_150
.LBB122_151:
	s_or_b64 exec, exec, s[4:5]
	v_mov_b32_e32 v3, s79
	s_waitcnt vmcnt(0)
	s_barrier
	buffer_load_dword v0, v3, s[0:3], 0 offen
	buffer_load_dword v1, v3, s[0:3], 0 offen offset:4
	buffer_load_dword v2, v3, s[0:3], 0 offen offset:8
	s_nop 0
	buffer_load_dword v3, v3, s[0:3], 0 offen offset:12
	v_lshl_add_u32 v4, v19, 4, v16
	s_cmp_lt_i32 s65, 8
	s_waitcnt vmcnt(0)
	ds_write2_b64 v4, v[0:1], v[2:3] offset1:1
	s_waitcnt lgkmcnt(0)
	s_barrier
	ds_read2_b64 v[0:3], v16 offset0:12 offset1:13
	v_mov_b32_e32 v4, 6
	s_cbranch_scc1 .LBB122_154
; %bb.152:
	v_add_u32_e32 v5, 0x70, v16
	s_mov_b32 s16, 7
	v_mov_b32_e32 v4, 6
.LBB122_153:                            ; =>This Inner Loop Header: Depth=1
	s_waitcnt lgkmcnt(0)
	v_cmp_gt_f64_e32 vcc, 0, v[2:3]
	v_cmp_gt_f64_e64 s[4:5], 0, v[0:1]
	ds_read2_b64 v[10:13], v5 offset1:1
	v_xor_b32_e32 v21, 0x80000000, v1
	v_xor_b32_e32 v23, 0x80000000, v3
	v_mov_b32_e32 v20, v0
	v_mov_b32_e32 v22, v2
	s_waitcnt lgkmcnt(0)
	v_xor_b32_e32 v25, 0x80000000, v13
	v_cndmask_b32_e32 v23, v3, v23, vcc
	v_cndmask_b32_e64 v21, v1, v21, s[4:5]
	v_cmp_gt_f64_e32 vcc, 0, v[12:13]
	v_cmp_gt_f64_e64 s[4:5], 0, v[10:11]
	v_add_f64 v[20:21], v[20:21], v[22:23]
	v_xor_b32_e32 v23, 0x80000000, v11
	v_mov_b32_e32 v22, v10
	v_mov_b32_e32 v24, v12
	v_add_u32_e32 v5, 16, v5
	v_cndmask_b32_e32 v25, v13, v25, vcc
	v_cndmask_b32_e64 v23, v11, v23, s[4:5]
	v_add_f64 v[22:23], v[22:23], v[24:25]
	v_mov_b32_e32 v24, s16
	s_add_i32 s16, s16, 1
	s_cmp_lg_u32 s65, s16
	v_cmp_lt_f64_e32 vcc, v[20:21], v[22:23]
	v_cndmask_b32_e32 v1, v1, v11, vcc
	v_cndmask_b32_e32 v0, v0, v10, vcc
	v_cndmask_b32_e32 v3, v3, v13, vcc
	v_cndmask_b32_e32 v2, v2, v12, vcc
	v_cndmask_b32_e32 v4, v4, v24, vcc
	s_cbranch_scc1 .LBB122_153
.LBB122_154:
	s_waitcnt lgkmcnt(0)
	v_cmp_eq_f64_e32 vcc, 0, v[0:1]
	v_cmp_eq_f64_e64 s[4:5], 0, v[2:3]
	s_and_b64 s[4:5], vcc, s[4:5]
	s_and_saveexec_b64 s[16:17], s[4:5]
	s_xor_b64 s[4:5], exec, s[16:17]
; %bb.155:
	v_cmp_ne_u32_e32 vcc, 0, v17
	v_cndmask_b32_e32 v17, 7, v17, vcc
; %bb.156:
	s_andn2_saveexec_b64 s[4:5], s[4:5]
	s_cbranch_execz .LBB122_162
; %bb.157:
	v_cmp_ngt_f64_e64 s[16:17], |v[0:1]|, |v[2:3]|
	s_and_saveexec_b64 s[18:19], s[16:17]
	s_xor_b64 s[18:19], exec, s[18:19]
	s_cbranch_execz .LBB122_159
; %bb.158:
	v_div_scale_f64 v[10:11], s[16:17], v[2:3], v[2:3], v[0:1]
	v_rcp_f64_e32 v[12:13], v[10:11]
	v_fma_f64 v[20:21], -v[10:11], v[12:13], 1.0
	v_fma_f64 v[12:13], v[12:13], v[20:21], v[12:13]
	v_div_scale_f64 v[20:21], vcc, v[0:1], v[2:3], v[0:1]
	v_fma_f64 v[22:23], -v[10:11], v[12:13], 1.0
	v_fma_f64 v[12:13], v[12:13], v[22:23], v[12:13]
	v_mul_f64 v[22:23], v[20:21], v[12:13]
	v_fma_f64 v[10:11], -v[10:11], v[22:23], v[20:21]
	v_div_fmas_f64 v[10:11], v[10:11], v[12:13], v[22:23]
	v_div_fixup_f64 v[10:11], v[10:11], v[2:3], v[0:1]
	v_fma_f64 v[0:1], v[0:1], v[10:11], v[2:3]
	v_div_scale_f64 v[2:3], s[16:17], v[0:1], v[0:1], 1.0
	v_div_scale_f64 v[22:23], vcc, 1.0, v[0:1], 1.0
	v_rcp_f64_e32 v[12:13], v[2:3]
	v_fma_f64 v[20:21], -v[2:3], v[12:13], 1.0
	v_fma_f64 v[12:13], v[12:13], v[20:21], v[12:13]
	v_fma_f64 v[20:21], -v[2:3], v[12:13], 1.0
	v_fma_f64 v[12:13], v[12:13], v[20:21], v[12:13]
	v_mul_f64 v[20:21], v[22:23], v[12:13]
	v_fma_f64 v[2:3], -v[2:3], v[20:21], v[22:23]
	v_div_fmas_f64 v[2:3], v[2:3], v[12:13], v[20:21]
	v_div_fixup_f64 v[2:3], v[2:3], v[0:1], 1.0
	v_mul_f64 v[0:1], v[10:11], v[2:3]
	v_xor_b32_e32 v3, 0x80000000, v3
.LBB122_159:
	s_andn2_saveexec_b64 s[18:19], s[18:19]
	s_cbranch_execz .LBB122_161
; %bb.160:
	v_div_scale_f64 v[10:11], s[16:17], v[0:1], v[0:1], v[2:3]
	v_rcp_f64_e32 v[12:13], v[10:11]
	v_fma_f64 v[20:21], -v[10:11], v[12:13], 1.0
	v_fma_f64 v[12:13], v[12:13], v[20:21], v[12:13]
	v_div_scale_f64 v[20:21], vcc, v[2:3], v[0:1], v[2:3]
	v_fma_f64 v[22:23], -v[10:11], v[12:13], 1.0
	v_fma_f64 v[12:13], v[12:13], v[22:23], v[12:13]
	v_mul_f64 v[22:23], v[20:21], v[12:13]
	v_fma_f64 v[10:11], -v[10:11], v[22:23], v[20:21]
	v_div_fmas_f64 v[10:11], v[10:11], v[12:13], v[22:23]
	v_div_fixup_f64 v[10:11], v[10:11], v[0:1], v[2:3]
	v_fma_f64 v[0:1], v[2:3], v[10:11], v[0:1]
	v_div_scale_f64 v[2:3], s[16:17], v[0:1], v[0:1], 1.0
	v_div_scale_f64 v[22:23], vcc, 1.0, v[0:1], 1.0
	v_rcp_f64_e32 v[12:13], v[2:3]
	v_fma_f64 v[20:21], -v[2:3], v[12:13], 1.0
	v_fma_f64 v[12:13], v[12:13], v[20:21], v[12:13]
	v_fma_f64 v[20:21], -v[2:3], v[12:13], 1.0
	v_fma_f64 v[12:13], v[12:13], v[20:21], v[12:13]
	v_mul_f64 v[20:21], v[22:23], v[12:13]
	v_fma_f64 v[2:3], -v[2:3], v[20:21], v[22:23]
	v_div_fmas_f64 v[2:3], v[2:3], v[12:13], v[20:21]
	v_div_fixup_f64 v[0:1], v[2:3], v[0:1], 1.0
	v_mul_f64 v[2:3], v[10:11], -v[0:1]
.LBB122_161:
	s_or_b64 exec, exec, s[18:19]
.LBB122_162:
	s_or_b64 exec, exec, s[4:5]
	v_cmp_ne_u32_e32 vcc, v19, v4
	s_and_saveexec_b64 s[4:5], vcc
	s_xor_b64 s[4:5], exec, s[4:5]
	s_cbranch_execz .LBB122_168
; %bb.163:
	v_cmp_eq_u32_e32 vcc, 6, v19
	s_and_saveexec_b64 s[18:19], vcc
	s_cbranch_execz .LBB122_167
; %bb.164:
	v_cmp_ne_u32_e32 vcc, 6, v4
	s_xor_b64 s[16:17], s[22:23], -1
	s_and_b64 s[16:17], s[16:17], vcc
	s_and_saveexec_b64 s[24:25], s[16:17]
	s_cbranch_execz .LBB122_166
; %bb.165:
	v_ashrrev_i32_e32 v5, 31, v4
	v_lshlrev_b64 v[10:11], 2, v[4:5]
	v_add_co_u32_e32 v10, vcc, v8, v10
	v_addc_co_u32_e32 v11, vcc, v9, v11, vcc
	global_load_dword v5, v[10:11], off
	global_load_dword v12, v[8:9], off offset:24
	s_waitcnt vmcnt(1)
	global_store_dword v[8:9], v5, off offset:24
	s_waitcnt vmcnt(1)
	global_store_dword v[10:11], v12, off
.LBB122_166:
	s_or_b64 exec, exec, s[24:25]
	v_mov_b32_e32 v19, v4
	v_mov_b32_e32 v18, v4
.LBB122_167:
	s_or_b64 exec, exec, s[18:19]
.LBB122_168:
	s_andn2_saveexec_b64 s[4:5], s[4:5]
	s_cbranch_execz .LBB122_172
; %bb.169:
	s_movk_i32 s16, 0x70
.LBB122_170:                            ; =>This Inner Loop Header: Depth=1
	v_mov_b32_e32 v56, s16
	buffer_load_dword v4, v56, s[0:3], 0 offen
	buffer_load_dword v5, v56, s[0:3], 0 offen offset:4
	buffer_load_dword v10, v56, s[0:3], 0 offen offset:8
	;; [unrolled: 1-line block ×42, first 2 shown]
	s_nop 0
	buffer_load_dword v56, v56, s[0:3], 0 offen offset:172
	v_add_u32_e32 v57, s16, v16
	s_addk_i32 s16, 0xb0
	s_cmpk_eq_i32 s16, 0x3e0
	s_waitcnt vmcnt(40)
	ds_write2_b64 v57, v[4:5], v[10:11] offset1:1
	s_waitcnt vmcnt(36)
	ds_write2_b64 v57, v[12:13], v[19:20] offset0:2 offset1:3
	s_waitcnt vmcnt(32)
	ds_write2_b64 v57, v[21:22], v[23:24] offset0:4 offset1:5
	;; [unrolled: 2-line block ×4, first 2 shown]
	ds_write2_b64 v57, v[33:34], v[31:32] offset0:10 offset1:11
	s_waitcnt vmcnt(12)
	ds_write2_b64 v57, v[43:44], v[37:38] offset0:12 offset1:13
	ds_write2_b64 v57, v[41:42], v[39:40] offset0:14 offset1:15
	s_waitcnt vmcnt(8)
	ds_write2_b64 v57, v[45:46], v[47:48] offset0:16 offset1:17
	s_waitcnt vmcnt(4)
	;; [unrolled: 2-line block ×3, first 2 shown]
	ds_write2_b64 v57, v[53:54], v[55:56] offset0:20 offset1:21
	s_cbranch_scc0 .LBB122_170
; %bb.171:
	v_mov_b32_e32 v19, 6
.LBB122_172:
	s_or_b64 exec, exec, s[4:5]
	v_cmp_lt_i32_e32 vcc, 6, v19
	s_waitcnt vmcnt(0) lgkmcnt(0)
	s_barrier
	s_and_saveexec_b64 s[4:5], vcc
	s_cbranch_execz .LBB122_175
; %bb.173:
	buffer_load_dword v4, off, s[0:3], 0 offset:104
	buffer_load_dword v5, off, s[0:3], 0 offset:108
	;; [unrolled: 1-line block ×4, first 2 shown]
	s_movk_i32 s18, 0x70
	s_waitcnt vmcnt(2)
	v_mul_f64 v[12:13], v[2:3], v[4:5]
	v_mul_f64 v[4:5], v[0:1], v[4:5]
	s_waitcnt vmcnt(0)
	v_fma_f64 v[0:1], v[0:1], v[10:11], -v[12:13]
	v_fma_f64 v[2:3], v[2:3], v[10:11], v[4:5]
	buffer_store_dword v0, off, s[0:3], 0 offset:96
	buffer_store_dword v1, off, s[0:3], 0 offset:100
	;; [unrolled: 1-line block ×4, first 2 shown]
.LBB122_174:                            ; =>This Inner Loop Header: Depth=1
	buffer_load_dword v4, off, s[0:3], 0 offset:104
	buffer_load_dword v5, off, s[0:3], 0 offset:108
	buffer_load_dword v20, off, s[0:3], 0 offset:96
	buffer_load_dword v21, off, s[0:3], 0 offset:100
	v_mov_b32_e32 v32, s18
	buffer_load_dword v22, v32, s[0:3], 0 offen
	buffer_load_dword v23, v32, s[0:3], 0 offen offset:4
	buffer_load_dword v24, v32, s[0:3], 0 offen offset:8
	;; [unrolled: 1-line block ×3, first 2 shown]
	v_add_u32_e32 v33, s18, v16
	ds_read2_b64 v[0:3], v33 offset1:1
	buffer_load_dword v26, v32, s[0:3], 0 offen offset:16
	buffer_load_dword v27, v32, s[0:3], 0 offen offset:20
	;; [unrolled: 1-line block ×4, first 2 shown]
	ds_read2_b64 v[10:13], v33 offset0:2 offset1:3
	s_addk_i32 s18, 0x50
	s_cmpk_lg_i32 s18, 0x3e0
	s_waitcnt vmcnt(10) lgkmcnt(1)
	v_mul_f64 v[30:31], v[2:3], v[4:5]
	v_mul_f64 v[4:5], v[0:1], v[4:5]
	s_waitcnt vmcnt(8)
	v_fma_f64 v[0:1], v[0:1], v[20:21], -v[30:31]
	v_fma_f64 v[2:3], v[2:3], v[20:21], v[4:5]
	s_waitcnt vmcnt(6)
	v_add_f64 v[0:1], v[22:23], -v[0:1]
	s_waitcnt vmcnt(4)
	v_add_f64 v[2:3], v[24:25], -v[2:3]
	buffer_store_dword v1, v32, s[0:3], 0 offen offset:4
	buffer_store_dword v0, v32, s[0:3], 0 offen
	buffer_store_dword v3, v32, s[0:3], 0 offen offset:12
	buffer_store_dword v2, v32, s[0:3], 0 offen offset:8
	buffer_load_dword v1, off, s[0:3], 0 offset:108
	s_nop 0
	buffer_load_dword v0, off, s[0:3], 0 offset:104
	buffer_load_dword v3, off, s[0:3], 0 offset:100
	;; [unrolled: 1-line block ×3, first 2 shown]
	buffer_load_dword v4, v32, s[0:3], 0 offen offset:32
	buffer_load_dword v5, v32, s[0:3], 0 offen offset:36
	;; [unrolled: 1-line block ×4, first 2 shown]
	s_waitcnt vmcnt(6) lgkmcnt(0)
	v_mul_f64 v[22:23], v[12:13], v[0:1]
	v_mul_f64 v[0:1], v[10:11], v[0:1]
	s_waitcnt vmcnt(4)
	v_fma_f64 v[10:11], v[10:11], v[2:3], -v[22:23]
	v_fma_f64 v[0:1], v[12:13], v[2:3], v[0:1]
	v_add_f64 v[2:3], v[26:27], -v[10:11]
	v_add_f64 v[0:1], v[28:29], -v[0:1]
	buffer_store_dword v3, v32, s[0:3], 0 offen offset:20
	buffer_store_dword v2, v32, s[0:3], 0 offen offset:16
	buffer_store_dword v1, v32, s[0:3], 0 offen offset:28
	buffer_store_dword v0, v32, s[0:3], 0 offen offset:24
	buffer_load_dword v22, off, s[0:3], 0 offset:104
	buffer_load_dword v23, off, s[0:3], 0 offset:108
	;; [unrolled: 1-line block ×4, first 2 shown]
	ds_read2_b64 v[0:3], v33 offset0:4 offset1:5
	ds_read2_b64 v[10:13], v33 offset0:6 offset1:7
	s_waitcnt vmcnt(2) lgkmcnt(1)
	v_mul_f64 v[26:27], v[2:3], v[22:23]
	v_mul_f64 v[22:23], v[0:1], v[22:23]
	s_waitcnt vmcnt(0)
	v_fma_f64 v[0:1], v[0:1], v[24:25], -v[26:27]
	v_fma_f64 v[2:3], v[2:3], v[24:25], v[22:23]
	v_add_f64 v[0:1], v[4:5], -v[0:1]
	v_add_f64 v[2:3], v[20:21], -v[2:3]
	buffer_store_dword v1, v32, s[0:3], 0 offen offset:36
	buffer_store_dword v0, v32, s[0:3], 0 offen offset:32
	;; [unrolled: 1-line block ×4, first 2 shown]
	buffer_load_dword v0, off, s[0:3], 0 offset:104
	s_nop 0
	buffer_load_dword v1, off, s[0:3], 0 offset:108
	buffer_load_dword v2, off, s[0:3], 0 offset:96
	;; [unrolled: 1-line block ×3, first 2 shown]
	buffer_load_dword v4, v32, s[0:3], 0 offen offset:48
	buffer_load_dword v5, v32, s[0:3], 0 offen offset:52
	;; [unrolled: 1-line block ×4, first 2 shown]
	s_waitcnt vmcnt(6) lgkmcnt(0)
	v_mul_f64 v[22:23], v[12:13], v[0:1]
	v_mul_f64 v[0:1], v[10:11], v[0:1]
	s_waitcnt vmcnt(4)
	v_fma_f64 v[10:11], v[10:11], v[2:3], -v[22:23]
	v_fma_f64 v[0:1], v[12:13], v[2:3], v[0:1]
	s_waitcnt vmcnt(2)
	v_add_f64 v[2:3], v[4:5], -v[10:11]
	s_waitcnt vmcnt(0)
	v_add_f64 v[0:1], v[20:21], -v[0:1]
	buffer_store_dword v3, v32, s[0:3], 0 offen offset:52
	buffer_store_dword v2, v32, s[0:3], 0 offen offset:48
	;; [unrolled: 1-line block ×4, first 2 shown]
	buffer_load_dword v4, off, s[0:3], 0 offset:104
	buffer_load_dword v5, off, s[0:3], 0 offset:108
	;; [unrolled: 1-line block ×4, first 2 shown]
	buffer_load_dword v12, v32, s[0:3], 0 offen offset:64
	buffer_load_dword v13, v32, s[0:3], 0 offen offset:68
	;; [unrolled: 1-line block ×4, first 2 shown]
	ds_read2_b64 v[0:3], v33 offset0:8 offset1:9
	s_waitcnt vmcnt(6) lgkmcnt(0)
	v_mul_f64 v[22:23], v[2:3], v[4:5]
	v_mul_f64 v[4:5], v[0:1], v[4:5]
	s_waitcnt vmcnt(4)
	v_fma_f64 v[0:1], v[0:1], v[10:11], -v[22:23]
	v_fma_f64 v[2:3], v[2:3], v[10:11], v[4:5]
	s_waitcnt vmcnt(2)
	v_add_f64 v[0:1], v[12:13], -v[0:1]
	s_waitcnt vmcnt(0)
	v_add_f64 v[2:3], v[20:21], -v[2:3]
	buffer_store_dword v1, v32, s[0:3], 0 offen offset:68
	buffer_store_dword v0, v32, s[0:3], 0 offen offset:64
	;; [unrolled: 1-line block ×4, first 2 shown]
	s_cbranch_scc1 .LBB122_174
.LBB122_175:
	s_or_b64 exec, exec, s[4:5]
	v_mov_b32_e32 v3, s57
	s_waitcnt vmcnt(0)
	s_barrier
	buffer_load_dword v0, v3, s[0:3], 0 offen
	buffer_load_dword v1, v3, s[0:3], 0 offen offset:4
	buffer_load_dword v2, v3, s[0:3], 0 offen offset:8
	s_nop 0
	buffer_load_dword v3, v3, s[0:3], 0 offen offset:12
	v_lshl_add_u32 v4, v19, 4, v16
	s_cmp_lt_i32 s65, 9
	s_waitcnt vmcnt(0)
	ds_write2_b64 v4, v[0:1], v[2:3] offset1:1
	s_waitcnt lgkmcnt(0)
	s_barrier
	ds_read2_b64 v[0:3], v16 offset0:14 offset1:15
	v_mov_b32_e32 v4, 7
	s_cbranch_scc1 .LBB122_178
; %bb.176:
	v_add_u32_e32 v5, 0x80, v16
	s_mov_b32 s16, 8
	v_mov_b32_e32 v4, 7
.LBB122_177:                            ; =>This Inner Loop Header: Depth=1
	s_waitcnt lgkmcnt(0)
	v_cmp_gt_f64_e32 vcc, 0, v[2:3]
	v_cmp_gt_f64_e64 s[4:5], 0, v[0:1]
	ds_read2_b64 v[10:13], v5 offset1:1
	v_xor_b32_e32 v21, 0x80000000, v1
	v_xor_b32_e32 v23, 0x80000000, v3
	v_mov_b32_e32 v20, v0
	v_mov_b32_e32 v22, v2
	s_waitcnt lgkmcnt(0)
	v_xor_b32_e32 v25, 0x80000000, v13
	v_cndmask_b32_e32 v23, v3, v23, vcc
	v_cndmask_b32_e64 v21, v1, v21, s[4:5]
	v_cmp_gt_f64_e32 vcc, 0, v[12:13]
	v_cmp_gt_f64_e64 s[4:5], 0, v[10:11]
	v_add_f64 v[20:21], v[20:21], v[22:23]
	v_xor_b32_e32 v23, 0x80000000, v11
	v_mov_b32_e32 v22, v10
	v_mov_b32_e32 v24, v12
	v_add_u32_e32 v5, 16, v5
	v_cndmask_b32_e32 v25, v13, v25, vcc
	v_cndmask_b32_e64 v23, v11, v23, s[4:5]
	v_add_f64 v[22:23], v[22:23], v[24:25]
	v_mov_b32_e32 v24, s16
	s_add_i32 s16, s16, 1
	s_cmp_lg_u32 s65, s16
	v_cmp_lt_f64_e32 vcc, v[20:21], v[22:23]
	v_cndmask_b32_e32 v1, v1, v11, vcc
	v_cndmask_b32_e32 v0, v0, v10, vcc
	;; [unrolled: 1-line block ×5, first 2 shown]
	s_cbranch_scc1 .LBB122_177
.LBB122_178:
	s_waitcnt lgkmcnt(0)
	v_cmp_eq_f64_e32 vcc, 0, v[0:1]
	v_cmp_eq_f64_e64 s[4:5], 0, v[2:3]
	s_and_b64 s[4:5], vcc, s[4:5]
	s_and_saveexec_b64 s[16:17], s[4:5]
	s_xor_b64 s[4:5], exec, s[16:17]
; %bb.179:
	v_cmp_ne_u32_e32 vcc, 0, v17
	v_cndmask_b32_e32 v17, 8, v17, vcc
; %bb.180:
	s_andn2_saveexec_b64 s[4:5], s[4:5]
	s_cbranch_execz .LBB122_186
; %bb.181:
	v_cmp_ngt_f64_e64 s[16:17], |v[0:1]|, |v[2:3]|
	s_and_saveexec_b64 s[18:19], s[16:17]
	s_xor_b64 s[18:19], exec, s[18:19]
	s_cbranch_execz .LBB122_183
; %bb.182:
	v_div_scale_f64 v[10:11], s[16:17], v[2:3], v[2:3], v[0:1]
	v_rcp_f64_e32 v[12:13], v[10:11]
	v_fma_f64 v[20:21], -v[10:11], v[12:13], 1.0
	v_fma_f64 v[12:13], v[12:13], v[20:21], v[12:13]
	v_div_scale_f64 v[20:21], vcc, v[0:1], v[2:3], v[0:1]
	v_fma_f64 v[22:23], -v[10:11], v[12:13], 1.0
	v_fma_f64 v[12:13], v[12:13], v[22:23], v[12:13]
	v_mul_f64 v[22:23], v[20:21], v[12:13]
	v_fma_f64 v[10:11], -v[10:11], v[22:23], v[20:21]
	v_div_fmas_f64 v[10:11], v[10:11], v[12:13], v[22:23]
	v_div_fixup_f64 v[10:11], v[10:11], v[2:3], v[0:1]
	v_fma_f64 v[0:1], v[0:1], v[10:11], v[2:3]
	v_div_scale_f64 v[2:3], s[16:17], v[0:1], v[0:1], 1.0
	v_div_scale_f64 v[22:23], vcc, 1.0, v[0:1], 1.0
	v_rcp_f64_e32 v[12:13], v[2:3]
	v_fma_f64 v[20:21], -v[2:3], v[12:13], 1.0
	v_fma_f64 v[12:13], v[12:13], v[20:21], v[12:13]
	v_fma_f64 v[20:21], -v[2:3], v[12:13], 1.0
	v_fma_f64 v[12:13], v[12:13], v[20:21], v[12:13]
	v_mul_f64 v[20:21], v[22:23], v[12:13]
	v_fma_f64 v[2:3], -v[2:3], v[20:21], v[22:23]
	v_div_fmas_f64 v[2:3], v[2:3], v[12:13], v[20:21]
	v_div_fixup_f64 v[2:3], v[2:3], v[0:1], 1.0
	v_mul_f64 v[0:1], v[10:11], v[2:3]
	v_xor_b32_e32 v3, 0x80000000, v3
.LBB122_183:
	s_andn2_saveexec_b64 s[18:19], s[18:19]
	s_cbranch_execz .LBB122_185
; %bb.184:
	v_div_scale_f64 v[10:11], s[16:17], v[0:1], v[0:1], v[2:3]
	v_rcp_f64_e32 v[12:13], v[10:11]
	v_fma_f64 v[20:21], -v[10:11], v[12:13], 1.0
	v_fma_f64 v[12:13], v[12:13], v[20:21], v[12:13]
	v_div_scale_f64 v[20:21], vcc, v[2:3], v[0:1], v[2:3]
	v_fma_f64 v[22:23], -v[10:11], v[12:13], 1.0
	v_fma_f64 v[12:13], v[12:13], v[22:23], v[12:13]
	v_mul_f64 v[22:23], v[20:21], v[12:13]
	v_fma_f64 v[10:11], -v[10:11], v[22:23], v[20:21]
	v_div_fmas_f64 v[10:11], v[10:11], v[12:13], v[22:23]
	v_div_fixup_f64 v[10:11], v[10:11], v[0:1], v[2:3]
	v_fma_f64 v[0:1], v[2:3], v[10:11], v[0:1]
	v_div_scale_f64 v[2:3], s[16:17], v[0:1], v[0:1], 1.0
	v_div_scale_f64 v[22:23], vcc, 1.0, v[0:1], 1.0
	v_rcp_f64_e32 v[12:13], v[2:3]
	v_fma_f64 v[20:21], -v[2:3], v[12:13], 1.0
	v_fma_f64 v[12:13], v[12:13], v[20:21], v[12:13]
	v_fma_f64 v[20:21], -v[2:3], v[12:13], 1.0
	v_fma_f64 v[12:13], v[12:13], v[20:21], v[12:13]
	v_mul_f64 v[20:21], v[22:23], v[12:13]
	v_fma_f64 v[2:3], -v[2:3], v[20:21], v[22:23]
	v_div_fmas_f64 v[2:3], v[2:3], v[12:13], v[20:21]
	v_div_fixup_f64 v[0:1], v[2:3], v[0:1], 1.0
	v_mul_f64 v[2:3], v[10:11], -v[0:1]
.LBB122_185:
	s_or_b64 exec, exec, s[18:19]
.LBB122_186:
	s_or_b64 exec, exec, s[4:5]
	v_cmp_ne_u32_e32 vcc, v19, v4
	s_and_saveexec_b64 s[4:5], vcc
	s_xor_b64 s[4:5], exec, s[4:5]
	s_cbranch_execz .LBB122_192
; %bb.187:
	v_cmp_eq_u32_e32 vcc, 7, v19
	s_and_saveexec_b64 s[18:19], vcc
	s_cbranch_execz .LBB122_191
; %bb.188:
	v_cmp_ne_u32_e32 vcc, 7, v4
	s_xor_b64 s[16:17], s[22:23], -1
	s_and_b64 s[16:17], s[16:17], vcc
	s_and_saveexec_b64 s[24:25], s[16:17]
	s_cbranch_execz .LBB122_190
; %bb.189:
	v_ashrrev_i32_e32 v5, 31, v4
	v_lshlrev_b64 v[10:11], 2, v[4:5]
	v_add_co_u32_e32 v10, vcc, v8, v10
	v_addc_co_u32_e32 v11, vcc, v9, v11, vcc
	global_load_dword v5, v[10:11], off
	global_load_dword v12, v[8:9], off offset:28
	s_waitcnt vmcnt(1)
	global_store_dword v[8:9], v5, off offset:28
	s_waitcnt vmcnt(1)
	global_store_dword v[10:11], v12, off
.LBB122_190:
	s_or_b64 exec, exec, s[24:25]
	v_mov_b32_e32 v19, v4
	v_mov_b32_e32 v18, v4
.LBB122_191:
	s_or_b64 exec, exec, s[18:19]
.LBB122_192:
	s_andn2_saveexec_b64 s[4:5], s[4:5]
	s_cbranch_execz .LBB122_196
; %bb.193:
	s_movk_i32 s18, 0x80
.LBB122_194:                            ; =>This Inner Loop Header: Depth=1
	v_mov_b32_e32 v29, s18
	buffer_load_dword v4, v29, s[0:3], 0 offen
	buffer_load_dword v5, v29, s[0:3], 0 offen offset:4
	buffer_load_dword v10, v29, s[0:3], 0 offen offset:8
	buffer_load_dword v11, v29, s[0:3], 0 offen offset:12
	buffer_load_dword v12, v29, s[0:3], 0 offen offset:16
	buffer_load_dword v13, v29, s[0:3], 0 offen offset:20
	buffer_load_dword v19, v29, s[0:3], 0 offen offset:24
	buffer_load_dword v20, v29, s[0:3], 0 offen offset:28
	buffer_load_dword v21, v29, s[0:3], 0 offen offset:32
	buffer_load_dword v22, v29, s[0:3], 0 offen offset:36
	buffer_load_dword v23, v29, s[0:3], 0 offen offset:40
	buffer_load_dword v24, v29, s[0:3], 0 offen offset:44
	buffer_load_dword v25, v29, s[0:3], 0 offen offset:48
	buffer_load_dword v26, v29, s[0:3], 0 offen offset:52
	buffer_load_dword v27, v29, s[0:3], 0 offen offset:56
	buffer_load_dword v28, v29, s[0:3], 0 offen offset:60
	v_add_u32_e32 v30, s18, v16
	s_addk_i32 s18, 0x120
	s_cmpk_eq_i32 s18, 0x3e0
	s_waitcnt vmcnt(12)
	ds_write2_b64 v30, v[4:5], v[10:11] offset1:1
	s_waitcnt vmcnt(8)
	ds_write2_b64 v30, v[12:13], v[19:20] offset0:2 offset1:3
	s_waitcnt vmcnt(4)
	ds_write2_b64 v30, v[21:22], v[23:24] offset0:4 offset1:5
	;; [unrolled: 2-line block ×3, first 2 shown]
	buffer_load_dword v5, v29, s[0:3], 0 offen offset:76
	buffer_load_dword v4, v29, s[0:3], 0 offen offset:72
	buffer_load_dword v11, v29, s[0:3], 0 offen offset:68
	buffer_load_dword v10, v29, s[0:3], 0 offen offset:64
	s_waitcnt vmcnt(0)
	ds_write2_b64 v30, v[10:11], v[4:5] offset0:8 offset1:9
	buffer_load_dword v5, v29, s[0:3], 0 offen offset:92
	buffer_load_dword v4, v29, s[0:3], 0 offen offset:88
	buffer_load_dword v11, v29, s[0:3], 0 offen offset:84
	buffer_load_dword v10, v29, s[0:3], 0 offen offset:80
	s_waitcnt vmcnt(0)
	ds_write2_b64 v30, v[10:11], v[4:5] offset0:10 offset1:11
	;; [unrolled: 6-line block ×14, first 2 shown]
	s_cbranch_scc0 .LBB122_194
; %bb.195:
	v_mov_b32_e32 v19, 7
.LBB122_196:
	s_or_b64 exec, exec, s[4:5]
	v_cmp_lt_i32_e32 vcc, 7, v19
	s_waitcnt vmcnt(0) lgkmcnt(0)
	s_barrier
	s_and_saveexec_b64 s[4:5], vcc
	s_cbranch_execz .LBB122_199
; %bb.197:
	buffer_load_dword v4, off, s[0:3], 0 offset:120
	buffer_load_dword v5, off, s[0:3], 0 offset:124
	;; [unrolled: 1-line block ×4, first 2 shown]
	s_movk_i32 s18, 0x80
	s_waitcnt vmcnt(2)
	v_mul_f64 v[12:13], v[2:3], v[4:5]
	v_mul_f64 v[4:5], v[0:1], v[4:5]
	s_waitcnt vmcnt(0)
	v_fma_f64 v[0:1], v[0:1], v[10:11], -v[12:13]
	v_fma_f64 v[2:3], v[2:3], v[10:11], v[4:5]
	buffer_store_dword v0, off, s[0:3], 0 offset:112
	buffer_store_dword v1, off, s[0:3], 0 offset:116
	;; [unrolled: 1-line block ×4, first 2 shown]
.LBB122_198:                            ; =>This Inner Loop Header: Depth=1
	buffer_load_dword v4, off, s[0:3], 0 offset:120
	buffer_load_dword v5, off, s[0:3], 0 offset:124
	buffer_load_dword v20, off, s[0:3], 0 offset:112
	buffer_load_dword v21, off, s[0:3], 0 offset:116
	v_mov_b32_e32 v32, s18
	buffer_load_dword v22, v32, s[0:3], 0 offen
	buffer_load_dword v23, v32, s[0:3], 0 offen offset:4
	buffer_load_dword v24, v32, s[0:3], 0 offen offset:8
	;; [unrolled: 1-line block ×3, first 2 shown]
	v_add_u32_e32 v33, s18, v16
	ds_read2_b64 v[0:3], v33 offset1:1
	buffer_load_dword v26, v32, s[0:3], 0 offen offset:16
	buffer_load_dword v27, v32, s[0:3], 0 offen offset:20
	;; [unrolled: 1-line block ×4, first 2 shown]
	ds_read2_b64 v[10:13], v33 offset0:2 offset1:3
	s_addk_i32 s18, 0x60
	s_cmpk_lg_i32 s18, 0x3e0
	s_waitcnt vmcnt(10) lgkmcnt(1)
	v_mul_f64 v[30:31], v[2:3], v[4:5]
	v_mul_f64 v[4:5], v[0:1], v[4:5]
	s_waitcnt vmcnt(8)
	v_fma_f64 v[0:1], v[0:1], v[20:21], -v[30:31]
	v_fma_f64 v[2:3], v[2:3], v[20:21], v[4:5]
	s_waitcnt vmcnt(6)
	v_add_f64 v[0:1], v[22:23], -v[0:1]
	s_waitcnt vmcnt(4)
	v_add_f64 v[2:3], v[24:25], -v[2:3]
	buffer_store_dword v1, v32, s[0:3], 0 offen offset:4
	buffer_store_dword v0, v32, s[0:3], 0 offen
	buffer_store_dword v3, v32, s[0:3], 0 offen offset:12
	buffer_store_dword v2, v32, s[0:3], 0 offen offset:8
	buffer_load_dword v1, off, s[0:3], 0 offset:124
	s_nop 0
	buffer_load_dword v0, off, s[0:3], 0 offset:120
	buffer_load_dword v3, off, s[0:3], 0 offset:116
	;; [unrolled: 1-line block ×3, first 2 shown]
	buffer_load_dword v4, v32, s[0:3], 0 offen offset:32
	buffer_load_dword v5, v32, s[0:3], 0 offen offset:36
	;; [unrolled: 1-line block ×4, first 2 shown]
	s_waitcnt vmcnt(6) lgkmcnt(0)
	v_mul_f64 v[22:23], v[12:13], v[0:1]
	v_mul_f64 v[0:1], v[10:11], v[0:1]
	s_waitcnt vmcnt(4)
	v_fma_f64 v[10:11], v[10:11], v[2:3], -v[22:23]
	v_fma_f64 v[0:1], v[12:13], v[2:3], v[0:1]
	v_add_f64 v[2:3], v[26:27], -v[10:11]
	v_add_f64 v[0:1], v[28:29], -v[0:1]
	buffer_store_dword v3, v32, s[0:3], 0 offen offset:20
	buffer_store_dword v2, v32, s[0:3], 0 offen offset:16
	;; [unrolled: 1-line block ×4, first 2 shown]
	buffer_load_dword v22, off, s[0:3], 0 offset:120
	buffer_load_dword v23, off, s[0:3], 0 offset:124
	;; [unrolled: 1-line block ×4, first 2 shown]
	ds_read2_b64 v[0:3], v33 offset0:4 offset1:5
	ds_read2_b64 v[10:13], v33 offset0:6 offset1:7
	s_waitcnt vmcnt(2) lgkmcnt(1)
	v_mul_f64 v[26:27], v[2:3], v[22:23]
	v_mul_f64 v[22:23], v[0:1], v[22:23]
	s_waitcnt vmcnt(0)
	v_fma_f64 v[0:1], v[0:1], v[24:25], -v[26:27]
	v_fma_f64 v[2:3], v[2:3], v[24:25], v[22:23]
	v_add_f64 v[0:1], v[4:5], -v[0:1]
	v_add_f64 v[2:3], v[20:21], -v[2:3]
	buffer_store_dword v1, v32, s[0:3], 0 offen offset:36
	buffer_store_dword v0, v32, s[0:3], 0 offen offset:32
	;; [unrolled: 1-line block ×4, first 2 shown]
	buffer_load_dword v0, off, s[0:3], 0 offset:120
	s_nop 0
	buffer_load_dword v1, off, s[0:3], 0 offset:124
	buffer_load_dword v2, off, s[0:3], 0 offset:112
	;; [unrolled: 1-line block ×3, first 2 shown]
	buffer_load_dword v4, v32, s[0:3], 0 offen offset:48
	buffer_load_dword v5, v32, s[0:3], 0 offen offset:52
	;; [unrolled: 1-line block ×4, first 2 shown]
	s_waitcnt vmcnt(6) lgkmcnt(0)
	v_mul_f64 v[22:23], v[12:13], v[0:1]
	v_mul_f64 v[0:1], v[10:11], v[0:1]
	s_waitcnt vmcnt(4)
	v_fma_f64 v[10:11], v[10:11], v[2:3], -v[22:23]
	v_fma_f64 v[0:1], v[12:13], v[2:3], v[0:1]
	s_waitcnt vmcnt(2)
	v_add_f64 v[2:3], v[4:5], -v[10:11]
	s_waitcnt vmcnt(0)
	v_add_f64 v[0:1], v[20:21], -v[0:1]
	buffer_store_dword v3, v32, s[0:3], 0 offen offset:52
	buffer_store_dword v2, v32, s[0:3], 0 offen offset:48
	;; [unrolled: 1-line block ×4, first 2 shown]
	buffer_load_dword v4, off, s[0:3], 0 offset:120
	buffer_load_dword v5, off, s[0:3], 0 offset:124
	;; [unrolled: 1-line block ×4, first 2 shown]
	buffer_load_dword v22, v32, s[0:3], 0 offen offset:64
	buffer_load_dword v23, v32, s[0:3], 0 offen offset:68
	;; [unrolled: 1-line block ×4, first 2 shown]
	ds_read2_b64 v[0:3], v33 offset0:8 offset1:9
	ds_read2_b64 v[10:13], v33 offset0:10 offset1:11
	s_waitcnt vmcnt(6) lgkmcnt(1)
	v_mul_f64 v[26:27], v[2:3], v[4:5]
	v_mul_f64 v[4:5], v[0:1], v[4:5]
	s_waitcnt vmcnt(4)
	v_fma_f64 v[0:1], v[0:1], v[20:21], -v[26:27]
	v_fma_f64 v[2:3], v[2:3], v[20:21], v[4:5]
	s_waitcnt vmcnt(2)
	v_add_f64 v[0:1], v[22:23], -v[0:1]
	s_waitcnt vmcnt(0)
	v_add_f64 v[2:3], v[24:25], -v[2:3]
	buffer_store_dword v1, v32, s[0:3], 0 offen offset:68
	buffer_store_dword v0, v32, s[0:3], 0 offen offset:64
	;; [unrolled: 1-line block ×4, first 2 shown]
	buffer_load_dword v0, off, s[0:3], 0 offset:120
	s_nop 0
	buffer_load_dword v1, off, s[0:3], 0 offset:124
	buffer_load_dword v2, off, s[0:3], 0 offset:112
	buffer_load_dword v3, off, s[0:3], 0 offset:116
	buffer_load_dword v4, v32, s[0:3], 0 offen offset:80
	buffer_load_dword v5, v32, s[0:3], 0 offen offset:84
	;; [unrolled: 1-line block ×4, first 2 shown]
	s_waitcnt vmcnt(6) lgkmcnt(0)
	v_mul_f64 v[22:23], v[12:13], v[0:1]
	v_mul_f64 v[0:1], v[10:11], v[0:1]
	s_waitcnt vmcnt(4)
	v_fma_f64 v[10:11], v[10:11], v[2:3], -v[22:23]
	v_fma_f64 v[0:1], v[12:13], v[2:3], v[0:1]
	s_waitcnt vmcnt(2)
	v_add_f64 v[2:3], v[4:5], -v[10:11]
	s_waitcnt vmcnt(0)
	v_add_f64 v[0:1], v[20:21], -v[0:1]
	buffer_store_dword v3, v32, s[0:3], 0 offen offset:84
	buffer_store_dword v2, v32, s[0:3], 0 offen offset:80
	;; [unrolled: 1-line block ×4, first 2 shown]
	s_cbranch_scc1 .LBB122_198
.LBB122_199:
	s_or_b64 exec, exec, s[4:5]
	v_mov_b32_e32 v3, s9
	s_waitcnt vmcnt(0)
	s_barrier
	buffer_load_dword v0, v3, s[0:3], 0 offen
	buffer_load_dword v1, v3, s[0:3], 0 offen offset:4
	buffer_load_dword v2, v3, s[0:3], 0 offen offset:8
	s_nop 0
	buffer_load_dword v3, v3, s[0:3], 0 offen offset:12
	v_lshl_add_u32 v4, v19, 4, v16
	s_cmp_lt_i32 s65, 10
	s_waitcnt vmcnt(0)
	ds_write2_b64 v4, v[0:1], v[2:3] offset1:1
	s_waitcnt lgkmcnt(0)
	s_barrier
	ds_read2_b64 v[0:3], v16 offset0:16 offset1:17
	v_mov_b32_e32 v4, 8
	s_cbranch_scc1 .LBB122_202
; %bb.200:
	v_add_u32_e32 v5, 0x90, v16
	s_mov_b32 s16, 9
	v_mov_b32_e32 v4, 8
.LBB122_201:                            ; =>This Inner Loop Header: Depth=1
	s_waitcnt lgkmcnt(0)
	v_cmp_gt_f64_e32 vcc, 0, v[2:3]
	v_cmp_gt_f64_e64 s[4:5], 0, v[0:1]
	ds_read2_b64 v[10:13], v5 offset1:1
	v_xor_b32_e32 v21, 0x80000000, v1
	v_xor_b32_e32 v23, 0x80000000, v3
	v_mov_b32_e32 v20, v0
	v_mov_b32_e32 v22, v2
	s_waitcnt lgkmcnt(0)
	v_xor_b32_e32 v25, 0x80000000, v13
	v_cndmask_b32_e32 v23, v3, v23, vcc
	v_cndmask_b32_e64 v21, v1, v21, s[4:5]
	v_cmp_gt_f64_e32 vcc, 0, v[12:13]
	v_cmp_gt_f64_e64 s[4:5], 0, v[10:11]
	v_add_f64 v[20:21], v[20:21], v[22:23]
	v_xor_b32_e32 v23, 0x80000000, v11
	v_mov_b32_e32 v22, v10
	v_mov_b32_e32 v24, v12
	v_add_u32_e32 v5, 16, v5
	v_cndmask_b32_e32 v25, v13, v25, vcc
	v_cndmask_b32_e64 v23, v11, v23, s[4:5]
	v_add_f64 v[22:23], v[22:23], v[24:25]
	v_mov_b32_e32 v24, s16
	s_add_i32 s16, s16, 1
	s_cmp_lg_u32 s65, s16
	v_cmp_lt_f64_e32 vcc, v[20:21], v[22:23]
	v_cndmask_b32_e32 v1, v1, v11, vcc
	v_cndmask_b32_e32 v0, v0, v10, vcc
	;; [unrolled: 1-line block ×5, first 2 shown]
	s_cbranch_scc1 .LBB122_201
.LBB122_202:
	s_waitcnt lgkmcnt(0)
	v_cmp_eq_f64_e32 vcc, 0, v[0:1]
	v_cmp_eq_f64_e64 s[4:5], 0, v[2:3]
	s_and_b64 s[4:5], vcc, s[4:5]
	s_and_saveexec_b64 s[16:17], s[4:5]
	s_xor_b64 s[4:5], exec, s[16:17]
; %bb.203:
	v_cmp_ne_u32_e32 vcc, 0, v17
	v_cndmask_b32_e32 v17, 9, v17, vcc
; %bb.204:
	s_andn2_saveexec_b64 s[4:5], s[4:5]
	s_cbranch_execz .LBB122_210
; %bb.205:
	v_cmp_ngt_f64_e64 s[16:17], |v[0:1]|, |v[2:3]|
	s_and_saveexec_b64 s[18:19], s[16:17]
	s_xor_b64 s[18:19], exec, s[18:19]
	s_cbranch_execz .LBB122_207
; %bb.206:
	v_div_scale_f64 v[10:11], s[16:17], v[2:3], v[2:3], v[0:1]
	v_rcp_f64_e32 v[12:13], v[10:11]
	v_fma_f64 v[20:21], -v[10:11], v[12:13], 1.0
	v_fma_f64 v[12:13], v[12:13], v[20:21], v[12:13]
	v_div_scale_f64 v[20:21], vcc, v[0:1], v[2:3], v[0:1]
	v_fma_f64 v[22:23], -v[10:11], v[12:13], 1.0
	v_fma_f64 v[12:13], v[12:13], v[22:23], v[12:13]
	v_mul_f64 v[22:23], v[20:21], v[12:13]
	v_fma_f64 v[10:11], -v[10:11], v[22:23], v[20:21]
	v_div_fmas_f64 v[10:11], v[10:11], v[12:13], v[22:23]
	v_div_fixup_f64 v[10:11], v[10:11], v[2:3], v[0:1]
	v_fma_f64 v[0:1], v[0:1], v[10:11], v[2:3]
	v_div_scale_f64 v[2:3], s[16:17], v[0:1], v[0:1], 1.0
	v_div_scale_f64 v[22:23], vcc, 1.0, v[0:1], 1.0
	v_rcp_f64_e32 v[12:13], v[2:3]
	v_fma_f64 v[20:21], -v[2:3], v[12:13], 1.0
	v_fma_f64 v[12:13], v[12:13], v[20:21], v[12:13]
	v_fma_f64 v[20:21], -v[2:3], v[12:13], 1.0
	v_fma_f64 v[12:13], v[12:13], v[20:21], v[12:13]
	v_mul_f64 v[20:21], v[22:23], v[12:13]
	v_fma_f64 v[2:3], -v[2:3], v[20:21], v[22:23]
	v_div_fmas_f64 v[2:3], v[2:3], v[12:13], v[20:21]
	v_div_fixup_f64 v[2:3], v[2:3], v[0:1], 1.0
	v_mul_f64 v[0:1], v[10:11], v[2:3]
	v_xor_b32_e32 v3, 0x80000000, v3
.LBB122_207:
	s_andn2_saveexec_b64 s[18:19], s[18:19]
	s_cbranch_execz .LBB122_209
; %bb.208:
	v_div_scale_f64 v[10:11], s[16:17], v[0:1], v[0:1], v[2:3]
	v_rcp_f64_e32 v[12:13], v[10:11]
	v_fma_f64 v[20:21], -v[10:11], v[12:13], 1.0
	v_fma_f64 v[12:13], v[12:13], v[20:21], v[12:13]
	v_div_scale_f64 v[20:21], vcc, v[2:3], v[0:1], v[2:3]
	v_fma_f64 v[22:23], -v[10:11], v[12:13], 1.0
	v_fma_f64 v[12:13], v[12:13], v[22:23], v[12:13]
	v_mul_f64 v[22:23], v[20:21], v[12:13]
	v_fma_f64 v[10:11], -v[10:11], v[22:23], v[20:21]
	v_div_fmas_f64 v[10:11], v[10:11], v[12:13], v[22:23]
	v_div_fixup_f64 v[10:11], v[10:11], v[0:1], v[2:3]
	v_fma_f64 v[0:1], v[2:3], v[10:11], v[0:1]
	v_div_scale_f64 v[2:3], s[16:17], v[0:1], v[0:1], 1.0
	v_div_scale_f64 v[22:23], vcc, 1.0, v[0:1], 1.0
	v_rcp_f64_e32 v[12:13], v[2:3]
	v_fma_f64 v[20:21], -v[2:3], v[12:13], 1.0
	v_fma_f64 v[12:13], v[12:13], v[20:21], v[12:13]
	v_fma_f64 v[20:21], -v[2:3], v[12:13], 1.0
	v_fma_f64 v[12:13], v[12:13], v[20:21], v[12:13]
	v_mul_f64 v[20:21], v[22:23], v[12:13]
	v_fma_f64 v[2:3], -v[2:3], v[20:21], v[22:23]
	v_div_fmas_f64 v[2:3], v[2:3], v[12:13], v[20:21]
	v_div_fixup_f64 v[0:1], v[2:3], v[0:1], 1.0
	v_mul_f64 v[2:3], v[10:11], -v[0:1]
.LBB122_209:
	s_or_b64 exec, exec, s[18:19]
.LBB122_210:
	s_or_b64 exec, exec, s[4:5]
	v_cmp_ne_u32_e32 vcc, v19, v4
	s_and_saveexec_b64 s[4:5], vcc
	s_xor_b64 s[4:5], exec, s[4:5]
	s_cbranch_execz .LBB122_216
; %bb.211:
	v_cmp_eq_u32_e32 vcc, 8, v19
	s_and_saveexec_b64 s[18:19], vcc
	s_cbranch_execz .LBB122_215
; %bb.212:
	v_cmp_ne_u32_e32 vcc, 8, v4
	s_xor_b64 s[16:17], s[22:23], -1
	s_and_b64 s[16:17], s[16:17], vcc
	s_and_saveexec_b64 s[24:25], s[16:17]
	s_cbranch_execz .LBB122_214
; %bb.213:
	v_ashrrev_i32_e32 v5, 31, v4
	v_lshlrev_b64 v[10:11], 2, v[4:5]
	v_add_co_u32_e32 v10, vcc, v8, v10
	v_addc_co_u32_e32 v11, vcc, v9, v11, vcc
	global_load_dword v5, v[10:11], off
	global_load_dword v12, v[8:9], off offset:32
	s_waitcnt vmcnt(1)
	global_store_dword v[8:9], v5, off offset:32
	s_waitcnt vmcnt(1)
	global_store_dword v[10:11], v12, off
.LBB122_214:
	s_or_b64 exec, exec, s[24:25]
	v_mov_b32_e32 v19, v4
	v_mov_b32_e32 v18, v4
.LBB122_215:
	s_or_b64 exec, exec, s[18:19]
.LBB122_216:
	s_andn2_saveexec_b64 s[4:5], s[4:5]
	s_cbranch_execz .LBB122_222
; %bb.217:
	s_movk_i32 s16, 0x90
	s_branch .LBB122_219
.LBB122_218:                            ;   in Loop: Header=BB122_219 Depth=1
	s_andn2_b64 vcc, exec, s[18:19]
	s_cbranch_vccz .LBB122_221
.LBB122_219:                            ; =>This Inner Loop Header: Depth=1
	v_mov_b32_e32 v4, s16
	buffer_load_dword v10, v4, s[0:3], 0 offen
	buffer_load_dword v11, v4, s[0:3], 0 offen offset:4
	buffer_load_dword v12, v4, s[0:3], 0 offen offset:8
	;; [unrolled: 1-line block ×19, first 2 shown]
	s_mov_b32 s17, s16
	v_add_u32_e32 v4, s16, v16
	s_cmpk_eq_i32 s16, 0x390
	s_mov_b64 s[18:19], -1
	s_waitcnt vmcnt(16)
	ds_write2_b64 v4, v[10:11], v[12:13] offset1:1
	s_waitcnt vmcnt(12)
	ds_write2_b64 v4, v[19:20], v[21:22] offset0:2 offset1:3
	s_waitcnt vmcnt(8)
	ds_write2_b64 v4, v[23:24], v[25:26] offset0:4 offset1:5
	;; [unrolled: 2-line block ×4, first 2 shown]
	s_cbranch_scc1 .LBB122_218
; %bb.220:                              ;   in Loop: Header=BB122_219 Depth=1
	v_mov_b32_e32 v5, s17
	buffer_load_dword v10, v5, s[0:3], 0 offen offset:80
	buffer_load_dword v11, v5, s[0:3], 0 offen offset:84
	;; [unrolled: 1-line block ×12, first 2 shown]
	s_addk_i32 s16, 0x80
	s_mov_b64 s[18:19], 0
	s_waitcnt vmcnt(8)
	ds_write2_b64 v4, v[10:11], v[12:13] offset0:10 offset1:11
	s_waitcnt vmcnt(4)
	ds_write2_b64 v4, v[19:20], v[21:22] offset0:12 offset1:13
	;; [unrolled: 2-line block ×3, first 2 shown]
	s_branch .LBB122_218
.LBB122_221:
	v_mov_b32_e32 v19, 8
.LBB122_222:
	s_or_b64 exec, exec, s[4:5]
	v_cmp_lt_i32_e32 vcc, 8, v19
	s_waitcnt vmcnt(0) lgkmcnt(0)
	s_barrier
	s_and_saveexec_b64 s[4:5], vcc
	s_cbranch_execz .LBB122_227
; %bb.223:
	buffer_load_dword v4, off, s[0:3], 0 offset:136
	buffer_load_dword v5, off, s[0:3], 0 offset:140
	;; [unrolled: 1-line block ×4, first 2 shown]
	s_movk_i32 s24, 0x90
	s_waitcnt vmcnt(2)
	v_mul_f64 v[12:13], v[2:3], v[4:5]
	v_mul_f64 v[4:5], v[0:1], v[4:5]
	s_waitcnt vmcnt(0)
	v_fma_f64 v[0:1], v[0:1], v[10:11], -v[12:13]
	v_fma_f64 v[2:3], v[2:3], v[10:11], v[4:5]
	buffer_store_dword v0, off, s[0:3], 0 offset:128
	buffer_store_dword v1, off, s[0:3], 0 offset:132
	;; [unrolled: 1-line block ×4, first 2 shown]
	s_branch .LBB122_225
.LBB122_224:                            ;   in Loop: Header=BB122_225 Depth=1
	s_andn2_b64 vcc, exec, s[18:19]
	s_cbranch_vccz .LBB122_227
.LBB122_225:                            ; =>This Inner Loop Header: Depth=1
	v_mov_b32_e32 v5, s24
	buffer_load_dword v20, v5, s[0:3], 0 offen
	buffer_load_dword v21, v5, s[0:3], 0 offen offset:4
	buffer_load_dword v22, v5, s[0:3], 0 offen offset:8
	buffer_load_dword v23, v5, s[0:3], 0 offen offset:12
	v_add_u32_e32 v4, s24, v16
	ds_read2_b64 v[10:13], v4 offset1:1
	s_mov_b32 s16, s24
	s_cmpk_eq_i32 s24, 0x3d0
	s_mov_b64 s[18:19], -1
	s_waitcnt vmcnt(4) lgkmcnt(0)
	v_mul_f64 v[24:25], v[12:13], v[2:3]
	v_mul_f64 v[2:3], v[10:11], v[2:3]
	v_fma_f64 v[10:11], v[10:11], v[0:1], -v[24:25]
	v_fma_f64 v[0:1], v[12:13], v[0:1], v[2:3]
	s_waitcnt vmcnt(2)
	v_add_f64 v[2:3], v[20:21], -v[10:11]
	s_waitcnt vmcnt(0)
	v_add_f64 v[0:1], v[22:23], -v[0:1]
	buffer_store_dword v2, v5, s[0:3], 0 offen
	buffer_store_dword v3, v5, s[0:3], 0 offen offset:4
	buffer_store_dword v0, v5, s[0:3], 0 offen offset:8
	;; [unrolled: 1-line block ×3, first 2 shown]
                                        ; implicit-def: $vgpr0_vgpr1
                                        ; implicit-def: $vgpr2_vgpr3
	s_cbranch_scc1 .LBB122_224
; %bb.226:                              ;   in Loop: Header=BB122_225 Depth=1
	buffer_load_dword v20, off, s[0:3], 0 offset:136
	buffer_load_dword v21, off, s[0:3], 0 offset:140
	;; [unrolled: 1-line block ×4, first 2 shown]
	v_mov_b32_e32 v30, s16
	buffer_load_dword v24, v30, s[0:3], 0 offen offset:16
	buffer_load_dword v25, v30, s[0:3], 0 offen offset:20
	;; [unrolled: 1-line block ×4, first 2 shown]
	ds_read2_b64 v[0:3], v4 offset0:2 offset1:3
	ds_read2_b64 v[10:13], v4 offset0:4 offset1:5
	s_add_i32 s24, s24, 64
	s_mov_b64 s[18:19], 0
	s_waitcnt vmcnt(6) lgkmcnt(1)
	v_mul_f64 v[28:29], v[2:3], v[20:21]
	v_mul_f64 v[20:21], v[0:1], v[20:21]
	s_waitcnt vmcnt(4)
	v_fma_f64 v[0:1], v[0:1], v[22:23], -v[28:29]
	v_fma_f64 v[2:3], v[2:3], v[22:23], v[20:21]
	s_waitcnt vmcnt(2)
	v_add_f64 v[0:1], v[24:25], -v[0:1]
	s_waitcnt vmcnt(0)
	v_add_f64 v[2:3], v[26:27], -v[2:3]
	buffer_store_dword v1, v30, s[0:3], 0 offen offset:20
	buffer_store_dword v0, v30, s[0:3], 0 offen offset:16
	buffer_store_dword v3, v30, s[0:3], 0 offen offset:28
	buffer_store_dword v2, v30, s[0:3], 0 offen offset:24
	buffer_load_dword v1, v30, s[0:3], 0 offen offset:36
	s_nop 0
	buffer_load_dword v2, v30, s[0:3], 0 offen offset:40
	buffer_load_dword v3, v30, s[0:3], 0 offen offset:44
	buffer_load_dword v21, off, s[0:3], 0 offset:140
	buffer_load_dword v20, off, s[0:3], 0 offset:136
	;; [unrolled: 1-line block ×4, first 2 shown]
	buffer_load_dword v0, v30, s[0:3], 0 offen offset:32
	s_waitcnt vmcnt(3) lgkmcnt(0)
	v_mul_f64 v[24:25], v[12:13], v[20:21]
	v_mul_f64 v[20:21], v[10:11], v[20:21]
	s_waitcnt vmcnt(1)
	v_fma_f64 v[10:11], v[10:11], v[22:23], -v[24:25]
	v_fma_f64 v[12:13], v[12:13], v[22:23], v[20:21]
	s_waitcnt vmcnt(0)
	v_add_f64 v[0:1], v[0:1], -v[10:11]
	v_add_f64 v[2:3], v[2:3], -v[12:13]
	buffer_store_dword v1, v30, s[0:3], 0 offen offset:36
	buffer_store_dword v0, v30, s[0:3], 0 offen offset:32
	;; [unrolled: 1-line block ×4, first 2 shown]
	buffer_load_dword v11, v30, s[0:3], 0 offen offset:52
	buffer_load_dword v12, v30, s[0:3], 0 offen offset:56
	;; [unrolled: 1-line block ×3, first 2 shown]
	buffer_load_dword v20, off, s[0:3], 0 offset:136
	buffer_load_dword v21, off, s[0:3], 0 offset:140
	;; [unrolled: 1-line block ×4, first 2 shown]
	buffer_load_dword v10, v30, s[0:3], 0 offen offset:48
	ds_read2_b64 v[0:3], v4 offset0:6 offset1:7
	s_waitcnt vmcnt(3) lgkmcnt(0)
	v_mul_f64 v[4:5], v[2:3], v[20:21]
	v_mul_f64 v[20:21], v[0:1], v[20:21]
	s_waitcnt vmcnt(1)
	v_fma_f64 v[0:1], v[0:1], v[22:23], -v[4:5]
	v_fma_f64 v[2:3], v[2:3], v[22:23], v[20:21]
	s_waitcnt vmcnt(0)
	v_add_f64 v[0:1], v[10:11], -v[0:1]
	v_add_f64 v[2:3], v[12:13], -v[2:3]
	buffer_store_dword v1, v30, s[0:3], 0 offen offset:52
	buffer_store_dword v0, v30, s[0:3], 0 offen offset:48
	;; [unrolled: 1-line block ×4, first 2 shown]
	buffer_load_dword v0, off, s[0:3], 0 offset:128
	s_nop 0
	buffer_load_dword v1, off, s[0:3], 0 offset:132
	buffer_load_dword v2, off, s[0:3], 0 offset:136
	;; [unrolled: 1-line block ×3, first 2 shown]
	s_branch .LBB122_224
.LBB122_227:
	s_or_b64 exec, exec, s[4:5]
	s_waitcnt vmcnt(0)
	v_mov_b32_e32 v3, s78
	s_barrier
	buffer_load_dword v0, v3, s[0:3], 0 offen
	buffer_load_dword v1, v3, s[0:3], 0 offen offset:4
	buffer_load_dword v2, v3, s[0:3], 0 offen offset:8
	s_nop 0
	buffer_load_dword v3, v3, s[0:3], 0 offen offset:12
	v_lshl_add_u32 v4, v19, 4, v16
	s_cmp_lt_i32 s65, 11
	s_waitcnt vmcnt(0)
	ds_write2_b64 v4, v[0:1], v[2:3] offset1:1
	s_waitcnt lgkmcnt(0)
	s_barrier
	ds_read2_b64 v[0:3], v16 offset0:18 offset1:19
	v_mov_b32_e32 v4, 9
	s_cbranch_scc1 .LBB122_230
; %bb.228:
	v_add_u32_e32 v5, 0xa0, v16
	s_mov_b32 s16, 10
	v_mov_b32_e32 v4, 9
.LBB122_229:                            ; =>This Inner Loop Header: Depth=1
	s_waitcnt lgkmcnt(0)
	v_cmp_gt_f64_e32 vcc, 0, v[2:3]
	v_cmp_gt_f64_e64 s[4:5], 0, v[0:1]
	ds_read2_b64 v[10:13], v5 offset1:1
	v_xor_b32_e32 v21, 0x80000000, v1
	v_xor_b32_e32 v23, 0x80000000, v3
	v_mov_b32_e32 v20, v0
	v_mov_b32_e32 v22, v2
	s_waitcnt lgkmcnt(0)
	v_xor_b32_e32 v25, 0x80000000, v13
	v_cndmask_b32_e32 v23, v3, v23, vcc
	v_cndmask_b32_e64 v21, v1, v21, s[4:5]
	v_cmp_gt_f64_e32 vcc, 0, v[12:13]
	v_cmp_gt_f64_e64 s[4:5], 0, v[10:11]
	v_add_f64 v[20:21], v[20:21], v[22:23]
	v_xor_b32_e32 v23, 0x80000000, v11
	v_mov_b32_e32 v22, v10
	v_mov_b32_e32 v24, v12
	v_add_u32_e32 v5, 16, v5
	v_cndmask_b32_e32 v25, v13, v25, vcc
	v_cndmask_b32_e64 v23, v11, v23, s[4:5]
	v_add_f64 v[22:23], v[22:23], v[24:25]
	v_mov_b32_e32 v24, s16
	s_add_i32 s16, s16, 1
	s_cmp_lg_u32 s65, s16
	v_cmp_lt_f64_e32 vcc, v[20:21], v[22:23]
	v_cndmask_b32_e32 v1, v1, v11, vcc
	v_cndmask_b32_e32 v0, v0, v10, vcc
	v_cndmask_b32_e32 v3, v3, v13, vcc
	v_cndmask_b32_e32 v2, v2, v12, vcc
	v_cndmask_b32_e32 v4, v4, v24, vcc
	s_cbranch_scc1 .LBB122_229
.LBB122_230:
	s_waitcnt lgkmcnt(0)
	v_cmp_eq_f64_e32 vcc, 0, v[0:1]
	v_cmp_eq_f64_e64 s[4:5], 0, v[2:3]
	s_and_b64 s[4:5], vcc, s[4:5]
	s_and_saveexec_b64 s[16:17], s[4:5]
	s_xor_b64 s[4:5], exec, s[16:17]
; %bb.231:
	v_cmp_ne_u32_e32 vcc, 0, v17
	v_cndmask_b32_e32 v17, 10, v17, vcc
; %bb.232:
	s_andn2_saveexec_b64 s[4:5], s[4:5]
	s_cbranch_execz .LBB122_238
; %bb.233:
	v_cmp_ngt_f64_e64 s[16:17], |v[0:1]|, |v[2:3]|
	s_and_saveexec_b64 s[18:19], s[16:17]
	s_xor_b64 s[18:19], exec, s[18:19]
	s_cbranch_execz .LBB122_235
; %bb.234:
	v_div_scale_f64 v[10:11], s[16:17], v[2:3], v[2:3], v[0:1]
	v_rcp_f64_e32 v[12:13], v[10:11]
	v_fma_f64 v[20:21], -v[10:11], v[12:13], 1.0
	v_fma_f64 v[12:13], v[12:13], v[20:21], v[12:13]
	v_div_scale_f64 v[20:21], vcc, v[0:1], v[2:3], v[0:1]
	v_fma_f64 v[22:23], -v[10:11], v[12:13], 1.0
	v_fma_f64 v[12:13], v[12:13], v[22:23], v[12:13]
	v_mul_f64 v[22:23], v[20:21], v[12:13]
	v_fma_f64 v[10:11], -v[10:11], v[22:23], v[20:21]
	v_div_fmas_f64 v[10:11], v[10:11], v[12:13], v[22:23]
	v_div_fixup_f64 v[10:11], v[10:11], v[2:3], v[0:1]
	v_fma_f64 v[0:1], v[0:1], v[10:11], v[2:3]
	v_div_scale_f64 v[2:3], s[16:17], v[0:1], v[0:1], 1.0
	v_div_scale_f64 v[22:23], vcc, 1.0, v[0:1], 1.0
	v_rcp_f64_e32 v[12:13], v[2:3]
	v_fma_f64 v[20:21], -v[2:3], v[12:13], 1.0
	v_fma_f64 v[12:13], v[12:13], v[20:21], v[12:13]
	v_fma_f64 v[20:21], -v[2:3], v[12:13], 1.0
	v_fma_f64 v[12:13], v[12:13], v[20:21], v[12:13]
	v_mul_f64 v[20:21], v[22:23], v[12:13]
	v_fma_f64 v[2:3], -v[2:3], v[20:21], v[22:23]
	v_div_fmas_f64 v[2:3], v[2:3], v[12:13], v[20:21]
	v_div_fixup_f64 v[2:3], v[2:3], v[0:1], 1.0
	v_mul_f64 v[0:1], v[10:11], v[2:3]
	v_xor_b32_e32 v3, 0x80000000, v3
.LBB122_235:
	s_andn2_saveexec_b64 s[18:19], s[18:19]
	s_cbranch_execz .LBB122_237
; %bb.236:
	v_div_scale_f64 v[10:11], s[16:17], v[0:1], v[0:1], v[2:3]
	v_rcp_f64_e32 v[12:13], v[10:11]
	v_fma_f64 v[20:21], -v[10:11], v[12:13], 1.0
	v_fma_f64 v[12:13], v[12:13], v[20:21], v[12:13]
	v_div_scale_f64 v[20:21], vcc, v[2:3], v[0:1], v[2:3]
	v_fma_f64 v[22:23], -v[10:11], v[12:13], 1.0
	v_fma_f64 v[12:13], v[12:13], v[22:23], v[12:13]
	v_mul_f64 v[22:23], v[20:21], v[12:13]
	v_fma_f64 v[10:11], -v[10:11], v[22:23], v[20:21]
	v_div_fmas_f64 v[10:11], v[10:11], v[12:13], v[22:23]
	v_div_fixup_f64 v[10:11], v[10:11], v[0:1], v[2:3]
	v_fma_f64 v[0:1], v[2:3], v[10:11], v[0:1]
	v_div_scale_f64 v[2:3], s[16:17], v[0:1], v[0:1], 1.0
	v_div_scale_f64 v[22:23], vcc, 1.0, v[0:1], 1.0
	v_rcp_f64_e32 v[12:13], v[2:3]
	v_fma_f64 v[20:21], -v[2:3], v[12:13], 1.0
	v_fma_f64 v[12:13], v[12:13], v[20:21], v[12:13]
	v_fma_f64 v[20:21], -v[2:3], v[12:13], 1.0
	v_fma_f64 v[12:13], v[12:13], v[20:21], v[12:13]
	v_mul_f64 v[20:21], v[22:23], v[12:13]
	v_fma_f64 v[2:3], -v[2:3], v[20:21], v[22:23]
	v_div_fmas_f64 v[2:3], v[2:3], v[12:13], v[20:21]
	v_div_fixup_f64 v[0:1], v[2:3], v[0:1], 1.0
	v_mul_f64 v[2:3], v[10:11], -v[0:1]
.LBB122_237:
	s_or_b64 exec, exec, s[18:19]
.LBB122_238:
	s_or_b64 exec, exec, s[4:5]
	v_cmp_ne_u32_e32 vcc, v19, v4
	s_and_saveexec_b64 s[4:5], vcc
	s_xor_b64 s[4:5], exec, s[4:5]
	s_cbranch_execz .LBB122_244
; %bb.239:
	v_cmp_eq_u32_e32 vcc, 9, v19
	s_and_saveexec_b64 s[18:19], vcc
	s_cbranch_execz .LBB122_243
; %bb.240:
	v_cmp_ne_u32_e32 vcc, 9, v4
	s_xor_b64 s[16:17], s[22:23], -1
	s_and_b64 s[16:17], s[16:17], vcc
	s_and_saveexec_b64 s[24:25], s[16:17]
	s_cbranch_execz .LBB122_242
; %bb.241:
	v_ashrrev_i32_e32 v5, 31, v4
	v_lshlrev_b64 v[10:11], 2, v[4:5]
	v_add_co_u32_e32 v10, vcc, v8, v10
	v_addc_co_u32_e32 v11, vcc, v9, v11, vcc
	global_load_dword v5, v[10:11], off
	global_load_dword v12, v[8:9], off offset:36
	s_waitcnt vmcnt(1)
	global_store_dword v[8:9], v5, off offset:36
	s_waitcnt vmcnt(1)
	global_store_dword v[10:11], v12, off
.LBB122_242:
	s_or_b64 exec, exec, s[24:25]
	v_mov_b32_e32 v19, v4
	v_mov_b32_e32 v18, v4
.LBB122_243:
	s_or_b64 exec, exec, s[18:19]
.LBB122_244:
	s_andn2_saveexec_b64 s[4:5], s[4:5]
	s_cbranch_execz .LBB122_248
; %bb.245:
	s_movk_i32 s16, 0xa0
.LBB122_246:                            ; =>This Inner Loop Header: Depth=1
	v_mov_b32_e32 v29, s16
	buffer_load_dword v4, v29, s[0:3], 0 offen
	buffer_load_dword v5, v29, s[0:3], 0 offen offset:4
	buffer_load_dword v10, v29, s[0:3], 0 offen offset:8
	;; [unrolled: 1-line block ×15, first 2 shown]
	v_add_u32_e32 v30, s16, v16
	s_addk_i32 s16, 0xd0
	s_cmpk_eq_i32 s16, 0x3e0
	s_waitcnt vmcnt(12)
	ds_write2_b64 v30, v[4:5], v[10:11] offset1:1
	s_waitcnt vmcnt(8)
	ds_write2_b64 v30, v[12:13], v[19:20] offset0:2 offset1:3
	s_waitcnt vmcnt(4)
	ds_write2_b64 v30, v[21:22], v[23:24] offset0:4 offset1:5
	;; [unrolled: 2-line block ×3, first 2 shown]
	buffer_load_dword v5, v29, s[0:3], 0 offen offset:76
	buffer_load_dword v4, v29, s[0:3], 0 offen offset:72
	buffer_load_dword v11, v29, s[0:3], 0 offen offset:68
	buffer_load_dword v10, v29, s[0:3], 0 offen offset:64
	s_waitcnt vmcnt(0)
	ds_write2_b64 v30, v[10:11], v[4:5] offset0:8 offset1:9
	buffer_load_dword v5, v29, s[0:3], 0 offen offset:92
	buffer_load_dword v4, v29, s[0:3], 0 offen offset:88
	buffer_load_dword v11, v29, s[0:3], 0 offen offset:84
	buffer_load_dword v10, v29, s[0:3], 0 offen offset:80
	s_waitcnt vmcnt(0)
	ds_write2_b64 v30, v[10:11], v[4:5] offset0:10 offset1:11
	;; [unrolled: 6-line block ×9, first 2 shown]
	s_cbranch_scc0 .LBB122_246
; %bb.247:
	v_mov_b32_e32 v19, 9
.LBB122_248:
	s_or_b64 exec, exec, s[4:5]
	v_cmp_lt_i32_e32 vcc, 9, v19
	s_waitcnt vmcnt(0) lgkmcnt(0)
	s_barrier
	s_and_saveexec_b64 s[4:5], vcc
	s_cbranch_execz .LBB122_251
; %bb.249:
	buffer_load_dword v4, off, s[0:3], 0 offset:152
	buffer_load_dword v5, off, s[0:3], 0 offset:156
	;; [unrolled: 1-line block ×4, first 2 shown]
	s_movk_i32 s18, 0xa0
	s_waitcnt vmcnt(2)
	v_mul_f64 v[12:13], v[2:3], v[4:5]
	v_mul_f64 v[4:5], v[0:1], v[4:5]
	s_waitcnt vmcnt(0)
	v_fma_f64 v[0:1], v[0:1], v[10:11], -v[12:13]
	v_fma_f64 v[2:3], v[2:3], v[10:11], v[4:5]
	buffer_store_dword v0, off, s[0:3], 0 offset:144
	buffer_store_dword v1, off, s[0:3], 0 offset:148
	;; [unrolled: 1-line block ×4, first 2 shown]
.LBB122_250:                            ; =>This Inner Loop Header: Depth=1
	buffer_load_dword v4, off, s[0:3], 0 offset:152
	buffer_load_dword v5, off, s[0:3], 0 offset:156
	;; [unrolled: 1-line block ×4, first 2 shown]
	v_mov_b32_e32 v32, s18
	buffer_load_dword v22, v32, s[0:3], 0 offen
	buffer_load_dword v23, v32, s[0:3], 0 offen offset:4
	buffer_load_dword v24, v32, s[0:3], 0 offen offset:8
	;; [unrolled: 1-line block ×3, first 2 shown]
	v_add_u32_e32 v33, s18, v16
	ds_read2_b64 v[0:3], v33 offset1:1
	buffer_load_dword v26, v32, s[0:3], 0 offen offset:16
	buffer_load_dword v27, v32, s[0:3], 0 offen offset:20
	;; [unrolled: 1-line block ×4, first 2 shown]
	ds_read2_b64 v[10:13], v33 offset0:2 offset1:3
	s_add_i32 s18, s18, 64
	s_cmpk_lg_i32 s18, 0x3e0
	s_waitcnt vmcnt(10) lgkmcnt(1)
	v_mul_f64 v[30:31], v[2:3], v[4:5]
	v_mul_f64 v[4:5], v[0:1], v[4:5]
	s_waitcnt vmcnt(8)
	v_fma_f64 v[0:1], v[0:1], v[20:21], -v[30:31]
	v_fma_f64 v[2:3], v[2:3], v[20:21], v[4:5]
	s_waitcnt vmcnt(6)
	v_add_f64 v[0:1], v[22:23], -v[0:1]
	s_waitcnt vmcnt(4)
	v_add_f64 v[2:3], v[24:25], -v[2:3]
	buffer_store_dword v1, v32, s[0:3], 0 offen offset:4
	buffer_store_dword v0, v32, s[0:3], 0 offen
	buffer_store_dword v3, v32, s[0:3], 0 offen offset:12
	buffer_store_dword v2, v32, s[0:3], 0 offen offset:8
	buffer_load_dword v1, off, s[0:3], 0 offset:156
	s_nop 0
	buffer_load_dword v0, off, s[0:3], 0 offset:152
	buffer_load_dword v3, off, s[0:3], 0 offset:148
	;; [unrolled: 1-line block ×3, first 2 shown]
	buffer_load_dword v4, v32, s[0:3], 0 offen offset:32
	buffer_load_dword v5, v32, s[0:3], 0 offen offset:36
	;; [unrolled: 1-line block ×4, first 2 shown]
	s_waitcnt vmcnt(6) lgkmcnt(0)
	v_mul_f64 v[22:23], v[12:13], v[0:1]
	v_mul_f64 v[0:1], v[10:11], v[0:1]
	s_waitcnt vmcnt(4)
	v_fma_f64 v[10:11], v[10:11], v[2:3], -v[22:23]
	v_fma_f64 v[0:1], v[12:13], v[2:3], v[0:1]
	v_add_f64 v[2:3], v[26:27], -v[10:11]
	v_add_f64 v[0:1], v[28:29], -v[0:1]
	buffer_store_dword v3, v32, s[0:3], 0 offen offset:20
	buffer_store_dword v2, v32, s[0:3], 0 offen offset:16
	;; [unrolled: 1-line block ×4, first 2 shown]
	buffer_load_dword v22, off, s[0:3], 0 offset:152
	buffer_load_dword v23, off, s[0:3], 0 offset:156
	;; [unrolled: 1-line block ×4, first 2 shown]
	ds_read2_b64 v[0:3], v33 offset0:4 offset1:5
	ds_read2_b64 v[10:13], v33 offset0:6 offset1:7
	s_waitcnt vmcnt(2) lgkmcnt(1)
	v_mul_f64 v[26:27], v[2:3], v[22:23]
	v_mul_f64 v[22:23], v[0:1], v[22:23]
	s_waitcnt vmcnt(0)
	v_fma_f64 v[0:1], v[0:1], v[24:25], -v[26:27]
	v_fma_f64 v[2:3], v[2:3], v[24:25], v[22:23]
	v_add_f64 v[0:1], v[4:5], -v[0:1]
	v_add_f64 v[2:3], v[20:21], -v[2:3]
	buffer_store_dword v1, v32, s[0:3], 0 offen offset:36
	buffer_store_dword v0, v32, s[0:3], 0 offen offset:32
	;; [unrolled: 1-line block ×4, first 2 shown]
	buffer_load_dword v0, off, s[0:3], 0 offset:152
	s_nop 0
	buffer_load_dword v1, off, s[0:3], 0 offset:156
	buffer_load_dword v2, off, s[0:3], 0 offset:144
	buffer_load_dword v3, off, s[0:3], 0 offset:148
	buffer_load_dword v4, v32, s[0:3], 0 offen offset:48
	buffer_load_dword v5, v32, s[0:3], 0 offen offset:52
	;; [unrolled: 1-line block ×4, first 2 shown]
	s_waitcnt vmcnt(6) lgkmcnt(0)
	v_mul_f64 v[22:23], v[12:13], v[0:1]
	v_mul_f64 v[0:1], v[10:11], v[0:1]
	s_waitcnt vmcnt(4)
	v_fma_f64 v[10:11], v[10:11], v[2:3], -v[22:23]
	v_fma_f64 v[0:1], v[12:13], v[2:3], v[0:1]
	s_waitcnt vmcnt(2)
	v_add_f64 v[2:3], v[4:5], -v[10:11]
	s_waitcnt vmcnt(0)
	v_add_f64 v[0:1], v[20:21], -v[0:1]
	buffer_store_dword v3, v32, s[0:3], 0 offen offset:52
	buffer_store_dword v2, v32, s[0:3], 0 offen offset:48
	;; [unrolled: 1-line block ×4, first 2 shown]
	s_cbranch_scc1 .LBB122_250
.LBB122_251:
	s_or_b64 exec, exec, s[4:5]
	v_mov_b32_e32 v3, s77
	s_waitcnt vmcnt(0)
	s_barrier
	buffer_load_dword v0, v3, s[0:3], 0 offen
	buffer_load_dword v1, v3, s[0:3], 0 offen offset:4
	buffer_load_dword v2, v3, s[0:3], 0 offen offset:8
	s_nop 0
	buffer_load_dword v3, v3, s[0:3], 0 offen offset:12
	v_lshl_add_u32 v4, v19, 4, v16
	s_cmp_lt_i32 s65, 12
	s_waitcnt vmcnt(0)
	ds_write2_b64 v4, v[0:1], v[2:3] offset1:1
	s_waitcnt lgkmcnt(0)
	s_barrier
	ds_read2_b64 v[0:3], v16 offset0:20 offset1:21
	v_mov_b32_e32 v4, 10
	s_cbranch_scc1 .LBB122_254
; %bb.252:
	v_add_u32_e32 v5, 0xb0, v16
	s_mov_b32 s16, 11
	v_mov_b32_e32 v4, 10
.LBB122_253:                            ; =>This Inner Loop Header: Depth=1
	s_waitcnt lgkmcnt(0)
	v_cmp_gt_f64_e32 vcc, 0, v[2:3]
	v_cmp_gt_f64_e64 s[4:5], 0, v[0:1]
	ds_read2_b64 v[10:13], v5 offset1:1
	v_xor_b32_e32 v21, 0x80000000, v1
	v_xor_b32_e32 v23, 0x80000000, v3
	v_mov_b32_e32 v20, v0
	v_mov_b32_e32 v22, v2
	s_waitcnt lgkmcnt(0)
	v_xor_b32_e32 v25, 0x80000000, v13
	v_cndmask_b32_e32 v23, v3, v23, vcc
	v_cndmask_b32_e64 v21, v1, v21, s[4:5]
	v_cmp_gt_f64_e32 vcc, 0, v[12:13]
	v_cmp_gt_f64_e64 s[4:5], 0, v[10:11]
	v_add_f64 v[20:21], v[20:21], v[22:23]
	v_xor_b32_e32 v23, 0x80000000, v11
	v_mov_b32_e32 v22, v10
	v_mov_b32_e32 v24, v12
	v_add_u32_e32 v5, 16, v5
	v_cndmask_b32_e32 v25, v13, v25, vcc
	v_cndmask_b32_e64 v23, v11, v23, s[4:5]
	v_add_f64 v[22:23], v[22:23], v[24:25]
	v_mov_b32_e32 v24, s16
	s_add_i32 s16, s16, 1
	s_cmp_lg_u32 s65, s16
	v_cmp_lt_f64_e32 vcc, v[20:21], v[22:23]
	v_cndmask_b32_e32 v1, v1, v11, vcc
	v_cndmask_b32_e32 v0, v0, v10, vcc
	;; [unrolled: 1-line block ×5, first 2 shown]
	s_cbranch_scc1 .LBB122_253
.LBB122_254:
	s_waitcnt lgkmcnt(0)
	v_cmp_eq_f64_e32 vcc, 0, v[0:1]
	v_cmp_eq_f64_e64 s[4:5], 0, v[2:3]
	s_and_b64 s[4:5], vcc, s[4:5]
	s_and_saveexec_b64 s[16:17], s[4:5]
	s_xor_b64 s[4:5], exec, s[16:17]
; %bb.255:
	v_cmp_ne_u32_e32 vcc, 0, v17
	v_cndmask_b32_e32 v17, 11, v17, vcc
; %bb.256:
	s_andn2_saveexec_b64 s[4:5], s[4:5]
	s_cbranch_execz .LBB122_262
; %bb.257:
	v_cmp_ngt_f64_e64 s[16:17], |v[0:1]|, |v[2:3]|
	s_and_saveexec_b64 s[18:19], s[16:17]
	s_xor_b64 s[18:19], exec, s[18:19]
	s_cbranch_execz .LBB122_259
; %bb.258:
	v_div_scale_f64 v[10:11], s[16:17], v[2:3], v[2:3], v[0:1]
	v_rcp_f64_e32 v[12:13], v[10:11]
	v_fma_f64 v[20:21], -v[10:11], v[12:13], 1.0
	v_fma_f64 v[12:13], v[12:13], v[20:21], v[12:13]
	v_div_scale_f64 v[20:21], vcc, v[0:1], v[2:3], v[0:1]
	v_fma_f64 v[22:23], -v[10:11], v[12:13], 1.0
	v_fma_f64 v[12:13], v[12:13], v[22:23], v[12:13]
	v_mul_f64 v[22:23], v[20:21], v[12:13]
	v_fma_f64 v[10:11], -v[10:11], v[22:23], v[20:21]
	v_div_fmas_f64 v[10:11], v[10:11], v[12:13], v[22:23]
	v_div_fixup_f64 v[10:11], v[10:11], v[2:3], v[0:1]
	v_fma_f64 v[0:1], v[0:1], v[10:11], v[2:3]
	v_div_scale_f64 v[2:3], s[16:17], v[0:1], v[0:1], 1.0
	v_div_scale_f64 v[22:23], vcc, 1.0, v[0:1], 1.0
	v_rcp_f64_e32 v[12:13], v[2:3]
	v_fma_f64 v[20:21], -v[2:3], v[12:13], 1.0
	v_fma_f64 v[12:13], v[12:13], v[20:21], v[12:13]
	v_fma_f64 v[20:21], -v[2:3], v[12:13], 1.0
	v_fma_f64 v[12:13], v[12:13], v[20:21], v[12:13]
	v_mul_f64 v[20:21], v[22:23], v[12:13]
	v_fma_f64 v[2:3], -v[2:3], v[20:21], v[22:23]
	v_div_fmas_f64 v[2:3], v[2:3], v[12:13], v[20:21]
	v_div_fixup_f64 v[2:3], v[2:3], v[0:1], 1.0
	v_mul_f64 v[0:1], v[10:11], v[2:3]
	v_xor_b32_e32 v3, 0x80000000, v3
.LBB122_259:
	s_andn2_saveexec_b64 s[18:19], s[18:19]
	s_cbranch_execz .LBB122_261
; %bb.260:
	v_div_scale_f64 v[10:11], s[16:17], v[0:1], v[0:1], v[2:3]
	v_rcp_f64_e32 v[12:13], v[10:11]
	v_fma_f64 v[20:21], -v[10:11], v[12:13], 1.0
	v_fma_f64 v[12:13], v[12:13], v[20:21], v[12:13]
	v_div_scale_f64 v[20:21], vcc, v[2:3], v[0:1], v[2:3]
	v_fma_f64 v[22:23], -v[10:11], v[12:13], 1.0
	v_fma_f64 v[12:13], v[12:13], v[22:23], v[12:13]
	v_mul_f64 v[22:23], v[20:21], v[12:13]
	v_fma_f64 v[10:11], -v[10:11], v[22:23], v[20:21]
	v_div_fmas_f64 v[10:11], v[10:11], v[12:13], v[22:23]
	v_div_fixup_f64 v[10:11], v[10:11], v[0:1], v[2:3]
	v_fma_f64 v[0:1], v[2:3], v[10:11], v[0:1]
	v_div_scale_f64 v[2:3], s[16:17], v[0:1], v[0:1], 1.0
	v_div_scale_f64 v[22:23], vcc, 1.0, v[0:1], 1.0
	v_rcp_f64_e32 v[12:13], v[2:3]
	v_fma_f64 v[20:21], -v[2:3], v[12:13], 1.0
	v_fma_f64 v[12:13], v[12:13], v[20:21], v[12:13]
	v_fma_f64 v[20:21], -v[2:3], v[12:13], 1.0
	v_fma_f64 v[12:13], v[12:13], v[20:21], v[12:13]
	v_mul_f64 v[20:21], v[22:23], v[12:13]
	v_fma_f64 v[2:3], -v[2:3], v[20:21], v[22:23]
	v_div_fmas_f64 v[2:3], v[2:3], v[12:13], v[20:21]
	v_div_fixup_f64 v[0:1], v[2:3], v[0:1], 1.0
	v_mul_f64 v[2:3], v[10:11], -v[0:1]
.LBB122_261:
	s_or_b64 exec, exec, s[18:19]
.LBB122_262:
	s_or_b64 exec, exec, s[4:5]
	v_cmp_ne_u32_e32 vcc, v19, v4
	s_and_saveexec_b64 s[4:5], vcc
	s_xor_b64 s[4:5], exec, s[4:5]
	s_cbranch_execz .LBB122_268
; %bb.263:
	v_cmp_eq_u32_e32 vcc, 10, v19
	s_and_saveexec_b64 s[18:19], vcc
	s_cbranch_execz .LBB122_267
; %bb.264:
	v_cmp_ne_u32_e32 vcc, 10, v4
	s_xor_b64 s[16:17], s[22:23], -1
	s_and_b64 s[16:17], s[16:17], vcc
	s_and_saveexec_b64 s[24:25], s[16:17]
	s_cbranch_execz .LBB122_266
; %bb.265:
	v_ashrrev_i32_e32 v5, 31, v4
	v_lshlrev_b64 v[10:11], 2, v[4:5]
	v_add_co_u32_e32 v10, vcc, v8, v10
	v_addc_co_u32_e32 v11, vcc, v9, v11, vcc
	global_load_dword v5, v[10:11], off
	global_load_dword v12, v[8:9], off offset:40
	s_waitcnt vmcnt(1)
	global_store_dword v[8:9], v5, off offset:40
	s_waitcnt vmcnt(1)
	global_store_dword v[10:11], v12, off
.LBB122_266:
	s_or_b64 exec, exec, s[24:25]
	v_mov_b32_e32 v19, v4
	v_mov_b32_e32 v18, v4
.LBB122_267:
	s_or_b64 exec, exec, s[18:19]
.LBB122_268:
	s_andn2_saveexec_b64 s[4:5], s[4:5]
	s_cbranch_execz .LBB122_272
; %bb.269:
	s_movk_i32 s18, 0xb0
.LBB122_270:                            ; =>This Inner Loop Header: Depth=1
	v_mov_b32_e32 v29, s18
	buffer_load_dword v4, v29, s[0:3], 0 offen
	buffer_load_dword v5, v29, s[0:3], 0 offen offset:4
	buffer_load_dword v10, v29, s[0:3], 0 offen offset:8
	;; [unrolled: 1-line block ×15, first 2 shown]
	v_add_u32_e32 v30, s18, v16
	s_addk_i32 s18, 0x110
	s_cmpk_eq_i32 s18, 0x3e0
	s_waitcnt vmcnt(12)
	ds_write2_b64 v30, v[4:5], v[10:11] offset1:1
	s_waitcnt vmcnt(8)
	ds_write2_b64 v30, v[12:13], v[19:20] offset0:2 offset1:3
	s_waitcnt vmcnt(4)
	ds_write2_b64 v30, v[21:22], v[23:24] offset0:4 offset1:5
	;; [unrolled: 2-line block ×3, first 2 shown]
	buffer_load_dword v5, v29, s[0:3], 0 offen offset:76
	buffer_load_dword v4, v29, s[0:3], 0 offen offset:72
	buffer_load_dword v11, v29, s[0:3], 0 offen offset:68
	buffer_load_dword v10, v29, s[0:3], 0 offen offset:64
	s_waitcnt vmcnt(0)
	ds_write2_b64 v30, v[10:11], v[4:5] offset0:8 offset1:9
	buffer_load_dword v5, v29, s[0:3], 0 offen offset:92
	buffer_load_dword v4, v29, s[0:3], 0 offen offset:88
	buffer_load_dword v11, v29, s[0:3], 0 offen offset:84
	buffer_load_dword v10, v29, s[0:3], 0 offen offset:80
	s_waitcnt vmcnt(0)
	ds_write2_b64 v30, v[10:11], v[4:5] offset0:10 offset1:11
	;; [unrolled: 6-line block ×13, first 2 shown]
	s_cbranch_scc0 .LBB122_270
; %bb.271:
	v_mov_b32_e32 v19, 10
.LBB122_272:
	s_or_b64 exec, exec, s[4:5]
	v_cmp_lt_i32_e32 vcc, 10, v19
	s_waitcnt vmcnt(0) lgkmcnt(0)
	s_barrier
	s_and_saveexec_b64 s[4:5], vcc
	s_cbranch_execz .LBB122_275
; %bb.273:
	buffer_load_dword v4, off, s[0:3], 0 offset:168
	buffer_load_dword v5, off, s[0:3], 0 offset:172
	;; [unrolled: 1-line block ×4, first 2 shown]
	s_movk_i32 s16, 0xb0
	s_waitcnt vmcnt(2)
	v_mul_f64 v[12:13], v[2:3], v[4:5]
	v_mul_f64 v[4:5], v[0:1], v[4:5]
	s_waitcnt vmcnt(0)
	v_fma_f64 v[0:1], v[0:1], v[10:11], -v[12:13]
	v_fma_f64 v[2:3], v[2:3], v[10:11], v[4:5]
	buffer_store_dword v0, off, s[0:3], 0 offset:160
	buffer_store_dword v1, off, s[0:3], 0 offset:164
	;; [unrolled: 1-line block ×4, first 2 shown]
.LBB122_274:                            ; =>This Inner Loop Header: Depth=1
	buffer_load_dword v4, off, s[0:3], 0 offset:168
	buffer_load_dword v5, off, s[0:3], 0 offset:172
	;; [unrolled: 1-line block ×4, first 2 shown]
	v_mov_b32_e32 v32, s16
	buffer_load_dword v22, v32, s[0:3], 0 offen
	buffer_load_dword v23, v32, s[0:3], 0 offen offset:4
	buffer_load_dword v24, v32, s[0:3], 0 offen offset:8
	buffer_load_dword v25, v32, s[0:3], 0 offen offset:12
	v_add_u32_e32 v33, s16, v16
	ds_read2_b64 v[0:3], v33 offset1:1
	buffer_load_dword v26, v32, s[0:3], 0 offen offset:16
	buffer_load_dword v27, v32, s[0:3], 0 offen offset:20
	;; [unrolled: 1-line block ×4, first 2 shown]
	ds_read2_b64 v[10:13], v33 offset0:2 offset1:3
	s_add_i32 s16, s16, 48
	s_cmpk_lg_i32 s16, 0x3e0
	s_waitcnt vmcnt(10) lgkmcnt(1)
	v_mul_f64 v[30:31], v[2:3], v[4:5]
	v_mul_f64 v[4:5], v[0:1], v[4:5]
	s_waitcnt vmcnt(8)
	v_fma_f64 v[0:1], v[0:1], v[20:21], -v[30:31]
	v_fma_f64 v[2:3], v[2:3], v[20:21], v[4:5]
	s_waitcnt vmcnt(6)
	v_add_f64 v[0:1], v[22:23], -v[0:1]
	s_waitcnt vmcnt(4)
	v_add_f64 v[2:3], v[24:25], -v[2:3]
	buffer_store_dword v1, v32, s[0:3], 0 offen offset:4
	buffer_store_dword v0, v32, s[0:3], 0 offen
	buffer_store_dword v3, v32, s[0:3], 0 offen offset:12
	buffer_store_dword v2, v32, s[0:3], 0 offen offset:8
	buffer_load_dword v1, off, s[0:3], 0 offset:172
	s_nop 0
	buffer_load_dword v0, off, s[0:3], 0 offset:168
	buffer_load_dword v3, off, s[0:3], 0 offset:164
	buffer_load_dword v2, off, s[0:3], 0 offset:160
	buffer_load_dword v4, v32, s[0:3], 0 offen offset:32
	buffer_load_dword v5, v32, s[0:3], 0 offen offset:36
	;; [unrolled: 1-line block ×4, first 2 shown]
	s_waitcnt vmcnt(6) lgkmcnt(0)
	v_mul_f64 v[22:23], v[12:13], v[0:1]
	v_mul_f64 v[0:1], v[10:11], v[0:1]
	s_waitcnt vmcnt(4)
	v_fma_f64 v[10:11], v[10:11], v[2:3], -v[22:23]
	v_fma_f64 v[0:1], v[12:13], v[2:3], v[0:1]
	v_add_f64 v[2:3], v[26:27], -v[10:11]
	v_add_f64 v[0:1], v[28:29], -v[0:1]
	buffer_store_dword v3, v32, s[0:3], 0 offen offset:20
	buffer_store_dword v2, v32, s[0:3], 0 offen offset:16
	buffer_store_dword v1, v32, s[0:3], 0 offen offset:28
	buffer_store_dword v0, v32, s[0:3], 0 offen offset:24
	buffer_load_dword v10, off, s[0:3], 0 offset:168
	buffer_load_dword v11, off, s[0:3], 0 offset:172
	;; [unrolled: 1-line block ×4, first 2 shown]
	ds_read2_b64 v[0:3], v33 offset0:4 offset1:5
	s_waitcnt vmcnt(2) lgkmcnt(0)
	v_mul_f64 v[22:23], v[2:3], v[10:11]
	v_mul_f64 v[10:11], v[0:1], v[10:11]
	s_waitcnt vmcnt(0)
	v_fma_f64 v[0:1], v[0:1], v[12:13], -v[22:23]
	v_fma_f64 v[2:3], v[2:3], v[12:13], v[10:11]
	v_add_f64 v[0:1], v[4:5], -v[0:1]
	v_add_f64 v[2:3], v[20:21], -v[2:3]
	buffer_store_dword v1, v32, s[0:3], 0 offen offset:36
	buffer_store_dword v0, v32, s[0:3], 0 offen offset:32
	;; [unrolled: 1-line block ×4, first 2 shown]
	s_cbranch_scc1 .LBB122_274
.LBB122_275:
	s_or_b64 exec, exec, s[4:5]
	v_mov_b32_e32 v3, s76
	s_waitcnt vmcnt(0)
	s_barrier
	buffer_load_dword v0, v3, s[0:3], 0 offen
	buffer_load_dword v1, v3, s[0:3], 0 offen offset:4
	buffer_load_dword v2, v3, s[0:3], 0 offen offset:8
	s_nop 0
	buffer_load_dword v3, v3, s[0:3], 0 offen offset:12
	v_lshl_add_u32 v4, v19, 4, v16
	s_cmp_lt_i32 s65, 13
	s_waitcnt vmcnt(0)
	ds_write2_b64 v4, v[0:1], v[2:3] offset1:1
	s_waitcnt lgkmcnt(0)
	s_barrier
	ds_read2_b64 v[0:3], v16 offset0:22 offset1:23
	v_mov_b32_e32 v4, 11
	s_cbranch_scc1 .LBB122_278
; %bb.276:
	v_add_u32_e32 v5, 0xc0, v16
	s_mov_b32 s16, 12
	v_mov_b32_e32 v4, 11
.LBB122_277:                            ; =>This Inner Loop Header: Depth=1
	s_waitcnt lgkmcnt(0)
	v_cmp_gt_f64_e32 vcc, 0, v[2:3]
	v_cmp_gt_f64_e64 s[4:5], 0, v[0:1]
	ds_read2_b64 v[10:13], v5 offset1:1
	v_xor_b32_e32 v21, 0x80000000, v1
	v_xor_b32_e32 v23, 0x80000000, v3
	v_mov_b32_e32 v20, v0
	v_mov_b32_e32 v22, v2
	s_waitcnt lgkmcnt(0)
	v_xor_b32_e32 v25, 0x80000000, v13
	v_cndmask_b32_e32 v23, v3, v23, vcc
	v_cndmask_b32_e64 v21, v1, v21, s[4:5]
	v_cmp_gt_f64_e32 vcc, 0, v[12:13]
	v_cmp_gt_f64_e64 s[4:5], 0, v[10:11]
	v_add_f64 v[20:21], v[20:21], v[22:23]
	v_xor_b32_e32 v23, 0x80000000, v11
	v_mov_b32_e32 v22, v10
	v_mov_b32_e32 v24, v12
	v_add_u32_e32 v5, 16, v5
	v_cndmask_b32_e32 v25, v13, v25, vcc
	v_cndmask_b32_e64 v23, v11, v23, s[4:5]
	v_add_f64 v[22:23], v[22:23], v[24:25]
	v_mov_b32_e32 v24, s16
	s_add_i32 s16, s16, 1
	s_cmp_lg_u32 s65, s16
	v_cmp_lt_f64_e32 vcc, v[20:21], v[22:23]
	v_cndmask_b32_e32 v1, v1, v11, vcc
	v_cndmask_b32_e32 v0, v0, v10, vcc
	;; [unrolled: 1-line block ×5, first 2 shown]
	s_cbranch_scc1 .LBB122_277
.LBB122_278:
	s_waitcnt lgkmcnt(0)
	v_cmp_eq_f64_e32 vcc, 0, v[0:1]
	v_cmp_eq_f64_e64 s[4:5], 0, v[2:3]
	s_and_b64 s[4:5], vcc, s[4:5]
	s_and_saveexec_b64 s[16:17], s[4:5]
	s_xor_b64 s[4:5], exec, s[16:17]
; %bb.279:
	v_cmp_ne_u32_e32 vcc, 0, v17
	v_cndmask_b32_e32 v17, 12, v17, vcc
; %bb.280:
	s_andn2_saveexec_b64 s[4:5], s[4:5]
	s_cbranch_execz .LBB122_286
; %bb.281:
	v_cmp_ngt_f64_e64 s[16:17], |v[0:1]|, |v[2:3]|
	s_and_saveexec_b64 s[18:19], s[16:17]
	s_xor_b64 s[18:19], exec, s[18:19]
	s_cbranch_execz .LBB122_283
; %bb.282:
	v_div_scale_f64 v[10:11], s[16:17], v[2:3], v[2:3], v[0:1]
	v_rcp_f64_e32 v[12:13], v[10:11]
	v_fma_f64 v[20:21], -v[10:11], v[12:13], 1.0
	v_fma_f64 v[12:13], v[12:13], v[20:21], v[12:13]
	v_div_scale_f64 v[20:21], vcc, v[0:1], v[2:3], v[0:1]
	v_fma_f64 v[22:23], -v[10:11], v[12:13], 1.0
	v_fma_f64 v[12:13], v[12:13], v[22:23], v[12:13]
	v_mul_f64 v[22:23], v[20:21], v[12:13]
	v_fma_f64 v[10:11], -v[10:11], v[22:23], v[20:21]
	v_div_fmas_f64 v[10:11], v[10:11], v[12:13], v[22:23]
	v_div_fixup_f64 v[10:11], v[10:11], v[2:3], v[0:1]
	v_fma_f64 v[0:1], v[0:1], v[10:11], v[2:3]
	v_div_scale_f64 v[2:3], s[16:17], v[0:1], v[0:1], 1.0
	v_div_scale_f64 v[22:23], vcc, 1.0, v[0:1], 1.0
	v_rcp_f64_e32 v[12:13], v[2:3]
	v_fma_f64 v[20:21], -v[2:3], v[12:13], 1.0
	v_fma_f64 v[12:13], v[12:13], v[20:21], v[12:13]
	v_fma_f64 v[20:21], -v[2:3], v[12:13], 1.0
	v_fma_f64 v[12:13], v[12:13], v[20:21], v[12:13]
	v_mul_f64 v[20:21], v[22:23], v[12:13]
	v_fma_f64 v[2:3], -v[2:3], v[20:21], v[22:23]
	v_div_fmas_f64 v[2:3], v[2:3], v[12:13], v[20:21]
	v_div_fixup_f64 v[2:3], v[2:3], v[0:1], 1.0
	v_mul_f64 v[0:1], v[10:11], v[2:3]
	v_xor_b32_e32 v3, 0x80000000, v3
.LBB122_283:
	s_andn2_saveexec_b64 s[18:19], s[18:19]
	s_cbranch_execz .LBB122_285
; %bb.284:
	v_div_scale_f64 v[10:11], s[16:17], v[0:1], v[0:1], v[2:3]
	v_rcp_f64_e32 v[12:13], v[10:11]
	v_fma_f64 v[20:21], -v[10:11], v[12:13], 1.0
	v_fma_f64 v[12:13], v[12:13], v[20:21], v[12:13]
	v_div_scale_f64 v[20:21], vcc, v[2:3], v[0:1], v[2:3]
	v_fma_f64 v[22:23], -v[10:11], v[12:13], 1.0
	v_fma_f64 v[12:13], v[12:13], v[22:23], v[12:13]
	v_mul_f64 v[22:23], v[20:21], v[12:13]
	v_fma_f64 v[10:11], -v[10:11], v[22:23], v[20:21]
	v_div_fmas_f64 v[10:11], v[10:11], v[12:13], v[22:23]
	v_div_fixup_f64 v[10:11], v[10:11], v[0:1], v[2:3]
	v_fma_f64 v[0:1], v[2:3], v[10:11], v[0:1]
	v_div_scale_f64 v[2:3], s[16:17], v[0:1], v[0:1], 1.0
	v_div_scale_f64 v[22:23], vcc, 1.0, v[0:1], 1.0
	v_rcp_f64_e32 v[12:13], v[2:3]
	v_fma_f64 v[20:21], -v[2:3], v[12:13], 1.0
	v_fma_f64 v[12:13], v[12:13], v[20:21], v[12:13]
	v_fma_f64 v[20:21], -v[2:3], v[12:13], 1.0
	v_fma_f64 v[12:13], v[12:13], v[20:21], v[12:13]
	v_mul_f64 v[20:21], v[22:23], v[12:13]
	v_fma_f64 v[2:3], -v[2:3], v[20:21], v[22:23]
	v_div_fmas_f64 v[2:3], v[2:3], v[12:13], v[20:21]
	v_div_fixup_f64 v[0:1], v[2:3], v[0:1], 1.0
	v_mul_f64 v[2:3], v[10:11], -v[0:1]
.LBB122_285:
	s_or_b64 exec, exec, s[18:19]
.LBB122_286:
	s_or_b64 exec, exec, s[4:5]
	v_cmp_ne_u32_e32 vcc, v19, v4
	s_and_saveexec_b64 s[4:5], vcc
	s_xor_b64 s[4:5], exec, s[4:5]
	s_cbranch_execz .LBB122_292
; %bb.287:
	v_cmp_eq_u32_e32 vcc, 11, v19
	s_and_saveexec_b64 s[18:19], vcc
	s_cbranch_execz .LBB122_291
; %bb.288:
	v_cmp_ne_u32_e32 vcc, 11, v4
	s_xor_b64 s[16:17], s[22:23], -1
	s_and_b64 s[16:17], s[16:17], vcc
	s_and_saveexec_b64 s[24:25], s[16:17]
	s_cbranch_execz .LBB122_290
; %bb.289:
	v_ashrrev_i32_e32 v5, 31, v4
	v_lshlrev_b64 v[10:11], 2, v[4:5]
	v_add_co_u32_e32 v10, vcc, v8, v10
	v_addc_co_u32_e32 v11, vcc, v9, v11, vcc
	global_load_dword v5, v[10:11], off
	global_load_dword v12, v[8:9], off offset:44
	s_waitcnt vmcnt(1)
	global_store_dword v[8:9], v5, off offset:44
	s_waitcnt vmcnt(1)
	global_store_dword v[10:11], v12, off
.LBB122_290:
	s_or_b64 exec, exec, s[24:25]
	v_mov_b32_e32 v19, v4
	v_mov_b32_e32 v18, v4
.LBB122_291:
	s_or_b64 exec, exec, s[18:19]
.LBB122_292:
	s_andn2_saveexec_b64 s[4:5], s[4:5]
	s_cbranch_execz .LBB122_296
; %bb.293:
	s_movk_i32 s16, 0xc0
.LBB122_294:                            ; =>This Inner Loop Header: Depth=1
	v_mov_b32_e32 v52, s16
	buffer_load_dword v4, v52, s[0:3], 0 offen
	buffer_load_dword v5, v52, s[0:3], 0 offen offset:4
	buffer_load_dword v10, v52, s[0:3], 0 offen offset:8
	;; [unrolled: 1-line block ×38, first 2 shown]
	s_nop 0
	buffer_load_dword v52, v52, s[0:3], 0 offen offset:156
	v_add_u32_e32 v53, s16, v16
	s_addk_i32 s16, 0xa0
	s_cmpk_eq_i32 s16, 0x3e0
	s_waitcnt vmcnt(36)
	ds_write2_b64 v53, v[4:5], v[10:11] offset1:1
	s_waitcnt vmcnt(32)
	ds_write2_b64 v53, v[12:13], v[19:20] offset0:2 offset1:3
	s_waitcnt vmcnt(28)
	ds_write2_b64 v53, v[21:22], v[23:24] offset0:4 offset1:5
	;; [unrolled: 2-line block ×4, first 2 shown]
	ds_write2_b64 v53, v[33:34], v[31:32] offset0:10 offset1:11
	s_waitcnt vmcnt(8)
	ds_write2_b64 v53, v[43:44], v[37:38] offset0:12 offset1:13
	ds_write2_b64 v53, v[41:42], v[39:40] offset0:14 offset1:15
	s_waitcnt vmcnt(4)
	ds_write2_b64 v53, v[45:46], v[47:48] offset0:16 offset1:17
	s_waitcnt vmcnt(0)
	ds_write2_b64 v53, v[49:50], v[51:52] offset0:18 offset1:19
	s_cbranch_scc0 .LBB122_294
; %bb.295:
	v_mov_b32_e32 v19, 11
.LBB122_296:
	s_or_b64 exec, exec, s[4:5]
	v_cmp_lt_i32_e32 vcc, 11, v19
	s_waitcnt vmcnt(0) lgkmcnt(0)
	s_barrier
	s_and_saveexec_b64 s[4:5], vcc
	s_cbranch_execz .LBB122_299
; %bb.297:
	buffer_load_dword v4, off, s[0:3], 0 offset:184
	buffer_load_dword v5, off, s[0:3], 0 offset:188
	buffer_load_dword v10, off, s[0:3], 0 offset:176
	buffer_load_dword v11, off, s[0:3], 0 offset:180
	s_movk_i32 s18, 0xc0
	s_waitcnt vmcnt(2)
	v_mul_f64 v[12:13], v[2:3], v[4:5]
	v_mul_f64 v[4:5], v[0:1], v[4:5]
	s_waitcnt vmcnt(0)
	v_fma_f64 v[0:1], v[0:1], v[10:11], -v[12:13]
	v_fma_f64 v[2:3], v[2:3], v[10:11], v[4:5]
	buffer_store_dword v0, off, s[0:3], 0 offset:176
	buffer_store_dword v1, off, s[0:3], 0 offset:180
	;; [unrolled: 1-line block ×4, first 2 shown]
.LBB122_298:                            ; =>This Inner Loop Header: Depth=1
	buffer_load_dword v4, off, s[0:3], 0 offset:184
	buffer_load_dword v5, off, s[0:3], 0 offset:188
	;; [unrolled: 1-line block ×4, first 2 shown]
	v_mov_b32_e32 v32, s18
	buffer_load_dword v22, v32, s[0:3], 0 offen
	buffer_load_dword v23, v32, s[0:3], 0 offen offset:4
	buffer_load_dword v24, v32, s[0:3], 0 offen offset:8
	;; [unrolled: 1-line block ×3, first 2 shown]
	v_add_u32_e32 v33, s18, v16
	ds_read2_b64 v[0:3], v33 offset1:1
	buffer_load_dword v26, v32, s[0:3], 0 offen offset:16
	buffer_load_dword v27, v32, s[0:3], 0 offen offset:20
	;; [unrolled: 1-line block ×4, first 2 shown]
	ds_read2_b64 v[10:13], v33 offset0:2 offset1:3
	s_addk_i32 s18, 0x50
	s_cmpk_lg_i32 s18, 0x3e0
	s_waitcnt vmcnt(10) lgkmcnt(1)
	v_mul_f64 v[30:31], v[2:3], v[4:5]
	v_mul_f64 v[4:5], v[0:1], v[4:5]
	s_waitcnt vmcnt(8)
	v_fma_f64 v[0:1], v[0:1], v[20:21], -v[30:31]
	v_fma_f64 v[2:3], v[2:3], v[20:21], v[4:5]
	s_waitcnt vmcnt(6)
	v_add_f64 v[0:1], v[22:23], -v[0:1]
	s_waitcnt vmcnt(4)
	v_add_f64 v[2:3], v[24:25], -v[2:3]
	buffer_store_dword v1, v32, s[0:3], 0 offen offset:4
	buffer_store_dword v0, v32, s[0:3], 0 offen
	buffer_store_dword v3, v32, s[0:3], 0 offen offset:12
	buffer_store_dword v2, v32, s[0:3], 0 offen offset:8
	buffer_load_dword v1, off, s[0:3], 0 offset:188
	s_nop 0
	buffer_load_dword v0, off, s[0:3], 0 offset:184
	buffer_load_dword v3, off, s[0:3], 0 offset:180
	;; [unrolled: 1-line block ×3, first 2 shown]
	buffer_load_dword v4, v32, s[0:3], 0 offen offset:32
	buffer_load_dword v5, v32, s[0:3], 0 offen offset:36
	buffer_load_dword v20, v32, s[0:3], 0 offen offset:40
	buffer_load_dword v21, v32, s[0:3], 0 offen offset:44
	s_waitcnt vmcnt(6) lgkmcnt(0)
	v_mul_f64 v[22:23], v[12:13], v[0:1]
	v_mul_f64 v[0:1], v[10:11], v[0:1]
	s_waitcnt vmcnt(4)
	v_fma_f64 v[10:11], v[10:11], v[2:3], -v[22:23]
	v_fma_f64 v[0:1], v[12:13], v[2:3], v[0:1]
	v_add_f64 v[2:3], v[26:27], -v[10:11]
	v_add_f64 v[0:1], v[28:29], -v[0:1]
	buffer_store_dword v3, v32, s[0:3], 0 offen offset:20
	buffer_store_dword v2, v32, s[0:3], 0 offen offset:16
	;; [unrolled: 1-line block ×4, first 2 shown]
	buffer_load_dword v22, off, s[0:3], 0 offset:184
	buffer_load_dword v23, off, s[0:3], 0 offset:188
	;; [unrolled: 1-line block ×4, first 2 shown]
	ds_read2_b64 v[0:3], v33 offset0:4 offset1:5
	ds_read2_b64 v[10:13], v33 offset0:6 offset1:7
	s_waitcnt vmcnt(2) lgkmcnt(1)
	v_mul_f64 v[26:27], v[2:3], v[22:23]
	v_mul_f64 v[22:23], v[0:1], v[22:23]
	s_waitcnt vmcnt(0)
	v_fma_f64 v[0:1], v[0:1], v[24:25], -v[26:27]
	v_fma_f64 v[2:3], v[2:3], v[24:25], v[22:23]
	v_add_f64 v[0:1], v[4:5], -v[0:1]
	v_add_f64 v[2:3], v[20:21], -v[2:3]
	buffer_store_dword v1, v32, s[0:3], 0 offen offset:36
	buffer_store_dword v0, v32, s[0:3], 0 offen offset:32
	;; [unrolled: 1-line block ×4, first 2 shown]
	buffer_load_dword v0, off, s[0:3], 0 offset:184
	s_nop 0
	buffer_load_dword v1, off, s[0:3], 0 offset:188
	buffer_load_dword v2, off, s[0:3], 0 offset:176
	;; [unrolled: 1-line block ×3, first 2 shown]
	buffer_load_dword v4, v32, s[0:3], 0 offen offset:48
	buffer_load_dword v5, v32, s[0:3], 0 offen offset:52
	;; [unrolled: 1-line block ×4, first 2 shown]
	s_waitcnt vmcnt(6) lgkmcnt(0)
	v_mul_f64 v[22:23], v[12:13], v[0:1]
	v_mul_f64 v[0:1], v[10:11], v[0:1]
	s_waitcnt vmcnt(4)
	v_fma_f64 v[10:11], v[10:11], v[2:3], -v[22:23]
	v_fma_f64 v[0:1], v[12:13], v[2:3], v[0:1]
	s_waitcnt vmcnt(2)
	v_add_f64 v[2:3], v[4:5], -v[10:11]
	s_waitcnt vmcnt(0)
	v_add_f64 v[0:1], v[20:21], -v[0:1]
	buffer_store_dword v3, v32, s[0:3], 0 offen offset:52
	buffer_store_dword v2, v32, s[0:3], 0 offen offset:48
	;; [unrolled: 1-line block ×4, first 2 shown]
	buffer_load_dword v4, off, s[0:3], 0 offset:184
	buffer_load_dword v5, off, s[0:3], 0 offset:188
	;; [unrolled: 1-line block ×4, first 2 shown]
	buffer_load_dword v12, v32, s[0:3], 0 offen offset:64
	buffer_load_dword v13, v32, s[0:3], 0 offen offset:68
	;; [unrolled: 1-line block ×4, first 2 shown]
	ds_read2_b64 v[0:3], v33 offset0:8 offset1:9
	s_waitcnt vmcnt(6) lgkmcnt(0)
	v_mul_f64 v[22:23], v[2:3], v[4:5]
	v_mul_f64 v[4:5], v[0:1], v[4:5]
	s_waitcnt vmcnt(4)
	v_fma_f64 v[0:1], v[0:1], v[10:11], -v[22:23]
	v_fma_f64 v[2:3], v[2:3], v[10:11], v[4:5]
	s_waitcnt vmcnt(2)
	v_add_f64 v[0:1], v[12:13], -v[0:1]
	s_waitcnt vmcnt(0)
	v_add_f64 v[2:3], v[20:21], -v[2:3]
	buffer_store_dword v1, v32, s[0:3], 0 offen offset:68
	buffer_store_dword v0, v32, s[0:3], 0 offen offset:64
	;; [unrolled: 1-line block ×4, first 2 shown]
	s_cbranch_scc1 .LBB122_298
.LBB122_299:
	s_or_b64 exec, exec, s[4:5]
	v_mov_b32_e32 v3, s75
	s_waitcnt vmcnt(0)
	s_barrier
	buffer_load_dword v0, v3, s[0:3], 0 offen
	buffer_load_dword v1, v3, s[0:3], 0 offen offset:4
	buffer_load_dword v2, v3, s[0:3], 0 offen offset:8
	s_nop 0
	buffer_load_dword v3, v3, s[0:3], 0 offen offset:12
	v_lshl_add_u32 v4, v19, 4, v16
	s_cmp_lt_i32 s65, 14
	s_waitcnt vmcnt(0)
	ds_write2_b64 v4, v[0:1], v[2:3] offset1:1
	s_waitcnt lgkmcnt(0)
	s_barrier
	ds_read2_b64 v[0:3], v16 offset0:24 offset1:25
	v_mov_b32_e32 v4, 12
	s_cbranch_scc1 .LBB122_302
; %bb.300:
	v_add_u32_e32 v5, 0xd0, v16
	s_mov_b32 s16, 13
	v_mov_b32_e32 v4, 12
.LBB122_301:                            ; =>This Inner Loop Header: Depth=1
	s_waitcnt lgkmcnt(0)
	v_cmp_gt_f64_e32 vcc, 0, v[2:3]
	v_cmp_gt_f64_e64 s[4:5], 0, v[0:1]
	ds_read2_b64 v[10:13], v5 offset1:1
	v_xor_b32_e32 v21, 0x80000000, v1
	v_xor_b32_e32 v23, 0x80000000, v3
	v_mov_b32_e32 v20, v0
	v_mov_b32_e32 v22, v2
	s_waitcnt lgkmcnt(0)
	v_xor_b32_e32 v25, 0x80000000, v13
	v_cndmask_b32_e32 v23, v3, v23, vcc
	v_cndmask_b32_e64 v21, v1, v21, s[4:5]
	v_cmp_gt_f64_e32 vcc, 0, v[12:13]
	v_cmp_gt_f64_e64 s[4:5], 0, v[10:11]
	v_add_f64 v[20:21], v[20:21], v[22:23]
	v_xor_b32_e32 v23, 0x80000000, v11
	v_mov_b32_e32 v22, v10
	v_mov_b32_e32 v24, v12
	v_add_u32_e32 v5, 16, v5
	v_cndmask_b32_e32 v25, v13, v25, vcc
	v_cndmask_b32_e64 v23, v11, v23, s[4:5]
	v_add_f64 v[22:23], v[22:23], v[24:25]
	v_mov_b32_e32 v24, s16
	s_add_i32 s16, s16, 1
	s_cmp_lg_u32 s65, s16
	v_cmp_lt_f64_e32 vcc, v[20:21], v[22:23]
	v_cndmask_b32_e32 v1, v1, v11, vcc
	v_cndmask_b32_e32 v0, v0, v10, vcc
	;; [unrolled: 1-line block ×5, first 2 shown]
	s_cbranch_scc1 .LBB122_301
.LBB122_302:
	s_waitcnt lgkmcnt(0)
	v_cmp_eq_f64_e32 vcc, 0, v[0:1]
	v_cmp_eq_f64_e64 s[4:5], 0, v[2:3]
	s_and_b64 s[4:5], vcc, s[4:5]
	s_and_saveexec_b64 s[16:17], s[4:5]
	s_xor_b64 s[4:5], exec, s[16:17]
; %bb.303:
	v_cmp_ne_u32_e32 vcc, 0, v17
	v_cndmask_b32_e32 v17, 13, v17, vcc
; %bb.304:
	s_andn2_saveexec_b64 s[4:5], s[4:5]
	s_cbranch_execz .LBB122_310
; %bb.305:
	v_cmp_ngt_f64_e64 s[16:17], |v[0:1]|, |v[2:3]|
	s_and_saveexec_b64 s[18:19], s[16:17]
	s_xor_b64 s[18:19], exec, s[18:19]
	s_cbranch_execz .LBB122_307
; %bb.306:
	v_div_scale_f64 v[10:11], s[16:17], v[2:3], v[2:3], v[0:1]
	v_rcp_f64_e32 v[12:13], v[10:11]
	v_fma_f64 v[20:21], -v[10:11], v[12:13], 1.0
	v_fma_f64 v[12:13], v[12:13], v[20:21], v[12:13]
	v_div_scale_f64 v[20:21], vcc, v[0:1], v[2:3], v[0:1]
	v_fma_f64 v[22:23], -v[10:11], v[12:13], 1.0
	v_fma_f64 v[12:13], v[12:13], v[22:23], v[12:13]
	v_mul_f64 v[22:23], v[20:21], v[12:13]
	v_fma_f64 v[10:11], -v[10:11], v[22:23], v[20:21]
	v_div_fmas_f64 v[10:11], v[10:11], v[12:13], v[22:23]
	v_div_fixup_f64 v[10:11], v[10:11], v[2:3], v[0:1]
	v_fma_f64 v[0:1], v[0:1], v[10:11], v[2:3]
	v_div_scale_f64 v[2:3], s[16:17], v[0:1], v[0:1], 1.0
	v_div_scale_f64 v[22:23], vcc, 1.0, v[0:1], 1.0
	v_rcp_f64_e32 v[12:13], v[2:3]
	v_fma_f64 v[20:21], -v[2:3], v[12:13], 1.0
	v_fma_f64 v[12:13], v[12:13], v[20:21], v[12:13]
	v_fma_f64 v[20:21], -v[2:3], v[12:13], 1.0
	v_fma_f64 v[12:13], v[12:13], v[20:21], v[12:13]
	v_mul_f64 v[20:21], v[22:23], v[12:13]
	v_fma_f64 v[2:3], -v[2:3], v[20:21], v[22:23]
	v_div_fmas_f64 v[2:3], v[2:3], v[12:13], v[20:21]
	v_div_fixup_f64 v[2:3], v[2:3], v[0:1], 1.0
	v_mul_f64 v[0:1], v[10:11], v[2:3]
	v_xor_b32_e32 v3, 0x80000000, v3
.LBB122_307:
	s_andn2_saveexec_b64 s[18:19], s[18:19]
	s_cbranch_execz .LBB122_309
; %bb.308:
	v_div_scale_f64 v[10:11], s[16:17], v[0:1], v[0:1], v[2:3]
	v_rcp_f64_e32 v[12:13], v[10:11]
	v_fma_f64 v[20:21], -v[10:11], v[12:13], 1.0
	v_fma_f64 v[12:13], v[12:13], v[20:21], v[12:13]
	v_div_scale_f64 v[20:21], vcc, v[2:3], v[0:1], v[2:3]
	v_fma_f64 v[22:23], -v[10:11], v[12:13], 1.0
	v_fma_f64 v[12:13], v[12:13], v[22:23], v[12:13]
	v_mul_f64 v[22:23], v[20:21], v[12:13]
	v_fma_f64 v[10:11], -v[10:11], v[22:23], v[20:21]
	v_div_fmas_f64 v[10:11], v[10:11], v[12:13], v[22:23]
	v_div_fixup_f64 v[10:11], v[10:11], v[0:1], v[2:3]
	v_fma_f64 v[0:1], v[2:3], v[10:11], v[0:1]
	v_div_scale_f64 v[2:3], s[16:17], v[0:1], v[0:1], 1.0
	v_div_scale_f64 v[22:23], vcc, 1.0, v[0:1], 1.0
	v_rcp_f64_e32 v[12:13], v[2:3]
	v_fma_f64 v[20:21], -v[2:3], v[12:13], 1.0
	v_fma_f64 v[12:13], v[12:13], v[20:21], v[12:13]
	v_fma_f64 v[20:21], -v[2:3], v[12:13], 1.0
	v_fma_f64 v[12:13], v[12:13], v[20:21], v[12:13]
	v_mul_f64 v[20:21], v[22:23], v[12:13]
	v_fma_f64 v[2:3], -v[2:3], v[20:21], v[22:23]
	v_div_fmas_f64 v[2:3], v[2:3], v[12:13], v[20:21]
	v_div_fixup_f64 v[0:1], v[2:3], v[0:1], 1.0
	v_mul_f64 v[2:3], v[10:11], -v[0:1]
.LBB122_309:
	s_or_b64 exec, exec, s[18:19]
.LBB122_310:
	s_or_b64 exec, exec, s[4:5]
	v_cmp_ne_u32_e32 vcc, v19, v4
	s_and_saveexec_b64 s[4:5], vcc
	s_xor_b64 s[4:5], exec, s[4:5]
	s_cbranch_execz .LBB122_316
; %bb.311:
	v_cmp_eq_u32_e32 vcc, 12, v19
	s_and_saveexec_b64 s[18:19], vcc
	s_cbranch_execz .LBB122_315
; %bb.312:
	v_cmp_ne_u32_e32 vcc, 12, v4
	s_xor_b64 s[16:17], s[22:23], -1
	s_and_b64 s[16:17], s[16:17], vcc
	s_and_saveexec_b64 s[24:25], s[16:17]
	s_cbranch_execz .LBB122_314
; %bb.313:
	v_ashrrev_i32_e32 v5, 31, v4
	v_lshlrev_b64 v[10:11], 2, v[4:5]
	v_add_co_u32_e32 v10, vcc, v8, v10
	v_addc_co_u32_e32 v11, vcc, v9, v11, vcc
	global_load_dword v5, v[10:11], off
	global_load_dword v12, v[8:9], off offset:48
	s_waitcnt vmcnt(1)
	global_store_dword v[8:9], v5, off offset:48
	s_waitcnt vmcnt(1)
	global_store_dword v[10:11], v12, off
.LBB122_314:
	s_or_b64 exec, exec, s[24:25]
	v_mov_b32_e32 v19, v4
	v_mov_b32_e32 v18, v4
.LBB122_315:
	s_or_b64 exec, exec, s[18:19]
.LBB122_316:
	s_andn2_saveexec_b64 s[4:5], s[4:5]
	s_cbranch_execz .LBB122_320
; %bb.317:
	s_movk_i32 s16, 0xd0
.LBB122_318:                            ; =>This Inner Loop Header: Depth=1
	v_mov_b32_e32 v39, s16
	buffer_load_dword v4, v39, s[0:3], 0 offen
	buffer_load_dword v5, v39, s[0:3], 0 offen offset:4
	buffer_load_dword v10, v39, s[0:3], 0 offen offset:8
	;; [unrolled: 1-line block ×26, first 2 shown]
	s_nop 0
	buffer_load_dword v39, v39, s[0:3], 0 offen offset:96
	v_add_u32_e32 v41, s16, v16
	s_addk_i32 s16, 0x70
	s_cmpk_eq_i32 s16, 0x3e0
	s_waitcnt vmcnt(24)
	ds_write2_b64 v41, v[4:5], v[10:11] offset1:1
	s_waitcnt vmcnt(20)
	ds_write2_b64 v41, v[12:13], v[19:20] offset0:2 offset1:3
	s_waitcnt vmcnt(16)
	ds_write2_b64 v41, v[21:22], v[23:24] offset0:4 offset1:5
	;; [unrolled: 2-line block ×4, first 2 shown]
	ds_write2_b64 v41, v[33:34], v[31:32] offset0:10 offset1:11
	s_waitcnt vmcnt(0)
	ds_write2_b64 v41, v[39:40], v[37:38] offset0:12 offset1:13
	s_cbranch_scc0 .LBB122_318
; %bb.319:
	v_mov_b32_e32 v19, 12
.LBB122_320:
	s_or_b64 exec, exec, s[4:5]
	v_cmp_lt_i32_e32 vcc, 12, v19
	s_waitcnt vmcnt(0) lgkmcnt(0)
	s_barrier
	s_and_saveexec_b64 s[4:5], vcc
	s_cbranch_execz .LBB122_323
; %bb.321:
	buffer_load_dword v4, off, s[0:3], 0 offset:200
	buffer_load_dword v5, off, s[0:3], 0 offset:204
	;; [unrolled: 1-line block ×4, first 2 shown]
	s_movk_i32 s18, 0xd0
	s_waitcnt vmcnt(2)
	v_mul_f64 v[12:13], v[2:3], v[4:5]
	v_mul_f64 v[4:5], v[0:1], v[4:5]
	s_waitcnt vmcnt(0)
	v_fma_f64 v[0:1], v[0:1], v[10:11], -v[12:13]
	v_fma_f64 v[2:3], v[2:3], v[10:11], v[4:5]
	buffer_store_dword v0, off, s[0:3], 0 offset:192
	buffer_store_dword v1, off, s[0:3], 0 offset:196
	;; [unrolled: 1-line block ×4, first 2 shown]
.LBB122_322:                            ; =>This Inner Loop Header: Depth=1
	buffer_load_dword v20, off, s[0:3], 0 offset:200
	buffer_load_dword v21, off, s[0:3], 0 offset:204
	;; [unrolled: 1-line block ×4, first 2 shown]
	v_mov_b32_e32 v0, s18
	buffer_load_dword v24, v0, s[0:3], 0 offen
	buffer_load_dword v25, v0, s[0:3], 0 offen offset:4
	buffer_load_dword v26, v0, s[0:3], 0 offen offset:8
	;; [unrolled: 1-line block ×3, first 2 shown]
	v_add_u32_e32 v5, s18, v16
	ds_read2_b64 v[1:4], v5 offset1:1
	buffer_load_dword v28, v0, s[0:3], 0 offen offset:16
	buffer_load_dword v29, v0, s[0:3], 0 offen offset:20
	;; [unrolled: 1-line block ×4, first 2 shown]
	ds_read2_b64 v[10:13], v5 offset0:2 offset1:3
	s_addk_i32 s18, 0x70
	s_cmpk_lg_i32 s18, 0x3e0
	s_waitcnt vmcnt(10) lgkmcnt(1)
	v_mul_f64 v[32:33], v[3:4], v[20:21]
	v_mul_f64 v[20:21], v[1:2], v[20:21]
	s_waitcnt vmcnt(8)
	v_fma_f64 v[1:2], v[1:2], v[22:23], -v[32:33]
	v_fma_f64 v[3:4], v[3:4], v[22:23], v[20:21]
	s_waitcnt vmcnt(6)
	v_add_f64 v[1:2], v[24:25], -v[1:2]
	s_waitcnt vmcnt(4)
	v_add_f64 v[3:4], v[26:27], -v[3:4]
	buffer_store_dword v2, v0, s[0:3], 0 offen offset:4
	buffer_store_dword v1, v0, s[0:3], 0 offen
	buffer_store_dword v4, v0, s[0:3], 0 offen offset:12
	buffer_store_dword v3, v0, s[0:3], 0 offen offset:8
	buffer_load_dword v2, off, s[0:3], 0 offset:204
	s_nop 0
	buffer_load_dword v1, off, s[0:3], 0 offset:200
	buffer_load_dword v4, off, s[0:3], 0 offset:196
	;; [unrolled: 1-line block ×3, first 2 shown]
	buffer_load_dword v20, v0, s[0:3], 0 offen offset:32
	buffer_load_dword v21, v0, s[0:3], 0 offen offset:36
	;; [unrolled: 1-line block ×4, first 2 shown]
	s_waitcnt vmcnt(6) lgkmcnt(0)
	v_mul_f64 v[24:25], v[12:13], v[1:2]
	v_mul_f64 v[1:2], v[10:11], v[1:2]
	s_waitcnt vmcnt(4)
	v_fma_f64 v[10:11], v[10:11], v[3:4], -v[24:25]
	v_fma_f64 v[1:2], v[12:13], v[3:4], v[1:2]
	v_add_f64 v[3:4], v[28:29], -v[10:11]
	v_add_f64 v[1:2], v[30:31], -v[1:2]
	buffer_store_dword v4, v0, s[0:3], 0 offen offset:20
	buffer_store_dword v3, v0, s[0:3], 0 offen offset:16
	;; [unrolled: 1-line block ×4, first 2 shown]
	buffer_load_dword v24, off, s[0:3], 0 offset:200
	buffer_load_dword v25, off, s[0:3], 0 offset:204
	;; [unrolled: 1-line block ×4, first 2 shown]
	ds_read2_b64 v[1:4], v5 offset0:4 offset1:5
	ds_read2_b64 v[10:13], v5 offset0:6 offset1:7
	s_waitcnt vmcnt(2) lgkmcnt(1)
	v_mul_f64 v[28:29], v[3:4], v[24:25]
	v_mul_f64 v[24:25], v[1:2], v[24:25]
	s_waitcnt vmcnt(0)
	v_fma_f64 v[1:2], v[1:2], v[26:27], -v[28:29]
	v_fma_f64 v[3:4], v[3:4], v[26:27], v[24:25]
	v_add_f64 v[1:2], v[20:21], -v[1:2]
	v_add_f64 v[3:4], v[22:23], -v[3:4]
	buffer_store_dword v2, v0, s[0:3], 0 offen offset:36
	buffer_store_dword v1, v0, s[0:3], 0 offen offset:32
	;; [unrolled: 1-line block ×4, first 2 shown]
	buffer_load_dword v1, off, s[0:3], 0 offset:200
	s_nop 0
	buffer_load_dword v2, off, s[0:3], 0 offset:204
	buffer_load_dword v3, off, s[0:3], 0 offset:192
	;; [unrolled: 1-line block ×3, first 2 shown]
	buffer_load_dword v20, v0, s[0:3], 0 offen offset:48
	buffer_load_dword v21, v0, s[0:3], 0 offen offset:52
	;; [unrolled: 1-line block ×4, first 2 shown]
	s_waitcnt vmcnt(6) lgkmcnt(0)
	v_mul_f64 v[24:25], v[12:13], v[1:2]
	v_mul_f64 v[1:2], v[10:11], v[1:2]
	s_waitcnt vmcnt(4)
	v_fma_f64 v[10:11], v[10:11], v[3:4], -v[24:25]
	v_fma_f64 v[1:2], v[12:13], v[3:4], v[1:2]
	s_waitcnt vmcnt(2)
	v_add_f64 v[3:4], v[20:21], -v[10:11]
	s_waitcnt vmcnt(0)
	v_add_f64 v[1:2], v[22:23], -v[1:2]
	buffer_store_dword v4, v0, s[0:3], 0 offen offset:52
	buffer_store_dword v3, v0, s[0:3], 0 offen offset:48
	;; [unrolled: 1-line block ×4, first 2 shown]
	buffer_load_dword v20, off, s[0:3], 0 offset:200
	buffer_load_dword v21, off, s[0:3], 0 offset:204
	;; [unrolled: 1-line block ×4, first 2 shown]
	buffer_load_dword v24, v0, s[0:3], 0 offen offset:64
	buffer_load_dword v25, v0, s[0:3], 0 offen offset:68
	;; [unrolled: 1-line block ×4, first 2 shown]
	ds_read2_b64 v[1:4], v5 offset0:8 offset1:9
	ds_read2_b64 v[10:13], v5 offset0:10 offset1:11
	s_waitcnt vmcnt(6) lgkmcnt(1)
	v_mul_f64 v[28:29], v[3:4], v[20:21]
	v_mul_f64 v[20:21], v[1:2], v[20:21]
	s_waitcnt vmcnt(4)
	v_fma_f64 v[1:2], v[1:2], v[22:23], -v[28:29]
	v_fma_f64 v[3:4], v[3:4], v[22:23], v[20:21]
	s_waitcnt vmcnt(2)
	v_add_f64 v[1:2], v[24:25], -v[1:2]
	s_waitcnt vmcnt(0)
	v_add_f64 v[3:4], v[26:27], -v[3:4]
	buffer_store_dword v2, v0, s[0:3], 0 offen offset:68
	buffer_store_dword v1, v0, s[0:3], 0 offen offset:64
	buffer_store_dword v4, v0, s[0:3], 0 offen offset:76
	buffer_store_dword v3, v0, s[0:3], 0 offen offset:72
	buffer_load_dword v1, off, s[0:3], 0 offset:200
	s_nop 0
	buffer_load_dword v2, off, s[0:3], 0 offset:204
	buffer_load_dword v3, off, s[0:3], 0 offset:192
	;; [unrolled: 1-line block ×3, first 2 shown]
	buffer_load_dword v20, v0, s[0:3], 0 offen offset:80
	buffer_load_dword v21, v0, s[0:3], 0 offen offset:84
	;; [unrolled: 1-line block ×4, first 2 shown]
	s_waitcnt vmcnt(6) lgkmcnt(0)
	v_mul_f64 v[24:25], v[12:13], v[1:2]
	v_mul_f64 v[1:2], v[10:11], v[1:2]
	s_waitcnt vmcnt(4)
	v_fma_f64 v[10:11], v[10:11], v[3:4], -v[24:25]
	v_fma_f64 v[1:2], v[12:13], v[3:4], v[1:2]
	s_waitcnt vmcnt(2)
	v_add_f64 v[3:4], v[20:21], -v[10:11]
	s_waitcnt vmcnt(0)
	v_add_f64 v[1:2], v[22:23], -v[1:2]
	buffer_store_dword v4, v0, s[0:3], 0 offen offset:84
	buffer_store_dword v3, v0, s[0:3], 0 offen offset:80
	;; [unrolled: 1-line block ×4, first 2 shown]
	buffer_load_dword v10, off, s[0:3], 0 offset:200
	buffer_load_dword v11, off, s[0:3], 0 offset:204
	;; [unrolled: 1-line block ×4, first 2 shown]
	buffer_load_dword v20, v0, s[0:3], 0 offen offset:96
	buffer_load_dword v21, v0, s[0:3], 0 offen offset:100
	;; [unrolled: 1-line block ×4, first 2 shown]
	ds_read2_b64 v[1:4], v5 offset0:12 offset1:13
	s_waitcnt vmcnt(6) lgkmcnt(0)
	v_mul_f64 v[24:25], v[3:4], v[10:11]
	v_mul_f64 v[10:11], v[1:2], v[10:11]
	s_waitcnt vmcnt(4)
	v_fma_f64 v[1:2], v[1:2], v[12:13], -v[24:25]
	v_fma_f64 v[3:4], v[3:4], v[12:13], v[10:11]
	s_waitcnt vmcnt(2)
	v_add_f64 v[1:2], v[20:21], -v[1:2]
	s_waitcnt vmcnt(0)
	v_add_f64 v[3:4], v[22:23], -v[3:4]
	buffer_store_dword v2, v0, s[0:3], 0 offen offset:100
	buffer_store_dword v1, v0, s[0:3], 0 offen offset:96
	;; [unrolled: 1-line block ×4, first 2 shown]
	s_cbranch_scc1 .LBB122_322
.LBB122_323:
	s_or_b64 exec, exec, s[4:5]
	v_mov_b32_e32 v3, s74
	s_waitcnt vmcnt(0)
	s_barrier
	buffer_load_dword v0, v3, s[0:3], 0 offen
	buffer_load_dword v1, v3, s[0:3], 0 offen offset:4
	buffer_load_dword v2, v3, s[0:3], 0 offen offset:8
	s_nop 0
	buffer_load_dword v3, v3, s[0:3], 0 offen offset:12
	v_lshl_add_u32 v4, v19, 4, v16
	s_cmp_lt_i32 s65, 15
	s_waitcnt vmcnt(0)
	ds_write2_b64 v4, v[0:1], v[2:3] offset1:1
	s_waitcnt lgkmcnt(0)
	s_barrier
	ds_read2_b64 v[0:3], v16 offset0:26 offset1:27
	v_mov_b32_e32 v4, 13
	s_cbranch_scc1 .LBB122_326
; %bb.324:
	v_add_u32_e32 v5, 0xe0, v16
	s_mov_b32 s16, 14
	v_mov_b32_e32 v4, 13
.LBB122_325:                            ; =>This Inner Loop Header: Depth=1
	s_waitcnt lgkmcnt(0)
	v_cmp_gt_f64_e32 vcc, 0, v[2:3]
	v_cmp_gt_f64_e64 s[4:5], 0, v[0:1]
	ds_read2_b64 v[10:13], v5 offset1:1
	v_xor_b32_e32 v21, 0x80000000, v1
	v_xor_b32_e32 v23, 0x80000000, v3
	v_mov_b32_e32 v20, v0
	v_mov_b32_e32 v22, v2
	s_waitcnt lgkmcnt(0)
	v_xor_b32_e32 v25, 0x80000000, v13
	v_cndmask_b32_e32 v23, v3, v23, vcc
	v_cndmask_b32_e64 v21, v1, v21, s[4:5]
	v_cmp_gt_f64_e32 vcc, 0, v[12:13]
	v_cmp_gt_f64_e64 s[4:5], 0, v[10:11]
	v_add_f64 v[20:21], v[20:21], v[22:23]
	v_xor_b32_e32 v23, 0x80000000, v11
	v_mov_b32_e32 v22, v10
	v_mov_b32_e32 v24, v12
	v_add_u32_e32 v5, 16, v5
	v_cndmask_b32_e32 v25, v13, v25, vcc
	v_cndmask_b32_e64 v23, v11, v23, s[4:5]
	v_add_f64 v[22:23], v[22:23], v[24:25]
	v_mov_b32_e32 v24, s16
	s_add_i32 s16, s16, 1
	s_cmp_lg_u32 s65, s16
	v_cmp_lt_f64_e32 vcc, v[20:21], v[22:23]
	v_cndmask_b32_e32 v1, v1, v11, vcc
	v_cndmask_b32_e32 v0, v0, v10, vcc
	;; [unrolled: 1-line block ×5, first 2 shown]
	s_cbranch_scc1 .LBB122_325
.LBB122_326:
	s_waitcnt lgkmcnt(0)
	v_cmp_eq_f64_e32 vcc, 0, v[0:1]
	v_cmp_eq_f64_e64 s[4:5], 0, v[2:3]
	s_and_b64 s[4:5], vcc, s[4:5]
	s_and_saveexec_b64 s[16:17], s[4:5]
	s_xor_b64 s[4:5], exec, s[16:17]
; %bb.327:
	v_cmp_ne_u32_e32 vcc, 0, v17
	v_cndmask_b32_e32 v17, 14, v17, vcc
; %bb.328:
	s_andn2_saveexec_b64 s[4:5], s[4:5]
	s_cbranch_execz .LBB122_334
; %bb.329:
	v_cmp_ngt_f64_e64 s[16:17], |v[0:1]|, |v[2:3]|
	s_and_saveexec_b64 s[18:19], s[16:17]
	s_xor_b64 s[18:19], exec, s[18:19]
	s_cbranch_execz .LBB122_331
; %bb.330:
	v_div_scale_f64 v[10:11], s[16:17], v[2:3], v[2:3], v[0:1]
	v_rcp_f64_e32 v[12:13], v[10:11]
	v_fma_f64 v[20:21], -v[10:11], v[12:13], 1.0
	v_fma_f64 v[12:13], v[12:13], v[20:21], v[12:13]
	v_div_scale_f64 v[20:21], vcc, v[0:1], v[2:3], v[0:1]
	v_fma_f64 v[22:23], -v[10:11], v[12:13], 1.0
	v_fma_f64 v[12:13], v[12:13], v[22:23], v[12:13]
	v_mul_f64 v[22:23], v[20:21], v[12:13]
	v_fma_f64 v[10:11], -v[10:11], v[22:23], v[20:21]
	v_div_fmas_f64 v[10:11], v[10:11], v[12:13], v[22:23]
	v_div_fixup_f64 v[10:11], v[10:11], v[2:3], v[0:1]
	v_fma_f64 v[0:1], v[0:1], v[10:11], v[2:3]
	v_div_scale_f64 v[2:3], s[16:17], v[0:1], v[0:1], 1.0
	v_div_scale_f64 v[22:23], vcc, 1.0, v[0:1], 1.0
	v_rcp_f64_e32 v[12:13], v[2:3]
	v_fma_f64 v[20:21], -v[2:3], v[12:13], 1.0
	v_fma_f64 v[12:13], v[12:13], v[20:21], v[12:13]
	v_fma_f64 v[20:21], -v[2:3], v[12:13], 1.0
	v_fma_f64 v[12:13], v[12:13], v[20:21], v[12:13]
	v_mul_f64 v[20:21], v[22:23], v[12:13]
	v_fma_f64 v[2:3], -v[2:3], v[20:21], v[22:23]
	v_div_fmas_f64 v[2:3], v[2:3], v[12:13], v[20:21]
	v_div_fixup_f64 v[2:3], v[2:3], v[0:1], 1.0
	v_mul_f64 v[0:1], v[10:11], v[2:3]
	v_xor_b32_e32 v3, 0x80000000, v3
.LBB122_331:
	s_andn2_saveexec_b64 s[18:19], s[18:19]
	s_cbranch_execz .LBB122_333
; %bb.332:
	v_div_scale_f64 v[10:11], s[16:17], v[0:1], v[0:1], v[2:3]
	v_rcp_f64_e32 v[12:13], v[10:11]
	v_fma_f64 v[20:21], -v[10:11], v[12:13], 1.0
	v_fma_f64 v[12:13], v[12:13], v[20:21], v[12:13]
	v_div_scale_f64 v[20:21], vcc, v[2:3], v[0:1], v[2:3]
	v_fma_f64 v[22:23], -v[10:11], v[12:13], 1.0
	v_fma_f64 v[12:13], v[12:13], v[22:23], v[12:13]
	v_mul_f64 v[22:23], v[20:21], v[12:13]
	v_fma_f64 v[10:11], -v[10:11], v[22:23], v[20:21]
	v_div_fmas_f64 v[10:11], v[10:11], v[12:13], v[22:23]
	v_div_fixup_f64 v[10:11], v[10:11], v[0:1], v[2:3]
	v_fma_f64 v[0:1], v[2:3], v[10:11], v[0:1]
	v_div_scale_f64 v[2:3], s[16:17], v[0:1], v[0:1], 1.0
	v_div_scale_f64 v[22:23], vcc, 1.0, v[0:1], 1.0
	v_rcp_f64_e32 v[12:13], v[2:3]
	v_fma_f64 v[20:21], -v[2:3], v[12:13], 1.0
	v_fma_f64 v[12:13], v[12:13], v[20:21], v[12:13]
	v_fma_f64 v[20:21], -v[2:3], v[12:13], 1.0
	v_fma_f64 v[12:13], v[12:13], v[20:21], v[12:13]
	v_mul_f64 v[20:21], v[22:23], v[12:13]
	v_fma_f64 v[2:3], -v[2:3], v[20:21], v[22:23]
	v_div_fmas_f64 v[2:3], v[2:3], v[12:13], v[20:21]
	v_div_fixup_f64 v[0:1], v[2:3], v[0:1], 1.0
	v_mul_f64 v[2:3], v[10:11], -v[0:1]
.LBB122_333:
	s_or_b64 exec, exec, s[18:19]
.LBB122_334:
	s_or_b64 exec, exec, s[4:5]
	v_cmp_ne_u32_e32 vcc, v19, v4
	s_and_saveexec_b64 s[4:5], vcc
	s_xor_b64 s[4:5], exec, s[4:5]
	s_cbranch_execz .LBB122_340
; %bb.335:
	v_cmp_eq_u32_e32 vcc, 13, v19
	s_and_saveexec_b64 s[18:19], vcc
	s_cbranch_execz .LBB122_339
; %bb.336:
	v_cmp_ne_u32_e32 vcc, 13, v4
	s_xor_b64 s[16:17], s[22:23], -1
	s_and_b64 s[16:17], s[16:17], vcc
	s_and_saveexec_b64 s[24:25], s[16:17]
	s_cbranch_execz .LBB122_338
; %bb.337:
	v_ashrrev_i32_e32 v5, 31, v4
	v_lshlrev_b64 v[10:11], 2, v[4:5]
	v_add_co_u32_e32 v10, vcc, v8, v10
	v_addc_co_u32_e32 v11, vcc, v9, v11, vcc
	global_load_dword v5, v[10:11], off
	global_load_dword v12, v[8:9], off offset:52
	s_waitcnt vmcnt(1)
	global_store_dword v[8:9], v5, off offset:52
	s_waitcnt vmcnt(1)
	global_store_dword v[10:11], v12, off
.LBB122_338:
	s_or_b64 exec, exec, s[24:25]
	v_mov_b32_e32 v19, v4
	v_mov_b32_e32 v18, v4
.LBB122_339:
	s_or_b64 exec, exec, s[18:19]
.LBB122_340:
	s_andn2_saveexec_b64 s[4:5], s[4:5]
	s_cbranch_execz .LBB122_344
; %bb.341:
	s_movk_i32 s18, 0xe0
.LBB122_342:                            ; =>This Inner Loop Header: Depth=1
	v_mov_b32_e32 v29, s18
	buffer_load_dword v4, v29, s[0:3], 0 offen
	buffer_load_dword v5, v29, s[0:3], 0 offen offset:4
	buffer_load_dword v10, v29, s[0:3], 0 offen offset:8
	;; [unrolled: 1-line block ×15, first 2 shown]
	v_add_u32_e32 v30, s18, v16
	s_addk_i32 s18, 0x100
	s_cmpk_eq_i32 s18, 0x3e0
	s_waitcnt vmcnt(12)
	ds_write2_b64 v30, v[4:5], v[10:11] offset1:1
	s_waitcnt vmcnt(8)
	ds_write2_b64 v30, v[12:13], v[19:20] offset0:2 offset1:3
	s_waitcnt vmcnt(4)
	ds_write2_b64 v30, v[21:22], v[23:24] offset0:4 offset1:5
	;; [unrolled: 2-line block ×3, first 2 shown]
	buffer_load_dword v5, v29, s[0:3], 0 offen offset:76
	buffer_load_dword v4, v29, s[0:3], 0 offen offset:72
	buffer_load_dword v11, v29, s[0:3], 0 offen offset:68
	buffer_load_dword v10, v29, s[0:3], 0 offen offset:64
	s_waitcnt vmcnt(0)
	ds_write2_b64 v30, v[10:11], v[4:5] offset0:8 offset1:9
	buffer_load_dword v5, v29, s[0:3], 0 offen offset:92
	buffer_load_dword v4, v29, s[0:3], 0 offen offset:88
	buffer_load_dword v11, v29, s[0:3], 0 offen offset:84
	buffer_load_dword v10, v29, s[0:3], 0 offen offset:80
	s_waitcnt vmcnt(0)
	ds_write2_b64 v30, v[10:11], v[4:5] offset0:10 offset1:11
	;; [unrolled: 6-line block ×12, first 2 shown]
	s_cbranch_scc0 .LBB122_342
; %bb.343:
	v_mov_b32_e32 v19, 13
.LBB122_344:
	s_or_b64 exec, exec, s[4:5]
	v_cmp_lt_i32_e32 vcc, 13, v19
	s_waitcnt vmcnt(0) lgkmcnt(0)
	s_barrier
	s_and_saveexec_b64 s[4:5], vcc
	s_cbranch_execz .LBB122_347
; %bb.345:
	buffer_load_dword v4, off, s[0:3], 0 offset:216
	buffer_load_dword v5, off, s[0:3], 0 offset:220
	;; [unrolled: 1-line block ×4, first 2 shown]
	s_movk_i32 s18, 0xe0
	s_waitcnt vmcnt(2)
	v_mul_f64 v[12:13], v[2:3], v[4:5]
	v_mul_f64 v[4:5], v[0:1], v[4:5]
	s_waitcnt vmcnt(0)
	v_fma_f64 v[0:1], v[0:1], v[10:11], -v[12:13]
	v_fma_f64 v[2:3], v[2:3], v[10:11], v[4:5]
	buffer_store_dword v0, off, s[0:3], 0 offset:208
	buffer_store_dword v1, off, s[0:3], 0 offset:212
	;; [unrolled: 1-line block ×4, first 2 shown]
.LBB122_346:                            ; =>This Inner Loop Header: Depth=1
	buffer_load_dword v4, off, s[0:3], 0 offset:216
	buffer_load_dword v5, off, s[0:3], 0 offset:220
	;; [unrolled: 1-line block ×4, first 2 shown]
	v_mov_b32_e32 v32, s18
	buffer_load_dword v22, v32, s[0:3], 0 offen
	buffer_load_dword v23, v32, s[0:3], 0 offen offset:4
	buffer_load_dword v24, v32, s[0:3], 0 offen offset:8
	;; [unrolled: 1-line block ×3, first 2 shown]
	v_add_u32_e32 v33, s18, v16
	ds_read2_b64 v[0:3], v33 offset1:1
	buffer_load_dword v26, v32, s[0:3], 0 offen offset:16
	buffer_load_dword v27, v32, s[0:3], 0 offen offset:20
	;; [unrolled: 1-line block ×4, first 2 shown]
	ds_read2_b64 v[10:13], v33 offset0:2 offset1:3
	s_addk_i32 s18, 0x60
	s_cmpk_lg_i32 s18, 0x3e0
	s_waitcnt vmcnt(10) lgkmcnt(1)
	v_mul_f64 v[30:31], v[2:3], v[4:5]
	v_mul_f64 v[4:5], v[0:1], v[4:5]
	s_waitcnt vmcnt(8)
	v_fma_f64 v[0:1], v[0:1], v[20:21], -v[30:31]
	v_fma_f64 v[2:3], v[2:3], v[20:21], v[4:5]
	s_waitcnt vmcnt(6)
	v_add_f64 v[0:1], v[22:23], -v[0:1]
	s_waitcnt vmcnt(4)
	v_add_f64 v[2:3], v[24:25], -v[2:3]
	buffer_store_dword v1, v32, s[0:3], 0 offen offset:4
	buffer_store_dword v0, v32, s[0:3], 0 offen
	buffer_store_dword v3, v32, s[0:3], 0 offen offset:12
	buffer_store_dword v2, v32, s[0:3], 0 offen offset:8
	buffer_load_dword v1, off, s[0:3], 0 offset:220
	s_nop 0
	buffer_load_dword v0, off, s[0:3], 0 offset:216
	buffer_load_dword v3, off, s[0:3], 0 offset:212
	;; [unrolled: 1-line block ×3, first 2 shown]
	buffer_load_dword v4, v32, s[0:3], 0 offen offset:32
	buffer_load_dword v5, v32, s[0:3], 0 offen offset:36
	buffer_load_dword v20, v32, s[0:3], 0 offen offset:40
	buffer_load_dword v21, v32, s[0:3], 0 offen offset:44
	s_waitcnt vmcnt(6) lgkmcnt(0)
	v_mul_f64 v[22:23], v[12:13], v[0:1]
	v_mul_f64 v[0:1], v[10:11], v[0:1]
	s_waitcnt vmcnt(4)
	v_fma_f64 v[10:11], v[10:11], v[2:3], -v[22:23]
	v_fma_f64 v[0:1], v[12:13], v[2:3], v[0:1]
	v_add_f64 v[2:3], v[26:27], -v[10:11]
	v_add_f64 v[0:1], v[28:29], -v[0:1]
	buffer_store_dword v3, v32, s[0:3], 0 offen offset:20
	buffer_store_dword v2, v32, s[0:3], 0 offen offset:16
	;; [unrolled: 1-line block ×4, first 2 shown]
	buffer_load_dword v22, off, s[0:3], 0 offset:216
	buffer_load_dword v23, off, s[0:3], 0 offset:220
	;; [unrolled: 1-line block ×4, first 2 shown]
	ds_read2_b64 v[0:3], v33 offset0:4 offset1:5
	ds_read2_b64 v[10:13], v33 offset0:6 offset1:7
	s_waitcnt vmcnt(2) lgkmcnt(1)
	v_mul_f64 v[26:27], v[2:3], v[22:23]
	v_mul_f64 v[22:23], v[0:1], v[22:23]
	s_waitcnt vmcnt(0)
	v_fma_f64 v[0:1], v[0:1], v[24:25], -v[26:27]
	v_fma_f64 v[2:3], v[2:3], v[24:25], v[22:23]
	v_add_f64 v[0:1], v[4:5], -v[0:1]
	v_add_f64 v[2:3], v[20:21], -v[2:3]
	buffer_store_dword v1, v32, s[0:3], 0 offen offset:36
	buffer_store_dword v0, v32, s[0:3], 0 offen offset:32
	;; [unrolled: 1-line block ×4, first 2 shown]
	buffer_load_dword v0, off, s[0:3], 0 offset:216
	s_nop 0
	buffer_load_dword v1, off, s[0:3], 0 offset:220
	buffer_load_dword v2, off, s[0:3], 0 offset:208
	;; [unrolled: 1-line block ×3, first 2 shown]
	buffer_load_dword v4, v32, s[0:3], 0 offen offset:48
	buffer_load_dword v5, v32, s[0:3], 0 offen offset:52
	;; [unrolled: 1-line block ×4, first 2 shown]
	s_waitcnt vmcnt(6) lgkmcnt(0)
	v_mul_f64 v[22:23], v[12:13], v[0:1]
	v_mul_f64 v[0:1], v[10:11], v[0:1]
	s_waitcnt vmcnt(4)
	v_fma_f64 v[10:11], v[10:11], v[2:3], -v[22:23]
	v_fma_f64 v[0:1], v[12:13], v[2:3], v[0:1]
	s_waitcnt vmcnt(2)
	v_add_f64 v[2:3], v[4:5], -v[10:11]
	s_waitcnt vmcnt(0)
	v_add_f64 v[0:1], v[20:21], -v[0:1]
	buffer_store_dword v3, v32, s[0:3], 0 offen offset:52
	buffer_store_dword v2, v32, s[0:3], 0 offen offset:48
	;; [unrolled: 1-line block ×4, first 2 shown]
	buffer_load_dword v4, off, s[0:3], 0 offset:216
	buffer_load_dword v5, off, s[0:3], 0 offset:220
	;; [unrolled: 1-line block ×4, first 2 shown]
	buffer_load_dword v22, v32, s[0:3], 0 offen offset:64
	buffer_load_dword v23, v32, s[0:3], 0 offen offset:68
	;; [unrolled: 1-line block ×4, first 2 shown]
	ds_read2_b64 v[0:3], v33 offset0:8 offset1:9
	ds_read2_b64 v[10:13], v33 offset0:10 offset1:11
	s_waitcnt vmcnt(6) lgkmcnt(1)
	v_mul_f64 v[26:27], v[2:3], v[4:5]
	v_mul_f64 v[4:5], v[0:1], v[4:5]
	s_waitcnt vmcnt(4)
	v_fma_f64 v[0:1], v[0:1], v[20:21], -v[26:27]
	v_fma_f64 v[2:3], v[2:3], v[20:21], v[4:5]
	s_waitcnt vmcnt(2)
	v_add_f64 v[0:1], v[22:23], -v[0:1]
	s_waitcnt vmcnt(0)
	v_add_f64 v[2:3], v[24:25], -v[2:3]
	buffer_store_dword v1, v32, s[0:3], 0 offen offset:68
	buffer_store_dword v0, v32, s[0:3], 0 offen offset:64
	;; [unrolled: 1-line block ×4, first 2 shown]
	buffer_load_dword v0, off, s[0:3], 0 offset:216
	s_nop 0
	buffer_load_dword v1, off, s[0:3], 0 offset:220
	buffer_load_dword v2, off, s[0:3], 0 offset:208
	buffer_load_dword v3, off, s[0:3], 0 offset:212
	buffer_load_dword v4, v32, s[0:3], 0 offen offset:80
	buffer_load_dword v5, v32, s[0:3], 0 offen offset:84
	;; [unrolled: 1-line block ×4, first 2 shown]
	s_waitcnt vmcnt(6) lgkmcnt(0)
	v_mul_f64 v[22:23], v[12:13], v[0:1]
	v_mul_f64 v[0:1], v[10:11], v[0:1]
	s_waitcnt vmcnt(4)
	v_fma_f64 v[10:11], v[10:11], v[2:3], -v[22:23]
	v_fma_f64 v[0:1], v[12:13], v[2:3], v[0:1]
	s_waitcnt vmcnt(2)
	v_add_f64 v[2:3], v[4:5], -v[10:11]
	s_waitcnt vmcnt(0)
	v_add_f64 v[0:1], v[20:21], -v[0:1]
	buffer_store_dword v3, v32, s[0:3], 0 offen offset:84
	buffer_store_dword v2, v32, s[0:3], 0 offen offset:80
	buffer_store_dword v1, v32, s[0:3], 0 offen offset:92
	buffer_store_dword v0, v32, s[0:3], 0 offen offset:88
	s_cbranch_scc1 .LBB122_346
.LBB122_347:
	s_or_b64 exec, exec, s[4:5]
	v_mov_b32_e32 v3, s73
	s_waitcnt vmcnt(0)
	s_barrier
	buffer_load_dword v0, v3, s[0:3], 0 offen
	buffer_load_dword v1, v3, s[0:3], 0 offen offset:4
	buffer_load_dword v2, v3, s[0:3], 0 offen offset:8
	s_nop 0
	buffer_load_dword v3, v3, s[0:3], 0 offen offset:12
	v_lshl_add_u32 v4, v19, 4, v16
	s_cmp_lt_i32 s65, 16
	s_waitcnt vmcnt(0)
	ds_write2_b64 v4, v[0:1], v[2:3] offset1:1
	s_waitcnt lgkmcnt(0)
	s_barrier
	ds_read2_b64 v[0:3], v16 offset0:28 offset1:29
	v_mov_b32_e32 v4, 14
	s_cbranch_scc1 .LBB122_350
; %bb.348:
	v_add_u32_e32 v5, 0xf0, v16
	s_mov_b32 s16, 15
	v_mov_b32_e32 v4, 14
.LBB122_349:                            ; =>This Inner Loop Header: Depth=1
	s_waitcnt lgkmcnt(0)
	v_cmp_gt_f64_e32 vcc, 0, v[2:3]
	v_cmp_gt_f64_e64 s[4:5], 0, v[0:1]
	ds_read2_b64 v[10:13], v5 offset1:1
	v_xor_b32_e32 v21, 0x80000000, v1
	v_xor_b32_e32 v23, 0x80000000, v3
	v_mov_b32_e32 v20, v0
	v_mov_b32_e32 v22, v2
	s_waitcnt lgkmcnt(0)
	v_xor_b32_e32 v25, 0x80000000, v13
	v_cndmask_b32_e32 v23, v3, v23, vcc
	v_cndmask_b32_e64 v21, v1, v21, s[4:5]
	v_cmp_gt_f64_e32 vcc, 0, v[12:13]
	v_cmp_gt_f64_e64 s[4:5], 0, v[10:11]
	v_add_f64 v[20:21], v[20:21], v[22:23]
	v_xor_b32_e32 v23, 0x80000000, v11
	v_mov_b32_e32 v22, v10
	v_mov_b32_e32 v24, v12
	v_add_u32_e32 v5, 16, v5
	v_cndmask_b32_e32 v25, v13, v25, vcc
	v_cndmask_b32_e64 v23, v11, v23, s[4:5]
	v_add_f64 v[22:23], v[22:23], v[24:25]
	v_mov_b32_e32 v24, s16
	s_add_i32 s16, s16, 1
	s_cmp_lg_u32 s65, s16
	v_cmp_lt_f64_e32 vcc, v[20:21], v[22:23]
	v_cndmask_b32_e32 v1, v1, v11, vcc
	v_cndmask_b32_e32 v0, v0, v10, vcc
	;; [unrolled: 1-line block ×5, first 2 shown]
	s_cbranch_scc1 .LBB122_349
.LBB122_350:
	s_waitcnt lgkmcnt(0)
	v_cmp_eq_f64_e32 vcc, 0, v[0:1]
	v_cmp_eq_f64_e64 s[4:5], 0, v[2:3]
	s_and_b64 s[4:5], vcc, s[4:5]
	s_and_saveexec_b64 s[16:17], s[4:5]
	s_xor_b64 s[4:5], exec, s[16:17]
; %bb.351:
	v_cmp_ne_u32_e32 vcc, 0, v17
	v_cndmask_b32_e32 v17, 15, v17, vcc
; %bb.352:
	s_andn2_saveexec_b64 s[4:5], s[4:5]
	s_cbranch_execz .LBB122_358
; %bb.353:
	v_cmp_ngt_f64_e64 s[16:17], |v[0:1]|, |v[2:3]|
	s_and_saveexec_b64 s[18:19], s[16:17]
	s_xor_b64 s[18:19], exec, s[18:19]
	s_cbranch_execz .LBB122_355
; %bb.354:
	v_div_scale_f64 v[10:11], s[16:17], v[2:3], v[2:3], v[0:1]
	v_rcp_f64_e32 v[12:13], v[10:11]
	v_fma_f64 v[20:21], -v[10:11], v[12:13], 1.0
	v_fma_f64 v[12:13], v[12:13], v[20:21], v[12:13]
	v_div_scale_f64 v[20:21], vcc, v[0:1], v[2:3], v[0:1]
	v_fma_f64 v[22:23], -v[10:11], v[12:13], 1.0
	v_fma_f64 v[12:13], v[12:13], v[22:23], v[12:13]
	v_mul_f64 v[22:23], v[20:21], v[12:13]
	v_fma_f64 v[10:11], -v[10:11], v[22:23], v[20:21]
	v_div_fmas_f64 v[10:11], v[10:11], v[12:13], v[22:23]
	v_div_fixup_f64 v[10:11], v[10:11], v[2:3], v[0:1]
	v_fma_f64 v[0:1], v[0:1], v[10:11], v[2:3]
	v_div_scale_f64 v[2:3], s[16:17], v[0:1], v[0:1], 1.0
	v_div_scale_f64 v[22:23], vcc, 1.0, v[0:1], 1.0
	v_rcp_f64_e32 v[12:13], v[2:3]
	v_fma_f64 v[20:21], -v[2:3], v[12:13], 1.0
	v_fma_f64 v[12:13], v[12:13], v[20:21], v[12:13]
	v_fma_f64 v[20:21], -v[2:3], v[12:13], 1.0
	v_fma_f64 v[12:13], v[12:13], v[20:21], v[12:13]
	v_mul_f64 v[20:21], v[22:23], v[12:13]
	v_fma_f64 v[2:3], -v[2:3], v[20:21], v[22:23]
	v_div_fmas_f64 v[2:3], v[2:3], v[12:13], v[20:21]
	v_div_fixup_f64 v[2:3], v[2:3], v[0:1], 1.0
	v_mul_f64 v[0:1], v[10:11], v[2:3]
	v_xor_b32_e32 v3, 0x80000000, v3
.LBB122_355:
	s_andn2_saveexec_b64 s[18:19], s[18:19]
	s_cbranch_execz .LBB122_357
; %bb.356:
	v_div_scale_f64 v[10:11], s[16:17], v[0:1], v[0:1], v[2:3]
	v_rcp_f64_e32 v[12:13], v[10:11]
	v_fma_f64 v[20:21], -v[10:11], v[12:13], 1.0
	v_fma_f64 v[12:13], v[12:13], v[20:21], v[12:13]
	v_div_scale_f64 v[20:21], vcc, v[2:3], v[0:1], v[2:3]
	v_fma_f64 v[22:23], -v[10:11], v[12:13], 1.0
	v_fma_f64 v[12:13], v[12:13], v[22:23], v[12:13]
	v_mul_f64 v[22:23], v[20:21], v[12:13]
	v_fma_f64 v[10:11], -v[10:11], v[22:23], v[20:21]
	v_div_fmas_f64 v[10:11], v[10:11], v[12:13], v[22:23]
	v_div_fixup_f64 v[10:11], v[10:11], v[0:1], v[2:3]
	v_fma_f64 v[0:1], v[2:3], v[10:11], v[0:1]
	v_div_scale_f64 v[2:3], s[16:17], v[0:1], v[0:1], 1.0
	v_div_scale_f64 v[22:23], vcc, 1.0, v[0:1], 1.0
	v_rcp_f64_e32 v[12:13], v[2:3]
	v_fma_f64 v[20:21], -v[2:3], v[12:13], 1.0
	v_fma_f64 v[12:13], v[12:13], v[20:21], v[12:13]
	v_fma_f64 v[20:21], -v[2:3], v[12:13], 1.0
	v_fma_f64 v[12:13], v[12:13], v[20:21], v[12:13]
	v_mul_f64 v[20:21], v[22:23], v[12:13]
	v_fma_f64 v[2:3], -v[2:3], v[20:21], v[22:23]
	v_div_fmas_f64 v[2:3], v[2:3], v[12:13], v[20:21]
	v_div_fixup_f64 v[0:1], v[2:3], v[0:1], 1.0
	v_mul_f64 v[2:3], v[10:11], -v[0:1]
.LBB122_357:
	s_or_b64 exec, exec, s[18:19]
.LBB122_358:
	s_or_b64 exec, exec, s[4:5]
	v_cmp_ne_u32_e32 vcc, v19, v4
	s_and_saveexec_b64 s[4:5], vcc
	s_xor_b64 s[4:5], exec, s[4:5]
	s_cbranch_execz .LBB122_364
; %bb.359:
	v_cmp_eq_u32_e32 vcc, 14, v19
	s_and_saveexec_b64 s[18:19], vcc
	s_cbranch_execz .LBB122_363
; %bb.360:
	v_cmp_ne_u32_e32 vcc, 14, v4
	s_xor_b64 s[16:17], s[22:23], -1
	s_and_b64 s[16:17], s[16:17], vcc
	s_and_saveexec_b64 s[24:25], s[16:17]
	s_cbranch_execz .LBB122_362
; %bb.361:
	v_ashrrev_i32_e32 v5, 31, v4
	v_lshlrev_b64 v[10:11], 2, v[4:5]
	v_add_co_u32_e32 v10, vcc, v8, v10
	v_addc_co_u32_e32 v11, vcc, v9, v11, vcc
	global_load_dword v5, v[10:11], off
	global_load_dword v12, v[8:9], off offset:56
	s_waitcnt vmcnt(1)
	global_store_dword v[8:9], v5, off offset:56
	s_waitcnt vmcnt(1)
	global_store_dword v[10:11], v12, off
.LBB122_362:
	s_or_b64 exec, exec, s[24:25]
	v_mov_b32_e32 v19, v4
	v_mov_b32_e32 v18, v4
.LBB122_363:
	s_or_b64 exec, exec, s[18:19]
.LBB122_364:
	s_andn2_saveexec_b64 s[4:5], s[4:5]
	s_cbranch_execz .LBB122_370
; %bb.365:
	s_movk_i32 s16, 0xf0
	s_branch .LBB122_367
.LBB122_366:                            ;   in Loop: Header=BB122_367 Depth=1
	s_andn2_b64 vcc, exec, s[18:19]
	s_cbranch_vccz .LBB122_369
.LBB122_367:                            ; =>This Inner Loop Header: Depth=1
	v_mov_b32_e32 v4, s16
	buffer_load_dword v10, v4, s[0:3], 0 offen
	buffer_load_dword v11, v4, s[0:3], 0 offen offset:4
	buffer_load_dword v12, v4, s[0:3], 0 offen offset:8
	;; [unrolled: 1-line block ×27, first 2 shown]
	s_mov_b32 s17, s16
	v_add_u32_e32 v4, s16, v16
	s_cmpk_eq_i32 s16, 0x370
	s_mov_b64 s[18:19], -1
	s_waitcnt vmcnt(24)
	ds_write2_b64 v4, v[10:11], v[12:13] offset1:1
	s_waitcnt vmcnt(20)
	ds_write2_b64 v4, v[19:20], v[21:22] offset0:2 offset1:3
	s_waitcnt vmcnt(16)
	ds_write2_b64 v4, v[23:24], v[25:26] offset0:4 offset1:5
	;; [unrolled: 2-line block ×4, first 2 shown]
	ds_write2_b64 v4, v[35:36], v[33:34] offset0:10 offset1:11
	s_waitcnt vmcnt(0)
	ds_write2_b64 v4, v[41:42], v[39:40] offset0:12 offset1:13
	s_cbranch_scc1 .LBB122_366
; %bb.368:                              ;   in Loop: Header=BB122_367 Depth=1
	v_mov_b32_e32 v5, s17
	buffer_load_dword v10, v5, s[0:3], 0 offen offset:112
	buffer_load_dword v11, v5, s[0:3], 0 offen offset:116
	;; [unrolled: 1-line block ×4, first 2 shown]
	s_addk_i32 s16, 0x80
	s_mov_b64 s[18:19], 0
	s_waitcnt vmcnt(0)
	ds_write2_b64 v4, v[10:11], v[12:13] offset0:14 offset1:15
	s_branch .LBB122_366
.LBB122_369:
	v_mov_b32_e32 v19, 14
.LBB122_370:
	s_or_b64 exec, exec, s[4:5]
	v_cmp_lt_i32_e32 vcc, 14, v19
	s_waitcnt vmcnt(0) lgkmcnt(0)
	s_barrier
	s_and_saveexec_b64 s[4:5], vcc
	s_cbranch_execz .LBB122_375
; %bb.371:
	buffer_load_dword v4, off, s[0:3], 0 offset:232
	buffer_load_dword v5, off, s[0:3], 0 offset:236
	;; [unrolled: 1-line block ×4, first 2 shown]
	s_movk_i32 s24, 0xf0
	s_waitcnt vmcnt(2)
	v_mul_f64 v[12:13], v[2:3], v[4:5]
	v_mul_f64 v[4:5], v[0:1], v[4:5]
	s_waitcnt vmcnt(0)
	v_fma_f64 v[0:1], v[0:1], v[10:11], -v[12:13]
	v_fma_f64 v[2:3], v[2:3], v[10:11], v[4:5]
	buffer_store_dword v0, off, s[0:3], 0 offset:224
	buffer_store_dword v1, off, s[0:3], 0 offset:228
	;; [unrolled: 1-line block ×4, first 2 shown]
	s_branch .LBB122_373
.LBB122_372:                            ;   in Loop: Header=BB122_373 Depth=1
	s_andn2_b64 vcc, exec, s[18:19]
	s_cbranch_vccz .LBB122_375
.LBB122_373:                            ; =>This Inner Loop Header: Depth=1
	v_mov_b32_e32 v5, s24
	buffer_load_dword v24, v5, s[0:3], 0 offen
	buffer_load_dword v25, v5, s[0:3], 0 offen offset:4
	buffer_load_dword v26, v5, s[0:3], 0 offen offset:8
	;; [unrolled: 1-line block ×3, first 2 shown]
	v_add_u32_e32 v4, s24, v16
	ds_read2_b64 v[10:13], v4 offset1:1
	ds_read2_b64 v[20:23], v4 offset0:2 offset1:3
	s_mov_b32 s16, s24
	s_cmpk_eq_i32 s24, 0x3b0
	s_mov_b64 s[18:19], -1
	s_waitcnt vmcnt(5) lgkmcnt(1)
	v_mul_f64 v[28:29], v[12:13], v[2:3]
	v_mul_f64 v[2:3], v[10:11], v[2:3]
	s_waitcnt vmcnt(4)
	v_fma_f64 v[10:11], v[10:11], v[0:1], -v[28:29]
	v_fma_f64 v[0:1], v[12:13], v[0:1], v[2:3]
	buffer_load_dword v2, v5, s[0:3], 0 offen offset:20
	buffer_load_dword v12, v5, s[0:3], 0 offen offset:28
	;; [unrolled: 1-line block ×3, first 2 shown]
	s_waitcnt vmcnt(5)
	v_add_f64 v[10:11], v[24:25], -v[10:11]
	s_waitcnt vmcnt(3)
	v_add_f64 v[0:1], v[26:27], -v[0:1]
	buffer_store_dword v11, v5, s[0:3], 0 offen offset:4
	buffer_store_dword v10, v5, s[0:3], 0 offen
	buffer_store_dword v1, v5, s[0:3], 0 offen offset:12
	buffer_store_dword v0, v5, s[0:3], 0 offen offset:8
	buffer_load_dword v11, v5, s[0:3], 0 offen offset:24
	s_nop 0
	buffer_load_dword v13, v5, s[0:3], 0 offen offset:36
	buffer_load_dword v25, off, s[0:3], 0 offset:236
	buffer_load_dword v24, off, s[0:3], 0 offset:232
	;; [unrolled: 1-line block ×4, first 2 shown]
	buffer_load_dword v1, v5, s[0:3], 0 offen offset:16
	s_waitcnt vmcnt(3) lgkmcnt(0)
	v_mul_f64 v[29:30], v[22:23], v[24:25]
	v_mul_f64 v[24:25], v[20:21], v[24:25]
	s_waitcnt vmcnt(1)
	v_fma_f64 v[20:21], v[20:21], v[26:27], -v[29:30]
	v_fma_f64 v[22:23], v[22:23], v[26:27], v[24:25]
	s_waitcnt vmcnt(0)
	v_add_f64 v[0:1], v[1:2], -v[20:21]
	v_add_f64 v[2:3], v[11:12], -v[22:23]
	buffer_store_dword v1, v5, s[0:3], 0 offen offset:20
	buffer_store_dword v0, v5, s[0:3], 0 offen offset:16
	;; [unrolled: 1-line block ×4, first 2 shown]
	buffer_load_dword v29, v5, s[0:3], 0 offen offset:44
	buffer_load_dword v10, off, s[0:3], 0 offset:232
	buffer_load_dword v11, off, s[0:3], 0 offset:236
	;; [unrolled: 1-line block ×4, first 2 shown]
	buffer_load_dword v12, v5, s[0:3], 0 offen offset:32
	ds_read2_b64 v[0:3], v4 offset0:4 offset1:5
	s_waitcnt vmcnt(3) lgkmcnt(0)
	v_mul_f64 v[22:23], v[2:3], v[10:11]
	v_mul_f64 v[10:11], v[0:1], v[10:11]
	s_waitcnt vmcnt(1)
	v_fma_f64 v[0:1], v[0:1], v[20:21], -v[22:23]
	v_fma_f64 v[2:3], v[2:3], v[20:21], v[10:11]
	s_waitcnt vmcnt(0)
	v_add_f64 v[0:1], v[12:13], -v[0:1]
	v_add_f64 v[2:3], v[28:29], -v[2:3]
	buffer_store_dword v1, v5, s[0:3], 0 offen offset:36
	buffer_store_dword v0, v5, s[0:3], 0 offen offset:32
	;; [unrolled: 1-line block ×4, first 2 shown]
                                        ; implicit-def: $vgpr0_vgpr1
                                        ; implicit-def: $vgpr2_vgpr3
	s_cbranch_scc1 .LBB122_372
; %bb.374:                              ;   in Loop: Header=BB122_373 Depth=1
	buffer_load_dword v10, off, s[0:3], 0 offset:232
	buffer_load_dword v11, off, s[0:3], 0 offset:236
	;; [unrolled: 1-line block ×4, first 2 shown]
	v_mov_b32_e32 v24, s16
	buffer_load_dword v20, v24, s[0:3], 0 offen offset:48
	buffer_load_dword v21, v24, s[0:3], 0 offen offset:52
	;; [unrolled: 1-line block ×4, first 2 shown]
	ds_read2_b64 v[0:3], v4 offset0:6 offset1:7
	s_add_i32 s24, s24, 64
	s_mov_b64 s[18:19], 0
	s_waitcnt vmcnt(6) lgkmcnt(0)
	v_mul_f64 v[4:5], v[2:3], v[10:11]
	v_mul_f64 v[10:11], v[0:1], v[10:11]
	s_waitcnt vmcnt(4)
	v_fma_f64 v[0:1], v[0:1], v[12:13], -v[4:5]
	v_fma_f64 v[2:3], v[2:3], v[12:13], v[10:11]
	s_waitcnt vmcnt(2)
	v_add_f64 v[0:1], v[20:21], -v[0:1]
	s_waitcnt vmcnt(0)
	v_add_f64 v[2:3], v[22:23], -v[2:3]
	buffer_store_dword v1, v24, s[0:3], 0 offen offset:52
	buffer_store_dword v0, v24, s[0:3], 0 offen offset:48
	;; [unrolled: 1-line block ×4, first 2 shown]
	buffer_load_dword v1, off, s[0:3], 0 offset:228
	s_nop 0
	buffer_load_dword v3, off, s[0:3], 0 offset:236
	buffer_load_dword v2, off, s[0:3], 0 offset:232
	;; [unrolled: 1-line block ×3, first 2 shown]
	s_branch .LBB122_372
.LBB122_375:
	s_or_b64 exec, exec, s[4:5]
	s_waitcnt vmcnt(2)
	v_mov_b32_e32 v3, s72
	s_waitcnt vmcnt(0)
	s_barrier
	buffer_load_dword v0, v3, s[0:3], 0 offen
	buffer_load_dword v1, v3, s[0:3], 0 offen offset:4
	buffer_load_dword v2, v3, s[0:3], 0 offen offset:8
	s_nop 0
	buffer_load_dword v3, v3, s[0:3], 0 offen offset:12
	v_lshl_add_u32 v4, v19, 4, v16
	s_cmp_lt_i32 s65, 17
	s_waitcnt vmcnt(0)
	ds_write2_b64 v4, v[0:1], v[2:3] offset1:1
	s_waitcnt lgkmcnt(0)
	s_barrier
	ds_read2_b64 v[0:3], v16 offset0:30 offset1:31
	v_mov_b32_e32 v4, 15
	s_cbranch_scc1 .LBB122_378
; %bb.376:
	v_add_u32_e32 v5, 0x100, v16
	s_mov_b32 s16, 16
	v_mov_b32_e32 v4, 15
.LBB122_377:                            ; =>This Inner Loop Header: Depth=1
	s_waitcnt lgkmcnt(0)
	v_cmp_gt_f64_e32 vcc, 0, v[2:3]
	v_cmp_gt_f64_e64 s[4:5], 0, v[0:1]
	ds_read2_b64 v[10:13], v5 offset1:1
	v_xor_b32_e32 v21, 0x80000000, v1
	v_xor_b32_e32 v23, 0x80000000, v3
	v_mov_b32_e32 v20, v0
	v_mov_b32_e32 v22, v2
	s_waitcnt lgkmcnt(0)
	v_xor_b32_e32 v25, 0x80000000, v13
	v_cndmask_b32_e32 v23, v3, v23, vcc
	v_cndmask_b32_e64 v21, v1, v21, s[4:5]
	v_cmp_gt_f64_e32 vcc, 0, v[12:13]
	v_cmp_gt_f64_e64 s[4:5], 0, v[10:11]
	v_add_f64 v[20:21], v[20:21], v[22:23]
	v_xor_b32_e32 v23, 0x80000000, v11
	v_mov_b32_e32 v22, v10
	v_mov_b32_e32 v24, v12
	v_add_u32_e32 v5, 16, v5
	v_cndmask_b32_e32 v25, v13, v25, vcc
	v_cndmask_b32_e64 v23, v11, v23, s[4:5]
	v_add_f64 v[22:23], v[22:23], v[24:25]
	v_mov_b32_e32 v24, s16
	s_add_i32 s16, s16, 1
	s_cmp_lg_u32 s65, s16
	v_cmp_lt_f64_e32 vcc, v[20:21], v[22:23]
	v_cndmask_b32_e32 v1, v1, v11, vcc
	v_cndmask_b32_e32 v0, v0, v10, vcc
	;; [unrolled: 1-line block ×5, first 2 shown]
	s_cbranch_scc1 .LBB122_377
.LBB122_378:
	s_waitcnt lgkmcnt(0)
	v_cmp_eq_f64_e32 vcc, 0, v[0:1]
	v_cmp_eq_f64_e64 s[4:5], 0, v[2:3]
	s_and_b64 s[4:5], vcc, s[4:5]
	s_and_saveexec_b64 s[16:17], s[4:5]
	s_xor_b64 s[4:5], exec, s[16:17]
; %bb.379:
	v_cmp_ne_u32_e32 vcc, 0, v17
	v_cndmask_b32_e32 v17, 16, v17, vcc
; %bb.380:
	s_andn2_saveexec_b64 s[4:5], s[4:5]
	s_cbranch_execz .LBB122_386
; %bb.381:
	v_cmp_ngt_f64_e64 s[16:17], |v[0:1]|, |v[2:3]|
	s_and_saveexec_b64 s[18:19], s[16:17]
	s_xor_b64 s[18:19], exec, s[18:19]
	s_cbranch_execz .LBB122_383
; %bb.382:
	v_div_scale_f64 v[10:11], s[16:17], v[2:3], v[2:3], v[0:1]
	v_rcp_f64_e32 v[12:13], v[10:11]
	v_fma_f64 v[20:21], -v[10:11], v[12:13], 1.0
	v_fma_f64 v[12:13], v[12:13], v[20:21], v[12:13]
	v_div_scale_f64 v[20:21], vcc, v[0:1], v[2:3], v[0:1]
	v_fma_f64 v[22:23], -v[10:11], v[12:13], 1.0
	v_fma_f64 v[12:13], v[12:13], v[22:23], v[12:13]
	v_mul_f64 v[22:23], v[20:21], v[12:13]
	v_fma_f64 v[10:11], -v[10:11], v[22:23], v[20:21]
	v_div_fmas_f64 v[10:11], v[10:11], v[12:13], v[22:23]
	v_div_fixup_f64 v[10:11], v[10:11], v[2:3], v[0:1]
	v_fma_f64 v[0:1], v[0:1], v[10:11], v[2:3]
	v_div_scale_f64 v[2:3], s[16:17], v[0:1], v[0:1], 1.0
	v_div_scale_f64 v[22:23], vcc, 1.0, v[0:1], 1.0
	v_rcp_f64_e32 v[12:13], v[2:3]
	v_fma_f64 v[20:21], -v[2:3], v[12:13], 1.0
	v_fma_f64 v[12:13], v[12:13], v[20:21], v[12:13]
	v_fma_f64 v[20:21], -v[2:3], v[12:13], 1.0
	v_fma_f64 v[12:13], v[12:13], v[20:21], v[12:13]
	v_mul_f64 v[20:21], v[22:23], v[12:13]
	v_fma_f64 v[2:3], -v[2:3], v[20:21], v[22:23]
	v_div_fmas_f64 v[2:3], v[2:3], v[12:13], v[20:21]
	v_div_fixup_f64 v[2:3], v[2:3], v[0:1], 1.0
	v_mul_f64 v[0:1], v[10:11], v[2:3]
	v_xor_b32_e32 v3, 0x80000000, v3
.LBB122_383:
	s_andn2_saveexec_b64 s[18:19], s[18:19]
	s_cbranch_execz .LBB122_385
; %bb.384:
	v_div_scale_f64 v[10:11], s[16:17], v[0:1], v[0:1], v[2:3]
	v_rcp_f64_e32 v[12:13], v[10:11]
	v_fma_f64 v[20:21], -v[10:11], v[12:13], 1.0
	v_fma_f64 v[12:13], v[12:13], v[20:21], v[12:13]
	v_div_scale_f64 v[20:21], vcc, v[2:3], v[0:1], v[2:3]
	v_fma_f64 v[22:23], -v[10:11], v[12:13], 1.0
	v_fma_f64 v[12:13], v[12:13], v[22:23], v[12:13]
	v_mul_f64 v[22:23], v[20:21], v[12:13]
	v_fma_f64 v[10:11], -v[10:11], v[22:23], v[20:21]
	v_div_fmas_f64 v[10:11], v[10:11], v[12:13], v[22:23]
	v_div_fixup_f64 v[10:11], v[10:11], v[0:1], v[2:3]
	v_fma_f64 v[0:1], v[2:3], v[10:11], v[0:1]
	v_div_scale_f64 v[2:3], s[16:17], v[0:1], v[0:1], 1.0
	v_div_scale_f64 v[22:23], vcc, 1.0, v[0:1], 1.0
	v_rcp_f64_e32 v[12:13], v[2:3]
	v_fma_f64 v[20:21], -v[2:3], v[12:13], 1.0
	v_fma_f64 v[12:13], v[12:13], v[20:21], v[12:13]
	v_fma_f64 v[20:21], -v[2:3], v[12:13], 1.0
	v_fma_f64 v[12:13], v[12:13], v[20:21], v[12:13]
	v_mul_f64 v[20:21], v[22:23], v[12:13]
	v_fma_f64 v[2:3], -v[2:3], v[20:21], v[22:23]
	v_div_fmas_f64 v[2:3], v[2:3], v[12:13], v[20:21]
	v_div_fixup_f64 v[0:1], v[2:3], v[0:1], 1.0
	v_mul_f64 v[2:3], v[10:11], -v[0:1]
.LBB122_385:
	s_or_b64 exec, exec, s[18:19]
.LBB122_386:
	s_or_b64 exec, exec, s[4:5]
	v_cmp_ne_u32_e32 vcc, v19, v4
	s_and_saveexec_b64 s[4:5], vcc
	s_xor_b64 s[4:5], exec, s[4:5]
	s_cbranch_execz .LBB122_392
; %bb.387:
	v_cmp_eq_u32_e32 vcc, 15, v19
	s_and_saveexec_b64 s[18:19], vcc
	s_cbranch_execz .LBB122_391
; %bb.388:
	v_cmp_ne_u32_e32 vcc, 15, v4
	s_xor_b64 s[16:17], s[22:23], -1
	s_and_b64 s[16:17], s[16:17], vcc
	s_and_saveexec_b64 s[24:25], s[16:17]
	s_cbranch_execz .LBB122_390
; %bb.389:
	v_ashrrev_i32_e32 v5, 31, v4
	v_lshlrev_b64 v[10:11], 2, v[4:5]
	v_add_co_u32_e32 v10, vcc, v8, v10
	v_addc_co_u32_e32 v11, vcc, v9, v11, vcc
	global_load_dword v5, v[10:11], off
	global_load_dword v12, v[8:9], off offset:60
	s_waitcnt vmcnt(1)
	global_store_dword v[8:9], v5, off offset:60
	s_waitcnt vmcnt(1)
	global_store_dword v[10:11], v12, off
.LBB122_390:
	s_or_b64 exec, exec, s[24:25]
	v_mov_b32_e32 v19, v4
	v_mov_b32_e32 v18, v4
.LBB122_391:
	s_or_b64 exec, exec, s[18:19]
.LBB122_392:
	s_andn2_saveexec_b64 s[4:5], s[4:5]
	s_cbranch_execz .LBB122_396
; %bb.393:
	s_movk_i32 s16, 0x100
.LBB122_394:                            ; =>This Inner Loop Header: Depth=1
	v_mov_b32_e32 v20, s16
	buffer_load_dword v4, v20, s[0:3], 0 offen
	buffer_load_dword v5, v20, s[0:3], 0 offen offset:4
	buffer_load_dword v10, v20, s[0:3], 0 offen offset:8
	buffer_load_dword v11, v20, s[0:3], 0 offen offset:12
	buffer_load_dword v12, v20, s[0:3], 0 offen offset:16
	buffer_load_dword v13, v20, s[0:3], 0 offen offset:20
	buffer_load_dword v19, v20, s[0:3], 0 offen offset:24
	s_nop 0
	buffer_load_dword v20, v20, s[0:3], 0 offen offset:28
	v_add_u32_e32 v21, s16, v16
	s_add_i32 s16, s16, 32
	s_cmpk_eq_i32 s16, 0x3e0
	s_waitcnt vmcnt(4)
	ds_write2_b64 v21, v[4:5], v[10:11] offset1:1
	s_waitcnt vmcnt(0)
	ds_write2_b64 v21, v[12:13], v[19:20] offset0:2 offset1:3
	s_cbranch_scc0 .LBB122_394
; %bb.395:
	v_mov_b32_e32 v19, 15
.LBB122_396:
	s_or_b64 exec, exec, s[4:5]
	v_cmp_lt_i32_e32 vcc, 15, v19
	s_waitcnt vmcnt(0) lgkmcnt(0)
	s_barrier
	s_and_saveexec_b64 s[4:5], vcc
	s_cbranch_execz .LBB122_399
; %bb.397:
	buffer_load_dword v4, off, s[0:3], 0 offset:248
	buffer_load_dword v5, off, s[0:3], 0 offset:252
	buffer_load_dword v10, off, s[0:3], 0 offset:240
	buffer_load_dword v11, off, s[0:3], 0 offset:244
	s_movk_i32 s16, 0x100
	s_waitcnt vmcnt(2)
	v_mul_f64 v[12:13], v[2:3], v[4:5]
	v_mul_f64 v[4:5], v[0:1], v[4:5]
	s_waitcnt vmcnt(0)
	v_fma_f64 v[0:1], v[0:1], v[10:11], -v[12:13]
	v_fma_f64 v[2:3], v[2:3], v[10:11], v[4:5]
	buffer_store_dword v0, off, s[0:3], 0 offset:240
	buffer_store_dword v1, off, s[0:3], 0 offset:244
	;; [unrolled: 1-line block ×4, first 2 shown]
.LBB122_398:                            ; =>This Inner Loop Header: Depth=1
	buffer_load_dword v4, off, s[0:3], 0 offset:248
	buffer_load_dword v5, off, s[0:3], 0 offset:252
	;; [unrolled: 1-line block ×4, first 2 shown]
	v_mov_b32_e32 v32, s16
	buffer_load_dword v22, v32, s[0:3], 0 offen
	buffer_load_dword v23, v32, s[0:3], 0 offen offset:4
	buffer_load_dword v24, v32, s[0:3], 0 offen offset:8
	;; [unrolled: 1-line block ×3, first 2 shown]
	v_add_u32_e32 v10, s16, v16
	ds_read2_b64 v[0:3], v10 offset1:1
	buffer_load_dword v26, v32, s[0:3], 0 offen offset:16
	buffer_load_dword v27, v32, s[0:3], 0 offen offset:20
	;; [unrolled: 1-line block ×4, first 2 shown]
	ds_read2_b64 v[10:13], v10 offset0:2 offset1:3
	s_add_i32 s16, s16, 32
	s_cmpk_lg_i32 s16, 0x3e0
	s_waitcnt vmcnt(10) lgkmcnt(1)
	v_mul_f64 v[30:31], v[2:3], v[4:5]
	v_mul_f64 v[4:5], v[0:1], v[4:5]
	s_waitcnt vmcnt(8)
	v_fma_f64 v[0:1], v[0:1], v[20:21], -v[30:31]
	v_fma_f64 v[2:3], v[2:3], v[20:21], v[4:5]
	s_waitcnt vmcnt(6)
	v_add_f64 v[0:1], v[22:23], -v[0:1]
	s_waitcnt vmcnt(4)
	v_add_f64 v[2:3], v[24:25], -v[2:3]
	buffer_store_dword v1, v32, s[0:3], 0 offen offset:4
	buffer_store_dword v0, v32, s[0:3], 0 offen
	buffer_store_dword v3, v32, s[0:3], 0 offen offset:12
	buffer_store_dword v2, v32, s[0:3], 0 offen offset:8
	buffer_load_dword v1, off, s[0:3], 0 offset:252
	s_nop 0
	buffer_load_dword v0, off, s[0:3], 0 offset:248
	buffer_load_dword v3, off, s[0:3], 0 offset:244
	;; [unrolled: 1-line block ×3, first 2 shown]
	s_waitcnt vmcnt(2) lgkmcnt(0)
	v_mul_f64 v[4:5], v[12:13], v[0:1]
	v_mul_f64 v[0:1], v[10:11], v[0:1]
	s_waitcnt vmcnt(0)
	v_fma_f64 v[4:5], v[10:11], v[2:3], -v[4:5]
	v_fma_f64 v[0:1], v[12:13], v[2:3], v[0:1]
	v_add_f64 v[2:3], v[26:27], -v[4:5]
	v_add_f64 v[0:1], v[28:29], -v[0:1]
	buffer_store_dword v3, v32, s[0:3], 0 offen offset:20
	buffer_store_dword v2, v32, s[0:3], 0 offen offset:16
	;; [unrolled: 1-line block ×4, first 2 shown]
	s_cbranch_scc1 .LBB122_398
.LBB122_399:
	s_or_b64 exec, exec, s[4:5]
	v_mov_b32_e32 v3, s71
	s_waitcnt vmcnt(0)
	s_barrier
	buffer_load_dword v0, v3, s[0:3], 0 offen
	buffer_load_dword v1, v3, s[0:3], 0 offen offset:4
	buffer_load_dword v2, v3, s[0:3], 0 offen offset:8
	s_nop 0
	buffer_load_dword v3, v3, s[0:3], 0 offen offset:12
	v_lshl_add_u32 v4, v19, 4, v16
	s_cmp_lt_i32 s65, 18
	s_waitcnt vmcnt(0)
	ds_write2_b64 v4, v[0:1], v[2:3] offset1:1
	s_waitcnt lgkmcnt(0)
	s_barrier
	ds_read2_b64 v[0:3], v16 offset0:32 offset1:33
	v_mov_b32_e32 v4, 16
	s_cbranch_scc1 .LBB122_402
; %bb.400:
	v_add_u32_e32 v5, 0x110, v16
	s_mov_b32 s16, 17
	v_mov_b32_e32 v4, 16
.LBB122_401:                            ; =>This Inner Loop Header: Depth=1
	s_waitcnt lgkmcnt(0)
	v_cmp_gt_f64_e32 vcc, 0, v[2:3]
	v_cmp_gt_f64_e64 s[4:5], 0, v[0:1]
	ds_read2_b64 v[10:13], v5 offset1:1
	v_xor_b32_e32 v21, 0x80000000, v1
	v_xor_b32_e32 v23, 0x80000000, v3
	v_mov_b32_e32 v20, v0
	v_mov_b32_e32 v22, v2
	s_waitcnt lgkmcnt(0)
	v_xor_b32_e32 v25, 0x80000000, v13
	v_cndmask_b32_e32 v23, v3, v23, vcc
	v_cndmask_b32_e64 v21, v1, v21, s[4:5]
	v_cmp_gt_f64_e32 vcc, 0, v[12:13]
	v_cmp_gt_f64_e64 s[4:5], 0, v[10:11]
	v_add_f64 v[20:21], v[20:21], v[22:23]
	v_xor_b32_e32 v23, 0x80000000, v11
	v_mov_b32_e32 v22, v10
	v_mov_b32_e32 v24, v12
	v_add_u32_e32 v5, 16, v5
	v_cndmask_b32_e32 v25, v13, v25, vcc
	v_cndmask_b32_e64 v23, v11, v23, s[4:5]
	v_add_f64 v[22:23], v[22:23], v[24:25]
	v_mov_b32_e32 v24, s16
	s_add_i32 s16, s16, 1
	s_cmp_lg_u32 s65, s16
	v_cmp_lt_f64_e32 vcc, v[20:21], v[22:23]
	v_cndmask_b32_e32 v1, v1, v11, vcc
	v_cndmask_b32_e32 v0, v0, v10, vcc
	;; [unrolled: 1-line block ×5, first 2 shown]
	s_cbranch_scc1 .LBB122_401
.LBB122_402:
	s_waitcnt lgkmcnt(0)
	v_cmp_eq_f64_e32 vcc, 0, v[0:1]
	v_cmp_eq_f64_e64 s[4:5], 0, v[2:3]
	s_and_b64 s[4:5], vcc, s[4:5]
	s_and_saveexec_b64 s[16:17], s[4:5]
	s_xor_b64 s[4:5], exec, s[16:17]
; %bb.403:
	v_cmp_ne_u32_e32 vcc, 0, v17
	v_cndmask_b32_e32 v17, 17, v17, vcc
; %bb.404:
	s_andn2_saveexec_b64 s[4:5], s[4:5]
	s_cbranch_execz .LBB122_410
; %bb.405:
	v_cmp_ngt_f64_e64 s[16:17], |v[0:1]|, |v[2:3]|
	s_and_saveexec_b64 s[18:19], s[16:17]
	s_xor_b64 s[18:19], exec, s[18:19]
	s_cbranch_execz .LBB122_407
; %bb.406:
	v_div_scale_f64 v[10:11], s[16:17], v[2:3], v[2:3], v[0:1]
	v_rcp_f64_e32 v[12:13], v[10:11]
	v_fma_f64 v[20:21], -v[10:11], v[12:13], 1.0
	v_fma_f64 v[12:13], v[12:13], v[20:21], v[12:13]
	v_div_scale_f64 v[20:21], vcc, v[0:1], v[2:3], v[0:1]
	v_fma_f64 v[22:23], -v[10:11], v[12:13], 1.0
	v_fma_f64 v[12:13], v[12:13], v[22:23], v[12:13]
	v_mul_f64 v[22:23], v[20:21], v[12:13]
	v_fma_f64 v[10:11], -v[10:11], v[22:23], v[20:21]
	v_div_fmas_f64 v[10:11], v[10:11], v[12:13], v[22:23]
	v_div_fixup_f64 v[10:11], v[10:11], v[2:3], v[0:1]
	v_fma_f64 v[0:1], v[0:1], v[10:11], v[2:3]
	v_div_scale_f64 v[2:3], s[16:17], v[0:1], v[0:1], 1.0
	v_div_scale_f64 v[22:23], vcc, 1.0, v[0:1], 1.0
	v_rcp_f64_e32 v[12:13], v[2:3]
	v_fma_f64 v[20:21], -v[2:3], v[12:13], 1.0
	v_fma_f64 v[12:13], v[12:13], v[20:21], v[12:13]
	v_fma_f64 v[20:21], -v[2:3], v[12:13], 1.0
	v_fma_f64 v[12:13], v[12:13], v[20:21], v[12:13]
	v_mul_f64 v[20:21], v[22:23], v[12:13]
	v_fma_f64 v[2:3], -v[2:3], v[20:21], v[22:23]
	v_div_fmas_f64 v[2:3], v[2:3], v[12:13], v[20:21]
	v_div_fixup_f64 v[2:3], v[2:3], v[0:1], 1.0
	v_mul_f64 v[0:1], v[10:11], v[2:3]
	v_xor_b32_e32 v3, 0x80000000, v3
.LBB122_407:
	s_andn2_saveexec_b64 s[18:19], s[18:19]
	s_cbranch_execz .LBB122_409
; %bb.408:
	v_div_scale_f64 v[10:11], s[16:17], v[0:1], v[0:1], v[2:3]
	v_rcp_f64_e32 v[12:13], v[10:11]
	v_fma_f64 v[20:21], -v[10:11], v[12:13], 1.0
	v_fma_f64 v[12:13], v[12:13], v[20:21], v[12:13]
	v_div_scale_f64 v[20:21], vcc, v[2:3], v[0:1], v[2:3]
	v_fma_f64 v[22:23], -v[10:11], v[12:13], 1.0
	v_fma_f64 v[12:13], v[12:13], v[22:23], v[12:13]
	v_mul_f64 v[22:23], v[20:21], v[12:13]
	v_fma_f64 v[10:11], -v[10:11], v[22:23], v[20:21]
	v_div_fmas_f64 v[10:11], v[10:11], v[12:13], v[22:23]
	v_div_fixup_f64 v[10:11], v[10:11], v[0:1], v[2:3]
	v_fma_f64 v[0:1], v[2:3], v[10:11], v[0:1]
	v_div_scale_f64 v[2:3], s[16:17], v[0:1], v[0:1], 1.0
	v_div_scale_f64 v[22:23], vcc, 1.0, v[0:1], 1.0
	v_rcp_f64_e32 v[12:13], v[2:3]
	v_fma_f64 v[20:21], -v[2:3], v[12:13], 1.0
	v_fma_f64 v[12:13], v[12:13], v[20:21], v[12:13]
	v_fma_f64 v[20:21], -v[2:3], v[12:13], 1.0
	v_fma_f64 v[12:13], v[12:13], v[20:21], v[12:13]
	v_mul_f64 v[20:21], v[22:23], v[12:13]
	v_fma_f64 v[2:3], -v[2:3], v[20:21], v[22:23]
	v_div_fmas_f64 v[2:3], v[2:3], v[12:13], v[20:21]
	v_div_fixup_f64 v[0:1], v[2:3], v[0:1], 1.0
	v_mul_f64 v[2:3], v[10:11], -v[0:1]
.LBB122_409:
	s_or_b64 exec, exec, s[18:19]
.LBB122_410:
	s_or_b64 exec, exec, s[4:5]
	v_cmp_ne_u32_e32 vcc, v19, v4
	s_and_saveexec_b64 s[4:5], vcc
	s_xor_b64 s[4:5], exec, s[4:5]
	s_cbranch_execz .LBB122_416
; %bb.411:
	v_cmp_eq_u32_e32 vcc, 16, v19
	s_and_saveexec_b64 s[18:19], vcc
	s_cbranch_execz .LBB122_415
; %bb.412:
	v_cmp_ne_u32_e32 vcc, 16, v4
	s_xor_b64 s[16:17], s[22:23], -1
	s_and_b64 s[16:17], s[16:17], vcc
	s_and_saveexec_b64 s[24:25], s[16:17]
	s_cbranch_execz .LBB122_414
; %bb.413:
	v_ashrrev_i32_e32 v5, 31, v4
	v_lshlrev_b64 v[10:11], 2, v[4:5]
	v_add_co_u32_e32 v10, vcc, v8, v10
	v_addc_co_u32_e32 v11, vcc, v9, v11, vcc
	global_load_dword v5, v[10:11], off
	global_load_dword v12, v[8:9], off offset:64
	s_waitcnt vmcnt(1)
	global_store_dword v[8:9], v5, off offset:64
	s_waitcnt vmcnt(1)
	global_store_dword v[10:11], v12, off
.LBB122_414:
	s_or_b64 exec, exec, s[24:25]
	v_mov_b32_e32 v19, v4
	v_mov_b32_e32 v18, v4
.LBB122_415:
	s_or_b64 exec, exec, s[18:19]
.LBB122_416:
	s_andn2_saveexec_b64 s[4:5], s[4:5]
	s_cbranch_execz .LBB122_420
; %bb.417:
	s_movk_i32 s18, 0x110
.LBB122_418:                            ; =>This Inner Loop Header: Depth=1
	v_mov_b32_e32 v29, s18
	buffer_load_dword v4, v29, s[0:3], 0 offen
	buffer_load_dword v5, v29, s[0:3], 0 offen offset:4
	buffer_load_dword v10, v29, s[0:3], 0 offen offset:8
	;; [unrolled: 1-line block ×15, first 2 shown]
	v_add_u32_e32 v30, s18, v16
	s_addk_i32 s18, 0xf0
	s_cmpk_eq_i32 s18, 0x3e0
	s_waitcnt vmcnt(12)
	ds_write2_b64 v30, v[4:5], v[10:11] offset1:1
	s_waitcnt vmcnt(8)
	ds_write2_b64 v30, v[12:13], v[19:20] offset0:2 offset1:3
	s_waitcnt vmcnt(4)
	ds_write2_b64 v30, v[21:22], v[23:24] offset0:4 offset1:5
	;; [unrolled: 2-line block ×3, first 2 shown]
	buffer_load_dword v5, v29, s[0:3], 0 offen offset:76
	buffer_load_dword v4, v29, s[0:3], 0 offen offset:72
	buffer_load_dword v11, v29, s[0:3], 0 offen offset:68
	buffer_load_dword v10, v29, s[0:3], 0 offen offset:64
	s_waitcnt vmcnt(0)
	ds_write2_b64 v30, v[10:11], v[4:5] offset0:8 offset1:9
	buffer_load_dword v5, v29, s[0:3], 0 offen offset:92
	buffer_load_dword v4, v29, s[0:3], 0 offen offset:88
	buffer_load_dword v11, v29, s[0:3], 0 offen offset:84
	buffer_load_dword v10, v29, s[0:3], 0 offen offset:80
	s_waitcnt vmcnt(0)
	ds_write2_b64 v30, v[10:11], v[4:5] offset0:10 offset1:11
	;; [unrolled: 6-line block ×11, first 2 shown]
	s_cbranch_scc0 .LBB122_418
; %bb.419:
	v_mov_b32_e32 v19, 16
.LBB122_420:
	s_or_b64 exec, exec, s[4:5]
	v_cmp_lt_i32_e32 vcc, 16, v19
	s_waitcnt vmcnt(0) lgkmcnt(0)
	s_barrier
	s_and_saveexec_b64 s[4:5], vcc
	s_cbranch_execz .LBB122_423
; %bb.421:
	buffer_load_dword v4, off, s[0:3], 0 offset:264
	buffer_load_dword v5, off, s[0:3], 0 offset:268
	;; [unrolled: 1-line block ×4, first 2 shown]
	s_movk_i32 s18, 0x110
	s_waitcnt vmcnt(2)
	v_mul_f64 v[12:13], v[2:3], v[4:5]
	v_mul_f64 v[4:5], v[0:1], v[4:5]
	s_waitcnt vmcnt(0)
	v_fma_f64 v[0:1], v[0:1], v[10:11], -v[12:13]
	v_fma_f64 v[2:3], v[2:3], v[10:11], v[4:5]
	buffer_store_dword v0, off, s[0:3], 0 offset:256
	buffer_store_dword v1, off, s[0:3], 0 offset:260
	;; [unrolled: 1-line block ×4, first 2 shown]
.LBB122_422:                            ; =>This Inner Loop Header: Depth=1
	buffer_load_dword v4, off, s[0:3], 0 offset:264
	buffer_load_dword v5, off, s[0:3], 0 offset:268
	;; [unrolled: 1-line block ×4, first 2 shown]
	v_mov_b32_e32 v32, s18
	buffer_load_dword v22, v32, s[0:3], 0 offen
	buffer_load_dword v23, v32, s[0:3], 0 offen offset:4
	buffer_load_dword v24, v32, s[0:3], 0 offen offset:8
	;; [unrolled: 1-line block ×3, first 2 shown]
	v_add_u32_e32 v33, s18, v16
	ds_read2_b64 v[0:3], v33 offset1:1
	buffer_load_dword v26, v32, s[0:3], 0 offen offset:16
	buffer_load_dword v27, v32, s[0:3], 0 offen offset:20
	;; [unrolled: 1-line block ×4, first 2 shown]
	ds_read2_b64 v[10:13], v33 offset0:2 offset1:3
	s_addk_i32 s18, 0x50
	s_cmpk_lg_i32 s18, 0x3e0
	s_waitcnt vmcnt(10) lgkmcnt(1)
	v_mul_f64 v[30:31], v[2:3], v[4:5]
	v_mul_f64 v[4:5], v[0:1], v[4:5]
	s_waitcnt vmcnt(8)
	v_fma_f64 v[0:1], v[0:1], v[20:21], -v[30:31]
	v_fma_f64 v[2:3], v[2:3], v[20:21], v[4:5]
	s_waitcnt vmcnt(6)
	v_add_f64 v[0:1], v[22:23], -v[0:1]
	s_waitcnt vmcnt(4)
	v_add_f64 v[2:3], v[24:25], -v[2:3]
	buffer_store_dword v1, v32, s[0:3], 0 offen offset:4
	buffer_store_dword v0, v32, s[0:3], 0 offen
	buffer_store_dword v3, v32, s[0:3], 0 offen offset:12
	buffer_store_dword v2, v32, s[0:3], 0 offen offset:8
	buffer_load_dword v1, off, s[0:3], 0 offset:268
	s_nop 0
	buffer_load_dword v0, off, s[0:3], 0 offset:264
	buffer_load_dword v3, off, s[0:3], 0 offset:260
	;; [unrolled: 1-line block ×3, first 2 shown]
	buffer_load_dword v4, v32, s[0:3], 0 offen offset:32
	buffer_load_dword v5, v32, s[0:3], 0 offen offset:36
	;; [unrolled: 1-line block ×4, first 2 shown]
	s_waitcnt vmcnt(6) lgkmcnt(0)
	v_mul_f64 v[22:23], v[12:13], v[0:1]
	v_mul_f64 v[0:1], v[10:11], v[0:1]
	s_waitcnt vmcnt(4)
	v_fma_f64 v[10:11], v[10:11], v[2:3], -v[22:23]
	v_fma_f64 v[0:1], v[12:13], v[2:3], v[0:1]
	v_add_f64 v[2:3], v[26:27], -v[10:11]
	v_add_f64 v[0:1], v[28:29], -v[0:1]
	buffer_store_dword v3, v32, s[0:3], 0 offen offset:20
	buffer_store_dword v2, v32, s[0:3], 0 offen offset:16
	;; [unrolled: 1-line block ×4, first 2 shown]
	buffer_load_dword v22, off, s[0:3], 0 offset:264
	buffer_load_dword v23, off, s[0:3], 0 offset:268
	;; [unrolled: 1-line block ×4, first 2 shown]
	ds_read2_b64 v[0:3], v33 offset0:4 offset1:5
	ds_read2_b64 v[10:13], v33 offset0:6 offset1:7
	s_waitcnt vmcnt(2) lgkmcnt(1)
	v_mul_f64 v[26:27], v[2:3], v[22:23]
	v_mul_f64 v[22:23], v[0:1], v[22:23]
	s_waitcnt vmcnt(0)
	v_fma_f64 v[0:1], v[0:1], v[24:25], -v[26:27]
	v_fma_f64 v[2:3], v[2:3], v[24:25], v[22:23]
	v_add_f64 v[0:1], v[4:5], -v[0:1]
	v_add_f64 v[2:3], v[20:21], -v[2:3]
	buffer_store_dword v1, v32, s[0:3], 0 offen offset:36
	buffer_store_dword v0, v32, s[0:3], 0 offen offset:32
	;; [unrolled: 1-line block ×4, first 2 shown]
	buffer_load_dword v0, off, s[0:3], 0 offset:264
	s_nop 0
	buffer_load_dword v1, off, s[0:3], 0 offset:268
	buffer_load_dword v2, off, s[0:3], 0 offset:256
	;; [unrolled: 1-line block ×3, first 2 shown]
	buffer_load_dword v4, v32, s[0:3], 0 offen offset:48
	buffer_load_dword v5, v32, s[0:3], 0 offen offset:52
	;; [unrolled: 1-line block ×4, first 2 shown]
	s_waitcnt vmcnt(6) lgkmcnt(0)
	v_mul_f64 v[22:23], v[12:13], v[0:1]
	v_mul_f64 v[0:1], v[10:11], v[0:1]
	s_waitcnt vmcnt(4)
	v_fma_f64 v[10:11], v[10:11], v[2:3], -v[22:23]
	v_fma_f64 v[0:1], v[12:13], v[2:3], v[0:1]
	s_waitcnt vmcnt(2)
	v_add_f64 v[2:3], v[4:5], -v[10:11]
	s_waitcnt vmcnt(0)
	v_add_f64 v[0:1], v[20:21], -v[0:1]
	buffer_store_dword v3, v32, s[0:3], 0 offen offset:52
	buffer_store_dword v2, v32, s[0:3], 0 offen offset:48
	;; [unrolled: 1-line block ×4, first 2 shown]
	buffer_load_dword v4, off, s[0:3], 0 offset:264
	buffer_load_dword v5, off, s[0:3], 0 offset:268
	;; [unrolled: 1-line block ×4, first 2 shown]
	buffer_load_dword v12, v32, s[0:3], 0 offen offset:64
	buffer_load_dword v13, v32, s[0:3], 0 offen offset:68
	;; [unrolled: 1-line block ×4, first 2 shown]
	ds_read2_b64 v[0:3], v33 offset0:8 offset1:9
	s_waitcnt vmcnt(6) lgkmcnt(0)
	v_mul_f64 v[22:23], v[2:3], v[4:5]
	v_mul_f64 v[4:5], v[0:1], v[4:5]
	s_waitcnt vmcnt(4)
	v_fma_f64 v[0:1], v[0:1], v[10:11], -v[22:23]
	v_fma_f64 v[2:3], v[2:3], v[10:11], v[4:5]
	s_waitcnt vmcnt(2)
	v_add_f64 v[0:1], v[12:13], -v[0:1]
	s_waitcnt vmcnt(0)
	v_add_f64 v[2:3], v[20:21], -v[2:3]
	buffer_store_dword v1, v32, s[0:3], 0 offen offset:68
	buffer_store_dword v0, v32, s[0:3], 0 offen offset:64
	buffer_store_dword v3, v32, s[0:3], 0 offen offset:76
	buffer_store_dword v2, v32, s[0:3], 0 offen offset:72
	s_cbranch_scc1 .LBB122_422
.LBB122_423:
	s_or_b64 exec, exec, s[4:5]
	v_mov_b32_e32 v3, s70
	s_waitcnt vmcnt(0)
	s_barrier
	buffer_load_dword v0, v3, s[0:3], 0 offen
	buffer_load_dword v1, v3, s[0:3], 0 offen offset:4
	buffer_load_dword v2, v3, s[0:3], 0 offen offset:8
	s_nop 0
	buffer_load_dword v3, v3, s[0:3], 0 offen offset:12
	v_lshl_add_u32 v4, v19, 4, v16
	s_cmp_lt_i32 s65, 19
	s_waitcnt vmcnt(0)
	ds_write2_b64 v4, v[0:1], v[2:3] offset1:1
	s_waitcnt lgkmcnt(0)
	s_barrier
	ds_read2_b64 v[0:3], v16 offset0:34 offset1:35
	v_mov_b32_e32 v4, 17
	s_cbranch_scc1 .LBB122_426
; %bb.424:
	v_add_u32_e32 v5, 0x120, v16
	s_mov_b32 s16, 18
	v_mov_b32_e32 v4, 17
.LBB122_425:                            ; =>This Inner Loop Header: Depth=1
	s_waitcnt lgkmcnt(0)
	v_cmp_gt_f64_e32 vcc, 0, v[2:3]
	v_cmp_gt_f64_e64 s[4:5], 0, v[0:1]
	ds_read2_b64 v[10:13], v5 offset1:1
	v_xor_b32_e32 v21, 0x80000000, v1
	v_xor_b32_e32 v23, 0x80000000, v3
	v_mov_b32_e32 v20, v0
	v_mov_b32_e32 v22, v2
	s_waitcnt lgkmcnt(0)
	v_xor_b32_e32 v25, 0x80000000, v13
	v_cndmask_b32_e32 v23, v3, v23, vcc
	v_cndmask_b32_e64 v21, v1, v21, s[4:5]
	v_cmp_gt_f64_e32 vcc, 0, v[12:13]
	v_cmp_gt_f64_e64 s[4:5], 0, v[10:11]
	v_add_f64 v[20:21], v[20:21], v[22:23]
	v_xor_b32_e32 v23, 0x80000000, v11
	v_mov_b32_e32 v22, v10
	v_mov_b32_e32 v24, v12
	v_add_u32_e32 v5, 16, v5
	v_cndmask_b32_e32 v25, v13, v25, vcc
	v_cndmask_b32_e64 v23, v11, v23, s[4:5]
	v_add_f64 v[22:23], v[22:23], v[24:25]
	v_mov_b32_e32 v24, s16
	s_add_i32 s16, s16, 1
	s_cmp_lg_u32 s65, s16
	v_cmp_lt_f64_e32 vcc, v[20:21], v[22:23]
	v_cndmask_b32_e32 v1, v1, v11, vcc
	v_cndmask_b32_e32 v0, v0, v10, vcc
	;; [unrolled: 1-line block ×5, first 2 shown]
	s_cbranch_scc1 .LBB122_425
.LBB122_426:
	s_waitcnt lgkmcnt(0)
	v_cmp_eq_f64_e32 vcc, 0, v[0:1]
	v_cmp_eq_f64_e64 s[4:5], 0, v[2:3]
	s_and_b64 s[4:5], vcc, s[4:5]
	s_and_saveexec_b64 s[16:17], s[4:5]
	s_xor_b64 s[4:5], exec, s[16:17]
; %bb.427:
	v_cmp_ne_u32_e32 vcc, 0, v17
	v_cndmask_b32_e32 v17, 18, v17, vcc
; %bb.428:
	s_andn2_saveexec_b64 s[4:5], s[4:5]
	s_cbranch_execz .LBB122_434
; %bb.429:
	v_cmp_ngt_f64_e64 s[16:17], |v[0:1]|, |v[2:3]|
	s_and_saveexec_b64 s[18:19], s[16:17]
	s_xor_b64 s[18:19], exec, s[18:19]
	s_cbranch_execz .LBB122_431
; %bb.430:
	v_div_scale_f64 v[10:11], s[16:17], v[2:3], v[2:3], v[0:1]
	v_rcp_f64_e32 v[12:13], v[10:11]
	v_fma_f64 v[20:21], -v[10:11], v[12:13], 1.0
	v_fma_f64 v[12:13], v[12:13], v[20:21], v[12:13]
	v_div_scale_f64 v[20:21], vcc, v[0:1], v[2:3], v[0:1]
	v_fma_f64 v[22:23], -v[10:11], v[12:13], 1.0
	v_fma_f64 v[12:13], v[12:13], v[22:23], v[12:13]
	v_mul_f64 v[22:23], v[20:21], v[12:13]
	v_fma_f64 v[10:11], -v[10:11], v[22:23], v[20:21]
	v_div_fmas_f64 v[10:11], v[10:11], v[12:13], v[22:23]
	v_div_fixup_f64 v[10:11], v[10:11], v[2:3], v[0:1]
	v_fma_f64 v[0:1], v[0:1], v[10:11], v[2:3]
	v_div_scale_f64 v[2:3], s[16:17], v[0:1], v[0:1], 1.0
	v_div_scale_f64 v[22:23], vcc, 1.0, v[0:1], 1.0
	v_rcp_f64_e32 v[12:13], v[2:3]
	v_fma_f64 v[20:21], -v[2:3], v[12:13], 1.0
	v_fma_f64 v[12:13], v[12:13], v[20:21], v[12:13]
	v_fma_f64 v[20:21], -v[2:3], v[12:13], 1.0
	v_fma_f64 v[12:13], v[12:13], v[20:21], v[12:13]
	v_mul_f64 v[20:21], v[22:23], v[12:13]
	v_fma_f64 v[2:3], -v[2:3], v[20:21], v[22:23]
	v_div_fmas_f64 v[2:3], v[2:3], v[12:13], v[20:21]
	v_div_fixup_f64 v[2:3], v[2:3], v[0:1], 1.0
	v_mul_f64 v[0:1], v[10:11], v[2:3]
	v_xor_b32_e32 v3, 0x80000000, v3
.LBB122_431:
	s_andn2_saveexec_b64 s[18:19], s[18:19]
	s_cbranch_execz .LBB122_433
; %bb.432:
	v_div_scale_f64 v[10:11], s[16:17], v[0:1], v[0:1], v[2:3]
	v_rcp_f64_e32 v[12:13], v[10:11]
	v_fma_f64 v[20:21], -v[10:11], v[12:13], 1.0
	v_fma_f64 v[12:13], v[12:13], v[20:21], v[12:13]
	v_div_scale_f64 v[20:21], vcc, v[2:3], v[0:1], v[2:3]
	v_fma_f64 v[22:23], -v[10:11], v[12:13], 1.0
	v_fma_f64 v[12:13], v[12:13], v[22:23], v[12:13]
	v_mul_f64 v[22:23], v[20:21], v[12:13]
	v_fma_f64 v[10:11], -v[10:11], v[22:23], v[20:21]
	v_div_fmas_f64 v[10:11], v[10:11], v[12:13], v[22:23]
	v_div_fixup_f64 v[10:11], v[10:11], v[0:1], v[2:3]
	v_fma_f64 v[0:1], v[2:3], v[10:11], v[0:1]
	v_div_scale_f64 v[2:3], s[16:17], v[0:1], v[0:1], 1.0
	v_div_scale_f64 v[22:23], vcc, 1.0, v[0:1], 1.0
	v_rcp_f64_e32 v[12:13], v[2:3]
	v_fma_f64 v[20:21], -v[2:3], v[12:13], 1.0
	v_fma_f64 v[12:13], v[12:13], v[20:21], v[12:13]
	v_fma_f64 v[20:21], -v[2:3], v[12:13], 1.0
	v_fma_f64 v[12:13], v[12:13], v[20:21], v[12:13]
	v_mul_f64 v[20:21], v[22:23], v[12:13]
	v_fma_f64 v[2:3], -v[2:3], v[20:21], v[22:23]
	v_div_fmas_f64 v[2:3], v[2:3], v[12:13], v[20:21]
	v_div_fixup_f64 v[0:1], v[2:3], v[0:1], 1.0
	v_mul_f64 v[2:3], v[10:11], -v[0:1]
.LBB122_433:
	s_or_b64 exec, exec, s[18:19]
.LBB122_434:
	s_or_b64 exec, exec, s[4:5]
	v_cmp_ne_u32_e32 vcc, v19, v4
	s_and_saveexec_b64 s[4:5], vcc
	s_xor_b64 s[4:5], exec, s[4:5]
	s_cbranch_execz .LBB122_440
; %bb.435:
	v_cmp_eq_u32_e32 vcc, 17, v19
	s_and_saveexec_b64 s[18:19], vcc
	s_cbranch_execz .LBB122_439
; %bb.436:
	v_cmp_ne_u32_e32 vcc, 17, v4
	s_xor_b64 s[16:17], s[22:23], -1
	s_and_b64 s[16:17], s[16:17], vcc
	s_and_saveexec_b64 s[24:25], s[16:17]
	s_cbranch_execz .LBB122_438
; %bb.437:
	v_ashrrev_i32_e32 v5, 31, v4
	v_lshlrev_b64 v[10:11], 2, v[4:5]
	v_add_co_u32_e32 v10, vcc, v8, v10
	v_addc_co_u32_e32 v11, vcc, v9, v11, vcc
	global_load_dword v5, v[10:11], off
	global_load_dword v12, v[8:9], off offset:68
	s_waitcnt vmcnt(1)
	global_store_dword v[8:9], v5, off offset:68
	s_waitcnt vmcnt(1)
	global_store_dword v[10:11], v12, off
.LBB122_438:
	s_or_b64 exec, exec, s[24:25]
	v_mov_b32_e32 v19, v4
	v_mov_b32_e32 v18, v4
.LBB122_439:
	s_or_b64 exec, exec, s[18:19]
.LBB122_440:
	s_andn2_saveexec_b64 s[4:5], s[4:5]
	s_cbranch_execz .LBB122_444
; %bb.441:
	s_movk_i32 s16, 0x120
.LBB122_442:                            ; =>This Inner Loop Header: Depth=1
	v_mov_b32_e32 v56, s16
	buffer_load_dword v4, v56, s[0:3], 0 offen
	buffer_load_dword v5, v56, s[0:3], 0 offen offset:4
	buffer_load_dword v10, v56, s[0:3], 0 offen offset:8
	;; [unrolled: 1-line block ×42, first 2 shown]
	s_nop 0
	buffer_load_dword v56, v56, s[0:3], 0 offen offset:172
	v_add_u32_e32 v57, s16, v16
	s_addk_i32 s16, 0xb0
	s_cmpk_eq_i32 s16, 0x3e0
	s_waitcnt vmcnt(40)
	ds_write2_b64 v57, v[4:5], v[10:11] offset1:1
	s_waitcnt vmcnt(36)
	ds_write2_b64 v57, v[12:13], v[19:20] offset0:2 offset1:3
	s_waitcnt vmcnt(32)
	ds_write2_b64 v57, v[21:22], v[23:24] offset0:4 offset1:5
	;; [unrolled: 2-line block ×4, first 2 shown]
	ds_write2_b64 v57, v[33:34], v[31:32] offset0:10 offset1:11
	s_waitcnt vmcnt(12)
	ds_write2_b64 v57, v[43:44], v[37:38] offset0:12 offset1:13
	ds_write2_b64 v57, v[41:42], v[39:40] offset0:14 offset1:15
	s_waitcnt vmcnt(8)
	ds_write2_b64 v57, v[45:46], v[47:48] offset0:16 offset1:17
	s_waitcnt vmcnt(4)
	;; [unrolled: 2-line block ×3, first 2 shown]
	ds_write2_b64 v57, v[53:54], v[55:56] offset0:20 offset1:21
	s_cbranch_scc0 .LBB122_442
; %bb.443:
	v_mov_b32_e32 v19, 17
.LBB122_444:
	s_or_b64 exec, exec, s[4:5]
	v_cmp_lt_i32_e32 vcc, 17, v19
	s_waitcnt vmcnt(0) lgkmcnt(0)
	s_barrier
	s_and_saveexec_b64 s[4:5], vcc
	s_cbranch_execz .LBB122_447
; %bb.445:
	buffer_load_dword v4, off, s[0:3], 0 offset:280
	buffer_load_dword v5, off, s[0:3], 0 offset:284
	;; [unrolled: 1-line block ×4, first 2 shown]
	s_movk_i32 s18, 0x120
	s_waitcnt vmcnt(2)
	v_mul_f64 v[12:13], v[2:3], v[4:5]
	v_mul_f64 v[4:5], v[0:1], v[4:5]
	s_waitcnt vmcnt(0)
	v_fma_f64 v[0:1], v[0:1], v[10:11], -v[12:13]
	v_fma_f64 v[2:3], v[2:3], v[10:11], v[4:5]
	buffer_store_dword v0, off, s[0:3], 0 offset:272
	buffer_store_dword v1, off, s[0:3], 0 offset:276
	;; [unrolled: 1-line block ×4, first 2 shown]
.LBB122_446:                            ; =>This Inner Loop Header: Depth=1
	buffer_load_dword v4, off, s[0:3], 0 offset:280
	buffer_load_dword v5, off, s[0:3], 0 offset:284
	;; [unrolled: 1-line block ×4, first 2 shown]
	v_mov_b32_e32 v32, s18
	buffer_load_dword v22, v32, s[0:3], 0 offen
	buffer_load_dword v23, v32, s[0:3], 0 offen offset:4
	buffer_load_dword v24, v32, s[0:3], 0 offen offset:8
	buffer_load_dword v25, v32, s[0:3], 0 offen offset:12
	v_add_u32_e32 v33, s18, v16
	ds_read2_b64 v[0:3], v33 offset1:1
	buffer_load_dword v26, v32, s[0:3], 0 offen offset:16
	buffer_load_dword v27, v32, s[0:3], 0 offen offset:20
	;; [unrolled: 1-line block ×4, first 2 shown]
	ds_read2_b64 v[10:13], v33 offset0:2 offset1:3
	s_add_i32 s18, s18, 64
	s_cmpk_lg_i32 s18, 0x3e0
	s_waitcnt vmcnt(10) lgkmcnt(1)
	v_mul_f64 v[30:31], v[2:3], v[4:5]
	v_mul_f64 v[4:5], v[0:1], v[4:5]
	s_waitcnt vmcnt(8)
	v_fma_f64 v[0:1], v[0:1], v[20:21], -v[30:31]
	v_fma_f64 v[2:3], v[2:3], v[20:21], v[4:5]
	s_waitcnt vmcnt(6)
	v_add_f64 v[0:1], v[22:23], -v[0:1]
	s_waitcnt vmcnt(4)
	v_add_f64 v[2:3], v[24:25], -v[2:3]
	buffer_store_dword v1, v32, s[0:3], 0 offen offset:4
	buffer_store_dword v0, v32, s[0:3], 0 offen
	buffer_store_dword v3, v32, s[0:3], 0 offen offset:12
	buffer_store_dword v2, v32, s[0:3], 0 offen offset:8
	buffer_load_dword v1, off, s[0:3], 0 offset:284
	s_nop 0
	buffer_load_dword v0, off, s[0:3], 0 offset:280
	buffer_load_dword v3, off, s[0:3], 0 offset:276
	buffer_load_dword v2, off, s[0:3], 0 offset:272
	buffer_load_dword v4, v32, s[0:3], 0 offen offset:32
	buffer_load_dword v5, v32, s[0:3], 0 offen offset:36
	;; [unrolled: 1-line block ×4, first 2 shown]
	s_waitcnt vmcnt(6) lgkmcnt(0)
	v_mul_f64 v[22:23], v[12:13], v[0:1]
	v_mul_f64 v[0:1], v[10:11], v[0:1]
	s_waitcnt vmcnt(4)
	v_fma_f64 v[10:11], v[10:11], v[2:3], -v[22:23]
	v_fma_f64 v[0:1], v[12:13], v[2:3], v[0:1]
	v_add_f64 v[2:3], v[26:27], -v[10:11]
	v_add_f64 v[0:1], v[28:29], -v[0:1]
	buffer_store_dword v3, v32, s[0:3], 0 offen offset:20
	buffer_store_dword v2, v32, s[0:3], 0 offen offset:16
	;; [unrolled: 1-line block ×4, first 2 shown]
	buffer_load_dword v22, off, s[0:3], 0 offset:280
	buffer_load_dword v23, off, s[0:3], 0 offset:284
	;; [unrolled: 1-line block ×4, first 2 shown]
	ds_read2_b64 v[0:3], v33 offset0:4 offset1:5
	ds_read2_b64 v[10:13], v33 offset0:6 offset1:7
	s_waitcnt vmcnt(2) lgkmcnt(1)
	v_mul_f64 v[26:27], v[2:3], v[22:23]
	v_mul_f64 v[22:23], v[0:1], v[22:23]
	s_waitcnt vmcnt(0)
	v_fma_f64 v[0:1], v[0:1], v[24:25], -v[26:27]
	v_fma_f64 v[2:3], v[2:3], v[24:25], v[22:23]
	v_add_f64 v[0:1], v[4:5], -v[0:1]
	v_add_f64 v[2:3], v[20:21], -v[2:3]
	buffer_store_dword v1, v32, s[0:3], 0 offen offset:36
	buffer_store_dword v0, v32, s[0:3], 0 offen offset:32
	;; [unrolled: 1-line block ×4, first 2 shown]
	buffer_load_dword v0, off, s[0:3], 0 offset:280
	s_nop 0
	buffer_load_dword v1, off, s[0:3], 0 offset:284
	buffer_load_dword v2, off, s[0:3], 0 offset:272
	buffer_load_dword v3, off, s[0:3], 0 offset:276
	buffer_load_dword v4, v32, s[0:3], 0 offen offset:48
	buffer_load_dword v5, v32, s[0:3], 0 offen offset:52
	;; [unrolled: 1-line block ×4, first 2 shown]
	s_waitcnt vmcnt(6) lgkmcnt(0)
	v_mul_f64 v[22:23], v[12:13], v[0:1]
	v_mul_f64 v[0:1], v[10:11], v[0:1]
	s_waitcnt vmcnt(4)
	v_fma_f64 v[10:11], v[10:11], v[2:3], -v[22:23]
	v_fma_f64 v[0:1], v[12:13], v[2:3], v[0:1]
	s_waitcnt vmcnt(2)
	v_add_f64 v[2:3], v[4:5], -v[10:11]
	s_waitcnt vmcnt(0)
	v_add_f64 v[0:1], v[20:21], -v[0:1]
	buffer_store_dword v3, v32, s[0:3], 0 offen offset:52
	buffer_store_dword v2, v32, s[0:3], 0 offen offset:48
	;; [unrolled: 1-line block ×4, first 2 shown]
	s_cbranch_scc1 .LBB122_446
.LBB122_447:
	s_or_b64 exec, exec, s[4:5]
	v_mov_b32_e32 v3, s69
	s_waitcnt vmcnt(0)
	s_barrier
	buffer_load_dword v0, v3, s[0:3], 0 offen
	buffer_load_dword v1, v3, s[0:3], 0 offen offset:4
	buffer_load_dword v2, v3, s[0:3], 0 offen offset:8
	s_nop 0
	buffer_load_dword v3, v3, s[0:3], 0 offen offset:12
	v_lshl_add_u32 v4, v19, 4, v16
	s_cmp_lt_i32 s65, 20
	s_waitcnt vmcnt(0)
	ds_write2_b64 v4, v[0:1], v[2:3] offset1:1
	s_waitcnt lgkmcnt(0)
	s_barrier
	ds_read2_b64 v[0:3], v16 offset0:36 offset1:37
	v_mov_b32_e32 v4, 18
	s_cbranch_scc1 .LBB122_450
; %bb.448:
	v_add_u32_e32 v5, 0x130, v16
	s_mov_b32 s16, 19
	v_mov_b32_e32 v4, 18
.LBB122_449:                            ; =>This Inner Loop Header: Depth=1
	s_waitcnt lgkmcnt(0)
	v_cmp_gt_f64_e32 vcc, 0, v[2:3]
	v_cmp_gt_f64_e64 s[4:5], 0, v[0:1]
	ds_read2_b64 v[10:13], v5 offset1:1
	v_xor_b32_e32 v21, 0x80000000, v1
	v_xor_b32_e32 v23, 0x80000000, v3
	v_mov_b32_e32 v20, v0
	v_mov_b32_e32 v22, v2
	s_waitcnt lgkmcnt(0)
	v_xor_b32_e32 v25, 0x80000000, v13
	v_cndmask_b32_e32 v23, v3, v23, vcc
	v_cndmask_b32_e64 v21, v1, v21, s[4:5]
	v_cmp_gt_f64_e32 vcc, 0, v[12:13]
	v_cmp_gt_f64_e64 s[4:5], 0, v[10:11]
	v_add_f64 v[20:21], v[20:21], v[22:23]
	v_xor_b32_e32 v23, 0x80000000, v11
	v_mov_b32_e32 v22, v10
	v_mov_b32_e32 v24, v12
	v_add_u32_e32 v5, 16, v5
	v_cndmask_b32_e32 v25, v13, v25, vcc
	v_cndmask_b32_e64 v23, v11, v23, s[4:5]
	v_add_f64 v[22:23], v[22:23], v[24:25]
	v_mov_b32_e32 v24, s16
	s_add_i32 s16, s16, 1
	s_cmp_lg_u32 s65, s16
	v_cmp_lt_f64_e32 vcc, v[20:21], v[22:23]
	v_cndmask_b32_e32 v1, v1, v11, vcc
	v_cndmask_b32_e32 v0, v0, v10, vcc
	;; [unrolled: 1-line block ×5, first 2 shown]
	s_cbranch_scc1 .LBB122_449
.LBB122_450:
	s_waitcnt lgkmcnt(0)
	v_cmp_eq_f64_e32 vcc, 0, v[0:1]
	v_cmp_eq_f64_e64 s[4:5], 0, v[2:3]
	s_and_b64 s[4:5], vcc, s[4:5]
	s_and_saveexec_b64 s[16:17], s[4:5]
	s_xor_b64 s[4:5], exec, s[16:17]
; %bb.451:
	v_cmp_ne_u32_e32 vcc, 0, v17
	v_cndmask_b32_e32 v17, 19, v17, vcc
; %bb.452:
	s_andn2_saveexec_b64 s[4:5], s[4:5]
	s_cbranch_execz .LBB122_458
; %bb.453:
	v_cmp_ngt_f64_e64 s[16:17], |v[0:1]|, |v[2:3]|
	s_and_saveexec_b64 s[18:19], s[16:17]
	s_xor_b64 s[18:19], exec, s[18:19]
	s_cbranch_execz .LBB122_455
; %bb.454:
	v_div_scale_f64 v[10:11], s[16:17], v[2:3], v[2:3], v[0:1]
	v_rcp_f64_e32 v[12:13], v[10:11]
	v_fma_f64 v[20:21], -v[10:11], v[12:13], 1.0
	v_fma_f64 v[12:13], v[12:13], v[20:21], v[12:13]
	v_div_scale_f64 v[20:21], vcc, v[0:1], v[2:3], v[0:1]
	v_fma_f64 v[22:23], -v[10:11], v[12:13], 1.0
	v_fma_f64 v[12:13], v[12:13], v[22:23], v[12:13]
	v_mul_f64 v[22:23], v[20:21], v[12:13]
	v_fma_f64 v[10:11], -v[10:11], v[22:23], v[20:21]
	v_div_fmas_f64 v[10:11], v[10:11], v[12:13], v[22:23]
	v_div_fixup_f64 v[10:11], v[10:11], v[2:3], v[0:1]
	v_fma_f64 v[0:1], v[0:1], v[10:11], v[2:3]
	v_div_scale_f64 v[2:3], s[16:17], v[0:1], v[0:1], 1.0
	v_div_scale_f64 v[22:23], vcc, 1.0, v[0:1], 1.0
	v_rcp_f64_e32 v[12:13], v[2:3]
	v_fma_f64 v[20:21], -v[2:3], v[12:13], 1.0
	v_fma_f64 v[12:13], v[12:13], v[20:21], v[12:13]
	v_fma_f64 v[20:21], -v[2:3], v[12:13], 1.0
	v_fma_f64 v[12:13], v[12:13], v[20:21], v[12:13]
	v_mul_f64 v[20:21], v[22:23], v[12:13]
	v_fma_f64 v[2:3], -v[2:3], v[20:21], v[22:23]
	v_div_fmas_f64 v[2:3], v[2:3], v[12:13], v[20:21]
	v_div_fixup_f64 v[2:3], v[2:3], v[0:1], 1.0
	v_mul_f64 v[0:1], v[10:11], v[2:3]
	v_xor_b32_e32 v3, 0x80000000, v3
.LBB122_455:
	s_andn2_saveexec_b64 s[18:19], s[18:19]
	s_cbranch_execz .LBB122_457
; %bb.456:
	v_div_scale_f64 v[10:11], s[16:17], v[0:1], v[0:1], v[2:3]
	v_rcp_f64_e32 v[12:13], v[10:11]
	v_fma_f64 v[20:21], -v[10:11], v[12:13], 1.0
	v_fma_f64 v[12:13], v[12:13], v[20:21], v[12:13]
	v_div_scale_f64 v[20:21], vcc, v[2:3], v[0:1], v[2:3]
	v_fma_f64 v[22:23], -v[10:11], v[12:13], 1.0
	v_fma_f64 v[12:13], v[12:13], v[22:23], v[12:13]
	v_mul_f64 v[22:23], v[20:21], v[12:13]
	v_fma_f64 v[10:11], -v[10:11], v[22:23], v[20:21]
	v_div_fmas_f64 v[10:11], v[10:11], v[12:13], v[22:23]
	v_div_fixup_f64 v[10:11], v[10:11], v[0:1], v[2:3]
	v_fma_f64 v[0:1], v[2:3], v[10:11], v[0:1]
	v_div_scale_f64 v[2:3], s[16:17], v[0:1], v[0:1], 1.0
	v_div_scale_f64 v[22:23], vcc, 1.0, v[0:1], 1.0
	v_rcp_f64_e32 v[12:13], v[2:3]
	v_fma_f64 v[20:21], -v[2:3], v[12:13], 1.0
	v_fma_f64 v[12:13], v[12:13], v[20:21], v[12:13]
	v_fma_f64 v[20:21], -v[2:3], v[12:13], 1.0
	v_fma_f64 v[12:13], v[12:13], v[20:21], v[12:13]
	v_mul_f64 v[20:21], v[22:23], v[12:13]
	v_fma_f64 v[2:3], -v[2:3], v[20:21], v[22:23]
	v_div_fmas_f64 v[2:3], v[2:3], v[12:13], v[20:21]
	v_div_fixup_f64 v[0:1], v[2:3], v[0:1], 1.0
	v_mul_f64 v[2:3], v[10:11], -v[0:1]
.LBB122_457:
	s_or_b64 exec, exec, s[18:19]
.LBB122_458:
	s_or_b64 exec, exec, s[4:5]
	v_cmp_ne_u32_e32 vcc, v19, v4
	s_and_saveexec_b64 s[4:5], vcc
	s_xor_b64 s[4:5], exec, s[4:5]
	s_cbranch_execz .LBB122_464
; %bb.459:
	v_cmp_eq_u32_e32 vcc, 18, v19
	s_and_saveexec_b64 s[18:19], vcc
	s_cbranch_execz .LBB122_463
; %bb.460:
	v_cmp_ne_u32_e32 vcc, 18, v4
	s_xor_b64 s[16:17], s[22:23], -1
	s_and_b64 s[16:17], s[16:17], vcc
	s_and_saveexec_b64 s[24:25], s[16:17]
	s_cbranch_execz .LBB122_462
; %bb.461:
	v_ashrrev_i32_e32 v5, 31, v4
	v_lshlrev_b64 v[10:11], 2, v[4:5]
	v_add_co_u32_e32 v10, vcc, v8, v10
	v_addc_co_u32_e32 v11, vcc, v9, v11, vcc
	global_load_dword v5, v[10:11], off
	global_load_dword v12, v[8:9], off offset:72
	s_waitcnt vmcnt(1)
	global_store_dword v[8:9], v5, off offset:72
	s_waitcnt vmcnt(1)
	global_store_dword v[10:11], v12, off
.LBB122_462:
	s_or_b64 exec, exec, s[24:25]
	v_mov_b32_e32 v19, v4
	v_mov_b32_e32 v18, v4
.LBB122_463:
	s_or_b64 exec, exec, s[18:19]
.LBB122_464:
	s_andn2_saveexec_b64 s[4:5], s[4:5]
	s_cbranch_execz .LBB122_470
; %bb.465:
	s_movk_i32 s16, 0x130
	s_branch .LBB122_467
.LBB122_466:                            ;   in Loop: Header=BB122_467 Depth=1
	s_andn2_b64 vcc, exec, s[18:19]
	s_cbranch_vccz .LBB122_469
.LBB122_467:                            ; =>This Inner Loop Header: Depth=1
	v_mov_b32_e32 v4, s16
	buffer_load_dword v10, v4, s[0:3], 0 offen
	buffer_load_dword v11, v4, s[0:3], 0 offen offset:4
	buffer_load_dword v12, v4, s[0:3], 0 offen offset:8
	buffer_load_dword v13, v4, s[0:3], 0 offen offset:12
	buffer_load_dword v19, v4, s[0:3], 0 offen offset:16
	buffer_load_dword v20, v4, s[0:3], 0 offen offset:20
	buffer_load_dword v21, v4, s[0:3], 0 offen offset:24
	buffer_load_dword v22, v4, s[0:3], 0 offen offset:28
	buffer_load_dword v23, v4, s[0:3], 0 offen offset:32
	buffer_load_dword v24, v4, s[0:3], 0 offen offset:36
	buffer_load_dword v25, v4, s[0:3], 0 offen offset:40
	buffer_load_dword v26, v4, s[0:3], 0 offen offset:44
	s_mov_b32 s17, s16
	v_add_u32_e32 v4, s16, v16
	s_cmpk_eq_i32 s16, 0x3b0
	s_mov_b64 s[18:19], -1
	s_waitcnt vmcnt(8)
	ds_write2_b64 v4, v[10:11], v[12:13] offset1:1
	s_waitcnt vmcnt(4)
	ds_write2_b64 v4, v[19:20], v[21:22] offset0:2 offset1:3
	s_waitcnt vmcnt(0)
	ds_write2_b64 v4, v[23:24], v[25:26] offset0:4 offset1:5
	s_cbranch_scc1 .LBB122_466
; %bb.468:                              ;   in Loop: Header=BB122_467 Depth=1
	v_mov_b32_e32 v5, s17
	buffer_load_dword v10, v5, s[0:3], 0 offen offset:48
	buffer_load_dword v11, v5, s[0:3], 0 offen offset:52
	;; [unrolled: 1-line block ×20, first 2 shown]
	s_addk_i32 s16, 0x80
	s_mov_b64 s[18:19], 0
	s_waitcnt vmcnt(16)
	ds_write2_b64 v4, v[10:11], v[12:13] offset0:6 offset1:7
	s_waitcnt vmcnt(12)
	ds_write2_b64 v4, v[19:20], v[21:22] offset0:8 offset1:9
	;; [unrolled: 2-line block ×5, first 2 shown]
	s_branch .LBB122_466
.LBB122_469:
	v_mov_b32_e32 v19, 18
.LBB122_470:
	s_or_b64 exec, exec, s[4:5]
	v_cmp_lt_i32_e32 vcc, 18, v19
	s_waitcnt vmcnt(0) lgkmcnt(0)
	s_barrier
	s_and_saveexec_b64 s[4:5], vcc
	s_cbranch_execz .LBB122_475
; %bb.471:
	buffer_load_dword v4, off, s[0:3], 0 offset:296
	buffer_load_dword v5, off, s[0:3], 0 offset:300
	;; [unrolled: 1-line block ×4, first 2 shown]
	s_movk_i32 s24, 0x130
	s_waitcnt vmcnt(2)
	v_mul_f64 v[12:13], v[2:3], v[4:5]
	v_mul_f64 v[4:5], v[0:1], v[4:5]
	s_waitcnt vmcnt(0)
	v_fma_f64 v[0:1], v[0:1], v[10:11], -v[12:13]
	v_fma_f64 v[2:3], v[2:3], v[10:11], v[4:5]
	buffer_store_dword v0, off, s[0:3], 0 offset:288
	buffer_store_dword v1, off, s[0:3], 0 offset:292
	buffer_store_dword v2, off, s[0:3], 0 offset:296
	buffer_store_dword v3, off, s[0:3], 0 offset:300
	s_branch .LBB122_473
.LBB122_472:                            ;   in Loop: Header=BB122_473 Depth=1
	s_andn2_b64 vcc, exec, s[18:19]
	s_cbranch_vccz .LBB122_475
.LBB122_473:                            ; =>This Inner Loop Header: Depth=1
	v_mov_b32_e32 v5, s24
	buffer_load_dword v24, v5, s[0:3], 0 offen
	buffer_load_dword v25, v5, s[0:3], 0 offen offset:4
	buffer_load_dword v26, v5, s[0:3], 0 offen offset:8
	;; [unrolled: 1-line block ×3, first 2 shown]
	v_add_u32_e32 v4, s24, v16
	ds_read2_b64 v[10:13], v4 offset1:1
	ds_read2_b64 v[20:23], v4 offset0:2 offset1:3
	s_mov_b32 s16, s24
	s_cmpk_eq_i32 s24, 0x3b0
	s_mov_b64 s[18:19], -1
	s_waitcnt vmcnt(5) lgkmcnt(1)
	v_mul_f64 v[28:29], v[12:13], v[2:3]
	v_mul_f64 v[2:3], v[10:11], v[2:3]
	s_waitcnt vmcnt(4)
	v_fma_f64 v[10:11], v[10:11], v[0:1], -v[28:29]
	v_fma_f64 v[0:1], v[12:13], v[0:1], v[2:3]
	buffer_load_dword v2, v5, s[0:3], 0 offen offset:20
	buffer_load_dword v12, v5, s[0:3], 0 offen offset:28
	;; [unrolled: 1-line block ×3, first 2 shown]
	s_waitcnt vmcnt(5)
	v_add_f64 v[10:11], v[24:25], -v[10:11]
	s_waitcnt vmcnt(3)
	v_add_f64 v[0:1], v[26:27], -v[0:1]
	buffer_store_dword v11, v5, s[0:3], 0 offen offset:4
	buffer_store_dword v10, v5, s[0:3], 0 offen
	buffer_store_dword v1, v5, s[0:3], 0 offen offset:12
	buffer_store_dword v0, v5, s[0:3], 0 offen offset:8
	buffer_load_dword v11, v5, s[0:3], 0 offen offset:24
	s_nop 0
	buffer_load_dword v13, v5, s[0:3], 0 offen offset:36
	buffer_load_dword v25, off, s[0:3], 0 offset:300
	buffer_load_dword v24, off, s[0:3], 0 offset:296
	;; [unrolled: 1-line block ×4, first 2 shown]
	buffer_load_dword v1, v5, s[0:3], 0 offen offset:16
	s_waitcnt vmcnt(3) lgkmcnt(0)
	v_mul_f64 v[29:30], v[22:23], v[24:25]
	v_mul_f64 v[24:25], v[20:21], v[24:25]
	s_waitcnt vmcnt(1)
	v_fma_f64 v[20:21], v[20:21], v[26:27], -v[29:30]
	v_fma_f64 v[22:23], v[22:23], v[26:27], v[24:25]
	s_waitcnt vmcnt(0)
	v_add_f64 v[0:1], v[1:2], -v[20:21]
	v_add_f64 v[2:3], v[11:12], -v[22:23]
	buffer_store_dword v1, v5, s[0:3], 0 offen offset:20
	buffer_store_dword v0, v5, s[0:3], 0 offen offset:16
	;; [unrolled: 1-line block ×4, first 2 shown]
	buffer_load_dword v29, v5, s[0:3], 0 offen offset:44
	buffer_load_dword v10, off, s[0:3], 0 offset:296
	buffer_load_dword v11, off, s[0:3], 0 offset:300
	;; [unrolled: 1-line block ×4, first 2 shown]
	buffer_load_dword v12, v5, s[0:3], 0 offen offset:32
	ds_read2_b64 v[0:3], v4 offset0:4 offset1:5
	s_waitcnt vmcnt(3) lgkmcnt(0)
	v_mul_f64 v[22:23], v[2:3], v[10:11]
	v_mul_f64 v[10:11], v[0:1], v[10:11]
	s_waitcnt vmcnt(1)
	v_fma_f64 v[0:1], v[0:1], v[20:21], -v[22:23]
	v_fma_f64 v[2:3], v[2:3], v[20:21], v[10:11]
	s_waitcnt vmcnt(0)
	v_add_f64 v[0:1], v[12:13], -v[0:1]
	v_add_f64 v[2:3], v[28:29], -v[2:3]
	buffer_store_dword v1, v5, s[0:3], 0 offen offset:36
	buffer_store_dword v0, v5, s[0:3], 0 offen offset:32
	;; [unrolled: 1-line block ×4, first 2 shown]
                                        ; implicit-def: $vgpr0_vgpr1
                                        ; implicit-def: $vgpr2_vgpr3
	s_cbranch_scc1 .LBB122_472
; %bb.474:                              ;   in Loop: Header=BB122_473 Depth=1
	buffer_load_dword v10, off, s[0:3], 0 offset:296
	buffer_load_dword v11, off, s[0:3], 0 offset:300
	;; [unrolled: 1-line block ×4, first 2 shown]
	v_mov_b32_e32 v24, s16
	buffer_load_dword v20, v24, s[0:3], 0 offen offset:48
	buffer_load_dword v21, v24, s[0:3], 0 offen offset:52
	;; [unrolled: 1-line block ×4, first 2 shown]
	ds_read2_b64 v[0:3], v4 offset0:6 offset1:7
	s_add_i32 s24, s24, 64
	s_mov_b64 s[18:19], 0
	s_waitcnt vmcnt(6) lgkmcnt(0)
	v_mul_f64 v[4:5], v[2:3], v[10:11]
	v_mul_f64 v[10:11], v[0:1], v[10:11]
	s_waitcnt vmcnt(4)
	v_fma_f64 v[0:1], v[0:1], v[12:13], -v[4:5]
	v_fma_f64 v[2:3], v[2:3], v[12:13], v[10:11]
	s_waitcnt vmcnt(2)
	v_add_f64 v[0:1], v[20:21], -v[0:1]
	s_waitcnt vmcnt(0)
	v_add_f64 v[2:3], v[22:23], -v[2:3]
	buffer_store_dword v1, v24, s[0:3], 0 offen offset:52
	buffer_store_dword v0, v24, s[0:3], 0 offen offset:48
	;; [unrolled: 1-line block ×4, first 2 shown]
	buffer_load_dword v1, off, s[0:3], 0 offset:292
	s_nop 0
	buffer_load_dword v3, off, s[0:3], 0 offset:300
	buffer_load_dword v2, off, s[0:3], 0 offset:296
	;; [unrolled: 1-line block ×3, first 2 shown]
	s_branch .LBB122_472
.LBB122_475:
	s_or_b64 exec, exec, s[4:5]
	s_waitcnt vmcnt(2)
	v_mov_b32_e32 v3, s68
	s_waitcnt vmcnt(0)
	s_barrier
	buffer_load_dword v0, v3, s[0:3], 0 offen
	buffer_load_dword v1, v3, s[0:3], 0 offen offset:4
	buffer_load_dword v2, v3, s[0:3], 0 offen offset:8
	s_nop 0
	buffer_load_dword v3, v3, s[0:3], 0 offen offset:12
	v_lshl_add_u32 v4, v19, 4, v16
	s_cmp_lt_i32 s65, 21
	s_waitcnt vmcnt(0)
	ds_write2_b64 v4, v[0:1], v[2:3] offset1:1
	s_waitcnt lgkmcnt(0)
	s_barrier
	ds_read2_b64 v[0:3], v16 offset0:38 offset1:39
	v_mov_b32_e32 v4, 19
	s_cbranch_scc1 .LBB122_478
; %bb.476:
	v_add_u32_e32 v5, 0x140, v16
	s_mov_b32 s16, 20
	v_mov_b32_e32 v4, 19
.LBB122_477:                            ; =>This Inner Loop Header: Depth=1
	s_waitcnt lgkmcnt(0)
	v_cmp_gt_f64_e32 vcc, 0, v[2:3]
	v_cmp_gt_f64_e64 s[4:5], 0, v[0:1]
	ds_read2_b64 v[10:13], v5 offset1:1
	v_xor_b32_e32 v21, 0x80000000, v1
	v_xor_b32_e32 v23, 0x80000000, v3
	v_mov_b32_e32 v20, v0
	v_mov_b32_e32 v22, v2
	s_waitcnt lgkmcnt(0)
	v_xor_b32_e32 v25, 0x80000000, v13
	v_cndmask_b32_e32 v23, v3, v23, vcc
	v_cndmask_b32_e64 v21, v1, v21, s[4:5]
	v_cmp_gt_f64_e32 vcc, 0, v[12:13]
	v_cmp_gt_f64_e64 s[4:5], 0, v[10:11]
	v_add_f64 v[20:21], v[20:21], v[22:23]
	v_xor_b32_e32 v23, 0x80000000, v11
	v_mov_b32_e32 v22, v10
	v_mov_b32_e32 v24, v12
	v_add_u32_e32 v5, 16, v5
	v_cndmask_b32_e32 v25, v13, v25, vcc
	v_cndmask_b32_e64 v23, v11, v23, s[4:5]
	v_add_f64 v[22:23], v[22:23], v[24:25]
	v_mov_b32_e32 v24, s16
	s_add_i32 s16, s16, 1
	s_cmp_lg_u32 s65, s16
	v_cmp_lt_f64_e32 vcc, v[20:21], v[22:23]
	v_cndmask_b32_e32 v1, v1, v11, vcc
	v_cndmask_b32_e32 v0, v0, v10, vcc
	;; [unrolled: 1-line block ×5, first 2 shown]
	s_cbranch_scc1 .LBB122_477
.LBB122_478:
	s_waitcnt lgkmcnt(0)
	v_cmp_eq_f64_e32 vcc, 0, v[0:1]
	v_cmp_eq_f64_e64 s[4:5], 0, v[2:3]
	s_and_b64 s[4:5], vcc, s[4:5]
	s_and_saveexec_b64 s[16:17], s[4:5]
	s_xor_b64 s[4:5], exec, s[16:17]
; %bb.479:
	v_cmp_ne_u32_e32 vcc, 0, v17
	v_cndmask_b32_e32 v17, 20, v17, vcc
; %bb.480:
	s_andn2_saveexec_b64 s[4:5], s[4:5]
	s_cbranch_execz .LBB122_486
; %bb.481:
	v_cmp_ngt_f64_e64 s[16:17], |v[0:1]|, |v[2:3]|
	s_and_saveexec_b64 s[18:19], s[16:17]
	s_xor_b64 s[18:19], exec, s[18:19]
	s_cbranch_execz .LBB122_483
; %bb.482:
	v_div_scale_f64 v[10:11], s[16:17], v[2:3], v[2:3], v[0:1]
	v_rcp_f64_e32 v[12:13], v[10:11]
	v_fma_f64 v[20:21], -v[10:11], v[12:13], 1.0
	v_fma_f64 v[12:13], v[12:13], v[20:21], v[12:13]
	v_div_scale_f64 v[20:21], vcc, v[0:1], v[2:3], v[0:1]
	v_fma_f64 v[22:23], -v[10:11], v[12:13], 1.0
	v_fma_f64 v[12:13], v[12:13], v[22:23], v[12:13]
	v_mul_f64 v[22:23], v[20:21], v[12:13]
	v_fma_f64 v[10:11], -v[10:11], v[22:23], v[20:21]
	v_div_fmas_f64 v[10:11], v[10:11], v[12:13], v[22:23]
	v_div_fixup_f64 v[10:11], v[10:11], v[2:3], v[0:1]
	v_fma_f64 v[0:1], v[0:1], v[10:11], v[2:3]
	v_div_scale_f64 v[2:3], s[16:17], v[0:1], v[0:1], 1.0
	v_div_scale_f64 v[22:23], vcc, 1.0, v[0:1], 1.0
	v_rcp_f64_e32 v[12:13], v[2:3]
	v_fma_f64 v[20:21], -v[2:3], v[12:13], 1.0
	v_fma_f64 v[12:13], v[12:13], v[20:21], v[12:13]
	v_fma_f64 v[20:21], -v[2:3], v[12:13], 1.0
	v_fma_f64 v[12:13], v[12:13], v[20:21], v[12:13]
	v_mul_f64 v[20:21], v[22:23], v[12:13]
	v_fma_f64 v[2:3], -v[2:3], v[20:21], v[22:23]
	v_div_fmas_f64 v[2:3], v[2:3], v[12:13], v[20:21]
	v_div_fixup_f64 v[2:3], v[2:3], v[0:1], 1.0
	v_mul_f64 v[0:1], v[10:11], v[2:3]
	v_xor_b32_e32 v3, 0x80000000, v3
.LBB122_483:
	s_andn2_saveexec_b64 s[18:19], s[18:19]
	s_cbranch_execz .LBB122_485
; %bb.484:
	v_div_scale_f64 v[10:11], s[16:17], v[0:1], v[0:1], v[2:3]
	v_rcp_f64_e32 v[12:13], v[10:11]
	v_fma_f64 v[20:21], -v[10:11], v[12:13], 1.0
	v_fma_f64 v[12:13], v[12:13], v[20:21], v[12:13]
	v_div_scale_f64 v[20:21], vcc, v[2:3], v[0:1], v[2:3]
	v_fma_f64 v[22:23], -v[10:11], v[12:13], 1.0
	v_fma_f64 v[12:13], v[12:13], v[22:23], v[12:13]
	v_mul_f64 v[22:23], v[20:21], v[12:13]
	v_fma_f64 v[10:11], -v[10:11], v[22:23], v[20:21]
	v_div_fmas_f64 v[10:11], v[10:11], v[12:13], v[22:23]
	v_div_fixup_f64 v[10:11], v[10:11], v[0:1], v[2:3]
	v_fma_f64 v[0:1], v[2:3], v[10:11], v[0:1]
	v_div_scale_f64 v[2:3], s[16:17], v[0:1], v[0:1], 1.0
	v_div_scale_f64 v[22:23], vcc, 1.0, v[0:1], 1.0
	v_rcp_f64_e32 v[12:13], v[2:3]
	v_fma_f64 v[20:21], -v[2:3], v[12:13], 1.0
	v_fma_f64 v[12:13], v[12:13], v[20:21], v[12:13]
	v_fma_f64 v[20:21], -v[2:3], v[12:13], 1.0
	v_fma_f64 v[12:13], v[12:13], v[20:21], v[12:13]
	v_mul_f64 v[20:21], v[22:23], v[12:13]
	v_fma_f64 v[2:3], -v[2:3], v[20:21], v[22:23]
	v_div_fmas_f64 v[2:3], v[2:3], v[12:13], v[20:21]
	v_div_fixup_f64 v[0:1], v[2:3], v[0:1], 1.0
	v_mul_f64 v[2:3], v[10:11], -v[0:1]
.LBB122_485:
	s_or_b64 exec, exec, s[18:19]
.LBB122_486:
	s_or_b64 exec, exec, s[4:5]
	v_cmp_ne_u32_e32 vcc, v19, v4
	s_and_saveexec_b64 s[4:5], vcc
	s_xor_b64 s[4:5], exec, s[4:5]
	s_cbranch_execz .LBB122_492
; %bb.487:
	v_cmp_eq_u32_e32 vcc, 19, v19
	s_and_saveexec_b64 s[18:19], vcc
	s_cbranch_execz .LBB122_491
; %bb.488:
	v_cmp_ne_u32_e32 vcc, 19, v4
	s_xor_b64 s[16:17], s[22:23], -1
	s_and_b64 s[16:17], s[16:17], vcc
	s_and_saveexec_b64 s[24:25], s[16:17]
	s_cbranch_execz .LBB122_490
; %bb.489:
	v_ashrrev_i32_e32 v5, 31, v4
	v_lshlrev_b64 v[10:11], 2, v[4:5]
	v_add_co_u32_e32 v10, vcc, v8, v10
	v_addc_co_u32_e32 v11, vcc, v9, v11, vcc
	global_load_dword v5, v[10:11], off
	global_load_dword v12, v[8:9], off offset:76
	s_waitcnt vmcnt(1)
	global_store_dword v[8:9], v5, off offset:76
	s_waitcnt vmcnt(1)
	global_store_dword v[10:11], v12, off
.LBB122_490:
	s_or_b64 exec, exec, s[24:25]
	v_mov_b32_e32 v19, v4
	v_mov_b32_e32 v18, v4
.LBB122_491:
	s_or_b64 exec, exec, s[18:19]
.LBB122_492:
	s_andn2_saveexec_b64 s[4:5], s[4:5]
	s_cbranch_execz .LBB122_496
; %bb.493:
	s_movk_i32 s18, 0x140
.LBB122_494:                            ; =>This Inner Loop Header: Depth=1
	v_mov_b32_e32 v29, s18
	buffer_load_dword v4, v29, s[0:3], 0 offen
	buffer_load_dword v5, v29, s[0:3], 0 offen offset:4
	buffer_load_dword v10, v29, s[0:3], 0 offen offset:8
	;; [unrolled: 1-line block ×15, first 2 shown]
	v_add_u32_e32 v30, s18, v16
	s_addk_i32 s18, 0xe0
	s_cmpk_eq_i32 s18, 0x3e0
	s_waitcnt vmcnt(12)
	ds_write2_b64 v30, v[4:5], v[10:11] offset1:1
	s_waitcnt vmcnt(8)
	ds_write2_b64 v30, v[12:13], v[19:20] offset0:2 offset1:3
	s_waitcnt vmcnt(4)
	ds_write2_b64 v30, v[21:22], v[23:24] offset0:4 offset1:5
	;; [unrolled: 2-line block ×3, first 2 shown]
	buffer_load_dword v5, v29, s[0:3], 0 offen offset:76
	buffer_load_dword v4, v29, s[0:3], 0 offen offset:72
	buffer_load_dword v11, v29, s[0:3], 0 offen offset:68
	buffer_load_dword v10, v29, s[0:3], 0 offen offset:64
	s_waitcnt vmcnt(0)
	ds_write2_b64 v30, v[10:11], v[4:5] offset0:8 offset1:9
	buffer_load_dword v5, v29, s[0:3], 0 offen offset:92
	buffer_load_dword v4, v29, s[0:3], 0 offen offset:88
	buffer_load_dword v11, v29, s[0:3], 0 offen offset:84
	buffer_load_dword v10, v29, s[0:3], 0 offen offset:80
	s_waitcnt vmcnt(0)
	ds_write2_b64 v30, v[10:11], v[4:5] offset0:10 offset1:11
	buffer_load_dword v5, v29, s[0:3], 0 offen offset:108
	buffer_load_dword v4, v29, s[0:3], 0 offen offset:104
	buffer_load_dword v11, v29, s[0:3], 0 offen offset:100
	buffer_load_dword v10, v29, s[0:3], 0 offen offset:96
	s_waitcnt vmcnt(0)
	ds_write2_b64 v30, v[10:11], v[4:5] offset0:12 offset1:13
	buffer_load_dword v5, v29, s[0:3], 0 offen offset:124
	buffer_load_dword v4, v29, s[0:3], 0 offen offset:120
	buffer_load_dword v11, v29, s[0:3], 0 offen offset:116
	buffer_load_dword v10, v29, s[0:3], 0 offen offset:112
	s_waitcnt vmcnt(0)
	ds_write2_b64 v30, v[10:11], v[4:5] offset0:14 offset1:15
	buffer_load_dword v4, v29, s[0:3], 0 offen offset:128
	buffer_load_dword v5, v29, s[0:3], 0 offen offset:132
	buffer_load_dword v10, v29, s[0:3], 0 offen offset:136
	buffer_load_dword v11, v29, s[0:3], 0 offen offset:140
	s_waitcnt vmcnt(0)
	ds_write2_b64 v30, v[4:5], v[10:11] offset0:16 offset1:17
	buffer_load_dword v4, v29, s[0:3], 0 offen offset:144
	buffer_load_dword v5, v29, s[0:3], 0 offen offset:148
	buffer_load_dword v10, v29, s[0:3], 0 offen offset:152
	buffer_load_dword v11, v29, s[0:3], 0 offen offset:156
	s_waitcnt vmcnt(0)
	ds_write2_b64 v30, v[4:5], v[10:11] offset0:18 offset1:19
	buffer_load_dword v4, v29, s[0:3], 0 offen offset:160
	buffer_load_dword v5, v29, s[0:3], 0 offen offset:164
	buffer_load_dword v10, v29, s[0:3], 0 offen offset:168
	buffer_load_dword v11, v29, s[0:3], 0 offen offset:172
	s_waitcnt vmcnt(0)
	ds_write2_b64 v30, v[4:5], v[10:11] offset0:20 offset1:21
	buffer_load_dword v4, v29, s[0:3], 0 offen offset:176
	buffer_load_dword v5, v29, s[0:3], 0 offen offset:180
	buffer_load_dword v10, v29, s[0:3], 0 offen offset:184
	buffer_load_dword v11, v29, s[0:3], 0 offen offset:188
	s_waitcnt vmcnt(0)
	ds_write2_b64 v30, v[4:5], v[10:11] offset0:22 offset1:23
	buffer_load_dword v4, v29, s[0:3], 0 offen offset:192
	buffer_load_dword v5, v29, s[0:3], 0 offen offset:196
	buffer_load_dword v10, v29, s[0:3], 0 offen offset:200
	buffer_load_dword v11, v29, s[0:3], 0 offen offset:204
	s_waitcnt vmcnt(0)
	ds_write2_b64 v30, v[4:5], v[10:11] offset0:24 offset1:25
	buffer_load_dword v4, v29, s[0:3], 0 offen offset:208
	buffer_load_dword v5, v29, s[0:3], 0 offen offset:212
	buffer_load_dword v10, v29, s[0:3], 0 offen offset:216
	buffer_load_dword v11, v29, s[0:3], 0 offen offset:220
	s_waitcnt vmcnt(0)
	ds_write2_b64 v30, v[4:5], v[10:11] offset0:26 offset1:27
	s_cbranch_scc0 .LBB122_494
; %bb.495:
	v_mov_b32_e32 v19, 19
.LBB122_496:
	s_or_b64 exec, exec, s[4:5]
	v_cmp_lt_i32_e32 vcc, 19, v19
	s_waitcnt vmcnt(0) lgkmcnt(0)
	s_barrier
	s_and_saveexec_b64 s[4:5], vcc
	s_cbranch_execz .LBB122_499
; %bb.497:
	buffer_load_dword v4, off, s[0:3], 0 offset:312
	buffer_load_dword v5, off, s[0:3], 0 offset:316
	;; [unrolled: 1-line block ×4, first 2 shown]
	s_movk_i32 s18, 0x140
	s_waitcnt vmcnt(2)
	v_mul_f64 v[12:13], v[2:3], v[4:5]
	v_mul_f64 v[4:5], v[0:1], v[4:5]
	s_waitcnt vmcnt(0)
	v_fma_f64 v[0:1], v[0:1], v[10:11], -v[12:13]
	v_fma_f64 v[2:3], v[2:3], v[10:11], v[4:5]
	buffer_store_dword v0, off, s[0:3], 0 offset:304
	buffer_store_dword v1, off, s[0:3], 0 offset:308
	buffer_store_dword v2, off, s[0:3], 0 offset:312
	buffer_store_dword v3, off, s[0:3], 0 offset:316
.LBB122_498:                            ; =>This Inner Loop Header: Depth=1
	buffer_load_dword v20, off, s[0:3], 0 offset:312
	buffer_load_dword v21, off, s[0:3], 0 offset:316
	;; [unrolled: 1-line block ×4, first 2 shown]
	v_mov_b32_e32 v0, s18
	buffer_load_dword v24, v0, s[0:3], 0 offen
	buffer_load_dword v25, v0, s[0:3], 0 offen offset:4
	buffer_load_dword v26, v0, s[0:3], 0 offen offset:8
	;; [unrolled: 1-line block ×3, first 2 shown]
	v_add_u32_e32 v5, s18, v16
	ds_read2_b64 v[1:4], v5 offset1:1
	buffer_load_dword v28, v0, s[0:3], 0 offen offset:16
	buffer_load_dword v29, v0, s[0:3], 0 offen offset:20
	;; [unrolled: 1-line block ×4, first 2 shown]
	ds_read2_b64 v[10:13], v5 offset0:2 offset1:3
	s_addk_i32 s18, 0x70
	s_cmpk_lg_i32 s18, 0x3e0
	s_waitcnt vmcnt(10) lgkmcnt(1)
	v_mul_f64 v[32:33], v[3:4], v[20:21]
	v_mul_f64 v[20:21], v[1:2], v[20:21]
	s_waitcnt vmcnt(8)
	v_fma_f64 v[1:2], v[1:2], v[22:23], -v[32:33]
	v_fma_f64 v[3:4], v[3:4], v[22:23], v[20:21]
	s_waitcnt vmcnt(6)
	v_add_f64 v[1:2], v[24:25], -v[1:2]
	s_waitcnt vmcnt(4)
	v_add_f64 v[3:4], v[26:27], -v[3:4]
	buffer_store_dword v2, v0, s[0:3], 0 offen offset:4
	buffer_store_dword v1, v0, s[0:3], 0 offen
	buffer_store_dword v4, v0, s[0:3], 0 offen offset:12
	buffer_store_dword v3, v0, s[0:3], 0 offen offset:8
	buffer_load_dword v2, off, s[0:3], 0 offset:316
	s_nop 0
	buffer_load_dword v1, off, s[0:3], 0 offset:312
	buffer_load_dword v4, off, s[0:3], 0 offset:308
	;; [unrolled: 1-line block ×3, first 2 shown]
	buffer_load_dword v20, v0, s[0:3], 0 offen offset:32
	buffer_load_dword v21, v0, s[0:3], 0 offen offset:36
	;; [unrolled: 1-line block ×4, first 2 shown]
	s_waitcnt vmcnt(6) lgkmcnt(0)
	v_mul_f64 v[24:25], v[12:13], v[1:2]
	v_mul_f64 v[1:2], v[10:11], v[1:2]
	s_waitcnt vmcnt(4)
	v_fma_f64 v[10:11], v[10:11], v[3:4], -v[24:25]
	v_fma_f64 v[1:2], v[12:13], v[3:4], v[1:2]
	v_add_f64 v[3:4], v[28:29], -v[10:11]
	v_add_f64 v[1:2], v[30:31], -v[1:2]
	buffer_store_dword v4, v0, s[0:3], 0 offen offset:20
	buffer_store_dword v3, v0, s[0:3], 0 offen offset:16
	;; [unrolled: 1-line block ×4, first 2 shown]
	buffer_load_dword v24, off, s[0:3], 0 offset:312
	buffer_load_dword v25, off, s[0:3], 0 offset:316
	;; [unrolled: 1-line block ×4, first 2 shown]
	ds_read2_b64 v[1:4], v5 offset0:4 offset1:5
	ds_read2_b64 v[10:13], v5 offset0:6 offset1:7
	s_waitcnt vmcnt(2) lgkmcnt(1)
	v_mul_f64 v[28:29], v[3:4], v[24:25]
	v_mul_f64 v[24:25], v[1:2], v[24:25]
	s_waitcnt vmcnt(0)
	v_fma_f64 v[1:2], v[1:2], v[26:27], -v[28:29]
	v_fma_f64 v[3:4], v[3:4], v[26:27], v[24:25]
	v_add_f64 v[1:2], v[20:21], -v[1:2]
	v_add_f64 v[3:4], v[22:23], -v[3:4]
	buffer_store_dword v2, v0, s[0:3], 0 offen offset:36
	buffer_store_dword v1, v0, s[0:3], 0 offen offset:32
	;; [unrolled: 1-line block ×4, first 2 shown]
	buffer_load_dword v1, off, s[0:3], 0 offset:312
	s_nop 0
	buffer_load_dword v2, off, s[0:3], 0 offset:316
	buffer_load_dword v3, off, s[0:3], 0 offset:304
	;; [unrolled: 1-line block ×3, first 2 shown]
	buffer_load_dword v20, v0, s[0:3], 0 offen offset:48
	buffer_load_dword v21, v0, s[0:3], 0 offen offset:52
	;; [unrolled: 1-line block ×4, first 2 shown]
	s_waitcnt vmcnt(6) lgkmcnt(0)
	v_mul_f64 v[24:25], v[12:13], v[1:2]
	v_mul_f64 v[1:2], v[10:11], v[1:2]
	s_waitcnt vmcnt(4)
	v_fma_f64 v[10:11], v[10:11], v[3:4], -v[24:25]
	v_fma_f64 v[1:2], v[12:13], v[3:4], v[1:2]
	s_waitcnt vmcnt(2)
	v_add_f64 v[3:4], v[20:21], -v[10:11]
	s_waitcnt vmcnt(0)
	v_add_f64 v[1:2], v[22:23], -v[1:2]
	buffer_store_dword v4, v0, s[0:3], 0 offen offset:52
	buffer_store_dword v3, v0, s[0:3], 0 offen offset:48
	;; [unrolled: 1-line block ×4, first 2 shown]
	buffer_load_dword v20, off, s[0:3], 0 offset:312
	buffer_load_dword v21, off, s[0:3], 0 offset:316
	;; [unrolled: 1-line block ×4, first 2 shown]
	buffer_load_dword v24, v0, s[0:3], 0 offen offset:64
	buffer_load_dword v25, v0, s[0:3], 0 offen offset:68
	;; [unrolled: 1-line block ×4, first 2 shown]
	ds_read2_b64 v[1:4], v5 offset0:8 offset1:9
	ds_read2_b64 v[10:13], v5 offset0:10 offset1:11
	s_waitcnt vmcnt(6) lgkmcnt(1)
	v_mul_f64 v[28:29], v[3:4], v[20:21]
	v_mul_f64 v[20:21], v[1:2], v[20:21]
	s_waitcnt vmcnt(4)
	v_fma_f64 v[1:2], v[1:2], v[22:23], -v[28:29]
	v_fma_f64 v[3:4], v[3:4], v[22:23], v[20:21]
	s_waitcnt vmcnt(2)
	v_add_f64 v[1:2], v[24:25], -v[1:2]
	s_waitcnt vmcnt(0)
	v_add_f64 v[3:4], v[26:27], -v[3:4]
	buffer_store_dword v2, v0, s[0:3], 0 offen offset:68
	buffer_store_dword v1, v0, s[0:3], 0 offen offset:64
	;; [unrolled: 1-line block ×4, first 2 shown]
	buffer_load_dword v1, off, s[0:3], 0 offset:312
	s_nop 0
	buffer_load_dword v2, off, s[0:3], 0 offset:316
	buffer_load_dword v3, off, s[0:3], 0 offset:304
	buffer_load_dword v4, off, s[0:3], 0 offset:308
	buffer_load_dword v20, v0, s[0:3], 0 offen offset:80
	buffer_load_dword v21, v0, s[0:3], 0 offen offset:84
	;; [unrolled: 1-line block ×4, first 2 shown]
	s_waitcnt vmcnt(6) lgkmcnt(0)
	v_mul_f64 v[24:25], v[12:13], v[1:2]
	v_mul_f64 v[1:2], v[10:11], v[1:2]
	s_waitcnt vmcnt(4)
	v_fma_f64 v[10:11], v[10:11], v[3:4], -v[24:25]
	v_fma_f64 v[1:2], v[12:13], v[3:4], v[1:2]
	s_waitcnt vmcnt(2)
	v_add_f64 v[3:4], v[20:21], -v[10:11]
	s_waitcnt vmcnt(0)
	v_add_f64 v[1:2], v[22:23], -v[1:2]
	buffer_store_dword v4, v0, s[0:3], 0 offen offset:84
	buffer_store_dword v3, v0, s[0:3], 0 offen offset:80
	;; [unrolled: 1-line block ×4, first 2 shown]
	buffer_load_dword v10, off, s[0:3], 0 offset:312
	buffer_load_dword v11, off, s[0:3], 0 offset:316
	;; [unrolled: 1-line block ×4, first 2 shown]
	buffer_load_dword v20, v0, s[0:3], 0 offen offset:96
	buffer_load_dword v21, v0, s[0:3], 0 offen offset:100
	;; [unrolled: 1-line block ×4, first 2 shown]
	ds_read2_b64 v[1:4], v5 offset0:12 offset1:13
	s_waitcnt vmcnt(6) lgkmcnt(0)
	v_mul_f64 v[24:25], v[3:4], v[10:11]
	v_mul_f64 v[10:11], v[1:2], v[10:11]
	s_waitcnt vmcnt(4)
	v_fma_f64 v[1:2], v[1:2], v[12:13], -v[24:25]
	v_fma_f64 v[3:4], v[3:4], v[12:13], v[10:11]
	s_waitcnt vmcnt(2)
	v_add_f64 v[1:2], v[20:21], -v[1:2]
	s_waitcnt vmcnt(0)
	v_add_f64 v[3:4], v[22:23], -v[3:4]
	buffer_store_dword v2, v0, s[0:3], 0 offen offset:100
	buffer_store_dword v1, v0, s[0:3], 0 offen offset:96
	;; [unrolled: 1-line block ×4, first 2 shown]
	s_cbranch_scc1 .LBB122_498
.LBB122_499:
	s_or_b64 exec, exec, s[4:5]
	v_mov_b32_e32 v3, s67
	s_waitcnt vmcnt(0)
	s_barrier
	buffer_load_dword v0, v3, s[0:3], 0 offen
	buffer_load_dword v1, v3, s[0:3], 0 offen offset:4
	buffer_load_dword v2, v3, s[0:3], 0 offen offset:8
	s_nop 0
	buffer_load_dword v3, v3, s[0:3], 0 offen offset:12
	v_lshl_add_u32 v4, v19, 4, v16
	s_cmp_lt_i32 s65, 22
	s_waitcnt vmcnt(0)
	ds_write2_b64 v4, v[0:1], v[2:3] offset1:1
	s_waitcnt lgkmcnt(0)
	s_barrier
	ds_read2_b64 v[0:3], v16 offset0:40 offset1:41
	v_mov_b32_e32 v4, 20
	s_cbranch_scc1 .LBB122_502
; %bb.500:
	v_add_u32_e32 v5, 0x150, v16
	s_mov_b32 s16, 21
	v_mov_b32_e32 v4, 20
.LBB122_501:                            ; =>This Inner Loop Header: Depth=1
	s_waitcnt lgkmcnt(0)
	v_cmp_gt_f64_e32 vcc, 0, v[2:3]
	v_cmp_gt_f64_e64 s[4:5], 0, v[0:1]
	ds_read2_b64 v[10:13], v5 offset1:1
	v_xor_b32_e32 v21, 0x80000000, v1
	v_xor_b32_e32 v23, 0x80000000, v3
	v_mov_b32_e32 v20, v0
	v_mov_b32_e32 v22, v2
	s_waitcnt lgkmcnt(0)
	v_xor_b32_e32 v25, 0x80000000, v13
	v_cndmask_b32_e32 v23, v3, v23, vcc
	v_cndmask_b32_e64 v21, v1, v21, s[4:5]
	v_cmp_gt_f64_e32 vcc, 0, v[12:13]
	v_cmp_gt_f64_e64 s[4:5], 0, v[10:11]
	v_add_f64 v[20:21], v[20:21], v[22:23]
	v_xor_b32_e32 v23, 0x80000000, v11
	v_mov_b32_e32 v22, v10
	v_mov_b32_e32 v24, v12
	v_add_u32_e32 v5, 16, v5
	v_cndmask_b32_e32 v25, v13, v25, vcc
	v_cndmask_b32_e64 v23, v11, v23, s[4:5]
	v_add_f64 v[22:23], v[22:23], v[24:25]
	v_mov_b32_e32 v24, s16
	s_add_i32 s16, s16, 1
	s_cmp_lg_u32 s65, s16
	v_cmp_lt_f64_e32 vcc, v[20:21], v[22:23]
	v_cndmask_b32_e32 v1, v1, v11, vcc
	v_cndmask_b32_e32 v0, v0, v10, vcc
	;; [unrolled: 1-line block ×5, first 2 shown]
	s_cbranch_scc1 .LBB122_501
.LBB122_502:
	s_waitcnt lgkmcnt(0)
	v_cmp_eq_f64_e32 vcc, 0, v[0:1]
	v_cmp_eq_f64_e64 s[4:5], 0, v[2:3]
	s_and_b64 s[4:5], vcc, s[4:5]
	s_and_saveexec_b64 s[16:17], s[4:5]
	s_xor_b64 s[4:5], exec, s[16:17]
; %bb.503:
	v_cmp_ne_u32_e32 vcc, 0, v17
	v_cndmask_b32_e32 v17, 21, v17, vcc
; %bb.504:
	s_andn2_saveexec_b64 s[4:5], s[4:5]
	s_cbranch_execz .LBB122_510
; %bb.505:
	v_cmp_ngt_f64_e64 s[16:17], |v[0:1]|, |v[2:3]|
	s_and_saveexec_b64 s[18:19], s[16:17]
	s_xor_b64 s[18:19], exec, s[18:19]
	s_cbranch_execz .LBB122_507
; %bb.506:
	v_div_scale_f64 v[10:11], s[16:17], v[2:3], v[2:3], v[0:1]
	v_rcp_f64_e32 v[12:13], v[10:11]
	v_fma_f64 v[20:21], -v[10:11], v[12:13], 1.0
	v_fma_f64 v[12:13], v[12:13], v[20:21], v[12:13]
	v_div_scale_f64 v[20:21], vcc, v[0:1], v[2:3], v[0:1]
	v_fma_f64 v[22:23], -v[10:11], v[12:13], 1.0
	v_fma_f64 v[12:13], v[12:13], v[22:23], v[12:13]
	v_mul_f64 v[22:23], v[20:21], v[12:13]
	v_fma_f64 v[10:11], -v[10:11], v[22:23], v[20:21]
	v_div_fmas_f64 v[10:11], v[10:11], v[12:13], v[22:23]
	v_div_fixup_f64 v[10:11], v[10:11], v[2:3], v[0:1]
	v_fma_f64 v[0:1], v[0:1], v[10:11], v[2:3]
	v_div_scale_f64 v[2:3], s[16:17], v[0:1], v[0:1], 1.0
	v_div_scale_f64 v[22:23], vcc, 1.0, v[0:1], 1.0
	v_rcp_f64_e32 v[12:13], v[2:3]
	v_fma_f64 v[20:21], -v[2:3], v[12:13], 1.0
	v_fma_f64 v[12:13], v[12:13], v[20:21], v[12:13]
	v_fma_f64 v[20:21], -v[2:3], v[12:13], 1.0
	v_fma_f64 v[12:13], v[12:13], v[20:21], v[12:13]
	v_mul_f64 v[20:21], v[22:23], v[12:13]
	v_fma_f64 v[2:3], -v[2:3], v[20:21], v[22:23]
	v_div_fmas_f64 v[2:3], v[2:3], v[12:13], v[20:21]
	v_div_fixup_f64 v[2:3], v[2:3], v[0:1], 1.0
	v_mul_f64 v[0:1], v[10:11], v[2:3]
	v_xor_b32_e32 v3, 0x80000000, v3
.LBB122_507:
	s_andn2_saveexec_b64 s[18:19], s[18:19]
	s_cbranch_execz .LBB122_509
; %bb.508:
	v_div_scale_f64 v[10:11], s[16:17], v[0:1], v[0:1], v[2:3]
	v_rcp_f64_e32 v[12:13], v[10:11]
	v_fma_f64 v[20:21], -v[10:11], v[12:13], 1.0
	v_fma_f64 v[12:13], v[12:13], v[20:21], v[12:13]
	v_div_scale_f64 v[20:21], vcc, v[2:3], v[0:1], v[2:3]
	v_fma_f64 v[22:23], -v[10:11], v[12:13], 1.0
	v_fma_f64 v[12:13], v[12:13], v[22:23], v[12:13]
	v_mul_f64 v[22:23], v[20:21], v[12:13]
	v_fma_f64 v[10:11], -v[10:11], v[22:23], v[20:21]
	v_div_fmas_f64 v[10:11], v[10:11], v[12:13], v[22:23]
	v_div_fixup_f64 v[10:11], v[10:11], v[0:1], v[2:3]
	v_fma_f64 v[0:1], v[2:3], v[10:11], v[0:1]
	v_div_scale_f64 v[2:3], s[16:17], v[0:1], v[0:1], 1.0
	v_div_scale_f64 v[22:23], vcc, 1.0, v[0:1], 1.0
	v_rcp_f64_e32 v[12:13], v[2:3]
	v_fma_f64 v[20:21], -v[2:3], v[12:13], 1.0
	v_fma_f64 v[12:13], v[12:13], v[20:21], v[12:13]
	v_fma_f64 v[20:21], -v[2:3], v[12:13], 1.0
	v_fma_f64 v[12:13], v[12:13], v[20:21], v[12:13]
	v_mul_f64 v[20:21], v[22:23], v[12:13]
	v_fma_f64 v[2:3], -v[2:3], v[20:21], v[22:23]
	v_div_fmas_f64 v[2:3], v[2:3], v[12:13], v[20:21]
	v_div_fixup_f64 v[0:1], v[2:3], v[0:1], 1.0
	v_mul_f64 v[2:3], v[10:11], -v[0:1]
.LBB122_509:
	s_or_b64 exec, exec, s[18:19]
.LBB122_510:
	s_or_b64 exec, exec, s[4:5]
	v_cmp_ne_u32_e32 vcc, v19, v4
	s_and_saveexec_b64 s[4:5], vcc
	s_xor_b64 s[4:5], exec, s[4:5]
	s_cbranch_execz .LBB122_516
; %bb.511:
	v_cmp_eq_u32_e32 vcc, 20, v19
	s_and_saveexec_b64 s[18:19], vcc
	s_cbranch_execz .LBB122_515
; %bb.512:
	v_cmp_ne_u32_e32 vcc, 20, v4
	s_xor_b64 s[16:17], s[22:23], -1
	s_and_b64 s[16:17], s[16:17], vcc
	s_and_saveexec_b64 s[24:25], s[16:17]
	s_cbranch_execz .LBB122_514
; %bb.513:
	v_ashrrev_i32_e32 v5, 31, v4
	v_lshlrev_b64 v[10:11], 2, v[4:5]
	v_add_co_u32_e32 v10, vcc, v8, v10
	v_addc_co_u32_e32 v11, vcc, v9, v11, vcc
	global_load_dword v5, v[10:11], off
	global_load_dword v12, v[8:9], off offset:80
	s_waitcnt vmcnt(1)
	global_store_dword v[8:9], v5, off offset:80
	s_waitcnt vmcnt(1)
	global_store_dword v[10:11], v12, off
.LBB122_514:
	s_or_b64 exec, exec, s[24:25]
	v_mov_b32_e32 v19, v4
	v_mov_b32_e32 v18, v4
.LBB122_515:
	s_or_b64 exec, exec, s[18:19]
.LBB122_516:
	s_andn2_saveexec_b64 s[4:5], s[4:5]
	s_cbranch_execz .LBB122_522
; %bb.517:
	s_movk_i32 s16, 0x150
	s_branch .LBB122_519
.LBB122_518:                            ;   in Loop: Header=BB122_519 Depth=1
	s_andn2_b64 vcc, exec, s[18:19]
	s_cbranch_vccz .LBB122_521
.LBB122_519:                            ; =>This Inner Loop Header: Depth=1
	v_mov_b32_e32 v4, s16
	buffer_load_dword v10, v4, s[0:3], 0 offen
	buffer_load_dword v11, v4, s[0:3], 0 offen offset:4
	buffer_load_dword v12, v4, s[0:3], 0 offen offset:8
	;; [unrolled: 1-line block ×3, first 2 shown]
	s_mov_b32 s17, s16
	v_add_u32_e32 v4, s16, v16
	s_cmpk_eq_i32 s16, 0x3d0
	s_mov_b64 s[18:19], -1
	s_waitcnt vmcnt(0)
	ds_write2_b64 v4, v[10:11], v[12:13] offset1:1
	s_cbranch_scc1 .LBB122_518
; %bb.520:                              ;   in Loop: Header=BB122_519 Depth=1
	v_mov_b32_e32 v5, s17
	buffer_load_dword v10, v5, s[0:3], 0 offen offset:16
	buffer_load_dword v11, v5, s[0:3], 0 offen offset:20
	;; [unrolled: 1-line block ×28, first 2 shown]
	s_addk_i32 s16, 0x80
	s_mov_b64 s[18:19], 0
	s_waitcnt vmcnt(24)
	ds_write2_b64 v4, v[10:11], v[12:13] offset0:2 offset1:3
	s_waitcnt vmcnt(20)
	ds_write2_b64 v4, v[19:20], v[21:22] offset0:4 offset1:5
	;; [unrolled: 2-line block ×5, first 2 shown]
	ds_write2_b64 v4, v[35:36], v[33:34] offset0:12 offset1:13
	s_waitcnt vmcnt(0)
	ds_write2_b64 v4, v[41:42], v[39:40] offset0:14 offset1:15
	s_branch .LBB122_518
.LBB122_521:
	v_mov_b32_e32 v19, 20
.LBB122_522:
	s_or_b64 exec, exec, s[4:5]
	v_cmp_lt_i32_e32 vcc, 20, v19
	s_waitcnt vmcnt(0) lgkmcnt(0)
	s_barrier
	s_and_saveexec_b64 s[4:5], vcc
	s_cbranch_execz .LBB122_527
; %bb.523:
	buffer_load_dword v4, off, s[0:3], 0 offset:328
	buffer_load_dword v5, off, s[0:3], 0 offset:332
	;; [unrolled: 1-line block ×4, first 2 shown]
	s_movk_i32 s24, 0x150
	s_waitcnt vmcnt(2)
	v_mul_f64 v[12:13], v[2:3], v[4:5]
	v_mul_f64 v[4:5], v[0:1], v[4:5]
	s_waitcnt vmcnt(0)
	v_fma_f64 v[0:1], v[0:1], v[10:11], -v[12:13]
	v_fma_f64 v[2:3], v[2:3], v[10:11], v[4:5]
	buffer_store_dword v0, off, s[0:3], 0 offset:320
	buffer_store_dword v1, off, s[0:3], 0 offset:324
	;; [unrolled: 1-line block ×4, first 2 shown]
	s_branch .LBB122_525
.LBB122_524:                            ;   in Loop: Header=BB122_525 Depth=1
	s_andn2_b64 vcc, exec, s[18:19]
	s_cbranch_vccz .LBB122_527
.LBB122_525:                            ; =>This Inner Loop Header: Depth=1
	v_mov_b32_e32 v5, s24
	buffer_load_dword v20, v5, s[0:3], 0 offen
	buffer_load_dword v21, v5, s[0:3], 0 offen offset:4
	buffer_load_dword v22, v5, s[0:3], 0 offen offset:8
	;; [unrolled: 1-line block ×3, first 2 shown]
	v_add_u32_e32 v4, s24, v16
	ds_read2_b64 v[10:13], v4 offset1:1
	s_mov_b32 s16, s24
	s_cmpk_eq_i32 s24, 0x3d0
	s_mov_b64 s[18:19], -1
	s_waitcnt vmcnt(4) lgkmcnt(0)
	v_mul_f64 v[24:25], v[12:13], v[2:3]
	v_mul_f64 v[2:3], v[10:11], v[2:3]
	v_fma_f64 v[10:11], v[10:11], v[0:1], -v[24:25]
	v_fma_f64 v[0:1], v[12:13], v[0:1], v[2:3]
	s_waitcnt vmcnt(2)
	v_add_f64 v[2:3], v[20:21], -v[10:11]
	s_waitcnt vmcnt(0)
	v_add_f64 v[0:1], v[22:23], -v[0:1]
	buffer_store_dword v2, v5, s[0:3], 0 offen
	buffer_store_dword v3, v5, s[0:3], 0 offen offset:4
	buffer_store_dword v0, v5, s[0:3], 0 offen offset:8
	;; [unrolled: 1-line block ×3, first 2 shown]
                                        ; implicit-def: $vgpr0_vgpr1
                                        ; implicit-def: $vgpr2_vgpr3
	s_cbranch_scc1 .LBB122_524
; %bb.526:                              ;   in Loop: Header=BB122_525 Depth=1
	buffer_load_dword v20, off, s[0:3], 0 offset:328
	buffer_load_dword v21, off, s[0:3], 0 offset:332
	;; [unrolled: 1-line block ×4, first 2 shown]
	v_mov_b32_e32 v30, s16
	buffer_load_dword v24, v30, s[0:3], 0 offen offset:16
	buffer_load_dword v25, v30, s[0:3], 0 offen offset:20
	;; [unrolled: 1-line block ×4, first 2 shown]
	ds_read2_b64 v[0:3], v4 offset0:2 offset1:3
	ds_read2_b64 v[10:13], v4 offset0:4 offset1:5
	s_add_i32 s24, s24, 64
	s_mov_b64 s[18:19], 0
	s_waitcnt vmcnt(6) lgkmcnt(1)
	v_mul_f64 v[28:29], v[2:3], v[20:21]
	v_mul_f64 v[20:21], v[0:1], v[20:21]
	s_waitcnt vmcnt(4)
	v_fma_f64 v[0:1], v[0:1], v[22:23], -v[28:29]
	v_fma_f64 v[2:3], v[2:3], v[22:23], v[20:21]
	s_waitcnt vmcnt(2)
	v_add_f64 v[0:1], v[24:25], -v[0:1]
	s_waitcnt vmcnt(0)
	v_add_f64 v[2:3], v[26:27], -v[2:3]
	buffer_store_dword v1, v30, s[0:3], 0 offen offset:20
	buffer_store_dword v0, v30, s[0:3], 0 offen offset:16
	;; [unrolled: 1-line block ×4, first 2 shown]
	buffer_load_dword v1, v30, s[0:3], 0 offen offset:36
	s_nop 0
	buffer_load_dword v2, v30, s[0:3], 0 offen offset:40
	buffer_load_dword v3, v30, s[0:3], 0 offen offset:44
	buffer_load_dword v21, off, s[0:3], 0 offset:332
	buffer_load_dword v20, off, s[0:3], 0 offset:328
	;; [unrolled: 1-line block ×4, first 2 shown]
	buffer_load_dword v0, v30, s[0:3], 0 offen offset:32
	s_waitcnt vmcnt(3) lgkmcnt(0)
	v_mul_f64 v[24:25], v[12:13], v[20:21]
	v_mul_f64 v[20:21], v[10:11], v[20:21]
	s_waitcnt vmcnt(1)
	v_fma_f64 v[10:11], v[10:11], v[22:23], -v[24:25]
	v_fma_f64 v[12:13], v[12:13], v[22:23], v[20:21]
	s_waitcnt vmcnt(0)
	v_add_f64 v[0:1], v[0:1], -v[10:11]
	v_add_f64 v[2:3], v[2:3], -v[12:13]
	buffer_store_dword v1, v30, s[0:3], 0 offen offset:36
	buffer_store_dword v0, v30, s[0:3], 0 offen offset:32
	;; [unrolled: 1-line block ×4, first 2 shown]
	buffer_load_dword v11, v30, s[0:3], 0 offen offset:52
	buffer_load_dword v12, v30, s[0:3], 0 offen offset:56
	;; [unrolled: 1-line block ×3, first 2 shown]
	buffer_load_dword v20, off, s[0:3], 0 offset:328
	buffer_load_dword v21, off, s[0:3], 0 offset:332
	;; [unrolled: 1-line block ×4, first 2 shown]
	buffer_load_dword v10, v30, s[0:3], 0 offen offset:48
	ds_read2_b64 v[0:3], v4 offset0:6 offset1:7
	s_waitcnt vmcnt(3) lgkmcnt(0)
	v_mul_f64 v[4:5], v[2:3], v[20:21]
	v_mul_f64 v[20:21], v[0:1], v[20:21]
	s_waitcnt vmcnt(1)
	v_fma_f64 v[0:1], v[0:1], v[22:23], -v[4:5]
	v_fma_f64 v[2:3], v[2:3], v[22:23], v[20:21]
	s_waitcnt vmcnt(0)
	v_add_f64 v[0:1], v[10:11], -v[0:1]
	v_add_f64 v[2:3], v[12:13], -v[2:3]
	buffer_store_dword v1, v30, s[0:3], 0 offen offset:52
	buffer_store_dword v0, v30, s[0:3], 0 offen offset:48
	;; [unrolled: 1-line block ×4, first 2 shown]
	buffer_load_dword v0, off, s[0:3], 0 offset:320
	s_nop 0
	buffer_load_dword v1, off, s[0:3], 0 offset:324
	buffer_load_dword v2, off, s[0:3], 0 offset:328
	;; [unrolled: 1-line block ×3, first 2 shown]
	s_branch .LBB122_524
.LBB122_527:
	s_or_b64 exec, exec, s[4:5]
	s_waitcnt vmcnt(0)
	v_mov_b32_e32 v3, s66
	s_barrier
	buffer_load_dword v0, v3, s[0:3], 0 offen
	buffer_load_dword v1, v3, s[0:3], 0 offen offset:4
	buffer_load_dword v2, v3, s[0:3], 0 offen offset:8
	s_nop 0
	buffer_load_dword v3, v3, s[0:3], 0 offen offset:12
	v_lshl_add_u32 v4, v19, 4, v16
	s_cmp_lt_i32 s65, 23
	s_waitcnt vmcnt(0)
	ds_write2_b64 v4, v[0:1], v[2:3] offset1:1
	s_waitcnt lgkmcnt(0)
	s_barrier
	ds_read2_b64 v[0:3], v16 offset0:42 offset1:43
	v_mov_b32_e32 v4, 21
	s_cbranch_scc1 .LBB122_530
; %bb.528:
	v_add_u32_e32 v5, 0x160, v16
	s_mov_b32 s16, 22
	v_mov_b32_e32 v4, 21
.LBB122_529:                            ; =>This Inner Loop Header: Depth=1
	s_waitcnt lgkmcnt(0)
	v_cmp_gt_f64_e32 vcc, 0, v[2:3]
	v_cmp_gt_f64_e64 s[4:5], 0, v[0:1]
	ds_read2_b64 v[10:13], v5 offset1:1
	v_xor_b32_e32 v21, 0x80000000, v1
	v_xor_b32_e32 v23, 0x80000000, v3
	v_mov_b32_e32 v20, v0
	v_mov_b32_e32 v22, v2
	s_waitcnt lgkmcnt(0)
	v_xor_b32_e32 v25, 0x80000000, v13
	v_cndmask_b32_e32 v23, v3, v23, vcc
	v_cndmask_b32_e64 v21, v1, v21, s[4:5]
	v_cmp_gt_f64_e32 vcc, 0, v[12:13]
	v_cmp_gt_f64_e64 s[4:5], 0, v[10:11]
	v_add_f64 v[20:21], v[20:21], v[22:23]
	v_xor_b32_e32 v23, 0x80000000, v11
	v_mov_b32_e32 v22, v10
	v_mov_b32_e32 v24, v12
	v_add_u32_e32 v5, 16, v5
	v_cndmask_b32_e32 v25, v13, v25, vcc
	v_cndmask_b32_e64 v23, v11, v23, s[4:5]
	v_add_f64 v[22:23], v[22:23], v[24:25]
	v_mov_b32_e32 v24, s16
	s_add_i32 s16, s16, 1
	s_cmp_lg_u32 s65, s16
	v_cmp_lt_f64_e32 vcc, v[20:21], v[22:23]
	v_cndmask_b32_e32 v1, v1, v11, vcc
	v_cndmask_b32_e32 v0, v0, v10, vcc
	;; [unrolled: 1-line block ×5, first 2 shown]
	s_cbranch_scc1 .LBB122_529
.LBB122_530:
	s_waitcnt lgkmcnt(0)
	v_cmp_eq_f64_e32 vcc, 0, v[0:1]
	v_cmp_eq_f64_e64 s[4:5], 0, v[2:3]
	s_and_b64 s[4:5], vcc, s[4:5]
	s_and_saveexec_b64 s[16:17], s[4:5]
	s_xor_b64 s[4:5], exec, s[16:17]
; %bb.531:
	v_cmp_ne_u32_e32 vcc, 0, v17
	v_cndmask_b32_e32 v17, 22, v17, vcc
; %bb.532:
	s_andn2_saveexec_b64 s[4:5], s[4:5]
	s_cbranch_execz .LBB122_538
; %bb.533:
	v_cmp_ngt_f64_e64 s[16:17], |v[0:1]|, |v[2:3]|
	s_and_saveexec_b64 s[18:19], s[16:17]
	s_xor_b64 s[18:19], exec, s[18:19]
	s_cbranch_execz .LBB122_535
; %bb.534:
	v_div_scale_f64 v[10:11], s[16:17], v[2:3], v[2:3], v[0:1]
	v_rcp_f64_e32 v[12:13], v[10:11]
	v_fma_f64 v[20:21], -v[10:11], v[12:13], 1.0
	v_fma_f64 v[12:13], v[12:13], v[20:21], v[12:13]
	v_div_scale_f64 v[20:21], vcc, v[0:1], v[2:3], v[0:1]
	v_fma_f64 v[22:23], -v[10:11], v[12:13], 1.0
	v_fma_f64 v[12:13], v[12:13], v[22:23], v[12:13]
	v_mul_f64 v[22:23], v[20:21], v[12:13]
	v_fma_f64 v[10:11], -v[10:11], v[22:23], v[20:21]
	v_div_fmas_f64 v[10:11], v[10:11], v[12:13], v[22:23]
	v_div_fixup_f64 v[10:11], v[10:11], v[2:3], v[0:1]
	v_fma_f64 v[0:1], v[0:1], v[10:11], v[2:3]
	v_div_scale_f64 v[2:3], s[16:17], v[0:1], v[0:1], 1.0
	v_div_scale_f64 v[22:23], vcc, 1.0, v[0:1], 1.0
	v_rcp_f64_e32 v[12:13], v[2:3]
	v_fma_f64 v[20:21], -v[2:3], v[12:13], 1.0
	v_fma_f64 v[12:13], v[12:13], v[20:21], v[12:13]
	v_fma_f64 v[20:21], -v[2:3], v[12:13], 1.0
	v_fma_f64 v[12:13], v[12:13], v[20:21], v[12:13]
	v_mul_f64 v[20:21], v[22:23], v[12:13]
	v_fma_f64 v[2:3], -v[2:3], v[20:21], v[22:23]
	v_div_fmas_f64 v[2:3], v[2:3], v[12:13], v[20:21]
	v_div_fixup_f64 v[2:3], v[2:3], v[0:1], 1.0
	v_mul_f64 v[0:1], v[10:11], v[2:3]
	v_xor_b32_e32 v3, 0x80000000, v3
.LBB122_535:
	s_andn2_saveexec_b64 s[18:19], s[18:19]
	s_cbranch_execz .LBB122_537
; %bb.536:
	v_div_scale_f64 v[10:11], s[16:17], v[0:1], v[0:1], v[2:3]
	v_rcp_f64_e32 v[12:13], v[10:11]
	v_fma_f64 v[20:21], -v[10:11], v[12:13], 1.0
	v_fma_f64 v[12:13], v[12:13], v[20:21], v[12:13]
	v_div_scale_f64 v[20:21], vcc, v[2:3], v[0:1], v[2:3]
	v_fma_f64 v[22:23], -v[10:11], v[12:13], 1.0
	v_fma_f64 v[12:13], v[12:13], v[22:23], v[12:13]
	v_mul_f64 v[22:23], v[20:21], v[12:13]
	v_fma_f64 v[10:11], -v[10:11], v[22:23], v[20:21]
	v_div_fmas_f64 v[10:11], v[10:11], v[12:13], v[22:23]
	v_div_fixup_f64 v[10:11], v[10:11], v[0:1], v[2:3]
	v_fma_f64 v[0:1], v[2:3], v[10:11], v[0:1]
	v_div_scale_f64 v[2:3], s[16:17], v[0:1], v[0:1], 1.0
	v_div_scale_f64 v[22:23], vcc, 1.0, v[0:1], 1.0
	v_rcp_f64_e32 v[12:13], v[2:3]
	v_fma_f64 v[20:21], -v[2:3], v[12:13], 1.0
	v_fma_f64 v[12:13], v[12:13], v[20:21], v[12:13]
	v_fma_f64 v[20:21], -v[2:3], v[12:13], 1.0
	v_fma_f64 v[12:13], v[12:13], v[20:21], v[12:13]
	v_mul_f64 v[20:21], v[22:23], v[12:13]
	v_fma_f64 v[2:3], -v[2:3], v[20:21], v[22:23]
	v_div_fmas_f64 v[2:3], v[2:3], v[12:13], v[20:21]
	v_div_fixup_f64 v[0:1], v[2:3], v[0:1], 1.0
	v_mul_f64 v[2:3], v[10:11], -v[0:1]
.LBB122_537:
	s_or_b64 exec, exec, s[18:19]
.LBB122_538:
	s_or_b64 exec, exec, s[4:5]
	v_cmp_ne_u32_e32 vcc, v19, v4
	s_and_saveexec_b64 s[4:5], vcc
	s_xor_b64 s[4:5], exec, s[4:5]
	s_cbranch_execz .LBB122_544
; %bb.539:
	v_cmp_eq_u32_e32 vcc, 21, v19
	s_and_saveexec_b64 s[18:19], vcc
	s_cbranch_execz .LBB122_543
; %bb.540:
	v_cmp_ne_u32_e32 vcc, 21, v4
	s_xor_b64 s[16:17], s[22:23], -1
	s_and_b64 s[16:17], s[16:17], vcc
	s_and_saveexec_b64 s[24:25], s[16:17]
	s_cbranch_execz .LBB122_542
; %bb.541:
	v_ashrrev_i32_e32 v5, 31, v4
	v_lshlrev_b64 v[10:11], 2, v[4:5]
	v_add_co_u32_e32 v10, vcc, v8, v10
	v_addc_co_u32_e32 v11, vcc, v9, v11, vcc
	global_load_dword v5, v[10:11], off
	global_load_dword v12, v[8:9], off offset:84
	s_waitcnt vmcnt(1)
	global_store_dword v[8:9], v5, off offset:84
	s_waitcnt vmcnt(1)
	global_store_dword v[10:11], v12, off
.LBB122_542:
	s_or_b64 exec, exec, s[24:25]
	v_mov_b32_e32 v19, v4
	v_mov_b32_e32 v18, v4
.LBB122_543:
	s_or_b64 exec, exec, s[18:19]
.LBB122_544:
	s_andn2_saveexec_b64 s[4:5], s[4:5]
	s_cbranch_execz .LBB122_548
; %bb.545:
	s_movk_i32 s16, 0x160
.LBB122_546:                            ; =>This Inner Loop Header: Depth=1
	v_mov_b32_e32 v52, s16
	buffer_load_dword v4, v52, s[0:3], 0 offen
	buffer_load_dword v5, v52, s[0:3], 0 offen offset:4
	buffer_load_dword v10, v52, s[0:3], 0 offen offset:8
	;; [unrolled: 1-line block ×38, first 2 shown]
	s_nop 0
	buffer_load_dword v52, v52, s[0:3], 0 offen offset:156
	v_add_u32_e32 v53, s16, v16
	s_addk_i32 s16, 0xa0
	s_cmpk_eq_i32 s16, 0x3e0
	s_waitcnt vmcnt(36)
	ds_write2_b64 v53, v[4:5], v[10:11] offset1:1
	s_waitcnt vmcnt(32)
	ds_write2_b64 v53, v[12:13], v[19:20] offset0:2 offset1:3
	s_waitcnt vmcnt(28)
	ds_write2_b64 v53, v[21:22], v[23:24] offset0:4 offset1:5
	;; [unrolled: 2-line block ×4, first 2 shown]
	ds_write2_b64 v53, v[33:34], v[31:32] offset0:10 offset1:11
	s_waitcnt vmcnt(8)
	ds_write2_b64 v53, v[43:44], v[37:38] offset0:12 offset1:13
	ds_write2_b64 v53, v[41:42], v[39:40] offset0:14 offset1:15
	s_waitcnt vmcnt(4)
	ds_write2_b64 v53, v[45:46], v[47:48] offset0:16 offset1:17
	s_waitcnt vmcnt(0)
	ds_write2_b64 v53, v[49:50], v[51:52] offset0:18 offset1:19
	s_cbranch_scc0 .LBB122_546
; %bb.547:
	v_mov_b32_e32 v19, 21
.LBB122_548:
	s_or_b64 exec, exec, s[4:5]
	v_cmp_lt_i32_e32 vcc, 21, v19
	s_waitcnt vmcnt(0) lgkmcnt(0)
	s_barrier
	s_and_saveexec_b64 s[4:5], vcc
	s_cbranch_execz .LBB122_551
; %bb.549:
	buffer_load_dword v4, off, s[0:3], 0 offset:344
	buffer_load_dword v5, off, s[0:3], 0 offset:348
	;; [unrolled: 1-line block ×4, first 2 shown]
	s_movk_i32 s18, 0x160
	s_waitcnt vmcnt(2)
	v_mul_f64 v[12:13], v[2:3], v[4:5]
	v_mul_f64 v[4:5], v[0:1], v[4:5]
	s_waitcnt vmcnt(0)
	v_fma_f64 v[0:1], v[0:1], v[10:11], -v[12:13]
	v_fma_f64 v[2:3], v[2:3], v[10:11], v[4:5]
	buffer_store_dword v0, off, s[0:3], 0 offset:336
	buffer_store_dword v1, off, s[0:3], 0 offset:340
	;; [unrolled: 1-line block ×4, first 2 shown]
.LBB122_550:                            ; =>This Inner Loop Header: Depth=1
	buffer_load_dword v4, off, s[0:3], 0 offset:344
	buffer_load_dword v5, off, s[0:3], 0 offset:348
	;; [unrolled: 1-line block ×4, first 2 shown]
	v_mov_b32_e32 v32, s18
	buffer_load_dword v22, v32, s[0:3], 0 offen
	buffer_load_dword v23, v32, s[0:3], 0 offen offset:4
	buffer_load_dword v24, v32, s[0:3], 0 offen offset:8
	;; [unrolled: 1-line block ×3, first 2 shown]
	v_add_u32_e32 v33, s18, v16
	ds_read2_b64 v[0:3], v33 offset1:1
	buffer_load_dword v26, v32, s[0:3], 0 offen offset:16
	buffer_load_dword v27, v32, s[0:3], 0 offen offset:20
	;; [unrolled: 1-line block ×4, first 2 shown]
	ds_read2_b64 v[10:13], v33 offset0:2 offset1:3
	s_addk_i32 s18, 0x50
	s_cmpk_lg_i32 s18, 0x3e0
	s_waitcnt vmcnt(10) lgkmcnt(1)
	v_mul_f64 v[30:31], v[2:3], v[4:5]
	v_mul_f64 v[4:5], v[0:1], v[4:5]
	s_waitcnt vmcnt(8)
	v_fma_f64 v[0:1], v[0:1], v[20:21], -v[30:31]
	v_fma_f64 v[2:3], v[2:3], v[20:21], v[4:5]
	s_waitcnt vmcnt(6)
	v_add_f64 v[0:1], v[22:23], -v[0:1]
	s_waitcnt vmcnt(4)
	v_add_f64 v[2:3], v[24:25], -v[2:3]
	buffer_store_dword v1, v32, s[0:3], 0 offen offset:4
	buffer_store_dword v0, v32, s[0:3], 0 offen
	buffer_store_dword v3, v32, s[0:3], 0 offen offset:12
	buffer_store_dword v2, v32, s[0:3], 0 offen offset:8
	buffer_load_dword v1, off, s[0:3], 0 offset:348
	s_nop 0
	buffer_load_dword v0, off, s[0:3], 0 offset:344
	buffer_load_dword v3, off, s[0:3], 0 offset:340
	;; [unrolled: 1-line block ×3, first 2 shown]
	buffer_load_dword v4, v32, s[0:3], 0 offen offset:32
	buffer_load_dword v5, v32, s[0:3], 0 offen offset:36
	;; [unrolled: 1-line block ×4, first 2 shown]
	s_waitcnt vmcnt(6) lgkmcnt(0)
	v_mul_f64 v[22:23], v[12:13], v[0:1]
	v_mul_f64 v[0:1], v[10:11], v[0:1]
	s_waitcnt vmcnt(4)
	v_fma_f64 v[10:11], v[10:11], v[2:3], -v[22:23]
	v_fma_f64 v[0:1], v[12:13], v[2:3], v[0:1]
	v_add_f64 v[2:3], v[26:27], -v[10:11]
	v_add_f64 v[0:1], v[28:29], -v[0:1]
	buffer_store_dword v3, v32, s[0:3], 0 offen offset:20
	buffer_store_dword v2, v32, s[0:3], 0 offen offset:16
	;; [unrolled: 1-line block ×4, first 2 shown]
	buffer_load_dword v22, off, s[0:3], 0 offset:344
	buffer_load_dword v23, off, s[0:3], 0 offset:348
	buffer_load_dword v24, off, s[0:3], 0 offset:336
	buffer_load_dword v25, off, s[0:3], 0 offset:340
	ds_read2_b64 v[0:3], v33 offset0:4 offset1:5
	ds_read2_b64 v[10:13], v33 offset0:6 offset1:7
	s_waitcnt vmcnt(2) lgkmcnt(1)
	v_mul_f64 v[26:27], v[2:3], v[22:23]
	v_mul_f64 v[22:23], v[0:1], v[22:23]
	s_waitcnt vmcnt(0)
	v_fma_f64 v[0:1], v[0:1], v[24:25], -v[26:27]
	v_fma_f64 v[2:3], v[2:3], v[24:25], v[22:23]
	v_add_f64 v[0:1], v[4:5], -v[0:1]
	v_add_f64 v[2:3], v[20:21], -v[2:3]
	buffer_store_dword v1, v32, s[0:3], 0 offen offset:36
	buffer_store_dword v0, v32, s[0:3], 0 offen offset:32
	;; [unrolled: 1-line block ×4, first 2 shown]
	buffer_load_dword v0, off, s[0:3], 0 offset:344
	s_nop 0
	buffer_load_dword v1, off, s[0:3], 0 offset:348
	buffer_load_dword v2, off, s[0:3], 0 offset:336
	;; [unrolled: 1-line block ×3, first 2 shown]
	buffer_load_dword v4, v32, s[0:3], 0 offen offset:48
	buffer_load_dword v5, v32, s[0:3], 0 offen offset:52
	;; [unrolled: 1-line block ×4, first 2 shown]
	s_waitcnt vmcnt(6) lgkmcnt(0)
	v_mul_f64 v[22:23], v[12:13], v[0:1]
	v_mul_f64 v[0:1], v[10:11], v[0:1]
	s_waitcnt vmcnt(4)
	v_fma_f64 v[10:11], v[10:11], v[2:3], -v[22:23]
	v_fma_f64 v[0:1], v[12:13], v[2:3], v[0:1]
	s_waitcnt vmcnt(2)
	v_add_f64 v[2:3], v[4:5], -v[10:11]
	s_waitcnt vmcnt(0)
	v_add_f64 v[0:1], v[20:21], -v[0:1]
	buffer_store_dword v3, v32, s[0:3], 0 offen offset:52
	buffer_store_dword v2, v32, s[0:3], 0 offen offset:48
	buffer_store_dword v1, v32, s[0:3], 0 offen offset:60
	buffer_store_dword v0, v32, s[0:3], 0 offen offset:56
	buffer_load_dword v4, off, s[0:3], 0 offset:344
	buffer_load_dword v5, off, s[0:3], 0 offset:348
	;; [unrolled: 1-line block ×4, first 2 shown]
	buffer_load_dword v12, v32, s[0:3], 0 offen offset:64
	buffer_load_dword v13, v32, s[0:3], 0 offen offset:68
	;; [unrolled: 1-line block ×4, first 2 shown]
	ds_read2_b64 v[0:3], v33 offset0:8 offset1:9
	s_waitcnt vmcnt(6) lgkmcnt(0)
	v_mul_f64 v[22:23], v[2:3], v[4:5]
	v_mul_f64 v[4:5], v[0:1], v[4:5]
	s_waitcnt vmcnt(4)
	v_fma_f64 v[0:1], v[0:1], v[10:11], -v[22:23]
	v_fma_f64 v[2:3], v[2:3], v[10:11], v[4:5]
	s_waitcnt vmcnt(2)
	v_add_f64 v[0:1], v[12:13], -v[0:1]
	s_waitcnt vmcnt(0)
	v_add_f64 v[2:3], v[20:21], -v[2:3]
	buffer_store_dword v1, v32, s[0:3], 0 offen offset:68
	buffer_store_dword v0, v32, s[0:3], 0 offen offset:64
	;; [unrolled: 1-line block ×4, first 2 shown]
	s_cbranch_scc1 .LBB122_550
.LBB122_551:
	s_or_b64 exec, exec, s[4:5]
	v_mov_b32_e32 v3, s64
	s_waitcnt vmcnt(0)
	s_barrier
	buffer_load_dword v0, v3, s[0:3], 0 offen
	buffer_load_dword v1, v3, s[0:3], 0 offen offset:4
	buffer_load_dword v2, v3, s[0:3], 0 offen offset:8
	s_nop 0
	buffer_load_dword v3, v3, s[0:3], 0 offen offset:12
	v_lshl_add_u32 v4, v19, 4, v16
	s_cmp_lt_i32 s65, 24
	s_waitcnt vmcnt(0)
	ds_write2_b64 v4, v[0:1], v[2:3] offset1:1
	s_waitcnt lgkmcnt(0)
	s_barrier
	ds_read2_b64 v[0:3], v16 offset0:44 offset1:45
	v_mov_b32_e32 v4, 22
	s_cbranch_scc1 .LBB122_554
; %bb.552:
	v_add_u32_e32 v5, 0x170, v16
	s_mov_b32 s16, 23
	v_mov_b32_e32 v4, 22
.LBB122_553:                            ; =>This Inner Loop Header: Depth=1
	s_waitcnt lgkmcnt(0)
	v_cmp_gt_f64_e32 vcc, 0, v[2:3]
	v_cmp_gt_f64_e64 s[4:5], 0, v[0:1]
	ds_read2_b64 v[10:13], v5 offset1:1
	v_xor_b32_e32 v21, 0x80000000, v1
	v_xor_b32_e32 v23, 0x80000000, v3
	v_mov_b32_e32 v20, v0
	v_mov_b32_e32 v22, v2
	s_waitcnt lgkmcnt(0)
	v_xor_b32_e32 v25, 0x80000000, v13
	v_cndmask_b32_e32 v23, v3, v23, vcc
	v_cndmask_b32_e64 v21, v1, v21, s[4:5]
	v_cmp_gt_f64_e32 vcc, 0, v[12:13]
	v_cmp_gt_f64_e64 s[4:5], 0, v[10:11]
	v_add_f64 v[20:21], v[20:21], v[22:23]
	v_xor_b32_e32 v23, 0x80000000, v11
	v_mov_b32_e32 v22, v10
	v_mov_b32_e32 v24, v12
	v_add_u32_e32 v5, 16, v5
	v_cndmask_b32_e32 v25, v13, v25, vcc
	v_cndmask_b32_e64 v23, v11, v23, s[4:5]
	v_add_f64 v[22:23], v[22:23], v[24:25]
	v_mov_b32_e32 v24, s16
	s_add_i32 s16, s16, 1
	s_cmp_lg_u32 s65, s16
	v_cmp_lt_f64_e32 vcc, v[20:21], v[22:23]
	v_cndmask_b32_e32 v1, v1, v11, vcc
	v_cndmask_b32_e32 v0, v0, v10, vcc
	v_cndmask_b32_e32 v3, v3, v13, vcc
	v_cndmask_b32_e32 v2, v2, v12, vcc
	v_cndmask_b32_e32 v4, v4, v24, vcc
	s_cbranch_scc1 .LBB122_553
.LBB122_554:
	s_waitcnt lgkmcnt(0)
	v_cmp_eq_f64_e32 vcc, 0, v[0:1]
	v_cmp_eq_f64_e64 s[4:5], 0, v[2:3]
	s_and_b64 s[4:5], vcc, s[4:5]
	s_and_saveexec_b64 s[16:17], s[4:5]
	s_xor_b64 s[4:5], exec, s[16:17]
; %bb.555:
	v_cmp_ne_u32_e32 vcc, 0, v17
	v_cndmask_b32_e32 v17, 23, v17, vcc
; %bb.556:
	s_andn2_saveexec_b64 s[4:5], s[4:5]
	s_cbranch_execz .LBB122_562
; %bb.557:
	v_cmp_ngt_f64_e64 s[16:17], |v[0:1]|, |v[2:3]|
	s_and_saveexec_b64 s[18:19], s[16:17]
	s_xor_b64 s[18:19], exec, s[18:19]
	s_cbranch_execz .LBB122_559
; %bb.558:
	v_div_scale_f64 v[10:11], s[16:17], v[2:3], v[2:3], v[0:1]
	v_rcp_f64_e32 v[12:13], v[10:11]
	v_fma_f64 v[20:21], -v[10:11], v[12:13], 1.0
	v_fma_f64 v[12:13], v[12:13], v[20:21], v[12:13]
	v_div_scale_f64 v[20:21], vcc, v[0:1], v[2:3], v[0:1]
	v_fma_f64 v[22:23], -v[10:11], v[12:13], 1.0
	v_fma_f64 v[12:13], v[12:13], v[22:23], v[12:13]
	v_mul_f64 v[22:23], v[20:21], v[12:13]
	v_fma_f64 v[10:11], -v[10:11], v[22:23], v[20:21]
	v_div_fmas_f64 v[10:11], v[10:11], v[12:13], v[22:23]
	v_div_fixup_f64 v[10:11], v[10:11], v[2:3], v[0:1]
	v_fma_f64 v[0:1], v[0:1], v[10:11], v[2:3]
	v_div_scale_f64 v[2:3], s[16:17], v[0:1], v[0:1], 1.0
	v_div_scale_f64 v[22:23], vcc, 1.0, v[0:1], 1.0
	v_rcp_f64_e32 v[12:13], v[2:3]
	v_fma_f64 v[20:21], -v[2:3], v[12:13], 1.0
	v_fma_f64 v[12:13], v[12:13], v[20:21], v[12:13]
	v_fma_f64 v[20:21], -v[2:3], v[12:13], 1.0
	v_fma_f64 v[12:13], v[12:13], v[20:21], v[12:13]
	v_mul_f64 v[20:21], v[22:23], v[12:13]
	v_fma_f64 v[2:3], -v[2:3], v[20:21], v[22:23]
	v_div_fmas_f64 v[2:3], v[2:3], v[12:13], v[20:21]
	v_div_fixup_f64 v[2:3], v[2:3], v[0:1], 1.0
	v_mul_f64 v[0:1], v[10:11], v[2:3]
	v_xor_b32_e32 v3, 0x80000000, v3
.LBB122_559:
	s_andn2_saveexec_b64 s[18:19], s[18:19]
	s_cbranch_execz .LBB122_561
; %bb.560:
	v_div_scale_f64 v[10:11], s[16:17], v[0:1], v[0:1], v[2:3]
	v_rcp_f64_e32 v[12:13], v[10:11]
	v_fma_f64 v[20:21], -v[10:11], v[12:13], 1.0
	v_fma_f64 v[12:13], v[12:13], v[20:21], v[12:13]
	v_div_scale_f64 v[20:21], vcc, v[2:3], v[0:1], v[2:3]
	v_fma_f64 v[22:23], -v[10:11], v[12:13], 1.0
	v_fma_f64 v[12:13], v[12:13], v[22:23], v[12:13]
	v_mul_f64 v[22:23], v[20:21], v[12:13]
	v_fma_f64 v[10:11], -v[10:11], v[22:23], v[20:21]
	v_div_fmas_f64 v[10:11], v[10:11], v[12:13], v[22:23]
	v_div_fixup_f64 v[10:11], v[10:11], v[0:1], v[2:3]
	v_fma_f64 v[0:1], v[2:3], v[10:11], v[0:1]
	v_div_scale_f64 v[2:3], s[16:17], v[0:1], v[0:1], 1.0
	v_div_scale_f64 v[22:23], vcc, 1.0, v[0:1], 1.0
	v_rcp_f64_e32 v[12:13], v[2:3]
	v_fma_f64 v[20:21], -v[2:3], v[12:13], 1.0
	v_fma_f64 v[12:13], v[12:13], v[20:21], v[12:13]
	v_fma_f64 v[20:21], -v[2:3], v[12:13], 1.0
	v_fma_f64 v[12:13], v[12:13], v[20:21], v[12:13]
	v_mul_f64 v[20:21], v[22:23], v[12:13]
	v_fma_f64 v[2:3], -v[2:3], v[20:21], v[22:23]
	v_div_fmas_f64 v[2:3], v[2:3], v[12:13], v[20:21]
	v_div_fixup_f64 v[0:1], v[2:3], v[0:1], 1.0
	v_mul_f64 v[2:3], v[10:11], -v[0:1]
.LBB122_561:
	s_or_b64 exec, exec, s[18:19]
.LBB122_562:
	s_or_b64 exec, exec, s[4:5]
	v_cmp_ne_u32_e32 vcc, v19, v4
	s_and_saveexec_b64 s[4:5], vcc
	s_xor_b64 s[4:5], exec, s[4:5]
	s_cbranch_execz .LBB122_568
; %bb.563:
	v_cmp_eq_u32_e32 vcc, 22, v19
	s_and_saveexec_b64 s[18:19], vcc
	s_cbranch_execz .LBB122_567
; %bb.564:
	v_cmp_ne_u32_e32 vcc, 22, v4
	s_xor_b64 s[16:17], s[22:23], -1
	s_and_b64 s[16:17], s[16:17], vcc
	s_and_saveexec_b64 s[24:25], s[16:17]
	s_cbranch_execz .LBB122_566
; %bb.565:
	v_ashrrev_i32_e32 v5, 31, v4
	v_lshlrev_b64 v[10:11], 2, v[4:5]
	v_add_co_u32_e32 v10, vcc, v8, v10
	v_addc_co_u32_e32 v11, vcc, v9, v11, vcc
	global_load_dword v5, v[10:11], off
	global_load_dword v12, v[8:9], off offset:88
	s_waitcnt vmcnt(1)
	global_store_dword v[8:9], v5, off offset:88
	s_waitcnt vmcnt(1)
	global_store_dword v[10:11], v12, off
.LBB122_566:
	s_or_b64 exec, exec, s[24:25]
	v_mov_b32_e32 v19, v4
	v_mov_b32_e32 v18, v4
.LBB122_567:
	s_or_b64 exec, exec, s[18:19]
.LBB122_568:
	s_andn2_saveexec_b64 s[4:5], s[4:5]
	s_cbranch_execz .LBB122_572
; %bb.569:
	s_movk_i32 s16, 0x170
.LBB122_570:                            ; =>This Inner Loop Header: Depth=1
	v_mov_b32_e32 v29, s16
	buffer_load_dword v4, v29, s[0:3], 0 offen
	buffer_load_dword v5, v29, s[0:3], 0 offen offset:4
	buffer_load_dword v10, v29, s[0:3], 0 offen offset:8
	;; [unrolled: 1-line block ×15, first 2 shown]
	v_add_u32_e32 v30, s16, v16
	s_addk_i32 s16, 0xd0
	s_cmpk_eq_i32 s16, 0x3e0
	s_waitcnt vmcnt(12)
	ds_write2_b64 v30, v[4:5], v[10:11] offset1:1
	s_waitcnt vmcnt(8)
	ds_write2_b64 v30, v[12:13], v[19:20] offset0:2 offset1:3
	s_waitcnt vmcnt(4)
	ds_write2_b64 v30, v[21:22], v[23:24] offset0:4 offset1:5
	;; [unrolled: 2-line block ×3, first 2 shown]
	buffer_load_dword v5, v29, s[0:3], 0 offen offset:76
	buffer_load_dword v4, v29, s[0:3], 0 offen offset:72
	buffer_load_dword v11, v29, s[0:3], 0 offen offset:68
	buffer_load_dword v10, v29, s[0:3], 0 offen offset:64
	s_waitcnt vmcnt(0)
	ds_write2_b64 v30, v[10:11], v[4:5] offset0:8 offset1:9
	buffer_load_dword v5, v29, s[0:3], 0 offen offset:92
	buffer_load_dword v4, v29, s[0:3], 0 offen offset:88
	buffer_load_dword v11, v29, s[0:3], 0 offen offset:84
	buffer_load_dword v10, v29, s[0:3], 0 offen offset:80
	s_waitcnt vmcnt(0)
	ds_write2_b64 v30, v[10:11], v[4:5] offset0:10 offset1:11
	;; [unrolled: 6-line block ×9, first 2 shown]
	s_cbranch_scc0 .LBB122_570
; %bb.571:
	v_mov_b32_e32 v19, 22
.LBB122_572:
	s_or_b64 exec, exec, s[4:5]
	v_cmp_lt_i32_e32 vcc, 22, v19
	s_waitcnt vmcnt(0) lgkmcnt(0)
	s_barrier
	s_and_saveexec_b64 s[4:5], vcc
	s_cbranch_execz .LBB122_575
; %bb.573:
	buffer_load_dword v4, off, s[0:3], 0 offset:360
	buffer_load_dword v5, off, s[0:3], 0 offset:364
	;; [unrolled: 1-line block ×4, first 2 shown]
	s_movk_i32 s16, 0x170
	s_waitcnt vmcnt(2)
	v_mul_f64 v[12:13], v[2:3], v[4:5]
	v_mul_f64 v[4:5], v[0:1], v[4:5]
	s_waitcnt vmcnt(0)
	v_fma_f64 v[0:1], v[0:1], v[10:11], -v[12:13]
	v_fma_f64 v[2:3], v[2:3], v[10:11], v[4:5]
	buffer_store_dword v0, off, s[0:3], 0 offset:352
	buffer_store_dword v1, off, s[0:3], 0 offset:356
	;; [unrolled: 1-line block ×4, first 2 shown]
.LBB122_574:                            ; =>This Inner Loop Header: Depth=1
	buffer_load_dword v4, off, s[0:3], 0 offset:360
	buffer_load_dword v5, off, s[0:3], 0 offset:364
	;; [unrolled: 1-line block ×4, first 2 shown]
	v_mov_b32_e32 v32, s16
	buffer_load_dword v22, v32, s[0:3], 0 offen
	buffer_load_dword v23, v32, s[0:3], 0 offen offset:4
	buffer_load_dword v24, v32, s[0:3], 0 offen offset:8
	;; [unrolled: 1-line block ×3, first 2 shown]
	v_add_u32_e32 v33, s16, v16
	ds_read2_b64 v[0:3], v33 offset1:1
	buffer_load_dword v26, v32, s[0:3], 0 offen offset:16
	buffer_load_dword v27, v32, s[0:3], 0 offen offset:20
	;; [unrolled: 1-line block ×4, first 2 shown]
	ds_read2_b64 v[10:13], v33 offset0:2 offset1:3
	s_add_i32 s16, s16, 48
	s_cmpk_lg_i32 s16, 0x3e0
	s_waitcnt vmcnt(10) lgkmcnt(1)
	v_mul_f64 v[30:31], v[2:3], v[4:5]
	v_mul_f64 v[4:5], v[0:1], v[4:5]
	s_waitcnt vmcnt(8)
	v_fma_f64 v[0:1], v[0:1], v[20:21], -v[30:31]
	v_fma_f64 v[2:3], v[2:3], v[20:21], v[4:5]
	s_waitcnt vmcnt(6)
	v_add_f64 v[0:1], v[22:23], -v[0:1]
	s_waitcnt vmcnt(4)
	v_add_f64 v[2:3], v[24:25], -v[2:3]
	buffer_store_dword v1, v32, s[0:3], 0 offen offset:4
	buffer_store_dword v0, v32, s[0:3], 0 offen
	buffer_store_dword v3, v32, s[0:3], 0 offen offset:12
	buffer_store_dword v2, v32, s[0:3], 0 offen offset:8
	buffer_load_dword v1, off, s[0:3], 0 offset:364
	s_nop 0
	buffer_load_dword v0, off, s[0:3], 0 offset:360
	buffer_load_dword v3, off, s[0:3], 0 offset:356
	;; [unrolled: 1-line block ×3, first 2 shown]
	buffer_load_dword v4, v32, s[0:3], 0 offen offset:32
	buffer_load_dword v5, v32, s[0:3], 0 offen offset:36
	buffer_load_dword v20, v32, s[0:3], 0 offen offset:40
	buffer_load_dword v21, v32, s[0:3], 0 offen offset:44
	s_waitcnt vmcnt(6) lgkmcnt(0)
	v_mul_f64 v[22:23], v[12:13], v[0:1]
	v_mul_f64 v[0:1], v[10:11], v[0:1]
	s_waitcnt vmcnt(4)
	v_fma_f64 v[10:11], v[10:11], v[2:3], -v[22:23]
	v_fma_f64 v[0:1], v[12:13], v[2:3], v[0:1]
	v_add_f64 v[2:3], v[26:27], -v[10:11]
	v_add_f64 v[0:1], v[28:29], -v[0:1]
	buffer_store_dword v3, v32, s[0:3], 0 offen offset:20
	buffer_store_dword v2, v32, s[0:3], 0 offen offset:16
	;; [unrolled: 1-line block ×4, first 2 shown]
	buffer_load_dword v10, off, s[0:3], 0 offset:360
	buffer_load_dword v11, off, s[0:3], 0 offset:364
	;; [unrolled: 1-line block ×4, first 2 shown]
	ds_read2_b64 v[0:3], v33 offset0:4 offset1:5
	s_waitcnt vmcnt(2) lgkmcnt(0)
	v_mul_f64 v[22:23], v[2:3], v[10:11]
	v_mul_f64 v[10:11], v[0:1], v[10:11]
	s_waitcnt vmcnt(0)
	v_fma_f64 v[0:1], v[0:1], v[12:13], -v[22:23]
	v_fma_f64 v[2:3], v[2:3], v[12:13], v[10:11]
	v_add_f64 v[0:1], v[4:5], -v[0:1]
	v_add_f64 v[2:3], v[20:21], -v[2:3]
	buffer_store_dword v1, v32, s[0:3], 0 offen offset:36
	buffer_store_dword v0, v32, s[0:3], 0 offen offset:32
	;; [unrolled: 1-line block ×4, first 2 shown]
	s_cbranch_scc1 .LBB122_574
.LBB122_575:
	s_or_b64 exec, exec, s[4:5]
	v_mov_b32_e32 v3, s63
	s_waitcnt vmcnt(0)
	s_barrier
	buffer_load_dword v0, v3, s[0:3], 0 offen
	buffer_load_dword v1, v3, s[0:3], 0 offen offset:4
	buffer_load_dword v2, v3, s[0:3], 0 offen offset:8
	s_nop 0
	buffer_load_dword v3, v3, s[0:3], 0 offen offset:12
	v_lshl_add_u32 v4, v19, 4, v16
	s_cmp_lt_i32 s65, 25
	s_waitcnt vmcnt(0)
	ds_write2_b64 v4, v[0:1], v[2:3] offset1:1
	s_waitcnt lgkmcnt(0)
	s_barrier
	ds_read2_b64 v[0:3], v16 offset0:46 offset1:47
	v_mov_b32_e32 v4, 23
	s_cbranch_scc1 .LBB122_578
; %bb.576:
	v_add_u32_e32 v5, 0x180, v16
	s_mov_b32 s16, 24
	v_mov_b32_e32 v4, 23
.LBB122_577:                            ; =>This Inner Loop Header: Depth=1
	s_waitcnt lgkmcnt(0)
	v_cmp_gt_f64_e32 vcc, 0, v[2:3]
	v_cmp_gt_f64_e64 s[4:5], 0, v[0:1]
	ds_read2_b64 v[10:13], v5 offset1:1
	v_xor_b32_e32 v21, 0x80000000, v1
	v_xor_b32_e32 v23, 0x80000000, v3
	v_mov_b32_e32 v20, v0
	v_mov_b32_e32 v22, v2
	s_waitcnt lgkmcnt(0)
	v_xor_b32_e32 v25, 0x80000000, v13
	v_cndmask_b32_e32 v23, v3, v23, vcc
	v_cndmask_b32_e64 v21, v1, v21, s[4:5]
	v_cmp_gt_f64_e32 vcc, 0, v[12:13]
	v_cmp_gt_f64_e64 s[4:5], 0, v[10:11]
	v_add_f64 v[20:21], v[20:21], v[22:23]
	v_xor_b32_e32 v23, 0x80000000, v11
	v_mov_b32_e32 v22, v10
	v_mov_b32_e32 v24, v12
	v_add_u32_e32 v5, 16, v5
	v_cndmask_b32_e32 v25, v13, v25, vcc
	v_cndmask_b32_e64 v23, v11, v23, s[4:5]
	v_add_f64 v[22:23], v[22:23], v[24:25]
	v_mov_b32_e32 v24, s16
	s_add_i32 s16, s16, 1
	s_cmp_lg_u32 s65, s16
	v_cmp_lt_f64_e32 vcc, v[20:21], v[22:23]
	v_cndmask_b32_e32 v1, v1, v11, vcc
	v_cndmask_b32_e32 v0, v0, v10, vcc
	;; [unrolled: 1-line block ×5, first 2 shown]
	s_cbranch_scc1 .LBB122_577
.LBB122_578:
	s_waitcnt lgkmcnt(0)
	v_cmp_eq_f64_e32 vcc, 0, v[0:1]
	v_cmp_eq_f64_e64 s[4:5], 0, v[2:3]
	s_and_b64 s[4:5], vcc, s[4:5]
	s_and_saveexec_b64 s[16:17], s[4:5]
	s_xor_b64 s[4:5], exec, s[16:17]
; %bb.579:
	v_cmp_ne_u32_e32 vcc, 0, v17
	v_cndmask_b32_e32 v17, 24, v17, vcc
; %bb.580:
	s_andn2_saveexec_b64 s[4:5], s[4:5]
	s_cbranch_execz .LBB122_586
; %bb.581:
	v_cmp_ngt_f64_e64 s[16:17], |v[0:1]|, |v[2:3]|
	s_and_saveexec_b64 s[18:19], s[16:17]
	s_xor_b64 s[18:19], exec, s[18:19]
	s_cbranch_execz .LBB122_583
; %bb.582:
	v_div_scale_f64 v[10:11], s[16:17], v[2:3], v[2:3], v[0:1]
	v_rcp_f64_e32 v[12:13], v[10:11]
	v_fma_f64 v[20:21], -v[10:11], v[12:13], 1.0
	v_fma_f64 v[12:13], v[12:13], v[20:21], v[12:13]
	v_div_scale_f64 v[20:21], vcc, v[0:1], v[2:3], v[0:1]
	v_fma_f64 v[22:23], -v[10:11], v[12:13], 1.0
	v_fma_f64 v[12:13], v[12:13], v[22:23], v[12:13]
	v_mul_f64 v[22:23], v[20:21], v[12:13]
	v_fma_f64 v[10:11], -v[10:11], v[22:23], v[20:21]
	v_div_fmas_f64 v[10:11], v[10:11], v[12:13], v[22:23]
	v_div_fixup_f64 v[10:11], v[10:11], v[2:3], v[0:1]
	v_fma_f64 v[0:1], v[0:1], v[10:11], v[2:3]
	v_div_scale_f64 v[2:3], s[16:17], v[0:1], v[0:1], 1.0
	v_div_scale_f64 v[22:23], vcc, 1.0, v[0:1], 1.0
	v_rcp_f64_e32 v[12:13], v[2:3]
	v_fma_f64 v[20:21], -v[2:3], v[12:13], 1.0
	v_fma_f64 v[12:13], v[12:13], v[20:21], v[12:13]
	v_fma_f64 v[20:21], -v[2:3], v[12:13], 1.0
	v_fma_f64 v[12:13], v[12:13], v[20:21], v[12:13]
	v_mul_f64 v[20:21], v[22:23], v[12:13]
	v_fma_f64 v[2:3], -v[2:3], v[20:21], v[22:23]
	v_div_fmas_f64 v[2:3], v[2:3], v[12:13], v[20:21]
	v_div_fixup_f64 v[2:3], v[2:3], v[0:1], 1.0
	v_mul_f64 v[0:1], v[10:11], v[2:3]
	v_xor_b32_e32 v3, 0x80000000, v3
.LBB122_583:
	s_andn2_saveexec_b64 s[18:19], s[18:19]
	s_cbranch_execz .LBB122_585
; %bb.584:
	v_div_scale_f64 v[10:11], s[16:17], v[0:1], v[0:1], v[2:3]
	v_rcp_f64_e32 v[12:13], v[10:11]
	v_fma_f64 v[20:21], -v[10:11], v[12:13], 1.0
	v_fma_f64 v[12:13], v[12:13], v[20:21], v[12:13]
	v_div_scale_f64 v[20:21], vcc, v[2:3], v[0:1], v[2:3]
	v_fma_f64 v[22:23], -v[10:11], v[12:13], 1.0
	v_fma_f64 v[12:13], v[12:13], v[22:23], v[12:13]
	v_mul_f64 v[22:23], v[20:21], v[12:13]
	v_fma_f64 v[10:11], -v[10:11], v[22:23], v[20:21]
	v_div_fmas_f64 v[10:11], v[10:11], v[12:13], v[22:23]
	v_div_fixup_f64 v[10:11], v[10:11], v[0:1], v[2:3]
	v_fma_f64 v[0:1], v[2:3], v[10:11], v[0:1]
	v_div_scale_f64 v[2:3], s[16:17], v[0:1], v[0:1], 1.0
	v_div_scale_f64 v[22:23], vcc, 1.0, v[0:1], 1.0
	v_rcp_f64_e32 v[12:13], v[2:3]
	v_fma_f64 v[20:21], -v[2:3], v[12:13], 1.0
	v_fma_f64 v[12:13], v[12:13], v[20:21], v[12:13]
	v_fma_f64 v[20:21], -v[2:3], v[12:13], 1.0
	v_fma_f64 v[12:13], v[12:13], v[20:21], v[12:13]
	v_mul_f64 v[20:21], v[22:23], v[12:13]
	v_fma_f64 v[2:3], -v[2:3], v[20:21], v[22:23]
	v_div_fmas_f64 v[2:3], v[2:3], v[12:13], v[20:21]
	v_div_fixup_f64 v[0:1], v[2:3], v[0:1], 1.0
	v_mul_f64 v[2:3], v[10:11], -v[0:1]
.LBB122_585:
	s_or_b64 exec, exec, s[18:19]
.LBB122_586:
	s_or_b64 exec, exec, s[4:5]
	v_cmp_ne_u32_e32 vcc, v19, v4
	s_and_saveexec_b64 s[4:5], vcc
	s_xor_b64 s[4:5], exec, s[4:5]
	s_cbranch_execz .LBB122_592
; %bb.587:
	v_cmp_eq_u32_e32 vcc, 23, v19
	s_and_saveexec_b64 s[18:19], vcc
	s_cbranch_execz .LBB122_591
; %bb.588:
	v_cmp_ne_u32_e32 vcc, 23, v4
	s_xor_b64 s[16:17], s[22:23], -1
	s_and_b64 s[16:17], s[16:17], vcc
	s_and_saveexec_b64 s[24:25], s[16:17]
	s_cbranch_execz .LBB122_590
; %bb.589:
	v_ashrrev_i32_e32 v5, 31, v4
	v_lshlrev_b64 v[10:11], 2, v[4:5]
	v_add_co_u32_e32 v10, vcc, v8, v10
	v_addc_co_u32_e32 v11, vcc, v9, v11, vcc
	global_load_dword v5, v[10:11], off
	global_load_dword v12, v[8:9], off offset:92
	s_waitcnt vmcnt(1)
	global_store_dword v[8:9], v5, off offset:92
	s_waitcnt vmcnt(1)
	global_store_dword v[10:11], v12, off
.LBB122_590:
	s_or_b64 exec, exec, s[24:25]
	v_mov_b32_e32 v19, v4
	v_mov_b32_e32 v18, v4
.LBB122_591:
	s_or_b64 exec, exec, s[18:19]
.LBB122_592:
	s_andn2_saveexec_b64 s[4:5], s[4:5]
	s_cbranch_execz .LBB122_596
; %bb.593:
	s_movk_i32 s16, 0x180
.LBB122_594:                            ; =>This Inner Loop Header: Depth=1
	v_mov_b32_e32 v20, s16
	buffer_load_dword v4, v20, s[0:3], 0 offen
	buffer_load_dword v5, v20, s[0:3], 0 offen offset:4
	buffer_load_dword v10, v20, s[0:3], 0 offen offset:8
	;; [unrolled: 1-line block ×6, first 2 shown]
	s_nop 0
	buffer_load_dword v20, v20, s[0:3], 0 offen offset:28
	v_add_u32_e32 v21, s16, v16
	s_add_i32 s16, s16, 32
	s_cmpk_eq_i32 s16, 0x3e0
	s_waitcnt vmcnt(4)
	ds_write2_b64 v21, v[4:5], v[10:11] offset1:1
	s_waitcnt vmcnt(0)
	ds_write2_b64 v21, v[12:13], v[19:20] offset0:2 offset1:3
	s_cbranch_scc0 .LBB122_594
; %bb.595:
	v_mov_b32_e32 v19, 23
.LBB122_596:
	s_or_b64 exec, exec, s[4:5]
	v_cmp_lt_i32_e32 vcc, 23, v19
	s_waitcnt vmcnt(0) lgkmcnt(0)
	s_barrier
	s_and_saveexec_b64 s[4:5], vcc
	s_cbranch_execz .LBB122_599
; %bb.597:
	buffer_load_dword v4, off, s[0:3], 0 offset:376
	buffer_load_dword v5, off, s[0:3], 0 offset:380
	;; [unrolled: 1-line block ×4, first 2 shown]
	s_movk_i32 s16, 0x180
	s_waitcnt vmcnt(2)
	v_mul_f64 v[12:13], v[2:3], v[4:5]
	v_mul_f64 v[4:5], v[0:1], v[4:5]
	s_waitcnt vmcnt(0)
	v_fma_f64 v[0:1], v[0:1], v[10:11], -v[12:13]
	v_fma_f64 v[2:3], v[2:3], v[10:11], v[4:5]
	buffer_store_dword v0, off, s[0:3], 0 offset:368
	buffer_store_dword v1, off, s[0:3], 0 offset:372
	;; [unrolled: 1-line block ×4, first 2 shown]
.LBB122_598:                            ; =>This Inner Loop Header: Depth=1
	buffer_load_dword v4, off, s[0:3], 0 offset:376
	buffer_load_dword v5, off, s[0:3], 0 offset:380
	;; [unrolled: 1-line block ×4, first 2 shown]
	v_mov_b32_e32 v32, s16
	buffer_load_dword v22, v32, s[0:3], 0 offen
	buffer_load_dword v23, v32, s[0:3], 0 offen offset:4
	buffer_load_dword v24, v32, s[0:3], 0 offen offset:8
	;; [unrolled: 1-line block ×3, first 2 shown]
	v_add_u32_e32 v10, s16, v16
	ds_read2_b64 v[0:3], v10 offset1:1
	buffer_load_dword v26, v32, s[0:3], 0 offen offset:16
	buffer_load_dword v27, v32, s[0:3], 0 offen offset:20
	;; [unrolled: 1-line block ×4, first 2 shown]
	ds_read2_b64 v[10:13], v10 offset0:2 offset1:3
	s_add_i32 s16, s16, 32
	s_cmpk_lg_i32 s16, 0x3e0
	s_waitcnt vmcnt(10) lgkmcnt(1)
	v_mul_f64 v[30:31], v[2:3], v[4:5]
	v_mul_f64 v[4:5], v[0:1], v[4:5]
	s_waitcnt vmcnt(8)
	v_fma_f64 v[0:1], v[0:1], v[20:21], -v[30:31]
	v_fma_f64 v[2:3], v[2:3], v[20:21], v[4:5]
	s_waitcnt vmcnt(6)
	v_add_f64 v[0:1], v[22:23], -v[0:1]
	s_waitcnt vmcnt(4)
	v_add_f64 v[2:3], v[24:25], -v[2:3]
	buffer_store_dword v1, v32, s[0:3], 0 offen offset:4
	buffer_store_dword v0, v32, s[0:3], 0 offen
	buffer_store_dword v3, v32, s[0:3], 0 offen offset:12
	buffer_store_dword v2, v32, s[0:3], 0 offen offset:8
	buffer_load_dword v1, off, s[0:3], 0 offset:380
	s_nop 0
	buffer_load_dword v0, off, s[0:3], 0 offset:376
	buffer_load_dword v3, off, s[0:3], 0 offset:372
	;; [unrolled: 1-line block ×3, first 2 shown]
	s_waitcnt vmcnt(2) lgkmcnt(0)
	v_mul_f64 v[4:5], v[12:13], v[0:1]
	v_mul_f64 v[0:1], v[10:11], v[0:1]
	s_waitcnt vmcnt(0)
	v_fma_f64 v[4:5], v[10:11], v[2:3], -v[4:5]
	v_fma_f64 v[0:1], v[12:13], v[2:3], v[0:1]
	v_add_f64 v[2:3], v[26:27], -v[4:5]
	v_add_f64 v[0:1], v[28:29], -v[0:1]
	buffer_store_dword v3, v32, s[0:3], 0 offen offset:20
	buffer_store_dword v2, v32, s[0:3], 0 offen offset:16
	;; [unrolled: 1-line block ×4, first 2 shown]
	s_cbranch_scc1 .LBB122_598
.LBB122_599:
	s_or_b64 exec, exec, s[4:5]
	v_mov_b32_e32 v3, s47
	s_waitcnt vmcnt(0)
	s_barrier
	buffer_load_dword v0, v3, s[0:3], 0 offen
	buffer_load_dword v1, v3, s[0:3], 0 offen offset:4
	buffer_load_dword v2, v3, s[0:3], 0 offen offset:8
	s_nop 0
	buffer_load_dword v3, v3, s[0:3], 0 offen offset:12
	v_lshl_add_u32 v4, v19, 4, v16
	s_cmp_lt_i32 s65, 26
	s_waitcnt vmcnt(0)
	ds_write2_b64 v4, v[0:1], v[2:3] offset1:1
	s_waitcnt lgkmcnt(0)
	s_barrier
	ds_read2_b64 v[0:3], v16 offset0:48 offset1:49
	v_mov_b32_e32 v4, 24
	s_cbranch_scc1 .LBB122_602
; %bb.600:
	v_add_u32_e32 v5, 0x190, v16
	s_mov_b32 s16, 25
	v_mov_b32_e32 v4, 24
.LBB122_601:                            ; =>This Inner Loop Header: Depth=1
	s_waitcnt lgkmcnt(0)
	v_cmp_gt_f64_e32 vcc, 0, v[2:3]
	v_cmp_gt_f64_e64 s[4:5], 0, v[0:1]
	ds_read2_b64 v[10:13], v5 offset1:1
	v_xor_b32_e32 v21, 0x80000000, v1
	v_xor_b32_e32 v23, 0x80000000, v3
	v_mov_b32_e32 v20, v0
	v_mov_b32_e32 v22, v2
	s_waitcnt lgkmcnt(0)
	v_xor_b32_e32 v25, 0x80000000, v13
	v_cndmask_b32_e32 v23, v3, v23, vcc
	v_cndmask_b32_e64 v21, v1, v21, s[4:5]
	v_cmp_gt_f64_e32 vcc, 0, v[12:13]
	v_cmp_gt_f64_e64 s[4:5], 0, v[10:11]
	v_add_f64 v[20:21], v[20:21], v[22:23]
	v_xor_b32_e32 v23, 0x80000000, v11
	v_mov_b32_e32 v22, v10
	v_mov_b32_e32 v24, v12
	v_add_u32_e32 v5, 16, v5
	v_cndmask_b32_e32 v25, v13, v25, vcc
	v_cndmask_b32_e64 v23, v11, v23, s[4:5]
	v_add_f64 v[22:23], v[22:23], v[24:25]
	v_mov_b32_e32 v24, s16
	s_add_i32 s16, s16, 1
	s_cmp_lg_u32 s65, s16
	v_cmp_lt_f64_e32 vcc, v[20:21], v[22:23]
	v_cndmask_b32_e32 v1, v1, v11, vcc
	v_cndmask_b32_e32 v0, v0, v10, vcc
	;; [unrolled: 1-line block ×5, first 2 shown]
	s_cbranch_scc1 .LBB122_601
.LBB122_602:
	s_waitcnt lgkmcnt(0)
	v_cmp_eq_f64_e32 vcc, 0, v[0:1]
	v_cmp_eq_f64_e64 s[4:5], 0, v[2:3]
	s_and_b64 s[4:5], vcc, s[4:5]
	s_and_saveexec_b64 s[16:17], s[4:5]
	s_xor_b64 s[4:5], exec, s[16:17]
; %bb.603:
	v_cmp_ne_u32_e32 vcc, 0, v17
	v_cndmask_b32_e32 v17, 25, v17, vcc
; %bb.604:
	s_andn2_saveexec_b64 s[4:5], s[4:5]
	s_cbranch_execz .LBB122_610
; %bb.605:
	v_cmp_ngt_f64_e64 s[16:17], |v[0:1]|, |v[2:3]|
	s_and_saveexec_b64 s[18:19], s[16:17]
	s_xor_b64 s[18:19], exec, s[18:19]
	s_cbranch_execz .LBB122_607
; %bb.606:
	v_div_scale_f64 v[10:11], s[16:17], v[2:3], v[2:3], v[0:1]
	v_rcp_f64_e32 v[12:13], v[10:11]
	v_fma_f64 v[20:21], -v[10:11], v[12:13], 1.0
	v_fma_f64 v[12:13], v[12:13], v[20:21], v[12:13]
	v_div_scale_f64 v[20:21], vcc, v[0:1], v[2:3], v[0:1]
	v_fma_f64 v[22:23], -v[10:11], v[12:13], 1.0
	v_fma_f64 v[12:13], v[12:13], v[22:23], v[12:13]
	v_mul_f64 v[22:23], v[20:21], v[12:13]
	v_fma_f64 v[10:11], -v[10:11], v[22:23], v[20:21]
	v_div_fmas_f64 v[10:11], v[10:11], v[12:13], v[22:23]
	v_div_fixup_f64 v[10:11], v[10:11], v[2:3], v[0:1]
	v_fma_f64 v[0:1], v[0:1], v[10:11], v[2:3]
	v_div_scale_f64 v[2:3], s[16:17], v[0:1], v[0:1], 1.0
	v_div_scale_f64 v[22:23], vcc, 1.0, v[0:1], 1.0
	v_rcp_f64_e32 v[12:13], v[2:3]
	v_fma_f64 v[20:21], -v[2:3], v[12:13], 1.0
	v_fma_f64 v[12:13], v[12:13], v[20:21], v[12:13]
	v_fma_f64 v[20:21], -v[2:3], v[12:13], 1.0
	v_fma_f64 v[12:13], v[12:13], v[20:21], v[12:13]
	v_mul_f64 v[20:21], v[22:23], v[12:13]
	v_fma_f64 v[2:3], -v[2:3], v[20:21], v[22:23]
	v_div_fmas_f64 v[2:3], v[2:3], v[12:13], v[20:21]
	v_div_fixup_f64 v[2:3], v[2:3], v[0:1], 1.0
	v_mul_f64 v[0:1], v[10:11], v[2:3]
	v_xor_b32_e32 v3, 0x80000000, v3
.LBB122_607:
	s_andn2_saveexec_b64 s[18:19], s[18:19]
	s_cbranch_execz .LBB122_609
; %bb.608:
	v_div_scale_f64 v[10:11], s[16:17], v[0:1], v[0:1], v[2:3]
	v_rcp_f64_e32 v[12:13], v[10:11]
	v_fma_f64 v[20:21], -v[10:11], v[12:13], 1.0
	v_fma_f64 v[12:13], v[12:13], v[20:21], v[12:13]
	v_div_scale_f64 v[20:21], vcc, v[2:3], v[0:1], v[2:3]
	v_fma_f64 v[22:23], -v[10:11], v[12:13], 1.0
	v_fma_f64 v[12:13], v[12:13], v[22:23], v[12:13]
	v_mul_f64 v[22:23], v[20:21], v[12:13]
	v_fma_f64 v[10:11], -v[10:11], v[22:23], v[20:21]
	v_div_fmas_f64 v[10:11], v[10:11], v[12:13], v[22:23]
	v_div_fixup_f64 v[10:11], v[10:11], v[0:1], v[2:3]
	v_fma_f64 v[0:1], v[2:3], v[10:11], v[0:1]
	v_div_scale_f64 v[2:3], s[16:17], v[0:1], v[0:1], 1.0
	v_div_scale_f64 v[22:23], vcc, 1.0, v[0:1], 1.0
	v_rcp_f64_e32 v[12:13], v[2:3]
	v_fma_f64 v[20:21], -v[2:3], v[12:13], 1.0
	v_fma_f64 v[12:13], v[12:13], v[20:21], v[12:13]
	v_fma_f64 v[20:21], -v[2:3], v[12:13], 1.0
	v_fma_f64 v[12:13], v[12:13], v[20:21], v[12:13]
	v_mul_f64 v[20:21], v[22:23], v[12:13]
	v_fma_f64 v[2:3], -v[2:3], v[20:21], v[22:23]
	v_div_fmas_f64 v[2:3], v[2:3], v[12:13], v[20:21]
	v_div_fixup_f64 v[0:1], v[2:3], v[0:1], 1.0
	v_mul_f64 v[2:3], v[10:11], -v[0:1]
.LBB122_609:
	s_or_b64 exec, exec, s[18:19]
.LBB122_610:
	s_or_b64 exec, exec, s[4:5]
	v_cmp_ne_u32_e32 vcc, v19, v4
	s_and_saveexec_b64 s[4:5], vcc
	s_xor_b64 s[4:5], exec, s[4:5]
	s_cbranch_execz .LBB122_616
; %bb.611:
	v_cmp_eq_u32_e32 vcc, 24, v19
	s_and_saveexec_b64 s[18:19], vcc
	s_cbranch_execz .LBB122_615
; %bb.612:
	v_cmp_ne_u32_e32 vcc, 24, v4
	s_xor_b64 s[16:17], s[22:23], -1
	s_and_b64 s[16:17], s[16:17], vcc
	s_and_saveexec_b64 s[24:25], s[16:17]
	s_cbranch_execz .LBB122_614
; %bb.613:
	v_ashrrev_i32_e32 v5, 31, v4
	v_lshlrev_b64 v[10:11], 2, v[4:5]
	v_add_co_u32_e32 v10, vcc, v8, v10
	v_addc_co_u32_e32 v11, vcc, v9, v11, vcc
	global_load_dword v5, v[10:11], off
	global_load_dword v12, v[8:9], off offset:96
	s_waitcnt vmcnt(1)
	global_store_dword v[8:9], v5, off offset:96
	s_waitcnt vmcnt(1)
	global_store_dword v[10:11], v12, off
.LBB122_614:
	s_or_b64 exec, exec, s[24:25]
	v_mov_b32_e32 v19, v4
	v_mov_b32_e32 v18, v4
.LBB122_615:
	s_or_b64 exec, exec, s[18:19]
.LBB122_616:
	s_andn2_saveexec_b64 s[4:5], s[4:5]
	s_cbranch_execz .LBB122_622
; %bb.617:
	s_mov_b32 s16, 0
	v_add_u32_e32 v4, 0x190, v16
	s_branch .LBB122_619
.LBB122_618:                            ;   in Loop: Header=BB122_619 Depth=1
	s_andn2_b64 vcc, exec, s[18:19]
	s_cbranch_vccz .LBB122_621
.LBB122_619:                            ; =>This Inner Loop Header: Depth=1
	s_add_i32 s17, s62, s16
	v_mov_b32_e32 v5, s17
	buffer_load_dword v10, v5, s[0:3], 0 offen
	buffer_load_dword v11, v5, s[0:3], 0 offen offset:4
	buffer_load_dword v12, v5, s[0:3], 0 offen offset:8
	;; [unrolled: 1-line block ×19, first 2 shown]
	v_add_u32_e32 v5, s16, v4
	s_cmpk_eq_i32 s16, 0x200
	s_mov_b64 s[18:19], -1
	s_waitcnt vmcnt(16)
	ds_write2_b64 v5, v[10:11], v[12:13] offset1:1
	s_waitcnt vmcnt(12)
	ds_write2_b64 v5, v[19:20], v[21:22] offset0:2 offset1:3
	s_waitcnt vmcnt(8)
	ds_write2_b64 v5, v[23:24], v[25:26] offset0:4 offset1:5
	;; [unrolled: 2-line block ×4, first 2 shown]
	s_cbranch_scc1 .LBB122_618
; %bb.620:                              ;   in Loop: Header=BB122_619 Depth=1
	v_mov_b32_e32 v26, s17
	buffer_load_dword v10, v26, s[0:3], 0 offen offset:80
	buffer_load_dword v11, v26, s[0:3], 0 offen offset:84
	;; [unrolled: 1-line block ×11, first 2 shown]
	s_nop 0
	buffer_load_dword v26, v26, s[0:3], 0 offen offset:124
	s_addk_i32 s16, 0x80
	s_mov_b64 s[18:19], 0
	s_waitcnt vmcnt(8)
	ds_write2_b64 v5, v[10:11], v[12:13] offset0:10 offset1:11
	s_waitcnt vmcnt(4)
	ds_write2_b64 v5, v[19:20], v[21:22] offset0:12 offset1:13
	;; [unrolled: 2-line block ×3, first 2 shown]
	s_branch .LBB122_618
.LBB122_621:
	v_mov_b32_e32 v19, 24
.LBB122_622:
	s_or_b64 exec, exec, s[4:5]
	v_cmp_lt_i32_e32 vcc, 24, v19
	s_waitcnt vmcnt(0) lgkmcnt(0)
	s_barrier
	s_and_saveexec_b64 s[4:5], vcc
	s_cbranch_execz .LBB122_627
; %bb.623:
	buffer_load_dword v4, off, s[0:3], 0 offset:392
	buffer_load_dword v5, off, s[0:3], 0 offset:396
	;; [unrolled: 1-line block ×4, first 2 shown]
	s_movk_i32 s24, 0x190
	s_waitcnt vmcnt(2)
	v_mul_f64 v[12:13], v[2:3], v[4:5]
	v_mul_f64 v[4:5], v[0:1], v[4:5]
	s_waitcnt vmcnt(0)
	v_fma_f64 v[0:1], v[0:1], v[10:11], -v[12:13]
	v_fma_f64 v[2:3], v[2:3], v[10:11], v[4:5]
	buffer_store_dword v0, off, s[0:3], 0 offset:384
	buffer_store_dword v1, off, s[0:3], 0 offset:388
	;; [unrolled: 1-line block ×4, first 2 shown]
	s_branch .LBB122_625
.LBB122_624:                            ;   in Loop: Header=BB122_625 Depth=1
	s_andn2_b64 vcc, exec, s[18:19]
	s_cbranch_vccz .LBB122_627
.LBB122_625:                            ; =>This Inner Loop Header: Depth=1
	v_mov_b32_e32 v5, s24
	buffer_load_dword v20, v5, s[0:3], 0 offen
	buffer_load_dword v21, v5, s[0:3], 0 offen offset:4
	buffer_load_dword v22, v5, s[0:3], 0 offen offset:8
	buffer_load_dword v23, v5, s[0:3], 0 offen offset:12
	v_add_u32_e32 v4, s24, v16
	ds_read2_b64 v[10:13], v4 offset1:1
	s_mov_b32 s16, s24
	s_cmpk_eq_i32 s24, 0x3d0
	s_mov_b64 s[18:19], -1
	s_waitcnt vmcnt(4) lgkmcnt(0)
	v_mul_f64 v[24:25], v[12:13], v[2:3]
	v_mul_f64 v[2:3], v[10:11], v[2:3]
	v_fma_f64 v[10:11], v[10:11], v[0:1], -v[24:25]
	v_fma_f64 v[0:1], v[12:13], v[0:1], v[2:3]
	s_waitcnt vmcnt(2)
	v_add_f64 v[2:3], v[20:21], -v[10:11]
	s_waitcnt vmcnt(0)
	v_add_f64 v[0:1], v[22:23], -v[0:1]
	buffer_store_dword v2, v5, s[0:3], 0 offen
	buffer_store_dword v3, v5, s[0:3], 0 offen offset:4
	buffer_store_dword v0, v5, s[0:3], 0 offen offset:8
	;; [unrolled: 1-line block ×3, first 2 shown]
                                        ; implicit-def: $vgpr0_vgpr1
                                        ; implicit-def: $vgpr2_vgpr3
	s_cbranch_scc1 .LBB122_624
; %bb.626:                              ;   in Loop: Header=BB122_625 Depth=1
	buffer_load_dword v20, off, s[0:3], 0 offset:392
	buffer_load_dword v21, off, s[0:3], 0 offset:396
	;; [unrolled: 1-line block ×4, first 2 shown]
	v_mov_b32_e32 v30, s16
	buffer_load_dword v24, v30, s[0:3], 0 offen offset:16
	buffer_load_dword v25, v30, s[0:3], 0 offen offset:20
	buffer_load_dword v26, v30, s[0:3], 0 offen offset:24
	buffer_load_dword v27, v30, s[0:3], 0 offen offset:28
	ds_read2_b64 v[0:3], v4 offset0:2 offset1:3
	ds_read2_b64 v[10:13], v4 offset0:4 offset1:5
	s_add_i32 s24, s24, 64
	s_mov_b64 s[18:19], 0
	s_waitcnt vmcnt(6) lgkmcnt(1)
	v_mul_f64 v[28:29], v[2:3], v[20:21]
	v_mul_f64 v[20:21], v[0:1], v[20:21]
	s_waitcnt vmcnt(4)
	v_fma_f64 v[0:1], v[0:1], v[22:23], -v[28:29]
	v_fma_f64 v[2:3], v[2:3], v[22:23], v[20:21]
	s_waitcnt vmcnt(2)
	v_add_f64 v[0:1], v[24:25], -v[0:1]
	s_waitcnt vmcnt(0)
	v_add_f64 v[2:3], v[26:27], -v[2:3]
	buffer_store_dword v1, v30, s[0:3], 0 offen offset:20
	buffer_store_dword v0, v30, s[0:3], 0 offen offset:16
	;; [unrolled: 1-line block ×4, first 2 shown]
	buffer_load_dword v1, v30, s[0:3], 0 offen offset:36
	s_nop 0
	buffer_load_dword v2, v30, s[0:3], 0 offen offset:40
	buffer_load_dword v3, v30, s[0:3], 0 offen offset:44
	buffer_load_dword v21, off, s[0:3], 0 offset:396
	buffer_load_dword v20, off, s[0:3], 0 offset:392
	;; [unrolled: 1-line block ×4, first 2 shown]
	buffer_load_dword v0, v30, s[0:3], 0 offen offset:32
	s_waitcnt vmcnt(3) lgkmcnt(0)
	v_mul_f64 v[24:25], v[12:13], v[20:21]
	v_mul_f64 v[20:21], v[10:11], v[20:21]
	s_waitcnt vmcnt(1)
	v_fma_f64 v[10:11], v[10:11], v[22:23], -v[24:25]
	v_fma_f64 v[12:13], v[12:13], v[22:23], v[20:21]
	s_waitcnt vmcnt(0)
	v_add_f64 v[0:1], v[0:1], -v[10:11]
	v_add_f64 v[2:3], v[2:3], -v[12:13]
	buffer_store_dword v1, v30, s[0:3], 0 offen offset:36
	buffer_store_dword v0, v30, s[0:3], 0 offen offset:32
	;; [unrolled: 1-line block ×4, first 2 shown]
	buffer_load_dword v11, v30, s[0:3], 0 offen offset:52
	buffer_load_dword v12, v30, s[0:3], 0 offen offset:56
	;; [unrolled: 1-line block ×3, first 2 shown]
	buffer_load_dword v20, off, s[0:3], 0 offset:392
	buffer_load_dword v21, off, s[0:3], 0 offset:396
	;; [unrolled: 1-line block ×4, first 2 shown]
	buffer_load_dword v10, v30, s[0:3], 0 offen offset:48
	ds_read2_b64 v[0:3], v4 offset0:6 offset1:7
	s_waitcnt vmcnt(3) lgkmcnt(0)
	v_mul_f64 v[4:5], v[2:3], v[20:21]
	v_mul_f64 v[20:21], v[0:1], v[20:21]
	s_waitcnt vmcnt(1)
	v_fma_f64 v[0:1], v[0:1], v[22:23], -v[4:5]
	v_fma_f64 v[2:3], v[2:3], v[22:23], v[20:21]
	s_waitcnt vmcnt(0)
	v_add_f64 v[0:1], v[10:11], -v[0:1]
	v_add_f64 v[2:3], v[12:13], -v[2:3]
	buffer_store_dword v1, v30, s[0:3], 0 offen offset:52
	buffer_store_dword v0, v30, s[0:3], 0 offen offset:48
	;; [unrolled: 1-line block ×4, first 2 shown]
	buffer_load_dword v0, off, s[0:3], 0 offset:384
	s_nop 0
	buffer_load_dword v1, off, s[0:3], 0 offset:388
	buffer_load_dword v2, off, s[0:3], 0 offset:392
	;; [unrolled: 1-line block ×3, first 2 shown]
	s_branch .LBB122_624
.LBB122_627:
	s_or_b64 exec, exec, s[4:5]
	s_waitcnt vmcnt(0)
	v_mov_b32_e32 v3, s62
	s_barrier
	buffer_load_dword v0, v3, s[0:3], 0 offen
	buffer_load_dword v1, v3, s[0:3], 0 offen offset:4
	buffer_load_dword v2, v3, s[0:3], 0 offen offset:8
	s_nop 0
	buffer_load_dword v3, v3, s[0:3], 0 offen offset:12
	v_lshl_add_u32 v4, v19, 4, v16
	s_cmp_lt_i32 s65, 27
	s_waitcnt vmcnt(0)
	ds_write2_b64 v4, v[0:1], v[2:3] offset1:1
	s_waitcnt lgkmcnt(0)
	s_barrier
	ds_read2_b64 v[0:3], v16 offset0:50 offset1:51
	v_mov_b32_e32 v4, 25
	s_cbranch_scc1 .LBB122_630
; %bb.628:
	v_add_u32_e32 v5, 0x1a0, v16
	s_mov_b32 s16, 26
	v_mov_b32_e32 v4, 25
.LBB122_629:                            ; =>This Inner Loop Header: Depth=1
	s_waitcnt lgkmcnt(0)
	v_cmp_gt_f64_e32 vcc, 0, v[2:3]
	v_cmp_gt_f64_e64 s[4:5], 0, v[0:1]
	ds_read2_b64 v[10:13], v5 offset1:1
	v_xor_b32_e32 v21, 0x80000000, v1
	v_xor_b32_e32 v23, 0x80000000, v3
	v_mov_b32_e32 v20, v0
	v_mov_b32_e32 v22, v2
	s_waitcnt lgkmcnt(0)
	v_xor_b32_e32 v25, 0x80000000, v13
	v_cndmask_b32_e32 v23, v3, v23, vcc
	v_cndmask_b32_e64 v21, v1, v21, s[4:5]
	v_cmp_gt_f64_e32 vcc, 0, v[12:13]
	v_cmp_gt_f64_e64 s[4:5], 0, v[10:11]
	v_add_f64 v[20:21], v[20:21], v[22:23]
	v_xor_b32_e32 v23, 0x80000000, v11
	v_mov_b32_e32 v22, v10
	v_mov_b32_e32 v24, v12
	v_add_u32_e32 v5, 16, v5
	v_cndmask_b32_e32 v25, v13, v25, vcc
	v_cndmask_b32_e64 v23, v11, v23, s[4:5]
	v_add_f64 v[22:23], v[22:23], v[24:25]
	v_mov_b32_e32 v24, s16
	s_add_i32 s16, s16, 1
	s_cmp_lg_u32 s65, s16
	v_cmp_lt_f64_e32 vcc, v[20:21], v[22:23]
	v_cndmask_b32_e32 v1, v1, v11, vcc
	v_cndmask_b32_e32 v0, v0, v10, vcc
	;; [unrolled: 1-line block ×5, first 2 shown]
	s_cbranch_scc1 .LBB122_629
.LBB122_630:
	s_waitcnt lgkmcnt(0)
	v_cmp_eq_f64_e32 vcc, 0, v[0:1]
	v_cmp_eq_f64_e64 s[4:5], 0, v[2:3]
	s_and_b64 s[4:5], vcc, s[4:5]
	s_and_saveexec_b64 s[16:17], s[4:5]
	s_xor_b64 s[4:5], exec, s[16:17]
; %bb.631:
	v_cmp_ne_u32_e32 vcc, 0, v17
	v_cndmask_b32_e32 v17, 26, v17, vcc
; %bb.632:
	s_andn2_saveexec_b64 s[4:5], s[4:5]
	s_cbranch_execz .LBB122_638
; %bb.633:
	v_cmp_ngt_f64_e64 s[16:17], |v[0:1]|, |v[2:3]|
	s_and_saveexec_b64 s[18:19], s[16:17]
	s_xor_b64 s[18:19], exec, s[18:19]
	s_cbranch_execz .LBB122_635
; %bb.634:
	v_div_scale_f64 v[10:11], s[16:17], v[2:3], v[2:3], v[0:1]
	v_rcp_f64_e32 v[12:13], v[10:11]
	v_fma_f64 v[20:21], -v[10:11], v[12:13], 1.0
	v_fma_f64 v[12:13], v[12:13], v[20:21], v[12:13]
	v_div_scale_f64 v[20:21], vcc, v[0:1], v[2:3], v[0:1]
	v_fma_f64 v[22:23], -v[10:11], v[12:13], 1.0
	v_fma_f64 v[12:13], v[12:13], v[22:23], v[12:13]
	v_mul_f64 v[22:23], v[20:21], v[12:13]
	v_fma_f64 v[10:11], -v[10:11], v[22:23], v[20:21]
	v_div_fmas_f64 v[10:11], v[10:11], v[12:13], v[22:23]
	v_div_fixup_f64 v[10:11], v[10:11], v[2:3], v[0:1]
	v_fma_f64 v[0:1], v[0:1], v[10:11], v[2:3]
	v_div_scale_f64 v[2:3], s[16:17], v[0:1], v[0:1], 1.0
	v_div_scale_f64 v[22:23], vcc, 1.0, v[0:1], 1.0
	v_rcp_f64_e32 v[12:13], v[2:3]
	v_fma_f64 v[20:21], -v[2:3], v[12:13], 1.0
	v_fma_f64 v[12:13], v[12:13], v[20:21], v[12:13]
	v_fma_f64 v[20:21], -v[2:3], v[12:13], 1.0
	v_fma_f64 v[12:13], v[12:13], v[20:21], v[12:13]
	v_mul_f64 v[20:21], v[22:23], v[12:13]
	v_fma_f64 v[2:3], -v[2:3], v[20:21], v[22:23]
	v_div_fmas_f64 v[2:3], v[2:3], v[12:13], v[20:21]
	v_div_fixup_f64 v[2:3], v[2:3], v[0:1], 1.0
	v_mul_f64 v[0:1], v[10:11], v[2:3]
	v_xor_b32_e32 v3, 0x80000000, v3
.LBB122_635:
	s_andn2_saveexec_b64 s[18:19], s[18:19]
	s_cbranch_execz .LBB122_637
; %bb.636:
	v_div_scale_f64 v[10:11], s[16:17], v[0:1], v[0:1], v[2:3]
	v_rcp_f64_e32 v[12:13], v[10:11]
	v_fma_f64 v[20:21], -v[10:11], v[12:13], 1.0
	v_fma_f64 v[12:13], v[12:13], v[20:21], v[12:13]
	v_div_scale_f64 v[20:21], vcc, v[2:3], v[0:1], v[2:3]
	v_fma_f64 v[22:23], -v[10:11], v[12:13], 1.0
	v_fma_f64 v[12:13], v[12:13], v[22:23], v[12:13]
	v_mul_f64 v[22:23], v[20:21], v[12:13]
	v_fma_f64 v[10:11], -v[10:11], v[22:23], v[20:21]
	v_div_fmas_f64 v[10:11], v[10:11], v[12:13], v[22:23]
	v_div_fixup_f64 v[10:11], v[10:11], v[0:1], v[2:3]
	v_fma_f64 v[0:1], v[2:3], v[10:11], v[0:1]
	v_div_scale_f64 v[2:3], s[16:17], v[0:1], v[0:1], 1.0
	v_div_scale_f64 v[22:23], vcc, 1.0, v[0:1], 1.0
	v_rcp_f64_e32 v[12:13], v[2:3]
	v_fma_f64 v[20:21], -v[2:3], v[12:13], 1.0
	v_fma_f64 v[12:13], v[12:13], v[20:21], v[12:13]
	v_fma_f64 v[20:21], -v[2:3], v[12:13], 1.0
	v_fma_f64 v[12:13], v[12:13], v[20:21], v[12:13]
	v_mul_f64 v[20:21], v[22:23], v[12:13]
	v_fma_f64 v[2:3], -v[2:3], v[20:21], v[22:23]
	v_div_fmas_f64 v[2:3], v[2:3], v[12:13], v[20:21]
	v_div_fixup_f64 v[0:1], v[2:3], v[0:1], 1.0
	v_mul_f64 v[2:3], v[10:11], -v[0:1]
.LBB122_637:
	s_or_b64 exec, exec, s[18:19]
.LBB122_638:
	s_or_b64 exec, exec, s[4:5]
	v_cmp_ne_u32_e32 vcc, v19, v4
	s_and_saveexec_b64 s[4:5], vcc
	s_xor_b64 s[4:5], exec, s[4:5]
	s_cbranch_execz .LBB122_644
; %bb.639:
	v_cmp_eq_u32_e32 vcc, 25, v19
	s_and_saveexec_b64 s[18:19], vcc
	s_cbranch_execz .LBB122_643
; %bb.640:
	v_cmp_ne_u32_e32 vcc, 25, v4
	s_xor_b64 s[16:17], s[22:23], -1
	s_and_b64 s[16:17], s[16:17], vcc
	s_and_saveexec_b64 s[24:25], s[16:17]
	s_cbranch_execz .LBB122_642
; %bb.641:
	v_ashrrev_i32_e32 v5, 31, v4
	v_lshlrev_b64 v[10:11], 2, v[4:5]
	v_add_co_u32_e32 v10, vcc, v8, v10
	v_addc_co_u32_e32 v11, vcc, v9, v11, vcc
	global_load_dword v5, v[10:11], off
	global_load_dword v12, v[8:9], off offset:100
	s_waitcnt vmcnt(1)
	global_store_dword v[8:9], v5, off offset:100
	s_waitcnt vmcnt(1)
	global_store_dword v[10:11], v12, off
.LBB122_642:
	s_or_b64 exec, exec, s[24:25]
	v_mov_b32_e32 v19, v4
	v_mov_b32_e32 v18, v4
.LBB122_643:
	s_or_b64 exec, exec, s[18:19]
.LBB122_644:
	s_andn2_saveexec_b64 s[4:5], s[4:5]
	s_cbranch_execz .LBB122_646
; %bb.645:
	v_mov_b32_e32 v11, s61
	buffer_load_dword v4, v11, s[0:3], 0 offen
	buffer_load_dword v5, v11, s[0:3], 0 offen offset:4
	buffer_load_dword v10, v11, s[0:3], 0 offen offset:8
	s_nop 0
	buffer_load_dword v11, v11, s[0:3], 0 offen offset:12
	v_mov_b32_e32 v19, 25
	s_waitcnt vmcnt(0)
	ds_write2_b64 v16, v[4:5], v[10:11] offset0:52 offset1:53
	v_mov_b32_e32 v11, s60
	buffer_load_dword v4, v11, s[0:3], 0 offen
	buffer_load_dword v5, v11, s[0:3], 0 offen offset:4
	buffer_load_dword v10, v11, s[0:3], 0 offen offset:8
	s_nop 0
	buffer_load_dword v11, v11, s[0:3], 0 offen offset:12
	s_waitcnt vmcnt(0)
	ds_write2_b64 v16, v[4:5], v[10:11] offset0:54 offset1:55
	v_mov_b32_e32 v11, s59
	buffer_load_dword v4, v11, s[0:3], 0 offen
	buffer_load_dword v5, v11, s[0:3], 0 offen offset:4
	buffer_load_dword v10, v11, s[0:3], 0 offen offset:8
	s_nop 0
	buffer_load_dword v11, v11, s[0:3], 0 offen offset:12
	;; [unrolled: 8-line block ×35, first 2 shown]
	s_waitcnt vmcnt(0)
	ds_write2_b64 v16, v[4:5], v[10:11] offset0:122 offset1:123
.LBB122_646:
	s_or_b64 exec, exec, s[4:5]
	v_cmp_lt_i32_e32 vcc, 25, v19
	s_waitcnt vmcnt(0) lgkmcnt(0)
	s_barrier
	s_and_saveexec_b64 s[4:5], vcc
	s_cbranch_execz .LBB122_649
; %bb.647:
	buffer_load_dword v4, off, s[0:3], 0 offset:408
	buffer_load_dword v5, off, s[0:3], 0 offset:412
	;; [unrolled: 1-line block ×4, first 2 shown]
	s_movk_i32 s18, 0x1a0
	s_waitcnt vmcnt(2)
	v_mul_f64 v[12:13], v[2:3], v[4:5]
	v_mul_f64 v[4:5], v[0:1], v[4:5]
	s_waitcnt vmcnt(0)
	v_fma_f64 v[0:1], v[0:1], v[10:11], -v[12:13]
	v_fma_f64 v[2:3], v[2:3], v[10:11], v[4:5]
	buffer_store_dword v0, off, s[0:3], 0 offset:400
	buffer_store_dword v1, off, s[0:3], 0 offset:404
	;; [unrolled: 1-line block ×4, first 2 shown]
.LBB122_648:                            ; =>This Inner Loop Header: Depth=1
	buffer_load_dword v4, off, s[0:3], 0 offset:408
	buffer_load_dword v5, off, s[0:3], 0 offset:412
	;; [unrolled: 1-line block ×4, first 2 shown]
	v_mov_b32_e32 v32, s18
	buffer_load_dword v22, v32, s[0:3], 0 offen
	buffer_load_dword v23, v32, s[0:3], 0 offen offset:4
	buffer_load_dword v24, v32, s[0:3], 0 offen offset:8
	;; [unrolled: 1-line block ×3, first 2 shown]
	v_add_u32_e32 v33, s18, v16
	ds_read2_b64 v[0:3], v33 offset1:1
	buffer_load_dword v26, v32, s[0:3], 0 offen offset:16
	buffer_load_dword v27, v32, s[0:3], 0 offen offset:20
	;; [unrolled: 1-line block ×4, first 2 shown]
	ds_read2_b64 v[10:13], v33 offset0:2 offset1:3
	s_addk_i32 s18, 0x60
	s_cmpk_lg_i32 s18, 0x3e0
	s_waitcnt vmcnt(10) lgkmcnt(1)
	v_mul_f64 v[30:31], v[2:3], v[4:5]
	v_mul_f64 v[4:5], v[0:1], v[4:5]
	s_waitcnt vmcnt(8)
	v_fma_f64 v[0:1], v[0:1], v[20:21], -v[30:31]
	v_fma_f64 v[2:3], v[2:3], v[20:21], v[4:5]
	s_waitcnt vmcnt(6)
	v_add_f64 v[0:1], v[22:23], -v[0:1]
	s_waitcnt vmcnt(4)
	v_add_f64 v[2:3], v[24:25], -v[2:3]
	buffer_store_dword v1, v32, s[0:3], 0 offen offset:4
	buffer_store_dword v0, v32, s[0:3], 0 offen
	buffer_store_dword v3, v32, s[0:3], 0 offen offset:12
	buffer_store_dword v2, v32, s[0:3], 0 offen offset:8
	buffer_load_dword v1, off, s[0:3], 0 offset:412
	s_nop 0
	buffer_load_dword v0, off, s[0:3], 0 offset:408
	buffer_load_dword v3, off, s[0:3], 0 offset:404
	;; [unrolled: 1-line block ×3, first 2 shown]
	buffer_load_dword v4, v32, s[0:3], 0 offen offset:32
	buffer_load_dword v5, v32, s[0:3], 0 offen offset:36
	;; [unrolled: 1-line block ×4, first 2 shown]
	s_waitcnt vmcnt(6) lgkmcnt(0)
	v_mul_f64 v[22:23], v[12:13], v[0:1]
	v_mul_f64 v[0:1], v[10:11], v[0:1]
	s_waitcnt vmcnt(4)
	v_fma_f64 v[10:11], v[10:11], v[2:3], -v[22:23]
	v_fma_f64 v[0:1], v[12:13], v[2:3], v[0:1]
	v_add_f64 v[2:3], v[26:27], -v[10:11]
	v_add_f64 v[0:1], v[28:29], -v[0:1]
	buffer_store_dword v3, v32, s[0:3], 0 offen offset:20
	buffer_store_dword v2, v32, s[0:3], 0 offen offset:16
	;; [unrolled: 1-line block ×4, first 2 shown]
	buffer_load_dword v22, off, s[0:3], 0 offset:408
	buffer_load_dword v23, off, s[0:3], 0 offset:412
	;; [unrolled: 1-line block ×4, first 2 shown]
	ds_read2_b64 v[0:3], v33 offset0:4 offset1:5
	ds_read2_b64 v[10:13], v33 offset0:6 offset1:7
	s_waitcnt vmcnt(2) lgkmcnt(1)
	v_mul_f64 v[26:27], v[2:3], v[22:23]
	v_mul_f64 v[22:23], v[0:1], v[22:23]
	s_waitcnt vmcnt(0)
	v_fma_f64 v[0:1], v[0:1], v[24:25], -v[26:27]
	v_fma_f64 v[2:3], v[2:3], v[24:25], v[22:23]
	v_add_f64 v[0:1], v[4:5], -v[0:1]
	v_add_f64 v[2:3], v[20:21], -v[2:3]
	buffer_store_dword v1, v32, s[0:3], 0 offen offset:36
	buffer_store_dword v0, v32, s[0:3], 0 offen offset:32
	;; [unrolled: 1-line block ×4, first 2 shown]
	buffer_load_dword v0, off, s[0:3], 0 offset:408
	s_nop 0
	buffer_load_dword v1, off, s[0:3], 0 offset:412
	buffer_load_dword v2, off, s[0:3], 0 offset:400
	;; [unrolled: 1-line block ×3, first 2 shown]
	buffer_load_dword v4, v32, s[0:3], 0 offen offset:48
	buffer_load_dword v5, v32, s[0:3], 0 offen offset:52
	;; [unrolled: 1-line block ×4, first 2 shown]
	s_waitcnt vmcnt(6) lgkmcnt(0)
	v_mul_f64 v[22:23], v[12:13], v[0:1]
	v_mul_f64 v[0:1], v[10:11], v[0:1]
	s_waitcnt vmcnt(4)
	v_fma_f64 v[10:11], v[10:11], v[2:3], -v[22:23]
	v_fma_f64 v[0:1], v[12:13], v[2:3], v[0:1]
	s_waitcnt vmcnt(2)
	v_add_f64 v[2:3], v[4:5], -v[10:11]
	s_waitcnt vmcnt(0)
	v_add_f64 v[0:1], v[20:21], -v[0:1]
	buffer_store_dword v3, v32, s[0:3], 0 offen offset:52
	buffer_store_dword v2, v32, s[0:3], 0 offen offset:48
	;; [unrolled: 1-line block ×4, first 2 shown]
	buffer_load_dword v4, off, s[0:3], 0 offset:408
	buffer_load_dword v5, off, s[0:3], 0 offset:412
	;; [unrolled: 1-line block ×4, first 2 shown]
	buffer_load_dword v22, v32, s[0:3], 0 offen offset:64
	buffer_load_dword v23, v32, s[0:3], 0 offen offset:68
	;; [unrolled: 1-line block ×4, first 2 shown]
	ds_read2_b64 v[0:3], v33 offset0:8 offset1:9
	ds_read2_b64 v[10:13], v33 offset0:10 offset1:11
	s_waitcnt vmcnt(6) lgkmcnt(1)
	v_mul_f64 v[26:27], v[2:3], v[4:5]
	v_mul_f64 v[4:5], v[0:1], v[4:5]
	s_waitcnt vmcnt(4)
	v_fma_f64 v[0:1], v[0:1], v[20:21], -v[26:27]
	v_fma_f64 v[2:3], v[2:3], v[20:21], v[4:5]
	s_waitcnt vmcnt(2)
	v_add_f64 v[0:1], v[22:23], -v[0:1]
	s_waitcnt vmcnt(0)
	v_add_f64 v[2:3], v[24:25], -v[2:3]
	buffer_store_dword v1, v32, s[0:3], 0 offen offset:68
	buffer_store_dword v0, v32, s[0:3], 0 offen offset:64
	;; [unrolled: 1-line block ×4, first 2 shown]
	buffer_load_dword v0, off, s[0:3], 0 offset:408
	s_nop 0
	buffer_load_dword v1, off, s[0:3], 0 offset:412
	buffer_load_dword v2, off, s[0:3], 0 offset:400
	;; [unrolled: 1-line block ×3, first 2 shown]
	buffer_load_dword v4, v32, s[0:3], 0 offen offset:80
	buffer_load_dword v5, v32, s[0:3], 0 offen offset:84
	;; [unrolled: 1-line block ×4, first 2 shown]
	s_waitcnt vmcnt(6) lgkmcnt(0)
	v_mul_f64 v[22:23], v[12:13], v[0:1]
	v_mul_f64 v[0:1], v[10:11], v[0:1]
	s_waitcnt vmcnt(4)
	v_fma_f64 v[10:11], v[10:11], v[2:3], -v[22:23]
	v_fma_f64 v[0:1], v[12:13], v[2:3], v[0:1]
	s_waitcnt vmcnt(2)
	v_add_f64 v[2:3], v[4:5], -v[10:11]
	s_waitcnt vmcnt(0)
	v_add_f64 v[0:1], v[20:21], -v[0:1]
	buffer_store_dword v3, v32, s[0:3], 0 offen offset:84
	buffer_store_dword v2, v32, s[0:3], 0 offen offset:80
	;; [unrolled: 1-line block ×4, first 2 shown]
	s_cbranch_scc1 .LBB122_648
.LBB122_649:
	s_or_b64 exec, exec, s[4:5]
	v_mov_b32_e32 v3, s61
	s_waitcnt vmcnt(0)
	s_barrier
	buffer_load_dword v0, v3, s[0:3], 0 offen
	buffer_load_dword v1, v3, s[0:3], 0 offen offset:4
	buffer_load_dword v2, v3, s[0:3], 0 offen offset:8
	s_nop 0
	buffer_load_dword v3, v3, s[0:3], 0 offen offset:12
	v_lshl_add_u32 v4, v19, 4, v16
	s_cmp_lt_i32 s65, 28
	s_waitcnt vmcnt(0)
	ds_write2_b64 v4, v[0:1], v[2:3] offset1:1
	s_waitcnt lgkmcnt(0)
	s_barrier
	ds_read2_b64 v[0:3], v16 offset0:52 offset1:53
	v_mov_b32_e32 v4, 26
	s_cbranch_scc1 .LBB122_652
; %bb.650:
	v_add_u32_e32 v5, 0x1b0, v16
	s_mov_b32 s16, 27
	v_mov_b32_e32 v4, 26
.LBB122_651:                            ; =>This Inner Loop Header: Depth=1
	s_waitcnt lgkmcnt(0)
	v_cmp_gt_f64_e32 vcc, 0, v[2:3]
	v_cmp_gt_f64_e64 s[4:5], 0, v[0:1]
	ds_read2_b64 v[10:13], v5 offset1:1
	v_xor_b32_e32 v21, 0x80000000, v1
	v_xor_b32_e32 v23, 0x80000000, v3
	v_mov_b32_e32 v20, v0
	v_mov_b32_e32 v22, v2
	s_waitcnt lgkmcnt(0)
	v_xor_b32_e32 v25, 0x80000000, v13
	v_cndmask_b32_e32 v23, v3, v23, vcc
	v_cndmask_b32_e64 v21, v1, v21, s[4:5]
	v_cmp_gt_f64_e32 vcc, 0, v[12:13]
	v_cmp_gt_f64_e64 s[4:5], 0, v[10:11]
	v_add_f64 v[20:21], v[20:21], v[22:23]
	v_xor_b32_e32 v23, 0x80000000, v11
	v_mov_b32_e32 v22, v10
	v_mov_b32_e32 v24, v12
	v_add_u32_e32 v5, 16, v5
	v_cndmask_b32_e32 v25, v13, v25, vcc
	v_cndmask_b32_e64 v23, v11, v23, s[4:5]
	v_add_f64 v[22:23], v[22:23], v[24:25]
	v_mov_b32_e32 v24, s16
	s_add_i32 s16, s16, 1
	s_cmp_lg_u32 s65, s16
	v_cmp_lt_f64_e32 vcc, v[20:21], v[22:23]
	v_cndmask_b32_e32 v1, v1, v11, vcc
	v_cndmask_b32_e32 v0, v0, v10, vcc
	;; [unrolled: 1-line block ×5, first 2 shown]
	s_cbranch_scc1 .LBB122_651
.LBB122_652:
	s_waitcnt lgkmcnt(0)
	v_cmp_eq_f64_e32 vcc, 0, v[0:1]
	v_cmp_eq_f64_e64 s[4:5], 0, v[2:3]
	s_and_b64 s[4:5], vcc, s[4:5]
	s_and_saveexec_b64 s[16:17], s[4:5]
	s_xor_b64 s[4:5], exec, s[16:17]
; %bb.653:
	v_cmp_ne_u32_e32 vcc, 0, v17
	v_cndmask_b32_e32 v17, 27, v17, vcc
; %bb.654:
	s_andn2_saveexec_b64 s[4:5], s[4:5]
	s_cbranch_execz .LBB122_660
; %bb.655:
	v_cmp_ngt_f64_e64 s[16:17], |v[0:1]|, |v[2:3]|
	s_and_saveexec_b64 s[18:19], s[16:17]
	s_xor_b64 s[18:19], exec, s[18:19]
	s_cbranch_execz .LBB122_657
; %bb.656:
	v_div_scale_f64 v[10:11], s[16:17], v[2:3], v[2:3], v[0:1]
	v_rcp_f64_e32 v[12:13], v[10:11]
	v_fma_f64 v[20:21], -v[10:11], v[12:13], 1.0
	v_fma_f64 v[12:13], v[12:13], v[20:21], v[12:13]
	v_div_scale_f64 v[20:21], vcc, v[0:1], v[2:3], v[0:1]
	v_fma_f64 v[22:23], -v[10:11], v[12:13], 1.0
	v_fma_f64 v[12:13], v[12:13], v[22:23], v[12:13]
	v_mul_f64 v[22:23], v[20:21], v[12:13]
	v_fma_f64 v[10:11], -v[10:11], v[22:23], v[20:21]
	v_div_fmas_f64 v[10:11], v[10:11], v[12:13], v[22:23]
	v_div_fixup_f64 v[10:11], v[10:11], v[2:3], v[0:1]
	v_fma_f64 v[0:1], v[0:1], v[10:11], v[2:3]
	v_div_scale_f64 v[2:3], s[16:17], v[0:1], v[0:1], 1.0
	v_div_scale_f64 v[22:23], vcc, 1.0, v[0:1], 1.0
	v_rcp_f64_e32 v[12:13], v[2:3]
	v_fma_f64 v[20:21], -v[2:3], v[12:13], 1.0
	v_fma_f64 v[12:13], v[12:13], v[20:21], v[12:13]
	v_fma_f64 v[20:21], -v[2:3], v[12:13], 1.0
	v_fma_f64 v[12:13], v[12:13], v[20:21], v[12:13]
	v_mul_f64 v[20:21], v[22:23], v[12:13]
	v_fma_f64 v[2:3], -v[2:3], v[20:21], v[22:23]
	v_div_fmas_f64 v[2:3], v[2:3], v[12:13], v[20:21]
	v_div_fixup_f64 v[2:3], v[2:3], v[0:1], 1.0
	v_mul_f64 v[0:1], v[10:11], v[2:3]
	v_xor_b32_e32 v3, 0x80000000, v3
.LBB122_657:
	s_andn2_saveexec_b64 s[18:19], s[18:19]
	s_cbranch_execz .LBB122_659
; %bb.658:
	v_div_scale_f64 v[10:11], s[16:17], v[0:1], v[0:1], v[2:3]
	v_rcp_f64_e32 v[12:13], v[10:11]
	v_fma_f64 v[20:21], -v[10:11], v[12:13], 1.0
	v_fma_f64 v[12:13], v[12:13], v[20:21], v[12:13]
	v_div_scale_f64 v[20:21], vcc, v[2:3], v[0:1], v[2:3]
	v_fma_f64 v[22:23], -v[10:11], v[12:13], 1.0
	v_fma_f64 v[12:13], v[12:13], v[22:23], v[12:13]
	v_mul_f64 v[22:23], v[20:21], v[12:13]
	v_fma_f64 v[10:11], -v[10:11], v[22:23], v[20:21]
	v_div_fmas_f64 v[10:11], v[10:11], v[12:13], v[22:23]
	v_div_fixup_f64 v[10:11], v[10:11], v[0:1], v[2:3]
	v_fma_f64 v[0:1], v[2:3], v[10:11], v[0:1]
	v_div_scale_f64 v[2:3], s[16:17], v[0:1], v[0:1], 1.0
	v_div_scale_f64 v[22:23], vcc, 1.0, v[0:1], 1.0
	v_rcp_f64_e32 v[12:13], v[2:3]
	v_fma_f64 v[20:21], -v[2:3], v[12:13], 1.0
	v_fma_f64 v[12:13], v[12:13], v[20:21], v[12:13]
	v_fma_f64 v[20:21], -v[2:3], v[12:13], 1.0
	v_fma_f64 v[12:13], v[12:13], v[20:21], v[12:13]
	v_mul_f64 v[20:21], v[22:23], v[12:13]
	v_fma_f64 v[2:3], -v[2:3], v[20:21], v[22:23]
	v_div_fmas_f64 v[2:3], v[2:3], v[12:13], v[20:21]
	v_div_fixup_f64 v[0:1], v[2:3], v[0:1], 1.0
	v_mul_f64 v[2:3], v[10:11], -v[0:1]
.LBB122_659:
	s_or_b64 exec, exec, s[18:19]
.LBB122_660:
	s_or_b64 exec, exec, s[4:5]
	v_cmp_ne_u32_e32 vcc, v19, v4
	s_and_saveexec_b64 s[4:5], vcc
	s_xor_b64 s[4:5], exec, s[4:5]
	s_cbranch_execz .LBB122_666
; %bb.661:
	v_cmp_eq_u32_e32 vcc, 26, v19
	s_and_saveexec_b64 s[18:19], vcc
	s_cbranch_execz .LBB122_665
; %bb.662:
	v_cmp_ne_u32_e32 vcc, 26, v4
	s_xor_b64 s[16:17], s[22:23], -1
	s_and_b64 s[16:17], s[16:17], vcc
	s_and_saveexec_b64 s[24:25], s[16:17]
	s_cbranch_execz .LBB122_664
; %bb.663:
	v_ashrrev_i32_e32 v5, 31, v4
	v_lshlrev_b64 v[10:11], 2, v[4:5]
	v_add_co_u32_e32 v10, vcc, v8, v10
	v_addc_co_u32_e32 v11, vcc, v9, v11, vcc
	global_load_dword v5, v[10:11], off
	global_load_dword v12, v[8:9], off offset:104
	s_waitcnt vmcnt(1)
	global_store_dword v[8:9], v5, off offset:104
	s_waitcnt vmcnt(1)
	global_store_dword v[10:11], v12, off
.LBB122_664:
	s_or_b64 exec, exec, s[24:25]
	v_mov_b32_e32 v19, v4
	v_mov_b32_e32 v18, v4
.LBB122_665:
	s_or_b64 exec, exec, s[18:19]
.LBB122_666:
	s_andn2_saveexec_b64 s[4:5], s[4:5]
	s_cbranch_execz .LBB122_668
; %bb.667:
	v_mov_b32_e32 v11, s60
	buffer_load_dword v4, v11, s[0:3], 0 offen
	buffer_load_dword v5, v11, s[0:3], 0 offen offset:4
	buffer_load_dword v10, v11, s[0:3], 0 offen offset:8
	s_nop 0
	buffer_load_dword v11, v11, s[0:3], 0 offen offset:12
	v_mov_b32_e32 v19, 26
	s_waitcnt vmcnt(0)
	ds_write2_b64 v16, v[4:5], v[10:11] offset0:54 offset1:55
	v_mov_b32_e32 v11, s59
	buffer_load_dword v4, v11, s[0:3], 0 offen
	buffer_load_dword v5, v11, s[0:3], 0 offen offset:4
	buffer_load_dword v10, v11, s[0:3], 0 offen offset:8
	s_nop 0
	buffer_load_dword v11, v11, s[0:3], 0 offen offset:12
	s_waitcnt vmcnt(0)
	ds_write2_b64 v16, v[4:5], v[10:11] offset0:56 offset1:57
	v_mov_b32_e32 v11, s58
	buffer_load_dword v4, v11, s[0:3], 0 offen
	buffer_load_dword v5, v11, s[0:3], 0 offen offset:4
	buffer_load_dword v10, v11, s[0:3], 0 offen offset:8
	s_nop 0
	buffer_load_dword v11, v11, s[0:3], 0 offen offset:12
	;; [unrolled: 8-line block ×34, first 2 shown]
	s_waitcnt vmcnt(0)
	ds_write2_b64 v16, v[4:5], v[10:11] offset0:122 offset1:123
.LBB122_668:
	s_or_b64 exec, exec, s[4:5]
	v_cmp_lt_i32_e32 vcc, 26, v19
	s_waitcnt vmcnt(0) lgkmcnt(0)
	s_barrier
	s_and_saveexec_b64 s[4:5], vcc
	s_cbranch_execz .LBB122_671
; %bb.669:
	buffer_load_dword v4, off, s[0:3], 0 offset:424
	buffer_load_dword v5, off, s[0:3], 0 offset:428
	;; [unrolled: 1-line block ×4, first 2 shown]
	s_movk_i32 s18, 0x1b0
	s_waitcnt vmcnt(2)
	v_mul_f64 v[12:13], v[2:3], v[4:5]
	v_mul_f64 v[4:5], v[0:1], v[4:5]
	s_waitcnt vmcnt(0)
	v_fma_f64 v[0:1], v[0:1], v[10:11], -v[12:13]
	v_fma_f64 v[2:3], v[2:3], v[10:11], v[4:5]
	buffer_store_dword v0, off, s[0:3], 0 offset:416
	buffer_store_dword v1, off, s[0:3], 0 offset:420
	;; [unrolled: 1-line block ×4, first 2 shown]
.LBB122_670:                            ; =>This Inner Loop Header: Depth=1
	buffer_load_dword v20, off, s[0:3], 0 offset:424
	buffer_load_dword v21, off, s[0:3], 0 offset:428
	;; [unrolled: 1-line block ×4, first 2 shown]
	v_mov_b32_e32 v0, s18
	buffer_load_dword v24, v0, s[0:3], 0 offen
	buffer_load_dword v25, v0, s[0:3], 0 offen offset:4
	buffer_load_dword v26, v0, s[0:3], 0 offen offset:8
	;; [unrolled: 1-line block ×3, first 2 shown]
	v_add_u32_e32 v5, s18, v16
	ds_read2_b64 v[1:4], v5 offset1:1
	buffer_load_dword v28, v0, s[0:3], 0 offen offset:16
	buffer_load_dword v29, v0, s[0:3], 0 offen offset:20
	;; [unrolled: 1-line block ×4, first 2 shown]
	ds_read2_b64 v[10:13], v5 offset0:2 offset1:3
	s_addk_i32 s18, 0x70
	s_cmpk_lg_i32 s18, 0x3e0
	s_waitcnt vmcnt(10) lgkmcnt(1)
	v_mul_f64 v[32:33], v[3:4], v[20:21]
	v_mul_f64 v[20:21], v[1:2], v[20:21]
	s_waitcnt vmcnt(8)
	v_fma_f64 v[1:2], v[1:2], v[22:23], -v[32:33]
	v_fma_f64 v[3:4], v[3:4], v[22:23], v[20:21]
	s_waitcnt vmcnt(6)
	v_add_f64 v[1:2], v[24:25], -v[1:2]
	s_waitcnt vmcnt(4)
	v_add_f64 v[3:4], v[26:27], -v[3:4]
	buffer_store_dword v2, v0, s[0:3], 0 offen offset:4
	buffer_store_dword v1, v0, s[0:3], 0 offen
	buffer_store_dword v4, v0, s[0:3], 0 offen offset:12
	buffer_store_dword v3, v0, s[0:3], 0 offen offset:8
	buffer_load_dword v2, off, s[0:3], 0 offset:428
	s_nop 0
	buffer_load_dword v1, off, s[0:3], 0 offset:424
	buffer_load_dword v4, off, s[0:3], 0 offset:420
	;; [unrolled: 1-line block ×3, first 2 shown]
	buffer_load_dword v20, v0, s[0:3], 0 offen offset:32
	buffer_load_dword v21, v0, s[0:3], 0 offen offset:36
	;; [unrolled: 1-line block ×4, first 2 shown]
	s_waitcnt vmcnt(6) lgkmcnt(0)
	v_mul_f64 v[24:25], v[12:13], v[1:2]
	v_mul_f64 v[1:2], v[10:11], v[1:2]
	s_waitcnt vmcnt(4)
	v_fma_f64 v[10:11], v[10:11], v[3:4], -v[24:25]
	v_fma_f64 v[1:2], v[12:13], v[3:4], v[1:2]
	v_add_f64 v[3:4], v[28:29], -v[10:11]
	v_add_f64 v[1:2], v[30:31], -v[1:2]
	buffer_store_dword v4, v0, s[0:3], 0 offen offset:20
	buffer_store_dword v3, v0, s[0:3], 0 offen offset:16
	;; [unrolled: 1-line block ×4, first 2 shown]
	buffer_load_dword v24, off, s[0:3], 0 offset:424
	buffer_load_dword v25, off, s[0:3], 0 offset:428
	;; [unrolled: 1-line block ×4, first 2 shown]
	ds_read2_b64 v[1:4], v5 offset0:4 offset1:5
	ds_read2_b64 v[10:13], v5 offset0:6 offset1:7
	s_waitcnt vmcnt(2) lgkmcnt(1)
	v_mul_f64 v[28:29], v[3:4], v[24:25]
	v_mul_f64 v[24:25], v[1:2], v[24:25]
	s_waitcnt vmcnt(0)
	v_fma_f64 v[1:2], v[1:2], v[26:27], -v[28:29]
	v_fma_f64 v[3:4], v[3:4], v[26:27], v[24:25]
	v_add_f64 v[1:2], v[20:21], -v[1:2]
	v_add_f64 v[3:4], v[22:23], -v[3:4]
	buffer_store_dword v2, v0, s[0:3], 0 offen offset:36
	buffer_store_dword v1, v0, s[0:3], 0 offen offset:32
	;; [unrolled: 1-line block ×4, first 2 shown]
	buffer_load_dword v1, off, s[0:3], 0 offset:424
	s_nop 0
	buffer_load_dword v2, off, s[0:3], 0 offset:428
	buffer_load_dword v3, off, s[0:3], 0 offset:416
	;; [unrolled: 1-line block ×3, first 2 shown]
	buffer_load_dword v20, v0, s[0:3], 0 offen offset:48
	buffer_load_dword v21, v0, s[0:3], 0 offen offset:52
	;; [unrolled: 1-line block ×4, first 2 shown]
	s_waitcnt vmcnt(6) lgkmcnt(0)
	v_mul_f64 v[24:25], v[12:13], v[1:2]
	v_mul_f64 v[1:2], v[10:11], v[1:2]
	s_waitcnt vmcnt(4)
	v_fma_f64 v[10:11], v[10:11], v[3:4], -v[24:25]
	v_fma_f64 v[1:2], v[12:13], v[3:4], v[1:2]
	s_waitcnt vmcnt(2)
	v_add_f64 v[3:4], v[20:21], -v[10:11]
	s_waitcnt vmcnt(0)
	v_add_f64 v[1:2], v[22:23], -v[1:2]
	buffer_store_dword v4, v0, s[0:3], 0 offen offset:52
	buffer_store_dword v3, v0, s[0:3], 0 offen offset:48
	;; [unrolled: 1-line block ×4, first 2 shown]
	buffer_load_dword v20, off, s[0:3], 0 offset:424
	buffer_load_dword v21, off, s[0:3], 0 offset:428
	;; [unrolled: 1-line block ×4, first 2 shown]
	buffer_load_dword v24, v0, s[0:3], 0 offen offset:64
	buffer_load_dword v25, v0, s[0:3], 0 offen offset:68
	;; [unrolled: 1-line block ×4, first 2 shown]
	ds_read2_b64 v[1:4], v5 offset0:8 offset1:9
	ds_read2_b64 v[10:13], v5 offset0:10 offset1:11
	s_waitcnt vmcnt(6) lgkmcnt(1)
	v_mul_f64 v[28:29], v[3:4], v[20:21]
	v_mul_f64 v[20:21], v[1:2], v[20:21]
	s_waitcnt vmcnt(4)
	v_fma_f64 v[1:2], v[1:2], v[22:23], -v[28:29]
	v_fma_f64 v[3:4], v[3:4], v[22:23], v[20:21]
	s_waitcnt vmcnt(2)
	v_add_f64 v[1:2], v[24:25], -v[1:2]
	s_waitcnt vmcnt(0)
	v_add_f64 v[3:4], v[26:27], -v[3:4]
	buffer_store_dword v2, v0, s[0:3], 0 offen offset:68
	buffer_store_dword v1, v0, s[0:3], 0 offen offset:64
	;; [unrolled: 1-line block ×4, first 2 shown]
	buffer_load_dword v1, off, s[0:3], 0 offset:424
	s_nop 0
	buffer_load_dword v2, off, s[0:3], 0 offset:428
	buffer_load_dword v3, off, s[0:3], 0 offset:416
	;; [unrolled: 1-line block ×3, first 2 shown]
	buffer_load_dword v20, v0, s[0:3], 0 offen offset:80
	buffer_load_dword v21, v0, s[0:3], 0 offen offset:84
	;; [unrolled: 1-line block ×4, first 2 shown]
	s_waitcnt vmcnt(6) lgkmcnt(0)
	v_mul_f64 v[24:25], v[12:13], v[1:2]
	v_mul_f64 v[1:2], v[10:11], v[1:2]
	s_waitcnt vmcnt(4)
	v_fma_f64 v[10:11], v[10:11], v[3:4], -v[24:25]
	v_fma_f64 v[1:2], v[12:13], v[3:4], v[1:2]
	s_waitcnt vmcnt(2)
	v_add_f64 v[3:4], v[20:21], -v[10:11]
	s_waitcnt vmcnt(0)
	v_add_f64 v[1:2], v[22:23], -v[1:2]
	buffer_store_dword v4, v0, s[0:3], 0 offen offset:84
	buffer_store_dword v3, v0, s[0:3], 0 offen offset:80
	;; [unrolled: 1-line block ×4, first 2 shown]
	buffer_load_dword v10, off, s[0:3], 0 offset:424
	buffer_load_dword v11, off, s[0:3], 0 offset:428
	;; [unrolled: 1-line block ×4, first 2 shown]
	buffer_load_dword v20, v0, s[0:3], 0 offen offset:96
	buffer_load_dword v21, v0, s[0:3], 0 offen offset:100
	;; [unrolled: 1-line block ×4, first 2 shown]
	ds_read2_b64 v[1:4], v5 offset0:12 offset1:13
	s_waitcnt vmcnt(6) lgkmcnt(0)
	v_mul_f64 v[24:25], v[3:4], v[10:11]
	v_mul_f64 v[10:11], v[1:2], v[10:11]
	s_waitcnt vmcnt(4)
	v_fma_f64 v[1:2], v[1:2], v[12:13], -v[24:25]
	v_fma_f64 v[3:4], v[3:4], v[12:13], v[10:11]
	s_waitcnt vmcnt(2)
	v_add_f64 v[1:2], v[20:21], -v[1:2]
	s_waitcnt vmcnt(0)
	v_add_f64 v[3:4], v[22:23], -v[3:4]
	buffer_store_dword v2, v0, s[0:3], 0 offen offset:100
	buffer_store_dword v1, v0, s[0:3], 0 offen offset:96
	;; [unrolled: 1-line block ×4, first 2 shown]
	s_cbranch_scc1 .LBB122_670
.LBB122_671:
	s_or_b64 exec, exec, s[4:5]
	v_mov_b32_e32 v3, s60
	s_waitcnt vmcnt(0)
	s_barrier
	buffer_load_dword v0, v3, s[0:3], 0 offen
	buffer_load_dword v1, v3, s[0:3], 0 offen offset:4
	buffer_load_dword v2, v3, s[0:3], 0 offen offset:8
	s_nop 0
	buffer_load_dword v3, v3, s[0:3], 0 offen offset:12
	v_lshl_add_u32 v4, v19, 4, v16
	s_cmp_lt_i32 s65, 29
	s_waitcnt vmcnt(0)
	ds_write2_b64 v4, v[0:1], v[2:3] offset1:1
	s_waitcnt lgkmcnt(0)
	s_barrier
	ds_read2_b64 v[0:3], v16 offset0:54 offset1:55
	v_mov_b32_e32 v4, 27
	s_cbranch_scc1 .LBB122_674
; %bb.672:
	v_add_u32_e32 v5, 0x1c0, v16
	s_mov_b32 s16, 28
	v_mov_b32_e32 v4, 27
.LBB122_673:                            ; =>This Inner Loop Header: Depth=1
	s_waitcnt lgkmcnt(0)
	v_cmp_gt_f64_e32 vcc, 0, v[2:3]
	v_cmp_gt_f64_e64 s[4:5], 0, v[0:1]
	ds_read2_b64 v[10:13], v5 offset1:1
	v_xor_b32_e32 v21, 0x80000000, v1
	v_xor_b32_e32 v23, 0x80000000, v3
	v_mov_b32_e32 v20, v0
	v_mov_b32_e32 v22, v2
	s_waitcnt lgkmcnt(0)
	v_xor_b32_e32 v25, 0x80000000, v13
	v_cndmask_b32_e32 v23, v3, v23, vcc
	v_cndmask_b32_e64 v21, v1, v21, s[4:5]
	v_cmp_gt_f64_e32 vcc, 0, v[12:13]
	v_cmp_gt_f64_e64 s[4:5], 0, v[10:11]
	v_add_f64 v[20:21], v[20:21], v[22:23]
	v_xor_b32_e32 v23, 0x80000000, v11
	v_mov_b32_e32 v22, v10
	v_mov_b32_e32 v24, v12
	v_add_u32_e32 v5, 16, v5
	v_cndmask_b32_e32 v25, v13, v25, vcc
	v_cndmask_b32_e64 v23, v11, v23, s[4:5]
	v_add_f64 v[22:23], v[22:23], v[24:25]
	v_mov_b32_e32 v24, s16
	s_add_i32 s16, s16, 1
	s_cmp_lg_u32 s65, s16
	v_cmp_lt_f64_e32 vcc, v[20:21], v[22:23]
	v_cndmask_b32_e32 v1, v1, v11, vcc
	v_cndmask_b32_e32 v0, v0, v10, vcc
	;; [unrolled: 1-line block ×5, first 2 shown]
	s_cbranch_scc1 .LBB122_673
.LBB122_674:
	s_waitcnt lgkmcnt(0)
	v_cmp_eq_f64_e32 vcc, 0, v[0:1]
	v_cmp_eq_f64_e64 s[4:5], 0, v[2:3]
	s_and_b64 s[4:5], vcc, s[4:5]
	s_and_saveexec_b64 s[16:17], s[4:5]
	s_xor_b64 s[4:5], exec, s[16:17]
; %bb.675:
	v_cmp_ne_u32_e32 vcc, 0, v17
	v_cndmask_b32_e32 v17, 28, v17, vcc
; %bb.676:
	s_andn2_saveexec_b64 s[4:5], s[4:5]
	s_cbranch_execz .LBB122_682
; %bb.677:
	v_cmp_ngt_f64_e64 s[16:17], |v[0:1]|, |v[2:3]|
	s_and_saveexec_b64 s[18:19], s[16:17]
	s_xor_b64 s[18:19], exec, s[18:19]
	s_cbranch_execz .LBB122_679
; %bb.678:
	v_div_scale_f64 v[10:11], s[16:17], v[2:3], v[2:3], v[0:1]
	v_rcp_f64_e32 v[12:13], v[10:11]
	v_fma_f64 v[20:21], -v[10:11], v[12:13], 1.0
	v_fma_f64 v[12:13], v[12:13], v[20:21], v[12:13]
	v_div_scale_f64 v[20:21], vcc, v[0:1], v[2:3], v[0:1]
	v_fma_f64 v[22:23], -v[10:11], v[12:13], 1.0
	v_fma_f64 v[12:13], v[12:13], v[22:23], v[12:13]
	v_mul_f64 v[22:23], v[20:21], v[12:13]
	v_fma_f64 v[10:11], -v[10:11], v[22:23], v[20:21]
	v_div_fmas_f64 v[10:11], v[10:11], v[12:13], v[22:23]
	v_div_fixup_f64 v[10:11], v[10:11], v[2:3], v[0:1]
	v_fma_f64 v[0:1], v[0:1], v[10:11], v[2:3]
	v_div_scale_f64 v[2:3], s[16:17], v[0:1], v[0:1], 1.0
	v_div_scale_f64 v[22:23], vcc, 1.0, v[0:1], 1.0
	v_rcp_f64_e32 v[12:13], v[2:3]
	v_fma_f64 v[20:21], -v[2:3], v[12:13], 1.0
	v_fma_f64 v[12:13], v[12:13], v[20:21], v[12:13]
	v_fma_f64 v[20:21], -v[2:3], v[12:13], 1.0
	v_fma_f64 v[12:13], v[12:13], v[20:21], v[12:13]
	v_mul_f64 v[20:21], v[22:23], v[12:13]
	v_fma_f64 v[2:3], -v[2:3], v[20:21], v[22:23]
	v_div_fmas_f64 v[2:3], v[2:3], v[12:13], v[20:21]
	v_div_fixup_f64 v[2:3], v[2:3], v[0:1], 1.0
	v_mul_f64 v[0:1], v[10:11], v[2:3]
	v_xor_b32_e32 v3, 0x80000000, v3
.LBB122_679:
	s_andn2_saveexec_b64 s[18:19], s[18:19]
	s_cbranch_execz .LBB122_681
; %bb.680:
	v_div_scale_f64 v[10:11], s[16:17], v[0:1], v[0:1], v[2:3]
	v_rcp_f64_e32 v[12:13], v[10:11]
	v_fma_f64 v[20:21], -v[10:11], v[12:13], 1.0
	v_fma_f64 v[12:13], v[12:13], v[20:21], v[12:13]
	v_div_scale_f64 v[20:21], vcc, v[2:3], v[0:1], v[2:3]
	v_fma_f64 v[22:23], -v[10:11], v[12:13], 1.0
	v_fma_f64 v[12:13], v[12:13], v[22:23], v[12:13]
	v_mul_f64 v[22:23], v[20:21], v[12:13]
	v_fma_f64 v[10:11], -v[10:11], v[22:23], v[20:21]
	v_div_fmas_f64 v[10:11], v[10:11], v[12:13], v[22:23]
	v_div_fixup_f64 v[10:11], v[10:11], v[0:1], v[2:3]
	v_fma_f64 v[0:1], v[2:3], v[10:11], v[0:1]
	v_div_scale_f64 v[2:3], s[16:17], v[0:1], v[0:1], 1.0
	v_div_scale_f64 v[22:23], vcc, 1.0, v[0:1], 1.0
	v_rcp_f64_e32 v[12:13], v[2:3]
	v_fma_f64 v[20:21], -v[2:3], v[12:13], 1.0
	v_fma_f64 v[12:13], v[12:13], v[20:21], v[12:13]
	v_fma_f64 v[20:21], -v[2:3], v[12:13], 1.0
	v_fma_f64 v[12:13], v[12:13], v[20:21], v[12:13]
	v_mul_f64 v[20:21], v[22:23], v[12:13]
	v_fma_f64 v[2:3], -v[2:3], v[20:21], v[22:23]
	v_div_fmas_f64 v[2:3], v[2:3], v[12:13], v[20:21]
	v_div_fixup_f64 v[0:1], v[2:3], v[0:1], 1.0
	v_mul_f64 v[2:3], v[10:11], -v[0:1]
.LBB122_681:
	s_or_b64 exec, exec, s[18:19]
.LBB122_682:
	s_or_b64 exec, exec, s[4:5]
	v_cmp_ne_u32_e32 vcc, v19, v4
	s_and_saveexec_b64 s[4:5], vcc
	s_xor_b64 s[4:5], exec, s[4:5]
	s_cbranch_execz .LBB122_688
; %bb.683:
	v_cmp_eq_u32_e32 vcc, 27, v19
	s_and_saveexec_b64 s[18:19], vcc
	s_cbranch_execz .LBB122_687
; %bb.684:
	v_cmp_ne_u32_e32 vcc, 27, v4
	s_xor_b64 s[16:17], s[22:23], -1
	s_and_b64 s[16:17], s[16:17], vcc
	s_and_saveexec_b64 s[24:25], s[16:17]
	s_cbranch_execz .LBB122_686
; %bb.685:
	v_ashrrev_i32_e32 v5, 31, v4
	v_lshlrev_b64 v[10:11], 2, v[4:5]
	v_add_co_u32_e32 v10, vcc, v8, v10
	v_addc_co_u32_e32 v11, vcc, v9, v11, vcc
	global_load_dword v5, v[10:11], off
	global_load_dword v12, v[8:9], off offset:108
	s_waitcnt vmcnt(1)
	global_store_dword v[8:9], v5, off offset:108
	s_waitcnt vmcnt(1)
	global_store_dword v[10:11], v12, off
.LBB122_686:
	s_or_b64 exec, exec, s[24:25]
	v_mov_b32_e32 v19, v4
	v_mov_b32_e32 v18, v4
.LBB122_687:
	s_or_b64 exec, exec, s[18:19]
.LBB122_688:
	s_andn2_saveexec_b64 s[4:5], s[4:5]
	s_cbranch_execz .LBB122_690
; %bb.689:
	v_mov_b32_e32 v11, s59
	buffer_load_dword v4, v11, s[0:3], 0 offen
	buffer_load_dword v5, v11, s[0:3], 0 offen offset:4
	buffer_load_dword v10, v11, s[0:3], 0 offen offset:8
	s_nop 0
	buffer_load_dword v11, v11, s[0:3], 0 offen offset:12
	v_mov_b32_e32 v19, 27
	s_waitcnt vmcnt(0)
	ds_write2_b64 v16, v[4:5], v[10:11] offset0:56 offset1:57
	v_mov_b32_e32 v11, s58
	buffer_load_dword v4, v11, s[0:3], 0 offen
	buffer_load_dword v5, v11, s[0:3], 0 offen offset:4
	buffer_load_dword v10, v11, s[0:3], 0 offen offset:8
	s_nop 0
	buffer_load_dword v11, v11, s[0:3], 0 offen offset:12
	s_waitcnt vmcnt(0)
	ds_write2_b64 v16, v[4:5], v[10:11] offset0:58 offset1:59
	v_mov_b32_e32 v11, s8
	buffer_load_dword v4, v11, s[0:3], 0 offen
	buffer_load_dword v5, v11, s[0:3], 0 offen offset:4
	buffer_load_dword v10, v11, s[0:3], 0 offen offset:8
	s_nop 0
	buffer_load_dword v11, v11, s[0:3], 0 offen offset:12
	;; [unrolled: 8-line block ×33, first 2 shown]
	s_waitcnt vmcnt(0)
	ds_write2_b64 v16, v[4:5], v[10:11] offset0:122 offset1:123
.LBB122_690:
	s_or_b64 exec, exec, s[4:5]
	v_cmp_lt_i32_e32 vcc, 27, v19
	s_waitcnt vmcnt(0) lgkmcnt(0)
	s_barrier
	s_and_saveexec_b64 s[4:5], vcc
	s_cbranch_execz .LBB122_693
; %bb.691:
	buffer_load_dword v4, off, s[0:3], 0 offset:440
	buffer_load_dword v5, off, s[0:3], 0 offset:444
	;; [unrolled: 1-line block ×4, first 2 shown]
	s_movk_i32 s16, 0x1c0
	s_waitcnt vmcnt(2)
	v_mul_f64 v[12:13], v[2:3], v[4:5]
	v_mul_f64 v[4:5], v[0:1], v[4:5]
	s_waitcnt vmcnt(0)
	v_fma_f64 v[0:1], v[0:1], v[10:11], -v[12:13]
	v_fma_f64 v[2:3], v[2:3], v[10:11], v[4:5]
	buffer_store_dword v0, off, s[0:3], 0 offset:432
	buffer_store_dword v1, off, s[0:3], 0 offset:436
	;; [unrolled: 1-line block ×4, first 2 shown]
.LBB122_692:                            ; =>This Inner Loop Header: Depth=1
	buffer_load_dword v4, off, s[0:3], 0 offset:440
	buffer_load_dword v5, off, s[0:3], 0 offset:444
	;; [unrolled: 1-line block ×4, first 2 shown]
	v_mov_b32_e32 v32, s16
	buffer_load_dword v22, v32, s[0:3], 0 offen
	buffer_load_dword v23, v32, s[0:3], 0 offen offset:4
	buffer_load_dword v24, v32, s[0:3], 0 offen offset:8
	;; [unrolled: 1-line block ×3, first 2 shown]
	v_add_u32_e32 v10, s16, v16
	ds_read2_b64 v[0:3], v10 offset1:1
	buffer_load_dword v26, v32, s[0:3], 0 offen offset:16
	buffer_load_dword v27, v32, s[0:3], 0 offen offset:20
	;; [unrolled: 1-line block ×4, first 2 shown]
	ds_read2_b64 v[10:13], v10 offset0:2 offset1:3
	s_add_i32 s16, s16, 32
	s_cmpk_lg_i32 s16, 0x3e0
	s_waitcnt vmcnt(10) lgkmcnt(1)
	v_mul_f64 v[30:31], v[2:3], v[4:5]
	v_mul_f64 v[4:5], v[0:1], v[4:5]
	s_waitcnt vmcnt(8)
	v_fma_f64 v[0:1], v[0:1], v[20:21], -v[30:31]
	v_fma_f64 v[2:3], v[2:3], v[20:21], v[4:5]
	s_waitcnt vmcnt(6)
	v_add_f64 v[0:1], v[22:23], -v[0:1]
	s_waitcnt vmcnt(4)
	v_add_f64 v[2:3], v[24:25], -v[2:3]
	buffer_store_dword v1, v32, s[0:3], 0 offen offset:4
	buffer_store_dword v0, v32, s[0:3], 0 offen
	buffer_store_dword v3, v32, s[0:3], 0 offen offset:12
	buffer_store_dword v2, v32, s[0:3], 0 offen offset:8
	buffer_load_dword v1, off, s[0:3], 0 offset:444
	s_nop 0
	buffer_load_dword v0, off, s[0:3], 0 offset:440
	buffer_load_dword v3, off, s[0:3], 0 offset:436
	;; [unrolled: 1-line block ×3, first 2 shown]
	s_waitcnt vmcnt(2) lgkmcnt(0)
	v_mul_f64 v[4:5], v[12:13], v[0:1]
	v_mul_f64 v[0:1], v[10:11], v[0:1]
	s_waitcnt vmcnt(0)
	v_fma_f64 v[4:5], v[10:11], v[2:3], -v[4:5]
	v_fma_f64 v[0:1], v[12:13], v[2:3], v[0:1]
	v_add_f64 v[2:3], v[26:27], -v[4:5]
	v_add_f64 v[0:1], v[28:29], -v[0:1]
	buffer_store_dword v3, v32, s[0:3], 0 offen offset:20
	buffer_store_dword v2, v32, s[0:3], 0 offen offset:16
	buffer_store_dword v1, v32, s[0:3], 0 offen offset:28
	buffer_store_dword v0, v32, s[0:3], 0 offen offset:24
	s_cbranch_scc1 .LBB122_692
.LBB122_693:
	s_or_b64 exec, exec, s[4:5]
	v_mov_b32_e32 v3, s59
	s_waitcnt vmcnt(0)
	s_barrier
	buffer_load_dword v0, v3, s[0:3], 0 offen
	buffer_load_dword v1, v3, s[0:3], 0 offen offset:4
	buffer_load_dword v2, v3, s[0:3], 0 offen offset:8
	s_nop 0
	buffer_load_dword v3, v3, s[0:3], 0 offen offset:12
	v_lshl_add_u32 v4, v19, 4, v16
	s_cmp_lt_i32 s65, 30
	s_waitcnt vmcnt(0)
	ds_write2_b64 v4, v[0:1], v[2:3] offset1:1
	s_waitcnt lgkmcnt(0)
	s_barrier
	ds_read2_b64 v[0:3], v16 offset0:56 offset1:57
	v_mov_b32_e32 v4, 28
	s_cbranch_scc1 .LBB122_696
; %bb.694:
	v_add_u32_e32 v5, 0x1d0, v16
	s_mov_b32 s16, 29
	v_mov_b32_e32 v4, 28
.LBB122_695:                            ; =>This Inner Loop Header: Depth=1
	s_waitcnt lgkmcnt(0)
	v_cmp_gt_f64_e32 vcc, 0, v[2:3]
	v_cmp_gt_f64_e64 s[4:5], 0, v[0:1]
	ds_read2_b64 v[10:13], v5 offset1:1
	v_xor_b32_e32 v21, 0x80000000, v1
	v_xor_b32_e32 v23, 0x80000000, v3
	v_mov_b32_e32 v20, v0
	v_mov_b32_e32 v22, v2
	s_waitcnt lgkmcnt(0)
	v_xor_b32_e32 v25, 0x80000000, v13
	v_cndmask_b32_e32 v23, v3, v23, vcc
	v_cndmask_b32_e64 v21, v1, v21, s[4:5]
	v_cmp_gt_f64_e32 vcc, 0, v[12:13]
	v_cmp_gt_f64_e64 s[4:5], 0, v[10:11]
	v_add_f64 v[20:21], v[20:21], v[22:23]
	v_xor_b32_e32 v23, 0x80000000, v11
	v_mov_b32_e32 v22, v10
	v_mov_b32_e32 v24, v12
	v_add_u32_e32 v5, 16, v5
	v_cndmask_b32_e32 v25, v13, v25, vcc
	v_cndmask_b32_e64 v23, v11, v23, s[4:5]
	v_add_f64 v[22:23], v[22:23], v[24:25]
	v_mov_b32_e32 v24, s16
	s_add_i32 s16, s16, 1
	s_cmp_lg_u32 s65, s16
	v_cmp_lt_f64_e32 vcc, v[20:21], v[22:23]
	v_cndmask_b32_e32 v1, v1, v11, vcc
	v_cndmask_b32_e32 v0, v0, v10, vcc
	v_cndmask_b32_e32 v3, v3, v13, vcc
	v_cndmask_b32_e32 v2, v2, v12, vcc
	v_cndmask_b32_e32 v4, v4, v24, vcc
	s_cbranch_scc1 .LBB122_695
.LBB122_696:
	s_waitcnt lgkmcnt(0)
	v_cmp_eq_f64_e32 vcc, 0, v[0:1]
	v_cmp_eq_f64_e64 s[4:5], 0, v[2:3]
	s_and_b64 s[4:5], vcc, s[4:5]
	s_and_saveexec_b64 s[16:17], s[4:5]
	s_xor_b64 s[4:5], exec, s[16:17]
; %bb.697:
	v_cmp_ne_u32_e32 vcc, 0, v17
	v_cndmask_b32_e32 v17, 29, v17, vcc
; %bb.698:
	s_andn2_saveexec_b64 s[4:5], s[4:5]
	s_cbranch_execz .LBB122_704
; %bb.699:
	v_cmp_ngt_f64_e64 s[16:17], |v[0:1]|, |v[2:3]|
	s_and_saveexec_b64 s[18:19], s[16:17]
	s_xor_b64 s[18:19], exec, s[18:19]
	s_cbranch_execz .LBB122_701
; %bb.700:
	v_div_scale_f64 v[10:11], s[16:17], v[2:3], v[2:3], v[0:1]
	v_rcp_f64_e32 v[12:13], v[10:11]
	v_fma_f64 v[20:21], -v[10:11], v[12:13], 1.0
	v_fma_f64 v[12:13], v[12:13], v[20:21], v[12:13]
	v_div_scale_f64 v[20:21], vcc, v[0:1], v[2:3], v[0:1]
	v_fma_f64 v[22:23], -v[10:11], v[12:13], 1.0
	v_fma_f64 v[12:13], v[12:13], v[22:23], v[12:13]
	v_mul_f64 v[22:23], v[20:21], v[12:13]
	v_fma_f64 v[10:11], -v[10:11], v[22:23], v[20:21]
	v_div_fmas_f64 v[10:11], v[10:11], v[12:13], v[22:23]
	v_div_fixup_f64 v[10:11], v[10:11], v[2:3], v[0:1]
	v_fma_f64 v[0:1], v[0:1], v[10:11], v[2:3]
	v_div_scale_f64 v[2:3], s[16:17], v[0:1], v[0:1], 1.0
	v_div_scale_f64 v[22:23], vcc, 1.0, v[0:1], 1.0
	v_rcp_f64_e32 v[12:13], v[2:3]
	v_fma_f64 v[20:21], -v[2:3], v[12:13], 1.0
	v_fma_f64 v[12:13], v[12:13], v[20:21], v[12:13]
	v_fma_f64 v[20:21], -v[2:3], v[12:13], 1.0
	v_fma_f64 v[12:13], v[12:13], v[20:21], v[12:13]
	v_mul_f64 v[20:21], v[22:23], v[12:13]
	v_fma_f64 v[2:3], -v[2:3], v[20:21], v[22:23]
	v_div_fmas_f64 v[2:3], v[2:3], v[12:13], v[20:21]
	v_div_fixup_f64 v[2:3], v[2:3], v[0:1], 1.0
	v_mul_f64 v[0:1], v[10:11], v[2:3]
	v_xor_b32_e32 v3, 0x80000000, v3
.LBB122_701:
	s_andn2_saveexec_b64 s[18:19], s[18:19]
	s_cbranch_execz .LBB122_703
; %bb.702:
	v_div_scale_f64 v[10:11], s[16:17], v[0:1], v[0:1], v[2:3]
	v_rcp_f64_e32 v[12:13], v[10:11]
	v_fma_f64 v[20:21], -v[10:11], v[12:13], 1.0
	v_fma_f64 v[12:13], v[12:13], v[20:21], v[12:13]
	v_div_scale_f64 v[20:21], vcc, v[2:3], v[0:1], v[2:3]
	v_fma_f64 v[22:23], -v[10:11], v[12:13], 1.0
	v_fma_f64 v[12:13], v[12:13], v[22:23], v[12:13]
	v_mul_f64 v[22:23], v[20:21], v[12:13]
	v_fma_f64 v[10:11], -v[10:11], v[22:23], v[20:21]
	v_div_fmas_f64 v[10:11], v[10:11], v[12:13], v[22:23]
	v_div_fixup_f64 v[10:11], v[10:11], v[0:1], v[2:3]
	v_fma_f64 v[0:1], v[2:3], v[10:11], v[0:1]
	v_div_scale_f64 v[2:3], s[16:17], v[0:1], v[0:1], 1.0
	v_div_scale_f64 v[22:23], vcc, 1.0, v[0:1], 1.0
	v_rcp_f64_e32 v[12:13], v[2:3]
	v_fma_f64 v[20:21], -v[2:3], v[12:13], 1.0
	v_fma_f64 v[12:13], v[12:13], v[20:21], v[12:13]
	v_fma_f64 v[20:21], -v[2:3], v[12:13], 1.0
	v_fma_f64 v[12:13], v[12:13], v[20:21], v[12:13]
	v_mul_f64 v[20:21], v[22:23], v[12:13]
	v_fma_f64 v[2:3], -v[2:3], v[20:21], v[22:23]
	v_div_fmas_f64 v[2:3], v[2:3], v[12:13], v[20:21]
	v_div_fixup_f64 v[0:1], v[2:3], v[0:1], 1.0
	v_mul_f64 v[2:3], v[10:11], -v[0:1]
.LBB122_703:
	s_or_b64 exec, exec, s[18:19]
.LBB122_704:
	s_or_b64 exec, exec, s[4:5]
	v_cmp_ne_u32_e32 vcc, v19, v4
	s_and_saveexec_b64 s[4:5], vcc
	s_xor_b64 s[4:5], exec, s[4:5]
	s_cbranch_execz .LBB122_710
; %bb.705:
	v_cmp_eq_u32_e32 vcc, 28, v19
	s_and_saveexec_b64 s[18:19], vcc
	s_cbranch_execz .LBB122_709
; %bb.706:
	v_cmp_ne_u32_e32 vcc, 28, v4
	s_xor_b64 s[16:17], s[22:23], -1
	s_and_b64 s[16:17], s[16:17], vcc
	s_and_saveexec_b64 s[24:25], s[16:17]
	s_cbranch_execz .LBB122_708
; %bb.707:
	v_ashrrev_i32_e32 v5, 31, v4
	v_lshlrev_b64 v[10:11], 2, v[4:5]
	v_add_co_u32_e32 v10, vcc, v8, v10
	v_addc_co_u32_e32 v11, vcc, v9, v11, vcc
	global_load_dword v5, v[10:11], off
	global_load_dword v12, v[8:9], off offset:112
	s_waitcnt vmcnt(1)
	global_store_dword v[8:9], v5, off offset:112
	s_waitcnt vmcnt(1)
	global_store_dword v[10:11], v12, off
.LBB122_708:
	s_or_b64 exec, exec, s[24:25]
	v_mov_b32_e32 v19, v4
	v_mov_b32_e32 v18, v4
.LBB122_709:
	s_or_b64 exec, exec, s[18:19]
.LBB122_710:
	s_andn2_saveexec_b64 s[4:5], s[4:5]
	s_cbranch_execz .LBB122_712
; %bb.711:
	v_mov_b32_e32 v11, s58
	buffer_load_dword v4, v11, s[0:3], 0 offen
	buffer_load_dword v5, v11, s[0:3], 0 offen offset:4
	buffer_load_dword v10, v11, s[0:3], 0 offen offset:8
	s_nop 0
	buffer_load_dword v11, v11, s[0:3], 0 offen offset:12
	v_mov_b32_e32 v19, 28
	s_waitcnt vmcnt(0)
	ds_write2_b64 v16, v[4:5], v[10:11] offset0:58 offset1:59
	v_mov_b32_e32 v11, s8
	buffer_load_dword v4, v11, s[0:3], 0 offen
	buffer_load_dword v5, v11, s[0:3], 0 offen offset:4
	buffer_load_dword v10, v11, s[0:3], 0 offen offset:8
	s_nop 0
	buffer_load_dword v11, v11, s[0:3], 0 offen offset:12
	s_waitcnt vmcnt(0)
	ds_write2_b64 v16, v[4:5], v[10:11] offset0:60 offset1:61
	v_mov_b32_e32 v11, s56
	buffer_load_dword v4, v11, s[0:3], 0 offen
	buffer_load_dword v5, v11, s[0:3], 0 offen offset:4
	buffer_load_dword v10, v11, s[0:3], 0 offen offset:8
	s_nop 0
	buffer_load_dword v11, v11, s[0:3], 0 offen offset:12
	;; [unrolled: 8-line block ×32, first 2 shown]
	s_waitcnt vmcnt(0)
	ds_write2_b64 v16, v[4:5], v[10:11] offset0:122 offset1:123
.LBB122_712:
	s_or_b64 exec, exec, s[4:5]
	v_cmp_lt_i32_e32 vcc, 28, v19
	s_waitcnt vmcnt(0) lgkmcnt(0)
	s_barrier
	s_and_saveexec_b64 s[4:5], vcc
	s_cbranch_execz .LBB122_715
; %bb.713:
	buffer_load_dword v4, off, s[0:3], 0 offset:456
	buffer_load_dword v5, off, s[0:3], 0 offset:460
	;; [unrolled: 1-line block ×4, first 2 shown]
	s_movk_i32 s16, 0x1d0
	s_waitcnt vmcnt(2)
	v_mul_f64 v[12:13], v[2:3], v[4:5]
	v_mul_f64 v[4:5], v[0:1], v[4:5]
	s_waitcnt vmcnt(0)
	v_fma_f64 v[0:1], v[0:1], v[10:11], -v[12:13]
	v_fma_f64 v[2:3], v[2:3], v[10:11], v[4:5]
	buffer_store_dword v0, off, s[0:3], 0 offset:448
	buffer_store_dword v1, off, s[0:3], 0 offset:452
	;; [unrolled: 1-line block ×4, first 2 shown]
.LBB122_714:                            ; =>This Inner Loop Header: Depth=1
	buffer_load_dword v4, off, s[0:3], 0 offset:456
	buffer_load_dword v5, off, s[0:3], 0 offset:460
	;; [unrolled: 1-line block ×4, first 2 shown]
	v_mov_b32_e32 v32, s16
	buffer_load_dword v22, v32, s[0:3], 0 offen
	buffer_load_dword v23, v32, s[0:3], 0 offen offset:4
	buffer_load_dword v24, v32, s[0:3], 0 offen offset:8
	;; [unrolled: 1-line block ×3, first 2 shown]
	v_add_u32_e32 v33, s16, v16
	ds_read2_b64 v[0:3], v33 offset1:1
	buffer_load_dword v26, v32, s[0:3], 0 offen offset:16
	buffer_load_dword v27, v32, s[0:3], 0 offen offset:20
	;; [unrolled: 1-line block ×4, first 2 shown]
	ds_read2_b64 v[10:13], v33 offset0:2 offset1:3
	s_add_i32 s16, s16, 48
	s_cmpk_lg_i32 s16, 0x3e0
	s_waitcnt vmcnt(10) lgkmcnt(1)
	v_mul_f64 v[30:31], v[2:3], v[4:5]
	v_mul_f64 v[4:5], v[0:1], v[4:5]
	s_waitcnt vmcnt(8)
	v_fma_f64 v[0:1], v[0:1], v[20:21], -v[30:31]
	v_fma_f64 v[2:3], v[2:3], v[20:21], v[4:5]
	s_waitcnt vmcnt(6)
	v_add_f64 v[0:1], v[22:23], -v[0:1]
	s_waitcnt vmcnt(4)
	v_add_f64 v[2:3], v[24:25], -v[2:3]
	buffer_store_dword v1, v32, s[0:3], 0 offen offset:4
	buffer_store_dword v0, v32, s[0:3], 0 offen
	buffer_store_dword v3, v32, s[0:3], 0 offen offset:12
	buffer_store_dword v2, v32, s[0:3], 0 offen offset:8
	buffer_load_dword v1, off, s[0:3], 0 offset:460
	s_nop 0
	buffer_load_dword v0, off, s[0:3], 0 offset:456
	buffer_load_dword v3, off, s[0:3], 0 offset:452
	;; [unrolled: 1-line block ×3, first 2 shown]
	buffer_load_dword v4, v32, s[0:3], 0 offen offset:32
	buffer_load_dword v5, v32, s[0:3], 0 offen offset:36
	;; [unrolled: 1-line block ×4, first 2 shown]
	s_waitcnt vmcnt(6) lgkmcnt(0)
	v_mul_f64 v[22:23], v[12:13], v[0:1]
	v_mul_f64 v[0:1], v[10:11], v[0:1]
	s_waitcnt vmcnt(4)
	v_fma_f64 v[10:11], v[10:11], v[2:3], -v[22:23]
	v_fma_f64 v[0:1], v[12:13], v[2:3], v[0:1]
	v_add_f64 v[2:3], v[26:27], -v[10:11]
	v_add_f64 v[0:1], v[28:29], -v[0:1]
	buffer_store_dword v3, v32, s[0:3], 0 offen offset:20
	buffer_store_dword v2, v32, s[0:3], 0 offen offset:16
	;; [unrolled: 1-line block ×4, first 2 shown]
	buffer_load_dword v10, off, s[0:3], 0 offset:456
	buffer_load_dword v11, off, s[0:3], 0 offset:460
	;; [unrolled: 1-line block ×4, first 2 shown]
	ds_read2_b64 v[0:3], v33 offset0:4 offset1:5
	s_waitcnt vmcnt(2) lgkmcnt(0)
	v_mul_f64 v[22:23], v[2:3], v[10:11]
	v_mul_f64 v[10:11], v[0:1], v[10:11]
	s_waitcnt vmcnt(0)
	v_fma_f64 v[0:1], v[0:1], v[12:13], -v[22:23]
	v_fma_f64 v[2:3], v[2:3], v[12:13], v[10:11]
	v_add_f64 v[0:1], v[4:5], -v[0:1]
	v_add_f64 v[2:3], v[20:21], -v[2:3]
	buffer_store_dword v1, v32, s[0:3], 0 offen offset:36
	buffer_store_dword v0, v32, s[0:3], 0 offen offset:32
	;; [unrolled: 1-line block ×4, first 2 shown]
	s_cbranch_scc1 .LBB122_714
.LBB122_715:
	s_or_b64 exec, exec, s[4:5]
	v_mov_b32_e32 v3, s58
	s_waitcnt vmcnt(0)
	s_barrier
	buffer_load_dword v0, v3, s[0:3], 0 offen
	buffer_load_dword v1, v3, s[0:3], 0 offen offset:4
	buffer_load_dword v2, v3, s[0:3], 0 offen offset:8
	s_nop 0
	buffer_load_dword v3, v3, s[0:3], 0 offen offset:12
	v_lshl_add_u32 v4, v19, 4, v16
	s_cmp_lt_i32 s65, 31
	s_waitcnt vmcnt(0)
	ds_write2_b64 v4, v[0:1], v[2:3] offset1:1
	s_waitcnt lgkmcnt(0)
	s_barrier
	ds_read2_b64 v[0:3], v16 offset0:58 offset1:59
	v_mov_b32_e32 v4, 29
	s_cbranch_scc1 .LBB122_718
; %bb.716:
	v_add_u32_e32 v5, 0x1e0, v16
	s_mov_b32 s16, 30
	v_mov_b32_e32 v4, 29
.LBB122_717:                            ; =>This Inner Loop Header: Depth=1
	s_waitcnt lgkmcnt(0)
	v_cmp_gt_f64_e32 vcc, 0, v[2:3]
	v_cmp_gt_f64_e64 s[4:5], 0, v[0:1]
	ds_read2_b64 v[10:13], v5 offset1:1
	v_xor_b32_e32 v21, 0x80000000, v1
	v_xor_b32_e32 v23, 0x80000000, v3
	v_mov_b32_e32 v20, v0
	v_mov_b32_e32 v22, v2
	s_waitcnt lgkmcnt(0)
	v_xor_b32_e32 v25, 0x80000000, v13
	v_cndmask_b32_e32 v23, v3, v23, vcc
	v_cndmask_b32_e64 v21, v1, v21, s[4:5]
	v_cmp_gt_f64_e32 vcc, 0, v[12:13]
	v_cmp_gt_f64_e64 s[4:5], 0, v[10:11]
	v_add_f64 v[20:21], v[20:21], v[22:23]
	v_xor_b32_e32 v23, 0x80000000, v11
	v_mov_b32_e32 v22, v10
	v_mov_b32_e32 v24, v12
	v_add_u32_e32 v5, 16, v5
	v_cndmask_b32_e32 v25, v13, v25, vcc
	v_cndmask_b32_e64 v23, v11, v23, s[4:5]
	v_add_f64 v[22:23], v[22:23], v[24:25]
	v_mov_b32_e32 v24, s16
	s_add_i32 s16, s16, 1
	s_cmp_lg_u32 s65, s16
	v_cmp_lt_f64_e32 vcc, v[20:21], v[22:23]
	v_cndmask_b32_e32 v1, v1, v11, vcc
	v_cndmask_b32_e32 v0, v0, v10, vcc
	;; [unrolled: 1-line block ×5, first 2 shown]
	s_cbranch_scc1 .LBB122_717
.LBB122_718:
	s_waitcnt lgkmcnt(0)
	v_cmp_eq_f64_e32 vcc, 0, v[0:1]
	v_cmp_eq_f64_e64 s[4:5], 0, v[2:3]
	s_and_b64 s[4:5], vcc, s[4:5]
	s_and_saveexec_b64 s[16:17], s[4:5]
	s_xor_b64 s[4:5], exec, s[16:17]
; %bb.719:
	v_cmp_ne_u32_e32 vcc, 0, v17
	v_cndmask_b32_e32 v17, 30, v17, vcc
; %bb.720:
	s_andn2_saveexec_b64 s[4:5], s[4:5]
	s_cbranch_execz .LBB122_726
; %bb.721:
	v_cmp_ngt_f64_e64 s[16:17], |v[0:1]|, |v[2:3]|
	s_and_saveexec_b64 s[18:19], s[16:17]
	s_xor_b64 s[18:19], exec, s[18:19]
	s_cbranch_execz .LBB122_723
; %bb.722:
	v_div_scale_f64 v[10:11], s[16:17], v[2:3], v[2:3], v[0:1]
	v_rcp_f64_e32 v[12:13], v[10:11]
	v_fma_f64 v[20:21], -v[10:11], v[12:13], 1.0
	v_fma_f64 v[12:13], v[12:13], v[20:21], v[12:13]
	v_div_scale_f64 v[20:21], vcc, v[0:1], v[2:3], v[0:1]
	v_fma_f64 v[22:23], -v[10:11], v[12:13], 1.0
	v_fma_f64 v[12:13], v[12:13], v[22:23], v[12:13]
	v_mul_f64 v[22:23], v[20:21], v[12:13]
	v_fma_f64 v[10:11], -v[10:11], v[22:23], v[20:21]
	v_div_fmas_f64 v[10:11], v[10:11], v[12:13], v[22:23]
	v_div_fixup_f64 v[10:11], v[10:11], v[2:3], v[0:1]
	v_fma_f64 v[0:1], v[0:1], v[10:11], v[2:3]
	v_div_scale_f64 v[2:3], s[16:17], v[0:1], v[0:1], 1.0
	v_div_scale_f64 v[22:23], vcc, 1.0, v[0:1], 1.0
	v_rcp_f64_e32 v[12:13], v[2:3]
	v_fma_f64 v[20:21], -v[2:3], v[12:13], 1.0
	v_fma_f64 v[12:13], v[12:13], v[20:21], v[12:13]
	v_fma_f64 v[20:21], -v[2:3], v[12:13], 1.0
	v_fma_f64 v[12:13], v[12:13], v[20:21], v[12:13]
	v_mul_f64 v[20:21], v[22:23], v[12:13]
	v_fma_f64 v[2:3], -v[2:3], v[20:21], v[22:23]
	v_div_fmas_f64 v[2:3], v[2:3], v[12:13], v[20:21]
	v_div_fixup_f64 v[2:3], v[2:3], v[0:1], 1.0
	v_mul_f64 v[0:1], v[10:11], v[2:3]
	v_xor_b32_e32 v3, 0x80000000, v3
.LBB122_723:
	s_andn2_saveexec_b64 s[18:19], s[18:19]
	s_cbranch_execz .LBB122_725
; %bb.724:
	v_div_scale_f64 v[10:11], s[16:17], v[0:1], v[0:1], v[2:3]
	v_rcp_f64_e32 v[12:13], v[10:11]
	v_fma_f64 v[20:21], -v[10:11], v[12:13], 1.0
	v_fma_f64 v[12:13], v[12:13], v[20:21], v[12:13]
	v_div_scale_f64 v[20:21], vcc, v[2:3], v[0:1], v[2:3]
	v_fma_f64 v[22:23], -v[10:11], v[12:13], 1.0
	v_fma_f64 v[12:13], v[12:13], v[22:23], v[12:13]
	v_mul_f64 v[22:23], v[20:21], v[12:13]
	v_fma_f64 v[10:11], -v[10:11], v[22:23], v[20:21]
	v_div_fmas_f64 v[10:11], v[10:11], v[12:13], v[22:23]
	v_div_fixup_f64 v[10:11], v[10:11], v[0:1], v[2:3]
	v_fma_f64 v[0:1], v[2:3], v[10:11], v[0:1]
	v_div_scale_f64 v[2:3], s[16:17], v[0:1], v[0:1], 1.0
	v_div_scale_f64 v[22:23], vcc, 1.0, v[0:1], 1.0
	v_rcp_f64_e32 v[12:13], v[2:3]
	v_fma_f64 v[20:21], -v[2:3], v[12:13], 1.0
	v_fma_f64 v[12:13], v[12:13], v[20:21], v[12:13]
	v_fma_f64 v[20:21], -v[2:3], v[12:13], 1.0
	v_fma_f64 v[12:13], v[12:13], v[20:21], v[12:13]
	v_mul_f64 v[20:21], v[22:23], v[12:13]
	v_fma_f64 v[2:3], -v[2:3], v[20:21], v[22:23]
	v_div_fmas_f64 v[2:3], v[2:3], v[12:13], v[20:21]
	v_div_fixup_f64 v[0:1], v[2:3], v[0:1], 1.0
	v_mul_f64 v[2:3], v[10:11], -v[0:1]
.LBB122_725:
	s_or_b64 exec, exec, s[18:19]
.LBB122_726:
	s_or_b64 exec, exec, s[4:5]
	v_cmp_ne_u32_e32 vcc, v19, v4
	s_and_saveexec_b64 s[4:5], vcc
	s_xor_b64 s[4:5], exec, s[4:5]
	s_cbranch_execz .LBB122_732
; %bb.727:
	v_cmp_eq_u32_e32 vcc, 29, v19
	s_and_saveexec_b64 s[18:19], vcc
	s_cbranch_execz .LBB122_731
; %bb.728:
	v_cmp_ne_u32_e32 vcc, 29, v4
	s_xor_b64 s[16:17], s[22:23], -1
	s_and_b64 s[16:17], s[16:17], vcc
	s_and_saveexec_b64 s[24:25], s[16:17]
	s_cbranch_execz .LBB122_730
; %bb.729:
	v_ashrrev_i32_e32 v5, 31, v4
	v_lshlrev_b64 v[10:11], 2, v[4:5]
	v_add_co_u32_e32 v10, vcc, v8, v10
	v_addc_co_u32_e32 v11, vcc, v9, v11, vcc
	global_load_dword v5, v[10:11], off
	global_load_dword v12, v[8:9], off offset:116
	s_waitcnt vmcnt(1)
	global_store_dword v[8:9], v5, off offset:116
	s_waitcnt vmcnt(1)
	global_store_dword v[10:11], v12, off
.LBB122_730:
	s_or_b64 exec, exec, s[24:25]
	v_mov_b32_e32 v19, v4
	v_mov_b32_e32 v18, v4
.LBB122_731:
	s_or_b64 exec, exec, s[18:19]
.LBB122_732:
	s_andn2_saveexec_b64 s[4:5], s[4:5]
	s_cbranch_execz .LBB122_734
; %bb.733:
	v_mov_b32_e32 v11, s8
	buffer_load_dword v4, v11, s[0:3], 0 offen
	buffer_load_dword v5, v11, s[0:3], 0 offen offset:4
	buffer_load_dword v10, v11, s[0:3], 0 offen offset:8
	s_nop 0
	buffer_load_dword v11, v11, s[0:3], 0 offen offset:12
	v_mov_b32_e32 v19, 29
	s_waitcnt vmcnt(0)
	ds_write2_b64 v16, v[4:5], v[10:11] offset0:60 offset1:61
	v_mov_b32_e32 v11, s56
	buffer_load_dword v4, v11, s[0:3], 0 offen
	buffer_load_dword v5, v11, s[0:3], 0 offen offset:4
	buffer_load_dword v10, v11, s[0:3], 0 offen offset:8
	s_nop 0
	buffer_load_dword v11, v11, s[0:3], 0 offen offset:12
	s_waitcnt vmcnt(0)
	ds_write2_b64 v16, v[4:5], v[10:11] offset0:62 offset1:63
	v_mov_b32_e32 v11, s55
	buffer_load_dword v4, v11, s[0:3], 0 offen
	buffer_load_dword v5, v11, s[0:3], 0 offen offset:4
	buffer_load_dword v10, v11, s[0:3], 0 offen offset:8
	s_nop 0
	buffer_load_dword v11, v11, s[0:3], 0 offen offset:12
	;; [unrolled: 8-line block ×31, first 2 shown]
	s_waitcnt vmcnt(0)
	ds_write2_b64 v16, v[4:5], v[10:11] offset0:122 offset1:123
.LBB122_734:
	s_or_b64 exec, exec, s[4:5]
	v_cmp_lt_i32_e32 vcc, 29, v19
	s_waitcnt vmcnt(0) lgkmcnt(0)
	s_barrier
	s_and_saveexec_b64 s[4:5], vcc
	s_cbranch_execz .LBB122_737
; %bb.735:
	buffer_load_dword v4, off, s[0:3], 0 offset:472
	buffer_load_dword v5, off, s[0:3], 0 offset:476
	;; [unrolled: 1-line block ×4, first 2 shown]
	s_mov_b32 s18, 0
	s_waitcnt vmcnt(2)
	v_mul_f64 v[12:13], v[2:3], v[4:5]
	v_mul_f64 v[4:5], v[0:1], v[4:5]
	s_waitcnt vmcnt(0)
	v_fma_f64 v[0:1], v[0:1], v[10:11], -v[12:13]
	v_fma_f64 v[2:3], v[2:3], v[10:11], v[4:5]
	v_add_u32_e32 v4, 0x1e0, v16
	buffer_store_dword v0, off, s[0:3], 0 offset:464
	buffer_store_dword v1, off, s[0:3], 0 offset:468
	;; [unrolled: 1-line block ×4, first 2 shown]
.LBB122_736:                            ; =>This Inner Loop Header: Depth=1
	v_add_u32_e32 v5, s18, v4
	ds_read2_b64 v[10:13], v5 offset1:1
	v_mov_b32_e32 v36, s18
	s_add_i32 s18, s18, 64
	s_cmpk_lg_i32 s18, 0x200
	s_waitcnt lgkmcnt(0)
	v_mul_f64 v[20:21], v[12:13], v[2:3]
	v_fma_f64 v[20:21], v[10:11], v[0:1], -v[20:21]
	v_mul_f64 v[10:11], v[10:11], v[2:3]
	v_fma_f64 v[10:11], v[12:13], v[0:1], v[10:11]
	buffer_load_dword v12, v36, s[0:3], 0 offen offset:480
	buffer_load_dword v13, v36, s[0:3], 0 offen offset:484
	;; [unrolled: 1-line block ×16, first 2 shown]
	s_waitcnt vmcnt(14)
	v_add_f64 v[12:13], v[12:13], -v[20:21]
	s_waitcnt vmcnt(12)
	v_add_f64 v[10:11], v[22:23], -v[10:11]
	buffer_store_dword v12, v36, s[0:3], 0 offen offset:480
	buffer_store_dword v13, v36, s[0:3], 0 offen offset:484
	buffer_store_dword v10, v36, s[0:3], 0 offen offset:488
	buffer_store_dword v11, v36, s[0:3], 0 offen offset:492
	ds_read2_b64 v[10:13], v5 offset0:2 offset1:3
	s_waitcnt lgkmcnt(0)
	v_mul_f64 v[20:21], v[12:13], v[2:3]
	v_fma_f64 v[20:21], v[10:11], v[0:1], -v[20:21]
	v_mul_f64 v[10:11], v[10:11], v[2:3]
	v_fma_f64 v[10:11], v[12:13], v[0:1], v[10:11]
	s_waitcnt vmcnt(14)
	v_add_f64 v[12:13], v[24:25], -v[20:21]
	s_waitcnt vmcnt(12)
	v_add_f64 v[10:11], v[26:27], -v[10:11]
	buffer_store_dword v12, v36, s[0:3], 0 offen offset:496
	buffer_store_dword v13, v36, s[0:3], 0 offen offset:500
	buffer_store_dword v10, v36, s[0:3], 0 offen offset:504
	buffer_store_dword v11, v36, s[0:3], 0 offen offset:508
	ds_read2_b64 v[10:13], v5 offset0:4 offset1:5
	s_waitcnt lgkmcnt(0)
	v_mul_f64 v[20:21], v[12:13], v[2:3]
	v_fma_f64 v[20:21], v[10:11], v[0:1], -v[20:21]
	v_mul_f64 v[10:11], v[10:11], v[2:3]
	v_fma_f64 v[10:11], v[12:13], v[0:1], v[10:11]
	;; [unrolled: 14-line block ×3, first 2 shown]
	s_waitcnt vmcnt(14)
	v_add_f64 v[12:13], v[32:33], -v[20:21]
	s_waitcnt vmcnt(12)
	v_add_f64 v[10:11], v[34:35], -v[10:11]
	buffer_store_dword v13, v36, s[0:3], 0 offen offset:532
	buffer_store_dword v12, v36, s[0:3], 0 offen offset:528
	;; [unrolled: 1-line block ×4, first 2 shown]
	s_cbranch_scc1 .LBB122_736
.LBB122_737:
	s_or_b64 exec, exec, s[4:5]
	v_mov_b32_e32 v3, s8
	s_waitcnt vmcnt(0)
	s_barrier
	buffer_load_dword v0, v3, s[0:3], 0 offen
	buffer_load_dword v1, v3, s[0:3], 0 offen offset:4
	buffer_load_dword v2, v3, s[0:3], 0 offen offset:8
	s_nop 0
	buffer_load_dword v3, v3, s[0:3], 0 offen offset:12
	v_lshl_add_u32 v4, v19, 4, v16
	s_cmp_lt_i32 s65, 32
	s_waitcnt vmcnt(0)
	ds_write2_b64 v4, v[0:1], v[2:3] offset1:1
	s_waitcnt lgkmcnt(0)
	s_barrier
	ds_read2_b64 v[0:3], v16 offset0:60 offset1:61
	v_mov_b32_e32 v4, 30
	s_cbranch_scc1 .LBB122_740
; %bb.738:
	v_add_u32_e32 v5, 0x1f0, v16
	s_mov_b32 s16, 31
	v_mov_b32_e32 v4, 30
.LBB122_739:                            ; =>This Inner Loop Header: Depth=1
	s_waitcnt lgkmcnt(0)
	v_cmp_gt_f64_e32 vcc, 0, v[2:3]
	v_cmp_gt_f64_e64 s[4:5], 0, v[0:1]
	ds_read2_b64 v[10:13], v5 offset1:1
	v_xor_b32_e32 v21, 0x80000000, v1
	v_xor_b32_e32 v23, 0x80000000, v3
	v_mov_b32_e32 v20, v0
	v_mov_b32_e32 v22, v2
	s_waitcnt lgkmcnt(0)
	v_xor_b32_e32 v25, 0x80000000, v13
	v_cndmask_b32_e32 v23, v3, v23, vcc
	v_cndmask_b32_e64 v21, v1, v21, s[4:5]
	v_cmp_gt_f64_e32 vcc, 0, v[12:13]
	v_cmp_gt_f64_e64 s[4:5], 0, v[10:11]
	v_add_f64 v[20:21], v[20:21], v[22:23]
	v_xor_b32_e32 v23, 0x80000000, v11
	v_mov_b32_e32 v22, v10
	v_mov_b32_e32 v24, v12
	v_add_u32_e32 v5, 16, v5
	v_cndmask_b32_e32 v25, v13, v25, vcc
	v_cndmask_b32_e64 v23, v11, v23, s[4:5]
	v_add_f64 v[22:23], v[22:23], v[24:25]
	v_mov_b32_e32 v24, s16
	s_add_i32 s16, s16, 1
	s_cmp_lg_u32 s65, s16
	v_cmp_lt_f64_e32 vcc, v[20:21], v[22:23]
	v_cndmask_b32_e32 v1, v1, v11, vcc
	v_cndmask_b32_e32 v0, v0, v10, vcc
	;; [unrolled: 1-line block ×5, first 2 shown]
	s_cbranch_scc1 .LBB122_739
.LBB122_740:
	s_waitcnt lgkmcnt(0)
	v_cmp_eq_f64_e32 vcc, 0, v[0:1]
	v_cmp_eq_f64_e64 s[4:5], 0, v[2:3]
	s_and_b64 s[4:5], vcc, s[4:5]
	s_and_saveexec_b64 s[16:17], s[4:5]
	s_xor_b64 s[4:5], exec, s[16:17]
; %bb.741:
	v_cmp_ne_u32_e32 vcc, 0, v17
	v_cndmask_b32_e32 v17, 31, v17, vcc
; %bb.742:
	s_andn2_saveexec_b64 s[4:5], s[4:5]
	s_cbranch_execz .LBB122_748
; %bb.743:
	v_cmp_ngt_f64_e64 s[16:17], |v[0:1]|, |v[2:3]|
	s_and_saveexec_b64 s[18:19], s[16:17]
	s_xor_b64 s[18:19], exec, s[18:19]
	s_cbranch_execz .LBB122_745
; %bb.744:
	v_div_scale_f64 v[10:11], s[16:17], v[2:3], v[2:3], v[0:1]
	v_rcp_f64_e32 v[12:13], v[10:11]
	v_fma_f64 v[20:21], -v[10:11], v[12:13], 1.0
	v_fma_f64 v[12:13], v[12:13], v[20:21], v[12:13]
	v_div_scale_f64 v[20:21], vcc, v[0:1], v[2:3], v[0:1]
	v_fma_f64 v[22:23], -v[10:11], v[12:13], 1.0
	v_fma_f64 v[12:13], v[12:13], v[22:23], v[12:13]
	v_mul_f64 v[22:23], v[20:21], v[12:13]
	v_fma_f64 v[10:11], -v[10:11], v[22:23], v[20:21]
	v_div_fmas_f64 v[10:11], v[10:11], v[12:13], v[22:23]
	v_div_fixup_f64 v[10:11], v[10:11], v[2:3], v[0:1]
	v_fma_f64 v[0:1], v[0:1], v[10:11], v[2:3]
	v_div_scale_f64 v[2:3], s[16:17], v[0:1], v[0:1], 1.0
	v_div_scale_f64 v[22:23], vcc, 1.0, v[0:1], 1.0
	v_rcp_f64_e32 v[12:13], v[2:3]
	v_fma_f64 v[20:21], -v[2:3], v[12:13], 1.0
	v_fma_f64 v[12:13], v[12:13], v[20:21], v[12:13]
	v_fma_f64 v[20:21], -v[2:3], v[12:13], 1.0
	v_fma_f64 v[12:13], v[12:13], v[20:21], v[12:13]
	v_mul_f64 v[20:21], v[22:23], v[12:13]
	v_fma_f64 v[2:3], -v[2:3], v[20:21], v[22:23]
	v_div_fmas_f64 v[2:3], v[2:3], v[12:13], v[20:21]
	v_div_fixup_f64 v[2:3], v[2:3], v[0:1], 1.0
	v_mul_f64 v[0:1], v[10:11], v[2:3]
	v_xor_b32_e32 v3, 0x80000000, v3
.LBB122_745:
	s_andn2_saveexec_b64 s[18:19], s[18:19]
	s_cbranch_execz .LBB122_747
; %bb.746:
	v_div_scale_f64 v[10:11], s[16:17], v[0:1], v[0:1], v[2:3]
	v_rcp_f64_e32 v[12:13], v[10:11]
	v_fma_f64 v[20:21], -v[10:11], v[12:13], 1.0
	v_fma_f64 v[12:13], v[12:13], v[20:21], v[12:13]
	v_div_scale_f64 v[20:21], vcc, v[2:3], v[0:1], v[2:3]
	v_fma_f64 v[22:23], -v[10:11], v[12:13], 1.0
	v_fma_f64 v[12:13], v[12:13], v[22:23], v[12:13]
	v_mul_f64 v[22:23], v[20:21], v[12:13]
	v_fma_f64 v[10:11], -v[10:11], v[22:23], v[20:21]
	v_div_fmas_f64 v[10:11], v[10:11], v[12:13], v[22:23]
	v_div_fixup_f64 v[10:11], v[10:11], v[0:1], v[2:3]
	v_fma_f64 v[0:1], v[2:3], v[10:11], v[0:1]
	v_div_scale_f64 v[2:3], s[16:17], v[0:1], v[0:1], 1.0
	v_div_scale_f64 v[22:23], vcc, 1.0, v[0:1], 1.0
	v_rcp_f64_e32 v[12:13], v[2:3]
	v_fma_f64 v[20:21], -v[2:3], v[12:13], 1.0
	v_fma_f64 v[12:13], v[12:13], v[20:21], v[12:13]
	v_fma_f64 v[20:21], -v[2:3], v[12:13], 1.0
	v_fma_f64 v[12:13], v[12:13], v[20:21], v[12:13]
	v_mul_f64 v[20:21], v[22:23], v[12:13]
	v_fma_f64 v[2:3], -v[2:3], v[20:21], v[22:23]
	v_div_fmas_f64 v[2:3], v[2:3], v[12:13], v[20:21]
	v_div_fixup_f64 v[0:1], v[2:3], v[0:1], 1.0
	v_mul_f64 v[2:3], v[10:11], -v[0:1]
.LBB122_747:
	s_or_b64 exec, exec, s[18:19]
.LBB122_748:
	s_or_b64 exec, exec, s[4:5]
	v_cmp_ne_u32_e32 vcc, v19, v4
	s_and_saveexec_b64 s[4:5], vcc
	s_xor_b64 s[4:5], exec, s[4:5]
	s_cbranch_execz .LBB122_754
; %bb.749:
	v_cmp_eq_u32_e32 vcc, 30, v19
	s_and_saveexec_b64 s[18:19], vcc
	s_cbranch_execz .LBB122_753
; %bb.750:
	v_cmp_ne_u32_e32 vcc, 30, v4
	s_xor_b64 s[16:17], s[22:23], -1
	s_and_b64 s[16:17], s[16:17], vcc
	s_and_saveexec_b64 s[24:25], s[16:17]
	s_cbranch_execz .LBB122_752
; %bb.751:
	v_ashrrev_i32_e32 v5, 31, v4
	v_lshlrev_b64 v[10:11], 2, v[4:5]
	v_add_co_u32_e32 v10, vcc, v8, v10
	v_addc_co_u32_e32 v11, vcc, v9, v11, vcc
	global_load_dword v5, v[10:11], off
	global_load_dword v12, v[8:9], off offset:120
	s_waitcnt vmcnt(1)
	global_store_dword v[8:9], v5, off offset:120
	s_waitcnt vmcnt(1)
	global_store_dword v[10:11], v12, off
.LBB122_752:
	s_or_b64 exec, exec, s[24:25]
	v_mov_b32_e32 v19, v4
	v_mov_b32_e32 v18, v4
.LBB122_753:
	s_or_b64 exec, exec, s[18:19]
.LBB122_754:
	s_andn2_saveexec_b64 s[4:5], s[4:5]
	s_cbranch_execz .LBB122_756
; %bb.755:
	v_mov_b32_e32 v11, s56
	buffer_load_dword v4, v11, s[0:3], 0 offen
	buffer_load_dword v5, v11, s[0:3], 0 offen offset:4
	buffer_load_dword v10, v11, s[0:3], 0 offen offset:8
	s_nop 0
	buffer_load_dword v11, v11, s[0:3], 0 offen offset:12
	v_mov_b32_e32 v19, 30
	s_waitcnt vmcnt(0)
	ds_write2_b64 v16, v[4:5], v[10:11] offset0:62 offset1:63
	v_mov_b32_e32 v11, s55
	buffer_load_dword v4, v11, s[0:3], 0 offen
	buffer_load_dword v5, v11, s[0:3], 0 offen offset:4
	buffer_load_dword v10, v11, s[0:3], 0 offen offset:8
	s_nop 0
	buffer_load_dword v11, v11, s[0:3], 0 offen offset:12
	s_waitcnt vmcnt(0)
	ds_write2_b64 v16, v[4:5], v[10:11] offset0:64 offset1:65
	v_mov_b32_e32 v11, s54
	buffer_load_dword v4, v11, s[0:3], 0 offen
	buffer_load_dword v5, v11, s[0:3], 0 offen offset:4
	buffer_load_dword v10, v11, s[0:3], 0 offen offset:8
	s_nop 0
	buffer_load_dword v11, v11, s[0:3], 0 offen offset:12
	;; [unrolled: 8-line block ×30, first 2 shown]
	s_waitcnt vmcnt(0)
	ds_write2_b64 v16, v[4:5], v[10:11] offset0:122 offset1:123
.LBB122_756:
	s_or_b64 exec, exec, s[4:5]
	v_cmp_lt_i32_e32 vcc, 30, v19
	s_waitcnt vmcnt(0) lgkmcnt(0)
	s_barrier
	s_and_saveexec_b64 s[4:5], vcc
	s_cbranch_execz .LBB122_761
; %bb.757:
	buffer_load_dword v4, off, s[0:3], 0 offset:488
	buffer_load_dword v5, off, s[0:3], 0 offset:492
	;; [unrolled: 1-line block ×4, first 2 shown]
	s_mov_b32 s16, 0
	s_waitcnt vmcnt(2)
	v_mul_f64 v[12:13], v[2:3], v[4:5]
	v_mul_f64 v[4:5], v[0:1], v[4:5]
	s_waitcnt vmcnt(0)
	v_fma_f64 v[0:1], v[0:1], v[10:11], -v[12:13]
	v_fma_f64 v[2:3], v[2:3], v[10:11], v[4:5]
	v_add_u32_e32 v4, 0x1f0, v16
	buffer_store_dword v0, off, s[0:3], 0 offset:480
	buffer_store_dword v1, off, s[0:3], 0 offset:484
	;; [unrolled: 1-line block ×4, first 2 shown]
	s_branch .LBB122_759
.LBB122_758:                            ;   in Loop: Header=BB122_759 Depth=1
	s_andn2_b64 vcc, exec, s[18:19]
	s_cbranch_vccz .LBB122_761
.LBB122_759:                            ; =>This Inner Loop Header: Depth=1
	v_mov_b32_e32 v52, s16
	buffer_load_dword v28, v52, s[0:3], 0 offen offset:496
	buffer_load_dword v29, v52, s[0:3], 0 offen offset:500
	;; [unrolled: 1-line block ×12, first 2 shown]
	v_add_u32_e32 v5, s16, v4
	ds_read2_b64 v[10:13], v5 offset1:1
	ds_read2_b64 v[20:23], v5 offset0:2 offset1:3
	ds_read2_b64 v[24:27], v5 offset0:4 offset1:5
	s_mov_b32 s17, s16
	s_cmpk_eq_i32 s16, 0x1c0
	s_waitcnt lgkmcnt(2)
	v_mul_f64 v[40:41], v[12:13], v[2:3]
	v_mul_f64 v[42:43], v[10:11], v[2:3]
	s_waitcnt lgkmcnt(1)
	v_mul_f64 v[44:45], v[22:23], v[2:3]
	v_mul_f64 v[46:47], v[20:21], v[2:3]
	;; [unrolled: 3-line block ×3, first 2 shown]
	s_mov_b64 s[18:19], -1
	v_fma_f64 v[10:11], v[10:11], v[0:1], -v[40:41]
	v_fma_f64 v[12:13], v[12:13], v[0:1], v[42:43]
	v_fma_f64 v[20:21], v[20:21], v[0:1], -v[44:45]
	v_fma_f64 v[22:23], v[22:23], v[0:1], v[46:47]
	;; [unrolled: 2-line block ×3, first 2 shown]
	s_waitcnt vmcnt(10)
	v_add_f64 v[10:11], v[28:29], -v[10:11]
	s_waitcnt vmcnt(8)
	v_add_f64 v[12:13], v[30:31], -v[12:13]
	;; [unrolled: 2-line block ×6, first 2 shown]
	buffer_store_dword v10, v52, s[0:3], 0 offen offset:496
	buffer_store_dword v11, v52, s[0:3], 0 offen offset:500
	;; [unrolled: 1-line block ×12, first 2 shown]
	s_cbranch_scc1 .LBB122_758
; %bb.760:                              ;   in Loop: Header=BB122_759 Depth=1
	v_mov_b32_e32 v28, s17
	buffer_load_dword v20, v28, s[0:3], 0 offen offset:544
	buffer_load_dword v21, v28, s[0:3], 0 offen offset:548
	;; [unrolled: 1-line block ×4, first 2 shown]
	ds_read2_b64 v[10:13], v5 offset0:6 offset1:7
	s_add_i32 s16, s16, 64
	s_mov_b64 s[18:19], 0
	s_waitcnt lgkmcnt(0)
	v_mul_f64 v[24:25], v[12:13], v[2:3]
	v_mul_f64 v[26:27], v[10:11], v[2:3]
	v_fma_f64 v[10:11], v[10:11], v[0:1], -v[24:25]
	v_fma_f64 v[12:13], v[12:13], v[0:1], v[26:27]
	s_waitcnt vmcnt(2)
	v_add_f64 v[10:11], v[20:21], -v[10:11]
	s_waitcnt vmcnt(0)
	v_add_f64 v[12:13], v[22:23], -v[12:13]
	buffer_store_dword v10, v28, s[0:3], 0 offen offset:544
	buffer_store_dword v11, v28, s[0:3], 0 offen offset:548
	;; [unrolled: 1-line block ×4, first 2 shown]
	s_branch .LBB122_758
.LBB122_761:
	s_or_b64 exec, exec, s[4:5]
	v_mov_b32_e32 v3, s56
	s_waitcnt vmcnt(0)
	s_barrier
	buffer_load_dword v0, v3, s[0:3], 0 offen
	buffer_load_dword v1, v3, s[0:3], 0 offen offset:4
	buffer_load_dword v2, v3, s[0:3], 0 offen offset:8
	s_nop 0
	buffer_load_dword v3, v3, s[0:3], 0 offen offset:12
	v_lshl_add_u32 v4, v19, 4, v16
	s_cmp_lt_i32 s65, 33
	s_waitcnt vmcnt(0)
	ds_write2_b64 v4, v[0:1], v[2:3] offset1:1
	s_waitcnt lgkmcnt(0)
	s_barrier
	ds_read2_b64 v[0:3], v16 offset0:62 offset1:63
	v_mov_b32_e32 v4, 31
	s_cbranch_scc1 .LBB122_764
; %bb.762:
	v_add_u32_e32 v5, 0x200, v16
	s_mov_b32 s16, 32
	v_mov_b32_e32 v4, 31
.LBB122_763:                            ; =>This Inner Loop Header: Depth=1
	s_waitcnt lgkmcnt(0)
	v_cmp_gt_f64_e32 vcc, 0, v[2:3]
	v_cmp_gt_f64_e64 s[4:5], 0, v[0:1]
	ds_read2_b64 v[10:13], v5 offset1:1
	v_xor_b32_e32 v21, 0x80000000, v1
	v_xor_b32_e32 v23, 0x80000000, v3
	v_mov_b32_e32 v20, v0
	v_mov_b32_e32 v22, v2
	s_waitcnt lgkmcnt(0)
	v_xor_b32_e32 v25, 0x80000000, v13
	v_cndmask_b32_e32 v23, v3, v23, vcc
	v_cndmask_b32_e64 v21, v1, v21, s[4:5]
	v_cmp_gt_f64_e32 vcc, 0, v[12:13]
	v_cmp_gt_f64_e64 s[4:5], 0, v[10:11]
	v_add_f64 v[20:21], v[20:21], v[22:23]
	v_xor_b32_e32 v23, 0x80000000, v11
	v_mov_b32_e32 v22, v10
	v_mov_b32_e32 v24, v12
	v_add_u32_e32 v5, 16, v5
	v_cndmask_b32_e32 v25, v13, v25, vcc
	v_cndmask_b32_e64 v23, v11, v23, s[4:5]
	v_add_f64 v[22:23], v[22:23], v[24:25]
	v_mov_b32_e32 v24, s16
	s_add_i32 s16, s16, 1
	s_cmp_lg_u32 s65, s16
	v_cmp_lt_f64_e32 vcc, v[20:21], v[22:23]
	v_cndmask_b32_e32 v1, v1, v11, vcc
	v_cndmask_b32_e32 v0, v0, v10, vcc
	;; [unrolled: 1-line block ×5, first 2 shown]
	s_cbranch_scc1 .LBB122_763
.LBB122_764:
	s_waitcnt lgkmcnt(0)
	v_cmp_eq_f64_e32 vcc, 0, v[0:1]
	v_cmp_eq_f64_e64 s[4:5], 0, v[2:3]
	s_and_b64 s[4:5], vcc, s[4:5]
	s_and_saveexec_b64 s[16:17], s[4:5]
	s_xor_b64 s[4:5], exec, s[16:17]
; %bb.765:
	v_cmp_ne_u32_e32 vcc, 0, v17
	v_cndmask_b32_e32 v17, 32, v17, vcc
; %bb.766:
	s_andn2_saveexec_b64 s[4:5], s[4:5]
	s_cbranch_execz .LBB122_772
; %bb.767:
	v_cmp_ngt_f64_e64 s[16:17], |v[0:1]|, |v[2:3]|
	s_and_saveexec_b64 s[18:19], s[16:17]
	s_xor_b64 s[18:19], exec, s[18:19]
	s_cbranch_execz .LBB122_769
; %bb.768:
	v_div_scale_f64 v[10:11], s[16:17], v[2:3], v[2:3], v[0:1]
	v_rcp_f64_e32 v[12:13], v[10:11]
	v_fma_f64 v[20:21], -v[10:11], v[12:13], 1.0
	v_fma_f64 v[12:13], v[12:13], v[20:21], v[12:13]
	v_div_scale_f64 v[20:21], vcc, v[0:1], v[2:3], v[0:1]
	v_fma_f64 v[22:23], -v[10:11], v[12:13], 1.0
	v_fma_f64 v[12:13], v[12:13], v[22:23], v[12:13]
	v_mul_f64 v[22:23], v[20:21], v[12:13]
	v_fma_f64 v[10:11], -v[10:11], v[22:23], v[20:21]
	v_div_fmas_f64 v[10:11], v[10:11], v[12:13], v[22:23]
	v_div_fixup_f64 v[10:11], v[10:11], v[2:3], v[0:1]
	v_fma_f64 v[0:1], v[0:1], v[10:11], v[2:3]
	v_div_scale_f64 v[2:3], s[16:17], v[0:1], v[0:1], 1.0
	v_div_scale_f64 v[22:23], vcc, 1.0, v[0:1], 1.0
	v_rcp_f64_e32 v[12:13], v[2:3]
	v_fma_f64 v[20:21], -v[2:3], v[12:13], 1.0
	v_fma_f64 v[12:13], v[12:13], v[20:21], v[12:13]
	v_fma_f64 v[20:21], -v[2:3], v[12:13], 1.0
	v_fma_f64 v[12:13], v[12:13], v[20:21], v[12:13]
	v_mul_f64 v[20:21], v[22:23], v[12:13]
	v_fma_f64 v[2:3], -v[2:3], v[20:21], v[22:23]
	v_div_fmas_f64 v[2:3], v[2:3], v[12:13], v[20:21]
	v_div_fixup_f64 v[2:3], v[2:3], v[0:1], 1.0
	v_mul_f64 v[0:1], v[10:11], v[2:3]
	v_xor_b32_e32 v3, 0x80000000, v3
.LBB122_769:
	s_andn2_saveexec_b64 s[18:19], s[18:19]
	s_cbranch_execz .LBB122_771
; %bb.770:
	v_div_scale_f64 v[10:11], s[16:17], v[0:1], v[0:1], v[2:3]
	v_rcp_f64_e32 v[12:13], v[10:11]
	v_fma_f64 v[20:21], -v[10:11], v[12:13], 1.0
	v_fma_f64 v[12:13], v[12:13], v[20:21], v[12:13]
	v_div_scale_f64 v[20:21], vcc, v[2:3], v[0:1], v[2:3]
	v_fma_f64 v[22:23], -v[10:11], v[12:13], 1.0
	v_fma_f64 v[12:13], v[12:13], v[22:23], v[12:13]
	v_mul_f64 v[22:23], v[20:21], v[12:13]
	v_fma_f64 v[10:11], -v[10:11], v[22:23], v[20:21]
	v_div_fmas_f64 v[10:11], v[10:11], v[12:13], v[22:23]
	v_div_fixup_f64 v[10:11], v[10:11], v[0:1], v[2:3]
	v_fma_f64 v[0:1], v[2:3], v[10:11], v[0:1]
	v_div_scale_f64 v[2:3], s[16:17], v[0:1], v[0:1], 1.0
	v_div_scale_f64 v[22:23], vcc, 1.0, v[0:1], 1.0
	v_rcp_f64_e32 v[12:13], v[2:3]
	v_fma_f64 v[20:21], -v[2:3], v[12:13], 1.0
	v_fma_f64 v[12:13], v[12:13], v[20:21], v[12:13]
	v_fma_f64 v[20:21], -v[2:3], v[12:13], 1.0
	v_fma_f64 v[12:13], v[12:13], v[20:21], v[12:13]
	v_mul_f64 v[20:21], v[22:23], v[12:13]
	v_fma_f64 v[2:3], -v[2:3], v[20:21], v[22:23]
	v_div_fmas_f64 v[2:3], v[2:3], v[12:13], v[20:21]
	v_div_fixup_f64 v[0:1], v[2:3], v[0:1], 1.0
	v_mul_f64 v[2:3], v[10:11], -v[0:1]
.LBB122_771:
	s_or_b64 exec, exec, s[18:19]
.LBB122_772:
	s_or_b64 exec, exec, s[4:5]
	v_cmp_ne_u32_e32 vcc, v19, v4
	s_and_saveexec_b64 s[4:5], vcc
	s_xor_b64 s[4:5], exec, s[4:5]
	s_cbranch_execz .LBB122_778
; %bb.773:
	v_cmp_eq_u32_e32 vcc, 31, v19
	s_and_saveexec_b64 s[18:19], vcc
	s_cbranch_execz .LBB122_777
; %bb.774:
	v_cmp_ne_u32_e32 vcc, 31, v4
	s_xor_b64 s[16:17], s[22:23], -1
	s_and_b64 s[16:17], s[16:17], vcc
	s_and_saveexec_b64 s[24:25], s[16:17]
	s_cbranch_execz .LBB122_776
; %bb.775:
	v_ashrrev_i32_e32 v5, 31, v4
	v_lshlrev_b64 v[10:11], 2, v[4:5]
	v_add_co_u32_e32 v10, vcc, v8, v10
	v_addc_co_u32_e32 v11, vcc, v9, v11, vcc
	global_load_dword v5, v[10:11], off
	global_load_dword v12, v[8:9], off offset:124
	s_waitcnt vmcnt(1)
	global_store_dword v[8:9], v5, off offset:124
	s_waitcnt vmcnt(1)
	global_store_dword v[10:11], v12, off
.LBB122_776:
	s_or_b64 exec, exec, s[24:25]
	v_mov_b32_e32 v19, v4
	v_mov_b32_e32 v18, v4
.LBB122_777:
	s_or_b64 exec, exec, s[18:19]
.LBB122_778:
	s_andn2_saveexec_b64 s[4:5], s[4:5]
	s_cbranch_execz .LBB122_780
; %bb.779:
	v_mov_b32_e32 v11, s55
	buffer_load_dword v4, v11, s[0:3], 0 offen
	buffer_load_dword v5, v11, s[0:3], 0 offen offset:4
	buffer_load_dword v10, v11, s[0:3], 0 offen offset:8
	s_nop 0
	buffer_load_dword v11, v11, s[0:3], 0 offen offset:12
	v_mov_b32_e32 v19, 31
	s_waitcnt vmcnt(0)
	ds_write2_b64 v16, v[4:5], v[10:11] offset0:64 offset1:65
	v_mov_b32_e32 v11, s54
	buffer_load_dword v4, v11, s[0:3], 0 offen
	buffer_load_dword v5, v11, s[0:3], 0 offen offset:4
	buffer_load_dword v10, v11, s[0:3], 0 offen offset:8
	s_nop 0
	buffer_load_dword v11, v11, s[0:3], 0 offen offset:12
	s_waitcnt vmcnt(0)
	ds_write2_b64 v16, v[4:5], v[10:11] offset0:66 offset1:67
	v_mov_b32_e32 v11, s53
	buffer_load_dword v4, v11, s[0:3], 0 offen
	buffer_load_dword v5, v11, s[0:3], 0 offen offset:4
	buffer_load_dword v10, v11, s[0:3], 0 offen offset:8
	s_nop 0
	buffer_load_dword v11, v11, s[0:3], 0 offen offset:12
	;; [unrolled: 8-line block ×29, first 2 shown]
	s_waitcnt vmcnt(0)
	ds_write2_b64 v16, v[4:5], v[10:11] offset0:122 offset1:123
.LBB122_780:
	s_or_b64 exec, exec, s[4:5]
	v_cmp_lt_i32_e32 vcc, 31, v19
	s_waitcnt vmcnt(0) lgkmcnt(0)
	s_barrier
	s_and_saveexec_b64 s[4:5], vcc
	s_cbranch_execz .LBB122_783
; %bb.781:
	buffer_load_dword v4, off, s[0:3], 0 offset:504
	buffer_load_dword v5, off, s[0:3], 0 offset:508
	;; [unrolled: 1-line block ×4, first 2 shown]
	s_mov_b32 s18, 0
	s_waitcnt vmcnt(2)
	v_mul_f64 v[12:13], v[2:3], v[4:5]
	v_mul_f64 v[4:5], v[0:1], v[4:5]
	s_waitcnt vmcnt(0)
	v_fma_f64 v[0:1], v[0:1], v[10:11], -v[12:13]
	v_fma_f64 v[2:3], v[2:3], v[10:11], v[4:5]
	v_add_u32_e32 v4, 0x200, v16
	buffer_store_dword v0, off, s[0:3], 0 offset:496
	buffer_store_dword v1, off, s[0:3], 0 offset:500
	;; [unrolled: 1-line block ×4, first 2 shown]
.LBB122_782:                            ; =>This Inner Loop Header: Depth=1
	v_add_u32_e32 v5, s18, v4
	ds_read2_b64 v[10:13], v5 offset1:1
	v_mov_b32_e32 v36, s18
	s_addk_i32 s18, 0x60
	s_cmpk_lg_i32 s18, 0x1e0
	s_waitcnt lgkmcnt(0)
	v_mul_f64 v[20:21], v[12:13], v[2:3]
	v_fma_f64 v[20:21], v[10:11], v[0:1], -v[20:21]
	v_mul_f64 v[10:11], v[10:11], v[2:3]
	v_fma_f64 v[10:11], v[12:13], v[0:1], v[10:11]
	buffer_load_dword v12, v36, s[0:3], 0 offen offset:512
	buffer_load_dword v13, v36, s[0:3], 0 offen offset:516
	;; [unrolled: 1-line block ×16, first 2 shown]
	s_waitcnt vmcnt(14)
	v_add_f64 v[12:13], v[12:13], -v[20:21]
	s_waitcnt vmcnt(12)
	v_add_f64 v[10:11], v[22:23], -v[10:11]
	buffer_store_dword v12, v36, s[0:3], 0 offen offset:512
	buffer_store_dword v13, v36, s[0:3], 0 offen offset:516
	buffer_store_dword v10, v36, s[0:3], 0 offen offset:520
	buffer_store_dword v11, v36, s[0:3], 0 offen offset:524
	ds_read2_b64 v[10:13], v5 offset0:2 offset1:3
	s_waitcnt lgkmcnt(0)
	v_mul_f64 v[20:21], v[12:13], v[2:3]
	v_fma_f64 v[20:21], v[10:11], v[0:1], -v[20:21]
	v_mul_f64 v[10:11], v[10:11], v[2:3]
	v_fma_f64 v[10:11], v[12:13], v[0:1], v[10:11]
	s_waitcnt vmcnt(14)
	v_add_f64 v[12:13], v[24:25], -v[20:21]
	s_waitcnt vmcnt(12)
	v_add_f64 v[10:11], v[26:27], -v[10:11]
	buffer_store_dword v12, v36, s[0:3], 0 offen offset:528
	buffer_store_dword v13, v36, s[0:3], 0 offen offset:532
	buffer_store_dword v10, v36, s[0:3], 0 offen offset:536
	buffer_store_dword v11, v36, s[0:3], 0 offen offset:540
	ds_read2_b64 v[10:13], v5 offset0:4 offset1:5
	s_waitcnt lgkmcnt(0)
	v_mul_f64 v[20:21], v[12:13], v[2:3]
	v_fma_f64 v[20:21], v[10:11], v[0:1], -v[20:21]
	v_mul_f64 v[10:11], v[10:11], v[2:3]
	v_fma_f64 v[10:11], v[12:13], v[0:1], v[10:11]
	;; [unrolled: 14-line block ×4, first 2 shown]
	buffer_load_dword v12, v36, s[0:3], 0 offen offset:576
	buffer_load_dword v13, v36, s[0:3], 0 offen offset:580
	;; [unrolled: 1-line block ×4, first 2 shown]
	s_waitcnt vmcnt(2)
	v_add_f64 v[12:13], v[12:13], -v[20:21]
	s_waitcnt vmcnt(0)
	v_add_f64 v[10:11], v[22:23], -v[10:11]
	buffer_store_dword v13, v36, s[0:3], 0 offen offset:580
	buffer_store_dword v12, v36, s[0:3], 0 offen offset:576
	;; [unrolled: 1-line block ×4, first 2 shown]
	ds_read2_b64 v[10:13], v5 offset0:10 offset1:11
	s_waitcnt lgkmcnt(0)
	v_mul_f64 v[20:21], v[12:13], v[2:3]
	v_fma_f64 v[20:21], v[10:11], v[0:1], -v[20:21]
	v_mul_f64 v[10:11], v[10:11], v[2:3]
	v_fma_f64 v[10:11], v[12:13], v[0:1], v[10:11]
	buffer_load_dword v12, v36, s[0:3], 0 offen offset:592
	buffer_load_dword v13, v36, s[0:3], 0 offen offset:596
	;; [unrolled: 1-line block ×4, first 2 shown]
	s_waitcnt vmcnt(2)
	v_add_f64 v[12:13], v[12:13], -v[20:21]
	s_waitcnt vmcnt(0)
	v_add_f64 v[10:11], v[22:23], -v[10:11]
	buffer_store_dword v13, v36, s[0:3], 0 offen offset:596
	buffer_store_dword v12, v36, s[0:3], 0 offen offset:592
	;; [unrolled: 1-line block ×4, first 2 shown]
	s_cbranch_scc1 .LBB122_782
.LBB122_783:
	s_or_b64 exec, exec, s[4:5]
	v_mov_b32_e32 v3, s55
	s_waitcnt vmcnt(0)
	s_barrier
	buffer_load_dword v0, v3, s[0:3], 0 offen
	buffer_load_dword v1, v3, s[0:3], 0 offen offset:4
	buffer_load_dword v2, v3, s[0:3], 0 offen offset:8
	s_nop 0
	buffer_load_dword v3, v3, s[0:3], 0 offen offset:12
	v_lshl_add_u32 v4, v19, 4, v16
	s_cmp_lt_i32 s65, 34
	s_waitcnt vmcnt(0)
	ds_write2_b64 v4, v[0:1], v[2:3] offset1:1
	s_waitcnt lgkmcnt(0)
	s_barrier
	ds_read2_b64 v[0:3], v16 offset0:64 offset1:65
	v_mov_b32_e32 v4, 32
	s_cbranch_scc1 .LBB122_786
; %bb.784:
	v_add_u32_e32 v5, 0x210, v16
	s_mov_b32 s16, 33
	v_mov_b32_e32 v4, 32
.LBB122_785:                            ; =>This Inner Loop Header: Depth=1
	s_waitcnt lgkmcnt(0)
	v_cmp_gt_f64_e32 vcc, 0, v[2:3]
	v_cmp_gt_f64_e64 s[4:5], 0, v[0:1]
	ds_read2_b64 v[10:13], v5 offset1:1
	v_xor_b32_e32 v21, 0x80000000, v1
	v_xor_b32_e32 v23, 0x80000000, v3
	v_mov_b32_e32 v20, v0
	v_mov_b32_e32 v22, v2
	s_waitcnt lgkmcnt(0)
	v_xor_b32_e32 v25, 0x80000000, v13
	v_cndmask_b32_e32 v23, v3, v23, vcc
	v_cndmask_b32_e64 v21, v1, v21, s[4:5]
	v_cmp_gt_f64_e32 vcc, 0, v[12:13]
	v_cmp_gt_f64_e64 s[4:5], 0, v[10:11]
	v_add_f64 v[20:21], v[20:21], v[22:23]
	v_xor_b32_e32 v23, 0x80000000, v11
	v_mov_b32_e32 v22, v10
	v_mov_b32_e32 v24, v12
	v_add_u32_e32 v5, 16, v5
	v_cndmask_b32_e32 v25, v13, v25, vcc
	v_cndmask_b32_e64 v23, v11, v23, s[4:5]
	v_add_f64 v[22:23], v[22:23], v[24:25]
	v_mov_b32_e32 v24, s16
	s_add_i32 s16, s16, 1
	s_cmp_lg_u32 s65, s16
	v_cmp_lt_f64_e32 vcc, v[20:21], v[22:23]
	v_cndmask_b32_e32 v1, v1, v11, vcc
	v_cndmask_b32_e32 v0, v0, v10, vcc
	;; [unrolled: 1-line block ×5, first 2 shown]
	s_cbranch_scc1 .LBB122_785
.LBB122_786:
	s_waitcnt lgkmcnt(0)
	v_cmp_eq_f64_e32 vcc, 0, v[0:1]
	v_cmp_eq_f64_e64 s[4:5], 0, v[2:3]
	s_and_b64 s[4:5], vcc, s[4:5]
	s_and_saveexec_b64 s[16:17], s[4:5]
	s_xor_b64 s[4:5], exec, s[16:17]
; %bb.787:
	v_cmp_ne_u32_e32 vcc, 0, v17
	v_cndmask_b32_e32 v17, 33, v17, vcc
; %bb.788:
	s_andn2_saveexec_b64 s[4:5], s[4:5]
	s_cbranch_execz .LBB122_794
; %bb.789:
	v_cmp_ngt_f64_e64 s[16:17], |v[0:1]|, |v[2:3]|
	s_and_saveexec_b64 s[18:19], s[16:17]
	s_xor_b64 s[18:19], exec, s[18:19]
	s_cbranch_execz .LBB122_791
; %bb.790:
	v_div_scale_f64 v[10:11], s[16:17], v[2:3], v[2:3], v[0:1]
	v_rcp_f64_e32 v[12:13], v[10:11]
	v_fma_f64 v[20:21], -v[10:11], v[12:13], 1.0
	v_fma_f64 v[12:13], v[12:13], v[20:21], v[12:13]
	v_div_scale_f64 v[20:21], vcc, v[0:1], v[2:3], v[0:1]
	v_fma_f64 v[22:23], -v[10:11], v[12:13], 1.0
	v_fma_f64 v[12:13], v[12:13], v[22:23], v[12:13]
	v_mul_f64 v[22:23], v[20:21], v[12:13]
	v_fma_f64 v[10:11], -v[10:11], v[22:23], v[20:21]
	v_div_fmas_f64 v[10:11], v[10:11], v[12:13], v[22:23]
	v_div_fixup_f64 v[10:11], v[10:11], v[2:3], v[0:1]
	v_fma_f64 v[0:1], v[0:1], v[10:11], v[2:3]
	v_div_scale_f64 v[2:3], s[16:17], v[0:1], v[0:1], 1.0
	v_div_scale_f64 v[22:23], vcc, 1.0, v[0:1], 1.0
	v_rcp_f64_e32 v[12:13], v[2:3]
	v_fma_f64 v[20:21], -v[2:3], v[12:13], 1.0
	v_fma_f64 v[12:13], v[12:13], v[20:21], v[12:13]
	v_fma_f64 v[20:21], -v[2:3], v[12:13], 1.0
	v_fma_f64 v[12:13], v[12:13], v[20:21], v[12:13]
	v_mul_f64 v[20:21], v[22:23], v[12:13]
	v_fma_f64 v[2:3], -v[2:3], v[20:21], v[22:23]
	v_div_fmas_f64 v[2:3], v[2:3], v[12:13], v[20:21]
	v_div_fixup_f64 v[2:3], v[2:3], v[0:1], 1.0
	v_mul_f64 v[0:1], v[10:11], v[2:3]
	v_xor_b32_e32 v3, 0x80000000, v3
.LBB122_791:
	s_andn2_saveexec_b64 s[18:19], s[18:19]
	s_cbranch_execz .LBB122_793
; %bb.792:
	v_div_scale_f64 v[10:11], s[16:17], v[0:1], v[0:1], v[2:3]
	v_rcp_f64_e32 v[12:13], v[10:11]
	v_fma_f64 v[20:21], -v[10:11], v[12:13], 1.0
	v_fma_f64 v[12:13], v[12:13], v[20:21], v[12:13]
	v_div_scale_f64 v[20:21], vcc, v[2:3], v[0:1], v[2:3]
	v_fma_f64 v[22:23], -v[10:11], v[12:13], 1.0
	v_fma_f64 v[12:13], v[12:13], v[22:23], v[12:13]
	v_mul_f64 v[22:23], v[20:21], v[12:13]
	v_fma_f64 v[10:11], -v[10:11], v[22:23], v[20:21]
	v_div_fmas_f64 v[10:11], v[10:11], v[12:13], v[22:23]
	v_div_fixup_f64 v[10:11], v[10:11], v[0:1], v[2:3]
	v_fma_f64 v[0:1], v[2:3], v[10:11], v[0:1]
	v_div_scale_f64 v[2:3], s[16:17], v[0:1], v[0:1], 1.0
	v_div_scale_f64 v[22:23], vcc, 1.0, v[0:1], 1.0
	v_rcp_f64_e32 v[12:13], v[2:3]
	v_fma_f64 v[20:21], -v[2:3], v[12:13], 1.0
	v_fma_f64 v[12:13], v[12:13], v[20:21], v[12:13]
	v_fma_f64 v[20:21], -v[2:3], v[12:13], 1.0
	v_fma_f64 v[12:13], v[12:13], v[20:21], v[12:13]
	v_mul_f64 v[20:21], v[22:23], v[12:13]
	v_fma_f64 v[2:3], -v[2:3], v[20:21], v[22:23]
	v_div_fmas_f64 v[2:3], v[2:3], v[12:13], v[20:21]
	v_div_fixup_f64 v[0:1], v[2:3], v[0:1], 1.0
	v_mul_f64 v[2:3], v[10:11], -v[0:1]
.LBB122_793:
	s_or_b64 exec, exec, s[18:19]
.LBB122_794:
	s_or_b64 exec, exec, s[4:5]
	v_cmp_ne_u32_e32 vcc, v19, v4
	s_and_saveexec_b64 s[4:5], vcc
	s_xor_b64 s[4:5], exec, s[4:5]
	s_cbranch_execz .LBB122_800
; %bb.795:
	v_cmp_eq_u32_e32 vcc, 32, v19
	s_and_saveexec_b64 s[18:19], vcc
	s_cbranch_execz .LBB122_799
; %bb.796:
	v_cmp_ne_u32_e32 vcc, 32, v4
	s_xor_b64 s[16:17], s[22:23], -1
	s_and_b64 s[16:17], s[16:17], vcc
	s_and_saveexec_b64 s[24:25], s[16:17]
	s_cbranch_execz .LBB122_798
; %bb.797:
	v_ashrrev_i32_e32 v5, 31, v4
	v_lshlrev_b64 v[10:11], 2, v[4:5]
	v_add_co_u32_e32 v10, vcc, v8, v10
	v_addc_co_u32_e32 v11, vcc, v9, v11, vcc
	global_load_dword v5, v[10:11], off
	global_load_dword v12, v[8:9], off offset:128
	s_waitcnt vmcnt(1)
	global_store_dword v[8:9], v5, off offset:128
	s_waitcnt vmcnt(1)
	global_store_dword v[10:11], v12, off
.LBB122_798:
	s_or_b64 exec, exec, s[24:25]
	v_mov_b32_e32 v19, v4
	v_mov_b32_e32 v18, v4
.LBB122_799:
	s_or_b64 exec, exec, s[18:19]
.LBB122_800:
	s_andn2_saveexec_b64 s[4:5], s[4:5]
	s_cbranch_execz .LBB122_802
; %bb.801:
	v_mov_b32_e32 v11, s54
	buffer_load_dword v4, v11, s[0:3], 0 offen
	buffer_load_dword v5, v11, s[0:3], 0 offen offset:4
	buffer_load_dword v10, v11, s[0:3], 0 offen offset:8
	s_nop 0
	buffer_load_dword v11, v11, s[0:3], 0 offen offset:12
	v_mov_b32_e32 v19, 32
	s_waitcnt vmcnt(0)
	ds_write2_b64 v16, v[4:5], v[10:11] offset0:66 offset1:67
	v_mov_b32_e32 v11, s53
	buffer_load_dword v4, v11, s[0:3], 0 offen
	buffer_load_dword v5, v11, s[0:3], 0 offen offset:4
	buffer_load_dword v10, v11, s[0:3], 0 offen offset:8
	s_nop 0
	buffer_load_dword v11, v11, s[0:3], 0 offen offset:12
	s_waitcnt vmcnt(0)
	ds_write2_b64 v16, v[4:5], v[10:11] offset0:68 offset1:69
	v_mov_b32_e32 v11, s52
	buffer_load_dword v4, v11, s[0:3], 0 offen
	buffer_load_dword v5, v11, s[0:3], 0 offen offset:4
	buffer_load_dword v10, v11, s[0:3], 0 offen offset:8
	s_nop 0
	buffer_load_dword v11, v11, s[0:3], 0 offen offset:12
	;; [unrolled: 8-line block ×28, first 2 shown]
	s_waitcnt vmcnt(0)
	ds_write2_b64 v16, v[4:5], v[10:11] offset0:122 offset1:123
.LBB122_802:
	s_or_b64 exec, exec, s[4:5]
	v_cmp_lt_i32_e32 vcc, 32, v19
	s_waitcnt vmcnt(0) lgkmcnt(0)
	s_barrier
	s_and_saveexec_b64 s[4:5], vcc
	s_cbranch_execz .LBB122_804
; %bb.803:
	buffer_load_dword v10, off, s[0:3], 0 offset:512
	buffer_load_dword v11, off, s[0:3], 0 offset:516
	;; [unrolled: 1-line block ×16, first 2 shown]
	s_waitcnt vmcnt(12)
	v_mul_f64 v[4:5], v[2:3], v[12:13]
	v_fma_f64 v[4:5], v[0:1], v[10:11], -v[4:5]
	v_mul_f64 v[0:1], v[0:1], v[12:13]
	v_fma_f64 v[10:11], v[2:3], v[10:11], v[0:1]
	buffer_store_dword v4, off, s[0:3], 0 offset:512
	buffer_store_dword v5, off, s[0:3], 0 offset:516
	buffer_store_dword v10, off, s[0:3], 0 offset:520
	buffer_store_dword v11, off, s[0:3], 0 offset:524
	ds_read2_b64 v[0:3], v16 offset0:66 offset1:67
	s_waitcnt lgkmcnt(0)
	v_mul_f64 v[12:13], v[2:3], v[10:11]
	v_fma_f64 v[12:13], v[0:1], v[4:5], -v[12:13]
	v_mul_f64 v[0:1], v[0:1], v[10:11]
	v_fma_f64 v[0:1], v[2:3], v[4:5], v[0:1]
	s_waitcnt vmcnt(14)
	v_add_f64 v[2:3], v[20:21], -v[12:13]
	s_waitcnt vmcnt(12)
	v_add_f64 v[0:1], v[22:23], -v[0:1]
	buffer_store_dword v2, off, s[0:3], 0 offset:528
	buffer_store_dword v3, off, s[0:3], 0 offset:532
	buffer_store_dword v0, off, s[0:3], 0 offset:536
	buffer_store_dword v1, off, s[0:3], 0 offset:540
	ds_read2_b64 v[0:3], v16 offset0:68 offset1:69
	s_waitcnt lgkmcnt(0)
	v_mul_f64 v[12:13], v[2:3], v[10:11]
	v_fma_f64 v[12:13], v[0:1], v[4:5], -v[12:13]
	v_mul_f64 v[0:1], v[0:1], v[10:11]
	v_fma_f64 v[0:1], v[2:3], v[4:5], v[0:1]
	s_waitcnt vmcnt(14)
	v_add_f64 v[2:3], v[24:25], -v[12:13]
	s_waitcnt vmcnt(12)
	v_add_f64 v[0:1], v[26:27], -v[0:1]
	;; [unrolled: 14-line block ×3, first 2 shown]
	buffer_store_dword v3, off, s[0:3], 0 offset:564
	buffer_store_dword v2, off, s[0:3], 0 offset:560
	buffer_store_dword v0, off, s[0:3], 0 offset:568
	buffer_store_dword v1, off, s[0:3], 0 offset:572
	ds_read2_b64 v[0:3], v16 offset0:72 offset1:73
	s_waitcnt lgkmcnt(0)
	v_mul_f64 v[12:13], v[2:3], v[10:11]
	v_fma_f64 v[12:13], v[0:1], v[4:5], -v[12:13]
	v_mul_f64 v[0:1], v[0:1], v[10:11]
	v_fma_f64 v[0:1], v[2:3], v[4:5], v[0:1]
	buffer_load_dword v2, off, s[0:3], 0 offset:576
	buffer_load_dword v3, off, s[0:3], 0 offset:580
	buffer_load_dword v20, off, s[0:3], 0 offset:584
	buffer_load_dword v21, off, s[0:3], 0 offset:588
	s_waitcnt vmcnt(2)
	v_add_f64 v[2:3], v[2:3], -v[12:13]
	s_waitcnt vmcnt(0)
	v_add_f64 v[0:1], v[20:21], -v[0:1]
	buffer_store_dword v3, off, s[0:3], 0 offset:580
	buffer_store_dword v2, off, s[0:3], 0 offset:576
	buffer_store_dword v1, off, s[0:3], 0 offset:588
	buffer_store_dword v0, off, s[0:3], 0 offset:584
	ds_read2_b64 v[0:3], v16 offset0:74 offset1:75
	s_waitcnt lgkmcnt(0)
	v_mul_f64 v[12:13], v[2:3], v[10:11]
	v_fma_f64 v[12:13], v[0:1], v[4:5], -v[12:13]
	v_mul_f64 v[0:1], v[0:1], v[10:11]
	v_fma_f64 v[0:1], v[2:3], v[4:5], v[0:1]
	buffer_load_dword v2, off, s[0:3], 0 offset:592
	buffer_load_dword v3, off, s[0:3], 0 offset:596
	buffer_load_dword v20, off, s[0:3], 0 offset:600
	buffer_load_dword v21, off, s[0:3], 0 offset:604
	s_waitcnt vmcnt(2)
	v_add_f64 v[2:3], v[2:3], -v[12:13]
	s_waitcnt vmcnt(0)
	v_add_f64 v[0:1], v[20:21], -v[0:1]
	;; [unrolled: 18-line block ×3, first 2 shown]
	buffer_store_dword v3, off, s[0:3], 0 offset:612
	buffer_store_dword v2, off, s[0:3], 0 offset:608
	;; [unrolled: 1-line block ×4, first 2 shown]
	ds_read2_b64 v[2:5], v16 offset0:78 offset1:79
	buffer_load_dword v0, off, s[0:3], 0 offset:512
	buffer_load_dword v1, off, s[0:3], 0 offset:516
	;; [unrolled: 1-line block ×4, first 2 shown]
	s_waitcnt vmcnt(0) lgkmcnt(0)
	v_mul_f64 v[12:13], v[4:5], v[10:11]
	v_fma_f64 v[12:13], v[2:3], v[0:1], -v[12:13]
	v_mul_f64 v[2:3], v[2:3], v[10:11]
	v_fma_f64 v[2:3], v[4:5], v[0:1], v[2:3]
	buffer_load_dword v5, off, s[0:3], 0 offset:628
	buffer_load_dword v4, off, s[0:3], 0 offset:624
	s_waitcnt vmcnt(0)
	v_add_f64 v[4:5], v[4:5], -v[12:13]
	buffer_load_dword v13, off, s[0:3], 0 offset:636
	buffer_load_dword v12, off, s[0:3], 0 offset:632
	s_waitcnt vmcnt(0)
	v_add_f64 v[2:3], v[12:13], -v[2:3]
	buffer_store_dword v5, off, s[0:3], 0 offset:628
	buffer_store_dword v4, off, s[0:3], 0 offset:624
	buffer_store_dword v3, off, s[0:3], 0 offset:636
	buffer_store_dword v2, off, s[0:3], 0 offset:632
	ds_read2_b64 v[2:5], v16 offset0:80 offset1:81
	s_waitcnt lgkmcnt(0)
	v_mul_f64 v[12:13], v[4:5], v[10:11]
	v_fma_f64 v[12:13], v[2:3], v[0:1], -v[12:13]
	v_mul_f64 v[2:3], v[2:3], v[10:11]
	v_fma_f64 v[2:3], v[4:5], v[0:1], v[2:3]
	buffer_load_dword v4, off, s[0:3], 0 offset:640
	buffer_load_dword v5, off, s[0:3], 0 offset:644
	buffer_load_dword v20, off, s[0:3], 0 offset:648
	buffer_load_dword v21, off, s[0:3], 0 offset:652
	s_waitcnt vmcnt(2)
	v_add_f64 v[4:5], v[4:5], -v[12:13]
	s_waitcnt vmcnt(0)
	v_add_f64 v[2:3], v[20:21], -v[2:3]
	buffer_store_dword v5, off, s[0:3], 0 offset:644
	buffer_store_dword v4, off, s[0:3], 0 offset:640
	buffer_store_dword v3, off, s[0:3], 0 offset:652
	buffer_store_dword v2, off, s[0:3], 0 offset:648
	ds_read2_b64 v[2:5], v16 offset0:82 offset1:83
	s_waitcnt lgkmcnt(0)
	v_mul_f64 v[12:13], v[4:5], v[10:11]
	v_fma_f64 v[12:13], v[2:3], v[0:1], -v[12:13]
	v_mul_f64 v[2:3], v[2:3], v[10:11]
	v_fma_f64 v[2:3], v[4:5], v[0:1], v[2:3]
	buffer_load_dword v4, off, s[0:3], 0 offset:656
	buffer_load_dword v5, off, s[0:3], 0 offset:660
	buffer_load_dword v20, off, s[0:3], 0 offset:664
	buffer_load_dword v21, off, s[0:3], 0 offset:668
	s_waitcnt vmcnt(2)
	v_add_f64 v[4:5], v[4:5], -v[12:13]
	s_waitcnt vmcnt(0)
	v_add_f64 v[2:3], v[20:21], -v[2:3]
	buffer_store_dword v5, off, s[0:3], 0 offset:660
	buffer_store_dword v4, off, s[0:3], 0 offset:656
	buffer_store_dword v3, off, s[0:3], 0 offset:668
	buffer_store_dword v2, off, s[0:3], 0 offset:664
	ds_read2_b64 v[2:5], v16 offset0:84 offset1:85
	s_waitcnt lgkmcnt(0)
	v_mul_f64 v[12:13], v[4:5], v[10:11]
	v_fma_f64 v[12:13], v[2:3], v[0:1], -v[12:13]
	v_mul_f64 v[2:3], v[2:3], v[10:11]
	v_fma_f64 v[2:3], v[4:5], v[0:1], v[2:3]
	buffer_load_dword v4, off, s[0:3], 0 offset:672
	buffer_load_dword v5, off, s[0:3], 0 offset:676
	buffer_load_dword v20, off, s[0:3], 0 offset:680
	buffer_load_dword v21, off, s[0:3], 0 offset:684
	s_waitcnt vmcnt(2)
	v_add_f64 v[4:5], v[4:5], -v[12:13]
	s_waitcnt vmcnt(0)
	v_add_f64 v[2:3], v[20:21], -v[2:3]
	buffer_store_dword v5, off, s[0:3], 0 offset:676
	buffer_store_dword v4, off, s[0:3], 0 offset:672
	buffer_store_dword v3, off, s[0:3], 0 offset:684
	buffer_store_dword v2, off, s[0:3], 0 offset:680
	ds_read2_b64 v[2:5], v16 offset0:86 offset1:87
	s_waitcnt lgkmcnt(0)
	v_mul_f64 v[12:13], v[4:5], v[10:11]
	v_fma_f64 v[12:13], v[2:3], v[0:1], -v[12:13]
	v_mul_f64 v[2:3], v[2:3], v[10:11]
	v_fma_f64 v[2:3], v[4:5], v[0:1], v[2:3]
	buffer_load_dword v4, off, s[0:3], 0 offset:688
	buffer_load_dword v5, off, s[0:3], 0 offset:692
	buffer_load_dword v20, off, s[0:3], 0 offset:696
	buffer_load_dword v21, off, s[0:3], 0 offset:700
	s_waitcnt vmcnt(2)
	v_add_f64 v[4:5], v[4:5], -v[12:13]
	s_waitcnt vmcnt(0)
	v_add_f64 v[2:3], v[20:21], -v[2:3]
	buffer_store_dword v5, off, s[0:3], 0 offset:692
	buffer_store_dword v4, off, s[0:3], 0 offset:688
	buffer_store_dword v3, off, s[0:3], 0 offset:700
	buffer_store_dword v2, off, s[0:3], 0 offset:696
	ds_read2_b64 v[2:5], v16 offset0:88 offset1:89
	s_waitcnt lgkmcnt(0)
	v_mul_f64 v[12:13], v[4:5], v[10:11]
	v_fma_f64 v[12:13], v[2:3], v[0:1], -v[12:13]
	v_mul_f64 v[2:3], v[2:3], v[10:11]
	v_fma_f64 v[0:1], v[4:5], v[0:1], v[2:3]
	buffer_load_dword v2, off, s[0:3], 0 offset:704
	buffer_load_dword v3, off, s[0:3], 0 offset:708
	buffer_load_dword v4, off, s[0:3], 0 offset:712
	buffer_load_dword v5, off, s[0:3], 0 offset:716
	s_waitcnt vmcnt(2)
	v_add_f64 v[2:3], v[2:3], -v[12:13]
	s_waitcnt vmcnt(0)
	v_add_f64 v[0:1], v[4:5], -v[0:1]
	buffer_store_dword v3, off, s[0:3], 0 offset:708
	buffer_store_dword v2, off, s[0:3], 0 offset:704
	;; [unrolled: 1-line block ×4, first 2 shown]
	ds_read2_b64 v[0:3], v16 offset0:90 offset1:91
	buffer_load_dword v4, off, s[0:3], 0 offset:512
	buffer_load_dword v5, off, s[0:3], 0 offset:516
	;; [unrolled: 1-line block ×4, first 2 shown]
	s_waitcnt vmcnt(0) lgkmcnt(0)
	v_mul_f64 v[12:13], v[2:3], v[10:11]
	v_fma_f64 v[12:13], v[0:1], v[4:5], -v[12:13]
	v_mul_f64 v[0:1], v[0:1], v[10:11]
	v_fma_f64 v[0:1], v[2:3], v[4:5], v[0:1]
	buffer_load_dword v3, off, s[0:3], 0 offset:724
	buffer_load_dword v2, off, s[0:3], 0 offset:720
	s_waitcnt vmcnt(0)
	v_add_f64 v[2:3], v[2:3], -v[12:13]
	buffer_load_dword v13, off, s[0:3], 0 offset:732
	buffer_load_dword v12, off, s[0:3], 0 offset:728
	s_waitcnt vmcnt(0)
	v_add_f64 v[0:1], v[12:13], -v[0:1]
	buffer_store_dword v3, off, s[0:3], 0 offset:724
	buffer_store_dword v2, off, s[0:3], 0 offset:720
	buffer_store_dword v1, off, s[0:3], 0 offset:732
	buffer_store_dword v0, off, s[0:3], 0 offset:728
	ds_read2_b64 v[0:3], v16 offset0:92 offset1:93
	s_waitcnt lgkmcnt(0)
	v_mul_f64 v[12:13], v[2:3], v[10:11]
	v_fma_f64 v[12:13], v[0:1], v[4:5], -v[12:13]
	v_mul_f64 v[0:1], v[0:1], v[10:11]
	v_fma_f64 v[0:1], v[2:3], v[4:5], v[0:1]
	buffer_load_dword v2, off, s[0:3], 0 offset:736
	buffer_load_dword v3, off, s[0:3], 0 offset:740
	buffer_load_dword v20, off, s[0:3], 0 offset:744
	buffer_load_dword v21, off, s[0:3], 0 offset:748
	s_waitcnt vmcnt(2)
	v_add_f64 v[2:3], v[2:3], -v[12:13]
	s_waitcnt vmcnt(0)
	v_add_f64 v[0:1], v[20:21], -v[0:1]
	buffer_store_dword v3, off, s[0:3], 0 offset:740
	buffer_store_dword v2, off, s[0:3], 0 offset:736
	buffer_store_dword v1, off, s[0:3], 0 offset:748
	buffer_store_dword v0, off, s[0:3], 0 offset:744
	ds_read2_b64 v[0:3], v16 offset0:94 offset1:95
	s_waitcnt lgkmcnt(0)
	v_mul_f64 v[12:13], v[2:3], v[10:11]
	v_fma_f64 v[12:13], v[0:1], v[4:5], -v[12:13]
	v_mul_f64 v[0:1], v[0:1], v[10:11]
	v_fma_f64 v[0:1], v[2:3], v[4:5], v[0:1]
	buffer_load_dword v2, off, s[0:3], 0 offset:752
	buffer_load_dword v3, off, s[0:3], 0 offset:756
	buffer_load_dword v20, off, s[0:3], 0 offset:760
	buffer_load_dword v21, off, s[0:3], 0 offset:764
	s_waitcnt vmcnt(2)
	v_add_f64 v[2:3], v[2:3], -v[12:13]
	;; [unrolled: 18-line block ×5, first 2 shown]
	s_waitcnt vmcnt(0)
	v_add_f64 v[0:1], v[4:5], -v[0:1]
	buffer_store_dword v3, off, s[0:3], 0 offset:804
	buffer_store_dword v2, off, s[0:3], 0 offset:800
	;; [unrolled: 1-line block ×4, first 2 shown]
	ds_read2_b64 v[0:3], v16 offset0:102 offset1:103
	buffer_load_dword v4, off, s[0:3], 0 offset:512
	buffer_load_dword v5, off, s[0:3], 0 offset:516
	;; [unrolled: 1-line block ×4, first 2 shown]
	s_waitcnt vmcnt(0) lgkmcnt(0)
	v_mul_f64 v[12:13], v[2:3], v[10:11]
	v_fma_f64 v[12:13], v[0:1], v[4:5], -v[12:13]
	v_mul_f64 v[0:1], v[0:1], v[10:11]
	v_fma_f64 v[0:1], v[2:3], v[4:5], v[0:1]
	buffer_load_dword v3, off, s[0:3], 0 offset:820
	buffer_load_dword v2, off, s[0:3], 0 offset:816
	s_waitcnt vmcnt(0)
	v_add_f64 v[2:3], v[2:3], -v[12:13]
	buffer_load_dword v13, off, s[0:3], 0 offset:828
	buffer_load_dword v12, off, s[0:3], 0 offset:824
	s_waitcnt vmcnt(0)
	v_add_f64 v[0:1], v[12:13], -v[0:1]
	buffer_store_dword v3, off, s[0:3], 0 offset:820
	buffer_store_dword v2, off, s[0:3], 0 offset:816
	buffer_store_dword v1, off, s[0:3], 0 offset:828
	buffer_store_dword v0, off, s[0:3], 0 offset:824
	ds_read2_b64 v[0:3], v16 offset0:104 offset1:105
	s_waitcnt lgkmcnt(0)
	v_mul_f64 v[12:13], v[2:3], v[10:11]
	v_fma_f64 v[12:13], v[0:1], v[4:5], -v[12:13]
	v_mul_f64 v[0:1], v[0:1], v[10:11]
	v_fma_f64 v[0:1], v[2:3], v[4:5], v[0:1]
	buffer_load_dword v2, off, s[0:3], 0 offset:832
	buffer_load_dword v3, off, s[0:3], 0 offset:836
	buffer_load_dword v20, off, s[0:3], 0 offset:840
	buffer_load_dword v21, off, s[0:3], 0 offset:844
	s_waitcnt vmcnt(2)
	v_add_f64 v[2:3], v[2:3], -v[12:13]
	s_waitcnt vmcnt(0)
	v_add_f64 v[0:1], v[20:21], -v[0:1]
	buffer_store_dword v3, off, s[0:3], 0 offset:836
	buffer_store_dword v2, off, s[0:3], 0 offset:832
	buffer_store_dword v1, off, s[0:3], 0 offset:844
	buffer_store_dword v0, off, s[0:3], 0 offset:840
	ds_read2_b64 v[0:3], v16 offset0:106 offset1:107
	s_waitcnt lgkmcnt(0)
	v_mul_f64 v[12:13], v[2:3], v[10:11]
	v_fma_f64 v[12:13], v[0:1], v[4:5], -v[12:13]
	v_mul_f64 v[0:1], v[0:1], v[10:11]
	v_fma_f64 v[0:1], v[2:3], v[4:5], v[0:1]
	buffer_load_dword v2, off, s[0:3], 0 offset:848
	buffer_load_dword v3, off, s[0:3], 0 offset:852
	buffer_load_dword v20, off, s[0:3], 0 offset:856
	buffer_load_dword v21, off, s[0:3], 0 offset:860
	s_waitcnt vmcnt(2)
	v_add_f64 v[2:3], v[2:3], -v[12:13]
	;; [unrolled: 18-line block ×5, first 2 shown]
	s_waitcnt vmcnt(0)
	v_add_f64 v[0:1], v[4:5], -v[0:1]
	buffer_store_dword v3, off, s[0:3], 0 offset:900
	buffer_store_dword v2, off, s[0:3], 0 offset:896
	;; [unrolled: 1-line block ×4, first 2 shown]
	ds_read2_b64 v[0:3], v16 offset0:114 offset1:115
	buffer_load_dword v4, off, s[0:3], 0 offset:512
	buffer_load_dword v5, off, s[0:3], 0 offset:516
	;; [unrolled: 1-line block ×4, first 2 shown]
	s_waitcnt vmcnt(0) lgkmcnt(0)
	v_mul_f64 v[12:13], v[2:3], v[10:11]
	v_fma_f64 v[12:13], v[0:1], v[4:5], -v[12:13]
	v_mul_f64 v[0:1], v[0:1], v[10:11]
	v_fma_f64 v[0:1], v[2:3], v[4:5], v[0:1]
	buffer_load_dword v3, off, s[0:3], 0 offset:916
	buffer_load_dword v2, off, s[0:3], 0 offset:912
	s_waitcnt vmcnt(0)
	v_add_f64 v[2:3], v[2:3], -v[12:13]
	buffer_load_dword v13, off, s[0:3], 0 offset:924
	buffer_load_dword v12, off, s[0:3], 0 offset:920
	s_waitcnt vmcnt(0)
	v_add_f64 v[0:1], v[12:13], -v[0:1]
	buffer_store_dword v3, off, s[0:3], 0 offset:916
	buffer_store_dword v2, off, s[0:3], 0 offset:912
	buffer_store_dword v1, off, s[0:3], 0 offset:924
	buffer_store_dword v0, off, s[0:3], 0 offset:920
	ds_read2_b64 v[0:3], v16 offset0:116 offset1:117
	s_waitcnt lgkmcnt(0)
	v_mul_f64 v[12:13], v[2:3], v[10:11]
	v_fma_f64 v[12:13], v[0:1], v[4:5], -v[12:13]
	v_mul_f64 v[0:1], v[0:1], v[10:11]
	v_fma_f64 v[0:1], v[2:3], v[4:5], v[0:1]
	buffer_load_dword v2, off, s[0:3], 0 offset:928
	buffer_load_dword v3, off, s[0:3], 0 offset:932
	buffer_load_dword v20, off, s[0:3], 0 offset:936
	buffer_load_dword v21, off, s[0:3], 0 offset:940
	s_waitcnt vmcnt(2)
	v_add_f64 v[2:3], v[2:3], -v[12:13]
	s_waitcnt vmcnt(0)
	v_add_f64 v[0:1], v[20:21], -v[0:1]
	buffer_store_dword v3, off, s[0:3], 0 offset:932
	buffer_store_dword v2, off, s[0:3], 0 offset:928
	buffer_store_dword v1, off, s[0:3], 0 offset:940
	buffer_store_dword v0, off, s[0:3], 0 offset:936
	ds_read2_b64 v[0:3], v16 offset0:118 offset1:119
	s_waitcnt lgkmcnt(0)
	v_mul_f64 v[12:13], v[2:3], v[10:11]
	v_fma_f64 v[12:13], v[0:1], v[4:5], -v[12:13]
	v_mul_f64 v[0:1], v[0:1], v[10:11]
	v_fma_f64 v[0:1], v[2:3], v[4:5], v[0:1]
	buffer_load_dword v2, off, s[0:3], 0 offset:944
	buffer_load_dword v3, off, s[0:3], 0 offset:948
	buffer_load_dword v20, off, s[0:3], 0 offset:952
	buffer_load_dword v21, off, s[0:3], 0 offset:956
	s_waitcnt vmcnt(2)
	v_add_f64 v[2:3], v[2:3], -v[12:13]
	;; [unrolled: 18-line block ×4, first 2 shown]
	s_waitcnt vmcnt(0)
	v_add_f64 v[0:1], v[4:5], -v[0:1]
	buffer_store_dword v3, off, s[0:3], 0 offset:980
	buffer_store_dword v2, off, s[0:3], 0 offset:976
	;; [unrolled: 1-line block ×4, first 2 shown]
.LBB122_804:
	s_or_b64 exec, exec, s[4:5]
	v_mov_b32_e32 v3, s54
	s_waitcnt vmcnt(0)
	s_barrier
	buffer_load_dword v0, v3, s[0:3], 0 offen
	buffer_load_dword v1, v3, s[0:3], 0 offen offset:4
	buffer_load_dword v2, v3, s[0:3], 0 offen offset:8
	s_nop 0
	buffer_load_dword v3, v3, s[0:3], 0 offen offset:12
	v_lshl_add_u32 v4, v19, 4, v16
	s_cmp_lt_i32 s65, 35
	s_waitcnt vmcnt(0)
	ds_write2_b64 v4, v[0:1], v[2:3] offset1:1
	s_waitcnt lgkmcnt(0)
	s_barrier
	ds_read2_b64 v[0:3], v16 offset0:66 offset1:67
	v_mov_b32_e32 v4, 33
	s_cbranch_scc1 .LBB122_807
; %bb.805:
	v_add_u32_e32 v5, 0x220, v16
	s_mov_b32 s16, 34
	v_mov_b32_e32 v4, 33
.LBB122_806:                            ; =>This Inner Loop Header: Depth=1
	s_waitcnt lgkmcnt(0)
	v_cmp_gt_f64_e32 vcc, 0, v[2:3]
	v_cmp_gt_f64_e64 s[4:5], 0, v[0:1]
	ds_read2_b64 v[10:13], v5 offset1:1
	v_xor_b32_e32 v21, 0x80000000, v1
	v_xor_b32_e32 v23, 0x80000000, v3
	v_mov_b32_e32 v20, v0
	v_mov_b32_e32 v22, v2
	s_waitcnt lgkmcnt(0)
	v_xor_b32_e32 v25, 0x80000000, v13
	v_cndmask_b32_e32 v23, v3, v23, vcc
	v_cndmask_b32_e64 v21, v1, v21, s[4:5]
	v_cmp_gt_f64_e32 vcc, 0, v[12:13]
	v_cmp_gt_f64_e64 s[4:5], 0, v[10:11]
	v_add_f64 v[20:21], v[20:21], v[22:23]
	v_xor_b32_e32 v23, 0x80000000, v11
	v_mov_b32_e32 v22, v10
	v_mov_b32_e32 v24, v12
	v_add_u32_e32 v5, 16, v5
	v_cndmask_b32_e32 v25, v13, v25, vcc
	v_cndmask_b32_e64 v23, v11, v23, s[4:5]
	v_add_f64 v[22:23], v[22:23], v[24:25]
	v_mov_b32_e32 v24, s16
	s_add_i32 s16, s16, 1
	s_cmp_lg_u32 s65, s16
	v_cmp_lt_f64_e32 vcc, v[20:21], v[22:23]
	v_cndmask_b32_e32 v1, v1, v11, vcc
	v_cndmask_b32_e32 v0, v0, v10, vcc
	;; [unrolled: 1-line block ×5, first 2 shown]
	s_cbranch_scc1 .LBB122_806
.LBB122_807:
	s_waitcnt lgkmcnt(0)
	v_cmp_eq_f64_e32 vcc, 0, v[0:1]
	v_cmp_eq_f64_e64 s[4:5], 0, v[2:3]
	s_and_b64 s[4:5], vcc, s[4:5]
	s_and_saveexec_b64 s[16:17], s[4:5]
	s_xor_b64 s[4:5], exec, s[16:17]
; %bb.808:
	v_cmp_ne_u32_e32 vcc, 0, v17
	v_cndmask_b32_e32 v17, 34, v17, vcc
; %bb.809:
	s_andn2_saveexec_b64 s[4:5], s[4:5]
	s_cbranch_execz .LBB122_815
; %bb.810:
	v_cmp_ngt_f64_e64 s[16:17], |v[0:1]|, |v[2:3]|
	s_and_saveexec_b64 s[18:19], s[16:17]
	s_xor_b64 s[18:19], exec, s[18:19]
	s_cbranch_execz .LBB122_812
; %bb.811:
	v_div_scale_f64 v[10:11], s[16:17], v[2:3], v[2:3], v[0:1]
	v_rcp_f64_e32 v[12:13], v[10:11]
	v_fma_f64 v[20:21], -v[10:11], v[12:13], 1.0
	v_fma_f64 v[12:13], v[12:13], v[20:21], v[12:13]
	v_div_scale_f64 v[20:21], vcc, v[0:1], v[2:3], v[0:1]
	v_fma_f64 v[22:23], -v[10:11], v[12:13], 1.0
	v_fma_f64 v[12:13], v[12:13], v[22:23], v[12:13]
	v_mul_f64 v[22:23], v[20:21], v[12:13]
	v_fma_f64 v[10:11], -v[10:11], v[22:23], v[20:21]
	v_div_fmas_f64 v[10:11], v[10:11], v[12:13], v[22:23]
	v_div_fixup_f64 v[10:11], v[10:11], v[2:3], v[0:1]
	v_fma_f64 v[0:1], v[0:1], v[10:11], v[2:3]
	v_div_scale_f64 v[2:3], s[16:17], v[0:1], v[0:1], 1.0
	v_div_scale_f64 v[22:23], vcc, 1.0, v[0:1], 1.0
	v_rcp_f64_e32 v[12:13], v[2:3]
	v_fma_f64 v[20:21], -v[2:3], v[12:13], 1.0
	v_fma_f64 v[12:13], v[12:13], v[20:21], v[12:13]
	v_fma_f64 v[20:21], -v[2:3], v[12:13], 1.0
	v_fma_f64 v[12:13], v[12:13], v[20:21], v[12:13]
	v_mul_f64 v[20:21], v[22:23], v[12:13]
	v_fma_f64 v[2:3], -v[2:3], v[20:21], v[22:23]
	v_div_fmas_f64 v[2:3], v[2:3], v[12:13], v[20:21]
	v_div_fixup_f64 v[2:3], v[2:3], v[0:1], 1.0
	v_mul_f64 v[0:1], v[10:11], v[2:3]
	v_xor_b32_e32 v3, 0x80000000, v3
.LBB122_812:
	s_andn2_saveexec_b64 s[18:19], s[18:19]
	s_cbranch_execz .LBB122_814
; %bb.813:
	v_div_scale_f64 v[10:11], s[16:17], v[0:1], v[0:1], v[2:3]
	v_rcp_f64_e32 v[12:13], v[10:11]
	v_fma_f64 v[20:21], -v[10:11], v[12:13], 1.0
	v_fma_f64 v[12:13], v[12:13], v[20:21], v[12:13]
	v_div_scale_f64 v[20:21], vcc, v[2:3], v[0:1], v[2:3]
	v_fma_f64 v[22:23], -v[10:11], v[12:13], 1.0
	v_fma_f64 v[12:13], v[12:13], v[22:23], v[12:13]
	v_mul_f64 v[22:23], v[20:21], v[12:13]
	v_fma_f64 v[10:11], -v[10:11], v[22:23], v[20:21]
	v_div_fmas_f64 v[10:11], v[10:11], v[12:13], v[22:23]
	v_div_fixup_f64 v[10:11], v[10:11], v[0:1], v[2:3]
	v_fma_f64 v[0:1], v[2:3], v[10:11], v[0:1]
	v_div_scale_f64 v[2:3], s[16:17], v[0:1], v[0:1], 1.0
	v_div_scale_f64 v[22:23], vcc, 1.0, v[0:1], 1.0
	v_rcp_f64_e32 v[12:13], v[2:3]
	v_fma_f64 v[20:21], -v[2:3], v[12:13], 1.0
	v_fma_f64 v[12:13], v[12:13], v[20:21], v[12:13]
	v_fma_f64 v[20:21], -v[2:3], v[12:13], 1.0
	v_fma_f64 v[12:13], v[12:13], v[20:21], v[12:13]
	v_mul_f64 v[20:21], v[22:23], v[12:13]
	v_fma_f64 v[2:3], -v[2:3], v[20:21], v[22:23]
	v_div_fmas_f64 v[2:3], v[2:3], v[12:13], v[20:21]
	v_div_fixup_f64 v[0:1], v[2:3], v[0:1], 1.0
	v_mul_f64 v[2:3], v[10:11], -v[0:1]
.LBB122_814:
	s_or_b64 exec, exec, s[18:19]
.LBB122_815:
	s_or_b64 exec, exec, s[4:5]
	v_cmp_ne_u32_e32 vcc, v19, v4
	s_and_saveexec_b64 s[4:5], vcc
	s_xor_b64 s[4:5], exec, s[4:5]
	s_cbranch_execz .LBB122_821
; %bb.816:
	v_cmp_eq_u32_e32 vcc, 33, v19
	s_and_saveexec_b64 s[18:19], vcc
	s_cbranch_execz .LBB122_820
; %bb.817:
	v_cmp_ne_u32_e32 vcc, 33, v4
	s_xor_b64 s[16:17], s[22:23], -1
	s_and_b64 s[16:17], s[16:17], vcc
	s_and_saveexec_b64 s[24:25], s[16:17]
	s_cbranch_execz .LBB122_819
; %bb.818:
	v_ashrrev_i32_e32 v5, 31, v4
	v_lshlrev_b64 v[10:11], 2, v[4:5]
	v_add_co_u32_e32 v10, vcc, v8, v10
	v_addc_co_u32_e32 v11, vcc, v9, v11, vcc
	global_load_dword v5, v[10:11], off
	global_load_dword v12, v[8:9], off offset:132
	s_waitcnt vmcnt(1)
	global_store_dword v[8:9], v5, off offset:132
	s_waitcnt vmcnt(1)
	global_store_dword v[10:11], v12, off
.LBB122_819:
	s_or_b64 exec, exec, s[24:25]
	v_mov_b32_e32 v19, v4
	v_mov_b32_e32 v18, v4
.LBB122_820:
	s_or_b64 exec, exec, s[18:19]
.LBB122_821:
	s_andn2_saveexec_b64 s[4:5], s[4:5]
	s_cbranch_execz .LBB122_823
; %bb.822:
	v_mov_b32_e32 v11, s53
	buffer_load_dword v4, v11, s[0:3], 0 offen
	buffer_load_dword v5, v11, s[0:3], 0 offen offset:4
	buffer_load_dword v10, v11, s[0:3], 0 offen offset:8
	s_nop 0
	buffer_load_dword v11, v11, s[0:3], 0 offen offset:12
	v_mov_b32_e32 v19, 33
	s_waitcnt vmcnt(0)
	ds_write2_b64 v16, v[4:5], v[10:11] offset0:68 offset1:69
	v_mov_b32_e32 v11, s52
	buffer_load_dword v4, v11, s[0:3], 0 offen
	buffer_load_dword v5, v11, s[0:3], 0 offen offset:4
	buffer_load_dword v10, v11, s[0:3], 0 offen offset:8
	s_nop 0
	buffer_load_dword v11, v11, s[0:3], 0 offen offset:12
	s_waitcnt vmcnt(0)
	ds_write2_b64 v16, v[4:5], v[10:11] offset0:70 offset1:71
	v_mov_b32_e32 v11, s51
	buffer_load_dword v4, v11, s[0:3], 0 offen
	buffer_load_dword v5, v11, s[0:3], 0 offen offset:4
	buffer_load_dword v10, v11, s[0:3], 0 offen offset:8
	s_nop 0
	buffer_load_dword v11, v11, s[0:3], 0 offen offset:12
	;; [unrolled: 8-line block ×27, first 2 shown]
	s_waitcnt vmcnt(0)
	ds_write2_b64 v16, v[4:5], v[10:11] offset0:122 offset1:123
.LBB122_823:
	s_or_b64 exec, exec, s[4:5]
	v_cmp_lt_i32_e32 vcc, 33, v19
	s_waitcnt vmcnt(0) lgkmcnt(0)
	s_barrier
	s_and_saveexec_b64 s[4:5], vcc
	s_cbranch_execz .LBB122_825
; %bb.824:
	buffer_load_dword v4, off, s[0:3], 0 offset:528
	buffer_load_dword v5, off, s[0:3], 0 offset:532
	;; [unrolled: 1-line block ×16, first 2 shown]
	s_waitcnt vmcnt(12)
	v_mul_f64 v[30:31], v[2:3], v[10:11]
	v_fma_f64 v[30:31], v[0:1], v[4:5], -v[30:31]
	v_mul_f64 v[0:1], v[0:1], v[10:11]
	v_fma_f64 v[4:5], v[2:3], v[4:5], v[0:1]
	buffer_store_dword v30, off, s[0:3], 0 offset:528
	buffer_store_dword v31, off, s[0:3], 0 offset:532
	buffer_store_dword v4, off, s[0:3], 0 offset:536
	buffer_store_dword v5, off, s[0:3], 0 offset:540
	ds_read2_b64 v[0:3], v16 offset0:68 offset1:69
	s_waitcnt lgkmcnt(0)
	v_mul_f64 v[10:11], v[2:3], v[4:5]
	v_fma_f64 v[10:11], v[0:1], v[30:31], -v[10:11]
	v_mul_f64 v[0:1], v[0:1], v[4:5]
	v_fma_f64 v[0:1], v[2:3], v[30:31], v[0:1]
	s_waitcnt vmcnt(14)
	v_add_f64 v[2:3], v[12:13], -v[10:11]
	s_waitcnt vmcnt(12)
	v_add_f64 v[0:1], v[20:21], -v[0:1]
	buffer_store_dword v2, off, s[0:3], 0 offset:544
	buffer_store_dword v3, off, s[0:3], 0 offset:548
	buffer_store_dword v0, off, s[0:3], 0 offset:552
	buffer_store_dword v1, off, s[0:3], 0 offset:556
	ds_read2_b64 v[0:3], v16 offset0:70 offset1:71
	s_waitcnt lgkmcnt(0)
	v_mul_f64 v[10:11], v[2:3], v[4:5]
	v_fma_f64 v[10:11], v[0:1], v[30:31], -v[10:11]
	v_mul_f64 v[0:1], v[0:1], v[4:5]
	v_fma_f64 v[0:1], v[2:3], v[30:31], v[0:1]
	s_waitcnt vmcnt(14)
	v_add_f64 v[2:3], v[22:23], -v[10:11]
	s_waitcnt vmcnt(12)
	v_add_f64 v[0:1], v[24:25], -v[0:1]
	;; [unrolled: 14-line block ×3, first 2 shown]
	buffer_store_dword v3, off, s[0:3], 0 offset:580
	buffer_store_dword v2, off, s[0:3], 0 offset:576
	buffer_store_dword v0, off, s[0:3], 0 offset:584
	buffer_store_dword v1, off, s[0:3], 0 offset:588
	ds_read2_b64 v[0:3], v16 offset0:74 offset1:75
	s_waitcnt lgkmcnt(0)
	v_mul_f64 v[10:11], v[2:3], v[4:5]
	v_fma_f64 v[10:11], v[0:1], v[30:31], -v[10:11]
	v_mul_f64 v[0:1], v[0:1], v[4:5]
	v_fma_f64 v[0:1], v[2:3], v[30:31], v[0:1]
	buffer_load_dword v2, off, s[0:3], 0 offset:592
	buffer_load_dword v3, off, s[0:3], 0 offset:596
	buffer_load_dword v12, off, s[0:3], 0 offset:600
	buffer_load_dword v13, off, s[0:3], 0 offset:604
	s_waitcnt vmcnt(2)
	v_add_f64 v[2:3], v[2:3], -v[10:11]
	s_waitcnt vmcnt(0)
	v_add_f64 v[0:1], v[12:13], -v[0:1]
	buffer_store_dword v3, off, s[0:3], 0 offset:596
	buffer_store_dword v2, off, s[0:3], 0 offset:592
	buffer_store_dword v1, off, s[0:3], 0 offset:604
	buffer_store_dword v0, off, s[0:3], 0 offset:600
	ds_read2_b64 v[0:3], v16 offset0:76 offset1:77
	s_waitcnt lgkmcnt(0)
	v_mul_f64 v[10:11], v[2:3], v[4:5]
	v_fma_f64 v[10:11], v[0:1], v[30:31], -v[10:11]
	v_mul_f64 v[0:1], v[0:1], v[4:5]
	v_fma_f64 v[0:1], v[2:3], v[30:31], v[0:1]
	buffer_load_dword v2, off, s[0:3], 0 offset:608
	buffer_load_dword v3, off, s[0:3], 0 offset:612
	buffer_load_dword v12, off, s[0:3], 0 offset:616
	buffer_load_dword v13, off, s[0:3], 0 offset:620
	s_waitcnt vmcnt(2)
	v_add_f64 v[2:3], v[2:3], -v[10:11]
	s_waitcnt vmcnt(0)
	v_add_f64 v[0:1], v[12:13], -v[0:1]
	;; [unrolled: 18-line block ×3, first 2 shown]
	buffer_store_dword v3, off, s[0:3], 0 offset:628
	buffer_store_dword v2, off, s[0:3], 0 offset:624
	;; [unrolled: 1-line block ×4, first 2 shown]
	ds_read2_b64 v[2:5], v16 offset0:80 offset1:81
	buffer_load_dword v0, off, s[0:3], 0 offset:528
	buffer_load_dword v1, off, s[0:3], 0 offset:532
	buffer_load_dword v10, off, s[0:3], 0 offset:536
	buffer_load_dword v11, off, s[0:3], 0 offset:540
	s_waitcnt vmcnt(0) lgkmcnt(0)
	v_mul_f64 v[12:13], v[4:5], v[10:11]
	v_fma_f64 v[12:13], v[2:3], v[0:1], -v[12:13]
	v_mul_f64 v[2:3], v[2:3], v[10:11]
	v_fma_f64 v[2:3], v[4:5], v[0:1], v[2:3]
	buffer_load_dword v5, off, s[0:3], 0 offset:644
	buffer_load_dword v4, off, s[0:3], 0 offset:640
	s_waitcnt vmcnt(0)
	v_add_f64 v[4:5], v[4:5], -v[12:13]
	buffer_load_dword v13, off, s[0:3], 0 offset:652
	buffer_load_dword v12, off, s[0:3], 0 offset:648
	s_waitcnt vmcnt(0)
	v_add_f64 v[2:3], v[12:13], -v[2:3]
	buffer_store_dword v5, off, s[0:3], 0 offset:644
	buffer_store_dword v4, off, s[0:3], 0 offset:640
	buffer_store_dword v3, off, s[0:3], 0 offset:652
	buffer_store_dword v2, off, s[0:3], 0 offset:648
	ds_read2_b64 v[2:5], v16 offset0:82 offset1:83
	s_waitcnt lgkmcnt(0)
	v_mul_f64 v[12:13], v[4:5], v[10:11]
	v_fma_f64 v[12:13], v[2:3], v[0:1], -v[12:13]
	v_mul_f64 v[2:3], v[2:3], v[10:11]
	v_fma_f64 v[2:3], v[4:5], v[0:1], v[2:3]
	buffer_load_dword v4, off, s[0:3], 0 offset:656
	buffer_load_dword v5, off, s[0:3], 0 offset:660
	buffer_load_dword v20, off, s[0:3], 0 offset:664
	buffer_load_dword v21, off, s[0:3], 0 offset:668
	s_waitcnt vmcnt(2)
	v_add_f64 v[4:5], v[4:5], -v[12:13]
	s_waitcnt vmcnt(0)
	v_add_f64 v[2:3], v[20:21], -v[2:3]
	buffer_store_dword v5, off, s[0:3], 0 offset:660
	buffer_store_dword v4, off, s[0:3], 0 offset:656
	buffer_store_dword v3, off, s[0:3], 0 offset:668
	buffer_store_dword v2, off, s[0:3], 0 offset:664
	ds_read2_b64 v[2:5], v16 offset0:84 offset1:85
	s_waitcnt lgkmcnt(0)
	v_mul_f64 v[12:13], v[4:5], v[10:11]
	v_fma_f64 v[12:13], v[2:3], v[0:1], -v[12:13]
	v_mul_f64 v[2:3], v[2:3], v[10:11]
	v_fma_f64 v[2:3], v[4:5], v[0:1], v[2:3]
	buffer_load_dword v4, off, s[0:3], 0 offset:672
	buffer_load_dword v5, off, s[0:3], 0 offset:676
	buffer_load_dword v20, off, s[0:3], 0 offset:680
	buffer_load_dword v21, off, s[0:3], 0 offset:684
	s_waitcnt vmcnt(2)
	v_add_f64 v[4:5], v[4:5], -v[12:13]
	;; [unrolled: 18-line block ×5, first 2 shown]
	s_waitcnt vmcnt(0)
	v_add_f64 v[0:1], v[4:5], -v[0:1]
	buffer_store_dword v3, off, s[0:3], 0 offset:724
	buffer_store_dword v2, off, s[0:3], 0 offset:720
	;; [unrolled: 1-line block ×4, first 2 shown]
	ds_read2_b64 v[0:3], v16 offset0:92 offset1:93
	buffer_load_dword v4, off, s[0:3], 0 offset:528
	buffer_load_dword v5, off, s[0:3], 0 offset:532
	;; [unrolled: 1-line block ×4, first 2 shown]
	s_waitcnt vmcnt(0) lgkmcnt(0)
	v_mul_f64 v[12:13], v[2:3], v[10:11]
	v_fma_f64 v[12:13], v[0:1], v[4:5], -v[12:13]
	v_mul_f64 v[0:1], v[0:1], v[10:11]
	v_fma_f64 v[0:1], v[2:3], v[4:5], v[0:1]
	buffer_load_dword v3, off, s[0:3], 0 offset:740
	buffer_load_dword v2, off, s[0:3], 0 offset:736
	s_waitcnt vmcnt(0)
	v_add_f64 v[2:3], v[2:3], -v[12:13]
	buffer_load_dword v13, off, s[0:3], 0 offset:748
	buffer_load_dword v12, off, s[0:3], 0 offset:744
	s_waitcnt vmcnt(0)
	v_add_f64 v[0:1], v[12:13], -v[0:1]
	buffer_store_dword v3, off, s[0:3], 0 offset:740
	buffer_store_dword v2, off, s[0:3], 0 offset:736
	buffer_store_dword v1, off, s[0:3], 0 offset:748
	buffer_store_dword v0, off, s[0:3], 0 offset:744
	ds_read2_b64 v[0:3], v16 offset0:94 offset1:95
	s_waitcnt lgkmcnt(0)
	v_mul_f64 v[12:13], v[2:3], v[10:11]
	v_fma_f64 v[12:13], v[0:1], v[4:5], -v[12:13]
	v_mul_f64 v[0:1], v[0:1], v[10:11]
	v_fma_f64 v[0:1], v[2:3], v[4:5], v[0:1]
	buffer_load_dword v2, off, s[0:3], 0 offset:752
	buffer_load_dword v3, off, s[0:3], 0 offset:756
	buffer_load_dword v20, off, s[0:3], 0 offset:760
	buffer_load_dword v21, off, s[0:3], 0 offset:764
	s_waitcnt vmcnt(2)
	v_add_f64 v[2:3], v[2:3], -v[12:13]
	s_waitcnt vmcnt(0)
	v_add_f64 v[0:1], v[20:21], -v[0:1]
	buffer_store_dword v3, off, s[0:3], 0 offset:756
	buffer_store_dword v2, off, s[0:3], 0 offset:752
	buffer_store_dword v1, off, s[0:3], 0 offset:764
	buffer_store_dword v0, off, s[0:3], 0 offset:760
	ds_read2_b64 v[0:3], v16 offset0:96 offset1:97
	s_waitcnt lgkmcnt(0)
	v_mul_f64 v[12:13], v[2:3], v[10:11]
	v_fma_f64 v[12:13], v[0:1], v[4:5], -v[12:13]
	v_mul_f64 v[0:1], v[0:1], v[10:11]
	v_fma_f64 v[0:1], v[2:3], v[4:5], v[0:1]
	buffer_load_dword v2, off, s[0:3], 0 offset:768
	buffer_load_dword v3, off, s[0:3], 0 offset:772
	buffer_load_dword v20, off, s[0:3], 0 offset:776
	buffer_load_dword v21, off, s[0:3], 0 offset:780
	s_waitcnt vmcnt(2)
	v_add_f64 v[2:3], v[2:3], -v[12:13]
	;; [unrolled: 18-line block ×5, first 2 shown]
	s_waitcnt vmcnt(0)
	v_add_f64 v[0:1], v[4:5], -v[0:1]
	buffer_store_dword v3, off, s[0:3], 0 offset:820
	buffer_store_dword v2, off, s[0:3], 0 offset:816
	;; [unrolled: 1-line block ×4, first 2 shown]
	ds_read2_b64 v[0:3], v16 offset0:104 offset1:105
	buffer_load_dword v4, off, s[0:3], 0 offset:528
	buffer_load_dword v5, off, s[0:3], 0 offset:532
	;; [unrolled: 1-line block ×4, first 2 shown]
	s_waitcnt vmcnt(0) lgkmcnt(0)
	v_mul_f64 v[12:13], v[2:3], v[10:11]
	v_fma_f64 v[12:13], v[0:1], v[4:5], -v[12:13]
	v_mul_f64 v[0:1], v[0:1], v[10:11]
	v_fma_f64 v[0:1], v[2:3], v[4:5], v[0:1]
	buffer_load_dword v3, off, s[0:3], 0 offset:836
	buffer_load_dword v2, off, s[0:3], 0 offset:832
	s_waitcnt vmcnt(0)
	v_add_f64 v[2:3], v[2:3], -v[12:13]
	buffer_load_dword v13, off, s[0:3], 0 offset:844
	buffer_load_dword v12, off, s[0:3], 0 offset:840
	s_waitcnt vmcnt(0)
	v_add_f64 v[0:1], v[12:13], -v[0:1]
	buffer_store_dword v3, off, s[0:3], 0 offset:836
	buffer_store_dword v2, off, s[0:3], 0 offset:832
	buffer_store_dword v1, off, s[0:3], 0 offset:844
	buffer_store_dword v0, off, s[0:3], 0 offset:840
	ds_read2_b64 v[0:3], v16 offset0:106 offset1:107
	s_waitcnt lgkmcnt(0)
	v_mul_f64 v[12:13], v[2:3], v[10:11]
	v_fma_f64 v[12:13], v[0:1], v[4:5], -v[12:13]
	v_mul_f64 v[0:1], v[0:1], v[10:11]
	v_fma_f64 v[0:1], v[2:3], v[4:5], v[0:1]
	buffer_load_dword v2, off, s[0:3], 0 offset:848
	buffer_load_dword v3, off, s[0:3], 0 offset:852
	buffer_load_dword v20, off, s[0:3], 0 offset:856
	buffer_load_dword v21, off, s[0:3], 0 offset:860
	s_waitcnt vmcnt(2)
	v_add_f64 v[2:3], v[2:3], -v[12:13]
	s_waitcnt vmcnt(0)
	v_add_f64 v[0:1], v[20:21], -v[0:1]
	buffer_store_dword v3, off, s[0:3], 0 offset:852
	buffer_store_dword v2, off, s[0:3], 0 offset:848
	buffer_store_dword v1, off, s[0:3], 0 offset:860
	buffer_store_dword v0, off, s[0:3], 0 offset:856
	ds_read2_b64 v[0:3], v16 offset0:108 offset1:109
	s_waitcnt lgkmcnt(0)
	v_mul_f64 v[12:13], v[2:3], v[10:11]
	v_fma_f64 v[12:13], v[0:1], v[4:5], -v[12:13]
	v_mul_f64 v[0:1], v[0:1], v[10:11]
	v_fma_f64 v[0:1], v[2:3], v[4:5], v[0:1]
	buffer_load_dword v2, off, s[0:3], 0 offset:864
	buffer_load_dword v3, off, s[0:3], 0 offset:868
	buffer_load_dword v20, off, s[0:3], 0 offset:872
	buffer_load_dword v21, off, s[0:3], 0 offset:876
	s_waitcnt vmcnt(2)
	v_add_f64 v[2:3], v[2:3], -v[12:13]
	;; [unrolled: 18-line block ×5, first 2 shown]
	s_waitcnt vmcnt(0)
	v_add_f64 v[0:1], v[4:5], -v[0:1]
	buffer_store_dword v3, off, s[0:3], 0 offset:916
	buffer_store_dword v2, off, s[0:3], 0 offset:912
	;; [unrolled: 1-line block ×4, first 2 shown]
	ds_read2_b64 v[0:3], v16 offset0:116 offset1:117
	buffer_load_dword v4, off, s[0:3], 0 offset:528
	buffer_load_dword v5, off, s[0:3], 0 offset:532
	;; [unrolled: 1-line block ×4, first 2 shown]
	s_waitcnt vmcnt(0) lgkmcnt(0)
	v_mul_f64 v[12:13], v[2:3], v[10:11]
	v_fma_f64 v[12:13], v[0:1], v[4:5], -v[12:13]
	v_mul_f64 v[0:1], v[0:1], v[10:11]
	v_fma_f64 v[0:1], v[2:3], v[4:5], v[0:1]
	buffer_load_dword v3, off, s[0:3], 0 offset:932
	buffer_load_dword v2, off, s[0:3], 0 offset:928
	s_waitcnt vmcnt(0)
	v_add_f64 v[2:3], v[2:3], -v[12:13]
	buffer_load_dword v13, off, s[0:3], 0 offset:940
	buffer_load_dword v12, off, s[0:3], 0 offset:936
	s_waitcnt vmcnt(0)
	v_add_f64 v[0:1], v[12:13], -v[0:1]
	buffer_store_dword v3, off, s[0:3], 0 offset:932
	buffer_store_dword v2, off, s[0:3], 0 offset:928
	buffer_store_dword v1, off, s[0:3], 0 offset:940
	buffer_store_dword v0, off, s[0:3], 0 offset:936
	ds_read2_b64 v[0:3], v16 offset0:118 offset1:119
	s_waitcnt lgkmcnt(0)
	v_mul_f64 v[12:13], v[2:3], v[10:11]
	v_fma_f64 v[12:13], v[0:1], v[4:5], -v[12:13]
	v_mul_f64 v[0:1], v[0:1], v[10:11]
	v_fma_f64 v[0:1], v[2:3], v[4:5], v[0:1]
	buffer_load_dword v2, off, s[0:3], 0 offset:944
	buffer_load_dword v3, off, s[0:3], 0 offset:948
	buffer_load_dword v20, off, s[0:3], 0 offset:952
	buffer_load_dword v21, off, s[0:3], 0 offset:956
	s_waitcnt vmcnt(2)
	v_add_f64 v[2:3], v[2:3], -v[12:13]
	s_waitcnt vmcnt(0)
	v_add_f64 v[0:1], v[20:21], -v[0:1]
	buffer_store_dword v3, off, s[0:3], 0 offset:948
	buffer_store_dword v2, off, s[0:3], 0 offset:944
	buffer_store_dword v1, off, s[0:3], 0 offset:956
	buffer_store_dword v0, off, s[0:3], 0 offset:952
	ds_read2_b64 v[0:3], v16 offset0:120 offset1:121
	s_waitcnt lgkmcnt(0)
	v_mul_f64 v[12:13], v[2:3], v[10:11]
	v_fma_f64 v[12:13], v[0:1], v[4:5], -v[12:13]
	v_mul_f64 v[0:1], v[0:1], v[10:11]
	v_fma_f64 v[0:1], v[2:3], v[4:5], v[0:1]
	buffer_load_dword v2, off, s[0:3], 0 offset:960
	buffer_load_dword v3, off, s[0:3], 0 offset:964
	buffer_load_dword v20, off, s[0:3], 0 offset:968
	buffer_load_dword v21, off, s[0:3], 0 offset:972
	s_waitcnt vmcnt(2)
	v_add_f64 v[2:3], v[2:3], -v[12:13]
	s_waitcnt vmcnt(0)
	v_add_f64 v[0:1], v[20:21], -v[0:1]
	buffer_store_dword v3, off, s[0:3], 0 offset:964
	buffer_store_dword v2, off, s[0:3], 0 offset:960
	buffer_store_dword v1, off, s[0:3], 0 offset:972
	buffer_store_dword v0, off, s[0:3], 0 offset:968
	ds_read2_b64 v[0:3], v16 offset0:122 offset1:123
	s_waitcnt lgkmcnt(0)
	v_mul_f64 v[12:13], v[2:3], v[10:11]
	v_fma_f64 v[12:13], v[0:1], v[4:5], -v[12:13]
	v_mul_f64 v[0:1], v[0:1], v[10:11]
	v_fma_f64 v[0:1], v[2:3], v[4:5], v[0:1]
	buffer_load_dword v2, off, s[0:3], 0 offset:976
	buffer_load_dword v3, off, s[0:3], 0 offset:980
	buffer_load_dword v4, off, s[0:3], 0 offset:984
	buffer_load_dword v5, off, s[0:3], 0 offset:988
	s_waitcnt vmcnt(2)
	v_add_f64 v[2:3], v[2:3], -v[12:13]
	s_waitcnt vmcnt(0)
	v_add_f64 v[0:1], v[4:5], -v[0:1]
	buffer_store_dword v3, off, s[0:3], 0 offset:980
	buffer_store_dword v2, off, s[0:3], 0 offset:976
	;; [unrolled: 1-line block ×4, first 2 shown]
.LBB122_825:
	s_or_b64 exec, exec, s[4:5]
	v_mov_b32_e32 v3, s53
	s_waitcnt vmcnt(0)
	s_barrier
	buffer_load_dword v0, v3, s[0:3], 0 offen
	buffer_load_dword v1, v3, s[0:3], 0 offen offset:4
	buffer_load_dword v2, v3, s[0:3], 0 offen offset:8
	s_nop 0
	buffer_load_dword v3, v3, s[0:3], 0 offen offset:12
	v_lshl_add_u32 v4, v19, 4, v16
	s_cmp_lt_i32 s65, 36
	s_waitcnt vmcnt(0)
	ds_write2_b64 v4, v[0:1], v[2:3] offset1:1
	s_waitcnt lgkmcnt(0)
	s_barrier
	ds_read2_b64 v[0:3], v16 offset0:68 offset1:69
	v_mov_b32_e32 v4, 34
	s_cbranch_scc1 .LBB122_828
; %bb.826:
	v_add_u32_e32 v5, 0x230, v16
	s_mov_b32 s16, 35
	v_mov_b32_e32 v4, 34
.LBB122_827:                            ; =>This Inner Loop Header: Depth=1
	s_waitcnt lgkmcnt(0)
	v_cmp_gt_f64_e32 vcc, 0, v[2:3]
	v_cmp_gt_f64_e64 s[4:5], 0, v[0:1]
	ds_read2_b64 v[10:13], v5 offset1:1
	v_xor_b32_e32 v21, 0x80000000, v1
	v_xor_b32_e32 v23, 0x80000000, v3
	v_mov_b32_e32 v20, v0
	v_mov_b32_e32 v22, v2
	s_waitcnt lgkmcnt(0)
	v_xor_b32_e32 v25, 0x80000000, v13
	v_cndmask_b32_e32 v23, v3, v23, vcc
	v_cndmask_b32_e64 v21, v1, v21, s[4:5]
	v_cmp_gt_f64_e32 vcc, 0, v[12:13]
	v_cmp_gt_f64_e64 s[4:5], 0, v[10:11]
	v_add_f64 v[20:21], v[20:21], v[22:23]
	v_xor_b32_e32 v23, 0x80000000, v11
	v_mov_b32_e32 v22, v10
	v_mov_b32_e32 v24, v12
	v_add_u32_e32 v5, 16, v5
	v_cndmask_b32_e32 v25, v13, v25, vcc
	v_cndmask_b32_e64 v23, v11, v23, s[4:5]
	v_add_f64 v[22:23], v[22:23], v[24:25]
	v_mov_b32_e32 v24, s16
	s_add_i32 s16, s16, 1
	s_cmp_lg_u32 s65, s16
	v_cmp_lt_f64_e32 vcc, v[20:21], v[22:23]
	v_cndmask_b32_e32 v1, v1, v11, vcc
	v_cndmask_b32_e32 v0, v0, v10, vcc
	;; [unrolled: 1-line block ×5, first 2 shown]
	s_cbranch_scc1 .LBB122_827
.LBB122_828:
	s_waitcnt lgkmcnt(0)
	v_cmp_eq_f64_e32 vcc, 0, v[0:1]
	v_cmp_eq_f64_e64 s[4:5], 0, v[2:3]
	s_and_b64 s[4:5], vcc, s[4:5]
	s_and_saveexec_b64 s[16:17], s[4:5]
	s_xor_b64 s[4:5], exec, s[16:17]
; %bb.829:
	v_cmp_ne_u32_e32 vcc, 0, v17
	v_cndmask_b32_e32 v17, 35, v17, vcc
; %bb.830:
	s_andn2_saveexec_b64 s[4:5], s[4:5]
	s_cbranch_execz .LBB122_836
; %bb.831:
	v_cmp_ngt_f64_e64 s[16:17], |v[0:1]|, |v[2:3]|
	s_and_saveexec_b64 s[18:19], s[16:17]
	s_xor_b64 s[18:19], exec, s[18:19]
	s_cbranch_execz .LBB122_833
; %bb.832:
	v_div_scale_f64 v[10:11], s[16:17], v[2:3], v[2:3], v[0:1]
	v_rcp_f64_e32 v[12:13], v[10:11]
	v_fma_f64 v[20:21], -v[10:11], v[12:13], 1.0
	v_fma_f64 v[12:13], v[12:13], v[20:21], v[12:13]
	v_div_scale_f64 v[20:21], vcc, v[0:1], v[2:3], v[0:1]
	v_fma_f64 v[22:23], -v[10:11], v[12:13], 1.0
	v_fma_f64 v[12:13], v[12:13], v[22:23], v[12:13]
	v_mul_f64 v[22:23], v[20:21], v[12:13]
	v_fma_f64 v[10:11], -v[10:11], v[22:23], v[20:21]
	v_div_fmas_f64 v[10:11], v[10:11], v[12:13], v[22:23]
	v_div_fixup_f64 v[10:11], v[10:11], v[2:3], v[0:1]
	v_fma_f64 v[0:1], v[0:1], v[10:11], v[2:3]
	v_div_scale_f64 v[2:3], s[16:17], v[0:1], v[0:1], 1.0
	v_div_scale_f64 v[22:23], vcc, 1.0, v[0:1], 1.0
	v_rcp_f64_e32 v[12:13], v[2:3]
	v_fma_f64 v[20:21], -v[2:3], v[12:13], 1.0
	v_fma_f64 v[12:13], v[12:13], v[20:21], v[12:13]
	v_fma_f64 v[20:21], -v[2:3], v[12:13], 1.0
	v_fma_f64 v[12:13], v[12:13], v[20:21], v[12:13]
	v_mul_f64 v[20:21], v[22:23], v[12:13]
	v_fma_f64 v[2:3], -v[2:3], v[20:21], v[22:23]
	v_div_fmas_f64 v[2:3], v[2:3], v[12:13], v[20:21]
	v_div_fixup_f64 v[2:3], v[2:3], v[0:1], 1.0
	v_mul_f64 v[0:1], v[10:11], v[2:3]
	v_xor_b32_e32 v3, 0x80000000, v3
.LBB122_833:
	s_andn2_saveexec_b64 s[18:19], s[18:19]
	s_cbranch_execz .LBB122_835
; %bb.834:
	v_div_scale_f64 v[10:11], s[16:17], v[0:1], v[0:1], v[2:3]
	v_rcp_f64_e32 v[12:13], v[10:11]
	v_fma_f64 v[20:21], -v[10:11], v[12:13], 1.0
	v_fma_f64 v[12:13], v[12:13], v[20:21], v[12:13]
	v_div_scale_f64 v[20:21], vcc, v[2:3], v[0:1], v[2:3]
	v_fma_f64 v[22:23], -v[10:11], v[12:13], 1.0
	v_fma_f64 v[12:13], v[12:13], v[22:23], v[12:13]
	v_mul_f64 v[22:23], v[20:21], v[12:13]
	v_fma_f64 v[10:11], -v[10:11], v[22:23], v[20:21]
	v_div_fmas_f64 v[10:11], v[10:11], v[12:13], v[22:23]
	v_div_fixup_f64 v[10:11], v[10:11], v[0:1], v[2:3]
	v_fma_f64 v[0:1], v[2:3], v[10:11], v[0:1]
	v_div_scale_f64 v[2:3], s[16:17], v[0:1], v[0:1], 1.0
	v_div_scale_f64 v[22:23], vcc, 1.0, v[0:1], 1.0
	v_rcp_f64_e32 v[12:13], v[2:3]
	v_fma_f64 v[20:21], -v[2:3], v[12:13], 1.0
	v_fma_f64 v[12:13], v[12:13], v[20:21], v[12:13]
	v_fma_f64 v[20:21], -v[2:3], v[12:13], 1.0
	v_fma_f64 v[12:13], v[12:13], v[20:21], v[12:13]
	v_mul_f64 v[20:21], v[22:23], v[12:13]
	v_fma_f64 v[2:3], -v[2:3], v[20:21], v[22:23]
	v_div_fmas_f64 v[2:3], v[2:3], v[12:13], v[20:21]
	v_div_fixup_f64 v[0:1], v[2:3], v[0:1], 1.0
	v_mul_f64 v[2:3], v[10:11], -v[0:1]
.LBB122_835:
	s_or_b64 exec, exec, s[18:19]
.LBB122_836:
	s_or_b64 exec, exec, s[4:5]
	v_cmp_ne_u32_e32 vcc, v19, v4
	s_and_saveexec_b64 s[4:5], vcc
	s_xor_b64 s[4:5], exec, s[4:5]
	s_cbranch_execz .LBB122_842
; %bb.837:
	v_cmp_eq_u32_e32 vcc, 34, v19
	s_and_saveexec_b64 s[18:19], vcc
	s_cbranch_execz .LBB122_841
; %bb.838:
	v_cmp_ne_u32_e32 vcc, 34, v4
	s_xor_b64 s[16:17], s[22:23], -1
	s_and_b64 s[16:17], s[16:17], vcc
	s_and_saveexec_b64 s[24:25], s[16:17]
	s_cbranch_execz .LBB122_840
; %bb.839:
	v_ashrrev_i32_e32 v5, 31, v4
	v_lshlrev_b64 v[10:11], 2, v[4:5]
	v_add_co_u32_e32 v10, vcc, v8, v10
	v_addc_co_u32_e32 v11, vcc, v9, v11, vcc
	global_load_dword v5, v[10:11], off
	global_load_dword v12, v[8:9], off offset:136
	s_waitcnt vmcnt(1)
	global_store_dword v[8:9], v5, off offset:136
	s_waitcnt vmcnt(1)
	global_store_dword v[10:11], v12, off
.LBB122_840:
	s_or_b64 exec, exec, s[24:25]
	v_mov_b32_e32 v19, v4
	v_mov_b32_e32 v18, v4
.LBB122_841:
	s_or_b64 exec, exec, s[18:19]
.LBB122_842:
	s_andn2_saveexec_b64 s[4:5], s[4:5]
	s_cbranch_execz .LBB122_844
; %bb.843:
	v_mov_b32_e32 v11, s52
	buffer_load_dword v4, v11, s[0:3], 0 offen
	buffer_load_dword v5, v11, s[0:3], 0 offen offset:4
	buffer_load_dword v10, v11, s[0:3], 0 offen offset:8
	s_nop 0
	buffer_load_dword v11, v11, s[0:3], 0 offen offset:12
	v_mov_b32_e32 v19, 34
	s_waitcnt vmcnt(0)
	ds_write2_b64 v16, v[4:5], v[10:11] offset0:70 offset1:71
	v_mov_b32_e32 v11, s51
	buffer_load_dword v4, v11, s[0:3], 0 offen
	buffer_load_dword v5, v11, s[0:3], 0 offen offset:4
	buffer_load_dword v10, v11, s[0:3], 0 offen offset:8
	s_nop 0
	buffer_load_dword v11, v11, s[0:3], 0 offen offset:12
	s_waitcnt vmcnt(0)
	ds_write2_b64 v16, v[4:5], v[10:11] offset0:72 offset1:73
	v_mov_b32_e32 v11, s50
	buffer_load_dword v4, v11, s[0:3], 0 offen
	buffer_load_dword v5, v11, s[0:3], 0 offen offset:4
	buffer_load_dword v10, v11, s[0:3], 0 offen offset:8
	s_nop 0
	buffer_load_dword v11, v11, s[0:3], 0 offen offset:12
	;; [unrolled: 8-line block ×26, first 2 shown]
	s_waitcnt vmcnt(0)
	ds_write2_b64 v16, v[4:5], v[10:11] offset0:122 offset1:123
.LBB122_844:
	s_or_b64 exec, exec, s[4:5]
	v_cmp_lt_i32_e32 vcc, 34, v19
	s_waitcnt vmcnt(0) lgkmcnt(0)
	s_barrier
	s_and_saveexec_b64 s[4:5], vcc
	s_cbranch_execz .LBB122_846
; %bb.845:
	buffer_load_dword v4, off, s[0:3], 0 offset:544
	buffer_load_dword v5, off, s[0:3], 0 offset:548
	;; [unrolled: 1-line block ×16, first 2 shown]
	s_waitcnt vmcnt(12)
	v_mul_f64 v[30:31], v[2:3], v[10:11]
	v_fma_f64 v[30:31], v[0:1], v[4:5], -v[30:31]
	v_mul_f64 v[0:1], v[0:1], v[10:11]
	v_fma_f64 v[4:5], v[2:3], v[4:5], v[0:1]
	buffer_store_dword v30, off, s[0:3], 0 offset:544
	buffer_store_dword v31, off, s[0:3], 0 offset:548
	buffer_store_dword v4, off, s[0:3], 0 offset:552
	buffer_store_dword v5, off, s[0:3], 0 offset:556
	ds_read2_b64 v[0:3], v16 offset0:70 offset1:71
	s_waitcnt lgkmcnt(0)
	v_mul_f64 v[10:11], v[2:3], v[4:5]
	v_fma_f64 v[10:11], v[0:1], v[30:31], -v[10:11]
	v_mul_f64 v[0:1], v[0:1], v[4:5]
	v_fma_f64 v[0:1], v[2:3], v[30:31], v[0:1]
	s_waitcnt vmcnt(14)
	v_add_f64 v[2:3], v[12:13], -v[10:11]
	s_waitcnt vmcnt(12)
	v_add_f64 v[0:1], v[20:21], -v[0:1]
	buffer_store_dword v2, off, s[0:3], 0 offset:560
	buffer_store_dword v3, off, s[0:3], 0 offset:564
	buffer_store_dword v0, off, s[0:3], 0 offset:568
	buffer_store_dword v1, off, s[0:3], 0 offset:572
	ds_read2_b64 v[0:3], v16 offset0:72 offset1:73
	s_waitcnt lgkmcnt(0)
	v_mul_f64 v[10:11], v[2:3], v[4:5]
	v_fma_f64 v[10:11], v[0:1], v[30:31], -v[10:11]
	v_mul_f64 v[0:1], v[0:1], v[4:5]
	v_fma_f64 v[0:1], v[2:3], v[30:31], v[0:1]
	s_waitcnt vmcnt(14)
	v_add_f64 v[2:3], v[22:23], -v[10:11]
	s_waitcnt vmcnt(12)
	v_add_f64 v[0:1], v[24:25], -v[0:1]
	;; [unrolled: 14-line block ×3, first 2 shown]
	buffer_store_dword v3, off, s[0:3], 0 offset:596
	buffer_store_dword v2, off, s[0:3], 0 offset:592
	buffer_store_dword v0, off, s[0:3], 0 offset:600
	buffer_store_dword v1, off, s[0:3], 0 offset:604
	ds_read2_b64 v[0:3], v16 offset0:76 offset1:77
	s_waitcnt lgkmcnt(0)
	v_mul_f64 v[10:11], v[2:3], v[4:5]
	v_fma_f64 v[10:11], v[0:1], v[30:31], -v[10:11]
	v_mul_f64 v[0:1], v[0:1], v[4:5]
	v_fma_f64 v[0:1], v[2:3], v[30:31], v[0:1]
	buffer_load_dword v2, off, s[0:3], 0 offset:608
	buffer_load_dword v3, off, s[0:3], 0 offset:612
	buffer_load_dword v12, off, s[0:3], 0 offset:616
	buffer_load_dword v13, off, s[0:3], 0 offset:620
	s_waitcnt vmcnt(2)
	v_add_f64 v[2:3], v[2:3], -v[10:11]
	s_waitcnt vmcnt(0)
	v_add_f64 v[0:1], v[12:13], -v[0:1]
	buffer_store_dword v3, off, s[0:3], 0 offset:612
	buffer_store_dword v2, off, s[0:3], 0 offset:608
	buffer_store_dword v1, off, s[0:3], 0 offset:620
	buffer_store_dword v0, off, s[0:3], 0 offset:616
	ds_read2_b64 v[0:3], v16 offset0:78 offset1:79
	s_waitcnt lgkmcnt(0)
	v_mul_f64 v[10:11], v[2:3], v[4:5]
	v_fma_f64 v[10:11], v[0:1], v[30:31], -v[10:11]
	v_mul_f64 v[0:1], v[0:1], v[4:5]
	v_fma_f64 v[0:1], v[2:3], v[30:31], v[0:1]
	buffer_load_dword v2, off, s[0:3], 0 offset:624
	buffer_load_dword v3, off, s[0:3], 0 offset:628
	buffer_load_dword v12, off, s[0:3], 0 offset:632
	buffer_load_dword v13, off, s[0:3], 0 offset:636
	s_waitcnt vmcnt(2)
	v_add_f64 v[2:3], v[2:3], -v[10:11]
	s_waitcnt vmcnt(0)
	v_add_f64 v[0:1], v[12:13], -v[0:1]
	;; [unrolled: 18-line block ×3, first 2 shown]
	buffer_store_dword v3, off, s[0:3], 0 offset:644
	buffer_store_dword v2, off, s[0:3], 0 offset:640
	;; [unrolled: 1-line block ×4, first 2 shown]
	ds_read2_b64 v[2:5], v16 offset0:82 offset1:83
	buffer_load_dword v0, off, s[0:3], 0 offset:544
	buffer_load_dword v1, off, s[0:3], 0 offset:548
	;; [unrolled: 1-line block ×4, first 2 shown]
	s_waitcnt vmcnt(0) lgkmcnt(0)
	v_mul_f64 v[12:13], v[4:5], v[10:11]
	v_fma_f64 v[12:13], v[2:3], v[0:1], -v[12:13]
	v_mul_f64 v[2:3], v[2:3], v[10:11]
	v_fma_f64 v[2:3], v[4:5], v[0:1], v[2:3]
	buffer_load_dword v5, off, s[0:3], 0 offset:660
	buffer_load_dword v4, off, s[0:3], 0 offset:656
	s_waitcnt vmcnt(0)
	v_add_f64 v[4:5], v[4:5], -v[12:13]
	buffer_load_dword v13, off, s[0:3], 0 offset:668
	buffer_load_dword v12, off, s[0:3], 0 offset:664
	s_waitcnt vmcnt(0)
	v_add_f64 v[2:3], v[12:13], -v[2:3]
	buffer_store_dword v5, off, s[0:3], 0 offset:660
	buffer_store_dword v4, off, s[0:3], 0 offset:656
	buffer_store_dword v3, off, s[0:3], 0 offset:668
	buffer_store_dword v2, off, s[0:3], 0 offset:664
	ds_read2_b64 v[2:5], v16 offset0:84 offset1:85
	s_waitcnt lgkmcnt(0)
	v_mul_f64 v[12:13], v[4:5], v[10:11]
	v_fma_f64 v[12:13], v[2:3], v[0:1], -v[12:13]
	v_mul_f64 v[2:3], v[2:3], v[10:11]
	v_fma_f64 v[2:3], v[4:5], v[0:1], v[2:3]
	buffer_load_dword v4, off, s[0:3], 0 offset:672
	buffer_load_dword v5, off, s[0:3], 0 offset:676
	buffer_load_dword v20, off, s[0:3], 0 offset:680
	buffer_load_dword v21, off, s[0:3], 0 offset:684
	s_waitcnt vmcnt(2)
	v_add_f64 v[4:5], v[4:5], -v[12:13]
	s_waitcnt vmcnt(0)
	v_add_f64 v[2:3], v[20:21], -v[2:3]
	buffer_store_dword v5, off, s[0:3], 0 offset:676
	buffer_store_dword v4, off, s[0:3], 0 offset:672
	buffer_store_dword v3, off, s[0:3], 0 offset:684
	buffer_store_dword v2, off, s[0:3], 0 offset:680
	ds_read2_b64 v[2:5], v16 offset0:86 offset1:87
	s_waitcnt lgkmcnt(0)
	v_mul_f64 v[12:13], v[4:5], v[10:11]
	v_fma_f64 v[12:13], v[2:3], v[0:1], -v[12:13]
	v_mul_f64 v[2:3], v[2:3], v[10:11]
	v_fma_f64 v[2:3], v[4:5], v[0:1], v[2:3]
	buffer_load_dword v4, off, s[0:3], 0 offset:688
	buffer_load_dword v5, off, s[0:3], 0 offset:692
	buffer_load_dword v20, off, s[0:3], 0 offset:696
	buffer_load_dword v21, off, s[0:3], 0 offset:700
	s_waitcnt vmcnt(2)
	v_add_f64 v[4:5], v[4:5], -v[12:13]
	;; [unrolled: 18-line block ×5, first 2 shown]
	s_waitcnt vmcnt(0)
	v_add_f64 v[0:1], v[4:5], -v[0:1]
	buffer_store_dword v3, off, s[0:3], 0 offset:740
	buffer_store_dword v2, off, s[0:3], 0 offset:736
	;; [unrolled: 1-line block ×4, first 2 shown]
	ds_read2_b64 v[0:3], v16 offset0:94 offset1:95
	buffer_load_dword v4, off, s[0:3], 0 offset:544
	buffer_load_dword v5, off, s[0:3], 0 offset:548
	;; [unrolled: 1-line block ×4, first 2 shown]
	s_waitcnt vmcnt(0) lgkmcnt(0)
	v_mul_f64 v[12:13], v[2:3], v[10:11]
	v_fma_f64 v[12:13], v[0:1], v[4:5], -v[12:13]
	v_mul_f64 v[0:1], v[0:1], v[10:11]
	v_fma_f64 v[0:1], v[2:3], v[4:5], v[0:1]
	buffer_load_dword v3, off, s[0:3], 0 offset:756
	buffer_load_dword v2, off, s[0:3], 0 offset:752
	s_waitcnt vmcnt(0)
	v_add_f64 v[2:3], v[2:3], -v[12:13]
	buffer_load_dword v13, off, s[0:3], 0 offset:764
	buffer_load_dword v12, off, s[0:3], 0 offset:760
	s_waitcnt vmcnt(0)
	v_add_f64 v[0:1], v[12:13], -v[0:1]
	buffer_store_dword v3, off, s[0:3], 0 offset:756
	buffer_store_dword v2, off, s[0:3], 0 offset:752
	buffer_store_dword v1, off, s[0:3], 0 offset:764
	buffer_store_dword v0, off, s[0:3], 0 offset:760
	ds_read2_b64 v[0:3], v16 offset0:96 offset1:97
	s_waitcnt lgkmcnt(0)
	v_mul_f64 v[12:13], v[2:3], v[10:11]
	v_fma_f64 v[12:13], v[0:1], v[4:5], -v[12:13]
	v_mul_f64 v[0:1], v[0:1], v[10:11]
	v_fma_f64 v[0:1], v[2:3], v[4:5], v[0:1]
	buffer_load_dword v2, off, s[0:3], 0 offset:768
	buffer_load_dword v3, off, s[0:3], 0 offset:772
	buffer_load_dword v20, off, s[0:3], 0 offset:776
	buffer_load_dword v21, off, s[0:3], 0 offset:780
	s_waitcnt vmcnt(2)
	v_add_f64 v[2:3], v[2:3], -v[12:13]
	s_waitcnt vmcnt(0)
	v_add_f64 v[0:1], v[20:21], -v[0:1]
	buffer_store_dword v3, off, s[0:3], 0 offset:772
	buffer_store_dword v2, off, s[0:3], 0 offset:768
	buffer_store_dword v1, off, s[0:3], 0 offset:780
	buffer_store_dword v0, off, s[0:3], 0 offset:776
	ds_read2_b64 v[0:3], v16 offset0:98 offset1:99
	s_waitcnt lgkmcnt(0)
	v_mul_f64 v[12:13], v[2:3], v[10:11]
	v_fma_f64 v[12:13], v[0:1], v[4:5], -v[12:13]
	v_mul_f64 v[0:1], v[0:1], v[10:11]
	v_fma_f64 v[0:1], v[2:3], v[4:5], v[0:1]
	buffer_load_dword v2, off, s[0:3], 0 offset:784
	buffer_load_dword v3, off, s[0:3], 0 offset:788
	buffer_load_dword v20, off, s[0:3], 0 offset:792
	buffer_load_dword v21, off, s[0:3], 0 offset:796
	s_waitcnt vmcnt(2)
	v_add_f64 v[2:3], v[2:3], -v[12:13]
	;; [unrolled: 18-line block ×5, first 2 shown]
	s_waitcnt vmcnt(0)
	v_add_f64 v[0:1], v[4:5], -v[0:1]
	buffer_store_dword v3, off, s[0:3], 0 offset:836
	buffer_store_dword v2, off, s[0:3], 0 offset:832
	;; [unrolled: 1-line block ×4, first 2 shown]
	ds_read2_b64 v[0:3], v16 offset0:106 offset1:107
	buffer_load_dword v4, off, s[0:3], 0 offset:544
	buffer_load_dword v5, off, s[0:3], 0 offset:548
	;; [unrolled: 1-line block ×4, first 2 shown]
	s_waitcnt vmcnt(0) lgkmcnt(0)
	v_mul_f64 v[12:13], v[2:3], v[10:11]
	v_fma_f64 v[12:13], v[0:1], v[4:5], -v[12:13]
	v_mul_f64 v[0:1], v[0:1], v[10:11]
	v_fma_f64 v[0:1], v[2:3], v[4:5], v[0:1]
	buffer_load_dword v3, off, s[0:3], 0 offset:852
	buffer_load_dword v2, off, s[0:3], 0 offset:848
	s_waitcnt vmcnt(0)
	v_add_f64 v[2:3], v[2:3], -v[12:13]
	buffer_load_dword v13, off, s[0:3], 0 offset:860
	buffer_load_dword v12, off, s[0:3], 0 offset:856
	s_waitcnt vmcnt(0)
	v_add_f64 v[0:1], v[12:13], -v[0:1]
	buffer_store_dword v3, off, s[0:3], 0 offset:852
	buffer_store_dword v2, off, s[0:3], 0 offset:848
	buffer_store_dword v1, off, s[0:3], 0 offset:860
	buffer_store_dword v0, off, s[0:3], 0 offset:856
	ds_read2_b64 v[0:3], v16 offset0:108 offset1:109
	s_waitcnt lgkmcnt(0)
	v_mul_f64 v[12:13], v[2:3], v[10:11]
	v_fma_f64 v[12:13], v[0:1], v[4:5], -v[12:13]
	v_mul_f64 v[0:1], v[0:1], v[10:11]
	v_fma_f64 v[0:1], v[2:3], v[4:5], v[0:1]
	buffer_load_dword v2, off, s[0:3], 0 offset:864
	buffer_load_dword v3, off, s[0:3], 0 offset:868
	buffer_load_dword v20, off, s[0:3], 0 offset:872
	buffer_load_dword v21, off, s[0:3], 0 offset:876
	s_waitcnt vmcnt(2)
	v_add_f64 v[2:3], v[2:3], -v[12:13]
	s_waitcnt vmcnt(0)
	v_add_f64 v[0:1], v[20:21], -v[0:1]
	buffer_store_dword v3, off, s[0:3], 0 offset:868
	buffer_store_dword v2, off, s[0:3], 0 offset:864
	buffer_store_dword v1, off, s[0:3], 0 offset:876
	buffer_store_dword v0, off, s[0:3], 0 offset:872
	ds_read2_b64 v[0:3], v16 offset0:110 offset1:111
	s_waitcnt lgkmcnt(0)
	v_mul_f64 v[12:13], v[2:3], v[10:11]
	v_fma_f64 v[12:13], v[0:1], v[4:5], -v[12:13]
	v_mul_f64 v[0:1], v[0:1], v[10:11]
	v_fma_f64 v[0:1], v[2:3], v[4:5], v[0:1]
	buffer_load_dword v2, off, s[0:3], 0 offset:880
	buffer_load_dword v3, off, s[0:3], 0 offset:884
	buffer_load_dword v20, off, s[0:3], 0 offset:888
	buffer_load_dword v21, off, s[0:3], 0 offset:892
	s_waitcnt vmcnt(2)
	v_add_f64 v[2:3], v[2:3], -v[12:13]
	;; [unrolled: 18-line block ×5, first 2 shown]
	s_waitcnt vmcnt(0)
	v_add_f64 v[0:1], v[4:5], -v[0:1]
	buffer_store_dword v3, off, s[0:3], 0 offset:932
	buffer_store_dword v2, off, s[0:3], 0 offset:928
	;; [unrolled: 1-line block ×4, first 2 shown]
	ds_read2_b64 v[0:3], v16 offset0:118 offset1:119
	buffer_load_dword v4, off, s[0:3], 0 offset:544
	buffer_load_dword v5, off, s[0:3], 0 offset:548
	;; [unrolled: 1-line block ×4, first 2 shown]
	s_waitcnt vmcnt(0) lgkmcnt(0)
	v_mul_f64 v[12:13], v[2:3], v[10:11]
	v_fma_f64 v[12:13], v[0:1], v[4:5], -v[12:13]
	v_mul_f64 v[0:1], v[0:1], v[10:11]
	v_fma_f64 v[0:1], v[2:3], v[4:5], v[0:1]
	buffer_load_dword v3, off, s[0:3], 0 offset:948
	buffer_load_dword v2, off, s[0:3], 0 offset:944
	s_waitcnt vmcnt(0)
	v_add_f64 v[2:3], v[2:3], -v[12:13]
	buffer_load_dword v13, off, s[0:3], 0 offset:956
	buffer_load_dword v12, off, s[0:3], 0 offset:952
	s_waitcnt vmcnt(0)
	v_add_f64 v[0:1], v[12:13], -v[0:1]
	buffer_store_dword v3, off, s[0:3], 0 offset:948
	buffer_store_dword v2, off, s[0:3], 0 offset:944
	;; [unrolled: 1-line block ×4, first 2 shown]
	ds_read2_b64 v[0:3], v16 offset0:120 offset1:121
	s_waitcnt lgkmcnt(0)
	v_mul_f64 v[12:13], v[2:3], v[10:11]
	v_fma_f64 v[12:13], v[0:1], v[4:5], -v[12:13]
	v_mul_f64 v[0:1], v[0:1], v[10:11]
	v_fma_f64 v[0:1], v[2:3], v[4:5], v[0:1]
	buffer_load_dword v2, off, s[0:3], 0 offset:960
	buffer_load_dword v3, off, s[0:3], 0 offset:964
	;; [unrolled: 1-line block ×4, first 2 shown]
	s_waitcnt vmcnt(2)
	v_add_f64 v[2:3], v[2:3], -v[12:13]
	s_waitcnt vmcnt(0)
	v_add_f64 v[0:1], v[20:21], -v[0:1]
	buffer_store_dword v3, off, s[0:3], 0 offset:964
	buffer_store_dword v2, off, s[0:3], 0 offset:960
	;; [unrolled: 1-line block ×4, first 2 shown]
	ds_read2_b64 v[0:3], v16 offset0:122 offset1:123
	s_waitcnt lgkmcnt(0)
	v_mul_f64 v[12:13], v[2:3], v[10:11]
	v_fma_f64 v[12:13], v[0:1], v[4:5], -v[12:13]
	v_mul_f64 v[0:1], v[0:1], v[10:11]
	v_fma_f64 v[0:1], v[2:3], v[4:5], v[0:1]
	buffer_load_dword v2, off, s[0:3], 0 offset:976
	buffer_load_dword v3, off, s[0:3], 0 offset:980
	;; [unrolled: 1-line block ×4, first 2 shown]
	s_waitcnt vmcnt(2)
	v_add_f64 v[2:3], v[2:3], -v[12:13]
	s_waitcnt vmcnt(0)
	v_add_f64 v[0:1], v[4:5], -v[0:1]
	buffer_store_dword v3, off, s[0:3], 0 offset:980
	buffer_store_dword v2, off, s[0:3], 0 offset:976
	;; [unrolled: 1-line block ×4, first 2 shown]
.LBB122_846:
	s_or_b64 exec, exec, s[4:5]
	v_mov_b32_e32 v3, s52
	s_waitcnt vmcnt(0)
	s_barrier
	buffer_load_dword v0, v3, s[0:3], 0 offen
	buffer_load_dword v1, v3, s[0:3], 0 offen offset:4
	buffer_load_dword v2, v3, s[0:3], 0 offen offset:8
	s_nop 0
	buffer_load_dword v3, v3, s[0:3], 0 offen offset:12
	v_lshl_add_u32 v4, v19, 4, v16
	s_cmp_lt_i32 s65, 37
	s_waitcnt vmcnt(0)
	ds_write2_b64 v4, v[0:1], v[2:3] offset1:1
	s_waitcnt lgkmcnt(0)
	s_barrier
	ds_read2_b64 v[0:3], v16 offset0:70 offset1:71
	v_mov_b32_e32 v4, 35
	s_cbranch_scc1 .LBB122_849
; %bb.847:
	v_add_u32_e32 v5, 0x240, v16
	s_mov_b32 s16, 36
	v_mov_b32_e32 v4, 35
.LBB122_848:                            ; =>This Inner Loop Header: Depth=1
	s_waitcnt lgkmcnt(0)
	v_cmp_gt_f64_e32 vcc, 0, v[2:3]
	v_cmp_gt_f64_e64 s[4:5], 0, v[0:1]
	ds_read2_b64 v[10:13], v5 offset1:1
	v_xor_b32_e32 v21, 0x80000000, v1
	v_xor_b32_e32 v23, 0x80000000, v3
	v_mov_b32_e32 v20, v0
	v_mov_b32_e32 v22, v2
	s_waitcnt lgkmcnt(0)
	v_xor_b32_e32 v25, 0x80000000, v13
	v_cndmask_b32_e32 v23, v3, v23, vcc
	v_cndmask_b32_e64 v21, v1, v21, s[4:5]
	v_cmp_gt_f64_e32 vcc, 0, v[12:13]
	v_cmp_gt_f64_e64 s[4:5], 0, v[10:11]
	v_add_f64 v[20:21], v[20:21], v[22:23]
	v_xor_b32_e32 v23, 0x80000000, v11
	v_mov_b32_e32 v22, v10
	v_mov_b32_e32 v24, v12
	v_add_u32_e32 v5, 16, v5
	v_cndmask_b32_e32 v25, v13, v25, vcc
	v_cndmask_b32_e64 v23, v11, v23, s[4:5]
	v_add_f64 v[22:23], v[22:23], v[24:25]
	v_mov_b32_e32 v24, s16
	s_add_i32 s16, s16, 1
	s_cmp_lg_u32 s65, s16
	v_cmp_lt_f64_e32 vcc, v[20:21], v[22:23]
	v_cndmask_b32_e32 v1, v1, v11, vcc
	v_cndmask_b32_e32 v0, v0, v10, vcc
	;; [unrolled: 1-line block ×5, first 2 shown]
	s_cbranch_scc1 .LBB122_848
.LBB122_849:
	s_waitcnt lgkmcnt(0)
	v_cmp_eq_f64_e32 vcc, 0, v[0:1]
	v_cmp_eq_f64_e64 s[4:5], 0, v[2:3]
	s_and_b64 s[4:5], vcc, s[4:5]
	s_and_saveexec_b64 s[16:17], s[4:5]
	s_xor_b64 s[4:5], exec, s[16:17]
; %bb.850:
	v_cmp_ne_u32_e32 vcc, 0, v17
	v_cndmask_b32_e32 v17, 36, v17, vcc
; %bb.851:
	s_andn2_saveexec_b64 s[4:5], s[4:5]
	s_cbranch_execz .LBB122_857
; %bb.852:
	v_cmp_ngt_f64_e64 s[16:17], |v[0:1]|, |v[2:3]|
	s_and_saveexec_b64 s[18:19], s[16:17]
	s_xor_b64 s[18:19], exec, s[18:19]
	s_cbranch_execz .LBB122_854
; %bb.853:
	v_div_scale_f64 v[10:11], s[16:17], v[2:3], v[2:3], v[0:1]
	v_rcp_f64_e32 v[12:13], v[10:11]
	v_fma_f64 v[20:21], -v[10:11], v[12:13], 1.0
	v_fma_f64 v[12:13], v[12:13], v[20:21], v[12:13]
	v_div_scale_f64 v[20:21], vcc, v[0:1], v[2:3], v[0:1]
	v_fma_f64 v[22:23], -v[10:11], v[12:13], 1.0
	v_fma_f64 v[12:13], v[12:13], v[22:23], v[12:13]
	v_mul_f64 v[22:23], v[20:21], v[12:13]
	v_fma_f64 v[10:11], -v[10:11], v[22:23], v[20:21]
	v_div_fmas_f64 v[10:11], v[10:11], v[12:13], v[22:23]
	v_div_fixup_f64 v[10:11], v[10:11], v[2:3], v[0:1]
	v_fma_f64 v[0:1], v[0:1], v[10:11], v[2:3]
	v_div_scale_f64 v[2:3], s[16:17], v[0:1], v[0:1], 1.0
	v_div_scale_f64 v[22:23], vcc, 1.0, v[0:1], 1.0
	v_rcp_f64_e32 v[12:13], v[2:3]
	v_fma_f64 v[20:21], -v[2:3], v[12:13], 1.0
	v_fma_f64 v[12:13], v[12:13], v[20:21], v[12:13]
	v_fma_f64 v[20:21], -v[2:3], v[12:13], 1.0
	v_fma_f64 v[12:13], v[12:13], v[20:21], v[12:13]
	v_mul_f64 v[20:21], v[22:23], v[12:13]
	v_fma_f64 v[2:3], -v[2:3], v[20:21], v[22:23]
	v_div_fmas_f64 v[2:3], v[2:3], v[12:13], v[20:21]
	v_div_fixup_f64 v[2:3], v[2:3], v[0:1], 1.0
	v_mul_f64 v[0:1], v[10:11], v[2:3]
	v_xor_b32_e32 v3, 0x80000000, v3
.LBB122_854:
	s_andn2_saveexec_b64 s[18:19], s[18:19]
	s_cbranch_execz .LBB122_856
; %bb.855:
	v_div_scale_f64 v[10:11], s[16:17], v[0:1], v[0:1], v[2:3]
	v_rcp_f64_e32 v[12:13], v[10:11]
	v_fma_f64 v[20:21], -v[10:11], v[12:13], 1.0
	v_fma_f64 v[12:13], v[12:13], v[20:21], v[12:13]
	v_div_scale_f64 v[20:21], vcc, v[2:3], v[0:1], v[2:3]
	v_fma_f64 v[22:23], -v[10:11], v[12:13], 1.0
	v_fma_f64 v[12:13], v[12:13], v[22:23], v[12:13]
	v_mul_f64 v[22:23], v[20:21], v[12:13]
	v_fma_f64 v[10:11], -v[10:11], v[22:23], v[20:21]
	v_div_fmas_f64 v[10:11], v[10:11], v[12:13], v[22:23]
	v_div_fixup_f64 v[10:11], v[10:11], v[0:1], v[2:3]
	v_fma_f64 v[0:1], v[2:3], v[10:11], v[0:1]
	v_div_scale_f64 v[2:3], s[16:17], v[0:1], v[0:1], 1.0
	v_div_scale_f64 v[22:23], vcc, 1.0, v[0:1], 1.0
	v_rcp_f64_e32 v[12:13], v[2:3]
	v_fma_f64 v[20:21], -v[2:3], v[12:13], 1.0
	v_fma_f64 v[12:13], v[12:13], v[20:21], v[12:13]
	v_fma_f64 v[20:21], -v[2:3], v[12:13], 1.0
	v_fma_f64 v[12:13], v[12:13], v[20:21], v[12:13]
	v_mul_f64 v[20:21], v[22:23], v[12:13]
	v_fma_f64 v[2:3], -v[2:3], v[20:21], v[22:23]
	v_div_fmas_f64 v[2:3], v[2:3], v[12:13], v[20:21]
	v_div_fixup_f64 v[0:1], v[2:3], v[0:1], 1.0
	v_mul_f64 v[2:3], v[10:11], -v[0:1]
.LBB122_856:
	s_or_b64 exec, exec, s[18:19]
.LBB122_857:
	s_or_b64 exec, exec, s[4:5]
	v_cmp_ne_u32_e32 vcc, v19, v4
	s_and_saveexec_b64 s[4:5], vcc
	s_xor_b64 s[4:5], exec, s[4:5]
	s_cbranch_execz .LBB122_863
; %bb.858:
	v_cmp_eq_u32_e32 vcc, 35, v19
	s_and_saveexec_b64 s[18:19], vcc
	s_cbranch_execz .LBB122_862
; %bb.859:
	v_cmp_ne_u32_e32 vcc, 35, v4
	s_xor_b64 s[16:17], s[22:23], -1
	s_and_b64 s[16:17], s[16:17], vcc
	s_and_saveexec_b64 s[24:25], s[16:17]
	s_cbranch_execz .LBB122_861
; %bb.860:
	v_ashrrev_i32_e32 v5, 31, v4
	v_lshlrev_b64 v[10:11], 2, v[4:5]
	v_add_co_u32_e32 v10, vcc, v8, v10
	v_addc_co_u32_e32 v11, vcc, v9, v11, vcc
	global_load_dword v5, v[10:11], off
	global_load_dword v12, v[8:9], off offset:140
	s_waitcnt vmcnt(1)
	global_store_dword v[8:9], v5, off offset:140
	s_waitcnt vmcnt(1)
	global_store_dword v[10:11], v12, off
.LBB122_861:
	s_or_b64 exec, exec, s[24:25]
	v_mov_b32_e32 v19, v4
	v_mov_b32_e32 v18, v4
.LBB122_862:
	s_or_b64 exec, exec, s[18:19]
.LBB122_863:
	s_andn2_saveexec_b64 s[4:5], s[4:5]
	s_cbranch_execz .LBB122_865
; %bb.864:
	v_mov_b32_e32 v11, s51
	buffer_load_dword v4, v11, s[0:3], 0 offen
	buffer_load_dword v5, v11, s[0:3], 0 offen offset:4
	buffer_load_dword v10, v11, s[0:3], 0 offen offset:8
	s_nop 0
	buffer_load_dword v11, v11, s[0:3], 0 offen offset:12
	v_mov_b32_e32 v19, 35
	s_waitcnt vmcnt(0)
	ds_write2_b64 v16, v[4:5], v[10:11] offset0:72 offset1:73
	v_mov_b32_e32 v11, s50
	buffer_load_dword v4, v11, s[0:3], 0 offen
	buffer_load_dword v5, v11, s[0:3], 0 offen offset:4
	buffer_load_dword v10, v11, s[0:3], 0 offen offset:8
	s_nop 0
	buffer_load_dword v11, v11, s[0:3], 0 offen offset:12
	s_waitcnt vmcnt(0)
	ds_write2_b64 v16, v[4:5], v[10:11] offset0:74 offset1:75
	v_mov_b32_e32 v11, s49
	buffer_load_dword v4, v11, s[0:3], 0 offen
	buffer_load_dword v5, v11, s[0:3], 0 offen offset:4
	buffer_load_dword v10, v11, s[0:3], 0 offen offset:8
	s_nop 0
	buffer_load_dword v11, v11, s[0:3], 0 offen offset:12
	s_waitcnt vmcnt(0)
	ds_write2_b64 v16, v[4:5], v[10:11] offset0:76 offset1:77
	v_mov_b32_e32 v11, s48
	buffer_load_dword v4, v11, s[0:3], 0 offen
	buffer_load_dword v5, v11, s[0:3], 0 offen offset:4
	buffer_load_dword v10, v11, s[0:3], 0 offen offset:8
	s_nop 0
	buffer_load_dword v11, v11, s[0:3], 0 offen offset:12
	s_waitcnt vmcnt(0)
	ds_write2_b64 v16, v[4:5], v[10:11] offset0:78 offset1:79
	v_mov_b32_e32 v11, s46
	buffer_load_dword v4, v11, s[0:3], 0 offen
	buffer_load_dword v5, v11, s[0:3], 0 offen offset:4
	buffer_load_dword v10, v11, s[0:3], 0 offen offset:8
	s_nop 0
	buffer_load_dword v11, v11, s[0:3], 0 offen offset:12
	s_waitcnt vmcnt(0)
	ds_write2_b64 v16, v[4:5], v[10:11] offset0:80 offset1:81
	v_mov_b32_e32 v11, s45
	buffer_load_dword v4, v11, s[0:3], 0 offen
	buffer_load_dword v5, v11, s[0:3], 0 offen offset:4
	buffer_load_dword v10, v11, s[0:3], 0 offen offset:8
	s_nop 0
	buffer_load_dword v11, v11, s[0:3], 0 offen offset:12
	s_waitcnt vmcnt(0)
	ds_write2_b64 v16, v[4:5], v[10:11] offset0:82 offset1:83
	v_mov_b32_e32 v11, s44
	buffer_load_dword v4, v11, s[0:3], 0 offen
	buffer_load_dword v5, v11, s[0:3], 0 offen offset:4
	buffer_load_dword v10, v11, s[0:3], 0 offen offset:8
	s_nop 0
	buffer_load_dword v11, v11, s[0:3], 0 offen offset:12
	s_waitcnt vmcnt(0)
	ds_write2_b64 v16, v[4:5], v[10:11] offset0:84 offset1:85
	v_mov_b32_e32 v11, s43
	buffer_load_dword v4, v11, s[0:3], 0 offen
	buffer_load_dword v5, v11, s[0:3], 0 offen offset:4
	buffer_load_dword v10, v11, s[0:3], 0 offen offset:8
	s_nop 0
	buffer_load_dword v11, v11, s[0:3], 0 offen offset:12
	s_waitcnt vmcnt(0)
	ds_write2_b64 v16, v[4:5], v[10:11] offset0:86 offset1:87
	v_mov_b32_e32 v11, s42
	buffer_load_dword v4, v11, s[0:3], 0 offen
	buffer_load_dword v5, v11, s[0:3], 0 offen offset:4
	buffer_load_dword v10, v11, s[0:3], 0 offen offset:8
	s_nop 0
	buffer_load_dword v11, v11, s[0:3], 0 offen offset:12
	s_waitcnt vmcnt(0)
	ds_write2_b64 v16, v[4:5], v[10:11] offset0:88 offset1:89
	v_mov_b32_e32 v11, s41
	buffer_load_dword v4, v11, s[0:3], 0 offen
	buffer_load_dword v5, v11, s[0:3], 0 offen offset:4
	buffer_load_dword v10, v11, s[0:3], 0 offen offset:8
	s_nop 0
	buffer_load_dword v11, v11, s[0:3], 0 offen offset:12
	s_waitcnt vmcnt(0)
	ds_write2_b64 v16, v[4:5], v[10:11] offset0:90 offset1:91
	v_mov_b32_e32 v11, s40
	buffer_load_dword v4, v11, s[0:3], 0 offen
	buffer_load_dword v5, v11, s[0:3], 0 offen offset:4
	buffer_load_dword v10, v11, s[0:3], 0 offen offset:8
	s_nop 0
	buffer_load_dword v11, v11, s[0:3], 0 offen offset:12
	s_waitcnt vmcnt(0)
	ds_write2_b64 v16, v[4:5], v[10:11] offset0:92 offset1:93
	v_mov_b32_e32 v11, s39
	buffer_load_dword v4, v11, s[0:3], 0 offen
	buffer_load_dword v5, v11, s[0:3], 0 offen offset:4
	buffer_load_dword v10, v11, s[0:3], 0 offen offset:8
	s_nop 0
	buffer_load_dword v11, v11, s[0:3], 0 offen offset:12
	s_waitcnt vmcnt(0)
	ds_write2_b64 v16, v[4:5], v[10:11] offset0:94 offset1:95
	v_mov_b32_e32 v11, s38
	buffer_load_dword v4, v11, s[0:3], 0 offen
	buffer_load_dword v5, v11, s[0:3], 0 offen offset:4
	buffer_load_dword v10, v11, s[0:3], 0 offen offset:8
	s_nop 0
	buffer_load_dword v11, v11, s[0:3], 0 offen offset:12
	s_waitcnt vmcnt(0)
	ds_write2_b64 v16, v[4:5], v[10:11] offset0:96 offset1:97
	v_mov_b32_e32 v11, s37
	buffer_load_dword v4, v11, s[0:3], 0 offen
	buffer_load_dword v5, v11, s[0:3], 0 offen offset:4
	buffer_load_dword v10, v11, s[0:3], 0 offen offset:8
	s_nop 0
	buffer_load_dword v11, v11, s[0:3], 0 offen offset:12
	s_waitcnt vmcnt(0)
	ds_write2_b64 v16, v[4:5], v[10:11] offset0:98 offset1:99
	v_mov_b32_e32 v11, s36
	buffer_load_dword v4, v11, s[0:3], 0 offen
	buffer_load_dword v5, v11, s[0:3], 0 offen offset:4
	buffer_load_dword v10, v11, s[0:3], 0 offen offset:8
	s_nop 0
	buffer_load_dword v11, v11, s[0:3], 0 offen offset:12
	s_waitcnt vmcnt(0)
	ds_write2_b64 v16, v[4:5], v[10:11] offset0:100 offset1:101
	v_mov_b32_e32 v11, s35
	buffer_load_dword v4, v11, s[0:3], 0 offen
	buffer_load_dword v5, v11, s[0:3], 0 offen offset:4
	buffer_load_dword v10, v11, s[0:3], 0 offen offset:8
	s_nop 0
	buffer_load_dword v11, v11, s[0:3], 0 offen offset:12
	s_waitcnt vmcnt(0)
	ds_write2_b64 v16, v[4:5], v[10:11] offset0:102 offset1:103
	v_mov_b32_e32 v11, s34
	buffer_load_dword v4, v11, s[0:3], 0 offen
	buffer_load_dword v5, v11, s[0:3], 0 offen offset:4
	buffer_load_dword v10, v11, s[0:3], 0 offen offset:8
	s_nop 0
	buffer_load_dword v11, v11, s[0:3], 0 offen offset:12
	s_waitcnt vmcnt(0)
	ds_write2_b64 v16, v[4:5], v[10:11] offset0:104 offset1:105
	v_mov_b32_e32 v11, s33
	buffer_load_dword v4, v11, s[0:3], 0 offen
	buffer_load_dword v5, v11, s[0:3], 0 offen offset:4
	buffer_load_dword v10, v11, s[0:3], 0 offen offset:8
	s_nop 0
	buffer_load_dword v11, v11, s[0:3], 0 offen offset:12
	s_waitcnt vmcnt(0)
	ds_write2_b64 v16, v[4:5], v[10:11] offset0:106 offset1:107
	v_mov_b32_e32 v11, s31
	buffer_load_dword v4, v11, s[0:3], 0 offen
	buffer_load_dword v5, v11, s[0:3], 0 offen offset:4
	buffer_load_dword v10, v11, s[0:3], 0 offen offset:8
	s_nop 0
	buffer_load_dword v11, v11, s[0:3], 0 offen offset:12
	s_waitcnt vmcnt(0)
	ds_write2_b64 v16, v[4:5], v[10:11] offset0:108 offset1:109
	v_mov_b32_e32 v11, s30
	buffer_load_dword v4, v11, s[0:3], 0 offen
	buffer_load_dword v5, v11, s[0:3], 0 offen offset:4
	buffer_load_dword v10, v11, s[0:3], 0 offen offset:8
	s_nop 0
	buffer_load_dword v11, v11, s[0:3], 0 offen offset:12
	s_waitcnt vmcnt(0)
	ds_write2_b64 v16, v[4:5], v[10:11] offset0:110 offset1:111
	v_mov_b32_e32 v11, s29
	buffer_load_dword v4, v11, s[0:3], 0 offen
	buffer_load_dword v5, v11, s[0:3], 0 offen offset:4
	buffer_load_dword v10, v11, s[0:3], 0 offen offset:8
	s_nop 0
	buffer_load_dword v11, v11, s[0:3], 0 offen offset:12
	s_waitcnt vmcnt(0)
	ds_write2_b64 v16, v[4:5], v[10:11] offset0:112 offset1:113
	v_mov_b32_e32 v11, s28
	buffer_load_dword v4, v11, s[0:3], 0 offen
	buffer_load_dword v5, v11, s[0:3], 0 offen offset:4
	buffer_load_dword v10, v11, s[0:3], 0 offen offset:8
	s_nop 0
	buffer_load_dword v11, v11, s[0:3], 0 offen offset:12
	s_waitcnt vmcnt(0)
	ds_write2_b64 v16, v[4:5], v[10:11] offset0:114 offset1:115
	v_mov_b32_e32 v11, s27
	buffer_load_dword v4, v11, s[0:3], 0 offen
	buffer_load_dword v5, v11, s[0:3], 0 offen offset:4
	buffer_load_dword v10, v11, s[0:3], 0 offen offset:8
	s_nop 0
	buffer_load_dword v11, v11, s[0:3], 0 offen offset:12
	s_waitcnt vmcnt(0)
	ds_write2_b64 v16, v[4:5], v[10:11] offset0:116 offset1:117
	v_mov_b32_e32 v11, s26
	buffer_load_dword v4, v11, s[0:3], 0 offen
	buffer_load_dword v5, v11, s[0:3], 0 offen offset:4
	buffer_load_dword v10, v11, s[0:3], 0 offen offset:8
	s_nop 0
	buffer_load_dword v11, v11, s[0:3], 0 offen offset:12
	s_waitcnt vmcnt(0)
	ds_write2_b64 v16, v[4:5], v[10:11] offset0:118 offset1:119
	v_mov_b32_e32 v11, s20
	buffer_load_dword v4, v11, s[0:3], 0 offen
	buffer_load_dword v5, v11, s[0:3], 0 offen offset:4
	buffer_load_dword v10, v11, s[0:3], 0 offen offset:8
	s_nop 0
	buffer_load_dword v11, v11, s[0:3], 0 offen offset:12
	s_waitcnt vmcnt(0)
	ds_write2_b64 v16, v[4:5], v[10:11] offset0:120 offset1:121
	v_mov_b32_e32 v11, s7
	buffer_load_dword v4, v11, s[0:3], 0 offen
	buffer_load_dword v5, v11, s[0:3], 0 offen offset:4
	buffer_load_dword v10, v11, s[0:3], 0 offen offset:8
	s_nop 0
	buffer_load_dword v11, v11, s[0:3], 0 offen offset:12
	s_waitcnt vmcnt(0)
	ds_write2_b64 v16, v[4:5], v[10:11] offset0:122 offset1:123
.LBB122_865:
	s_or_b64 exec, exec, s[4:5]
	v_cmp_lt_i32_e32 vcc, 35, v19
	s_waitcnt vmcnt(0) lgkmcnt(0)
	s_barrier
	s_and_saveexec_b64 s[4:5], vcc
	s_cbranch_execz .LBB122_867
; %bb.866:
	buffer_load_dword v10, off, s[0:3], 0 offset:560
	buffer_load_dword v11, off, s[0:3], 0 offset:564
	;; [unrolled: 1-line block ×16, first 2 shown]
	s_waitcnt vmcnt(12)
	v_mul_f64 v[4:5], v[2:3], v[12:13]
	v_fma_f64 v[4:5], v[0:1], v[10:11], -v[4:5]
	v_mul_f64 v[0:1], v[0:1], v[12:13]
	v_fma_f64 v[0:1], v[2:3], v[10:11], v[0:1]
	buffer_store_dword v4, off, s[0:3], 0 offset:560
	buffer_store_dword v5, off, s[0:3], 0 offset:564
	buffer_store_dword v0, off, s[0:3], 0 offset:568
	buffer_store_dword v1, off, s[0:3], 0 offset:572
	ds_read2_b64 v[10:13], v16 offset0:72 offset1:73
	s_waitcnt lgkmcnt(0)
	v_mul_f64 v[2:3], v[12:13], v[0:1]
	v_fma_f64 v[2:3], v[10:11], v[4:5], -v[2:3]
	v_mul_f64 v[10:11], v[10:11], v[0:1]
	s_waitcnt vmcnt(14)
	v_add_f64 v[2:3], v[20:21], -v[2:3]
	v_fma_f64 v[10:11], v[12:13], v[4:5], v[10:11]
	s_waitcnt vmcnt(12)
	v_add_f64 v[10:11], v[22:23], -v[10:11]
	buffer_store_dword v2, off, s[0:3], 0 offset:576
	buffer_store_dword v3, off, s[0:3], 0 offset:580
	buffer_store_dword v10, off, s[0:3], 0 offset:584
	buffer_store_dword v11, off, s[0:3], 0 offset:588
	ds_read2_b64 v[10:13], v16 offset0:74 offset1:75
	s_waitcnt lgkmcnt(0)
	v_mul_f64 v[2:3], v[12:13], v[0:1]
	v_fma_f64 v[2:3], v[10:11], v[4:5], -v[2:3]
	v_mul_f64 v[10:11], v[10:11], v[0:1]
	s_waitcnt vmcnt(14)
	v_add_f64 v[2:3], v[24:25], -v[2:3]
	v_fma_f64 v[10:11], v[12:13], v[4:5], v[10:11]
	s_waitcnt vmcnt(12)
	v_add_f64 v[10:11], v[26:27], -v[10:11]
	;; [unrolled: 14-line block ×3, first 2 shown]
	buffer_store_dword v3, off, s[0:3], 0 offset:612
	buffer_store_dword v2, off, s[0:3], 0 offset:608
	;; [unrolled: 1-line block ×4, first 2 shown]
	ds_read2_b64 v[10:13], v16 offset0:78 offset1:79
	s_waitcnt lgkmcnt(0)
	v_mul_f64 v[2:3], v[12:13], v[0:1]
	v_fma_f64 v[2:3], v[10:11], v[4:5], -v[2:3]
	v_mul_f64 v[10:11], v[10:11], v[0:1]
	v_fma_f64 v[10:11], v[12:13], v[4:5], v[10:11]
	buffer_load_dword v12, off, s[0:3], 0 offset:624
	buffer_load_dword v13, off, s[0:3], 0 offset:628
	;; [unrolled: 1-line block ×4, first 2 shown]
	s_waitcnt vmcnt(2)
	v_add_f64 v[2:3], v[12:13], -v[2:3]
	s_waitcnt vmcnt(0)
	v_add_f64 v[10:11], v[20:21], -v[10:11]
	buffer_store_dword v3, off, s[0:3], 0 offset:628
	buffer_store_dword v2, off, s[0:3], 0 offset:624
	;; [unrolled: 1-line block ×4, first 2 shown]
	ds_read2_b64 v[10:13], v16 offset0:80 offset1:81
	s_waitcnt lgkmcnt(0)
	v_mul_f64 v[2:3], v[12:13], v[0:1]
	v_fma_f64 v[2:3], v[10:11], v[4:5], -v[2:3]
	v_mul_f64 v[10:11], v[10:11], v[0:1]
	v_fma_f64 v[10:11], v[12:13], v[4:5], v[10:11]
	buffer_load_dword v12, off, s[0:3], 0 offset:640
	buffer_load_dword v13, off, s[0:3], 0 offset:644
	;; [unrolled: 1-line block ×4, first 2 shown]
	s_waitcnt vmcnt(2)
	v_add_f64 v[2:3], v[12:13], -v[2:3]
	s_waitcnt vmcnt(0)
	v_add_f64 v[10:11], v[20:21], -v[10:11]
	buffer_store_dword v3, off, s[0:3], 0 offset:644
	buffer_store_dword v2, off, s[0:3], 0 offset:640
	;; [unrolled: 1-line block ×4, first 2 shown]
	ds_read2_b64 v[10:13], v16 offset0:82 offset1:83
	s_waitcnt lgkmcnt(0)
	v_mul_f64 v[2:3], v[12:13], v[0:1]
	v_mul_f64 v[0:1], v[10:11], v[0:1]
	v_fma_f64 v[2:3], v[10:11], v[4:5], -v[2:3]
	v_fma_f64 v[0:1], v[12:13], v[4:5], v[0:1]
	buffer_load_dword v4, off, s[0:3], 0 offset:656
	buffer_load_dword v5, off, s[0:3], 0 offset:660
	;; [unrolled: 1-line block ×4, first 2 shown]
	s_waitcnt vmcnt(2)
	v_add_f64 v[2:3], v[4:5], -v[2:3]
	s_waitcnt vmcnt(0)
	v_add_f64 v[0:1], v[10:11], -v[0:1]
	buffer_store_dword v3, off, s[0:3], 0 offset:660
	buffer_store_dword v2, off, s[0:3], 0 offset:656
	buffer_store_dword v1, off, s[0:3], 0 offset:668
	buffer_store_dword v0, off, s[0:3], 0 offset:664
	ds_read2_b64 v[0:3], v16 offset0:84 offset1:85
	buffer_load_dword v4, off, s[0:3], 0 offset:560
	buffer_load_dword v5, off, s[0:3], 0 offset:564
	;; [unrolled: 1-line block ×4, first 2 shown]
	s_waitcnt vmcnt(0) lgkmcnt(0)
	v_mul_f64 v[12:13], v[2:3], v[10:11]
	v_fma_f64 v[12:13], v[0:1], v[4:5], -v[12:13]
	v_mul_f64 v[0:1], v[0:1], v[10:11]
	v_fma_f64 v[0:1], v[2:3], v[4:5], v[0:1]
	buffer_load_dword v3, off, s[0:3], 0 offset:676
	buffer_load_dword v2, off, s[0:3], 0 offset:672
	s_waitcnt vmcnt(0)
	v_add_f64 v[2:3], v[2:3], -v[12:13]
	buffer_load_dword v13, off, s[0:3], 0 offset:684
	buffer_load_dword v12, off, s[0:3], 0 offset:680
	s_waitcnt vmcnt(0)
	v_add_f64 v[0:1], v[12:13], -v[0:1]
	buffer_store_dword v3, off, s[0:3], 0 offset:676
	buffer_store_dword v2, off, s[0:3], 0 offset:672
	buffer_store_dword v1, off, s[0:3], 0 offset:684
	buffer_store_dword v0, off, s[0:3], 0 offset:680
	ds_read2_b64 v[0:3], v16 offset0:86 offset1:87
	s_waitcnt lgkmcnt(0)
	v_mul_f64 v[12:13], v[2:3], v[10:11]
	v_fma_f64 v[12:13], v[0:1], v[4:5], -v[12:13]
	v_mul_f64 v[0:1], v[0:1], v[10:11]
	v_fma_f64 v[0:1], v[2:3], v[4:5], v[0:1]
	buffer_load_dword v2, off, s[0:3], 0 offset:688
	buffer_load_dword v3, off, s[0:3], 0 offset:692
	buffer_load_dword v20, off, s[0:3], 0 offset:696
	buffer_load_dword v21, off, s[0:3], 0 offset:700
	s_waitcnt vmcnt(2)
	v_add_f64 v[2:3], v[2:3], -v[12:13]
	s_waitcnt vmcnt(0)
	v_add_f64 v[0:1], v[20:21], -v[0:1]
	buffer_store_dword v3, off, s[0:3], 0 offset:692
	buffer_store_dword v2, off, s[0:3], 0 offset:688
	buffer_store_dword v1, off, s[0:3], 0 offset:700
	buffer_store_dword v0, off, s[0:3], 0 offset:696
	ds_read2_b64 v[0:3], v16 offset0:88 offset1:89
	s_waitcnt lgkmcnt(0)
	v_mul_f64 v[12:13], v[2:3], v[10:11]
	v_fma_f64 v[12:13], v[0:1], v[4:5], -v[12:13]
	v_mul_f64 v[0:1], v[0:1], v[10:11]
	v_fma_f64 v[0:1], v[2:3], v[4:5], v[0:1]
	buffer_load_dword v2, off, s[0:3], 0 offset:704
	buffer_load_dword v3, off, s[0:3], 0 offset:708
	buffer_load_dword v20, off, s[0:3], 0 offset:712
	buffer_load_dword v21, off, s[0:3], 0 offset:716
	s_waitcnt vmcnt(2)
	v_add_f64 v[2:3], v[2:3], -v[12:13]
	;; [unrolled: 18-line block ×5, first 2 shown]
	s_waitcnt vmcnt(0)
	v_add_f64 v[0:1], v[4:5], -v[0:1]
	buffer_store_dword v3, off, s[0:3], 0 offset:756
	buffer_store_dword v2, off, s[0:3], 0 offset:752
	;; [unrolled: 1-line block ×4, first 2 shown]
	ds_read2_b64 v[0:3], v16 offset0:96 offset1:97
	buffer_load_dword v4, off, s[0:3], 0 offset:560
	buffer_load_dword v5, off, s[0:3], 0 offset:564
	;; [unrolled: 1-line block ×4, first 2 shown]
	s_waitcnt vmcnt(0) lgkmcnt(0)
	v_mul_f64 v[12:13], v[2:3], v[10:11]
	v_fma_f64 v[12:13], v[0:1], v[4:5], -v[12:13]
	v_mul_f64 v[0:1], v[0:1], v[10:11]
	v_fma_f64 v[0:1], v[2:3], v[4:5], v[0:1]
	buffer_load_dword v3, off, s[0:3], 0 offset:772
	buffer_load_dword v2, off, s[0:3], 0 offset:768
	s_waitcnt vmcnt(0)
	v_add_f64 v[2:3], v[2:3], -v[12:13]
	buffer_load_dword v13, off, s[0:3], 0 offset:780
	buffer_load_dword v12, off, s[0:3], 0 offset:776
	s_waitcnt vmcnt(0)
	v_add_f64 v[0:1], v[12:13], -v[0:1]
	buffer_store_dword v3, off, s[0:3], 0 offset:772
	buffer_store_dword v2, off, s[0:3], 0 offset:768
	buffer_store_dword v1, off, s[0:3], 0 offset:780
	buffer_store_dword v0, off, s[0:3], 0 offset:776
	ds_read2_b64 v[0:3], v16 offset0:98 offset1:99
	s_waitcnt lgkmcnt(0)
	v_mul_f64 v[12:13], v[2:3], v[10:11]
	v_fma_f64 v[12:13], v[0:1], v[4:5], -v[12:13]
	v_mul_f64 v[0:1], v[0:1], v[10:11]
	v_fma_f64 v[0:1], v[2:3], v[4:5], v[0:1]
	buffer_load_dword v2, off, s[0:3], 0 offset:784
	buffer_load_dword v3, off, s[0:3], 0 offset:788
	buffer_load_dword v20, off, s[0:3], 0 offset:792
	buffer_load_dword v21, off, s[0:3], 0 offset:796
	s_waitcnt vmcnt(2)
	v_add_f64 v[2:3], v[2:3], -v[12:13]
	s_waitcnt vmcnt(0)
	v_add_f64 v[0:1], v[20:21], -v[0:1]
	buffer_store_dword v3, off, s[0:3], 0 offset:788
	buffer_store_dword v2, off, s[0:3], 0 offset:784
	buffer_store_dword v1, off, s[0:3], 0 offset:796
	buffer_store_dword v0, off, s[0:3], 0 offset:792
	ds_read2_b64 v[0:3], v16 offset0:100 offset1:101
	s_waitcnt lgkmcnt(0)
	v_mul_f64 v[12:13], v[2:3], v[10:11]
	v_fma_f64 v[12:13], v[0:1], v[4:5], -v[12:13]
	v_mul_f64 v[0:1], v[0:1], v[10:11]
	v_fma_f64 v[0:1], v[2:3], v[4:5], v[0:1]
	buffer_load_dword v2, off, s[0:3], 0 offset:800
	buffer_load_dword v3, off, s[0:3], 0 offset:804
	buffer_load_dword v20, off, s[0:3], 0 offset:808
	buffer_load_dword v21, off, s[0:3], 0 offset:812
	s_waitcnt vmcnt(2)
	v_add_f64 v[2:3], v[2:3], -v[12:13]
	;; [unrolled: 18-line block ×5, first 2 shown]
	s_waitcnt vmcnt(0)
	v_add_f64 v[0:1], v[4:5], -v[0:1]
	buffer_store_dword v3, off, s[0:3], 0 offset:852
	buffer_store_dword v2, off, s[0:3], 0 offset:848
	;; [unrolled: 1-line block ×4, first 2 shown]
	ds_read2_b64 v[2:5], v16 offset0:108 offset1:109
	buffer_load_dword v0, off, s[0:3], 0 offset:560
	buffer_load_dword v1, off, s[0:3], 0 offset:564
	;; [unrolled: 1-line block ×4, first 2 shown]
	s_waitcnt vmcnt(0) lgkmcnt(0)
	v_mul_f64 v[12:13], v[4:5], v[10:11]
	v_fma_f64 v[12:13], v[2:3], v[0:1], -v[12:13]
	v_mul_f64 v[2:3], v[2:3], v[10:11]
	v_fma_f64 v[2:3], v[4:5], v[0:1], v[2:3]
	buffer_load_dword v5, off, s[0:3], 0 offset:868
	buffer_load_dword v4, off, s[0:3], 0 offset:864
	s_waitcnt vmcnt(0)
	v_add_f64 v[4:5], v[4:5], -v[12:13]
	buffer_load_dword v13, off, s[0:3], 0 offset:876
	buffer_load_dword v12, off, s[0:3], 0 offset:872
	s_waitcnt vmcnt(0)
	v_add_f64 v[2:3], v[12:13], -v[2:3]
	buffer_store_dword v5, off, s[0:3], 0 offset:868
	buffer_store_dword v4, off, s[0:3], 0 offset:864
	buffer_store_dword v3, off, s[0:3], 0 offset:876
	buffer_store_dword v2, off, s[0:3], 0 offset:872
	ds_read2_b64 v[2:5], v16 offset0:110 offset1:111
	s_waitcnt lgkmcnt(0)
	v_mul_f64 v[12:13], v[4:5], v[10:11]
	v_fma_f64 v[12:13], v[2:3], v[0:1], -v[12:13]
	v_mul_f64 v[2:3], v[2:3], v[10:11]
	v_fma_f64 v[2:3], v[4:5], v[0:1], v[2:3]
	buffer_load_dword v4, off, s[0:3], 0 offset:880
	buffer_load_dword v5, off, s[0:3], 0 offset:884
	buffer_load_dword v20, off, s[0:3], 0 offset:888
	buffer_load_dword v21, off, s[0:3], 0 offset:892
	s_waitcnt vmcnt(2)
	v_add_f64 v[4:5], v[4:5], -v[12:13]
	s_waitcnt vmcnt(0)
	v_add_f64 v[2:3], v[20:21], -v[2:3]
	buffer_store_dword v5, off, s[0:3], 0 offset:884
	buffer_store_dword v4, off, s[0:3], 0 offset:880
	buffer_store_dword v3, off, s[0:3], 0 offset:892
	buffer_store_dword v2, off, s[0:3], 0 offset:888
	ds_read2_b64 v[2:5], v16 offset0:112 offset1:113
	s_waitcnt lgkmcnt(0)
	v_mul_f64 v[12:13], v[4:5], v[10:11]
	v_fma_f64 v[12:13], v[2:3], v[0:1], -v[12:13]
	v_mul_f64 v[2:3], v[2:3], v[10:11]
	v_fma_f64 v[2:3], v[4:5], v[0:1], v[2:3]
	buffer_load_dword v4, off, s[0:3], 0 offset:896
	buffer_load_dword v5, off, s[0:3], 0 offset:900
	buffer_load_dword v20, off, s[0:3], 0 offset:904
	buffer_load_dword v21, off, s[0:3], 0 offset:908
	s_waitcnt vmcnt(2)
	v_add_f64 v[4:5], v[4:5], -v[12:13]
	;; [unrolled: 18-line block ×5, first 2 shown]
	s_waitcnt vmcnt(0)
	v_add_f64 v[0:1], v[4:5], -v[0:1]
	buffer_store_dword v3, off, s[0:3], 0 offset:948
	buffer_store_dword v2, off, s[0:3], 0 offset:944
	;; [unrolled: 1-line block ×4, first 2 shown]
	ds_read2_b64 v[20:23], v16 offset0:120 offset1:121
	buffer_load_dword v0, off, s[0:3], 0 offset:560
	buffer_load_dword v1, off, s[0:3], 0 offset:564
	;; [unrolled: 1-line block ×6, first 2 shown]
	s_waitcnt vmcnt(2) lgkmcnt(0)
	v_mul_f64 v[4:5], v[22:23], v[2:3]
	v_fma_f64 v[10:11], v[20:21], v[0:1], -v[4:5]
	v_mul_f64 v[4:5], v[20:21], v[2:3]
	s_waitcnt vmcnt(0)
	v_add_f64 v[10:11], v[12:13], -v[10:11]
	buffer_load_dword v13, off, s[0:3], 0 offset:972
	buffer_load_dword v12, off, s[0:3], 0 offset:968
	v_fma_f64 v[4:5], v[22:23], v[0:1], v[4:5]
	s_waitcnt vmcnt(0)
	v_add_f64 v[4:5], v[12:13], -v[4:5]
	buffer_store_dword v11, off, s[0:3], 0 offset:964
	buffer_store_dword v10, off, s[0:3], 0 offset:960
	buffer_store_dword v5, off, s[0:3], 0 offset:972
	buffer_store_dword v4, off, s[0:3], 0 offset:968
	ds_read2_b64 v[10:13], v16 offset0:122 offset1:123
	s_waitcnt lgkmcnt(0)
	v_mul_f64 v[4:5], v[12:13], v[2:3]
	v_mul_f64 v[2:3], v[10:11], v[2:3]
	v_fma_f64 v[4:5], v[10:11], v[0:1], -v[4:5]
	v_fma_f64 v[0:1], v[12:13], v[0:1], v[2:3]
	buffer_load_dword v2, off, s[0:3], 0 offset:976
	buffer_load_dword v3, off, s[0:3], 0 offset:980
	buffer_load_dword v10, off, s[0:3], 0 offset:984
	buffer_load_dword v11, off, s[0:3], 0 offset:988
	s_waitcnt vmcnt(2)
	v_add_f64 v[2:3], v[2:3], -v[4:5]
	s_waitcnt vmcnt(0)
	v_add_f64 v[0:1], v[10:11], -v[0:1]
	buffer_store_dword v3, off, s[0:3], 0 offset:980
	buffer_store_dword v2, off, s[0:3], 0 offset:976
	;; [unrolled: 1-line block ×4, first 2 shown]
.LBB122_867:
	s_or_b64 exec, exec, s[4:5]
	v_mov_b32_e32 v3, s51
	s_waitcnt vmcnt(0)
	s_barrier
	buffer_load_dword v0, v3, s[0:3], 0 offen
	buffer_load_dword v1, v3, s[0:3], 0 offen offset:4
	buffer_load_dword v2, v3, s[0:3], 0 offen offset:8
	s_nop 0
	buffer_load_dword v3, v3, s[0:3], 0 offen offset:12
	v_lshl_add_u32 v4, v19, 4, v16
	s_cmp_lt_i32 s65, 38
	s_waitcnt vmcnt(0)
	ds_write2_b64 v4, v[0:1], v[2:3] offset1:1
	s_waitcnt lgkmcnt(0)
	s_barrier
	ds_read2_b64 v[0:3], v16 offset0:72 offset1:73
	v_mov_b32_e32 v4, 36
	s_cbranch_scc1 .LBB122_870
; %bb.868:
	v_add_u32_e32 v5, 0x250, v16
	s_mov_b32 s16, 37
	v_mov_b32_e32 v4, 36
.LBB122_869:                            ; =>This Inner Loop Header: Depth=1
	s_waitcnt lgkmcnt(0)
	v_cmp_gt_f64_e32 vcc, 0, v[2:3]
	v_cmp_gt_f64_e64 s[4:5], 0, v[0:1]
	ds_read2_b64 v[10:13], v5 offset1:1
	v_xor_b32_e32 v21, 0x80000000, v1
	v_xor_b32_e32 v23, 0x80000000, v3
	v_mov_b32_e32 v20, v0
	v_mov_b32_e32 v22, v2
	s_waitcnt lgkmcnt(0)
	v_xor_b32_e32 v25, 0x80000000, v13
	v_cndmask_b32_e32 v23, v3, v23, vcc
	v_cndmask_b32_e64 v21, v1, v21, s[4:5]
	v_cmp_gt_f64_e32 vcc, 0, v[12:13]
	v_cmp_gt_f64_e64 s[4:5], 0, v[10:11]
	v_add_f64 v[20:21], v[20:21], v[22:23]
	v_xor_b32_e32 v23, 0x80000000, v11
	v_mov_b32_e32 v22, v10
	v_mov_b32_e32 v24, v12
	v_add_u32_e32 v5, 16, v5
	v_cndmask_b32_e32 v25, v13, v25, vcc
	v_cndmask_b32_e64 v23, v11, v23, s[4:5]
	v_add_f64 v[22:23], v[22:23], v[24:25]
	v_mov_b32_e32 v24, s16
	s_add_i32 s16, s16, 1
	s_cmp_lg_u32 s65, s16
	v_cmp_lt_f64_e32 vcc, v[20:21], v[22:23]
	v_cndmask_b32_e32 v1, v1, v11, vcc
	v_cndmask_b32_e32 v0, v0, v10, vcc
	;; [unrolled: 1-line block ×5, first 2 shown]
	s_cbranch_scc1 .LBB122_869
.LBB122_870:
	s_waitcnt lgkmcnt(0)
	v_cmp_eq_f64_e32 vcc, 0, v[0:1]
	v_cmp_eq_f64_e64 s[4:5], 0, v[2:3]
	s_and_b64 s[4:5], vcc, s[4:5]
	s_and_saveexec_b64 s[16:17], s[4:5]
	s_xor_b64 s[4:5], exec, s[16:17]
; %bb.871:
	v_cmp_ne_u32_e32 vcc, 0, v17
	v_cndmask_b32_e32 v17, 37, v17, vcc
; %bb.872:
	s_andn2_saveexec_b64 s[4:5], s[4:5]
	s_cbranch_execz .LBB122_878
; %bb.873:
	v_cmp_ngt_f64_e64 s[16:17], |v[0:1]|, |v[2:3]|
	s_and_saveexec_b64 s[18:19], s[16:17]
	s_xor_b64 s[18:19], exec, s[18:19]
	s_cbranch_execz .LBB122_875
; %bb.874:
	v_div_scale_f64 v[10:11], s[16:17], v[2:3], v[2:3], v[0:1]
	v_rcp_f64_e32 v[12:13], v[10:11]
	v_fma_f64 v[20:21], -v[10:11], v[12:13], 1.0
	v_fma_f64 v[12:13], v[12:13], v[20:21], v[12:13]
	v_div_scale_f64 v[20:21], vcc, v[0:1], v[2:3], v[0:1]
	v_fma_f64 v[22:23], -v[10:11], v[12:13], 1.0
	v_fma_f64 v[12:13], v[12:13], v[22:23], v[12:13]
	v_mul_f64 v[22:23], v[20:21], v[12:13]
	v_fma_f64 v[10:11], -v[10:11], v[22:23], v[20:21]
	v_div_fmas_f64 v[10:11], v[10:11], v[12:13], v[22:23]
	v_div_fixup_f64 v[10:11], v[10:11], v[2:3], v[0:1]
	v_fma_f64 v[0:1], v[0:1], v[10:11], v[2:3]
	v_div_scale_f64 v[2:3], s[16:17], v[0:1], v[0:1], 1.0
	v_div_scale_f64 v[22:23], vcc, 1.0, v[0:1], 1.0
	v_rcp_f64_e32 v[12:13], v[2:3]
	v_fma_f64 v[20:21], -v[2:3], v[12:13], 1.0
	v_fma_f64 v[12:13], v[12:13], v[20:21], v[12:13]
	v_fma_f64 v[20:21], -v[2:3], v[12:13], 1.0
	v_fma_f64 v[12:13], v[12:13], v[20:21], v[12:13]
	v_mul_f64 v[20:21], v[22:23], v[12:13]
	v_fma_f64 v[2:3], -v[2:3], v[20:21], v[22:23]
	v_div_fmas_f64 v[2:3], v[2:3], v[12:13], v[20:21]
	v_div_fixup_f64 v[2:3], v[2:3], v[0:1], 1.0
	v_mul_f64 v[0:1], v[10:11], v[2:3]
	v_xor_b32_e32 v3, 0x80000000, v3
.LBB122_875:
	s_andn2_saveexec_b64 s[18:19], s[18:19]
	s_cbranch_execz .LBB122_877
; %bb.876:
	v_div_scale_f64 v[10:11], s[16:17], v[0:1], v[0:1], v[2:3]
	v_rcp_f64_e32 v[12:13], v[10:11]
	v_fma_f64 v[20:21], -v[10:11], v[12:13], 1.0
	v_fma_f64 v[12:13], v[12:13], v[20:21], v[12:13]
	v_div_scale_f64 v[20:21], vcc, v[2:3], v[0:1], v[2:3]
	v_fma_f64 v[22:23], -v[10:11], v[12:13], 1.0
	v_fma_f64 v[12:13], v[12:13], v[22:23], v[12:13]
	v_mul_f64 v[22:23], v[20:21], v[12:13]
	v_fma_f64 v[10:11], -v[10:11], v[22:23], v[20:21]
	v_div_fmas_f64 v[10:11], v[10:11], v[12:13], v[22:23]
	v_div_fixup_f64 v[10:11], v[10:11], v[0:1], v[2:3]
	v_fma_f64 v[0:1], v[2:3], v[10:11], v[0:1]
	v_div_scale_f64 v[2:3], s[16:17], v[0:1], v[0:1], 1.0
	v_div_scale_f64 v[22:23], vcc, 1.0, v[0:1], 1.0
	v_rcp_f64_e32 v[12:13], v[2:3]
	v_fma_f64 v[20:21], -v[2:3], v[12:13], 1.0
	v_fma_f64 v[12:13], v[12:13], v[20:21], v[12:13]
	v_fma_f64 v[20:21], -v[2:3], v[12:13], 1.0
	v_fma_f64 v[12:13], v[12:13], v[20:21], v[12:13]
	v_mul_f64 v[20:21], v[22:23], v[12:13]
	v_fma_f64 v[2:3], -v[2:3], v[20:21], v[22:23]
	v_div_fmas_f64 v[2:3], v[2:3], v[12:13], v[20:21]
	v_div_fixup_f64 v[0:1], v[2:3], v[0:1], 1.0
	v_mul_f64 v[2:3], v[10:11], -v[0:1]
.LBB122_877:
	s_or_b64 exec, exec, s[18:19]
.LBB122_878:
	s_or_b64 exec, exec, s[4:5]
	v_cmp_ne_u32_e32 vcc, v19, v4
	s_and_saveexec_b64 s[4:5], vcc
	s_xor_b64 s[4:5], exec, s[4:5]
	s_cbranch_execz .LBB122_884
; %bb.879:
	v_cmp_eq_u32_e32 vcc, 36, v19
	s_and_saveexec_b64 s[18:19], vcc
	s_cbranch_execz .LBB122_883
; %bb.880:
	v_cmp_ne_u32_e32 vcc, 36, v4
	s_xor_b64 s[16:17], s[22:23], -1
	s_and_b64 s[16:17], s[16:17], vcc
	s_and_saveexec_b64 s[24:25], s[16:17]
	s_cbranch_execz .LBB122_882
; %bb.881:
	v_ashrrev_i32_e32 v5, 31, v4
	v_lshlrev_b64 v[10:11], 2, v[4:5]
	v_add_co_u32_e32 v10, vcc, v8, v10
	v_addc_co_u32_e32 v11, vcc, v9, v11, vcc
	global_load_dword v5, v[10:11], off
	global_load_dword v12, v[8:9], off offset:144
	s_waitcnt vmcnt(1)
	global_store_dword v[8:9], v5, off offset:144
	s_waitcnt vmcnt(1)
	global_store_dword v[10:11], v12, off
.LBB122_882:
	s_or_b64 exec, exec, s[24:25]
	v_mov_b32_e32 v19, v4
	v_mov_b32_e32 v18, v4
.LBB122_883:
	s_or_b64 exec, exec, s[18:19]
.LBB122_884:
	s_andn2_saveexec_b64 s[4:5], s[4:5]
	s_cbranch_execz .LBB122_886
; %bb.885:
	v_mov_b32_e32 v11, s50
	buffer_load_dword v4, v11, s[0:3], 0 offen
	buffer_load_dword v5, v11, s[0:3], 0 offen offset:4
	buffer_load_dword v10, v11, s[0:3], 0 offen offset:8
	s_nop 0
	buffer_load_dword v11, v11, s[0:3], 0 offen offset:12
	v_mov_b32_e32 v19, 36
	s_waitcnt vmcnt(0)
	ds_write2_b64 v16, v[4:5], v[10:11] offset0:74 offset1:75
	v_mov_b32_e32 v11, s49
	buffer_load_dword v4, v11, s[0:3], 0 offen
	buffer_load_dword v5, v11, s[0:3], 0 offen offset:4
	buffer_load_dword v10, v11, s[0:3], 0 offen offset:8
	s_nop 0
	buffer_load_dword v11, v11, s[0:3], 0 offen offset:12
	s_waitcnt vmcnt(0)
	ds_write2_b64 v16, v[4:5], v[10:11] offset0:76 offset1:77
	v_mov_b32_e32 v11, s48
	buffer_load_dword v4, v11, s[0:3], 0 offen
	buffer_load_dword v5, v11, s[0:3], 0 offen offset:4
	buffer_load_dword v10, v11, s[0:3], 0 offen offset:8
	s_nop 0
	buffer_load_dword v11, v11, s[0:3], 0 offen offset:12
	;; [unrolled: 8-line block ×24, first 2 shown]
	s_waitcnt vmcnt(0)
	ds_write2_b64 v16, v[4:5], v[10:11] offset0:122 offset1:123
.LBB122_886:
	s_or_b64 exec, exec, s[4:5]
	v_cmp_lt_i32_e32 vcc, 36, v19
	s_waitcnt vmcnt(0) lgkmcnt(0)
	s_barrier
	s_and_saveexec_b64 s[4:5], vcc
	s_cbranch_execz .LBB122_888
; %bb.887:
	buffer_load_dword v10, off, s[0:3], 0 offset:576
	buffer_load_dword v11, off, s[0:3], 0 offset:580
	;; [unrolled: 1-line block ×16, first 2 shown]
	s_waitcnt vmcnt(12)
	v_mul_f64 v[4:5], v[2:3], v[12:13]
	v_fma_f64 v[4:5], v[0:1], v[10:11], -v[4:5]
	v_mul_f64 v[0:1], v[0:1], v[12:13]
	v_fma_f64 v[10:11], v[2:3], v[10:11], v[0:1]
	buffer_store_dword v4, off, s[0:3], 0 offset:576
	buffer_store_dword v5, off, s[0:3], 0 offset:580
	buffer_store_dword v10, off, s[0:3], 0 offset:584
	buffer_store_dword v11, off, s[0:3], 0 offset:588
	ds_read2_b64 v[0:3], v16 offset0:74 offset1:75
	s_waitcnt lgkmcnt(0)
	v_mul_f64 v[12:13], v[2:3], v[10:11]
	v_fma_f64 v[12:13], v[0:1], v[4:5], -v[12:13]
	v_mul_f64 v[0:1], v[0:1], v[10:11]
	v_fma_f64 v[0:1], v[2:3], v[4:5], v[0:1]
	s_waitcnt vmcnt(14)
	v_add_f64 v[2:3], v[20:21], -v[12:13]
	s_waitcnt vmcnt(12)
	v_add_f64 v[0:1], v[22:23], -v[0:1]
	buffer_store_dword v2, off, s[0:3], 0 offset:592
	buffer_store_dword v3, off, s[0:3], 0 offset:596
	buffer_store_dword v0, off, s[0:3], 0 offset:600
	buffer_store_dword v1, off, s[0:3], 0 offset:604
	ds_read2_b64 v[0:3], v16 offset0:76 offset1:77
	s_waitcnt lgkmcnt(0)
	v_mul_f64 v[12:13], v[2:3], v[10:11]
	v_fma_f64 v[12:13], v[0:1], v[4:5], -v[12:13]
	v_mul_f64 v[0:1], v[0:1], v[10:11]
	v_fma_f64 v[0:1], v[2:3], v[4:5], v[0:1]
	s_waitcnt vmcnt(14)
	v_add_f64 v[2:3], v[24:25], -v[12:13]
	s_waitcnt vmcnt(12)
	v_add_f64 v[0:1], v[26:27], -v[0:1]
	;; [unrolled: 14-line block ×3, first 2 shown]
	buffer_store_dword v3, off, s[0:3], 0 offset:628
	buffer_store_dword v2, off, s[0:3], 0 offset:624
	buffer_store_dword v0, off, s[0:3], 0 offset:632
	buffer_store_dword v1, off, s[0:3], 0 offset:636
	ds_read2_b64 v[0:3], v16 offset0:80 offset1:81
	s_waitcnt lgkmcnt(0)
	v_mul_f64 v[12:13], v[2:3], v[10:11]
	v_fma_f64 v[12:13], v[0:1], v[4:5], -v[12:13]
	v_mul_f64 v[0:1], v[0:1], v[10:11]
	v_fma_f64 v[0:1], v[2:3], v[4:5], v[0:1]
	buffer_load_dword v2, off, s[0:3], 0 offset:640
	buffer_load_dword v3, off, s[0:3], 0 offset:644
	buffer_load_dword v20, off, s[0:3], 0 offset:648
	buffer_load_dword v21, off, s[0:3], 0 offset:652
	s_waitcnt vmcnt(2)
	v_add_f64 v[2:3], v[2:3], -v[12:13]
	s_waitcnt vmcnt(0)
	v_add_f64 v[0:1], v[20:21], -v[0:1]
	buffer_store_dword v3, off, s[0:3], 0 offset:644
	buffer_store_dword v2, off, s[0:3], 0 offset:640
	buffer_store_dword v1, off, s[0:3], 0 offset:652
	buffer_store_dword v0, off, s[0:3], 0 offset:648
	ds_read2_b64 v[0:3], v16 offset0:82 offset1:83
	s_waitcnt lgkmcnt(0)
	v_mul_f64 v[12:13], v[2:3], v[10:11]
	v_fma_f64 v[12:13], v[0:1], v[4:5], -v[12:13]
	v_mul_f64 v[0:1], v[0:1], v[10:11]
	v_fma_f64 v[0:1], v[2:3], v[4:5], v[0:1]
	buffer_load_dword v2, off, s[0:3], 0 offset:656
	buffer_load_dword v3, off, s[0:3], 0 offset:660
	buffer_load_dword v20, off, s[0:3], 0 offset:664
	buffer_load_dword v21, off, s[0:3], 0 offset:668
	s_waitcnt vmcnt(2)
	v_add_f64 v[2:3], v[2:3], -v[12:13]
	s_waitcnt vmcnt(0)
	v_add_f64 v[0:1], v[20:21], -v[0:1]
	;; [unrolled: 18-line block ×3, first 2 shown]
	buffer_store_dword v3, off, s[0:3], 0 offset:676
	buffer_store_dword v2, off, s[0:3], 0 offset:672
	;; [unrolled: 1-line block ×4, first 2 shown]
	ds_read2_b64 v[2:5], v16 offset0:86 offset1:87
	buffer_load_dword v0, off, s[0:3], 0 offset:576
	buffer_load_dword v1, off, s[0:3], 0 offset:580
	;; [unrolled: 1-line block ×4, first 2 shown]
	s_waitcnt vmcnt(0) lgkmcnt(0)
	v_mul_f64 v[12:13], v[4:5], v[10:11]
	v_fma_f64 v[12:13], v[2:3], v[0:1], -v[12:13]
	v_mul_f64 v[2:3], v[2:3], v[10:11]
	v_fma_f64 v[2:3], v[4:5], v[0:1], v[2:3]
	buffer_load_dword v5, off, s[0:3], 0 offset:692
	buffer_load_dword v4, off, s[0:3], 0 offset:688
	s_waitcnt vmcnt(0)
	v_add_f64 v[4:5], v[4:5], -v[12:13]
	buffer_load_dword v13, off, s[0:3], 0 offset:700
	buffer_load_dword v12, off, s[0:3], 0 offset:696
	s_waitcnt vmcnt(0)
	v_add_f64 v[2:3], v[12:13], -v[2:3]
	buffer_store_dword v5, off, s[0:3], 0 offset:692
	buffer_store_dword v4, off, s[0:3], 0 offset:688
	buffer_store_dword v3, off, s[0:3], 0 offset:700
	buffer_store_dword v2, off, s[0:3], 0 offset:696
	ds_read2_b64 v[2:5], v16 offset0:88 offset1:89
	s_waitcnt lgkmcnt(0)
	v_mul_f64 v[12:13], v[4:5], v[10:11]
	v_fma_f64 v[12:13], v[2:3], v[0:1], -v[12:13]
	v_mul_f64 v[2:3], v[2:3], v[10:11]
	v_fma_f64 v[2:3], v[4:5], v[0:1], v[2:3]
	buffer_load_dword v4, off, s[0:3], 0 offset:704
	buffer_load_dword v5, off, s[0:3], 0 offset:708
	buffer_load_dword v20, off, s[0:3], 0 offset:712
	buffer_load_dword v21, off, s[0:3], 0 offset:716
	s_waitcnt vmcnt(2)
	v_add_f64 v[4:5], v[4:5], -v[12:13]
	s_waitcnt vmcnt(0)
	v_add_f64 v[2:3], v[20:21], -v[2:3]
	buffer_store_dword v5, off, s[0:3], 0 offset:708
	buffer_store_dword v4, off, s[0:3], 0 offset:704
	buffer_store_dword v3, off, s[0:3], 0 offset:716
	buffer_store_dword v2, off, s[0:3], 0 offset:712
	ds_read2_b64 v[2:5], v16 offset0:90 offset1:91
	s_waitcnt lgkmcnt(0)
	v_mul_f64 v[12:13], v[4:5], v[10:11]
	v_fma_f64 v[12:13], v[2:3], v[0:1], -v[12:13]
	v_mul_f64 v[2:3], v[2:3], v[10:11]
	v_fma_f64 v[2:3], v[4:5], v[0:1], v[2:3]
	buffer_load_dword v4, off, s[0:3], 0 offset:720
	buffer_load_dword v5, off, s[0:3], 0 offset:724
	buffer_load_dword v20, off, s[0:3], 0 offset:728
	buffer_load_dword v21, off, s[0:3], 0 offset:732
	s_waitcnt vmcnt(2)
	v_add_f64 v[4:5], v[4:5], -v[12:13]
	;; [unrolled: 18-line block ×5, first 2 shown]
	s_waitcnt vmcnt(0)
	v_add_f64 v[0:1], v[4:5], -v[0:1]
	buffer_store_dword v3, off, s[0:3], 0 offset:772
	buffer_store_dword v2, off, s[0:3], 0 offset:768
	;; [unrolled: 1-line block ×4, first 2 shown]
	ds_read2_b64 v[0:3], v16 offset0:98 offset1:99
	buffer_load_dword v4, off, s[0:3], 0 offset:576
	buffer_load_dword v5, off, s[0:3], 0 offset:580
	;; [unrolled: 1-line block ×4, first 2 shown]
	s_waitcnt vmcnt(0) lgkmcnt(0)
	v_mul_f64 v[12:13], v[2:3], v[10:11]
	v_fma_f64 v[12:13], v[0:1], v[4:5], -v[12:13]
	v_mul_f64 v[0:1], v[0:1], v[10:11]
	v_fma_f64 v[0:1], v[2:3], v[4:5], v[0:1]
	buffer_load_dword v3, off, s[0:3], 0 offset:788
	buffer_load_dword v2, off, s[0:3], 0 offset:784
	s_waitcnt vmcnt(0)
	v_add_f64 v[2:3], v[2:3], -v[12:13]
	buffer_load_dword v13, off, s[0:3], 0 offset:796
	buffer_load_dword v12, off, s[0:3], 0 offset:792
	s_waitcnt vmcnt(0)
	v_add_f64 v[0:1], v[12:13], -v[0:1]
	buffer_store_dword v3, off, s[0:3], 0 offset:788
	buffer_store_dword v2, off, s[0:3], 0 offset:784
	buffer_store_dword v1, off, s[0:3], 0 offset:796
	buffer_store_dword v0, off, s[0:3], 0 offset:792
	ds_read2_b64 v[0:3], v16 offset0:100 offset1:101
	s_waitcnt lgkmcnt(0)
	v_mul_f64 v[12:13], v[2:3], v[10:11]
	v_fma_f64 v[12:13], v[0:1], v[4:5], -v[12:13]
	v_mul_f64 v[0:1], v[0:1], v[10:11]
	v_fma_f64 v[0:1], v[2:3], v[4:5], v[0:1]
	buffer_load_dword v2, off, s[0:3], 0 offset:800
	buffer_load_dword v3, off, s[0:3], 0 offset:804
	buffer_load_dword v20, off, s[0:3], 0 offset:808
	buffer_load_dword v21, off, s[0:3], 0 offset:812
	s_waitcnt vmcnt(2)
	v_add_f64 v[2:3], v[2:3], -v[12:13]
	s_waitcnt vmcnt(0)
	v_add_f64 v[0:1], v[20:21], -v[0:1]
	buffer_store_dword v3, off, s[0:3], 0 offset:804
	buffer_store_dword v2, off, s[0:3], 0 offset:800
	buffer_store_dword v1, off, s[0:3], 0 offset:812
	buffer_store_dword v0, off, s[0:3], 0 offset:808
	ds_read2_b64 v[0:3], v16 offset0:102 offset1:103
	s_waitcnt lgkmcnt(0)
	v_mul_f64 v[12:13], v[2:3], v[10:11]
	v_fma_f64 v[12:13], v[0:1], v[4:5], -v[12:13]
	v_mul_f64 v[0:1], v[0:1], v[10:11]
	v_fma_f64 v[0:1], v[2:3], v[4:5], v[0:1]
	buffer_load_dword v2, off, s[0:3], 0 offset:816
	buffer_load_dword v3, off, s[0:3], 0 offset:820
	buffer_load_dword v20, off, s[0:3], 0 offset:824
	buffer_load_dword v21, off, s[0:3], 0 offset:828
	s_waitcnt vmcnt(2)
	v_add_f64 v[2:3], v[2:3], -v[12:13]
	;; [unrolled: 18-line block ×5, first 2 shown]
	s_waitcnt vmcnt(0)
	v_add_f64 v[0:1], v[4:5], -v[0:1]
	buffer_store_dword v3, off, s[0:3], 0 offset:868
	buffer_store_dword v2, off, s[0:3], 0 offset:864
	;; [unrolled: 1-line block ×4, first 2 shown]
	ds_read2_b64 v[0:3], v16 offset0:110 offset1:111
	buffer_load_dword v4, off, s[0:3], 0 offset:576
	buffer_load_dword v5, off, s[0:3], 0 offset:580
	;; [unrolled: 1-line block ×4, first 2 shown]
	s_waitcnt vmcnt(0) lgkmcnt(0)
	v_mul_f64 v[12:13], v[2:3], v[10:11]
	v_fma_f64 v[12:13], v[0:1], v[4:5], -v[12:13]
	v_mul_f64 v[0:1], v[0:1], v[10:11]
	v_fma_f64 v[0:1], v[2:3], v[4:5], v[0:1]
	buffer_load_dword v3, off, s[0:3], 0 offset:884
	buffer_load_dword v2, off, s[0:3], 0 offset:880
	s_waitcnt vmcnt(0)
	v_add_f64 v[2:3], v[2:3], -v[12:13]
	buffer_load_dword v13, off, s[0:3], 0 offset:892
	buffer_load_dword v12, off, s[0:3], 0 offset:888
	s_waitcnt vmcnt(0)
	v_add_f64 v[0:1], v[12:13], -v[0:1]
	buffer_store_dword v3, off, s[0:3], 0 offset:884
	buffer_store_dword v2, off, s[0:3], 0 offset:880
	buffer_store_dword v1, off, s[0:3], 0 offset:892
	buffer_store_dword v0, off, s[0:3], 0 offset:888
	ds_read2_b64 v[0:3], v16 offset0:112 offset1:113
	s_waitcnt lgkmcnt(0)
	v_mul_f64 v[12:13], v[2:3], v[10:11]
	v_fma_f64 v[12:13], v[0:1], v[4:5], -v[12:13]
	v_mul_f64 v[0:1], v[0:1], v[10:11]
	v_fma_f64 v[0:1], v[2:3], v[4:5], v[0:1]
	buffer_load_dword v2, off, s[0:3], 0 offset:896
	buffer_load_dword v3, off, s[0:3], 0 offset:900
	buffer_load_dword v20, off, s[0:3], 0 offset:904
	buffer_load_dword v21, off, s[0:3], 0 offset:908
	s_waitcnt vmcnt(2)
	v_add_f64 v[2:3], v[2:3], -v[12:13]
	s_waitcnt vmcnt(0)
	v_add_f64 v[0:1], v[20:21], -v[0:1]
	buffer_store_dword v3, off, s[0:3], 0 offset:900
	buffer_store_dword v2, off, s[0:3], 0 offset:896
	buffer_store_dword v1, off, s[0:3], 0 offset:908
	buffer_store_dword v0, off, s[0:3], 0 offset:904
	ds_read2_b64 v[0:3], v16 offset0:114 offset1:115
	s_waitcnt lgkmcnt(0)
	v_mul_f64 v[12:13], v[2:3], v[10:11]
	v_fma_f64 v[12:13], v[0:1], v[4:5], -v[12:13]
	v_mul_f64 v[0:1], v[0:1], v[10:11]
	v_fma_f64 v[0:1], v[2:3], v[4:5], v[0:1]
	buffer_load_dword v2, off, s[0:3], 0 offset:912
	buffer_load_dword v3, off, s[0:3], 0 offset:916
	buffer_load_dword v20, off, s[0:3], 0 offset:920
	buffer_load_dword v21, off, s[0:3], 0 offset:924
	s_waitcnt vmcnt(2)
	v_add_f64 v[2:3], v[2:3], -v[12:13]
	;; [unrolled: 18-line block ×5, first 2 shown]
	s_waitcnt vmcnt(0)
	v_add_f64 v[0:1], v[4:5], -v[0:1]
	buffer_store_dword v3, off, s[0:3], 0 offset:964
	buffer_store_dword v2, off, s[0:3], 0 offset:960
	;; [unrolled: 1-line block ×4, first 2 shown]
	ds_read2_b64 v[0:3], v16 offset0:122 offset1:123
	buffer_load_dword v10, off, s[0:3], 0 offset:576
	buffer_load_dword v11, off, s[0:3], 0 offset:580
	;; [unrolled: 1-line block ×4, first 2 shown]
	s_waitcnt vmcnt(0) lgkmcnt(0)
	v_mul_f64 v[4:5], v[2:3], v[12:13]
	v_fma_f64 v[4:5], v[0:1], v[10:11], -v[4:5]
	v_mul_f64 v[0:1], v[0:1], v[12:13]
	v_fma_f64 v[0:1], v[2:3], v[10:11], v[0:1]
	buffer_load_dword v3, off, s[0:3], 0 offset:980
	buffer_load_dword v2, off, s[0:3], 0 offset:976
	s_waitcnt vmcnt(0)
	v_add_f64 v[2:3], v[2:3], -v[4:5]
	buffer_load_dword v5, off, s[0:3], 0 offset:988
	buffer_load_dword v4, off, s[0:3], 0 offset:984
	s_waitcnt vmcnt(0)
	v_add_f64 v[0:1], v[4:5], -v[0:1]
	buffer_store_dword v3, off, s[0:3], 0 offset:980
	buffer_store_dword v2, off, s[0:3], 0 offset:976
	;; [unrolled: 1-line block ×4, first 2 shown]
.LBB122_888:
	s_or_b64 exec, exec, s[4:5]
	v_mov_b32_e32 v3, s50
	s_waitcnt vmcnt(0)
	s_barrier
	buffer_load_dword v0, v3, s[0:3], 0 offen
	buffer_load_dword v1, v3, s[0:3], 0 offen offset:4
	buffer_load_dword v2, v3, s[0:3], 0 offen offset:8
	s_nop 0
	buffer_load_dword v3, v3, s[0:3], 0 offen offset:12
	v_lshl_add_u32 v4, v19, 4, v16
	s_cmp_lt_i32 s65, 39
	s_waitcnt vmcnt(0)
	ds_write2_b64 v4, v[0:1], v[2:3] offset1:1
	s_waitcnt lgkmcnt(0)
	s_barrier
	ds_read2_b64 v[0:3], v16 offset0:74 offset1:75
	v_mov_b32_e32 v4, 37
	s_cbranch_scc1 .LBB122_891
; %bb.889:
	v_add_u32_e32 v5, 0x260, v16
	s_mov_b32 s16, 38
	v_mov_b32_e32 v4, 37
.LBB122_890:                            ; =>This Inner Loop Header: Depth=1
	s_waitcnt lgkmcnt(0)
	v_cmp_gt_f64_e32 vcc, 0, v[2:3]
	v_cmp_gt_f64_e64 s[4:5], 0, v[0:1]
	ds_read2_b64 v[10:13], v5 offset1:1
	v_xor_b32_e32 v21, 0x80000000, v1
	v_xor_b32_e32 v23, 0x80000000, v3
	v_mov_b32_e32 v20, v0
	v_mov_b32_e32 v22, v2
	s_waitcnt lgkmcnt(0)
	v_xor_b32_e32 v25, 0x80000000, v13
	v_cndmask_b32_e32 v23, v3, v23, vcc
	v_cndmask_b32_e64 v21, v1, v21, s[4:5]
	v_cmp_gt_f64_e32 vcc, 0, v[12:13]
	v_cmp_gt_f64_e64 s[4:5], 0, v[10:11]
	v_add_f64 v[20:21], v[20:21], v[22:23]
	v_xor_b32_e32 v23, 0x80000000, v11
	v_mov_b32_e32 v22, v10
	v_mov_b32_e32 v24, v12
	v_add_u32_e32 v5, 16, v5
	v_cndmask_b32_e32 v25, v13, v25, vcc
	v_cndmask_b32_e64 v23, v11, v23, s[4:5]
	v_add_f64 v[22:23], v[22:23], v[24:25]
	v_mov_b32_e32 v24, s16
	s_add_i32 s16, s16, 1
	s_cmp_lg_u32 s65, s16
	v_cmp_lt_f64_e32 vcc, v[20:21], v[22:23]
	v_cndmask_b32_e32 v1, v1, v11, vcc
	v_cndmask_b32_e32 v0, v0, v10, vcc
	;; [unrolled: 1-line block ×5, first 2 shown]
	s_cbranch_scc1 .LBB122_890
.LBB122_891:
	s_waitcnt lgkmcnt(0)
	v_cmp_eq_f64_e32 vcc, 0, v[0:1]
	v_cmp_eq_f64_e64 s[4:5], 0, v[2:3]
	s_and_b64 s[4:5], vcc, s[4:5]
	s_and_saveexec_b64 s[16:17], s[4:5]
	s_xor_b64 s[4:5], exec, s[16:17]
; %bb.892:
	v_cmp_ne_u32_e32 vcc, 0, v17
	v_cndmask_b32_e32 v17, 38, v17, vcc
; %bb.893:
	s_andn2_saveexec_b64 s[4:5], s[4:5]
	s_cbranch_execz .LBB122_899
; %bb.894:
	v_cmp_ngt_f64_e64 s[16:17], |v[0:1]|, |v[2:3]|
	s_and_saveexec_b64 s[18:19], s[16:17]
	s_xor_b64 s[18:19], exec, s[18:19]
	s_cbranch_execz .LBB122_896
; %bb.895:
	v_div_scale_f64 v[10:11], s[16:17], v[2:3], v[2:3], v[0:1]
	v_rcp_f64_e32 v[12:13], v[10:11]
	v_fma_f64 v[20:21], -v[10:11], v[12:13], 1.0
	v_fma_f64 v[12:13], v[12:13], v[20:21], v[12:13]
	v_div_scale_f64 v[20:21], vcc, v[0:1], v[2:3], v[0:1]
	v_fma_f64 v[22:23], -v[10:11], v[12:13], 1.0
	v_fma_f64 v[12:13], v[12:13], v[22:23], v[12:13]
	v_mul_f64 v[22:23], v[20:21], v[12:13]
	v_fma_f64 v[10:11], -v[10:11], v[22:23], v[20:21]
	v_div_fmas_f64 v[10:11], v[10:11], v[12:13], v[22:23]
	v_div_fixup_f64 v[10:11], v[10:11], v[2:3], v[0:1]
	v_fma_f64 v[0:1], v[0:1], v[10:11], v[2:3]
	v_div_scale_f64 v[2:3], s[16:17], v[0:1], v[0:1], 1.0
	v_div_scale_f64 v[22:23], vcc, 1.0, v[0:1], 1.0
	v_rcp_f64_e32 v[12:13], v[2:3]
	v_fma_f64 v[20:21], -v[2:3], v[12:13], 1.0
	v_fma_f64 v[12:13], v[12:13], v[20:21], v[12:13]
	v_fma_f64 v[20:21], -v[2:3], v[12:13], 1.0
	v_fma_f64 v[12:13], v[12:13], v[20:21], v[12:13]
	v_mul_f64 v[20:21], v[22:23], v[12:13]
	v_fma_f64 v[2:3], -v[2:3], v[20:21], v[22:23]
	v_div_fmas_f64 v[2:3], v[2:3], v[12:13], v[20:21]
	v_div_fixup_f64 v[2:3], v[2:3], v[0:1], 1.0
	v_mul_f64 v[0:1], v[10:11], v[2:3]
	v_xor_b32_e32 v3, 0x80000000, v3
.LBB122_896:
	s_andn2_saveexec_b64 s[18:19], s[18:19]
	s_cbranch_execz .LBB122_898
; %bb.897:
	v_div_scale_f64 v[10:11], s[16:17], v[0:1], v[0:1], v[2:3]
	v_rcp_f64_e32 v[12:13], v[10:11]
	v_fma_f64 v[20:21], -v[10:11], v[12:13], 1.0
	v_fma_f64 v[12:13], v[12:13], v[20:21], v[12:13]
	v_div_scale_f64 v[20:21], vcc, v[2:3], v[0:1], v[2:3]
	v_fma_f64 v[22:23], -v[10:11], v[12:13], 1.0
	v_fma_f64 v[12:13], v[12:13], v[22:23], v[12:13]
	v_mul_f64 v[22:23], v[20:21], v[12:13]
	v_fma_f64 v[10:11], -v[10:11], v[22:23], v[20:21]
	v_div_fmas_f64 v[10:11], v[10:11], v[12:13], v[22:23]
	v_div_fixup_f64 v[10:11], v[10:11], v[0:1], v[2:3]
	v_fma_f64 v[0:1], v[2:3], v[10:11], v[0:1]
	v_div_scale_f64 v[2:3], s[16:17], v[0:1], v[0:1], 1.0
	v_div_scale_f64 v[22:23], vcc, 1.0, v[0:1], 1.0
	v_rcp_f64_e32 v[12:13], v[2:3]
	v_fma_f64 v[20:21], -v[2:3], v[12:13], 1.0
	v_fma_f64 v[12:13], v[12:13], v[20:21], v[12:13]
	v_fma_f64 v[20:21], -v[2:3], v[12:13], 1.0
	v_fma_f64 v[12:13], v[12:13], v[20:21], v[12:13]
	v_mul_f64 v[20:21], v[22:23], v[12:13]
	v_fma_f64 v[2:3], -v[2:3], v[20:21], v[22:23]
	v_div_fmas_f64 v[2:3], v[2:3], v[12:13], v[20:21]
	v_div_fixup_f64 v[0:1], v[2:3], v[0:1], 1.0
	v_mul_f64 v[2:3], v[10:11], -v[0:1]
.LBB122_898:
	s_or_b64 exec, exec, s[18:19]
.LBB122_899:
	s_or_b64 exec, exec, s[4:5]
	v_cmp_ne_u32_e32 vcc, v19, v4
	s_and_saveexec_b64 s[4:5], vcc
	s_xor_b64 s[4:5], exec, s[4:5]
	s_cbranch_execz .LBB122_905
; %bb.900:
	v_cmp_eq_u32_e32 vcc, 37, v19
	s_and_saveexec_b64 s[18:19], vcc
	s_cbranch_execz .LBB122_904
; %bb.901:
	v_cmp_ne_u32_e32 vcc, 37, v4
	s_xor_b64 s[16:17], s[22:23], -1
	s_and_b64 s[16:17], s[16:17], vcc
	s_and_saveexec_b64 s[24:25], s[16:17]
	s_cbranch_execz .LBB122_903
; %bb.902:
	v_ashrrev_i32_e32 v5, 31, v4
	v_lshlrev_b64 v[10:11], 2, v[4:5]
	v_add_co_u32_e32 v10, vcc, v8, v10
	v_addc_co_u32_e32 v11, vcc, v9, v11, vcc
	global_load_dword v5, v[10:11], off
	global_load_dword v12, v[8:9], off offset:148
	s_waitcnt vmcnt(1)
	global_store_dword v[8:9], v5, off offset:148
	s_waitcnt vmcnt(1)
	global_store_dword v[10:11], v12, off
.LBB122_903:
	s_or_b64 exec, exec, s[24:25]
	v_mov_b32_e32 v19, v4
	v_mov_b32_e32 v18, v4
.LBB122_904:
	s_or_b64 exec, exec, s[18:19]
.LBB122_905:
	s_andn2_saveexec_b64 s[4:5], s[4:5]
	s_cbranch_execz .LBB122_907
; %bb.906:
	v_mov_b32_e32 v11, s49
	buffer_load_dword v4, v11, s[0:3], 0 offen
	buffer_load_dword v5, v11, s[0:3], 0 offen offset:4
	buffer_load_dword v10, v11, s[0:3], 0 offen offset:8
	s_nop 0
	buffer_load_dword v11, v11, s[0:3], 0 offen offset:12
	v_mov_b32_e32 v19, 37
	s_waitcnt vmcnt(0)
	ds_write2_b64 v16, v[4:5], v[10:11] offset0:76 offset1:77
	v_mov_b32_e32 v11, s48
	buffer_load_dword v4, v11, s[0:3], 0 offen
	buffer_load_dword v5, v11, s[0:3], 0 offen offset:4
	buffer_load_dword v10, v11, s[0:3], 0 offen offset:8
	s_nop 0
	buffer_load_dword v11, v11, s[0:3], 0 offen offset:12
	s_waitcnt vmcnt(0)
	ds_write2_b64 v16, v[4:5], v[10:11] offset0:78 offset1:79
	v_mov_b32_e32 v11, s46
	buffer_load_dword v4, v11, s[0:3], 0 offen
	buffer_load_dword v5, v11, s[0:3], 0 offen offset:4
	buffer_load_dword v10, v11, s[0:3], 0 offen offset:8
	s_nop 0
	buffer_load_dword v11, v11, s[0:3], 0 offen offset:12
	;; [unrolled: 8-line block ×23, first 2 shown]
	s_waitcnt vmcnt(0)
	ds_write2_b64 v16, v[4:5], v[10:11] offset0:122 offset1:123
.LBB122_907:
	s_or_b64 exec, exec, s[4:5]
	v_cmp_lt_i32_e32 vcc, 37, v19
	s_waitcnt vmcnt(0) lgkmcnt(0)
	s_barrier
	s_and_saveexec_b64 s[4:5], vcc
	s_cbranch_execz .LBB122_909
; %bb.908:
	buffer_load_dword v4, off, s[0:3], 0 offset:592
	buffer_load_dword v5, off, s[0:3], 0 offset:596
	;; [unrolled: 1-line block ×16, first 2 shown]
	s_waitcnt vmcnt(12)
	v_mul_f64 v[30:31], v[2:3], v[10:11]
	v_fma_f64 v[30:31], v[0:1], v[4:5], -v[30:31]
	v_mul_f64 v[0:1], v[0:1], v[10:11]
	v_fma_f64 v[4:5], v[2:3], v[4:5], v[0:1]
	buffer_store_dword v30, off, s[0:3], 0 offset:592
	buffer_store_dword v31, off, s[0:3], 0 offset:596
	buffer_store_dword v4, off, s[0:3], 0 offset:600
	buffer_store_dword v5, off, s[0:3], 0 offset:604
	ds_read2_b64 v[0:3], v16 offset0:76 offset1:77
	s_waitcnt lgkmcnt(0)
	v_mul_f64 v[10:11], v[2:3], v[4:5]
	v_fma_f64 v[10:11], v[0:1], v[30:31], -v[10:11]
	v_mul_f64 v[0:1], v[0:1], v[4:5]
	v_fma_f64 v[0:1], v[2:3], v[30:31], v[0:1]
	s_waitcnt vmcnt(14)
	v_add_f64 v[2:3], v[12:13], -v[10:11]
	s_waitcnt vmcnt(12)
	v_add_f64 v[0:1], v[20:21], -v[0:1]
	buffer_store_dword v2, off, s[0:3], 0 offset:608
	buffer_store_dword v3, off, s[0:3], 0 offset:612
	buffer_store_dword v0, off, s[0:3], 0 offset:616
	buffer_store_dword v1, off, s[0:3], 0 offset:620
	ds_read2_b64 v[0:3], v16 offset0:78 offset1:79
	s_waitcnt lgkmcnt(0)
	v_mul_f64 v[10:11], v[2:3], v[4:5]
	v_fma_f64 v[10:11], v[0:1], v[30:31], -v[10:11]
	v_mul_f64 v[0:1], v[0:1], v[4:5]
	v_fma_f64 v[0:1], v[2:3], v[30:31], v[0:1]
	s_waitcnt vmcnt(14)
	v_add_f64 v[2:3], v[22:23], -v[10:11]
	s_waitcnt vmcnt(12)
	v_add_f64 v[0:1], v[24:25], -v[0:1]
	;; [unrolled: 14-line block ×3, first 2 shown]
	buffer_store_dword v3, off, s[0:3], 0 offset:644
	buffer_store_dword v2, off, s[0:3], 0 offset:640
	buffer_store_dword v0, off, s[0:3], 0 offset:648
	buffer_store_dword v1, off, s[0:3], 0 offset:652
	ds_read2_b64 v[0:3], v16 offset0:82 offset1:83
	s_waitcnt lgkmcnt(0)
	v_mul_f64 v[10:11], v[2:3], v[4:5]
	v_fma_f64 v[10:11], v[0:1], v[30:31], -v[10:11]
	v_mul_f64 v[0:1], v[0:1], v[4:5]
	v_fma_f64 v[0:1], v[2:3], v[30:31], v[0:1]
	buffer_load_dword v2, off, s[0:3], 0 offset:656
	buffer_load_dword v3, off, s[0:3], 0 offset:660
	buffer_load_dword v12, off, s[0:3], 0 offset:664
	buffer_load_dword v13, off, s[0:3], 0 offset:668
	s_waitcnt vmcnt(2)
	v_add_f64 v[2:3], v[2:3], -v[10:11]
	s_waitcnt vmcnt(0)
	v_add_f64 v[0:1], v[12:13], -v[0:1]
	buffer_store_dword v3, off, s[0:3], 0 offset:660
	buffer_store_dword v2, off, s[0:3], 0 offset:656
	buffer_store_dword v1, off, s[0:3], 0 offset:668
	buffer_store_dword v0, off, s[0:3], 0 offset:664
	ds_read2_b64 v[0:3], v16 offset0:84 offset1:85
	s_waitcnt lgkmcnt(0)
	v_mul_f64 v[10:11], v[2:3], v[4:5]
	v_fma_f64 v[10:11], v[0:1], v[30:31], -v[10:11]
	v_mul_f64 v[0:1], v[0:1], v[4:5]
	v_fma_f64 v[0:1], v[2:3], v[30:31], v[0:1]
	buffer_load_dword v2, off, s[0:3], 0 offset:672
	buffer_load_dword v3, off, s[0:3], 0 offset:676
	buffer_load_dword v12, off, s[0:3], 0 offset:680
	buffer_load_dword v13, off, s[0:3], 0 offset:684
	s_waitcnt vmcnt(2)
	v_add_f64 v[2:3], v[2:3], -v[10:11]
	s_waitcnt vmcnt(0)
	v_add_f64 v[0:1], v[12:13], -v[0:1]
	;; [unrolled: 18-line block ×3, first 2 shown]
	buffer_store_dword v3, off, s[0:3], 0 offset:692
	buffer_store_dword v2, off, s[0:3], 0 offset:688
	;; [unrolled: 1-line block ×4, first 2 shown]
	ds_read2_b64 v[0:3], v16 offset0:88 offset1:89
	buffer_load_dword v4, off, s[0:3], 0 offset:592
	buffer_load_dword v5, off, s[0:3], 0 offset:596
	buffer_load_dword v10, off, s[0:3], 0 offset:600
	buffer_load_dword v11, off, s[0:3], 0 offset:604
	s_waitcnt vmcnt(0) lgkmcnt(0)
	v_mul_f64 v[12:13], v[2:3], v[10:11]
	v_fma_f64 v[12:13], v[0:1], v[4:5], -v[12:13]
	v_mul_f64 v[0:1], v[0:1], v[10:11]
	v_fma_f64 v[0:1], v[2:3], v[4:5], v[0:1]
	buffer_load_dword v3, off, s[0:3], 0 offset:708
	buffer_load_dword v2, off, s[0:3], 0 offset:704
	s_waitcnt vmcnt(0)
	v_add_f64 v[2:3], v[2:3], -v[12:13]
	buffer_load_dword v13, off, s[0:3], 0 offset:716
	buffer_load_dword v12, off, s[0:3], 0 offset:712
	s_waitcnt vmcnt(0)
	v_add_f64 v[0:1], v[12:13], -v[0:1]
	buffer_store_dword v3, off, s[0:3], 0 offset:708
	buffer_store_dword v2, off, s[0:3], 0 offset:704
	buffer_store_dword v1, off, s[0:3], 0 offset:716
	buffer_store_dword v0, off, s[0:3], 0 offset:712
	ds_read2_b64 v[0:3], v16 offset0:90 offset1:91
	s_waitcnt lgkmcnt(0)
	v_mul_f64 v[12:13], v[2:3], v[10:11]
	v_fma_f64 v[12:13], v[0:1], v[4:5], -v[12:13]
	v_mul_f64 v[0:1], v[0:1], v[10:11]
	v_fma_f64 v[0:1], v[2:3], v[4:5], v[0:1]
	buffer_load_dword v2, off, s[0:3], 0 offset:720
	buffer_load_dword v3, off, s[0:3], 0 offset:724
	buffer_load_dword v20, off, s[0:3], 0 offset:728
	buffer_load_dword v21, off, s[0:3], 0 offset:732
	s_waitcnt vmcnt(2)
	v_add_f64 v[2:3], v[2:3], -v[12:13]
	s_waitcnt vmcnt(0)
	v_add_f64 v[0:1], v[20:21], -v[0:1]
	buffer_store_dword v3, off, s[0:3], 0 offset:724
	buffer_store_dword v2, off, s[0:3], 0 offset:720
	buffer_store_dword v1, off, s[0:3], 0 offset:732
	buffer_store_dword v0, off, s[0:3], 0 offset:728
	ds_read2_b64 v[0:3], v16 offset0:92 offset1:93
	s_waitcnt lgkmcnt(0)
	v_mul_f64 v[12:13], v[2:3], v[10:11]
	v_fma_f64 v[12:13], v[0:1], v[4:5], -v[12:13]
	v_mul_f64 v[0:1], v[0:1], v[10:11]
	v_fma_f64 v[0:1], v[2:3], v[4:5], v[0:1]
	buffer_load_dword v2, off, s[0:3], 0 offset:736
	buffer_load_dword v3, off, s[0:3], 0 offset:740
	buffer_load_dword v20, off, s[0:3], 0 offset:744
	buffer_load_dword v21, off, s[0:3], 0 offset:748
	s_waitcnt vmcnt(2)
	v_add_f64 v[2:3], v[2:3], -v[12:13]
	;; [unrolled: 18-line block ×5, first 2 shown]
	s_waitcnt vmcnt(0)
	v_add_f64 v[0:1], v[4:5], -v[0:1]
	buffer_store_dword v3, off, s[0:3], 0 offset:788
	buffer_store_dword v2, off, s[0:3], 0 offset:784
	;; [unrolled: 1-line block ×4, first 2 shown]
	ds_read2_b64 v[0:3], v16 offset0:100 offset1:101
	buffer_load_dword v4, off, s[0:3], 0 offset:592
	buffer_load_dword v5, off, s[0:3], 0 offset:596
	;; [unrolled: 1-line block ×4, first 2 shown]
	s_waitcnt vmcnt(0) lgkmcnt(0)
	v_mul_f64 v[12:13], v[2:3], v[10:11]
	v_fma_f64 v[12:13], v[0:1], v[4:5], -v[12:13]
	v_mul_f64 v[0:1], v[0:1], v[10:11]
	v_fma_f64 v[0:1], v[2:3], v[4:5], v[0:1]
	buffer_load_dword v3, off, s[0:3], 0 offset:804
	buffer_load_dword v2, off, s[0:3], 0 offset:800
	s_waitcnt vmcnt(0)
	v_add_f64 v[2:3], v[2:3], -v[12:13]
	buffer_load_dword v13, off, s[0:3], 0 offset:812
	buffer_load_dword v12, off, s[0:3], 0 offset:808
	s_waitcnt vmcnt(0)
	v_add_f64 v[0:1], v[12:13], -v[0:1]
	buffer_store_dword v3, off, s[0:3], 0 offset:804
	buffer_store_dword v2, off, s[0:3], 0 offset:800
	buffer_store_dword v1, off, s[0:3], 0 offset:812
	buffer_store_dword v0, off, s[0:3], 0 offset:808
	ds_read2_b64 v[0:3], v16 offset0:102 offset1:103
	s_waitcnt lgkmcnt(0)
	v_mul_f64 v[12:13], v[2:3], v[10:11]
	v_fma_f64 v[12:13], v[0:1], v[4:5], -v[12:13]
	v_mul_f64 v[0:1], v[0:1], v[10:11]
	v_fma_f64 v[0:1], v[2:3], v[4:5], v[0:1]
	buffer_load_dword v2, off, s[0:3], 0 offset:816
	buffer_load_dword v3, off, s[0:3], 0 offset:820
	buffer_load_dword v20, off, s[0:3], 0 offset:824
	buffer_load_dword v21, off, s[0:3], 0 offset:828
	s_waitcnt vmcnt(2)
	v_add_f64 v[2:3], v[2:3], -v[12:13]
	s_waitcnt vmcnt(0)
	v_add_f64 v[0:1], v[20:21], -v[0:1]
	buffer_store_dword v3, off, s[0:3], 0 offset:820
	buffer_store_dword v2, off, s[0:3], 0 offset:816
	buffer_store_dword v1, off, s[0:3], 0 offset:828
	buffer_store_dword v0, off, s[0:3], 0 offset:824
	ds_read2_b64 v[0:3], v16 offset0:104 offset1:105
	s_waitcnt lgkmcnt(0)
	v_mul_f64 v[12:13], v[2:3], v[10:11]
	v_fma_f64 v[12:13], v[0:1], v[4:5], -v[12:13]
	v_mul_f64 v[0:1], v[0:1], v[10:11]
	v_fma_f64 v[0:1], v[2:3], v[4:5], v[0:1]
	buffer_load_dword v2, off, s[0:3], 0 offset:832
	buffer_load_dword v3, off, s[0:3], 0 offset:836
	buffer_load_dword v20, off, s[0:3], 0 offset:840
	buffer_load_dword v21, off, s[0:3], 0 offset:844
	s_waitcnt vmcnt(2)
	v_add_f64 v[2:3], v[2:3], -v[12:13]
	;; [unrolled: 18-line block ×5, first 2 shown]
	s_waitcnt vmcnt(0)
	v_add_f64 v[0:1], v[4:5], -v[0:1]
	buffer_store_dword v3, off, s[0:3], 0 offset:884
	buffer_store_dword v2, off, s[0:3], 0 offset:880
	buffer_store_dword v1, off, s[0:3], 0 offset:892
	buffer_store_dword v0, off, s[0:3], 0 offset:888
	ds_read2_b64 v[0:3], v16 offset0:112 offset1:113
	buffer_load_dword v4, off, s[0:3], 0 offset:592
	buffer_load_dword v5, off, s[0:3], 0 offset:596
	;; [unrolled: 1-line block ×4, first 2 shown]
	s_waitcnt vmcnt(0) lgkmcnt(0)
	v_mul_f64 v[12:13], v[2:3], v[10:11]
	v_fma_f64 v[12:13], v[0:1], v[4:5], -v[12:13]
	v_mul_f64 v[0:1], v[0:1], v[10:11]
	v_fma_f64 v[0:1], v[2:3], v[4:5], v[0:1]
	buffer_load_dword v3, off, s[0:3], 0 offset:900
	buffer_load_dword v2, off, s[0:3], 0 offset:896
	s_waitcnt vmcnt(0)
	v_add_f64 v[2:3], v[2:3], -v[12:13]
	buffer_load_dword v13, off, s[0:3], 0 offset:908
	buffer_load_dword v12, off, s[0:3], 0 offset:904
	s_waitcnt vmcnt(0)
	v_add_f64 v[0:1], v[12:13], -v[0:1]
	buffer_store_dword v3, off, s[0:3], 0 offset:900
	buffer_store_dword v2, off, s[0:3], 0 offset:896
	buffer_store_dword v1, off, s[0:3], 0 offset:908
	buffer_store_dword v0, off, s[0:3], 0 offset:904
	ds_read2_b64 v[0:3], v16 offset0:114 offset1:115
	s_waitcnt lgkmcnt(0)
	v_mul_f64 v[12:13], v[2:3], v[10:11]
	v_fma_f64 v[12:13], v[0:1], v[4:5], -v[12:13]
	v_mul_f64 v[0:1], v[0:1], v[10:11]
	v_fma_f64 v[0:1], v[2:3], v[4:5], v[0:1]
	buffer_load_dword v2, off, s[0:3], 0 offset:912
	buffer_load_dword v3, off, s[0:3], 0 offset:916
	buffer_load_dword v20, off, s[0:3], 0 offset:920
	buffer_load_dword v21, off, s[0:3], 0 offset:924
	s_waitcnt vmcnt(2)
	v_add_f64 v[2:3], v[2:3], -v[12:13]
	s_waitcnt vmcnt(0)
	v_add_f64 v[0:1], v[20:21], -v[0:1]
	buffer_store_dword v3, off, s[0:3], 0 offset:916
	buffer_store_dword v2, off, s[0:3], 0 offset:912
	buffer_store_dword v1, off, s[0:3], 0 offset:924
	buffer_store_dword v0, off, s[0:3], 0 offset:920
	ds_read2_b64 v[0:3], v16 offset0:116 offset1:117
	s_waitcnt lgkmcnt(0)
	v_mul_f64 v[12:13], v[2:3], v[10:11]
	v_fma_f64 v[12:13], v[0:1], v[4:5], -v[12:13]
	v_mul_f64 v[0:1], v[0:1], v[10:11]
	v_fma_f64 v[0:1], v[2:3], v[4:5], v[0:1]
	buffer_load_dword v2, off, s[0:3], 0 offset:928
	buffer_load_dword v3, off, s[0:3], 0 offset:932
	buffer_load_dword v20, off, s[0:3], 0 offset:936
	buffer_load_dword v21, off, s[0:3], 0 offset:940
	s_waitcnt vmcnt(2)
	v_add_f64 v[2:3], v[2:3], -v[12:13]
	;; [unrolled: 18-line block ×5, first 2 shown]
	s_waitcnt vmcnt(0)
	v_add_f64 v[0:1], v[4:5], -v[0:1]
	buffer_store_dword v3, off, s[0:3], 0 offset:980
	buffer_store_dword v2, off, s[0:3], 0 offset:976
	;; [unrolled: 1-line block ×4, first 2 shown]
.LBB122_909:
	s_or_b64 exec, exec, s[4:5]
	v_mov_b32_e32 v3, s49
	s_waitcnt vmcnt(0)
	s_barrier
	buffer_load_dword v0, v3, s[0:3], 0 offen
	buffer_load_dword v1, v3, s[0:3], 0 offen offset:4
	buffer_load_dword v2, v3, s[0:3], 0 offen offset:8
	s_nop 0
	buffer_load_dword v3, v3, s[0:3], 0 offen offset:12
	v_lshl_add_u32 v4, v19, 4, v16
	s_cmp_lt_i32 s65, 40
	s_waitcnt vmcnt(0)
	ds_write2_b64 v4, v[0:1], v[2:3] offset1:1
	s_waitcnt lgkmcnt(0)
	s_barrier
	ds_read2_b64 v[0:3], v16 offset0:76 offset1:77
	v_mov_b32_e32 v4, 38
	s_cbranch_scc1 .LBB122_912
; %bb.910:
	v_add_u32_e32 v5, 0x270, v16
	s_mov_b32 s16, 39
	v_mov_b32_e32 v4, 38
.LBB122_911:                            ; =>This Inner Loop Header: Depth=1
	s_waitcnt lgkmcnt(0)
	v_cmp_gt_f64_e32 vcc, 0, v[2:3]
	v_cmp_gt_f64_e64 s[4:5], 0, v[0:1]
	ds_read2_b64 v[10:13], v5 offset1:1
	v_xor_b32_e32 v21, 0x80000000, v1
	v_xor_b32_e32 v23, 0x80000000, v3
	v_mov_b32_e32 v20, v0
	v_mov_b32_e32 v22, v2
	s_waitcnt lgkmcnt(0)
	v_xor_b32_e32 v25, 0x80000000, v13
	v_cndmask_b32_e32 v23, v3, v23, vcc
	v_cndmask_b32_e64 v21, v1, v21, s[4:5]
	v_cmp_gt_f64_e32 vcc, 0, v[12:13]
	v_cmp_gt_f64_e64 s[4:5], 0, v[10:11]
	v_add_f64 v[20:21], v[20:21], v[22:23]
	v_xor_b32_e32 v23, 0x80000000, v11
	v_mov_b32_e32 v22, v10
	v_mov_b32_e32 v24, v12
	v_add_u32_e32 v5, 16, v5
	v_cndmask_b32_e32 v25, v13, v25, vcc
	v_cndmask_b32_e64 v23, v11, v23, s[4:5]
	v_add_f64 v[22:23], v[22:23], v[24:25]
	v_mov_b32_e32 v24, s16
	s_add_i32 s16, s16, 1
	s_cmp_lg_u32 s65, s16
	v_cmp_lt_f64_e32 vcc, v[20:21], v[22:23]
	v_cndmask_b32_e32 v1, v1, v11, vcc
	v_cndmask_b32_e32 v0, v0, v10, vcc
	;; [unrolled: 1-line block ×5, first 2 shown]
	s_cbranch_scc1 .LBB122_911
.LBB122_912:
	s_waitcnt lgkmcnt(0)
	v_cmp_eq_f64_e32 vcc, 0, v[0:1]
	v_cmp_eq_f64_e64 s[4:5], 0, v[2:3]
	s_and_b64 s[4:5], vcc, s[4:5]
	s_and_saveexec_b64 s[16:17], s[4:5]
	s_xor_b64 s[4:5], exec, s[16:17]
; %bb.913:
	v_cmp_ne_u32_e32 vcc, 0, v17
	v_cndmask_b32_e32 v17, 39, v17, vcc
; %bb.914:
	s_andn2_saveexec_b64 s[4:5], s[4:5]
	s_cbranch_execz .LBB122_920
; %bb.915:
	v_cmp_ngt_f64_e64 s[16:17], |v[0:1]|, |v[2:3]|
	s_and_saveexec_b64 s[18:19], s[16:17]
	s_xor_b64 s[18:19], exec, s[18:19]
	s_cbranch_execz .LBB122_917
; %bb.916:
	v_div_scale_f64 v[10:11], s[16:17], v[2:3], v[2:3], v[0:1]
	v_rcp_f64_e32 v[12:13], v[10:11]
	v_fma_f64 v[20:21], -v[10:11], v[12:13], 1.0
	v_fma_f64 v[12:13], v[12:13], v[20:21], v[12:13]
	v_div_scale_f64 v[20:21], vcc, v[0:1], v[2:3], v[0:1]
	v_fma_f64 v[22:23], -v[10:11], v[12:13], 1.0
	v_fma_f64 v[12:13], v[12:13], v[22:23], v[12:13]
	v_mul_f64 v[22:23], v[20:21], v[12:13]
	v_fma_f64 v[10:11], -v[10:11], v[22:23], v[20:21]
	v_div_fmas_f64 v[10:11], v[10:11], v[12:13], v[22:23]
	v_div_fixup_f64 v[10:11], v[10:11], v[2:3], v[0:1]
	v_fma_f64 v[0:1], v[0:1], v[10:11], v[2:3]
	v_div_scale_f64 v[2:3], s[16:17], v[0:1], v[0:1], 1.0
	v_div_scale_f64 v[22:23], vcc, 1.0, v[0:1], 1.0
	v_rcp_f64_e32 v[12:13], v[2:3]
	v_fma_f64 v[20:21], -v[2:3], v[12:13], 1.0
	v_fma_f64 v[12:13], v[12:13], v[20:21], v[12:13]
	v_fma_f64 v[20:21], -v[2:3], v[12:13], 1.0
	v_fma_f64 v[12:13], v[12:13], v[20:21], v[12:13]
	v_mul_f64 v[20:21], v[22:23], v[12:13]
	v_fma_f64 v[2:3], -v[2:3], v[20:21], v[22:23]
	v_div_fmas_f64 v[2:3], v[2:3], v[12:13], v[20:21]
	v_div_fixup_f64 v[2:3], v[2:3], v[0:1], 1.0
	v_mul_f64 v[0:1], v[10:11], v[2:3]
	v_xor_b32_e32 v3, 0x80000000, v3
.LBB122_917:
	s_andn2_saveexec_b64 s[18:19], s[18:19]
	s_cbranch_execz .LBB122_919
; %bb.918:
	v_div_scale_f64 v[10:11], s[16:17], v[0:1], v[0:1], v[2:3]
	v_rcp_f64_e32 v[12:13], v[10:11]
	v_fma_f64 v[20:21], -v[10:11], v[12:13], 1.0
	v_fma_f64 v[12:13], v[12:13], v[20:21], v[12:13]
	v_div_scale_f64 v[20:21], vcc, v[2:3], v[0:1], v[2:3]
	v_fma_f64 v[22:23], -v[10:11], v[12:13], 1.0
	v_fma_f64 v[12:13], v[12:13], v[22:23], v[12:13]
	v_mul_f64 v[22:23], v[20:21], v[12:13]
	v_fma_f64 v[10:11], -v[10:11], v[22:23], v[20:21]
	v_div_fmas_f64 v[10:11], v[10:11], v[12:13], v[22:23]
	v_div_fixup_f64 v[10:11], v[10:11], v[0:1], v[2:3]
	v_fma_f64 v[0:1], v[2:3], v[10:11], v[0:1]
	v_div_scale_f64 v[2:3], s[16:17], v[0:1], v[0:1], 1.0
	v_div_scale_f64 v[22:23], vcc, 1.0, v[0:1], 1.0
	v_rcp_f64_e32 v[12:13], v[2:3]
	v_fma_f64 v[20:21], -v[2:3], v[12:13], 1.0
	v_fma_f64 v[12:13], v[12:13], v[20:21], v[12:13]
	v_fma_f64 v[20:21], -v[2:3], v[12:13], 1.0
	v_fma_f64 v[12:13], v[12:13], v[20:21], v[12:13]
	v_mul_f64 v[20:21], v[22:23], v[12:13]
	v_fma_f64 v[2:3], -v[2:3], v[20:21], v[22:23]
	v_div_fmas_f64 v[2:3], v[2:3], v[12:13], v[20:21]
	v_div_fixup_f64 v[0:1], v[2:3], v[0:1], 1.0
	v_mul_f64 v[2:3], v[10:11], -v[0:1]
.LBB122_919:
	s_or_b64 exec, exec, s[18:19]
.LBB122_920:
	s_or_b64 exec, exec, s[4:5]
	v_cmp_ne_u32_e32 vcc, v19, v4
	s_and_saveexec_b64 s[4:5], vcc
	s_xor_b64 s[4:5], exec, s[4:5]
	s_cbranch_execz .LBB122_926
; %bb.921:
	v_cmp_eq_u32_e32 vcc, 38, v19
	s_and_saveexec_b64 s[18:19], vcc
	s_cbranch_execz .LBB122_925
; %bb.922:
	v_cmp_ne_u32_e32 vcc, 38, v4
	s_xor_b64 s[16:17], s[22:23], -1
	s_and_b64 s[16:17], s[16:17], vcc
	s_and_saveexec_b64 s[24:25], s[16:17]
	s_cbranch_execz .LBB122_924
; %bb.923:
	v_ashrrev_i32_e32 v5, 31, v4
	v_lshlrev_b64 v[10:11], 2, v[4:5]
	v_add_co_u32_e32 v10, vcc, v8, v10
	v_addc_co_u32_e32 v11, vcc, v9, v11, vcc
	global_load_dword v5, v[10:11], off
	global_load_dword v12, v[8:9], off offset:152
	s_waitcnt vmcnt(1)
	global_store_dword v[8:9], v5, off offset:152
	s_waitcnt vmcnt(1)
	global_store_dword v[10:11], v12, off
.LBB122_924:
	s_or_b64 exec, exec, s[24:25]
	v_mov_b32_e32 v19, v4
	v_mov_b32_e32 v18, v4
.LBB122_925:
	s_or_b64 exec, exec, s[18:19]
.LBB122_926:
	s_andn2_saveexec_b64 s[4:5], s[4:5]
	s_cbranch_execz .LBB122_928
; %bb.927:
	v_mov_b32_e32 v11, s48
	buffer_load_dword v4, v11, s[0:3], 0 offen
	buffer_load_dword v5, v11, s[0:3], 0 offen offset:4
	buffer_load_dword v10, v11, s[0:3], 0 offen offset:8
	s_nop 0
	buffer_load_dword v11, v11, s[0:3], 0 offen offset:12
	v_mov_b32_e32 v19, 38
	s_waitcnt vmcnt(0)
	ds_write2_b64 v16, v[4:5], v[10:11] offset0:78 offset1:79
	v_mov_b32_e32 v11, s46
	buffer_load_dword v4, v11, s[0:3], 0 offen
	buffer_load_dword v5, v11, s[0:3], 0 offen offset:4
	buffer_load_dword v10, v11, s[0:3], 0 offen offset:8
	s_nop 0
	buffer_load_dword v11, v11, s[0:3], 0 offen offset:12
	s_waitcnt vmcnt(0)
	ds_write2_b64 v16, v[4:5], v[10:11] offset0:80 offset1:81
	v_mov_b32_e32 v11, s45
	buffer_load_dword v4, v11, s[0:3], 0 offen
	buffer_load_dword v5, v11, s[0:3], 0 offen offset:4
	buffer_load_dword v10, v11, s[0:3], 0 offen offset:8
	s_nop 0
	buffer_load_dword v11, v11, s[0:3], 0 offen offset:12
	s_waitcnt vmcnt(0)
	ds_write2_b64 v16, v[4:5], v[10:11] offset0:82 offset1:83
	v_mov_b32_e32 v11, s44
	buffer_load_dword v4, v11, s[0:3], 0 offen
	buffer_load_dword v5, v11, s[0:3], 0 offen offset:4
	buffer_load_dword v10, v11, s[0:3], 0 offen offset:8
	s_nop 0
	buffer_load_dword v11, v11, s[0:3], 0 offen offset:12
	s_waitcnt vmcnt(0)
	ds_write2_b64 v16, v[4:5], v[10:11] offset0:84 offset1:85
	v_mov_b32_e32 v11, s43
	buffer_load_dword v4, v11, s[0:3], 0 offen
	buffer_load_dword v5, v11, s[0:3], 0 offen offset:4
	buffer_load_dword v10, v11, s[0:3], 0 offen offset:8
	s_nop 0
	buffer_load_dword v11, v11, s[0:3], 0 offen offset:12
	s_waitcnt vmcnt(0)
	ds_write2_b64 v16, v[4:5], v[10:11] offset0:86 offset1:87
	v_mov_b32_e32 v11, s42
	buffer_load_dword v4, v11, s[0:3], 0 offen
	buffer_load_dword v5, v11, s[0:3], 0 offen offset:4
	buffer_load_dword v10, v11, s[0:3], 0 offen offset:8
	s_nop 0
	buffer_load_dword v11, v11, s[0:3], 0 offen offset:12
	s_waitcnt vmcnt(0)
	ds_write2_b64 v16, v[4:5], v[10:11] offset0:88 offset1:89
	v_mov_b32_e32 v11, s41
	buffer_load_dword v4, v11, s[0:3], 0 offen
	buffer_load_dword v5, v11, s[0:3], 0 offen offset:4
	buffer_load_dword v10, v11, s[0:3], 0 offen offset:8
	s_nop 0
	buffer_load_dword v11, v11, s[0:3], 0 offen offset:12
	s_waitcnt vmcnt(0)
	ds_write2_b64 v16, v[4:5], v[10:11] offset0:90 offset1:91
	v_mov_b32_e32 v11, s40
	buffer_load_dword v4, v11, s[0:3], 0 offen
	buffer_load_dword v5, v11, s[0:3], 0 offen offset:4
	buffer_load_dword v10, v11, s[0:3], 0 offen offset:8
	s_nop 0
	buffer_load_dword v11, v11, s[0:3], 0 offen offset:12
	s_waitcnt vmcnt(0)
	ds_write2_b64 v16, v[4:5], v[10:11] offset0:92 offset1:93
	v_mov_b32_e32 v11, s39
	buffer_load_dword v4, v11, s[0:3], 0 offen
	buffer_load_dword v5, v11, s[0:3], 0 offen offset:4
	buffer_load_dword v10, v11, s[0:3], 0 offen offset:8
	s_nop 0
	buffer_load_dword v11, v11, s[0:3], 0 offen offset:12
	s_waitcnt vmcnt(0)
	ds_write2_b64 v16, v[4:5], v[10:11] offset0:94 offset1:95
	v_mov_b32_e32 v11, s38
	buffer_load_dword v4, v11, s[0:3], 0 offen
	buffer_load_dword v5, v11, s[0:3], 0 offen offset:4
	buffer_load_dword v10, v11, s[0:3], 0 offen offset:8
	s_nop 0
	buffer_load_dword v11, v11, s[0:3], 0 offen offset:12
	s_waitcnt vmcnt(0)
	ds_write2_b64 v16, v[4:5], v[10:11] offset0:96 offset1:97
	v_mov_b32_e32 v11, s37
	buffer_load_dword v4, v11, s[0:3], 0 offen
	buffer_load_dword v5, v11, s[0:3], 0 offen offset:4
	buffer_load_dword v10, v11, s[0:3], 0 offen offset:8
	s_nop 0
	buffer_load_dword v11, v11, s[0:3], 0 offen offset:12
	s_waitcnt vmcnt(0)
	ds_write2_b64 v16, v[4:5], v[10:11] offset0:98 offset1:99
	v_mov_b32_e32 v11, s36
	buffer_load_dword v4, v11, s[0:3], 0 offen
	buffer_load_dword v5, v11, s[0:3], 0 offen offset:4
	buffer_load_dword v10, v11, s[0:3], 0 offen offset:8
	s_nop 0
	buffer_load_dword v11, v11, s[0:3], 0 offen offset:12
	s_waitcnt vmcnt(0)
	ds_write2_b64 v16, v[4:5], v[10:11] offset0:100 offset1:101
	v_mov_b32_e32 v11, s35
	buffer_load_dword v4, v11, s[0:3], 0 offen
	buffer_load_dword v5, v11, s[0:3], 0 offen offset:4
	buffer_load_dword v10, v11, s[0:3], 0 offen offset:8
	s_nop 0
	buffer_load_dword v11, v11, s[0:3], 0 offen offset:12
	s_waitcnt vmcnt(0)
	ds_write2_b64 v16, v[4:5], v[10:11] offset0:102 offset1:103
	v_mov_b32_e32 v11, s34
	buffer_load_dword v4, v11, s[0:3], 0 offen
	buffer_load_dword v5, v11, s[0:3], 0 offen offset:4
	buffer_load_dword v10, v11, s[0:3], 0 offen offset:8
	s_nop 0
	buffer_load_dword v11, v11, s[0:3], 0 offen offset:12
	s_waitcnt vmcnt(0)
	ds_write2_b64 v16, v[4:5], v[10:11] offset0:104 offset1:105
	v_mov_b32_e32 v11, s33
	buffer_load_dword v4, v11, s[0:3], 0 offen
	buffer_load_dword v5, v11, s[0:3], 0 offen offset:4
	buffer_load_dword v10, v11, s[0:3], 0 offen offset:8
	s_nop 0
	buffer_load_dword v11, v11, s[0:3], 0 offen offset:12
	s_waitcnt vmcnt(0)
	ds_write2_b64 v16, v[4:5], v[10:11] offset0:106 offset1:107
	v_mov_b32_e32 v11, s31
	buffer_load_dword v4, v11, s[0:3], 0 offen
	buffer_load_dword v5, v11, s[0:3], 0 offen offset:4
	buffer_load_dword v10, v11, s[0:3], 0 offen offset:8
	s_nop 0
	buffer_load_dword v11, v11, s[0:3], 0 offen offset:12
	s_waitcnt vmcnt(0)
	ds_write2_b64 v16, v[4:5], v[10:11] offset0:108 offset1:109
	v_mov_b32_e32 v11, s30
	buffer_load_dword v4, v11, s[0:3], 0 offen
	buffer_load_dword v5, v11, s[0:3], 0 offen offset:4
	buffer_load_dword v10, v11, s[0:3], 0 offen offset:8
	s_nop 0
	buffer_load_dword v11, v11, s[0:3], 0 offen offset:12
	s_waitcnt vmcnt(0)
	ds_write2_b64 v16, v[4:5], v[10:11] offset0:110 offset1:111
	v_mov_b32_e32 v11, s29
	buffer_load_dword v4, v11, s[0:3], 0 offen
	buffer_load_dword v5, v11, s[0:3], 0 offen offset:4
	buffer_load_dword v10, v11, s[0:3], 0 offen offset:8
	s_nop 0
	buffer_load_dword v11, v11, s[0:3], 0 offen offset:12
	s_waitcnt vmcnt(0)
	ds_write2_b64 v16, v[4:5], v[10:11] offset0:112 offset1:113
	v_mov_b32_e32 v11, s28
	buffer_load_dword v4, v11, s[0:3], 0 offen
	buffer_load_dword v5, v11, s[0:3], 0 offen offset:4
	buffer_load_dword v10, v11, s[0:3], 0 offen offset:8
	s_nop 0
	buffer_load_dword v11, v11, s[0:3], 0 offen offset:12
	s_waitcnt vmcnt(0)
	ds_write2_b64 v16, v[4:5], v[10:11] offset0:114 offset1:115
	v_mov_b32_e32 v11, s27
	buffer_load_dword v4, v11, s[0:3], 0 offen
	buffer_load_dword v5, v11, s[0:3], 0 offen offset:4
	buffer_load_dword v10, v11, s[0:3], 0 offen offset:8
	s_nop 0
	buffer_load_dword v11, v11, s[0:3], 0 offen offset:12
	s_waitcnt vmcnt(0)
	ds_write2_b64 v16, v[4:5], v[10:11] offset0:116 offset1:117
	v_mov_b32_e32 v11, s26
	buffer_load_dword v4, v11, s[0:3], 0 offen
	buffer_load_dword v5, v11, s[0:3], 0 offen offset:4
	buffer_load_dword v10, v11, s[0:3], 0 offen offset:8
	s_nop 0
	buffer_load_dword v11, v11, s[0:3], 0 offen offset:12
	s_waitcnt vmcnt(0)
	ds_write2_b64 v16, v[4:5], v[10:11] offset0:118 offset1:119
	v_mov_b32_e32 v11, s20
	buffer_load_dword v4, v11, s[0:3], 0 offen
	buffer_load_dword v5, v11, s[0:3], 0 offen offset:4
	buffer_load_dword v10, v11, s[0:3], 0 offen offset:8
	s_nop 0
	buffer_load_dword v11, v11, s[0:3], 0 offen offset:12
	s_waitcnt vmcnt(0)
	ds_write2_b64 v16, v[4:5], v[10:11] offset0:120 offset1:121
	v_mov_b32_e32 v11, s7
	buffer_load_dword v4, v11, s[0:3], 0 offen
	buffer_load_dword v5, v11, s[0:3], 0 offen offset:4
	buffer_load_dword v10, v11, s[0:3], 0 offen offset:8
	s_nop 0
	buffer_load_dword v11, v11, s[0:3], 0 offen offset:12
	s_waitcnt vmcnt(0)
	ds_write2_b64 v16, v[4:5], v[10:11] offset0:122 offset1:123
.LBB122_928:
	s_or_b64 exec, exec, s[4:5]
	v_cmp_lt_i32_e32 vcc, 38, v19
	s_waitcnt vmcnt(0) lgkmcnt(0)
	s_barrier
	s_and_saveexec_b64 s[4:5], vcc
	s_cbranch_execz .LBB122_930
; %bb.929:
	buffer_load_dword v4, off, s[0:3], 0 offset:608
	buffer_load_dword v5, off, s[0:3], 0 offset:612
	;; [unrolled: 1-line block ×16, first 2 shown]
	s_waitcnt vmcnt(12)
	v_mul_f64 v[30:31], v[2:3], v[10:11]
	v_fma_f64 v[30:31], v[0:1], v[4:5], -v[30:31]
	v_mul_f64 v[0:1], v[0:1], v[10:11]
	v_fma_f64 v[4:5], v[2:3], v[4:5], v[0:1]
	buffer_store_dword v30, off, s[0:3], 0 offset:608
	buffer_store_dword v31, off, s[0:3], 0 offset:612
	buffer_store_dword v4, off, s[0:3], 0 offset:616
	buffer_store_dword v5, off, s[0:3], 0 offset:620
	ds_read2_b64 v[0:3], v16 offset0:78 offset1:79
	s_waitcnt lgkmcnt(0)
	v_mul_f64 v[10:11], v[2:3], v[4:5]
	v_fma_f64 v[10:11], v[0:1], v[30:31], -v[10:11]
	v_mul_f64 v[0:1], v[0:1], v[4:5]
	v_fma_f64 v[0:1], v[2:3], v[30:31], v[0:1]
	s_waitcnt vmcnt(14)
	v_add_f64 v[2:3], v[12:13], -v[10:11]
	s_waitcnt vmcnt(12)
	v_add_f64 v[0:1], v[20:21], -v[0:1]
	buffer_store_dword v2, off, s[0:3], 0 offset:624
	buffer_store_dword v3, off, s[0:3], 0 offset:628
	buffer_store_dword v0, off, s[0:3], 0 offset:632
	buffer_store_dword v1, off, s[0:3], 0 offset:636
	ds_read2_b64 v[0:3], v16 offset0:80 offset1:81
	s_waitcnt lgkmcnt(0)
	v_mul_f64 v[10:11], v[2:3], v[4:5]
	v_fma_f64 v[10:11], v[0:1], v[30:31], -v[10:11]
	v_mul_f64 v[0:1], v[0:1], v[4:5]
	v_fma_f64 v[0:1], v[2:3], v[30:31], v[0:1]
	s_waitcnt vmcnt(14)
	v_add_f64 v[2:3], v[22:23], -v[10:11]
	s_waitcnt vmcnt(12)
	v_add_f64 v[0:1], v[24:25], -v[0:1]
	;; [unrolled: 14-line block ×3, first 2 shown]
	buffer_store_dword v3, off, s[0:3], 0 offset:660
	buffer_store_dword v2, off, s[0:3], 0 offset:656
	buffer_store_dword v0, off, s[0:3], 0 offset:664
	buffer_store_dword v1, off, s[0:3], 0 offset:668
	ds_read2_b64 v[0:3], v16 offset0:84 offset1:85
	s_waitcnt lgkmcnt(0)
	v_mul_f64 v[10:11], v[2:3], v[4:5]
	v_fma_f64 v[10:11], v[0:1], v[30:31], -v[10:11]
	v_mul_f64 v[0:1], v[0:1], v[4:5]
	v_fma_f64 v[0:1], v[2:3], v[30:31], v[0:1]
	buffer_load_dword v2, off, s[0:3], 0 offset:672
	buffer_load_dword v3, off, s[0:3], 0 offset:676
	buffer_load_dword v12, off, s[0:3], 0 offset:680
	buffer_load_dword v13, off, s[0:3], 0 offset:684
	s_waitcnt vmcnt(2)
	v_add_f64 v[2:3], v[2:3], -v[10:11]
	s_waitcnt vmcnt(0)
	v_add_f64 v[0:1], v[12:13], -v[0:1]
	buffer_store_dword v3, off, s[0:3], 0 offset:676
	buffer_store_dword v2, off, s[0:3], 0 offset:672
	buffer_store_dword v1, off, s[0:3], 0 offset:684
	buffer_store_dword v0, off, s[0:3], 0 offset:680
	ds_read2_b64 v[0:3], v16 offset0:86 offset1:87
	s_waitcnt lgkmcnt(0)
	v_mul_f64 v[10:11], v[2:3], v[4:5]
	v_fma_f64 v[10:11], v[0:1], v[30:31], -v[10:11]
	v_mul_f64 v[0:1], v[0:1], v[4:5]
	v_fma_f64 v[0:1], v[2:3], v[30:31], v[0:1]
	buffer_load_dword v2, off, s[0:3], 0 offset:688
	buffer_load_dword v3, off, s[0:3], 0 offset:692
	buffer_load_dword v12, off, s[0:3], 0 offset:696
	buffer_load_dword v13, off, s[0:3], 0 offset:700
	s_waitcnt vmcnt(2)
	v_add_f64 v[2:3], v[2:3], -v[10:11]
	s_waitcnt vmcnt(0)
	v_add_f64 v[0:1], v[12:13], -v[0:1]
	;; [unrolled: 18-line block ×3, first 2 shown]
	buffer_store_dword v3, off, s[0:3], 0 offset:708
	buffer_store_dword v2, off, s[0:3], 0 offset:704
	;; [unrolled: 1-line block ×4, first 2 shown]
	ds_read2_b64 v[0:3], v16 offset0:90 offset1:91
	buffer_load_dword v4, off, s[0:3], 0 offset:608
	buffer_load_dword v5, off, s[0:3], 0 offset:612
	;; [unrolled: 1-line block ×4, first 2 shown]
	s_waitcnt vmcnt(0) lgkmcnt(0)
	v_mul_f64 v[12:13], v[2:3], v[10:11]
	v_fma_f64 v[12:13], v[0:1], v[4:5], -v[12:13]
	v_mul_f64 v[0:1], v[0:1], v[10:11]
	v_fma_f64 v[0:1], v[2:3], v[4:5], v[0:1]
	buffer_load_dword v3, off, s[0:3], 0 offset:724
	buffer_load_dword v2, off, s[0:3], 0 offset:720
	s_waitcnt vmcnt(0)
	v_add_f64 v[2:3], v[2:3], -v[12:13]
	buffer_load_dword v13, off, s[0:3], 0 offset:732
	buffer_load_dword v12, off, s[0:3], 0 offset:728
	s_waitcnt vmcnt(0)
	v_add_f64 v[0:1], v[12:13], -v[0:1]
	buffer_store_dword v3, off, s[0:3], 0 offset:724
	buffer_store_dword v2, off, s[0:3], 0 offset:720
	buffer_store_dword v1, off, s[0:3], 0 offset:732
	buffer_store_dword v0, off, s[0:3], 0 offset:728
	ds_read2_b64 v[0:3], v16 offset0:92 offset1:93
	s_waitcnt lgkmcnt(0)
	v_mul_f64 v[12:13], v[2:3], v[10:11]
	v_fma_f64 v[12:13], v[0:1], v[4:5], -v[12:13]
	v_mul_f64 v[0:1], v[0:1], v[10:11]
	v_fma_f64 v[0:1], v[2:3], v[4:5], v[0:1]
	buffer_load_dword v2, off, s[0:3], 0 offset:736
	buffer_load_dword v3, off, s[0:3], 0 offset:740
	buffer_load_dword v20, off, s[0:3], 0 offset:744
	buffer_load_dword v21, off, s[0:3], 0 offset:748
	s_waitcnt vmcnt(2)
	v_add_f64 v[2:3], v[2:3], -v[12:13]
	s_waitcnt vmcnt(0)
	v_add_f64 v[0:1], v[20:21], -v[0:1]
	buffer_store_dword v3, off, s[0:3], 0 offset:740
	buffer_store_dword v2, off, s[0:3], 0 offset:736
	buffer_store_dword v1, off, s[0:3], 0 offset:748
	buffer_store_dword v0, off, s[0:3], 0 offset:744
	ds_read2_b64 v[0:3], v16 offset0:94 offset1:95
	s_waitcnt lgkmcnt(0)
	v_mul_f64 v[12:13], v[2:3], v[10:11]
	v_fma_f64 v[12:13], v[0:1], v[4:5], -v[12:13]
	v_mul_f64 v[0:1], v[0:1], v[10:11]
	v_fma_f64 v[0:1], v[2:3], v[4:5], v[0:1]
	buffer_load_dword v2, off, s[0:3], 0 offset:752
	buffer_load_dword v3, off, s[0:3], 0 offset:756
	buffer_load_dword v20, off, s[0:3], 0 offset:760
	buffer_load_dword v21, off, s[0:3], 0 offset:764
	s_waitcnt vmcnt(2)
	v_add_f64 v[2:3], v[2:3], -v[12:13]
	;; [unrolled: 18-line block ×5, first 2 shown]
	s_waitcnt vmcnt(0)
	v_add_f64 v[0:1], v[4:5], -v[0:1]
	buffer_store_dword v3, off, s[0:3], 0 offset:804
	buffer_store_dword v2, off, s[0:3], 0 offset:800
	;; [unrolled: 1-line block ×4, first 2 shown]
	ds_read2_b64 v[0:3], v16 offset0:102 offset1:103
	buffer_load_dword v4, off, s[0:3], 0 offset:608
	buffer_load_dword v5, off, s[0:3], 0 offset:612
	buffer_load_dword v10, off, s[0:3], 0 offset:616
	buffer_load_dword v11, off, s[0:3], 0 offset:620
	s_waitcnt vmcnt(0) lgkmcnt(0)
	v_mul_f64 v[12:13], v[2:3], v[10:11]
	v_fma_f64 v[12:13], v[0:1], v[4:5], -v[12:13]
	v_mul_f64 v[0:1], v[0:1], v[10:11]
	v_fma_f64 v[0:1], v[2:3], v[4:5], v[0:1]
	buffer_load_dword v3, off, s[0:3], 0 offset:820
	buffer_load_dword v2, off, s[0:3], 0 offset:816
	s_waitcnt vmcnt(0)
	v_add_f64 v[2:3], v[2:3], -v[12:13]
	buffer_load_dword v13, off, s[0:3], 0 offset:828
	buffer_load_dword v12, off, s[0:3], 0 offset:824
	s_waitcnt vmcnt(0)
	v_add_f64 v[0:1], v[12:13], -v[0:1]
	buffer_store_dword v3, off, s[0:3], 0 offset:820
	buffer_store_dword v2, off, s[0:3], 0 offset:816
	buffer_store_dword v1, off, s[0:3], 0 offset:828
	buffer_store_dword v0, off, s[0:3], 0 offset:824
	ds_read2_b64 v[0:3], v16 offset0:104 offset1:105
	s_waitcnt lgkmcnt(0)
	v_mul_f64 v[12:13], v[2:3], v[10:11]
	v_fma_f64 v[12:13], v[0:1], v[4:5], -v[12:13]
	v_mul_f64 v[0:1], v[0:1], v[10:11]
	v_fma_f64 v[0:1], v[2:3], v[4:5], v[0:1]
	buffer_load_dword v2, off, s[0:3], 0 offset:832
	buffer_load_dword v3, off, s[0:3], 0 offset:836
	buffer_load_dword v20, off, s[0:3], 0 offset:840
	buffer_load_dword v21, off, s[0:3], 0 offset:844
	s_waitcnt vmcnt(2)
	v_add_f64 v[2:3], v[2:3], -v[12:13]
	s_waitcnt vmcnt(0)
	v_add_f64 v[0:1], v[20:21], -v[0:1]
	buffer_store_dword v3, off, s[0:3], 0 offset:836
	buffer_store_dword v2, off, s[0:3], 0 offset:832
	buffer_store_dword v1, off, s[0:3], 0 offset:844
	buffer_store_dword v0, off, s[0:3], 0 offset:840
	ds_read2_b64 v[0:3], v16 offset0:106 offset1:107
	s_waitcnt lgkmcnt(0)
	v_mul_f64 v[12:13], v[2:3], v[10:11]
	v_fma_f64 v[12:13], v[0:1], v[4:5], -v[12:13]
	v_mul_f64 v[0:1], v[0:1], v[10:11]
	v_fma_f64 v[0:1], v[2:3], v[4:5], v[0:1]
	buffer_load_dword v2, off, s[0:3], 0 offset:848
	buffer_load_dword v3, off, s[0:3], 0 offset:852
	buffer_load_dword v20, off, s[0:3], 0 offset:856
	buffer_load_dword v21, off, s[0:3], 0 offset:860
	s_waitcnt vmcnt(2)
	v_add_f64 v[2:3], v[2:3], -v[12:13]
	s_waitcnt vmcnt(0)
	v_add_f64 v[0:1], v[20:21], -v[0:1]
	buffer_store_dword v3, off, s[0:3], 0 offset:852
	buffer_store_dword v2, off, s[0:3], 0 offset:848
	buffer_store_dword v1, off, s[0:3], 0 offset:860
	buffer_store_dword v0, off, s[0:3], 0 offset:856
	ds_read2_b64 v[0:3], v16 offset0:108 offset1:109
	s_waitcnt lgkmcnt(0)
	v_mul_f64 v[12:13], v[2:3], v[10:11]
	v_fma_f64 v[12:13], v[0:1], v[4:5], -v[12:13]
	v_mul_f64 v[0:1], v[0:1], v[10:11]
	v_fma_f64 v[0:1], v[2:3], v[4:5], v[0:1]
	buffer_load_dword v2, off, s[0:3], 0 offset:864
	buffer_load_dword v3, off, s[0:3], 0 offset:868
	buffer_load_dword v20, off, s[0:3], 0 offset:872
	buffer_load_dword v21, off, s[0:3], 0 offset:876
	s_waitcnt vmcnt(2)
	v_add_f64 v[2:3], v[2:3], -v[12:13]
	s_waitcnt vmcnt(0)
	v_add_f64 v[0:1], v[20:21], -v[0:1]
	buffer_store_dword v3, off, s[0:3], 0 offset:868
	buffer_store_dword v2, off, s[0:3], 0 offset:864
	buffer_store_dword v1, off, s[0:3], 0 offset:876
	buffer_store_dword v0, off, s[0:3], 0 offset:872
	ds_read2_b64 v[0:3], v16 offset0:110 offset1:111
	s_waitcnt lgkmcnt(0)
	v_mul_f64 v[12:13], v[2:3], v[10:11]
	v_fma_f64 v[12:13], v[0:1], v[4:5], -v[12:13]
	v_mul_f64 v[0:1], v[0:1], v[10:11]
	v_fma_f64 v[0:1], v[2:3], v[4:5], v[0:1]
	buffer_load_dword v2, off, s[0:3], 0 offset:880
	buffer_load_dword v3, off, s[0:3], 0 offset:884
	buffer_load_dword v20, off, s[0:3], 0 offset:888
	buffer_load_dword v21, off, s[0:3], 0 offset:892
	s_waitcnt vmcnt(2)
	v_add_f64 v[2:3], v[2:3], -v[12:13]
	s_waitcnt vmcnt(0)
	v_add_f64 v[0:1], v[20:21], -v[0:1]
	buffer_store_dword v3, off, s[0:3], 0 offset:884
	buffer_store_dword v2, off, s[0:3], 0 offset:880
	buffer_store_dword v1, off, s[0:3], 0 offset:892
	buffer_store_dword v0, off, s[0:3], 0 offset:888
	ds_read2_b64 v[0:3], v16 offset0:112 offset1:113
	s_waitcnt lgkmcnt(0)
	v_mul_f64 v[12:13], v[2:3], v[10:11]
	v_fma_f64 v[12:13], v[0:1], v[4:5], -v[12:13]
	v_mul_f64 v[0:1], v[0:1], v[10:11]
	v_fma_f64 v[0:1], v[2:3], v[4:5], v[0:1]
	buffer_load_dword v2, off, s[0:3], 0 offset:896
	buffer_load_dword v3, off, s[0:3], 0 offset:900
	buffer_load_dword v4, off, s[0:3], 0 offset:904
	buffer_load_dword v5, off, s[0:3], 0 offset:908
	s_waitcnt vmcnt(2)
	v_add_f64 v[2:3], v[2:3], -v[12:13]
	s_waitcnt vmcnt(0)
	v_add_f64 v[0:1], v[4:5], -v[0:1]
	buffer_store_dword v3, off, s[0:3], 0 offset:900
	buffer_store_dword v2, off, s[0:3], 0 offset:896
	;; [unrolled: 1-line block ×4, first 2 shown]
	ds_read2_b64 v[0:3], v16 offset0:114 offset1:115
	buffer_load_dword v4, off, s[0:3], 0 offset:608
	buffer_load_dword v5, off, s[0:3], 0 offset:612
	;; [unrolled: 1-line block ×4, first 2 shown]
	s_waitcnt vmcnt(0) lgkmcnt(0)
	v_mul_f64 v[12:13], v[2:3], v[10:11]
	v_fma_f64 v[12:13], v[0:1], v[4:5], -v[12:13]
	v_mul_f64 v[0:1], v[0:1], v[10:11]
	v_fma_f64 v[0:1], v[2:3], v[4:5], v[0:1]
	buffer_load_dword v3, off, s[0:3], 0 offset:916
	buffer_load_dword v2, off, s[0:3], 0 offset:912
	s_waitcnt vmcnt(0)
	v_add_f64 v[2:3], v[2:3], -v[12:13]
	buffer_load_dword v13, off, s[0:3], 0 offset:924
	buffer_load_dword v12, off, s[0:3], 0 offset:920
	s_waitcnt vmcnt(0)
	v_add_f64 v[0:1], v[12:13], -v[0:1]
	buffer_store_dword v3, off, s[0:3], 0 offset:916
	buffer_store_dword v2, off, s[0:3], 0 offset:912
	buffer_store_dword v1, off, s[0:3], 0 offset:924
	buffer_store_dword v0, off, s[0:3], 0 offset:920
	ds_read2_b64 v[0:3], v16 offset0:116 offset1:117
	s_waitcnt lgkmcnt(0)
	v_mul_f64 v[12:13], v[2:3], v[10:11]
	v_fma_f64 v[12:13], v[0:1], v[4:5], -v[12:13]
	v_mul_f64 v[0:1], v[0:1], v[10:11]
	v_fma_f64 v[0:1], v[2:3], v[4:5], v[0:1]
	buffer_load_dword v2, off, s[0:3], 0 offset:928
	buffer_load_dword v3, off, s[0:3], 0 offset:932
	buffer_load_dword v20, off, s[0:3], 0 offset:936
	buffer_load_dword v21, off, s[0:3], 0 offset:940
	s_waitcnt vmcnt(2)
	v_add_f64 v[2:3], v[2:3], -v[12:13]
	s_waitcnt vmcnt(0)
	v_add_f64 v[0:1], v[20:21], -v[0:1]
	buffer_store_dword v3, off, s[0:3], 0 offset:932
	buffer_store_dword v2, off, s[0:3], 0 offset:928
	buffer_store_dword v1, off, s[0:3], 0 offset:940
	buffer_store_dword v0, off, s[0:3], 0 offset:936
	ds_read2_b64 v[0:3], v16 offset0:118 offset1:119
	s_waitcnt lgkmcnt(0)
	v_mul_f64 v[12:13], v[2:3], v[10:11]
	v_fma_f64 v[12:13], v[0:1], v[4:5], -v[12:13]
	v_mul_f64 v[0:1], v[0:1], v[10:11]
	v_fma_f64 v[0:1], v[2:3], v[4:5], v[0:1]
	buffer_load_dword v2, off, s[0:3], 0 offset:944
	buffer_load_dword v3, off, s[0:3], 0 offset:948
	buffer_load_dword v20, off, s[0:3], 0 offset:952
	buffer_load_dword v21, off, s[0:3], 0 offset:956
	s_waitcnt vmcnt(2)
	v_add_f64 v[2:3], v[2:3], -v[12:13]
	;; [unrolled: 18-line block ×4, first 2 shown]
	s_waitcnt vmcnt(0)
	v_add_f64 v[0:1], v[4:5], -v[0:1]
	buffer_store_dword v3, off, s[0:3], 0 offset:980
	buffer_store_dword v2, off, s[0:3], 0 offset:976
	;; [unrolled: 1-line block ×4, first 2 shown]
.LBB122_930:
	s_or_b64 exec, exec, s[4:5]
	v_mov_b32_e32 v3, s48
	s_waitcnt vmcnt(0)
	s_barrier
	buffer_load_dword v0, v3, s[0:3], 0 offen
	buffer_load_dword v1, v3, s[0:3], 0 offen offset:4
	buffer_load_dword v2, v3, s[0:3], 0 offen offset:8
	s_nop 0
	buffer_load_dword v3, v3, s[0:3], 0 offen offset:12
	v_lshl_add_u32 v4, v19, 4, v16
	s_cmp_lt_i32 s65, 41
	s_waitcnt vmcnt(0)
	ds_write2_b64 v4, v[0:1], v[2:3] offset1:1
	s_waitcnt lgkmcnt(0)
	s_barrier
	ds_read2_b64 v[0:3], v16 offset0:78 offset1:79
	v_mov_b32_e32 v4, 39
	s_cbranch_scc1 .LBB122_933
; %bb.931:
	v_add_u32_e32 v5, 0x280, v16
	s_mov_b32 s16, 40
	v_mov_b32_e32 v4, 39
.LBB122_932:                            ; =>This Inner Loop Header: Depth=1
	s_waitcnt lgkmcnt(0)
	v_cmp_gt_f64_e32 vcc, 0, v[2:3]
	v_cmp_gt_f64_e64 s[4:5], 0, v[0:1]
	ds_read2_b64 v[10:13], v5 offset1:1
	v_xor_b32_e32 v21, 0x80000000, v1
	v_xor_b32_e32 v23, 0x80000000, v3
	v_mov_b32_e32 v20, v0
	v_mov_b32_e32 v22, v2
	s_waitcnt lgkmcnt(0)
	v_xor_b32_e32 v25, 0x80000000, v13
	v_cndmask_b32_e32 v23, v3, v23, vcc
	v_cndmask_b32_e64 v21, v1, v21, s[4:5]
	v_cmp_gt_f64_e32 vcc, 0, v[12:13]
	v_cmp_gt_f64_e64 s[4:5], 0, v[10:11]
	v_add_f64 v[20:21], v[20:21], v[22:23]
	v_xor_b32_e32 v23, 0x80000000, v11
	v_mov_b32_e32 v22, v10
	v_mov_b32_e32 v24, v12
	v_add_u32_e32 v5, 16, v5
	v_cndmask_b32_e32 v25, v13, v25, vcc
	v_cndmask_b32_e64 v23, v11, v23, s[4:5]
	v_add_f64 v[22:23], v[22:23], v[24:25]
	v_mov_b32_e32 v24, s16
	s_add_i32 s16, s16, 1
	s_cmp_lg_u32 s65, s16
	v_cmp_lt_f64_e32 vcc, v[20:21], v[22:23]
	v_cndmask_b32_e32 v1, v1, v11, vcc
	v_cndmask_b32_e32 v0, v0, v10, vcc
	;; [unrolled: 1-line block ×5, first 2 shown]
	s_cbranch_scc1 .LBB122_932
.LBB122_933:
	s_waitcnt lgkmcnt(0)
	v_cmp_eq_f64_e32 vcc, 0, v[0:1]
	v_cmp_eq_f64_e64 s[4:5], 0, v[2:3]
	s_and_b64 s[4:5], vcc, s[4:5]
	s_and_saveexec_b64 s[16:17], s[4:5]
	s_xor_b64 s[4:5], exec, s[16:17]
; %bb.934:
	v_cmp_ne_u32_e32 vcc, 0, v17
	v_cndmask_b32_e32 v17, 40, v17, vcc
; %bb.935:
	s_andn2_saveexec_b64 s[4:5], s[4:5]
	s_cbranch_execz .LBB122_941
; %bb.936:
	v_cmp_ngt_f64_e64 s[16:17], |v[0:1]|, |v[2:3]|
	s_and_saveexec_b64 s[18:19], s[16:17]
	s_xor_b64 s[18:19], exec, s[18:19]
	s_cbranch_execz .LBB122_938
; %bb.937:
	v_div_scale_f64 v[10:11], s[16:17], v[2:3], v[2:3], v[0:1]
	v_rcp_f64_e32 v[12:13], v[10:11]
	v_fma_f64 v[20:21], -v[10:11], v[12:13], 1.0
	v_fma_f64 v[12:13], v[12:13], v[20:21], v[12:13]
	v_div_scale_f64 v[20:21], vcc, v[0:1], v[2:3], v[0:1]
	v_fma_f64 v[22:23], -v[10:11], v[12:13], 1.0
	v_fma_f64 v[12:13], v[12:13], v[22:23], v[12:13]
	v_mul_f64 v[22:23], v[20:21], v[12:13]
	v_fma_f64 v[10:11], -v[10:11], v[22:23], v[20:21]
	v_div_fmas_f64 v[10:11], v[10:11], v[12:13], v[22:23]
	v_div_fixup_f64 v[10:11], v[10:11], v[2:3], v[0:1]
	v_fma_f64 v[0:1], v[0:1], v[10:11], v[2:3]
	v_div_scale_f64 v[2:3], s[16:17], v[0:1], v[0:1], 1.0
	v_div_scale_f64 v[22:23], vcc, 1.0, v[0:1], 1.0
	v_rcp_f64_e32 v[12:13], v[2:3]
	v_fma_f64 v[20:21], -v[2:3], v[12:13], 1.0
	v_fma_f64 v[12:13], v[12:13], v[20:21], v[12:13]
	v_fma_f64 v[20:21], -v[2:3], v[12:13], 1.0
	v_fma_f64 v[12:13], v[12:13], v[20:21], v[12:13]
	v_mul_f64 v[20:21], v[22:23], v[12:13]
	v_fma_f64 v[2:3], -v[2:3], v[20:21], v[22:23]
	v_div_fmas_f64 v[2:3], v[2:3], v[12:13], v[20:21]
	v_div_fixup_f64 v[2:3], v[2:3], v[0:1], 1.0
	v_mul_f64 v[0:1], v[10:11], v[2:3]
	v_xor_b32_e32 v3, 0x80000000, v3
.LBB122_938:
	s_andn2_saveexec_b64 s[18:19], s[18:19]
	s_cbranch_execz .LBB122_940
; %bb.939:
	v_div_scale_f64 v[10:11], s[16:17], v[0:1], v[0:1], v[2:3]
	v_rcp_f64_e32 v[12:13], v[10:11]
	v_fma_f64 v[20:21], -v[10:11], v[12:13], 1.0
	v_fma_f64 v[12:13], v[12:13], v[20:21], v[12:13]
	v_div_scale_f64 v[20:21], vcc, v[2:3], v[0:1], v[2:3]
	v_fma_f64 v[22:23], -v[10:11], v[12:13], 1.0
	v_fma_f64 v[12:13], v[12:13], v[22:23], v[12:13]
	v_mul_f64 v[22:23], v[20:21], v[12:13]
	v_fma_f64 v[10:11], -v[10:11], v[22:23], v[20:21]
	v_div_fmas_f64 v[10:11], v[10:11], v[12:13], v[22:23]
	v_div_fixup_f64 v[10:11], v[10:11], v[0:1], v[2:3]
	v_fma_f64 v[0:1], v[2:3], v[10:11], v[0:1]
	v_div_scale_f64 v[2:3], s[16:17], v[0:1], v[0:1], 1.0
	v_div_scale_f64 v[22:23], vcc, 1.0, v[0:1], 1.0
	v_rcp_f64_e32 v[12:13], v[2:3]
	v_fma_f64 v[20:21], -v[2:3], v[12:13], 1.0
	v_fma_f64 v[12:13], v[12:13], v[20:21], v[12:13]
	v_fma_f64 v[20:21], -v[2:3], v[12:13], 1.0
	v_fma_f64 v[12:13], v[12:13], v[20:21], v[12:13]
	v_mul_f64 v[20:21], v[22:23], v[12:13]
	v_fma_f64 v[2:3], -v[2:3], v[20:21], v[22:23]
	v_div_fmas_f64 v[2:3], v[2:3], v[12:13], v[20:21]
	v_div_fixup_f64 v[0:1], v[2:3], v[0:1], 1.0
	v_mul_f64 v[2:3], v[10:11], -v[0:1]
.LBB122_940:
	s_or_b64 exec, exec, s[18:19]
.LBB122_941:
	s_or_b64 exec, exec, s[4:5]
	v_cmp_ne_u32_e32 vcc, v19, v4
	s_and_saveexec_b64 s[4:5], vcc
	s_xor_b64 s[4:5], exec, s[4:5]
	s_cbranch_execz .LBB122_947
; %bb.942:
	v_cmp_eq_u32_e32 vcc, 39, v19
	s_and_saveexec_b64 s[18:19], vcc
	s_cbranch_execz .LBB122_946
; %bb.943:
	v_cmp_ne_u32_e32 vcc, 39, v4
	s_xor_b64 s[16:17], s[22:23], -1
	s_and_b64 s[16:17], s[16:17], vcc
	s_and_saveexec_b64 s[24:25], s[16:17]
	s_cbranch_execz .LBB122_945
; %bb.944:
	v_ashrrev_i32_e32 v5, 31, v4
	v_lshlrev_b64 v[10:11], 2, v[4:5]
	v_add_co_u32_e32 v10, vcc, v8, v10
	v_addc_co_u32_e32 v11, vcc, v9, v11, vcc
	global_load_dword v5, v[10:11], off
	global_load_dword v12, v[8:9], off offset:156
	s_waitcnt vmcnt(1)
	global_store_dword v[8:9], v5, off offset:156
	s_waitcnt vmcnt(1)
	global_store_dword v[10:11], v12, off
.LBB122_945:
	s_or_b64 exec, exec, s[24:25]
	v_mov_b32_e32 v19, v4
	v_mov_b32_e32 v18, v4
.LBB122_946:
	s_or_b64 exec, exec, s[18:19]
.LBB122_947:
	s_andn2_saveexec_b64 s[4:5], s[4:5]
	s_cbranch_execz .LBB122_949
; %bb.948:
	v_mov_b32_e32 v11, s46
	buffer_load_dword v4, v11, s[0:3], 0 offen
	buffer_load_dword v5, v11, s[0:3], 0 offen offset:4
	buffer_load_dword v10, v11, s[0:3], 0 offen offset:8
	s_nop 0
	buffer_load_dword v11, v11, s[0:3], 0 offen offset:12
	v_mov_b32_e32 v19, 39
	s_waitcnt vmcnt(0)
	ds_write2_b64 v16, v[4:5], v[10:11] offset0:80 offset1:81
	v_mov_b32_e32 v11, s45
	buffer_load_dword v4, v11, s[0:3], 0 offen
	buffer_load_dword v5, v11, s[0:3], 0 offen offset:4
	buffer_load_dword v10, v11, s[0:3], 0 offen offset:8
	s_nop 0
	buffer_load_dword v11, v11, s[0:3], 0 offen offset:12
	s_waitcnt vmcnt(0)
	ds_write2_b64 v16, v[4:5], v[10:11] offset0:82 offset1:83
	v_mov_b32_e32 v11, s44
	buffer_load_dword v4, v11, s[0:3], 0 offen
	buffer_load_dword v5, v11, s[0:3], 0 offen offset:4
	buffer_load_dword v10, v11, s[0:3], 0 offen offset:8
	s_nop 0
	buffer_load_dword v11, v11, s[0:3], 0 offen offset:12
	s_waitcnt vmcnt(0)
	ds_write2_b64 v16, v[4:5], v[10:11] offset0:84 offset1:85
	v_mov_b32_e32 v11, s43
	buffer_load_dword v4, v11, s[0:3], 0 offen
	buffer_load_dword v5, v11, s[0:3], 0 offen offset:4
	buffer_load_dword v10, v11, s[0:3], 0 offen offset:8
	s_nop 0
	buffer_load_dword v11, v11, s[0:3], 0 offen offset:12
	s_waitcnt vmcnt(0)
	ds_write2_b64 v16, v[4:5], v[10:11] offset0:86 offset1:87
	v_mov_b32_e32 v11, s42
	buffer_load_dword v4, v11, s[0:3], 0 offen
	buffer_load_dword v5, v11, s[0:3], 0 offen offset:4
	buffer_load_dword v10, v11, s[0:3], 0 offen offset:8
	s_nop 0
	buffer_load_dword v11, v11, s[0:3], 0 offen offset:12
	s_waitcnt vmcnt(0)
	ds_write2_b64 v16, v[4:5], v[10:11] offset0:88 offset1:89
	v_mov_b32_e32 v11, s41
	buffer_load_dword v4, v11, s[0:3], 0 offen
	buffer_load_dword v5, v11, s[0:3], 0 offen offset:4
	buffer_load_dword v10, v11, s[0:3], 0 offen offset:8
	s_nop 0
	buffer_load_dword v11, v11, s[0:3], 0 offen offset:12
	s_waitcnt vmcnt(0)
	ds_write2_b64 v16, v[4:5], v[10:11] offset0:90 offset1:91
	v_mov_b32_e32 v11, s40
	buffer_load_dword v4, v11, s[0:3], 0 offen
	buffer_load_dword v5, v11, s[0:3], 0 offen offset:4
	buffer_load_dword v10, v11, s[0:3], 0 offen offset:8
	s_nop 0
	buffer_load_dword v11, v11, s[0:3], 0 offen offset:12
	s_waitcnt vmcnt(0)
	ds_write2_b64 v16, v[4:5], v[10:11] offset0:92 offset1:93
	v_mov_b32_e32 v11, s39
	buffer_load_dword v4, v11, s[0:3], 0 offen
	buffer_load_dword v5, v11, s[0:3], 0 offen offset:4
	buffer_load_dword v10, v11, s[0:3], 0 offen offset:8
	s_nop 0
	buffer_load_dword v11, v11, s[0:3], 0 offen offset:12
	s_waitcnt vmcnt(0)
	ds_write2_b64 v16, v[4:5], v[10:11] offset0:94 offset1:95
	v_mov_b32_e32 v11, s38
	buffer_load_dword v4, v11, s[0:3], 0 offen
	buffer_load_dword v5, v11, s[0:3], 0 offen offset:4
	buffer_load_dword v10, v11, s[0:3], 0 offen offset:8
	s_nop 0
	buffer_load_dword v11, v11, s[0:3], 0 offen offset:12
	s_waitcnt vmcnt(0)
	ds_write2_b64 v16, v[4:5], v[10:11] offset0:96 offset1:97
	v_mov_b32_e32 v11, s37
	buffer_load_dword v4, v11, s[0:3], 0 offen
	buffer_load_dword v5, v11, s[0:3], 0 offen offset:4
	buffer_load_dword v10, v11, s[0:3], 0 offen offset:8
	s_nop 0
	buffer_load_dword v11, v11, s[0:3], 0 offen offset:12
	s_waitcnt vmcnt(0)
	ds_write2_b64 v16, v[4:5], v[10:11] offset0:98 offset1:99
	v_mov_b32_e32 v11, s36
	buffer_load_dword v4, v11, s[0:3], 0 offen
	buffer_load_dword v5, v11, s[0:3], 0 offen offset:4
	buffer_load_dword v10, v11, s[0:3], 0 offen offset:8
	s_nop 0
	buffer_load_dword v11, v11, s[0:3], 0 offen offset:12
	s_waitcnt vmcnt(0)
	ds_write2_b64 v16, v[4:5], v[10:11] offset0:100 offset1:101
	v_mov_b32_e32 v11, s35
	buffer_load_dword v4, v11, s[0:3], 0 offen
	buffer_load_dword v5, v11, s[0:3], 0 offen offset:4
	buffer_load_dword v10, v11, s[0:3], 0 offen offset:8
	s_nop 0
	buffer_load_dword v11, v11, s[0:3], 0 offen offset:12
	s_waitcnt vmcnt(0)
	ds_write2_b64 v16, v[4:5], v[10:11] offset0:102 offset1:103
	v_mov_b32_e32 v11, s34
	buffer_load_dword v4, v11, s[0:3], 0 offen
	buffer_load_dword v5, v11, s[0:3], 0 offen offset:4
	buffer_load_dword v10, v11, s[0:3], 0 offen offset:8
	s_nop 0
	buffer_load_dword v11, v11, s[0:3], 0 offen offset:12
	s_waitcnt vmcnt(0)
	ds_write2_b64 v16, v[4:5], v[10:11] offset0:104 offset1:105
	v_mov_b32_e32 v11, s33
	buffer_load_dword v4, v11, s[0:3], 0 offen
	buffer_load_dword v5, v11, s[0:3], 0 offen offset:4
	buffer_load_dword v10, v11, s[0:3], 0 offen offset:8
	s_nop 0
	buffer_load_dword v11, v11, s[0:3], 0 offen offset:12
	s_waitcnt vmcnt(0)
	ds_write2_b64 v16, v[4:5], v[10:11] offset0:106 offset1:107
	v_mov_b32_e32 v11, s31
	buffer_load_dword v4, v11, s[0:3], 0 offen
	buffer_load_dword v5, v11, s[0:3], 0 offen offset:4
	buffer_load_dword v10, v11, s[0:3], 0 offen offset:8
	s_nop 0
	buffer_load_dword v11, v11, s[0:3], 0 offen offset:12
	s_waitcnt vmcnt(0)
	ds_write2_b64 v16, v[4:5], v[10:11] offset0:108 offset1:109
	v_mov_b32_e32 v11, s30
	buffer_load_dword v4, v11, s[0:3], 0 offen
	buffer_load_dword v5, v11, s[0:3], 0 offen offset:4
	buffer_load_dword v10, v11, s[0:3], 0 offen offset:8
	s_nop 0
	buffer_load_dword v11, v11, s[0:3], 0 offen offset:12
	s_waitcnt vmcnt(0)
	ds_write2_b64 v16, v[4:5], v[10:11] offset0:110 offset1:111
	v_mov_b32_e32 v11, s29
	buffer_load_dword v4, v11, s[0:3], 0 offen
	buffer_load_dword v5, v11, s[0:3], 0 offen offset:4
	buffer_load_dword v10, v11, s[0:3], 0 offen offset:8
	s_nop 0
	buffer_load_dword v11, v11, s[0:3], 0 offen offset:12
	s_waitcnt vmcnt(0)
	ds_write2_b64 v16, v[4:5], v[10:11] offset0:112 offset1:113
	v_mov_b32_e32 v11, s28
	buffer_load_dword v4, v11, s[0:3], 0 offen
	buffer_load_dword v5, v11, s[0:3], 0 offen offset:4
	buffer_load_dword v10, v11, s[0:3], 0 offen offset:8
	s_nop 0
	buffer_load_dword v11, v11, s[0:3], 0 offen offset:12
	s_waitcnt vmcnt(0)
	ds_write2_b64 v16, v[4:5], v[10:11] offset0:114 offset1:115
	v_mov_b32_e32 v11, s27
	buffer_load_dword v4, v11, s[0:3], 0 offen
	buffer_load_dword v5, v11, s[0:3], 0 offen offset:4
	buffer_load_dword v10, v11, s[0:3], 0 offen offset:8
	s_nop 0
	buffer_load_dword v11, v11, s[0:3], 0 offen offset:12
	s_waitcnt vmcnt(0)
	ds_write2_b64 v16, v[4:5], v[10:11] offset0:116 offset1:117
	v_mov_b32_e32 v11, s26
	buffer_load_dword v4, v11, s[0:3], 0 offen
	buffer_load_dword v5, v11, s[0:3], 0 offen offset:4
	buffer_load_dword v10, v11, s[0:3], 0 offen offset:8
	s_nop 0
	buffer_load_dword v11, v11, s[0:3], 0 offen offset:12
	s_waitcnt vmcnt(0)
	ds_write2_b64 v16, v[4:5], v[10:11] offset0:118 offset1:119
	v_mov_b32_e32 v11, s20
	buffer_load_dword v4, v11, s[0:3], 0 offen
	buffer_load_dword v5, v11, s[0:3], 0 offen offset:4
	buffer_load_dword v10, v11, s[0:3], 0 offen offset:8
	s_nop 0
	buffer_load_dword v11, v11, s[0:3], 0 offen offset:12
	s_waitcnt vmcnt(0)
	ds_write2_b64 v16, v[4:5], v[10:11] offset0:120 offset1:121
	v_mov_b32_e32 v11, s7
	buffer_load_dword v4, v11, s[0:3], 0 offen
	buffer_load_dword v5, v11, s[0:3], 0 offen offset:4
	buffer_load_dword v10, v11, s[0:3], 0 offen offset:8
	s_nop 0
	buffer_load_dword v11, v11, s[0:3], 0 offen offset:12
	s_waitcnt vmcnt(0)
	ds_write2_b64 v16, v[4:5], v[10:11] offset0:122 offset1:123
.LBB122_949:
	s_or_b64 exec, exec, s[4:5]
	v_cmp_lt_i32_e32 vcc, 39, v19
	s_waitcnt vmcnt(0) lgkmcnt(0)
	s_barrier
	s_and_saveexec_b64 s[4:5], vcc
	s_cbranch_execz .LBB122_951
; %bb.950:
	buffer_load_dword v4, off, s[0:3], 0 offset:624
	buffer_load_dword v5, off, s[0:3], 0 offset:628
	buffer_load_dword v10, off, s[0:3], 0 offset:632
	buffer_load_dword v11, off, s[0:3], 0 offset:636
	buffer_load_dword v12, off, s[0:3], 0 offset:640
	buffer_load_dword v13, off, s[0:3], 0 offset:644
	buffer_load_dword v20, off, s[0:3], 0 offset:648
	buffer_load_dword v21, off, s[0:3], 0 offset:652
	buffer_load_dword v22, off, s[0:3], 0 offset:656
	buffer_load_dword v23, off, s[0:3], 0 offset:660
	buffer_load_dword v24, off, s[0:3], 0 offset:664
	buffer_load_dword v25, off, s[0:3], 0 offset:668
	buffer_load_dword v26, off, s[0:3], 0 offset:672
	buffer_load_dword v27, off, s[0:3], 0 offset:676
	buffer_load_dword v28, off, s[0:3], 0 offset:680
	buffer_load_dword v29, off, s[0:3], 0 offset:684
	s_waitcnt vmcnt(12)
	v_mul_f64 v[30:31], v[2:3], v[10:11]
	v_fma_f64 v[30:31], v[0:1], v[4:5], -v[30:31]
	v_mul_f64 v[0:1], v[0:1], v[10:11]
	v_fma_f64 v[4:5], v[2:3], v[4:5], v[0:1]
	buffer_store_dword v30, off, s[0:3], 0 offset:624
	buffer_store_dword v31, off, s[0:3], 0 offset:628
	buffer_store_dword v4, off, s[0:3], 0 offset:632
	buffer_store_dword v5, off, s[0:3], 0 offset:636
	ds_read2_b64 v[0:3], v16 offset0:80 offset1:81
	s_waitcnt lgkmcnt(0)
	v_mul_f64 v[10:11], v[2:3], v[4:5]
	v_fma_f64 v[10:11], v[0:1], v[30:31], -v[10:11]
	v_mul_f64 v[0:1], v[0:1], v[4:5]
	v_fma_f64 v[0:1], v[2:3], v[30:31], v[0:1]
	s_waitcnt vmcnt(14)
	v_add_f64 v[2:3], v[12:13], -v[10:11]
	s_waitcnt vmcnt(12)
	v_add_f64 v[0:1], v[20:21], -v[0:1]
	buffer_store_dword v2, off, s[0:3], 0 offset:640
	buffer_store_dword v3, off, s[0:3], 0 offset:644
	buffer_store_dword v0, off, s[0:3], 0 offset:648
	buffer_store_dword v1, off, s[0:3], 0 offset:652
	ds_read2_b64 v[0:3], v16 offset0:82 offset1:83
	s_waitcnt lgkmcnt(0)
	v_mul_f64 v[10:11], v[2:3], v[4:5]
	v_fma_f64 v[10:11], v[0:1], v[30:31], -v[10:11]
	v_mul_f64 v[0:1], v[0:1], v[4:5]
	v_fma_f64 v[0:1], v[2:3], v[30:31], v[0:1]
	s_waitcnt vmcnt(14)
	v_add_f64 v[2:3], v[22:23], -v[10:11]
	s_waitcnt vmcnt(12)
	v_add_f64 v[0:1], v[24:25], -v[0:1]
	;; [unrolled: 14-line block ×3, first 2 shown]
	buffer_store_dword v3, off, s[0:3], 0 offset:676
	buffer_store_dword v2, off, s[0:3], 0 offset:672
	buffer_store_dword v0, off, s[0:3], 0 offset:680
	buffer_store_dword v1, off, s[0:3], 0 offset:684
	ds_read2_b64 v[0:3], v16 offset0:86 offset1:87
	s_waitcnt lgkmcnt(0)
	v_mul_f64 v[10:11], v[2:3], v[4:5]
	v_fma_f64 v[10:11], v[0:1], v[30:31], -v[10:11]
	v_mul_f64 v[0:1], v[0:1], v[4:5]
	v_fma_f64 v[0:1], v[2:3], v[30:31], v[0:1]
	buffer_load_dword v2, off, s[0:3], 0 offset:688
	buffer_load_dword v3, off, s[0:3], 0 offset:692
	buffer_load_dword v12, off, s[0:3], 0 offset:696
	buffer_load_dword v13, off, s[0:3], 0 offset:700
	s_waitcnt vmcnt(2)
	v_add_f64 v[2:3], v[2:3], -v[10:11]
	s_waitcnt vmcnt(0)
	v_add_f64 v[0:1], v[12:13], -v[0:1]
	buffer_store_dword v3, off, s[0:3], 0 offset:692
	buffer_store_dword v2, off, s[0:3], 0 offset:688
	buffer_store_dword v1, off, s[0:3], 0 offset:700
	buffer_store_dword v0, off, s[0:3], 0 offset:696
	ds_read2_b64 v[0:3], v16 offset0:88 offset1:89
	s_waitcnt lgkmcnt(0)
	v_mul_f64 v[10:11], v[2:3], v[4:5]
	v_fma_f64 v[10:11], v[0:1], v[30:31], -v[10:11]
	v_mul_f64 v[0:1], v[0:1], v[4:5]
	v_fma_f64 v[0:1], v[2:3], v[30:31], v[0:1]
	buffer_load_dword v2, off, s[0:3], 0 offset:704
	buffer_load_dword v3, off, s[0:3], 0 offset:708
	buffer_load_dword v12, off, s[0:3], 0 offset:712
	buffer_load_dword v13, off, s[0:3], 0 offset:716
	s_waitcnt vmcnt(2)
	v_add_f64 v[2:3], v[2:3], -v[10:11]
	s_waitcnt vmcnt(0)
	v_add_f64 v[0:1], v[12:13], -v[0:1]
	;; [unrolled: 18-line block ×3, first 2 shown]
	buffer_store_dword v3, off, s[0:3], 0 offset:724
	buffer_store_dword v2, off, s[0:3], 0 offset:720
	;; [unrolled: 1-line block ×4, first 2 shown]
	ds_read2_b64 v[0:3], v16 offset0:92 offset1:93
	buffer_load_dword v4, off, s[0:3], 0 offset:624
	buffer_load_dword v5, off, s[0:3], 0 offset:628
	;; [unrolled: 1-line block ×4, first 2 shown]
	s_waitcnt vmcnt(0) lgkmcnt(0)
	v_mul_f64 v[12:13], v[2:3], v[10:11]
	v_fma_f64 v[12:13], v[0:1], v[4:5], -v[12:13]
	v_mul_f64 v[0:1], v[0:1], v[10:11]
	v_fma_f64 v[0:1], v[2:3], v[4:5], v[0:1]
	buffer_load_dword v3, off, s[0:3], 0 offset:740
	buffer_load_dword v2, off, s[0:3], 0 offset:736
	s_waitcnt vmcnt(0)
	v_add_f64 v[2:3], v[2:3], -v[12:13]
	buffer_load_dword v13, off, s[0:3], 0 offset:748
	buffer_load_dword v12, off, s[0:3], 0 offset:744
	s_waitcnt vmcnt(0)
	v_add_f64 v[0:1], v[12:13], -v[0:1]
	buffer_store_dword v3, off, s[0:3], 0 offset:740
	buffer_store_dword v2, off, s[0:3], 0 offset:736
	buffer_store_dword v1, off, s[0:3], 0 offset:748
	buffer_store_dword v0, off, s[0:3], 0 offset:744
	ds_read2_b64 v[0:3], v16 offset0:94 offset1:95
	s_waitcnt lgkmcnt(0)
	v_mul_f64 v[12:13], v[2:3], v[10:11]
	v_fma_f64 v[12:13], v[0:1], v[4:5], -v[12:13]
	v_mul_f64 v[0:1], v[0:1], v[10:11]
	v_fma_f64 v[0:1], v[2:3], v[4:5], v[0:1]
	buffer_load_dword v2, off, s[0:3], 0 offset:752
	buffer_load_dword v3, off, s[0:3], 0 offset:756
	buffer_load_dword v20, off, s[0:3], 0 offset:760
	buffer_load_dword v21, off, s[0:3], 0 offset:764
	s_waitcnt vmcnt(2)
	v_add_f64 v[2:3], v[2:3], -v[12:13]
	s_waitcnt vmcnt(0)
	v_add_f64 v[0:1], v[20:21], -v[0:1]
	buffer_store_dword v3, off, s[0:3], 0 offset:756
	buffer_store_dword v2, off, s[0:3], 0 offset:752
	buffer_store_dword v1, off, s[0:3], 0 offset:764
	buffer_store_dword v0, off, s[0:3], 0 offset:760
	ds_read2_b64 v[0:3], v16 offset0:96 offset1:97
	s_waitcnt lgkmcnt(0)
	v_mul_f64 v[12:13], v[2:3], v[10:11]
	v_fma_f64 v[12:13], v[0:1], v[4:5], -v[12:13]
	v_mul_f64 v[0:1], v[0:1], v[10:11]
	v_fma_f64 v[0:1], v[2:3], v[4:5], v[0:1]
	buffer_load_dword v2, off, s[0:3], 0 offset:768
	buffer_load_dword v3, off, s[0:3], 0 offset:772
	buffer_load_dword v20, off, s[0:3], 0 offset:776
	buffer_load_dword v21, off, s[0:3], 0 offset:780
	s_waitcnt vmcnt(2)
	v_add_f64 v[2:3], v[2:3], -v[12:13]
	;; [unrolled: 18-line block ×5, first 2 shown]
	s_waitcnt vmcnt(0)
	v_add_f64 v[0:1], v[4:5], -v[0:1]
	buffer_store_dword v3, off, s[0:3], 0 offset:820
	buffer_store_dword v2, off, s[0:3], 0 offset:816
	;; [unrolled: 1-line block ×4, first 2 shown]
	ds_read2_b64 v[0:3], v16 offset0:104 offset1:105
	buffer_load_dword v4, off, s[0:3], 0 offset:624
	buffer_load_dword v5, off, s[0:3], 0 offset:628
	buffer_load_dword v10, off, s[0:3], 0 offset:632
	buffer_load_dword v11, off, s[0:3], 0 offset:636
	s_waitcnt vmcnt(0) lgkmcnt(0)
	v_mul_f64 v[12:13], v[2:3], v[10:11]
	v_fma_f64 v[12:13], v[0:1], v[4:5], -v[12:13]
	v_mul_f64 v[0:1], v[0:1], v[10:11]
	v_fma_f64 v[0:1], v[2:3], v[4:5], v[0:1]
	buffer_load_dword v3, off, s[0:3], 0 offset:836
	buffer_load_dword v2, off, s[0:3], 0 offset:832
	s_waitcnt vmcnt(0)
	v_add_f64 v[2:3], v[2:3], -v[12:13]
	buffer_load_dword v13, off, s[0:3], 0 offset:844
	buffer_load_dword v12, off, s[0:3], 0 offset:840
	s_waitcnt vmcnt(0)
	v_add_f64 v[0:1], v[12:13], -v[0:1]
	buffer_store_dword v3, off, s[0:3], 0 offset:836
	buffer_store_dword v2, off, s[0:3], 0 offset:832
	buffer_store_dword v1, off, s[0:3], 0 offset:844
	buffer_store_dword v0, off, s[0:3], 0 offset:840
	ds_read2_b64 v[0:3], v16 offset0:106 offset1:107
	s_waitcnt lgkmcnt(0)
	v_mul_f64 v[12:13], v[2:3], v[10:11]
	v_fma_f64 v[12:13], v[0:1], v[4:5], -v[12:13]
	v_mul_f64 v[0:1], v[0:1], v[10:11]
	v_fma_f64 v[0:1], v[2:3], v[4:5], v[0:1]
	buffer_load_dword v2, off, s[0:3], 0 offset:848
	buffer_load_dword v3, off, s[0:3], 0 offset:852
	buffer_load_dword v20, off, s[0:3], 0 offset:856
	buffer_load_dword v21, off, s[0:3], 0 offset:860
	s_waitcnt vmcnt(2)
	v_add_f64 v[2:3], v[2:3], -v[12:13]
	s_waitcnt vmcnt(0)
	v_add_f64 v[0:1], v[20:21], -v[0:1]
	buffer_store_dword v3, off, s[0:3], 0 offset:852
	buffer_store_dword v2, off, s[0:3], 0 offset:848
	buffer_store_dword v1, off, s[0:3], 0 offset:860
	buffer_store_dword v0, off, s[0:3], 0 offset:856
	ds_read2_b64 v[0:3], v16 offset0:108 offset1:109
	s_waitcnt lgkmcnt(0)
	v_mul_f64 v[12:13], v[2:3], v[10:11]
	v_fma_f64 v[12:13], v[0:1], v[4:5], -v[12:13]
	v_mul_f64 v[0:1], v[0:1], v[10:11]
	v_fma_f64 v[0:1], v[2:3], v[4:5], v[0:1]
	buffer_load_dword v2, off, s[0:3], 0 offset:864
	buffer_load_dword v3, off, s[0:3], 0 offset:868
	buffer_load_dword v20, off, s[0:3], 0 offset:872
	buffer_load_dword v21, off, s[0:3], 0 offset:876
	s_waitcnt vmcnt(2)
	v_add_f64 v[2:3], v[2:3], -v[12:13]
	s_waitcnt vmcnt(0)
	v_add_f64 v[0:1], v[20:21], -v[0:1]
	buffer_store_dword v3, off, s[0:3], 0 offset:868
	buffer_store_dword v2, off, s[0:3], 0 offset:864
	buffer_store_dword v1, off, s[0:3], 0 offset:876
	buffer_store_dword v0, off, s[0:3], 0 offset:872
	ds_read2_b64 v[0:3], v16 offset0:110 offset1:111
	s_waitcnt lgkmcnt(0)
	v_mul_f64 v[12:13], v[2:3], v[10:11]
	v_fma_f64 v[12:13], v[0:1], v[4:5], -v[12:13]
	v_mul_f64 v[0:1], v[0:1], v[10:11]
	v_fma_f64 v[0:1], v[2:3], v[4:5], v[0:1]
	buffer_load_dword v2, off, s[0:3], 0 offset:880
	buffer_load_dword v3, off, s[0:3], 0 offset:884
	buffer_load_dword v20, off, s[0:3], 0 offset:888
	buffer_load_dword v21, off, s[0:3], 0 offset:892
	s_waitcnt vmcnt(2)
	v_add_f64 v[2:3], v[2:3], -v[12:13]
	s_waitcnt vmcnt(0)
	v_add_f64 v[0:1], v[20:21], -v[0:1]
	buffer_store_dword v3, off, s[0:3], 0 offset:884
	buffer_store_dword v2, off, s[0:3], 0 offset:880
	buffer_store_dword v1, off, s[0:3], 0 offset:892
	buffer_store_dword v0, off, s[0:3], 0 offset:888
	ds_read2_b64 v[0:3], v16 offset0:112 offset1:113
	s_waitcnt lgkmcnt(0)
	v_mul_f64 v[12:13], v[2:3], v[10:11]
	v_fma_f64 v[12:13], v[0:1], v[4:5], -v[12:13]
	v_mul_f64 v[0:1], v[0:1], v[10:11]
	v_fma_f64 v[0:1], v[2:3], v[4:5], v[0:1]
	buffer_load_dword v2, off, s[0:3], 0 offset:896
	buffer_load_dword v3, off, s[0:3], 0 offset:900
	buffer_load_dword v20, off, s[0:3], 0 offset:904
	buffer_load_dword v21, off, s[0:3], 0 offset:908
	s_waitcnt vmcnt(2)
	v_add_f64 v[2:3], v[2:3], -v[12:13]
	s_waitcnt vmcnt(0)
	v_add_f64 v[0:1], v[20:21], -v[0:1]
	buffer_store_dword v3, off, s[0:3], 0 offset:900
	buffer_store_dword v2, off, s[0:3], 0 offset:896
	buffer_store_dword v1, off, s[0:3], 0 offset:908
	buffer_store_dword v0, off, s[0:3], 0 offset:904
	ds_read2_b64 v[0:3], v16 offset0:114 offset1:115
	s_waitcnt lgkmcnt(0)
	v_mul_f64 v[12:13], v[2:3], v[10:11]
	v_fma_f64 v[12:13], v[0:1], v[4:5], -v[12:13]
	v_mul_f64 v[0:1], v[0:1], v[10:11]
	v_fma_f64 v[0:1], v[2:3], v[4:5], v[0:1]
	buffer_load_dword v2, off, s[0:3], 0 offset:912
	buffer_load_dword v3, off, s[0:3], 0 offset:916
	buffer_load_dword v4, off, s[0:3], 0 offset:920
	buffer_load_dword v5, off, s[0:3], 0 offset:924
	s_waitcnt vmcnt(2)
	v_add_f64 v[2:3], v[2:3], -v[12:13]
	s_waitcnt vmcnt(0)
	v_add_f64 v[0:1], v[4:5], -v[0:1]
	buffer_store_dword v3, off, s[0:3], 0 offset:916
	buffer_store_dword v2, off, s[0:3], 0 offset:912
	;; [unrolled: 1-line block ×4, first 2 shown]
	ds_read2_b64 v[0:3], v16 offset0:116 offset1:117
	buffer_load_dword v4, off, s[0:3], 0 offset:624
	buffer_load_dword v5, off, s[0:3], 0 offset:628
	;; [unrolled: 1-line block ×4, first 2 shown]
	s_waitcnt vmcnt(0) lgkmcnt(0)
	v_mul_f64 v[12:13], v[2:3], v[10:11]
	v_fma_f64 v[12:13], v[0:1], v[4:5], -v[12:13]
	v_mul_f64 v[0:1], v[0:1], v[10:11]
	v_fma_f64 v[0:1], v[2:3], v[4:5], v[0:1]
	buffer_load_dword v3, off, s[0:3], 0 offset:932
	buffer_load_dword v2, off, s[0:3], 0 offset:928
	s_waitcnt vmcnt(0)
	v_add_f64 v[2:3], v[2:3], -v[12:13]
	buffer_load_dword v13, off, s[0:3], 0 offset:940
	buffer_load_dword v12, off, s[0:3], 0 offset:936
	s_waitcnt vmcnt(0)
	v_add_f64 v[0:1], v[12:13], -v[0:1]
	buffer_store_dword v3, off, s[0:3], 0 offset:932
	buffer_store_dword v2, off, s[0:3], 0 offset:928
	buffer_store_dword v1, off, s[0:3], 0 offset:940
	buffer_store_dword v0, off, s[0:3], 0 offset:936
	ds_read2_b64 v[0:3], v16 offset0:118 offset1:119
	s_waitcnt lgkmcnt(0)
	v_mul_f64 v[12:13], v[2:3], v[10:11]
	v_fma_f64 v[12:13], v[0:1], v[4:5], -v[12:13]
	v_mul_f64 v[0:1], v[0:1], v[10:11]
	v_fma_f64 v[0:1], v[2:3], v[4:5], v[0:1]
	buffer_load_dword v2, off, s[0:3], 0 offset:944
	buffer_load_dword v3, off, s[0:3], 0 offset:948
	buffer_load_dword v20, off, s[0:3], 0 offset:952
	buffer_load_dword v21, off, s[0:3], 0 offset:956
	s_waitcnt vmcnt(2)
	v_add_f64 v[2:3], v[2:3], -v[12:13]
	s_waitcnt vmcnt(0)
	v_add_f64 v[0:1], v[20:21], -v[0:1]
	buffer_store_dword v3, off, s[0:3], 0 offset:948
	buffer_store_dword v2, off, s[0:3], 0 offset:944
	buffer_store_dword v1, off, s[0:3], 0 offset:956
	buffer_store_dword v0, off, s[0:3], 0 offset:952
	ds_read2_b64 v[0:3], v16 offset0:120 offset1:121
	s_waitcnt lgkmcnt(0)
	v_mul_f64 v[12:13], v[2:3], v[10:11]
	v_fma_f64 v[12:13], v[0:1], v[4:5], -v[12:13]
	v_mul_f64 v[0:1], v[0:1], v[10:11]
	v_fma_f64 v[0:1], v[2:3], v[4:5], v[0:1]
	buffer_load_dword v2, off, s[0:3], 0 offset:960
	buffer_load_dword v3, off, s[0:3], 0 offset:964
	buffer_load_dword v20, off, s[0:3], 0 offset:968
	buffer_load_dword v21, off, s[0:3], 0 offset:972
	s_waitcnt vmcnt(2)
	v_add_f64 v[2:3], v[2:3], -v[12:13]
	;; [unrolled: 18-line block ×3, first 2 shown]
	s_waitcnt vmcnt(0)
	v_add_f64 v[0:1], v[4:5], -v[0:1]
	buffer_store_dword v3, off, s[0:3], 0 offset:980
	buffer_store_dword v2, off, s[0:3], 0 offset:976
	;; [unrolled: 1-line block ×4, first 2 shown]
.LBB122_951:
	s_or_b64 exec, exec, s[4:5]
	v_mov_b32_e32 v3, s46
	s_waitcnt vmcnt(0)
	s_barrier
	buffer_load_dword v0, v3, s[0:3], 0 offen
	buffer_load_dword v1, v3, s[0:3], 0 offen offset:4
	buffer_load_dword v2, v3, s[0:3], 0 offen offset:8
	s_nop 0
	buffer_load_dword v3, v3, s[0:3], 0 offen offset:12
	v_lshl_add_u32 v4, v19, 4, v16
	s_cmp_lt_i32 s65, 42
	s_waitcnt vmcnt(0)
	ds_write2_b64 v4, v[0:1], v[2:3] offset1:1
	s_waitcnt lgkmcnt(0)
	s_barrier
	ds_read2_b64 v[0:3], v16 offset0:80 offset1:81
	v_mov_b32_e32 v4, 40
	s_cbranch_scc1 .LBB122_954
; %bb.952:
	v_add_u32_e32 v5, 0x290, v16
	s_mov_b32 s16, 41
	v_mov_b32_e32 v4, 40
.LBB122_953:                            ; =>This Inner Loop Header: Depth=1
	s_waitcnt lgkmcnt(0)
	v_cmp_gt_f64_e32 vcc, 0, v[2:3]
	v_cmp_gt_f64_e64 s[4:5], 0, v[0:1]
	ds_read2_b64 v[10:13], v5 offset1:1
	v_xor_b32_e32 v21, 0x80000000, v1
	v_xor_b32_e32 v23, 0x80000000, v3
	v_mov_b32_e32 v20, v0
	v_mov_b32_e32 v22, v2
	s_waitcnt lgkmcnt(0)
	v_xor_b32_e32 v25, 0x80000000, v13
	v_cndmask_b32_e32 v23, v3, v23, vcc
	v_cndmask_b32_e64 v21, v1, v21, s[4:5]
	v_cmp_gt_f64_e32 vcc, 0, v[12:13]
	v_cmp_gt_f64_e64 s[4:5], 0, v[10:11]
	v_add_f64 v[20:21], v[20:21], v[22:23]
	v_xor_b32_e32 v23, 0x80000000, v11
	v_mov_b32_e32 v22, v10
	v_mov_b32_e32 v24, v12
	v_add_u32_e32 v5, 16, v5
	v_cndmask_b32_e32 v25, v13, v25, vcc
	v_cndmask_b32_e64 v23, v11, v23, s[4:5]
	v_add_f64 v[22:23], v[22:23], v[24:25]
	v_mov_b32_e32 v24, s16
	s_add_i32 s16, s16, 1
	s_cmp_lg_u32 s65, s16
	v_cmp_lt_f64_e32 vcc, v[20:21], v[22:23]
	v_cndmask_b32_e32 v1, v1, v11, vcc
	v_cndmask_b32_e32 v0, v0, v10, vcc
	v_cndmask_b32_e32 v3, v3, v13, vcc
	v_cndmask_b32_e32 v2, v2, v12, vcc
	v_cndmask_b32_e32 v4, v4, v24, vcc
	s_cbranch_scc1 .LBB122_953
.LBB122_954:
	s_waitcnt lgkmcnt(0)
	v_cmp_eq_f64_e32 vcc, 0, v[0:1]
	v_cmp_eq_f64_e64 s[4:5], 0, v[2:3]
	s_and_b64 s[4:5], vcc, s[4:5]
	s_and_saveexec_b64 s[16:17], s[4:5]
	s_xor_b64 s[4:5], exec, s[16:17]
; %bb.955:
	v_cmp_ne_u32_e32 vcc, 0, v17
	v_cndmask_b32_e32 v17, 41, v17, vcc
; %bb.956:
	s_andn2_saveexec_b64 s[4:5], s[4:5]
	s_cbranch_execz .LBB122_962
; %bb.957:
	v_cmp_ngt_f64_e64 s[16:17], |v[0:1]|, |v[2:3]|
	s_and_saveexec_b64 s[18:19], s[16:17]
	s_xor_b64 s[18:19], exec, s[18:19]
	s_cbranch_execz .LBB122_959
; %bb.958:
	v_div_scale_f64 v[10:11], s[16:17], v[2:3], v[2:3], v[0:1]
	v_rcp_f64_e32 v[12:13], v[10:11]
	v_fma_f64 v[20:21], -v[10:11], v[12:13], 1.0
	v_fma_f64 v[12:13], v[12:13], v[20:21], v[12:13]
	v_div_scale_f64 v[20:21], vcc, v[0:1], v[2:3], v[0:1]
	v_fma_f64 v[22:23], -v[10:11], v[12:13], 1.0
	v_fma_f64 v[12:13], v[12:13], v[22:23], v[12:13]
	v_mul_f64 v[22:23], v[20:21], v[12:13]
	v_fma_f64 v[10:11], -v[10:11], v[22:23], v[20:21]
	v_div_fmas_f64 v[10:11], v[10:11], v[12:13], v[22:23]
	v_div_fixup_f64 v[10:11], v[10:11], v[2:3], v[0:1]
	v_fma_f64 v[0:1], v[0:1], v[10:11], v[2:3]
	v_div_scale_f64 v[2:3], s[16:17], v[0:1], v[0:1], 1.0
	v_div_scale_f64 v[22:23], vcc, 1.0, v[0:1], 1.0
	v_rcp_f64_e32 v[12:13], v[2:3]
	v_fma_f64 v[20:21], -v[2:3], v[12:13], 1.0
	v_fma_f64 v[12:13], v[12:13], v[20:21], v[12:13]
	v_fma_f64 v[20:21], -v[2:3], v[12:13], 1.0
	v_fma_f64 v[12:13], v[12:13], v[20:21], v[12:13]
	v_mul_f64 v[20:21], v[22:23], v[12:13]
	v_fma_f64 v[2:3], -v[2:3], v[20:21], v[22:23]
	v_div_fmas_f64 v[2:3], v[2:3], v[12:13], v[20:21]
	v_div_fixup_f64 v[2:3], v[2:3], v[0:1], 1.0
	v_mul_f64 v[0:1], v[10:11], v[2:3]
	v_xor_b32_e32 v3, 0x80000000, v3
.LBB122_959:
	s_andn2_saveexec_b64 s[18:19], s[18:19]
	s_cbranch_execz .LBB122_961
; %bb.960:
	v_div_scale_f64 v[10:11], s[16:17], v[0:1], v[0:1], v[2:3]
	v_rcp_f64_e32 v[12:13], v[10:11]
	v_fma_f64 v[20:21], -v[10:11], v[12:13], 1.0
	v_fma_f64 v[12:13], v[12:13], v[20:21], v[12:13]
	v_div_scale_f64 v[20:21], vcc, v[2:3], v[0:1], v[2:3]
	v_fma_f64 v[22:23], -v[10:11], v[12:13], 1.0
	v_fma_f64 v[12:13], v[12:13], v[22:23], v[12:13]
	v_mul_f64 v[22:23], v[20:21], v[12:13]
	v_fma_f64 v[10:11], -v[10:11], v[22:23], v[20:21]
	v_div_fmas_f64 v[10:11], v[10:11], v[12:13], v[22:23]
	v_div_fixup_f64 v[10:11], v[10:11], v[0:1], v[2:3]
	v_fma_f64 v[0:1], v[2:3], v[10:11], v[0:1]
	v_div_scale_f64 v[2:3], s[16:17], v[0:1], v[0:1], 1.0
	v_div_scale_f64 v[22:23], vcc, 1.0, v[0:1], 1.0
	v_rcp_f64_e32 v[12:13], v[2:3]
	v_fma_f64 v[20:21], -v[2:3], v[12:13], 1.0
	v_fma_f64 v[12:13], v[12:13], v[20:21], v[12:13]
	v_fma_f64 v[20:21], -v[2:3], v[12:13], 1.0
	v_fma_f64 v[12:13], v[12:13], v[20:21], v[12:13]
	v_mul_f64 v[20:21], v[22:23], v[12:13]
	v_fma_f64 v[2:3], -v[2:3], v[20:21], v[22:23]
	v_div_fmas_f64 v[2:3], v[2:3], v[12:13], v[20:21]
	v_div_fixup_f64 v[0:1], v[2:3], v[0:1], 1.0
	v_mul_f64 v[2:3], v[10:11], -v[0:1]
.LBB122_961:
	s_or_b64 exec, exec, s[18:19]
.LBB122_962:
	s_or_b64 exec, exec, s[4:5]
	v_cmp_ne_u32_e32 vcc, v19, v4
	s_and_saveexec_b64 s[4:5], vcc
	s_xor_b64 s[4:5], exec, s[4:5]
	s_cbranch_execz .LBB122_968
; %bb.963:
	v_cmp_eq_u32_e32 vcc, 40, v19
	s_and_saveexec_b64 s[18:19], vcc
	s_cbranch_execz .LBB122_967
; %bb.964:
	v_cmp_ne_u32_e32 vcc, 40, v4
	s_xor_b64 s[16:17], s[22:23], -1
	s_and_b64 s[16:17], s[16:17], vcc
	s_and_saveexec_b64 s[24:25], s[16:17]
	s_cbranch_execz .LBB122_966
; %bb.965:
	v_ashrrev_i32_e32 v5, 31, v4
	v_lshlrev_b64 v[10:11], 2, v[4:5]
	v_add_co_u32_e32 v10, vcc, v8, v10
	v_addc_co_u32_e32 v11, vcc, v9, v11, vcc
	global_load_dword v5, v[10:11], off
	global_load_dword v12, v[8:9], off offset:160
	s_waitcnt vmcnt(1)
	global_store_dword v[8:9], v5, off offset:160
	s_waitcnt vmcnt(1)
	global_store_dword v[10:11], v12, off
.LBB122_966:
	s_or_b64 exec, exec, s[24:25]
	v_mov_b32_e32 v19, v4
	v_mov_b32_e32 v18, v4
.LBB122_967:
	s_or_b64 exec, exec, s[18:19]
.LBB122_968:
	s_andn2_saveexec_b64 s[4:5], s[4:5]
	s_cbranch_execz .LBB122_970
; %bb.969:
	v_mov_b32_e32 v11, s45
	buffer_load_dword v4, v11, s[0:3], 0 offen
	buffer_load_dword v5, v11, s[0:3], 0 offen offset:4
	buffer_load_dword v10, v11, s[0:3], 0 offen offset:8
	s_nop 0
	buffer_load_dword v11, v11, s[0:3], 0 offen offset:12
	v_mov_b32_e32 v19, 40
	s_waitcnt vmcnt(0)
	ds_write2_b64 v16, v[4:5], v[10:11] offset0:82 offset1:83
	v_mov_b32_e32 v11, s44
	buffer_load_dword v4, v11, s[0:3], 0 offen
	buffer_load_dword v5, v11, s[0:3], 0 offen offset:4
	buffer_load_dword v10, v11, s[0:3], 0 offen offset:8
	s_nop 0
	buffer_load_dword v11, v11, s[0:3], 0 offen offset:12
	s_waitcnt vmcnt(0)
	ds_write2_b64 v16, v[4:5], v[10:11] offset0:84 offset1:85
	v_mov_b32_e32 v11, s43
	buffer_load_dword v4, v11, s[0:3], 0 offen
	buffer_load_dword v5, v11, s[0:3], 0 offen offset:4
	buffer_load_dword v10, v11, s[0:3], 0 offen offset:8
	s_nop 0
	buffer_load_dword v11, v11, s[0:3], 0 offen offset:12
	;; [unrolled: 8-line block ×20, first 2 shown]
	s_waitcnt vmcnt(0)
	ds_write2_b64 v16, v[4:5], v[10:11] offset0:122 offset1:123
.LBB122_970:
	s_or_b64 exec, exec, s[4:5]
	v_cmp_lt_i32_e32 vcc, 40, v19
	s_waitcnt vmcnt(0) lgkmcnt(0)
	s_barrier
	s_and_saveexec_b64 s[4:5], vcc
	s_cbranch_execz .LBB122_972
; %bb.971:
	buffer_load_dword v4, off, s[0:3], 0 offset:640
	buffer_load_dword v5, off, s[0:3], 0 offset:644
	;; [unrolled: 1-line block ×16, first 2 shown]
	s_waitcnt vmcnt(12)
	v_mul_f64 v[30:31], v[2:3], v[10:11]
	v_fma_f64 v[30:31], v[0:1], v[4:5], -v[30:31]
	v_mul_f64 v[0:1], v[0:1], v[10:11]
	v_fma_f64 v[4:5], v[2:3], v[4:5], v[0:1]
	buffer_store_dword v30, off, s[0:3], 0 offset:640
	buffer_store_dword v31, off, s[0:3], 0 offset:644
	buffer_store_dword v4, off, s[0:3], 0 offset:648
	buffer_store_dword v5, off, s[0:3], 0 offset:652
	ds_read2_b64 v[0:3], v16 offset0:82 offset1:83
	s_waitcnt lgkmcnt(0)
	v_mul_f64 v[10:11], v[2:3], v[4:5]
	v_fma_f64 v[10:11], v[0:1], v[30:31], -v[10:11]
	v_mul_f64 v[0:1], v[0:1], v[4:5]
	v_fma_f64 v[0:1], v[2:3], v[30:31], v[0:1]
	s_waitcnt vmcnt(14)
	v_add_f64 v[2:3], v[12:13], -v[10:11]
	s_waitcnt vmcnt(12)
	v_add_f64 v[0:1], v[20:21], -v[0:1]
	buffer_store_dword v2, off, s[0:3], 0 offset:656
	buffer_store_dword v3, off, s[0:3], 0 offset:660
	buffer_store_dword v0, off, s[0:3], 0 offset:664
	buffer_store_dword v1, off, s[0:3], 0 offset:668
	ds_read2_b64 v[0:3], v16 offset0:84 offset1:85
	s_waitcnt lgkmcnt(0)
	v_mul_f64 v[10:11], v[2:3], v[4:5]
	v_fma_f64 v[10:11], v[0:1], v[30:31], -v[10:11]
	v_mul_f64 v[0:1], v[0:1], v[4:5]
	v_fma_f64 v[0:1], v[2:3], v[30:31], v[0:1]
	s_waitcnt vmcnt(14)
	v_add_f64 v[2:3], v[22:23], -v[10:11]
	s_waitcnt vmcnt(12)
	v_add_f64 v[0:1], v[24:25], -v[0:1]
	;; [unrolled: 14-line block ×3, first 2 shown]
	buffer_store_dword v3, off, s[0:3], 0 offset:692
	buffer_store_dword v2, off, s[0:3], 0 offset:688
	buffer_store_dword v0, off, s[0:3], 0 offset:696
	buffer_store_dword v1, off, s[0:3], 0 offset:700
	ds_read2_b64 v[0:3], v16 offset0:88 offset1:89
	s_waitcnt lgkmcnt(0)
	v_mul_f64 v[10:11], v[2:3], v[4:5]
	v_fma_f64 v[10:11], v[0:1], v[30:31], -v[10:11]
	v_mul_f64 v[0:1], v[0:1], v[4:5]
	v_fma_f64 v[0:1], v[2:3], v[30:31], v[0:1]
	buffer_load_dword v2, off, s[0:3], 0 offset:704
	buffer_load_dword v3, off, s[0:3], 0 offset:708
	buffer_load_dword v12, off, s[0:3], 0 offset:712
	buffer_load_dword v13, off, s[0:3], 0 offset:716
	s_waitcnt vmcnt(2)
	v_add_f64 v[2:3], v[2:3], -v[10:11]
	s_waitcnt vmcnt(0)
	v_add_f64 v[0:1], v[12:13], -v[0:1]
	buffer_store_dword v3, off, s[0:3], 0 offset:708
	buffer_store_dword v2, off, s[0:3], 0 offset:704
	buffer_store_dword v1, off, s[0:3], 0 offset:716
	buffer_store_dword v0, off, s[0:3], 0 offset:712
	ds_read2_b64 v[0:3], v16 offset0:90 offset1:91
	s_waitcnt lgkmcnt(0)
	v_mul_f64 v[10:11], v[2:3], v[4:5]
	v_fma_f64 v[10:11], v[0:1], v[30:31], -v[10:11]
	v_mul_f64 v[0:1], v[0:1], v[4:5]
	v_fma_f64 v[0:1], v[2:3], v[30:31], v[0:1]
	buffer_load_dword v2, off, s[0:3], 0 offset:720
	buffer_load_dword v3, off, s[0:3], 0 offset:724
	buffer_load_dword v12, off, s[0:3], 0 offset:728
	buffer_load_dword v13, off, s[0:3], 0 offset:732
	s_waitcnt vmcnt(2)
	v_add_f64 v[2:3], v[2:3], -v[10:11]
	s_waitcnt vmcnt(0)
	v_add_f64 v[0:1], v[12:13], -v[0:1]
	;; [unrolled: 18-line block ×3, first 2 shown]
	buffer_store_dword v3, off, s[0:3], 0 offset:740
	buffer_store_dword v2, off, s[0:3], 0 offset:736
	;; [unrolled: 1-line block ×4, first 2 shown]
	ds_read2_b64 v[0:3], v16 offset0:94 offset1:95
	buffer_load_dword v4, off, s[0:3], 0 offset:640
	buffer_load_dword v5, off, s[0:3], 0 offset:644
	;; [unrolled: 1-line block ×4, first 2 shown]
	s_waitcnt vmcnt(0) lgkmcnt(0)
	v_mul_f64 v[12:13], v[2:3], v[10:11]
	v_fma_f64 v[12:13], v[0:1], v[4:5], -v[12:13]
	v_mul_f64 v[0:1], v[0:1], v[10:11]
	v_fma_f64 v[0:1], v[2:3], v[4:5], v[0:1]
	buffer_load_dword v3, off, s[0:3], 0 offset:756
	buffer_load_dword v2, off, s[0:3], 0 offset:752
	s_waitcnt vmcnt(0)
	v_add_f64 v[2:3], v[2:3], -v[12:13]
	buffer_load_dword v13, off, s[0:3], 0 offset:764
	buffer_load_dword v12, off, s[0:3], 0 offset:760
	s_waitcnt vmcnt(0)
	v_add_f64 v[0:1], v[12:13], -v[0:1]
	buffer_store_dword v3, off, s[0:3], 0 offset:756
	buffer_store_dword v2, off, s[0:3], 0 offset:752
	buffer_store_dword v1, off, s[0:3], 0 offset:764
	buffer_store_dword v0, off, s[0:3], 0 offset:760
	ds_read2_b64 v[0:3], v16 offset0:96 offset1:97
	s_waitcnt lgkmcnt(0)
	v_mul_f64 v[12:13], v[2:3], v[10:11]
	v_fma_f64 v[12:13], v[0:1], v[4:5], -v[12:13]
	v_mul_f64 v[0:1], v[0:1], v[10:11]
	v_fma_f64 v[0:1], v[2:3], v[4:5], v[0:1]
	buffer_load_dword v2, off, s[0:3], 0 offset:768
	buffer_load_dword v3, off, s[0:3], 0 offset:772
	buffer_load_dword v20, off, s[0:3], 0 offset:776
	buffer_load_dword v21, off, s[0:3], 0 offset:780
	s_waitcnt vmcnt(2)
	v_add_f64 v[2:3], v[2:3], -v[12:13]
	s_waitcnt vmcnt(0)
	v_add_f64 v[0:1], v[20:21], -v[0:1]
	buffer_store_dword v3, off, s[0:3], 0 offset:772
	buffer_store_dword v2, off, s[0:3], 0 offset:768
	buffer_store_dword v1, off, s[0:3], 0 offset:780
	buffer_store_dword v0, off, s[0:3], 0 offset:776
	ds_read2_b64 v[0:3], v16 offset0:98 offset1:99
	s_waitcnt lgkmcnt(0)
	v_mul_f64 v[12:13], v[2:3], v[10:11]
	v_fma_f64 v[12:13], v[0:1], v[4:5], -v[12:13]
	v_mul_f64 v[0:1], v[0:1], v[10:11]
	v_fma_f64 v[0:1], v[2:3], v[4:5], v[0:1]
	buffer_load_dword v2, off, s[0:3], 0 offset:784
	buffer_load_dword v3, off, s[0:3], 0 offset:788
	buffer_load_dword v20, off, s[0:3], 0 offset:792
	buffer_load_dword v21, off, s[0:3], 0 offset:796
	s_waitcnt vmcnt(2)
	v_add_f64 v[2:3], v[2:3], -v[12:13]
	;; [unrolled: 18-line block ×5, first 2 shown]
	s_waitcnt vmcnt(0)
	v_add_f64 v[0:1], v[4:5], -v[0:1]
	buffer_store_dword v3, off, s[0:3], 0 offset:836
	buffer_store_dword v2, off, s[0:3], 0 offset:832
	;; [unrolled: 1-line block ×4, first 2 shown]
	ds_read2_b64 v[0:3], v16 offset0:106 offset1:107
	buffer_load_dword v4, off, s[0:3], 0 offset:640
	buffer_load_dword v5, off, s[0:3], 0 offset:644
	;; [unrolled: 1-line block ×4, first 2 shown]
	s_waitcnt vmcnt(0) lgkmcnt(0)
	v_mul_f64 v[12:13], v[2:3], v[10:11]
	v_fma_f64 v[12:13], v[0:1], v[4:5], -v[12:13]
	v_mul_f64 v[0:1], v[0:1], v[10:11]
	v_fma_f64 v[0:1], v[2:3], v[4:5], v[0:1]
	buffer_load_dword v3, off, s[0:3], 0 offset:852
	buffer_load_dword v2, off, s[0:3], 0 offset:848
	s_waitcnt vmcnt(0)
	v_add_f64 v[2:3], v[2:3], -v[12:13]
	buffer_load_dword v13, off, s[0:3], 0 offset:860
	buffer_load_dword v12, off, s[0:3], 0 offset:856
	s_waitcnt vmcnt(0)
	v_add_f64 v[0:1], v[12:13], -v[0:1]
	buffer_store_dword v3, off, s[0:3], 0 offset:852
	buffer_store_dword v2, off, s[0:3], 0 offset:848
	buffer_store_dword v1, off, s[0:3], 0 offset:860
	buffer_store_dword v0, off, s[0:3], 0 offset:856
	ds_read2_b64 v[0:3], v16 offset0:108 offset1:109
	s_waitcnt lgkmcnt(0)
	v_mul_f64 v[12:13], v[2:3], v[10:11]
	v_fma_f64 v[12:13], v[0:1], v[4:5], -v[12:13]
	v_mul_f64 v[0:1], v[0:1], v[10:11]
	v_fma_f64 v[0:1], v[2:3], v[4:5], v[0:1]
	buffer_load_dword v2, off, s[0:3], 0 offset:864
	buffer_load_dword v3, off, s[0:3], 0 offset:868
	buffer_load_dword v20, off, s[0:3], 0 offset:872
	buffer_load_dword v21, off, s[0:3], 0 offset:876
	s_waitcnt vmcnt(2)
	v_add_f64 v[2:3], v[2:3], -v[12:13]
	s_waitcnt vmcnt(0)
	v_add_f64 v[0:1], v[20:21], -v[0:1]
	buffer_store_dword v3, off, s[0:3], 0 offset:868
	buffer_store_dword v2, off, s[0:3], 0 offset:864
	buffer_store_dword v1, off, s[0:3], 0 offset:876
	buffer_store_dword v0, off, s[0:3], 0 offset:872
	ds_read2_b64 v[0:3], v16 offset0:110 offset1:111
	s_waitcnt lgkmcnt(0)
	v_mul_f64 v[12:13], v[2:3], v[10:11]
	v_fma_f64 v[12:13], v[0:1], v[4:5], -v[12:13]
	v_mul_f64 v[0:1], v[0:1], v[10:11]
	v_fma_f64 v[0:1], v[2:3], v[4:5], v[0:1]
	buffer_load_dword v2, off, s[0:3], 0 offset:880
	buffer_load_dword v3, off, s[0:3], 0 offset:884
	buffer_load_dword v20, off, s[0:3], 0 offset:888
	buffer_load_dword v21, off, s[0:3], 0 offset:892
	s_waitcnt vmcnt(2)
	v_add_f64 v[2:3], v[2:3], -v[12:13]
	;; [unrolled: 18-line block ×5, first 2 shown]
	s_waitcnt vmcnt(0)
	v_add_f64 v[0:1], v[4:5], -v[0:1]
	buffer_store_dword v3, off, s[0:3], 0 offset:932
	buffer_store_dword v2, off, s[0:3], 0 offset:928
	;; [unrolled: 1-line block ×4, first 2 shown]
	ds_read2_b64 v[0:3], v16 offset0:118 offset1:119
	buffer_load_dword v4, off, s[0:3], 0 offset:640
	buffer_load_dword v5, off, s[0:3], 0 offset:644
	;; [unrolled: 1-line block ×4, first 2 shown]
	s_waitcnt vmcnt(0) lgkmcnt(0)
	v_mul_f64 v[12:13], v[2:3], v[10:11]
	v_fma_f64 v[12:13], v[0:1], v[4:5], -v[12:13]
	v_mul_f64 v[0:1], v[0:1], v[10:11]
	v_fma_f64 v[0:1], v[2:3], v[4:5], v[0:1]
	buffer_load_dword v3, off, s[0:3], 0 offset:948
	buffer_load_dword v2, off, s[0:3], 0 offset:944
	s_waitcnt vmcnt(0)
	v_add_f64 v[2:3], v[2:3], -v[12:13]
	buffer_load_dword v13, off, s[0:3], 0 offset:956
	buffer_load_dword v12, off, s[0:3], 0 offset:952
	s_waitcnt vmcnt(0)
	v_add_f64 v[0:1], v[12:13], -v[0:1]
	buffer_store_dword v3, off, s[0:3], 0 offset:948
	buffer_store_dword v2, off, s[0:3], 0 offset:944
	;; [unrolled: 1-line block ×4, first 2 shown]
	ds_read2_b64 v[0:3], v16 offset0:120 offset1:121
	s_waitcnt lgkmcnt(0)
	v_mul_f64 v[12:13], v[2:3], v[10:11]
	v_fma_f64 v[12:13], v[0:1], v[4:5], -v[12:13]
	v_mul_f64 v[0:1], v[0:1], v[10:11]
	v_fma_f64 v[0:1], v[2:3], v[4:5], v[0:1]
	buffer_load_dword v2, off, s[0:3], 0 offset:960
	buffer_load_dword v3, off, s[0:3], 0 offset:964
	;; [unrolled: 1-line block ×4, first 2 shown]
	s_waitcnt vmcnt(2)
	v_add_f64 v[2:3], v[2:3], -v[12:13]
	s_waitcnt vmcnt(0)
	v_add_f64 v[0:1], v[20:21], -v[0:1]
	buffer_store_dword v3, off, s[0:3], 0 offset:964
	buffer_store_dword v2, off, s[0:3], 0 offset:960
	;; [unrolled: 1-line block ×4, first 2 shown]
	ds_read2_b64 v[0:3], v16 offset0:122 offset1:123
	s_waitcnt lgkmcnt(0)
	v_mul_f64 v[12:13], v[2:3], v[10:11]
	v_fma_f64 v[12:13], v[0:1], v[4:5], -v[12:13]
	v_mul_f64 v[0:1], v[0:1], v[10:11]
	v_fma_f64 v[0:1], v[2:3], v[4:5], v[0:1]
	buffer_load_dword v2, off, s[0:3], 0 offset:976
	buffer_load_dword v3, off, s[0:3], 0 offset:980
	;; [unrolled: 1-line block ×4, first 2 shown]
	s_waitcnt vmcnt(2)
	v_add_f64 v[2:3], v[2:3], -v[12:13]
	s_waitcnt vmcnt(0)
	v_add_f64 v[0:1], v[4:5], -v[0:1]
	buffer_store_dword v3, off, s[0:3], 0 offset:980
	buffer_store_dword v2, off, s[0:3], 0 offset:976
	buffer_store_dword v1, off, s[0:3], 0 offset:988
	buffer_store_dword v0, off, s[0:3], 0 offset:984
.LBB122_972:
	s_or_b64 exec, exec, s[4:5]
	v_mov_b32_e32 v3, s45
	s_waitcnt vmcnt(0)
	s_barrier
	buffer_load_dword v0, v3, s[0:3], 0 offen
	buffer_load_dword v1, v3, s[0:3], 0 offen offset:4
	buffer_load_dword v2, v3, s[0:3], 0 offen offset:8
	s_nop 0
	buffer_load_dword v3, v3, s[0:3], 0 offen offset:12
	v_lshl_add_u32 v4, v19, 4, v16
	s_cmp_lt_i32 s65, 43
	s_waitcnt vmcnt(0)
	ds_write2_b64 v4, v[0:1], v[2:3] offset1:1
	s_waitcnt lgkmcnt(0)
	s_barrier
	ds_read2_b64 v[0:3], v16 offset0:82 offset1:83
	v_mov_b32_e32 v4, 41
	s_cbranch_scc1 .LBB122_975
; %bb.973:
	v_add_u32_e32 v5, 0x2a0, v16
	s_mov_b32 s16, 42
	v_mov_b32_e32 v4, 41
.LBB122_974:                            ; =>This Inner Loop Header: Depth=1
	s_waitcnt lgkmcnt(0)
	v_cmp_gt_f64_e32 vcc, 0, v[2:3]
	v_cmp_gt_f64_e64 s[4:5], 0, v[0:1]
	ds_read2_b64 v[10:13], v5 offset1:1
	v_xor_b32_e32 v21, 0x80000000, v1
	v_xor_b32_e32 v23, 0x80000000, v3
	v_mov_b32_e32 v20, v0
	v_mov_b32_e32 v22, v2
	s_waitcnt lgkmcnt(0)
	v_xor_b32_e32 v25, 0x80000000, v13
	v_cndmask_b32_e32 v23, v3, v23, vcc
	v_cndmask_b32_e64 v21, v1, v21, s[4:5]
	v_cmp_gt_f64_e32 vcc, 0, v[12:13]
	v_cmp_gt_f64_e64 s[4:5], 0, v[10:11]
	v_add_f64 v[20:21], v[20:21], v[22:23]
	v_xor_b32_e32 v23, 0x80000000, v11
	v_mov_b32_e32 v22, v10
	v_mov_b32_e32 v24, v12
	v_add_u32_e32 v5, 16, v5
	v_cndmask_b32_e32 v25, v13, v25, vcc
	v_cndmask_b32_e64 v23, v11, v23, s[4:5]
	v_add_f64 v[22:23], v[22:23], v[24:25]
	v_mov_b32_e32 v24, s16
	s_add_i32 s16, s16, 1
	s_cmp_lg_u32 s65, s16
	v_cmp_lt_f64_e32 vcc, v[20:21], v[22:23]
	v_cndmask_b32_e32 v1, v1, v11, vcc
	v_cndmask_b32_e32 v0, v0, v10, vcc
	;; [unrolled: 1-line block ×5, first 2 shown]
	s_cbranch_scc1 .LBB122_974
.LBB122_975:
	s_waitcnt lgkmcnt(0)
	v_cmp_eq_f64_e32 vcc, 0, v[0:1]
	v_cmp_eq_f64_e64 s[4:5], 0, v[2:3]
	s_and_b64 s[4:5], vcc, s[4:5]
	s_and_saveexec_b64 s[16:17], s[4:5]
	s_xor_b64 s[4:5], exec, s[16:17]
; %bb.976:
	v_cmp_ne_u32_e32 vcc, 0, v17
	v_cndmask_b32_e32 v17, 42, v17, vcc
; %bb.977:
	s_andn2_saveexec_b64 s[4:5], s[4:5]
	s_cbranch_execz .LBB122_983
; %bb.978:
	v_cmp_ngt_f64_e64 s[16:17], |v[0:1]|, |v[2:3]|
	s_and_saveexec_b64 s[18:19], s[16:17]
	s_xor_b64 s[18:19], exec, s[18:19]
	s_cbranch_execz .LBB122_980
; %bb.979:
	v_div_scale_f64 v[10:11], s[16:17], v[2:3], v[2:3], v[0:1]
	v_rcp_f64_e32 v[12:13], v[10:11]
	v_fma_f64 v[20:21], -v[10:11], v[12:13], 1.0
	v_fma_f64 v[12:13], v[12:13], v[20:21], v[12:13]
	v_div_scale_f64 v[20:21], vcc, v[0:1], v[2:3], v[0:1]
	v_fma_f64 v[22:23], -v[10:11], v[12:13], 1.0
	v_fma_f64 v[12:13], v[12:13], v[22:23], v[12:13]
	v_mul_f64 v[22:23], v[20:21], v[12:13]
	v_fma_f64 v[10:11], -v[10:11], v[22:23], v[20:21]
	v_div_fmas_f64 v[10:11], v[10:11], v[12:13], v[22:23]
	v_div_fixup_f64 v[10:11], v[10:11], v[2:3], v[0:1]
	v_fma_f64 v[0:1], v[0:1], v[10:11], v[2:3]
	v_div_scale_f64 v[2:3], s[16:17], v[0:1], v[0:1], 1.0
	v_div_scale_f64 v[22:23], vcc, 1.0, v[0:1], 1.0
	v_rcp_f64_e32 v[12:13], v[2:3]
	v_fma_f64 v[20:21], -v[2:3], v[12:13], 1.0
	v_fma_f64 v[12:13], v[12:13], v[20:21], v[12:13]
	v_fma_f64 v[20:21], -v[2:3], v[12:13], 1.0
	v_fma_f64 v[12:13], v[12:13], v[20:21], v[12:13]
	v_mul_f64 v[20:21], v[22:23], v[12:13]
	v_fma_f64 v[2:3], -v[2:3], v[20:21], v[22:23]
	v_div_fmas_f64 v[2:3], v[2:3], v[12:13], v[20:21]
	v_div_fixup_f64 v[2:3], v[2:3], v[0:1], 1.0
	v_mul_f64 v[0:1], v[10:11], v[2:3]
	v_xor_b32_e32 v3, 0x80000000, v3
.LBB122_980:
	s_andn2_saveexec_b64 s[18:19], s[18:19]
	s_cbranch_execz .LBB122_982
; %bb.981:
	v_div_scale_f64 v[10:11], s[16:17], v[0:1], v[0:1], v[2:3]
	v_rcp_f64_e32 v[12:13], v[10:11]
	v_fma_f64 v[20:21], -v[10:11], v[12:13], 1.0
	v_fma_f64 v[12:13], v[12:13], v[20:21], v[12:13]
	v_div_scale_f64 v[20:21], vcc, v[2:3], v[0:1], v[2:3]
	v_fma_f64 v[22:23], -v[10:11], v[12:13], 1.0
	v_fma_f64 v[12:13], v[12:13], v[22:23], v[12:13]
	v_mul_f64 v[22:23], v[20:21], v[12:13]
	v_fma_f64 v[10:11], -v[10:11], v[22:23], v[20:21]
	v_div_fmas_f64 v[10:11], v[10:11], v[12:13], v[22:23]
	v_div_fixup_f64 v[10:11], v[10:11], v[0:1], v[2:3]
	v_fma_f64 v[0:1], v[2:3], v[10:11], v[0:1]
	v_div_scale_f64 v[2:3], s[16:17], v[0:1], v[0:1], 1.0
	v_div_scale_f64 v[22:23], vcc, 1.0, v[0:1], 1.0
	v_rcp_f64_e32 v[12:13], v[2:3]
	v_fma_f64 v[20:21], -v[2:3], v[12:13], 1.0
	v_fma_f64 v[12:13], v[12:13], v[20:21], v[12:13]
	v_fma_f64 v[20:21], -v[2:3], v[12:13], 1.0
	v_fma_f64 v[12:13], v[12:13], v[20:21], v[12:13]
	v_mul_f64 v[20:21], v[22:23], v[12:13]
	v_fma_f64 v[2:3], -v[2:3], v[20:21], v[22:23]
	v_div_fmas_f64 v[2:3], v[2:3], v[12:13], v[20:21]
	v_div_fixup_f64 v[0:1], v[2:3], v[0:1], 1.0
	v_mul_f64 v[2:3], v[10:11], -v[0:1]
.LBB122_982:
	s_or_b64 exec, exec, s[18:19]
.LBB122_983:
	s_or_b64 exec, exec, s[4:5]
	v_cmp_ne_u32_e32 vcc, v19, v4
	s_and_saveexec_b64 s[4:5], vcc
	s_xor_b64 s[4:5], exec, s[4:5]
	s_cbranch_execz .LBB122_989
; %bb.984:
	v_cmp_eq_u32_e32 vcc, 41, v19
	s_and_saveexec_b64 s[18:19], vcc
	s_cbranch_execz .LBB122_988
; %bb.985:
	v_cmp_ne_u32_e32 vcc, 41, v4
	s_xor_b64 s[16:17], s[22:23], -1
	s_and_b64 s[16:17], s[16:17], vcc
	s_and_saveexec_b64 s[24:25], s[16:17]
	s_cbranch_execz .LBB122_987
; %bb.986:
	v_ashrrev_i32_e32 v5, 31, v4
	v_lshlrev_b64 v[10:11], 2, v[4:5]
	v_add_co_u32_e32 v10, vcc, v8, v10
	v_addc_co_u32_e32 v11, vcc, v9, v11, vcc
	global_load_dword v5, v[10:11], off
	global_load_dword v12, v[8:9], off offset:164
	s_waitcnt vmcnt(1)
	global_store_dword v[8:9], v5, off offset:164
	s_waitcnt vmcnt(1)
	global_store_dword v[10:11], v12, off
.LBB122_987:
	s_or_b64 exec, exec, s[24:25]
	v_mov_b32_e32 v19, v4
	v_mov_b32_e32 v18, v4
.LBB122_988:
	s_or_b64 exec, exec, s[18:19]
.LBB122_989:
	s_andn2_saveexec_b64 s[4:5], s[4:5]
	s_cbranch_execz .LBB122_991
; %bb.990:
	v_mov_b32_e32 v11, s44
	buffer_load_dword v4, v11, s[0:3], 0 offen
	buffer_load_dword v5, v11, s[0:3], 0 offen offset:4
	buffer_load_dword v10, v11, s[0:3], 0 offen offset:8
	s_nop 0
	buffer_load_dword v11, v11, s[0:3], 0 offen offset:12
	v_mov_b32_e32 v19, 41
	s_waitcnt vmcnt(0)
	ds_write2_b64 v16, v[4:5], v[10:11] offset0:84 offset1:85
	v_mov_b32_e32 v11, s43
	buffer_load_dword v4, v11, s[0:3], 0 offen
	buffer_load_dword v5, v11, s[0:3], 0 offen offset:4
	buffer_load_dword v10, v11, s[0:3], 0 offen offset:8
	s_nop 0
	buffer_load_dword v11, v11, s[0:3], 0 offen offset:12
	s_waitcnt vmcnt(0)
	ds_write2_b64 v16, v[4:5], v[10:11] offset0:86 offset1:87
	v_mov_b32_e32 v11, s42
	buffer_load_dword v4, v11, s[0:3], 0 offen
	buffer_load_dword v5, v11, s[0:3], 0 offen offset:4
	buffer_load_dword v10, v11, s[0:3], 0 offen offset:8
	s_nop 0
	buffer_load_dword v11, v11, s[0:3], 0 offen offset:12
	;; [unrolled: 8-line block ×19, first 2 shown]
	s_waitcnt vmcnt(0)
	ds_write2_b64 v16, v[4:5], v[10:11] offset0:122 offset1:123
.LBB122_991:
	s_or_b64 exec, exec, s[4:5]
	v_cmp_lt_i32_e32 vcc, 41, v19
	s_waitcnt vmcnt(0) lgkmcnt(0)
	s_barrier
	s_and_saveexec_b64 s[4:5], vcc
	s_cbranch_execz .LBB122_993
; %bb.992:
	buffer_load_dword v4, off, s[0:3], 0 offset:656
	buffer_load_dword v5, off, s[0:3], 0 offset:660
	;; [unrolled: 1-line block ×16, first 2 shown]
	s_waitcnt vmcnt(12)
	v_mul_f64 v[30:31], v[2:3], v[10:11]
	v_fma_f64 v[30:31], v[0:1], v[4:5], -v[30:31]
	v_mul_f64 v[0:1], v[0:1], v[10:11]
	v_fma_f64 v[4:5], v[2:3], v[4:5], v[0:1]
	buffer_store_dword v30, off, s[0:3], 0 offset:656
	buffer_store_dword v31, off, s[0:3], 0 offset:660
	buffer_store_dword v4, off, s[0:3], 0 offset:664
	buffer_store_dword v5, off, s[0:3], 0 offset:668
	ds_read2_b64 v[0:3], v16 offset0:84 offset1:85
	s_waitcnt lgkmcnt(0)
	v_mul_f64 v[10:11], v[2:3], v[4:5]
	v_fma_f64 v[10:11], v[0:1], v[30:31], -v[10:11]
	v_mul_f64 v[0:1], v[0:1], v[4:5]
	v_fma_f64 v[0:1], v[2:3], v[30:31], v[0:1]
	s_waitcnt vmcnt(14)
	v_add_f64 v[2:3], v[12:13], -v[10:11]
	s_waitcnt vmcnt(12)
	v_add_f64 v[0:1], v[20:21], -v[0:1]
	buffer_store_dword v2, off, s[0:3], 0 offset:672
	buffer_store_dword v3, off, s[0:3], 0 offset:676
	buffer_store_dword v0, off, s[0:3], 0 offset:680
	buffer_store_dword v1, off, s[0:3], 0 offset:684
	ds_read2_b64 v[0:3], v16 offset0:86 offset1:87
	s_waitcnt lgkmcnt(0)
	v_mul_f64 v[10:11], v[2:3], v[4:5]
	v_fma_f64 v[10:11], v[0:1], v[30:31], -v[10:11]
	v_mul_f64 v[0:1], v[0:1], v[4:5]
	v_fma_f64 v[0:1], v[2:3], v[30:31], v[0:1]
	s_waitcnt vmcnt(14)
	v_add_f64 v[2:3], v[22:23], -v[10:11]
	s_waitcnt vmcnt(12)
	v_add_f64 v[0:1], v[24:25], -v[0:1]
	;; [unrolled: 14-line block ×3, first 2 shown]
	buffer_store_dword v3, off, s[0:3], 0 offset:708
	buffer_store_dword v2, off, s[0:3], 0 offset:704
	buffer_store_dword v0, off, s[0:3], 0 offset:712
	buffer_store_dword v1, off, s[0:3], 0 offset:716
	ds_read2_b64 v[0:3], v16 offset0:90 offset1:91
	s_waitcnt lgkmcnt(0)
	v_mul_f64 v[10:11], v[2:3], v[4:5]
	v_fma_f64 v[10:11], v[0:1], v[30:31], -v[10:11]
	v_mul_f64 v[0:1], v[0:1], v[4:5]
	v_fma_f64 v[0:1], v[2:3], v[30:31], v[0:1]
	buffer_load_dword v2, off, s[0:3], 0 offset:720
	buffer_load_dword v3, off, s[0:3], 0 offset:724
	buffer_load_dword v12, off, s[0:3], 0 offset:728
	buffer_load_dword v13, off, s[0:3], 0 offset:732
	s_waitcnt vmcnt(2)
	v_add_f64 v[2:3], v[2:3], -v[10:11]
	s_waitcnt vmcnt(0)
	v_add_f64 v[0:1], v[12:13], -v[0:1]
	buffer_store_dword v3, off, s[0:3], 0 offset:724
	buffer_store_dword v2, off, s[0:3], 0 offset:720
	buffer_store_dword v1, off, s[0:3], 0 offset:732
	buffer_store_dword v0, off, s[0:3], 0 offset:728
	ds_read2_b64 v[0:3], v16 offset0:92 offset1:93
	s_waitcnt lgkmcnt(0)
	v_mul_f64 v[10:11], v[2:3], v[4:5]
	v_fma_f64 v[10:11], v[0:1], v[30:31], -v[10:11]
	v_mul_f64 v[0:1], v[0:1], v[4:5]
	v_fma_f64 v[0:1], v[2:3], v[30:31], v[0:1]
	buffer_load_dword v2, off, s[0:3], 0 offset:736
	buffer_load_dword v3, off, s[0:3], 0 offset:740
	buffer_load_dword v12, off, s[0:3], 0 offset:744
	buffer_load_dword v13, off, s[0:3], 0 offset:748
	s_waitcnt vmcnt(2)
	v_add_f64 v[2:3], v[2:3], -v[10:11]
	s_waitcnt vmcnt(0)
	v_add_f64 v[0:1], v[12:13], -v[0:1]
	;; [unrolled: 18-line block ×3, first 2 shown]
	buffer_store_dword v3, off, s[0:3], 0 offset:756
	buffer_store_dword v2, off, s[0:3], 0 offset:752
	;; [unrolled: 1-line block ×4, first 2 shown]
	ds_read2_b64 v[0:3], v16 offset0:96 offset1:97
	buffer_load_dword v4, off, s[0:3], 0 offset:656
	buffer_load_dword v5, off, s[0:3], 0 offset:660
	;; [unrolled: 1-line block ×4, first 2 shown]
	s_waitcnt vmcnt(0) lgkmcnt(0)
	v_mul_f64 v[12:13], v[2:3], v[10:11]
	v_fma_f64 v[12:13], v[0:1], v[4:5], -v[12:13]
	v_mul_f64 v[0:1], v[0:1], v[10:11]
	v_fma_f64 v[0:1], v[2:3], v[4:5], v[0:1]
	buffer_load_dword v3, off, s[0:3], 0 offset:772
	buffer_load_dword v2, off, s[0:3], 0 offset:768
	s_waitcnt vmcnt(0)
	v_add_f64 v[2:3], v[2:3], -v[12:13]
	buffer_load_dword v13, off, s[0:3], 0 offset:780
	buffer_load_dword v12, off, s[0:3], 0 offset:776
	s_waitcnt vmcnt(0)
	v_add_f64 v[0:1], v[12:13], -v[0:1]
	buffer_store_dword v3, off, s[0:3], 0 offset:772
	buffer_store_dword v2, off, s[0:3], 0 offset:768
	buffer_store_dword v1, off, s[0:3], 0 offset:780
	buffer_store_dword v0, off, s[0:3], 0 offset:776
	ds_read2_b64 v[0:3], v16 offset0:98 offset1:99
	s_waitcnt lgkmcnt(0)
	v_mul_f64 v[12:13], v[2:3], v[10:11]
	v_fma_f64 v[12:13], v[0:1], v[4:5], -v[12:13]
	v_mul_f64 v[0:1], v[0:1], v[10:11]
	v_fma_f64 v[0:1], v[2:3], v[4:5], v[0:1]
	buffer_load_dword v2, off, s[0:3], 0 offset:784
	buffer_load_dword v3, off, s[0:3], 0 offset:788
	buffer_load_dword v20, off, s[0:3], 0 offset:792
	buffer_load_dword v21, off, s[0:3], 0 offset:796
	s_waitcnt vmcnt(2)
	v_add_f64 v[2:3], v[2:3], -v[12:13]
	s_waitcnt vmcnt(0)
	v_add_f64 v[0:1], v[20:21], -v[0:1]
	buffer_store_dword v3, off, s[0:3], 0 offset:788
	buffer_store_dword v2, off, s[0:3], 0 offset:784
	buffer_store_dword v1, off, s[0:3], 0 offset:796
	buffer_store_dword v0, off, s[0:3], 0 offset:792
	ds_read2_b64 v[0:3], v16 offset0:100 offset1:101
	s_waitcnt lgkmcnt(0)
	v_mul_f64 v[12:13], v[2:3], v[10:11]
	v_fma_f64 v[12:13], v[0:1], v[4:5], -v[12:13]
	v_mul_f64 v[0:1], v[0:1], v[10:11]
	v_fma_f64 v[0:1], v[2:3], v[4:5], v[0:1]
	buffer_load_dword v2, off, s[0:3], 0 offset:800
	buffer_load_dword v3, off, s[0:3], 0 offset:804
	buffer_load_dword v20, off, s[0:3], 0 offset:808
	buffer_load_dword v21, off, s[0:3], 0 offset:812
	s_waitcnt vmcnt(2)
	v_add_f64 v[2:3], v[2:3], -v[12:13]
	;; [unrolled: 18-line block ×5, first 2 shown]
	s_waitcnt vmcnt(0)
	v_add_f64 v[0:1], v[4:5], -v[0:1]
	buffer_store_dword v3, off, s[0:3], 0 offset:852
	buffer_store_dword v2, off, s[0:3], 0 offset:848
	;; [unrolled: 1-line block ×4, first 2 shown]
	ds_read2_b64 v[0:3], v16 offset0:108 offset1:109
	buffer_load_dword v4, off, s[0:3], 0 offset:656
	buffer_load_dword v5, off, s[0:3], 0 offset:660
	;; [unrolled: 1-line block ×4, first 2 shown]
	s_waitcnt vmcnt(0) lgkmcnt(0)
	v_mul_f64 v[12:13], v[2:3], v[10:11]
	v_fma_f64 v[12:13], v[0:1], v[4:5], -v[12:13]
	v_mul_f64 v[0:1], v[0:1], v[10:11]
	v_fma_f64 v[0:1], v[2:3], v[4:5], v[0:1]
	buffer_load_dword v3, off, s[0:3], 0 offset:868
	buffer_load_dword v2, off, s[0:3], 0 offset:864
	s_waitcnt vmcnt(0)
	v_add_f64 v[2:3], v[2:3], -v[12:13]
	buffer_load_dword v13, off, s[0:3], 0 offset:876
	buffer_load_dword v12, off, s[0:3], 0 offset:872
	s_waitcnt vmcnt(0)
	v_add_f64 v[0:1], v[12:13], -v[0:1]
	buffer_store_dword v3, off, s[0:3], 0 offset:868
	buffer_store_dword v2, off, s[0:3], 0 offset:864
	buffer_store_dword v1, off, s[0:3], 0 offset:876
	buffer_store_dword v0, off, s[0:3], 0 offset:872
	ds_read2_b64 v[0:3], v16 offset0:110 offset1:111
	s_waitcnt lgkmcnt(0)
	v_mul_f64 v[12:13], v[2:3], v[10:11]
	v_fma_f64 v[12:13], v[0:1], v[4:5], -v[12:13]
	v_mul_f64 v[0:1], v[0:1], v[10:11]
	v_fma_f64 v[0:1], v[2:3], v[4:5], v[0:1]
	buffer_load_dword v2, off, s[0:3], 0 offset:880
	buffer_load_dword v3, off, s[0:3], 0 offset:884
	buffer_load_dword v20, off, s[0:3], 0 offset:888
	buffer_load_dword v21, off, s[0:3], 0 offset:892
	s_waitcnt vmcnt(2)
	v_add_f64 v[2:3], v[2:3], -v[12:13]
	s_waitcnt vmcnt(0)
	v_add_f64 v[0:1], v[20:21], -v[0:1]
	buffer_store_dword v3, off, s[0:3], 0 offset:884
	buffer_store_dword v2, off, s[0:3], 0 offset:880
	buffer_store_dword v1, off, s[0:3], 0 offset:892
	buffer_store_dword v0, off, s[0:3], 0 offset:888
	ds_read2_b64 v[0:3], v16 offset0:112 offset1:113
	s_waitcnt lgkmcnt(0)
	v_mul_f64 v[12:13], v[2:3], v[10:11]
	v_fma_f64 v[12:13], v[0:1], v[4:5], -v[12:13]
	v_mul_f64 v[0:1], v[0:1], v[10:11]
	v_fma_f64 v[0:1], v[2:3], v[4:5], v[0:1]
	buffer_load_dword v2, off, s[0:3], 0 offset:896
	buffer_load_dword v3, off, s[0:3], 0 offset:900
	buffer_load_dword v20, off, s[0:3], 0 offset:904
	buffer_load_dword v21, off, s[0:3], 0 offset:908
	s_waitcnt vmcnt(2)
	v_add_f64 v[2:3], v[2:3], -v[12:13]
	;; [unrolled: 18-line block ×5, first 2 shown]
	s_waitcnt vmcnt(0)
	v_add_f64 v[0:1], v[4:5], -v[0:1]
	buffer_store_dword v3, off, s[0:3], 0 offset:948
	buffer_store_dword v2, off, s[0:3], 0 offset:944
	buffer_store_dword v1, off, s[0:3], 0 offset:956
	buffer_store_dword v0, off, s[0:3], 0 offset:952
	ds_read2_b64 v[0:3], v16 offset0:120 offset1:121
	buffer_load_dword v4, off, s[0:3], 0 offset:656
	buffer_load_dword v5, off, s[0:3], 0 offset:660
	;; [unrolled: 1-line block ×4, first 2 shown]
	s_waitcnt vmcnt(0) lgkmcnt(0)
	v_mul_f64 v[12:13], v[2:3], v[10:11]
	v_fma_f64 v[12:13], v[0:1], v[4:5], -v[12:13]
	v_mul_f64 v[0:1], v[0:1], v[10:11]
	v_fma_f64 v[0:1], v[2:3], v[4:5], v[0:1]
	buffer_load_dword v3, off, s[0:3], 0 offset:964
	buffer_load_dword v2, off, s[0:3], 0 offset:960
	s_waitcnt vmcnt(0)
	v_add_f64 v[2:3], v[2:3], -v[12:13]
	buffer_load_dword v13, off, s[0:3], 0 offset:972
	buffer_load_dword v12, off, s[0:3], 0 offset:968
	s_waitcnt vmcnt(0)
	v_add_f64 v[0:1], v[12:13], -v[0:1]
	buffer_store_dword v3, off, s[0:3], 0 offset:964
	buffer_store_dword v2, off, s[0:3], 0 offset:960
	;; [unrolled: 1-line block ×4, first 2 shown]
	ds_read2_b64 v[0:3], v16 offset0:122 offset1:123
	s_waitcnt lgkmcnt(0)
	v_mul_f64 v[12:13], v[2:3], v[10:11]
	v_fma_f64 v[12:13], v[0:1], v[4:5], -v[12:13]
	v_mul_f64 v[0:1], v[0:1], v[10:11]
	v_fma_f64 v[0:1], v[2:3], v[4:5], v[0:1]
	buffer_load_dword v2, off, s[0:3], 0 offset:976
	buffer_load_dword v3, off, s[0:3], 0 offset:980
	;; [unrolled: 1-line block ×4, first 2 shown]
	s_waitcnt vmcnt(2)
	v_add_f64 v[2:3], v[2:3], -v[12:13]
	s_waitcnt vmcnt(0)
	v_add_f64 v[0:1], v[4:5], -v[0:1]
	buffer_store_dword v3, off, s[0:3], 0 offset:980
	buffer_store_dword v2, off, s[0:3], 0 offset:976
	;; [unrolled: 1-line block ×4, first 2 shown]
.LBB122_993:
	s_or_b64 exec, exec, s[4:5]
	v_mov_b32_e32 v3, s44
	s_waitcnt vmcnt(0)
	s_barrier
	buffer_load_dword v0, v3, s[0:3], 0 offen
	buffer_load_dword v1, v3, s[0:3], 0 offen offset:4
	buffer_load_dword v2, v3, s[0:3], 0 offen offset:8
	s_nop 0
	buffer_load_dword v3, v3, s[0:3], 0 offen offset:12
	v_lshl_add_u32 v4, v19, 4, v16
	s_cmp_lt_i32 s65, 44
	s_waitcnt vmcnt(0)
	ds_write2_b64 v4, v[0:1], v[2:3] offset1:1
	s_waitcnt lgkmcnt(0)
	s_barrier
	ds_read2_b64 v[0:3], v16 offset0:84 offset1:85
	v_mov_b32_e32 v4, 42
	s_cbranch_scc1 .LBB122_996
; %bb.994:
	v_add_u32_e32 v5, 0x2b0, v16
	s_mov_b32 s16, 43
	v_mov_b32_e32 v4, 42
.LBB122_995:                            ; =>This Inner Loop Header: Depth=1
	s_waitcnt lgkmcnt(0)
	v_cmp_gt_f64_e32 vcc, 0, v[2:3]
	v_cmp_gt_f64_e64 s[4:5], 0, v[0:1]
	ds_read2_b64 v[10:13], v5 offset1:1
	v_xor_b32_e32 v21, 0x80000000, v1
	v_xor_b32_e32 v23, 0x80000000, v3
	v_mov_b32_e32 v20, v0
	v_mov_b32_e32 v22, v2
	s_waitcnt lgkmcnt(0)
	v_xor_b32_e32 v25, 0x80000000, v13
	v_cndmask_b32_e32 v23, v3, v23, vcc
	v_cndmask_b32_e64 v21, v1, v21, s[4:5]
	v_cmp_gt_f64_e32 vcc, 0, v[12:13]
	v_cmp_gt_f64_e64 s[4:5], 0, v[10:11]
	v_add_f64 v[20:21], v[20:21], v[22:23]
	v_xor_b32_e32 v23, 0x80000000, v11
	v_mov_b32_e32 v22, v10
	v_mov_b32_e32 v24, v12
	v_add_u32_e32 v5, 16, v5
	v_cndmask_b32_e32 v25, v13, v25, vcc
	v_cndmask_b32_e64 v23, v11, v23, s[4:5]
	v_add_f64 v[22:23], v[22:23], v[24:25]
	v_mov_b32_e32 v24, s16
	s_add_i32 s16, s16, 1
	s_cmp_lg_u32 s65, s16
	v_cmp_lt_f64_e32 vcc, v[20:21], v[22:23]
	v_cndmask_b32_e32 v1, v1, v11, vcc
	v_cndmask_b32_e32 v0, v0, v10, vcc
	v_cndmask_b32_e32 v3, v3, v13, vcc
	v_cndmask_b32_e32 v2, v2, v12, vcc
	v_cndmask_b32_e32 v4, v4, v24, vcc
	s_cbranch_scc1 .LBB122_995
.LBB122_996:
	s_waitcnt lgkmcnt(0)
	v_cmp_eq_f64_e32 vcc, 0, v[0:1]
	v_cmp_eq_f64_e64 s[4:5], 0, v[2:3]
	s_and_b64 s[4:5], vcc, s[4:5]
	s_and_saveexec_b64 s[16:17], s[4:5]
	s_xor_b64 s[4:5], exec, s[16:17]
; %bb.997:
	v_cmp_ne_u32_e32 vcc, 0, v17
	v_cndmask_b32_e32 v17, 43, v17, vcc
; %bb.998:
	s_andn2_saveexec_b64 s[4:5], s[4:5]
	s_cbranch_execz .LBB122_1004
; %bb.999:
	v_cmp_ngt_f64_e64 s[16:17], |v[0:1]|, |v[2:3]|
	s_and_saveexec_b64 s[18:19], s[16:17]
	s_xor_b64 s[18:19], exec, s[18:19]
	s_cbranch_execz .LBB122_1001
; %bb.1000:
	v_div_scale_f64 v[10:11], s[16:17], v[2:3], v[2:3], v[0:1]
	v_rcp_f64_e32 v[12:13], v[10:11]
	v_fma_f64 v[20:21], -v[10:11], v[12:13], 1.0
	v_fma_f64 v[12:13], v[12:13], v[20:21], v[12:13]
	v_div_scale_f64 v[20:21], vcc, v[0:1], v[2:3], v[0:1]
	v_fma_f64 v[22:23], -v[10:11], v[12:13], 1.0
	v_fma_f64 v[12:13], v[12:13], v[22:23], v[12:13]
	v_mul_f64 v[22:23], v[20:21], v[12:13]
	v_fma_f64 v[10:11], -v[10:11], v[22:23], v[20:21]
	v_div_fmas_f64 v[10:11], v[10:11], v[12:13], v[22:23]
	v_div_fixup_f64 v[10:11], v[10:11], v[2:3], v[0:1]
	v_fma_f64 v[0:1], v[0:1], v[10:11], v[2:3]
	v_div_scale_f64 v[2:3], s[16:17], v[0:1], v[0:1], 1.0
	v_div_scale_f64 v[22:23], vcc, 1.0, v[0:1], 1.0
	v_rcp_f64_e32 v[12:13], v[2:3]
	v_fma_f64 v[20:21], -v[2:3], v[12:13], 1.0
	v_fma_f64 v[12:13], v[12:13], v[20:21], v[12:13]
	v_fma_f64 v[20:21], -v[2:3], v[12:13], 1.0
	v_fma_f64 v[12:13], v[12:13], v[20:21], v[12:13]
	v_mul_f64 v[20:21], v[22:23], v[12:13]
	v_fma_f64 v[2:3], -v[2:3], v[20:21], v[22:23]
	v_div_fmas_f64 v[2:3], v[2:3], v[12:13], v[20:21]
	v_div_fixup_f64 v[2:3], v[2:3], v[0:1], 1.0
	v_mul_f64 v[0:1], v[10:11], v[2:3]
	v_xor_b32_e32 v3, 0x80000000, v3
.LBB122_1001:
	s_andn2_saveexec_b64 s[18:19], s[18:19]
	s_cbranch_execz .LBB122_1003
; %bb.1002:
	v_div_scale_f64 v[10:11], s[16:17], v[0:1], v[0:1], v[2:3]
	v_rcp_f64_e32 v[12:13], v[10:11]
	v_fma_f64 v[20:21], -v[10:11], v[12:13], 1.0
	v_fma_f64 v[12:13], v[12:13], v[20:21], v[12:13]
	v_div_scale_f64 v[20:21], vcc, v[2:3], v[0:1], v[2:3]
	v_fma_f64 v[22:23], -v[10:11], v[12:13], 1.0
	v_fma_f64 v[12:13], v[12:13], v[22:23], v[12:13]
	v_mul_f64 v[22:23], v[20:21], v[12:13]
	v_fma_f64 v[10:11], -v[10:11], v[22:23], v[20:21]
	v_div_fmas_f64 v[10:11], v[10:11], v[12:13], v[22:23]
	v_div_fixup_f64 v[10:11], v[10:11], v[0:1], v[2:3]
	v_fma_f64 v[0:1], v[2:3], v[10:11], v[0:1]
	v_div_scale_f64 v[2:3], s[16:17], v[0:1], v[0:1], 1.0
	v_div_scale_f64 v[22:23], vcc, 1.0, v[0:1], 1.0
	v_rcp_f64_e32 v[12:13], v[2:3]
	v_fma_f64 v[20:21], -v[2:3], v[12:13], 1.0
	v_fma_f64 v[12:13], v[12:13], v[20:21], v[12:13]
	v_fma_f64 v[20:21], -v[2:3], v[12:13], 1.0
	v_fma_f64 v[12:13], v[12:13], v[20:21], v[12:13]
	v_mul_f64 v[20:21], v[22:23], v[12:13]
	v_fma_f64 v[2:3], -v[2:3], v[20:21], v[22:23]
	v_div_fmas_f64 v[2:3], v[2:3], v[12:13], v[20:21]
	v_div_fixup_f64 v[0:1], v[2:3], v[0:1], 1.0
	v_mul_f64 v[2:3], v[10:11], -v[0:1]
.LBB122_1003:
	s_or_b64 exec, exec, s[18:19]
.LBB122_1004:
	s_or_b64 exec, exec, s[4:5]
	v_cmp_ne_u32_e32 vcc, v19, v4
	s_and_saveexec_b64 s[4:5], vcc
	s_xor_b64 s[4:5], exec, s[4:5]
	s_cbranch_execz .LBB122_1010
; %bb.1005:
	v_cmp_eq_u32_e32 vcc, 42, v19
	s_and_saveexec_b64 s[18:19], vcc
	s_cbranch_execz .LBB122_1009
; %bb.1006:
	v_cmp_ne_u32_e32 vcc, 42, v4
	s_xor_b64 s[16:17], s[22:23], -1
	s_and_b64 s[16:17], s[16:17], vcc
	s_and_saveexec_b64 s[24:25], s[16:17]
	s_cbranch_execz .LBB122_1008
; %bb.1007:
	v_ashrrev_i32_e32 v5, 31, v4
	v_lshlrev_b64 v[10:11], 2, v[4:5]
	v_add_co_u32_e32 v10, vcc, v8, v10
	v_addc_co_u32_e32 v11, vcc, v9, v11, vcc
	global_load_dword v5, v[10:11], off
	global_load_dword v12, v[8:9], off offset:168
	s_waitcnt vmcnt(1)
	global_store_dword v[8:9], v5, off offset:168
	s_waitcnt vmcnt(1)
	global_store_dword v[10:11], v12, off
.LBB122_1008:
	s_or_b64 exec, exec, s[24:25]
	v_mov_b32_e32 v19, v4
	v_mov_b32_e32 v18, v4
.LBB122_1009:
	s_or_b64 exec, exec, s[18:19]
.LBB122_1010:
	s_andn2_saveexec_b64 s[4:5], s[4:5]
	s_cbranch_execz .LBB122_1012
; %bb.1011:
	v_mov_b32_e32 v11, s43
	buffer_load_dword v4, v11, s[0:3], 0 offen
	buffer_load_dword v5, v11, s[0:3], 0 offen offset:4
	buffer_load_dword v10, v11, s[0:3], 0 offen offset:8
	s_nop 0
	buffer_load_dword v11, v11, s[0:3], 0 offen offset:12
	v_mov_b32_e32 v19, 42
	s_waitcnt vmcnt(0)
	ds_write2_b64 v16, v[4:5], v[10:11] offset0:86 offset1:87
	v_mov_b32_e32 v11, s42
	buffer_load_dword v4, v11, s[0:3], 0 offen
	buffer_load_dword v5, v11, s[0:3], 0 offen offset:4
	buffer_load_dword v10, v11, s[0:3], 0 offen offset:8
	s_nop 0
	buffer_load_dword v11, v11, s[0:3], 0 offen offset:12
	s_waitcnt vmcnt(0)
	ds_write2_b64 v16, v[4:5], v[10:11] offset0:88 offset1:89
	v_mov_b32_e32 v11, s41
	buffer_load_dword v4, v11, s[0:3], 0 offen
	buffer_load_dword v5, v11, s[0:3], 0 offen offset:4
	buffer_load_dword v10, v11, s[0:3], 0 offen offset:8
	s_nop 0
	buffer_load_dword v11, v11, s[0:3], 0 offen offset:12
	;; [unrolled: 8-line block ×18, first 2 shown]
	s_waitcnt vmcnt(0)
	ds_write2_b64 v16, v[4:5], v[10:11] offset0:122 offset1:123
.LBB122_1012:
	s_or_b64 exec, exec, s[4:5]
	v_cmp_lt_i32_e32 vcc, 42, v19
	s_waitcnt vmcnt(0) lgkmcnt(0)
	s_barrier
	s_and_saveexec_b64 s[4:5], vcc
	s_cbranch_execz .LBB122_1014
; %bb.1013:
	buffer_load_dword v4, off, s[0:3], 0 offset:672
	buffer_load_dword v5, off, s[0:3], 0 offset:676
	;; [unrolled: 1-line block ×16, first 2 shown]
	s_waitcnt vmcnt(12)
	v_mul_f64 v[30:31], v[2:3], v[10:11]
	v_fma_f64 v[30:31], v[0:1], v[4:5], -v[30:31]
	v_mul_f64 v[0:1], v[0:1], v[10:11]
	v_fma_f64 v[4:5], v[2:3], v[4:5], v[0:1]
	buffer_store_dword v30, off, s[0:3], 0 offset:672
	buffer_store_dword v31, off, s[0:3], 0 offset:676
	buffer_store_dword v4, off, s[0:3], 0 offset:680
	buffer_store_dword v5, off, s[0:3], 0 offset:684
	ds_read2_b64 v[0:3], v16 offset0:86 offset1:87
	s_waitcnt lgkmcnt(0)
	v_mul_f64 v[10:11], v[2:3], v[4:5]
	v_fma_f64 v[10:11], v[0:1], v[30:31], -v[10:11]
	v_mul_f64 v[0:1], v[0:1], v[4:5]
	v_fma_f64 v[0:1], v[2:3], v[30:31], v[0:1]
	s_waitcnt vmcnt(14)
	v_add_f64 v[2:3], v[12:13], -v[10:11]
	s_waitcnt vmcnt(12)
	v_add_f64 v[0:1], v[20:21], -v[0:1]
	buffer_store_dword v2, off, s[0:3], 0 offset:688
	buffer_store_dword v3, off, s[0:3], 0 offset:692
	buffer_store_dword v0, off, s[0:3], 0 offset:696
	buffer_store_dword v1, off, s[0:3], 0 offset:700
	ds_read2_b64 v[0:3], v16 offset0:88 offset1:89
	s_waitcnt lgkmcnt(0)
	v_mul_f64 v[10:11], v[2:3], v[4:5]
	v_fma_f64 v[10:11], v[0:1], v[30:31], -v[10:11]
	v_mul_f64 v[0:1], v[0:1], v[4:5]
	v_fma_f64 v[0:1], v[2:3], v[30:31], v[0:1]
	s_waitcnt vmcnt(14)
	v_add_f64 v[2:3], v[22:23], -v[10:11]
	s_waitcnt vmcnt(12)
	v_add_f64 v[0:1], v[24:25], -v[0:1]
	;; [unrolled: 14-line block ×3, first 2 shown]
	buffer_store_dword v3, off, s[0:3], 0 offset:724
	buffer_store_dword v2, off, s[0:3], 0 offset:720
	buffer_store_dword v0, off, s[0:3], 0 offset:728
	buffer_store_dword v1, off, s[0:3], 0 offset:732
	ds_read2_b64 v[0:3], v16 offset0:92 offset1:93
	s_waitcnt lgkmcnt(0)
	v_mul_f64 v[10:11], v[2:3], v[4:5]
	v_fma_f64 v[10:11], v[0:1], v[30:31], -v[10:11]
	v_mul_f64 v[0:1], v[0:1], v[4:5]
	v_fma_f64 v[0:1], v[2:3], v[30:31], v[0:1]
	buffer_load_dword v2, off, s[0:3], 0 offset:736
	buffer_load_dword v3, off, s[0:3], 0 offset:740
	buffer_load_dword v12, off, s[0:3], 0 offset:744
	buffer_load_dword v13, off, s[0:3], 0 offset:748
	s_waitcnt vmcnt(2)
	v_add_f64 v[2:3], v[2:3], -v[10:11]
	s_waitcnt vmcnt(0)
	v_add_f64 v[0:1], v[12:13], -v[0:1]
	buffer_store_dword v3, off, s[0:3], 0 offset:740
	buffer_store_dword v2, off, s[0:3], 0 offset:736
	buffer_store_dword v1, off, s[0:3], 0 offset:748
	buffer_store_dword v0, off, s[0:3], 0 offset:744
	ds_read2_b64 v[0:3], v16 offset0:94 offset1:95
	s_waitcnt lgkmcnt(0)
	v_mul_f64 v[10:11], v[2:3], v[4:5]
	v_fma_f64 v[10:11], v[0:1], v[30:31], -v[10:11]
	v_mul_f64 v[0:1], v[0:1], v[4:5]
	v_fma_f64 v[0:1], v[2:3], v[30:31], v[0:1]
	buffer_load_dword v2, off, s[0:3], 0 offset:752
	buffer_load_dword v3, off, s[0:3], 0 offset:756
	buffer_load_dword v12, off, s[0:3], 0 offset:760
	buffer_load_dword v13, off, s[0:3], 0 offset:764
	s_waitcnt vmcnt(2)
	v_add_f64 v[2:3], v[2:3], -v[10:11]
	s_waitcnt vmcnt(0)
	v_add_f64 v[0:1], v[12:13], -v[0:1]
	;; [unrolled: 18-line block ×3, first 2 shown]
	buffer_store_dword v3, off, s[0:3], 0 offset:772
	buffer_store_dword v2, off, s[0:3], 0 offset:768
	buffer_store_dword v1, off, s[0:3], 0 offset:780
	buffer_store_dword v0, off, s[0:3], 0 offset:776
	ds_read2_b64 v[0:3], v16 offset0:98 offset1:99
	buffer_load_dword v4, off, s[0:3], 0 offset:672
	buffer_load_dword v5, off, s[0:3], 0 offset:676
	buffer_load_dword v10, off, s[0:3], 0 offset:680
	buffer_load_dword v11, off, s[0:3], 0 offset:684
	s_waitcnt vmcnt(0) lgkmcnt(0)
	v_mul_f64 v[12:13], v[2:3], v[10:11]
	v_fma_f64 v[12:13], v[0:1], v[4:5], -v[12:13]
	v_mul_f64 v[0:1], v[0:1], v[10:11]
	v_fma_f64 v[0:1], v[2:3], v[4:5], v[0:1]
	buffer_load_dword v3, off, s[0:3], 0 offset:788
	buffer_load_dword v2, off, s[0:3], 0 offset:784
	s_waitcnt vmcnt(0)
	v_add_f64 v[2:3], v[2:3], -v[12:13]
	buffer_load_dword v13, off, s[0:3], 0 offset:796
	buffer_load_dword v12, off, s[0:3], 0 offset:792
	s_waitcnt vmcnt(0)
	v_add_f64 v[0:1], v[12:13], -v[0:1]
	buffer_store_dword v3, off, s[0:3], 0 offset:788
	buffer_store_dword v2, off, s[0:3], 0 offset:784
	buffer_store_dword v1, off, s[0:3], 0 offset:796
	buffer_store_dword v0, off, s[0:3], 0 offset:792
	ds_read2_b64 v[0:3], v16 offset0:100 offset1:101
	s_waitcnt lgkmcnt(0)
	v_mul_f64 v[12:13], v[2:3], v[10:11]
	v_fma_f64 v[12:13], v[0:1], v[4:5], -v[12:13]
	v_mul_f64 v[0:1], v[0:1], v[10:11]
	v_fma_f64 v[0:1], v[2:3], v[4:5], v[0:1]
	buffer_load_dword v2, off, s[0:3], 0 offset:800
	buffer_load_dword v3, off, s[0:3], 0 offset:804
	buffer_load_dword v20, off, s[0:3], 0 offset:808
	buffer_load_dword v21, off, s[0:3], 0 offset:812
	s_waitcnt vmcnt(2)
	v_add_f64 v[2:3], v[2:3], -v[12:13]
	s_waitcnt vmcnt(0)
	v_add_f64 v[0:1], v[20:21], -v[0:1]
	buffer_store_dword v3, off, s[0:3], 0 offset:804
	buffer_store_dword v2, off, s[0:3], 0 offset:800
	buffer_store_dword v1, off, s[0:3], 0 offset:812
	buffer_store_dword v0, off, s[0:3], 0 offset:808
	ds_read2_b64 v[0:3], v16 offset0:102 offset1:103
	s_waitcnt lgkmcnt(0)
	v_mul_f64 v[12:13], v[2:3], v[10:11]
	v_fma_f64 v[12:13], v[0:1], v[4:5], -v[12:13]
	v_mul_f64 v[0:1], v[0:1], v[10:11]
	v_fma_f64 v[0:1], v[2:3], v[4:5], v[0:1]
	buffer_load_dword v2, off, s[0:3], 0 offset:816
	buffer_load_dword v3, off, s[0:3], 0 offset:820
	buffer_load_dword v20, off, s[0:3], 0 offset:824
	buffer_load_dword v21, off, s[0:3], 0 offset:828
	s_waitcnt vmcnt(2)
	v_add_f64 v[2:3], v[2:3], -v[12:13]
	;; [unrolled: 18-line block ×5, first 2 shown]
	s_waitcnt vmcnt(0)
	v_add_f64 v[0:1], v[4:5], -v[0:1]
	buffer_store_dword v3, off, s[0:3], 0 offset:868
	buffer_store_dword v2, off, s[0:3], 0 offset:864
	;; [unrolled: 1-line block ×4, first 2 shown]
	ds_read2_b64 v[0:3], v16 offset0:110 offset1:111
	buffer_load_dword v4, off, s[0:3], 0 offset:672
	buffer_load_dword v5, off, s[0:3], 0 offset:676
	;; [unrolled: 1-line block ×4, first 2 shown]
	s_waitcnt vmcnt(0) lgkmcnt(0)
	v_mul_f64 v[12:13], v[2:3], v[10:11]
	v_fma_f64 v[12:13], v[0:1], v[4:5], -v[12:13]
	v_mul_f64 v[0:1], v[0:1], v[10:11]
	v_fma_f64 v[0:1], v[2:3], v[4:5], v[0:1]
	buffer_load_dword v3, off, s[0:3], 0 offset:884
	buffer_load_dword v2, off, s[0:3], 0 offset:880
	s_waitcnt vmcnt(0)
	v_add_f64 v[2:3], v[2:3], -v[12:13]
	buffer_load_dword v13, off, s[0:3], 0 offset:892
	buffer_load_dword v12, off, s[0:3], 0 offset:888
	s_waitcnt vmcnt(0)
	v_add_f64 v[0:1], v[12:13], -v[0:1]
	buffer_store_dword v3, off, s[0:3], 0 offset:884
	buffer_store_dword v2, off, s[0:3], 0 offset:880
	buffer_store_dword v1, off, s[0:3], 0 offset:892
	buffer_store_dword v0, off, s[0:3], 0 offset:888
	ds_read2_b64 v[0:3], v16 offset0:112 offset1:113
	s_waitcnt lgkmcnt(0)
	v_mul_f64 v[12:13], v[2:3], v[10:11]
	v_fma_f64 v[12:13], v[0:1], v[4:5], -v[12:13]
	v_mul_f64 v[0:1], v[0:1], v[10:11]
	v_fma_f64 v[0:1], v[2:3], v[4:5], v[0:1]
	buffer_load_dword v2, off, s[0:3], 0 offset:896
	buffer_load_dword v3, off, s[0:3], 0 offset:900
	buffer_load_dword v20, off, s[0:3], 0 offset:904
	buffer_load_dword v21, off, s[0:3], 0 offset:908
	s_waitcnt vmcnt(2)
	v_add_f64 v[2:3], v[2:3], -v[12:13]
	s_waitcnt vmcnt(0)
	v_add_f64 v[0:1], v[20:21], -v[0:1]
	buffer_store_dword v3, off, s[0:3], 0 offset:900
	buffer_store_dword v2, off, s[0:3], 0 offset:896
	buffer_store_dword v1, off, s[0:3], 0 offset:908
	buffer_store_dword v0, off, s[0:3], 0 offset:904
	ds_read2_b64 v[0:3], v16 offset0:114 offset1:115
	s_waitcnt lgkmcnt(0)
	v_mul_f64 v[12:13], v[2:3], v[10:11]
	v_fma_f64 v[12:13], v[0:1], v[4:5], -v[12:13]
	v_mul_f64 v[0:1], v[0:1], v[10:11]
	v_fma_f64 v[0:1], v[2:3], v[4:5], v[0:1]
	buffer_load_dword v2, off, s[0:3], 0 offset:912
	buffer_load_dword v3, off, s[0:3], 0 offset:916
	buffer_load_dword v20, off, s[0:3], 0 offset:920
	buffer_load_dword v21, off, s[0:3], 0 offset:924
	s_waitcnt vmcnt(2)
	v_add_f64 v[2:3], v[2:3], -v[12:13]
	;; [unrolled: 18-line block ×5, first 2 shown]
	s_waitcnt vmcnt(0)
	v_add_f64 v[0:1], v[4:5], -v[0:1]
	buffer_store_dword v3, off, s[0:3], 0 offset:964
	buffer_store_dword v2, off, s[0:3], 0 offset:960
	buffer_store_dword v1, off, s[0:3], 0 offset:972
	buffer_store_dword v0, off, s[0:3], 0 offset:968
	ds_read2_b64 v[0:3], v16 offset0:122 offset1:123
	buffer_load_dword v4, off, s[0:3], 0 offset:672
	buffer_load_dword v5, off, s[0:3], 0 offset:676
	;; [unrolled: 1-line block ×4, first 2 shown]
	s_waitcnt vmcnt(0) lgkmcnt(0)
	v_mul_f64 v[12:13], v[2:3], v[10:11]
	v_fma_f64 v[12:13], v[0:1], v[4:5], -v[12:13]
	v_mul_f64 v[0:1], v[0:1], v[10:11]
	v_fma_f64 v[0:1], v[2:3], v[4:5], v[0:1]
	buffer_load_dword v3, off, s[0:3], 0 offset:980
	buffer_load_dword v2, off, s[0:3], 0 offset:976
	;; [unrolled: 1-line block ×4, first 2 shown]
	s_waitcnt vmcnt(2)
	v_add_f64 v[2:3], v[2:3], -v[12:13]
	s_waitcnt vmcnt(0)
	v_add_f64 v[0:1], v[4:5], -v[0:1]
	buffer_store_dword v3, off, s[0:3], 0 offset:980
	buffer_store_dword v2, off, s[0:3], 0 offset:976
	buffer_store_dword v1, off, s[0:3], 0 offset:988
	buffer_store_dword v0, off, s[0:3], 0 offset:984
.LBB122_1014:
	s_or_b64 exec, exec, s[4:5]
	v_mov_b32_e32 v3, s43
	s_waitcnt vmcnt(0)
	s_barrier
	buffer_load_dword v0, v3, s[0:3], 0 offen
	buffer_load_dword v1, v3, s[0:3], 0 offen offset:4
	buffer_load_dword v2, v3, s[0:3], 0 offen offset:8
	s_nop 0
	buffer_load_dword v3, v3, s[0:3], 0 offen offset:12
	v_lshl_add_u32 v4, v19, 4, v16
	s_cmp_lt_i32 s65, 45
	s_waitcnt vmcnt(0)
	ds_write2_b64 v4, v[0:1], v[2:3] offset1:1
	s_waitcnt lgkmcnt(0)
	s_barrier
	ds_read2_b64 v[0:3], v16 offset0:86 offset1:87
	v_mov_b32_e32 v4, 43
	s_cbranch_scc1 .LBB122_1017
; %bb.1015:
	v_add_u32_e32 v5, 0x2c0, v16
	s_mov_b32 s16, 44
	v_mov_b32_e32 v4, 43
.LBB122_1016:                           ; =>This Inner Loop Header: Depth=1
	s_waitcnt lgkmcnt(0)
	v_cmp_gt_f64_e32 vcc, 0, v[2:3]
	v_cmp_gt_f64_e64 s[4:5], 0, v[0:1]
	ds_read2_b64 v[10:13], v5 offset1:1
	v_xor_b32_e32 v21, 0x80000000, v1
	v_xor_b32_e32 v23, 0x80000000, v3
	v_mov_b32_e32 v20, v0
	v_mov_b32_e32 v22, v2
	s_waitcnt lgkmcnt(0)
	v_xor_b32_e32 v25, 0x80000000, v13
	v_cndmask_b32_e32 v23, v3, v23, vcc
	v_cndmask_b32_e64 v21, v1, v21, s[4:5]
	v_cmp_gt_f64_e32 vcc, 0, v[12:13]
	v_cmp_gt_f64_e64 s[4:5], 0, v[10:11]
	v_add_f64 v[20:21], v[20:21], v[22:23]
	v_xor_b32_e32 v23, 0x80000000, v11
	v_mov_b32_e32 v22, v10
	v_mov_b32_e32 v24, v12
	v_add_u32_e32 v5, 16, v5
	v_cndmask_b32_e32 v25, v13, v25, vcc
	v_cndmask_b32_e64 v23, v11, v23, s[4:5]
	v_add_f64 v[22:23], v[22:23], v[24:25]
	v_mov_b32_e32 v24, s16
	s_add_i32 s16, s16, 1
	s_cmp_lg_u32 s65, s16
	v_cmp_lt_f64_e32 vcc, v[20:21], v[22:23]
	v_cndmask_b32_e32 v1, v1, v11, vcc
	v_cndmask_b32_e32 v0, v0, v10, vcc
	;; [unrolled: 1-line block ×5, first 2 shown]
	s_cbranch_scc1 .LBB122_1016
.LBB122_1017:
	s_waitcnt lgkmcnt(0)
	v_cmp_eq_f64_e32 vcc, 0, v[0:1]
	v_cmp_eq_f64_e64 s[4:5], 0, v[2:3]
	s_and_b64 s[4:5], vcc, s[4:5]
	s_and_saveexec_b64 s[16:17], s[4:5]
	s_xor_b64 s[4:5], exec, s[16:17]
; %bb.1018:
	v_cmp_ne_u32_e32 vcc, 0, v17
	v_cndmask_b32_e32 v17, 44, v17, vcc
; %bb.1019:
	s_andn2_saveexec_b64 s[4:5], s[4:5]
	s_cbranch_execz .LBB122_1025
; %bb.1020:
	v_cmp_ngt_f64_e64 s[16:17], |v[0:1]|, |v[2:3]|
	s_and_saveexec_b64 s[18:19], s[16:17]
	s_xor_b64 s[18:19], exec, s[18:19]
	s_cbranch_execz .LBB122_1022
; %bb.1021:
	v_div_scale_f64 v[10:11], s[16:17], v[2:3], v[2:3], v[0:1]
	v_rcp_f64_e32 v[12:13], v[10:11]
	v_fma_f64 v[20:21], -v[10:11], v[12:13], 1.0
	v_fma_f64 v[12:13], v[12:13], v[20:21], v[12:13]
	v_div_scale_f64 v[20:21], vcc, v[0:1], v[2:3], v[0:1]
	v_fma_f64 v[22:23], -v[10:11], v[12:13], 1.0
	v_fma_f64 v[12:13], v[12:13], v[22:23], v[12:13]
	v_mul_f64 v[22:23], v[20:21], v[12:13]
	v_fma_f64 v[10:11], -v[10:11], v[22:23], v[20:21]
	v_div_fmas_f64 v[10:11], v[10:11], v[12:13], v[22:23]
	v_div_fixup_f64 v[10:11], v[10:11], v[2:3], v[0:1]
	v_fma_f64 v[0:1], v[0:1], v[10:11], v[2:3]
	v_div_scale_f64 v[2:3], s[16:17], v[0:1], v[0:1], 1.0
	v_div_scale_f64 v[22:23], vcc, 1.0, v[0:1], 1.0
	v_rcp_f64_e32 v[12:13], v[2:3]
	v_fma_f64 v[20:21], -v[2:3], v[12:13], 1.0
	v_fma_f64 v[12:13], v[12:13], v[20:21], v[12:13]
	v_fma_f64 v[20:21], -v[2:3], v[12:13], 1.0
	v_fma_f64 v[12:13], v[12:13], v[20:21], v[12:13]
	v_mul_f64 v[20:21], v[22:23], v[12:13]
	v_fma_f64 v[2:3], -v[2:3], v[20:21], v[22:23]
	v_div_fmas_f64 v[2:3], v[2:3], v[12:13], v[20:21]
	v_div_fixup_f64 v[2:3], v[2:3], v[0:1], 1.0
	v_mul_f64 v[0:1], v[10:11], v[2:3]
	v_xor_b32_e32 v3, 0x80000000, v3
.LBB122_1022:
	s_andn2_saveexec_b64 s[18:19], s[18:19]
	s_cbranch_execz .LBB122_1024
; %bb.1023:
	v_div_scale_f64 v[10:11], s[16:17], v[0:1], v[0:1], v[2:3]
	v_rcp_f64_e32 v[12:13], v[10:11]
	v_fma_f64 v[20:21], -v[10:11], v[12:13], 1.0
	v_fma_f64 v[12:13], v[12:13], v[20:21], v[12:13]
	v_div_scale_f64 v[20:21], vcc, v[2:3], v[0:1], v[2:3]
	v_fma_f64 v[22:23], -v[10:11], v[12:13], 1.0
	v_fma_f64 v[12:13], v[12:13], v[22:23], v[12:13]
	v_mul_f64 v[22:23], v[20:21], v[12:13]
	v_fma_f64 v[10:11], -v[10:11], v[22:23], v[20:21]
	v_div_fmas_f64 v[10:11], v[10:11], v[12:13], v[22:23]
	v_div_fixup_f64 v[10:11], v[10:11], v[0:1], v[2:3]
	v_fma_f64 v[0:1], v[2:3], v[10:11], v[0:1]
	v_div_scale_f64 v[2:3], s[16:17], v[0:1], v[0:1], 1.0
	v_div_scale_f64 v[22:23], vcc, 1.0, v[0:1], 1.0
	v_rcp_f64_e32 v[12:13], v[2:3]
	v_fma_f64 v[20:21], -v[2:3], v[12:13], 1.0
	v_fma_f64 v[12:13], v[12:13], v[20:21], v[12:13]
	v_fma_f64 v[20:21], -v[2:3], v[12:13], 1.0
	v_fma_f64 v[12:13], v[12:13], v[20:21], v[12:13]
	v_mul_f64 v[20:21], v[22:23], v[12:13]
	v_fma_f64 v[2:3], -v[2:3], v[20:21], v[22:23]
	v_div_fmas_f64 v[2:3], v[2:3], v[12:13], v[20:21]
	v_div_fixup_f64 v[0:1], v[2:3], v[0:1], 1.0
	v_mul_f64 v[2:3], v[10:11], -v[0:1]
.LBB122_1024:
	s_or_b64 exec, exec, s[18:19]
.LBB122_1025:
	s_or_b64 exec, exec, s[4:5]
	v_cmp_ne_u32_e32 vcc, v19, v4
	s_and_saveexec_b64 s[4:5], vcc
	s_xor_b64 s[4:5], exec, s[4:5]
	s_cbranch_execz .LBB122_1031
; %bb.1026:
	v_cmp_eq_u32_e32 vcc, 43, v19
	s_and_saveexec_b64 s[18:19], vcc
	s_cbranch_execz .LBB122_1030
; %bb.1027:
	v_cmp_ne_u32_e32 vcc, 43, v4
	s_xor_b64 s[16:17], s[22:23], -1
	s_and_b64 s[16:17], s[16:17], vcc
	s_and_saveexec_b64 s[24:25], s[16:17]
	s_cbranch_execz .LBB122_1029
; %bb.1028:
	v_ashrrev_i32_e32 v5, 31, v4
	v_lshlrev_b64 v[10:11], 2, v[4:5]
	v_add_co_u32_e32 v10, vcc, v8, v10
	v_addc_co_u32_e32 v11, vcc, v9, v11, vcc
	global_load_dword v5, v[10:11], off
	global_load_dword v12, v[8:9], off offset:172
	s_waitcnt vmcnt(1)
	global_store_dword v[8:9], v5, off offset:172
	s_waitcnt vmcnt(1)
	global_store_dword v[10:11], v12, off
.LBB122_1029:
	s_or_b64 exec, exec, s[24:25]
	v_mov_b32_e32 v19, v4
	v_mov_b32_e32 v18, v4
.LBB122_1030:
	s_or_b64 exec, exec, s[18:19]
.LBB122_1031:
	s_andn2_saveexec_b64 s[4:5], s[4:5]
	s_cbranch_execz .LBB122_1033
; %bb.1032:
	v_mov_b32_e32 v11, s42
	buffer_load_dword v4, v11, s[0:3], 0 offen
	buffer_load_dword v5, v11, s[0:3], 0 offen offset:4
	buffer_load_dword v10, v11, s[0:3], 0 offen offset:8
	s_nop 0
	buffer_load_dword v11, v11, s[0:3], 0 offen offset:12
	v_mov_b32_e32 v19, 43
	s_waitcnt vmcnt(0)
	ds_write2_b64 v16, v[4:5], v[10:11] offset0:88 offset1:89
	v_mov_b32_e32 v11, s41
	buffer_load_dword v4, v11, s[0:3], 0 offen
	buffer_load_dword v5, v11, s[0:3], 0 offen offset:4
	buffer_load_dword v10, v11, s[0:3], 0 offen offset:8
	s_nop 0
	buffer_load_dword v11, v11, s[0:3], 0 offen offset:12
	s_waitcnt vmcnt(0)
	ds_write2_b64 v16, v[4:5], v[10:11] offset0:90 offset1:91
	v_mov_b32_e32 v11, s40
	buffer_load_dword v4, v11, s[0:3], 0 offen
	buffer_load_dword v5, v11, s[0:3], 0 offen offset:4
	buffer_load_dword v10, v11, s[0:3], 0 offen offset:8
	s_nop 0
	buffer_load_dword v11, v11, s[0:3], 0 offen offset:12
	;; [unrolled: 8-line block ×17, first 2 shown]
	s_waitcnt vmcnt(0)
	ds_write2_b64 v16, v[4:5], v[10:11] offset0:122 offset1:123
.LBB122_1033:
	s_or_b64 exec, exec, s[4:5]
	v_cmp_lt_i32_e32 vcc, 43, v19
	s_waitcnt vmcnt(0) lgkmcnt(0)
	s_barrier
	s_and_saveexec_b64 s[4:5], vcc
	s_cbranch_execz .LBB122_1035
; %bb.1034:
	buffer_load_dword v4, off, s[0:3], 0 offset:688
	buffer_load_dword v5, off, s[0:3], 0 offset:692
	buffer_load_dword v10, off, s[0:3], 0 offset:696
	buffer_load_dword v11, off, s[0:3], 0 offset:700
	buffer_load_dword v12, off, s[0:3], 0 offset:704
	buffer_load_dword v13, off, s[0:3], 0 offset:708
	buffer_load_dword v20, off, s[0:3], 0 offset:712
	buffer_load_dword v21, off, s[0:3], 0 offset:716
	buffer_load_dword v22, off, s[0:3], 0 offset:720
	buffer_load_dword v23, off, s[0:3], 0 offset:724
	buffer_load_dword v24, off, s[0:3], 0 offset:728
	buffer_load_dword v25, off, s[0:3], 0 offset:732
	buffer_load_dword v26, off, s[0:3], 0 offset:736
	buffer_load_dword v27, off, s[0:3], 0 offset:740
	buffer_load_dword v28, off, s[0:3], 0 offset:744
	buffer_load_dword v29, off, s[0:3], 0 offset:748
	s_waitcnt vmcnt(12)
	v_mul_f64 v[30:31], v[2:3], v[10:11]
	v_fma_f64 v[30:31], v[0:1], v[4:5], -v[30:31]
	v_mul_f64 v[0:1], v[0:1], v[10:11]
	v_fma_f64 v[4:5], v[2:3], v[4:5], v[0:1]
	buffer_store_dword v30, off, s[0:3], 0 offset:688
	buffer_store_dword v31, off, s[0:3], 0 offset:692
	buffer_store_dword v4, off, s[0:3], 0 offset:696
	buffer_store_dword v5, off, s[0:3], 0 offset:700
	ds_read2_b64 v[0:3], v16 offset0:88 offset1:89
	s_waitcnt lgkmcnt(0)
	v_mul_f64 v[10:11], v[2:3], v[4:5]
	v_fma_f64 v[10:11], v[0:1], v[30:31], -v[10:11]
	v_mul_f64 v[0:1], v[0:1], v[4:5]
	v_fma_f64 v[0:1], v[2:3], v[30:31], v[0:1]
	s_waitcnt vmcnt(14)
	v_add_f64 v[2:3], v[12:13], -v[10:11]
	s_waitcnt vmcnt(12)
	v_add_f64 v[0:1], v[20:21], -v[0:1]
	buffer_store_dword v2, off, s[0:3], 0 offset:704
	buffer_store_dword v3, off, s[0:3], 0 offset:708
	buffer_store_dword v0, off, s[0:3], 0 offset:712
	buffer_store_dword v1, off, s[0:3], 0 offset:716
	ds_read2_b64 v[0:3], v16 offset0:90 offset1:91
	s_waitcnt lgkmcnt(0)
	v_mul_f64 v[10:11], v[2:3], v[4:5]
	v_fma_f64 v[10:11], v[0:1], v[30:31], -v[10:11]
	v_mul_f64 v[0:1], v[0:1], v[4:5]
	v_fma_f64 v[0:1], v[2:3], v[30:31], v[0:1]
	s_waitcnt vmcnt(14)
	v_add_f64 v[2:3], v[22:23], -v[10:11]
	s_waitcnt vmcnt(12)
	v_add_f64 v[0:1], v[24:25], -v[0:1]
	buffer_store_dword v2, off, s[0:3], 0 offset:720
	buffer_store_dword v3, off, s[0:3], 0 offset:724
	buffer_store_dword v0, off, s[0:3], 0 offset:728
	buffer_store_dword v1, off, s[0:3], 0 offset:732
	ds_read2_b64 v[0:3], v16 offset0:92 offset1:93
	s_waitcnt lgkmcnt(0)
	v_mul_f64 v[10:11], v[2:3], v[4:5]
	v_fma_f64 v[10:11], v[0:1], v[30:31], -v[10:11]
	v_mul_f64 v[0:1], v[0:1], v[4:5]
	v_fma_f64 v[0:1], v[2:3], v[30:31], v[0:1]
	s_waitcnt vmcnt(14)
	v_add_f64 v[2:3], v[26:27], -v[10:11]
	s_waitcnt vmcnt(12)
	v_add_f64 v[0:1], v[28:29], -v[0:1]
	buffer_store_dword v3, off, s[0:3], 0 offset:740
	buffer_store_dword v2, off, s[0:3], 0 offset:736
	buffer_store_dword v0, off, s[0:3], 0 offset:744
	buffer_store_dword v1, off, s[0:3], 0 offset:748
	ds_read2_b64 v[0:3], v16 offset0:94 offset1:95
	s_waitcnt lgkmcnt(0)
	v_mul_f64 v[10:11], v[2:3], v[4:5]
	v_fma_f64 v[10:11], v[0:1], v[30:31], -v[10:11]
	v_mul_f64 v[0:1], v[0:1], v[4:5]
	v_fma_f64 v[0:1], v[2:3], v[30:31], v[0:1]
	buffer_load_dword v2, off, s[0:3], 0 offset:752
	buffer_load_dword v3, off, s[0:3], 0 offset:756
	buffer_load_dword v12, off, s[0:3], 0 offset:760
	buffer_load_dword v13, off, s[0:3], 0 offset:764
	s_waitcnt vmcnt(2)
	v_add_f64 v[2:3], v[2:3], -v[10:11]
	s_waitcnt vmcnt(0)
	v_add_f64 v[0:1], v[12:13], -v[0:1]
	buffer_store_dword v3, off, s[0:3], 0 offset:756
	buffer_store_dword v2, off, s[0:3], 0 offset:752
	buffer_store_dword v1, off, s[0:3], 0 offset:764
	buffer_store_dword v0, off, s[0:3], 0 offset:760
	ds_read2_b64 v[0:3], v16 offset0:96 offset1:97
	s_waitcnt lgkmcnt(0)
	v_mul_f64 v[10:11], v[2:3], v[4:5]
	v_fma_f64 v[10:11], v[0:1], v[30:31], -v[10:11]
	v_mul_f64 v[0:1], v[0:1], v[4:5]
	v_fma_f64 v[0:1], v[2:3], v[30:31], v[0:1]
	buffer_load_dword v2, off, s[0:3], 0 offset:768
	buffer_load_dword v3, off, s[0:3], 0 offset:772
	buffer_load_dword v12, off, s[0:3], 0 offset:776
	buffer_load_dword v13, off, s[0:3], 0 offset:780
	s_waitcnt vmcnt(2)
	v_add_f64 v[2:3], v[2:3], -v[10:11]
	s_waitcnt vmcnt(0)
	v_add_f64 v[0:1], v[12:13], -v[0:1]
	;; [unrolled: 18-line block ×3, first 2 shown]
	buffer_store_dword v3, off, s[0:3], 0 offset:788
	buffer_store_dword v2, off, s[0:3], 0 offset:784
	buffer_store_dword v1, off, s[0:3], 0 offset:796
	buffer_store_dword v0, off, s[0:3], 0 offset:792
	ds_read2_b64 v[10:13], v16 offset0:100 offset1:101
	buffer_load_dword v0, off, s[0:3], 0 offset:688
	buffer_load_dword v1, off, s[0:3], 0 offset:692
	;; [unrolled: 1-line block ×4, first 2 shown]
	s_waitcnt vmcnt(0) lgkmcnt(0)
	v_mul_f64 v[4:5], v[12:13], v[2:3]
	v_fma_f64 v[4:5], v[10:11], v[0:1], -v[4:5]
	v_mul_f64 v[10:11], v[10:11], v[2:3]
	v_fma_f64 v[10:11], v[12:13], v[0:1], v[10:11]
	buffer_load_dword v13, off, s[0:3], 0 offset:804
	buffer_load_dword v12, off, s[0:3], 0 offset:800
	s_waitcnt vmcnt(0)
	v_add_f64 v[4:5], v[12:13], -v[4:5]
	buffer_load_dword v13, off, s[0:3], 0 offset:812
	buffer_load_dword v12, off, s[0:3], 0 offset:808
	s_waitcnt vmcnt(0)
	v_add_f64 v[10:11], v[12:13], -v[10:11]
	buffer_store_dword v5, off, s[0:3], 0 offset:804
	buffer_store_dword v4, off, s[0:3], 0 offset:800
	buffer_store_dword v11, off, s[0:3], 0 offset:812
	buffer_store_dword v10, off, s[0:3], 0 offset:808
	ds_read2_b64 v[10:13], v16 offset0:102 offset1:103
	s_waitcnt lgkmcnt(0)
	v_mul_f64 v[4:5], v[12:13], v[2:3]
	v_fma_f64 v[4:5], v[10:11], v[0:1], -v[4:5]
	v_mul_f64 v[10:11], v[10:11], v[2:3]
	v_fma_f64 v[10:11], v[12:13], v[0:1], v[10:11]
	buffer_load_dword v12, off, s[0:3], 0 offset:816
	buffer_load_dword v13, off, s[0:3], 0 offset:820
	buffer_load_dword v20, off, s[0:3], 0 offset:824
	buffer_load_dword v21, off, s[0:3], 0 offset:828
	s_waitcnt vmcnt(2)
	v_add_f64 v[4:5], v[12:13], -v[4:5]
	s_waitcnt vmcnt(0)
	v_add_f64 v[10:11], v[20:21], -v[10:11]
	buffer_store_dword v5, off, s[0:3], 0 offset:820
	buffer_store_dword v4, off, s[0:3], 0 offset:816
	buffer_store_dword v11, off, s[0:3], 0 offset:828
	buffer_store_dword v10, off, s[0:3], 0 offset:824
	ds_read2_b64 v[10:13], v16 offset0:104 offset1:105
	s_waitcnt lgkmcnt(0)
	v_mul_f64 v[4:5], v[12:13], v[2:3]
	v_fma_f64 v[4:5], v[10:11], v[0:1], -v[4:5]
	v_mul_f64 v[10:11], v[10:11], v[2:3]
	v_fma_f64 v[10:11], v[12:13], v[0:1], v[10:11]
	buffer_load_dword v12, off, s[0:3], 0 offset:832
	buffer_load_dword v13, off, s[0:3], 0 offset:836
	buffer_load_dword v20, off, s[0:3], 0 offset:840
	buffer_load_dword v21, off, s[0:3], 0 offset:844
	s_waitcnt vmcnt(2)
	v_add_f64 v[4:5], v[12:13], -v[4:5]
	;; [unrolled: 18-line block ×4, first 2 shown]
	s_waitcnt vmcnt(0)
	v_add_f64 v[10:11], v[20:21], -v[10:11]
	buffer_store_dword v5, off, s[0:3], 0 offset:868
	buffer_store_dword v4, off, s[0:3], 0 offset:864
	buffer_store_dword v11, off, s[0:3], 0 offset:876
	buffer_store_dword v10, off, s[0:3], 0 offset:872
	ds_read2_b64 v[10:13], v16 offset0:110 offset1:111
	s_waitcnt lgkmcnt(0)
	v_mul_f64 v[4:5], v[12:13], v[2:3]
	v_mul_f64 v[2:3], v[10:11], v[2:3]
	v_fma_f64 v[4:5], v[10:11], v[0:1], -v[4:5]
	v_fma_f64 v[0:1], v[12:13], v[0:1], v[2:3]
	buffer_load_dword v2, off, s[0:3], 0 offset:880
	buffer_load_dword v3, off, s[0:3], 0 offset:884
	;; [unrolled: 1-line block ×4, first 2 shown]
	s_waitcnt vmcnt(2)
	v_add_f64 v[2:3], v[2:3], -v[4:5]
	s_waitcnt vmcnt(0)
	v_add_f64 v[0:1], v[10:11], -v[0:1]
	buffer_store_dword v3, off, s[0:3], 0 offset:884
	buffer_store_dword v2, off, s[0:3], 0 offset:880
	;; [unrolled: 1-line block ×4, first 2 shown]
	ds_read2_b64 v[10:13], v16 offset0:112 offset1:113
	buffer_load_dword v0, off, s[0:3], 0 offset:688
	buffer_load_dword v1, off, s[0:3], 0 offset:692
	;; [unrolled: 1-line block ×4, first 2 shown]
	s_waitcnt vmcnt(0) lgkmcnt(0)
	v_mul_f64 v[4:5], v[12:13], v[2:3]
	v_fma_f64 v[4:5], v[10:11], v[0:1], -v[4:5]
	v_mul_f64 v[10:11], v[10:11], v[2:3]
	v_fma_f64 v[10:11], v[12:13], v[0:1], v[10:11]
	buffer_load_dword v13, off, s[0:3], 0 offset:900
	buffer_load_dword v12, off, s[0:3], 0 offset:896
	s_waitcnt vmcnt(0)
	v_add_f64 v[4:5], v[12:13], -v[4:5]
	buffer_load_dword v13, off, s[0:3], 0 offset:908
	buffer_load_dword v12, off, s[0:3], 0 offset:904
	s_waitcnt vmcnt(0)
	v_add_f64 v[10:11], v[12:13], -v[10:11]
	buffer_store_dword v5, off, s[0:3], 0 offset:900
	buffer_store_dword v4, off, s[0:3], 0 offset:896
	buffer_store_dword v11, off, s[0:3], 0 offset:908
	buffer_store_dword v10, off, s[0:3], 0 offset:904
	ds_read2_b64 v[10:13], v16 offset0:114 offset1:115
	s_waitcnt lgkmcnt(0)
	v_mul_f64 v[4:5], v[12:13], v[2:3]
	v_fma_f64 v[4:5], v[10:11], v[0:1], -v[4:5]
	v_mul_f64 v[10:11], v[10:11], v[2:3]
	v_fma_f64 v[10:11], v[12:13], v[0:1], v[10:11]
	buffer_load_dword v12, off, s[0:3], 0 offset:912
	buffer_load_dword v13, off, s[0:3], 0 offset:916
	buffer_load_dword v20, off, s[0:3], 0 offset:920
	buffer_load_dword v21, off, s[0:3], 0 offset:924
	s_waitcnt vmcnt(2)
	v_add_f64 v[4:5], v[12:13], -v[4:5]
	s_waitcnt vmcnt(0)
	v_add_f64 v[10:11], v[20:21], -v[10:11]
	buffer_store_dword v5, off, s[0:3], 0 offset:916
	buffer_store_dword v4, off, s[0:3], 0 offset:912
	buffer_store_dword v11, off, s[0:3], 0 offset:924
	buffer_store_dword v10, off, s[0:3], 0 offset:920
	ds_read2_b64 v[10:13], v16 offset0:116 offset1:117
	s_waitcnt lgkmcnt(0)
	v_mul_f64 v[4:5], v[12:13], v[2:3]
	v_fma_f64 v[4:5], v[10:11], v[0:1], -v[4:5]
	v_mul_f64 v[10:11], v[10:11], v[2:3]
	v_fma_f64 v[10:11], v[12:13], v[0:1], v[10:11]
	buffer_load_dword v12, off, s[0:3], 0 offset:928
	buffer_load_dword v13, off, s[0:3], 0 offset:932
	buffer_load_dword v20, off, s[0:3], 0 offset:936
	buffer_load_dword v21, off, s[0:3], 0 offset:940
	s_waitcnt vmcnt(2)
	v_add_f64 v[4:5], v[12:13], -v[4:5]
	s_waitcnt vmcnt(0)
	v_add_f64 v[10:11], v[20:21], -v[10:11]
	buffer_store_dword v5, off, s[0:3], 0 offset:932
	buffer_store_dword v4, off, s[0:3], 0 offset:928
	buffer_store_dword v11, off, s[0:3], 0 offset:940
	buffer_store_dword v10, off, s[0:3], 0 offset:936
	ds_read2_b64 v[10:13], v16 offset0:118 offset1:119
	s_waitcnt lgkmcnt(0)
	v_mul_f64 v[4:5], v[12:13], v[2:3]
	v_fma_f64 v[4:5], v[10:11], v[0:1], -v[4:5]
	v_mul_f64 v[10:11], v[10:11], v[2:3]
	v_fma_f64 v[10:11], v[12:13], v[0:1], v[10:11]
	buffer_load_dword v12, off, s[0:3], 0 offset:944
	buffer_load_dword v13, off, s[0:3], 0 offset:948
	buffer_load_dword v20, off, s[0:3], 0 offset:952
	buffer_load_dword v21, off, s[0:3], 0 offset:956
	s_waitcnt vmcnt(2)
	v_add_f64 v[4:5], v[12:13], -v[4:5]
	s_waitcnt vmcnt(0)
	v_add_f64 v[10:11], v[20:21], -v[10:11]
	buffer_store_dword v5, off, s[0:3], 0 offset:948
	buffer_store_dword v4, off, s[0:3], 0 offset:944
	buffer_store_dword v11, off, s[0:3], 0 offset:956
	buffer_store_dword v10, off, s[0:3], 0 offset:952
	ds_read2_b64 v[10:13], v16 offset0:120 offset1:121
	s_waitcnt lgkmcnt(0)
	v_mul_f64 v[4:5], v[12:13], v[2:3]
	v_fma_f64 v[4:5], v[10:11], v[0:1], -v[4:5]
	v_mul_f64 v[10:11], v[10:11], v[2:3]
	v_fma_f64 v[10:11], v[12:13], v[0:1], v[10:11]
	buffer_load_dword v12, off, s[0:3], 0 offset:960
	buffer_load_dword v13, off, s[0:3], 0 offset:964
	buffer_load_dword v20, off, s[0:3], 0 offset:968
	buffer_load_dword v21, off, s[0:3], 0 offset:972
	s_waitcnt vmcnt(2)
	v_add_f64 v[4:5], v[12:13], -v[4:5]
	s_waitcnt vmcnt(0)
	v_add_f64 v[10:11], v[20:21], -v[10:11]
	buffer_store_dword v5, off, s[0:3], 0 offset:964
	buffer_store_dword v4, off, s[0:3], 0 offset:960
	;; [unrolled: 1-line block ×4, first 2 shown]
	ds_read2_b64 v[10:13], v16 offset0:122 offset1:123
	s_waitcnt lgkmcnt(0)
	v_mul_f64 v[4:5], v[12:13], v[2:3]
	v_mul_f64 v[2:3], v[10:11], v[2:3]
	v_fma_f64 v[4:5], v[10:11], v[0:1], -v[4:5]
	v_fma_f64 v[0:1], v[12:13], v[0:1], v[2:3]
	buffer_load_dword v2, off, s[0:3], 0 offset:976
	buffer_load_dword v3, off, s[0:3], 0 offset:980
	;; [unrolled: 1-line block ×4, first 2 shown]
	s_waitcnt vmcnt(2)
	v_add_f64 v[2:3], v[2:3], -v[4:5]
	s_waitcnt vmcnt(0)
	v_add_f64 v[0:1], v[10:11], -v[0:1]
	buffer_store_dword v3, off, s[0:3], 0 offset:980
	buffer_store_dword v2, off, s[0:3], 0 offset:976
	;; [unrolled: 1-line block ×4, first 2 shown]
.LBB122_1035:
	s_or_b64 exec, exec, s[4:5]
	v_mov_b32_e32 v3, s42
	s_waitcnt vmcnt(0)
	s_barrier
	buffer_load_dword v0, v3, s[0:3], 0 offen
	buffer_load_dword v1, v3, s[0:3], 0 offen offset:4
	buffer_load_dword v2, v3, s[0:3], 0 offen offset:8
	s_nop 0
	buffer_load_dword v3, v3, s[0:3], 0 offen offset:12
	v_lshl_add_u32 v4, v19, 4, v16
	s_cmp_lt_i32 s65, 46
	s_waitcnt vmcnt(0)
	ds_write2_b64 v4, v[0:1], v[2:3] offset1:1
	s_waitcnt lgkmcnt(0)
	s_barrier
	ds_read2_b64 v[0:3], v16 offset0:88 offset1:89
	v_mov_b32_e32 v4, 44
	s_cbranch_scc1 .LBB122_1038
; %bb.1036:
	v_add_u32_e32 v5, 0x2d0, v16
	s_mov_b32 s16, 45
	v_mov_b32_e32 v4, 44
.LBB122_1037:                           ; =>This Inner Loop Header: Depth=1
	s_waitcnt lgkmcnt(0)
	v_cmp_gt_f64_e32 vcc, 0, v[2:3]
	v_cmp_gt_f64_e64 s[4:5], 0, v[0:1]
	ds_read2_b64 v[10:13], v5 offset1:1
	v_xor_b32_e32 v21, 0x80000000, v1
	v_xor_b32_e32 v23, 0x80000000, v3
	v_mov_b32_e32 v20, v0
	v_mov_b32_e32 v22, v2
	s_waitcnt lgkmcnt(0)
	v_xor_b32_e32 v25, 0x80000000, v13
	v_cndmask_b32_e32 v23, v3, v23, vcc
	v_cndmask_b32_e64 v21, v1, v21, s[4:5]
	v_cmp_gt_f64_e32 vcc, 0, v[12:13]
	v_cmp_gt_f64_e64 s[4:5], 0, v[10:11]
	v_add_f64 v[20:21], v[20:21], v[22:23]
	v_xor_b32_e32 v23, 0x80000000, v11
	v_mov_b32_e32 v22, v10
	v_mov_b32_e32 v24, v12
	v_add_u32_e32 v5, 16, v5
	v_cndmask_b32_e32 v25, v13, v25, vcc
	v_cndmask_b32_e64 v23, v11, v23, s[4:5]
	v_add_f64 v[22:23], v[22:23], v[24:25]
	v_mov_b32_e32 v24, s16
	s_add_i32 s16, s16, 1
	s_cmp_lg_u32 s65, s16
	v_cmp_lt_f64_e32 vcc, v[20:21], v[22:23]
	v_cndmask_b32_e32 v1, v1, v11, vcc
	v_cndmask_b32_e32 v0, v0, v10, vcc
	;; [unrolled: 1-line block ×5, first 2 shown]
	s_cbranch_scc1 .LBB122_1037
.LBB122_1038:
	s_waitcnt lgkmcnt(0)
	v_cmp_eq_f64_e32 vcc, 0, v[0:1]
	v_cmp_eq_f64_e64 s[4:5], 0, v[2:3]
	s_and_b64 s[4:5], vcc, s[4:5]
	s_and_saveexec_b64 s[16:17], s[4:5]
	s_xor_b64 s[4:5], exec, s[16:17]
; %bb.1039:
	v_cmp_ne_u32_e32 vcc, 0, v17
	v_cndmask_b32_e32 v17, 45, v17, vcc
; %bb.1040:
	s_andn2_saveexec_b64 s[4:5], s[4:5]
	s_cbranch_execz .LBB122_1046
; %bb.1041:
	v_cmp_ngt_f64_e64 s[16:17], |v[0:1]|, |v[2:3]|
	s_and_saveexec_b64 s[18:19], s[16:17]
	s_xor_b64 s[18:19], exec, s[18:19]
	s_cbranch_execz .LBB122_1043
; %bb.1042:
	v_div_scale_f64 v[10:11], s[16:17], v[2:3], v[2:3], v[0:1]
	v_rcp_f64_e32 v[12:13], v[10:11]
	v_fma_f64 v[20:21], -v[10:11], v[12:13], 1.0
	v_fma_f64 v[12:13], v[12:13], v[20:21], v[12:13]
	v_div_scale_f64 v[20:21], vcc, v[0:1], v[2:3], v[0:1]
	v_fma_f64 v[22:23], -v[10:11], v[12:13], 1.0
	v_fma_f64 v[12:13], v[12:13], v[22:23], v[12:13]
	v_mul_f64 v[22:23], v[20:21], v[12:13]
	v_fma_f64 v[10:11], -v[10:11], v[22:23], v[20:21]
	v_div_fmas_f64 v[10:11], v[10:11], v[12:13], v[22:23]
	v_div_fixup_f64 v[10:11], v[10:11], v[2:3], v[0:1]
	v_fma_f64 v[0:1], v[0:1], v[10:11], v[2:3]
	v_div_scale_f64 v[2:3], s[16:17], v[0:1], v[0:1], 1.0
	v_div_scale_f64 v[22:23], vcc, 1.0, v[0:1], 1.0
	v_rcp_f64_e32 v[12:13], v[2:3]
	v_fma_f64 v[20:21], -v[2:3], v[12:13], 1.0
	v_fma_f64 v[12:13], v[12:13], v[20:21], v[12:13]
	v_fma_f64 v[20:21], -v[2:3], v[12:13], 1.0
	v_fma_f64 v[12:13], v[12:13], v[20:21], v[12:13]
	v_mul_f64 v[20:21], v[22:23], v[12:13]
	v_fma_f64 v[2:3], -v[2:3], v[20:21], v[22:23]
	v_div_fmas_f64 v[2:3], v[2:3], v[12:13], v[20:21]
	v_div_fixup_f64 v[2:3], v[2:3], v[0:1], 1.0
	v_mul_f64 v[0:1], v[10:11], v[2:3]
	v_xor_b32_e32 v3, 0x80000000, v3
.LBB122_1043:
	s_andn2_saveexec_b64 s[18:19], s[18:19]
	s_cbranch_execz .LBB122_1045
; %bb.1044:
	v_div_scale_f64 v[10:11], s[16:17], v[0:1], v[0:1], v[2:3]
	v_rcp_f64_e32 v[12:13], v[10:11]
	v_fma_f64 v[20:21], -v[10:11], v[12:13], 1.0
	v_fma_f64 v[12:13], v[12:13], v[20:21], v[12:13]
	v_div_scale_f64 v[20:21], vcc, v[2:3], v[0:1], v[2:3]
	v_fma_f64 v[22:23], -v[10:11], v[12:13], 1.0
	v_fma_f64 v[12:13], v[12:13], v[22:23], v[12:13]
	v_mul_f64 v[22:23], v[20:21], v[12:13]
	v_fma_f64 v[10:11], -v[10:11], v[22:23], v[20:21]
	v_div_fmas_f64 v[10:11], v[10:11], v[12:13], v[22:23]
	v_div_fixup_f64 v[10:11], v[10:11], v[0:1], v[2:3]
	v_fma_f64 v[0:1], v[2:3], v[10:11], v[0:1]
	v_div_scale_f64 v[2:3], s[16:17], v[0:1], v[0:1], 1.0
	v_div_scale_f64 v[22:23], vcc, 1.0, v[0:1], 1.0
	v_rcp_f64_e32 v[12:13], v[2:3]
	v_fma_f64 v[20:21], -v[2:3], v[12:13], 1.0
	v_fma_f64 v[12:13], v[12:13], v[20:21], v[12:13]
	v_fma_f64 v[20:21], -v[2:3], v[12:13], 1.0
	v_fma_f64 v[12:13], v[12:13], v[20:21], v[12:13]
	v_mul_f64 v[20:21], v[22:23], v[12:13]
	v_fma_f64 v[2:3], -v[2:3], v[20:21], v[22:23]
	v_div_fmas_f64 v[2:3], v[2:3], v[12:13], v[20:21]
	v_div_fixup_f64 v[0:1], v[2:3], v[0:1], 1.0
	v_mul_f64 v[2:3], v[10:11], -v[0:1]
.LBB122_1045:
	s_or_b64 exec, exec, s[18:19]
.LBB122_1046:
	s_or_b64 exec, exec, s[4:5]
	v_cmp_ne_u32_e32 vcc, v19, v4
	s_and_saveexec_b64 s[4:5], vcc
	s_xor_b64 s[4:5], exec, s[4:5]
	s_cbranch_execz .LBB122_1052
; %bb.1047:
	v_cmp_eq_u32_e32 vcc, 44, v19
	s_and_saveexec_b64 s[18:19], vcc
	s_cbranch_execz .LBB122_1051
; %bb.1048:
	v_cmp_ne_u32_e32 vcc, 44, v4
	s_xor_b64 s[16:17], s[22:23], -1
	s_and_b64 s[16:17], s[16:17], vcc
	s_and_saveexec_b64 s[24:25], s[16:17]
	s_cbranch_execz .LBB122_1050
; %bb.1049:
	v_ashrrev_i32_e32 v5, 31, v4
	v_lshlrev_b64 v[10:11], 2, v[4:5]
	v_add_co_u32_e32 v10, vcc, v8, v10
	v_addc_co_u32_e32 v11, vcc, v9, v11, vcc
	global_load_dword v5, v[10:11], off
	global_load_dword v12, v[8:9], off offset:176
	s_waitcnt vmcnt(1)
	global_store_dword v[8:9], v5, off offset:176
	s_waitcnt vmcnt(1)
	global_store_dword v[10:11], v12, off
.LBB122_1050:
	s_or_b64 exec, exec, s[24:25]
	v_mov_b32_e32 v19, v4
	v_mov_b32_e32 v18, v4
.LBB122_1051:
	s_or_b64 exec, exec, s[18:19]
.LBB122_1052:
	s_andn2_saveexec_b64 s[4:5], s[4:5]
	s_cbranch_execz .LBB122_1054
; %bb.1053:
	v_mov_b32_e32 v11, s41
	buffer_load_dword v4, v11, s[0:3], 0 offen
	buffer_load_dword v5, v11, s[0:3], 0 offen offset:4
	buffer_load_dword v10, v11, s[0:3], 0 offen offset:8
	s_nop 0
	buffer_load_dword v11, v11, s[0:3], 0 offen offset:12
	v_mov_b32_e32 v19, 44
	s_waitcnt vmcnt(0)
	ds_write2_b64 v16, v[4:5], v[10:11] offset0:90 offset1:91
	v_mov_b32_e32 v11, s40
	buffer_load_dword v4, v11, s[0:3], 0 offen
	buffer_load_dword v5, v11, s[0:3], 0 offen offset:4
	buffer_load_dword v10, v11, s[0:3], 0 offen offset:8
	s_nop 0
	buffer_load_dword v11, v11, s[0:3], 0 offen offset:12
	s_waitcnt vmcnt(0)
	ds_write2_b64 v16, v[4:5], v[10:11] offset0:92 offset1:93
	v_mov_b32_e32 v11, s39
	buffer_load_dword v4, v11, s[0:3], 0 offen
	buffer_load_dword v5, v11, s[0:3], 0 offen offset:4
	buffer_load_dword v10, v11, s[0:3], 0 offen offset:8
	s_nop 0
	buffer_load_dword v11, v11, s[0:3], 0 offen offset:12
	s_waitcnt vmcnt(0)
	ds_write2_b64 v16, v[4:5], v[10:11] offset0:94 offset1:95
	v_mov_b32_e32 v11, s38
	buffer_load_dword v4, v11, s[0:3], 0 offen
	buffer_load_dword v5, v11, s[0:3], 0 offen offset:4
	buffer_load_dword v10, v11, s[0:3], 0 offen offset:8
	s_nop 0
	buffer_load_dword v11, v11, s[0:3], 0 offen offset:12
	s_waitcnt vmcnt(0)
	ds_write2_b64 v16, v[4:5], v[10:11] offset0:96 offset1:97
	v_mov_b32_e32 v11, s37
	buffer_load_dword v4, v11, s[0:3], 0 offen
	buffer_load_dword v5, v11, s[0:3], 0 offen offset:4
	buffer_load_dword v10, v11, s[0:3], 0 offen offset:8
	s_nop 0
	buffer_load_dword v11, v11, s[0:3], 0 offen offset:12
	s_waitcnt vmcnt(0)
	ds_write2_b64 v16, v[4:5], v[10:11] offset0:98 offset1:99
	v_mov_b32_e32 v11, s36
	buffer_load_dword v4, v11, s[0:3], 0 offen
	buffer_load_dword v5, v11, s[0:3], 0 offen offset:4
	buffer_load_dword v10, v11, s[0:3], 0 offen offset:8
	s_nop 0
	buffer_load_dword v11, v11, s[0:3], 0 offen offset:12
	s_waitcnt vmcnt(0)
	ds_write2_b64 v16, v[4:5], v[10:11] offset0:100 offset1:101
	v_mov_b32_e32 v11, s35
	buffer_load_dword v4, v11, s[0:3], 0 offen
	buffer_load_dword v5, v11, s[0:3], 0 offen offset:4
	buffer_load_dword v10, v11, s[0:3], 0 offen offset:8
	s_nop 0
	buffer_load_dword v11, v11, s[0:3], 0 offen offset:12
	s_waitcnt vmcnt(0)
	ds_write2_b64 v16, v[4:5], v[10:11] offset0:102 offset1:103
	v_mov_b32_e32 v11, s34
	buffer_load_dword v4, v11, s[0:3], 0 offen
	buffer_load_dword v5, v11, s[0:3], 0 offen offset:4
	buffer_load_dword v10, v11, s[0:3], 0 offen offset:8
	s_nop 0
	buffer_load_dword v11, v11, s[0:3], 0 offen offset:12
	s_waitcnt vmcnt(0)
	ds_write2_b64 v16, v[4:5], v[10:11] offset0:104 offset1:105
	v_mov_b32_e32 v11, s33
	buffer_load_dword v4, v11, s[0:3], 0 offen
	buffer_load_dword v5, v11, s[0:3], 0 offen offset:4
	buffer_load_dword v10, v11, s[0:3], 0 offen offset:8
	s_nop 0
	buffer_load_dword v11, v11, s[0:3], 0 offen offset:12
	s_waitcnt vmcnt(0)
	ds_write2_b64 v16, v[4:5], v[10:11] offset0:106 offset1:107
	v_mov_b32_e32 v11, s31
	buffer_load_dword v4, v11, s[0:3], 0 offen
	buffer_load_dword v5, v11, s[0:3], 0 offen offset:4
	buffer_load_dword v10, v11, s[0:3], 0 offen offset:8
	s_nop 0
	buffer_load_dword v11, v11, s[0:3], 0 offen offset:12
	s_waitcnt vmcnt(0)
	ds_write2_b64 v16, v[4:5], v[10:11] offset0:108 offset1:109
	v_mov_b32_e32 v11, s30
	buffer_load_dword v4, v11, s[0:3], 0 offen
	buffer_load_dword v5, v11, s[0:3], 0 offen offset:4
	buffer_load_dword v10, v11, s[0:3], 0 offen offset:8
	s_nop 0
	buffer_load_dword v11, v11, s[0:3], 0 offen offset:12
	s_waitcnt vmcnt(0)
	ds_write2_b64 v16, v[4:5], v[10:11] offset0:110 offset1:111
	v_mov_b32_e32 v11, s29
	buffer_load_dword v4, v11, s[0:3], 0 offen
	buffer_load_dword v5, v11, s[0:3], 0 offen offset:4
	buffer_load_dword v10, v11, s[0:3], 0 offen offset:8
	s_nop 0
	buffer_load_dword v11, v11, s[0:3], 0 offen offset:12
	s_waitcnt vmcnt(0)
	ds_write2_b64 v16, v[4:5], v[10:11] offset0:112 offset1:113
	v_mov_b32_e32 v11, s28
	buffer_load_dword v4, v11, s[0:3], 0 offen
	buffer_load_dword v5, v11, s[0:3], 0 offen offset:4
	buffer_load_dword v10, v11, s[0:3], 0 offen offset:8
	s_nop 0
	buffer_load_dword v11, v11, s[0:3], 0 offen offset:12
	s_waitcnt vmcnt(0)
	ds_write2_b64 v16, v[4:5], v[10:11] offset0:114 offset1:115
	v_mov_b32_e32 v11, s27
	buffer_load_dword v4, v11, s[0:3], 0 offen
	buffer_load_dword v5, v11, s[0:3], 0 offen offset:4
	buffer_load_dword v10, v11, s[0:3], 0 offen offset:8
	s_nop 0
	buffer_load_dword v11, v11, s[0:3], 0 offen offset:12
	s_waitcnt vmcnt(0)
	ds_write2_b64 v16, v[4:5], v[10:11] offset0:116 offset1:117
	v_mov_b32_e32 v11, s26
	buffer_load_dword v4, v11, s[0:3], 0 offen
	buffer_load_dword v5, v11, s[0:3], 0 offen offset:4
	buffer_load_dword v10, v11, s[0:3], 0 offen offset:8
	s_nop 0
	buffer_load_dword v11, v11, s[0:3], 0 offen offset:12
	s_waitcnt vmcnt(0)
	ds_write2_b64 v16, v[4:5], v[10:11] offset0:118 offset1:119
	v_mov_b32_e32 v11, s20
	buffer_load_dword v4, v11, s[0:3], 0 offen
	buffer_load_dword v5, v11, s[0:3], 0 offen offset:4
	buffer_load_dword v10, v11, s[0:3], 0 offen offset:8
	s_nop 0
	buffer_load_dword v11, v11, s[0:3], 0 offen offset:12
	s_waitcnt vmcnt(0)
	ds_write2_b64 v16, v[4:5], v[10:11] offset0:120 offset1:121
	v_mov_b32_e32 v11, s7
	buffer_load_dword v4, v11, s[0:3], 0 offen
	buffer_load_dword v5, v11, s[0:3], 0 offen offset:4
	buffer_load_dword v10, v11, s[0:3], 0 offen offset:8
	s_nop 0
	buffer_load_dword v11, v11, s[0:3], 0 offen offset:12
	s_waitcnt vmcnt(0)
	ds_write2_b64 v16, v[4:5], v[10:11] offset0:122 offset1:123
.LBB122_1054:
	s_or_b64 exec, exec, s[4:5]
	v_cmp_lt_i32_e32 vcc, 44, v19
	s_waitcnt vmcnt(0) lgkmcnt(0)
	s_barrier
	s_and_saveexec_b64 s[4:5], vcc
	s_cbranch_execz .LBB122_1056
; %bb.1055:
	buffer_load_dword v10, off, s[0:3], 0 offset:704
	buffer_load_dword v11, off, s[0:3], 0 offset:708
	;; [unrolled: 1-line block ×16, first 2 shown]
	s_waitcnt vmcnt(12)
	v_mul_f64 v[4:5], v[2:3], v[12:13]
	v_fma_f64 v[4:5], v[0:1], v[10:11], -v[4:5]
	v_mul_f64 v[0:1], v[0:1], v[12:13]
	v_fma_f64 v[10:11], v[2:3], v[10:11], v[0:1]
	buffer_store_dword v4, off, s[0:3], 0 offset:704
	buffer_store_dword v5, off, s[0:3], 0 offset:708
	buffer_store_dword v10, off, s[0:3], 0 offset:712
	buffer_store_dword v11, off, s[0:3], 0 offset:716
	ds_read2_b64 v[0:3], v16 offset0:90 offset1:91
	s_waitcnt lgkmcnt(0)
	v_mul_f64 v[12:13], v[2:3], v[10:11]
	v_fma_f64 v[12:13], v[0:1], v[4:5], -v[12:13]
	v_mul_f64 v[0:1], v[0:1], v[10:11]
	v_fma_f64 v[0:1], v[2:3], v[4:5], v[0:1]
	s_waitcnt vmcnt(14)
	v_add_f64 v[2:3], v[20:21], -v[12:13]
	s_waitcnt vmcnt(12)
	v_add_f64 v[0:1], v[22:23], -v[0:1]
	buffer_store_dword v2, off, s[0:3], 0 offset:720
	buffer_store_dword v3, off, s[0:3], 0 offset:724
	buffer_store_dword v0, off, s[0:3], 0 offset:728
	buffer_store_dword v1, off, s[0:3], 0 offset:732
	ds_read2_b64 v[0:3], v16 offset0:92 offset1:93
	s_waitcnt lgkmcnt(0)
	v_mul_f64 v[12:13], v[2:3], v[10:11]
	v_fma_f64 v[12:13], v[0:1], v[4:5], -v[12:13]
	v_mul_f64 v[0:1], v[0:1], v[10:11]
	v_fma_f64 v[0:1], v[2:3], v[4:5], v[0:1]
	s_waitcnt vmcnt(14)
	v_add_f64 v[2:3], v[24:25], -v[12:13]
	s_waitcnt vmcnt(12)
	v_add_f64 v[0:1], v[26:27], -v[0:1]
	;; [unrolled: 14-line block ×3, first 2 shown]
	buffer_store_dword v3, off, s[0:3], 0 offset:756
	buffer_store_dword v2, off, s[0:3], 0 offset:752
	buffer_store_dword v0, off, s[0:3], 0 offset:760
	buffer_store_dword v1, off, s[0:3], 0 offset:764
	ds_read2_b64 v[0:3], v16 offset0:96 offset1:97
	s_waitcnt lgkmcnt(0)
	v_mul_f64 v[12:13], v[2:3], v[10:11]
	v_fma_f64 v[12:13], v[0:1], v[4:5], -v[12:13]
	v_mul_f64 v[0:1], v[0:1], v[10:11]
	v_fma_f64 v[0:1], v[2:3], v[4:5], v[0:1]
	buffer_load_dword v2, off, s[0:3], 0 offset:768
	buffer_load_dword v3, off, s[0:3], 0 offset:772
	buffer_load_dword v20, off, s[0:3], 0 offset:776
	buffer_load_dword v21, off, s[0:3], 0 offset:780
	s_waitcnt vmcnt(2)
	v_add_f64 v[2:3], v[2:3], -v[12:13]
	s_waitcnt vmcnt(0)
	v_add_f64 v[0:1], v[20:21], -v[0:1]
	buffer_store_dword v3, off, s[0:3], 0 offset:772
	buffer_store_dword v2, off, s[0:3], 0 offset:768
	buffer_store_dword v1, off, s[0:3], 0 offset:780
	buffer_store_dword v0, off, s[0:3], 0 offset:776
	ds_read2_b64 v[0:3], v16 offset0:98 offset1:99
	s_waitcnt lgkmcnt(0)
	v_mul_f64 v[12:13], v[2:3], v[10:11]
	v_fma_f64 v[12:13], v[0:1], v[4:5], -v[12:13]
	v_mul_f64 v[0:1], v[0:1], v[10:11]
	v_fma_f64 v[0:1], v[2:3], v[4:5], v[0:1]
	buffer_load_dword v2, off, s[0:3], 0 offset:784
	buffer_load_dword v3, off, s[0:3], 0 offset:788
	buffer_load_dword v20, off, s[0:3], 0 offset:792
	buffer_load_dword v21, off, s[0:3], 0 offset:796
	s_waitcnt vmcnt(2)
	v_add_f64 v[2:3], v[2:3], -v[12:13]
	s_waitcnt vmcnt(0)
	v_add_f64 v[0:1], v[20:21], -v[0:1]
	;; [unrolled: 18-line block ×3, first 2 shown]
	buffer_store_dword v3, off, s[0:3], 0 offset:804
	buffer_store_dword v2, off, s[0:3], 0 offset:800
	;; [unrolled: 1-line block ×4, first 2 shown]
	ds_read2_b64 v[2:5], v16 offset0:102 offset1:103
	buffer_load_dword v0, off, s[0:3], 0 offset:704
	buffer_load_dword v1, off, s[0:3], 0 offset:708
	;; [unrolled: 1-line block ×4, first 2 shown]
	s_waitcnt vmcnt(0) lgkmcnt(0)
	v_mul_f64 v[12:13], v[4:5], v[10:11]
	v_fma_f64 v[12:13], v[2:3], v[0:1], -v[12:13]
	v_mul_f64 v[2:3], v[2:3], v[10:11]
	v_fma_f64 v[2:3], v[4:5], v[0:1], v[2:3]
	buffer_load_dword v5, off, s[0:3], 0 offset:820
	buffer_load_dword v4, off, s[0:3], 0 offset:816
	s_waitcnt vmcnt(0)
	v_add_f64 v[4:5], v[4:5], -v[12:13]
	buffer_load_dword v13, off, s[0:3], 0 offset:828
	buffer_load_dword v12, off, s[0:3], 0 offset:824
	s_waitcnt vmcnt(0)
	v_add_f64 v[2:3], v[12:13], -v[2:3]
	buffer_store_dword v5, off, s[0:3], 0 offset:820
	buffer_store_dword v4, off, s[0:3], 0 offset:816
	buffer_store_dword v3, off, s[0:3], 0 offset:828
	buffer_store_dword v2, off, s[0:3], 0 offset:824
	ds_read2_b64 v[2:5], v16 offset0:104 offset1:105
	s_waitcnt lgkmcnt(0)
	v_mul_f64 v[12:13], v[4:5], v[10:11]
	v_fma_f64 v[12:13], v[2:3], v[0:1], -v[12:13]
	v_mul_f64 v[2:3], v[2:3], v[10:11]
	v_fma_f64 v[2:3], v[4:5], v[0:1], v[2:3]
	buffer_load_dword v4, off, s[0:3], 0 offset:832
	buffer_load_dword v5, off, s[0:3], 0 offset:836
	buffer_load_dword v20, off, s[0:3], 0 offset:840
	buffer_load_dword v21, off, s[0:3], 0 offset:844
	s_waitcnt vmcnt(2)
	v_add_f64 v[4:5], v[4:5], -v[12:13]
	s_waitcnt vmcnt(0)
	v_add_f64 v[2:3], v[20:21], -v[2:3]
	buffer_store_dword v5, off, s[0:3], 0 offset:836
	buffer_store_dword v4, off, s[0:3], 0 offset:832
	buffer_store_dword v3, off, s[0:3], 0 offset:844
	buffer_store_dword v2, off, s[0:3], 0 offset:840
	ds_read2_b64 v[2:5], v16 offset0:106 offset1:107
	s_waitcnt lgkmcnt(0)
	v_mul_f64 v[12:13], v[4:5], v[10:11]
	v_fma_f64 v[12:13], v[2:3], v[0:1], -v[12:13]
	v_mul_f64 v[2:3], v[2:3], v[10:11]
	v_fma_f64 v[2:3], v[4:5], v[0:1], v[2:3]
	buffer_load_dword v4, off, s[0:3], 0 offset:848
	buffer_load_dword v5, off, s[0:3], 0 offset:852
	buffer_load_dword v20, off, s[0:3], 0 offset:856
	buffer_load_dword v21, off, s[0:3], 0 offset:860
	s_waitcnt vmcnt(2)
	v_add_f64 v[4:5], v[4:5], -v[12:13]
	;; [unrolled: 18-line block ×5, first 2 shown]
	s_waitcnt vmcnt(0)
	v_add_f64 v[0:1], v[4:5], -v[0:1]
	buffer_store_dword v3, off, s[0:3], 0 offset:900
	buffer_store_dword v2, off, s[0:3], 0 offset:896
	;; [unrolled: 1-line block ×4, first 2 shown]
	ds_read2_b64 v[10:13], v16 offset0:114 offset1:115
	buffer_load_dword v0, off, s[0:3], 0 offset:704
	buffer_load_dword v1, off, s[0:3], 0 offset:708
	;; [unrolled: 1-line block ×4, first 2 shown]
	s_waitcnt vmcnt(0) lgkmcnt(0)
	v_mul_f64 v[4:5], v[12:13], v[2:3]
	v_fma_f64 v[4:5], v[10:11], v[0:1], -v[4:5]
	v_mul_f64 v[10:11], v[10:11], v[2:3]
	v_fma_f64 v[10:11], v[12:13], v[0:1], v[10:11]
	buffer_load_dword v13, off, s[0:3], 0 offset:916
	buffer_load_dword v12, off, s[0:3], 0 offset:912
	s_waitcnt vmcnt(0)
	v_add_f64 v[4:5], v[12:13], -v[4:5]
	buffer_load_dword v13, off, s[0:3], 0 offset:924
	buffer_load_dword v12, off, s[0:3], 0 offset:920
	s_waitcnt vmcnt(0)
	v_add_f64 v[10:11], v[12:13], -v[10:11]
	buffer_store_dword v5, off, s[0:3], 0 offset:916
	buffer_store_dword v4, off, s[0:3], 0 offset:912
	buffer_store_dword v11, off, s[0:3], 0 offset:924
	buffer_store_dword v10, off, s[0:3], 0 offset:920
	ds_read2_b64 v[10:13], v16 offset0:116 offset1:117
	s_waitcnt lgkmcnt(0)
	v_mul_f64 v[4:5], v[12:13], v[2:3]
	v_fma_f64 v[4:5], v[10:11], v[0:1], -v[4:5]
	v_mul_f64 v[10:11], v[10:11], v[2:3]
	v_fma_f64 v[10:11], v[12:13], v[0:1], v[10:11]
	buffer_load_dword v12, off, s[0:3], 0 offset:928
	buffer_load_dword v13, off, s[0:3], 0 offset:932
	buffer_load_dword v20, off, s[0:3], 0 offset:936
	buffer_load_dword v21, off, s[0:3], 0 offset:940
	s_waitcnt vmcnt(2)
	v_add_f64 v[4:5], v[12:13], -v[4:5]
	s_waitcnt vmcnt(0)
	v_add_f64 v[10:11], v[20:21], -v[10:11]
	buffer_store_dword v5, off, s[0:3], 0 offset:932
	buffer_store_dword v4, off, s[0:3], 0 offset:928
	buffer_store_dword v11, off, s[0:3], 0 offset:940
	buffer_store_dword v10, off, s[0:3], 0 offset:936
	ds_read2_b64 v[10:13], v16 offset0:118 offset1:119
	s_waitcnt lgkmcnt(0)
	v_mul_f64 v[4:5], v[12:13], v[2:3]
	v_fma_f64 v[4:5], v[10:11], v[0:1], -v[4:5]
	v_mul_f64 v[10:11], v[10:11], v[2:3]
	v_fma_f64 v[10:11], v[12:13], v[0:1], v[10:11]
	buffer_load_dword v12, off, s[0:3], 0 offset:944
	buffer_load_dword v13, off, s[0:3], 0 offset:948
	buffer_load_dword v20, off, s[0:3], 0 offset:952
	buffer_load_dword v21, off, s[0:3], 0 offset:956
	s_waitcnt vmcnt(2)
	v_add_f64 v[4:5], v[12:13], -v[4:5]
	;; [unrolled: 18-line block ×3, first 2 shown]
	s_waitcnt vmcnt(0)
	v_add_f64 v[10:11], v[20:21], -v[10:11]
	buffer_store_dword v5, off, s[0:3], 0 offset:964
	buffer_store_dword v4, off, s[0:3], 0 offset:960
	;; [unrolled: 1-line block ×4, first 2 shown]
	ds_read2_b64 v[10:13], v16 offset0:122 offset1:123
	s_waitcnt lgkmcnt(0)
	v_mul_f64 v[4:5], v[12:13], v[2:3]
	v_mul_f64 v[2:3], v[10:11], v[2:3]
	v_fma_f64 v[4:5], v[10:11], v[0:1], -v[4:5]
	v_fma_f64 v[0:1], v[12:13], v[0:1], v[2:3]
	buffer_load_dword v2, off, s[0:3], 0 offset:976
	buffer_load_dword v3, off, s[0:3], 0 offset:980
	;; [unrolled: 1-line block ×4, first 2 shown]
	s_waitcnt vmcnt(2)
	v_add_f64 v[2:3], v[2:3], -v[4:5]
	s_waitcnt vmcnt(0)
	v_add_f64 v[0:1], v[10:11], -v[0:1]
	buffer_store_dword v3, off, s[0:3], 0 offset:980
	buffer_store_dword v2, off, s[0:3], 0 offset:976
	;; [unrolled: 1-line block ×4, first 2 shown]
.LBB122_1056:
	s_or_b64 exec, exec, s[4:5]
	v_mov_b32_e32 v3, s41
	s_waitcnt vmcnt(0)
	s_barrier
	buffer_load_dword v0, v3, s[0:3], 0 offen
	buffer_load_dword v1, v3, s[0:3], 0 offen offset:4
	buffer_load_dword v2, v3, s[0:3], 0 offen offset:8
	s_nop 0
	buffer_load_dword v3, v3, s[0:3], 0 offen offset:12
	v_lshl_add_u32 v4, v19, 4, v16
	s_cmp_lt_i32 s65, 47
	s_waitcnt vmcnt(0)
	ds_write2_b64 v4, v[0:1], v[2:3] offset1:1
	s_waitcnt lgkmcnt(0)
	s_barrier
	ds_read2_b64 v[0:3], v16 offset0:90 offset1:91
	v_mov_b32_e32 v4, 45
	s_cbranch_scc1 .LBB122_1059
; %bb.1057:
	v_add_u32_e32 v5, 0x2e0, v16
	s_mov_b32 s16, 46
	v_mov_b32_e32 v4, 45
.LBB122_1058:                           ; =>This Inner Loop Header: Depth=1
	s_waitcnt lgkmcnt(0)
	v_cmp_gt_f64_e32 vcc, 0, v[2:3]
	v_cmp_gt_f64_e64 s[4:5], 0, v[0:1]
	ds_read2_b64 v[10:13], v5 offset1:1
	v_xor_b32_e32 v21, 0x80000000, v1
	v_xor_b32_e32 v23, 0x80000000, v3
	v_mov_b32_e32 v20, v0
	v_mov_b32_e32 v22, v2
	s_waitcnt lgkmcnt(0)
	v_xor_b32_e32 v25, 0x80000000, v13
	v_cndmask_b32_e32 v23, v3, v23, vcc
	v_cndmask_b32_e64 v21, v1, v21, s[4:5]
	v_cmp_gt_f64_e32 vcc, 0, v[12:13]
	v_cmp_gt_f64_e64 s[4:5], 0, v[10:11]
	v_add_f64 v[20:21], v[20:21], v[22:23]
	v_xor_b32_e32 v23, 0x80000000, v11
	v_mov_b32_e32 v22, v10
	v_mov_b32_e32 v24, v12
	v_add_u32_e32 v5, 16, v5
	v_cndmask_b32_e32 v25, v13, v25, vcc
	v_cndmask_b32_e64 v23, v11, v23, s[4:5]
	v_add_f64 v[22:23], v[22:23], v[24:25]
	v_mov_b32_e32 v24, s16
	s_add_i32 s16, s16, 1
	s_cmp_lg_u32 s65, s16
	v_cmp_lt_f64_e32 vcc, v[20:21], v[22:23]
	v_cndmask_b32_e32 v1, v1, v11, vcc
	v_cndmask_b32_e32 v0, v0, v10, vcc
	v_cndmask_b32_e32 v3, v3, v13, vcc
	v_cndmask_b32_e32 v2, v2, v12, vcc
	v_cndmask_b32_e32 v4, v4, v24, vcc
	s_cbranch_scc1 .LBB122_1058
.LBB122_1059:
	s_waitcnt lgkmcnt(0)
	v_cmp_eq_f64_e32 vcc, 0, v[0:1]
	v_cmp_eq_f64_e64 s[4:5], 0, v[2:3]
	s_and_b64 s[4:5], vcc, s[4:5]
	s_and_saveexec_b64 s[16:17], s[4:5]
	s_xor_b64 s[4:5], exec, s[16:17]
; %bb.1060:
	v_cmp_ne_u32_e32 vcc, 0, v17
	v_cndmask_b32_e32 v17, 46, v17, vcc
; %bb.1061:
	s_andn2_saveexec_b64 s[4:5], s[4:5]
	s_cbranch_execz .LBB122_1067
; %bb.1062:
	v_cmp_ngt_f64_e64 s[16:17], |v[0:1]|, |v[2:3]|
	s_and_saveexec_b64 s[18:19], s[16:17]
	s_xor_b64 s[18:19], exec, s[18:19]
	s_cbranch_execz .LBB122_1064
; %bb.1063:
	v_div_scale_f64 v[10:11], s[16:17], v[2:3], v[2:3], v[0:1]
	v_rcp_f64_e32 v[12:13], v[10:11]
	v_fma_f64 v[20:21], -v[10:11], v[12:13], 1.0
	v_fma_f64 v[12:13], v[12:13], v[20:21], v[12:13]
	v_div_scale_f64 v[20:21], vcc, v[0:1], v[2:3], v[0:1]
	v_fma_f64 v[22:23], -v[10:11], v[12:13], 1.0
	v_fma_f64 v[12:13], v[12:13], v[22:23], v[12:13]
	v_mul_f64 v[22:23], v[20:21], v[12:13]
	v_fma_f64 v[10:11], -v[10:11], v[22:23], v[20:21]
	v_div_fmas_f64 v[10:11], v[10:11], v[12:13], v[22:23]
	v_div_fixup_f64 v[10:11], v[10:11], v[2:3], v[0:1]
	v_fma_f64 v[0:1], v[0:1], v[10:11], v[2:3]
	v_div_scale_f64 v[2:3], s[16:17], v[0:1], v[0:1], 1.0
	v_div_scale_f64 v[22:23], vcc, 1.0, v[0:1], 1.0
	v_rcp_f64_e32 v[12:13], v[2:3]
	v_fma_f64 v[20:21], -v[2:3], v[12:13], 1.0
	v_fma_f64 v[12:13], v[12:13], v[20:21], v[12:13]
	v_fma_f64 v[20:21], -v[2:3], v[12:13], 1.0
	v_fma_f64 v[12:13], v[12:13], v[20:21], v[12:13]
	v_mul_f64 v[20:21], v[22:23], v[12:13]
	v_fma_f64 v[2:3], -v[2:3], v[20:21], v[22:23]
	v_div_fmas_f64 v[2:3], v[2:3], v[12:13], v[20:21]
	v_div_fixup_f64 v[2:3], v[2:3], v[0:1], 1.0
	v_mul_f64 v[0:1], v[10:11], v[2:3]
	v_xor_b32_e32 v3, 0x80000000, v3
.LBB122_1064:
	s_andn2_saveexec_b64 s[18:19], s[18:19]
	s_cbranch_execz .LBB122_1066
; %bb.1065:
	v_div_scale_f64 v[10:11], s[16:17], v[0:1], v[0:1], v[2:3]
	v_rcp_f64_e32 v[12:13], v[10:11]
	v_fma_f64 v[20:21], -v[10:11], v[12:13], 1.0
	v_fma_f64 v[12:13], v[12:13], v[20:21], v[12:13]
	v_div_scale_f64 v[20:21], vcc, v[2:3], v[0:1], v[2:3]
	v_fma_f64 v[22:23], -v[10:11], v[12:13], 1.0
	v_fma_f64 v[12:13], v[12:13], v[22:23], v[12:13]
	v_mul_f64 v[22:23], v[20:21], v[12:13]
	v_fma_f64 v[10:11], -v[10:11], v[22:23], v[20:21]
	v_div_fmas_f64 v[10:11], v[10:11], v[12:13], v[22:23]
	v_div_fixup_f64 v[10:11], v[10:11], v[0:1], v[2:3]
	v_fma_f64 v[0:1], v[2:3], v[10:11], v[0:1]
	v_div_scale_f64 v[2:3], s[16:17], v[0:1], v[0:1], 1.0
	v_div_scale_f64 v[22:23], vcc, 1.0, v[0:1], 1.0
	v_rcp_f64_e32 v[12:13], v[2:3]
	v_fma_f64 v[20:21], -v[2:3], v[12:13], 1.0
	v_fma_f64 v[12:13], v[12:13], v[20:21], v[12:13]
	v_fma_f64 v[20:21], -v[2:3], v[12:13], 1.0
	v_fma_f64 v[12:13], v[12:13], v[20:21], v[12:13]
	v_mul_f64 v[20:21], v[22:23], v[12:13]
	v_fma_f64 v[2:3], -v[2:3], v[20:21], v[22:23]
	v_div_fmas_f64 v[2:3], v[2:3], v[12:13], v[20:21]
	v_div_fixup_f64 v[0:1], v[2:3], v[0:1], 1.0
	v_mul_f64 v[2:3], v[10:11], -v[0:1]
.LBB122_1066:
	s_or_b64 exec, exec, s[18:19]
.LBB122_1067:
	s_or_b64 exec, exec, s[4:5]
	v_cmp_ne_u32_e32 vcc, v19, v4
	s_and_saveexec_b64 s[4:5], vcc
	s_xor_b64 s[4:5], exec, s[4:5]
	s_cbranch_execz .LBB122_1073
; %bb.1068:
	v_cmp_eq_u32_e32 vcc, 45, v19
	s_and_saveexec_b64 s[18:19], vcc
	s_cbranch_execz .LBB122_1072
; %bb.1069:
	v_cmp_ne_u32_e32 vcc, 45, v4
	s_xor_b64 s[16:17], s[22:23], -1
	s_and_b64 s[16:17], s[16:17], vcc
	s_and_saveexec_b64 s[24:25], s[16:17]
	s_cbranch_execz .LBB122_1071
; %bb.1070:
	v_ashrrev_i32_e32 v5, 31, v4
	v_lshlrev_b64 v[10:11], 2, v[4:5]
	v_add_co_u32_e32 v10, vcc, v8, v10
	v_addc_co_u32_e32 v11, vcc, v9, v11, vcc
	global_load_dword v5, v[10:11], off
	global_load_dword v12, v[8:9], off offset:180
	s_waitcnt vmcnt(1)
	global_store_dword v[8:9], v5, off offset:180
	s_waitcnt vmcnt(1)
	global_store_dword v[10:11], v12, off
.LBB122_1071:
	s_or_b64 exec, exec, s[24:25]
	v_mov_b32_e32 v19, v4
	v_mov_b32_e32 v18, v4
.LBB122_1072:
	s_or_b64 exec, exec, s[18:19]
.LBB122_1073:
	s_andn2_saveexec_b64 s[4:5], s[4:5]
	s_cbranch_execz .LBB122_1075
; %bb.1074:
	v_mov_b32_e32 v11, s40
	buffer_load_dword v4, v11, s[0:3], 0 offen
	buffer_load_dword v5, v11, s[0:3], 0 offen offset:4
	buffer_load_dword v10, v11, s[0:3], 0 offen offset:8
	s_nop 0
	buffer_load_dword v11, v11, s[0:3], 0 offen offset:12
	v_mov_b32_e32 v19, 45
	s_waitcnt vmcnt(0)
	ds_write2_b64 v16, v[4:5], v[10:11] offset0:92 offset1:93
	v_mov_b32_e32 v11, s39
	buffer_load_dword v4, v11, s[0:3], 0 offen
	buffer_load_dword v5, v11, s[0:3], 0 offen offset:4
	buffer_load_dword v10, v11, s[0:3], 0 offen offset:8
	s_nop 0
	buffer_load_dword v11, v11, s[0:3], 0 offen offset:12
	s_waitcnt vmcnt(0)
	ds_write2_b64 v16, v[4:5], v[10:11] offset0:94 offset1:95
	v_mov_b32_e32 v11, s38
	buffer_load_dword v4, v11, s[0:3], 0 offen
	buffer_load_dword v5, v11, s[0:3], 0 offen offset:4
	buffer_load_dword v10, v11, s[0:3], 0 offen offset:8
	s_nop 0
	buffer_load_dword v11, v11, s[0:3], 0 offen offset:12
	;; [unrolled: 8-line block ×15, first 2 shown]
	s_waitcnt vmcnt(0)
	ds_write2_b64 v16, v[4:5], v[10:11] offset0:122 offset1:123
.LBB122_1075:
	s_or_b64 exec, exec, s[4:5]
	v_cmp_lt_i32_e32 vcc, 45, v19
	s_waitcnt vmcnt(0) lgkmcnt(0)
	s_barrier
	s_and_saveexec_b64 s[4:5], vcc
	s_cbranch_execz .LBB122_1077
; %bb.1076:
	buffer_load_dword v10, off, s[0:3], 0 offset:720
	buffer_load_dword v11, off, s[0:3], 0 offset:724
	;; [unrolled: 1-line block ×16, first 2 shown]
	s_waitcnt vmcnt(12)
	v_mul_f64 v[4:5], v[2:3], v[12:13]
	v_fma_f64 v[4:5], v[0:1], v[10:11], -v[4:5]
	v_mul_f64 v[0:1], v[0:1], v[12:13]
	v_fma_f64 v[10:11], v[2:3], v[10:11], v[0:1]
	buffer_store_dword v4, off, s[0:3], 0 offset:720
	buffer_store_dword v5, off, s[0:3], 0 offset:724
	buffer_store_dword v10, off, s[0:3], 0 offset:728
	buffer_store_dword v11, off, s[0:3], 0 offset:732
	ds_read2_b64 v[0:3], v16 offset0:92 offset1:93
	s_waitcnt lgkmcnt(0)
	v_mul_f64 v[12:13], v[2:3], v[10:11]
	v_fma_f64 v[12:13], v[0:1], v[4:5], -v[12:13]
	v_mul_f64 v[0:1], v[0:1], v[10:11]
	v_fma_f64 v[0:1], v[2:3], v[4:5], v[0:1]
	s_waitcnt vmcnt(14)
	v_add_f64 v[2:3], v[20:21], -v[12:13]
	s_waitcnt vmcnt(12)
	v_add_f64 v[0:1], v[22:23], -v[0:1]
	buffer_store_dword v2, off, s[0:3], 0 offset:736
	buffer_store_dword v3, off, s[0:3], 0 offset:740
	buffer_store_dword v0, off, s[0:3], 0 offset:744
	buffer_store_dword v1, off, s[0:3], 0 offset:748
	ds_read2_b64 v[0:3], v16 offset0:94 offset1:95
	s_waitcnt lgkmcnt(0)
	v_mul_f64 v[12:13], v[2:3], v[10:11]
	v_fma_f64 v[12:13], v[0:1], v[4:5], -v[12:13]
	v_mul_f64 v[0:1], v[0:1], v[10:11]
	v_fma_f64 v[0:1], v[2:3], v[4:5], v[0:1]
	s_waitcnt vmcnt(14)
	v_add_f64 v[2:3], v[24:25], -v[12:13]
	s_waitcnt vmcnt(12)
	v_add_f64 v[0:1], v[26:27], -v[0:1]
	buffer_store_dword v2, off, s[0:3], 0 offset:752
	buffer_store_dword v3, off, s[0:3], 0 offset:756
	buffer_store_dword v0, off, s[0:3], 0 offset:760
	buffer_store_dword v1, off, s[0:3], 0 offset:764
	ds_read2_b64 v[0:3], v16 offset0:96 offset1:97
	s_waitcnt lgkmcnt(0)
	v_mul_f64 v[12:13], v[2:3], v[10:11]
	v_fma_f64 v[12:13], v[0:1], v[4:5], -v[12:13]
	v_mul_f64 v[0:1], v[0:1], v[10:11]
	v_fma_f64 v[0:1], v[2:3], v[4:5], v[0:1]
	s_waitcnt vmcnt(14)
	v_add_f64 v[2:3], v[28:29], -v[12:13]
	s_waitcnt vmcnt(12)
	v_add_f64 v[0:1], v[30:31], -v[0:1]
	buffer_store_dword v3, off, s[0:3], 0 offset:772
	buffer_store_dword v2, off, s[0:3], 0 offset:768
	buffer_store_dword v0, off, s[0:3], 0 offset:776
	buffer_store_dword v1, off, s[0:3], 0 offset:780
	ds_read2_b64 v[0:3], v16 offset0:98 offset1:99
	s_waitcnt lgkmcnt(0)
	v_mul_f64 v[12:13], v[2:3], v[10:11]
	v_fma_f64 v[12:13], v[0:1], v[4:5], -v[12:13]
	v_mul_f64 v[0:1], v[0:1], v[10:11]
	v_fma_f64 v[0:1], v[2:3], v[4:5], v[0:1]
	buffer_load_dword v2, off, s[0:3], 0 offset:784
	buffer_load_dword v3, off, s[0:3], 0 offset:788
	buffer_load_dword v20, off, s[0:3], 0 offset:792
	buffer_load_dword v21, off, s[0:3], 0 offset:796
	s_waitcnt vmcnt(2)
	v_add_f64 v[2:3], v[2:3], -v[12:13]
	s_waitcnt vmcnt(0)
	v_add_f64 v[0:1], v[20:21], -v[0:1]
	buffer_store_dword v3, off, s[0:3], 0 offset:788
	buffer_store_dword v2, off, s[0:3], 0 offset:784
	buffer_store_dword v1, off, s[0:3], 0 offset:796
	buffer_store_dword v0, off, s[0:3], 0 offset:792
	ds_read2_b64 v[0:3], v16 offset0:100 offset1:101
	s_waitcnt lgkmcnt(0)
	v_mul_f64 v[12:13], v[2:3], v[10:11]
	v_fma_f64 v[12:13], v[0:1], v[4:5], -v[12:13]
	v_mul_f64 v[0:1], v[0:1], v[10:11]
	v_fma_f64 v[0:1], v[2:3], v[4:5], v[0:1]
	buffer_load_dword v2, off, s[0:3], 0 offset:800
	buffer_load_dword v3, off, s[0:3], 0 offset:804
	buffer_load_dword v20, off, s[0:3], 0 offset:808
	buffer_load_dword v21, off, s[0:3], 0 offset:812
	s_waitcnt vmcnt(2)
	v_add_f64 v[2:3], v[2:3], -v[12:13]
	s_waitcnt vmcnt(0)
	v_add_f64 v[0:1], v[20:21], -v[0:1]
	;; [unrolled: 18-line block ×3, first 2 shown]
	buffer_store_dword v3, off, s[0:3], 0 offset:820
	buffer_store_dword v2, off, s[0:3], 0 offset:816
	;; [unrolled: 1-line block ×4, first 2 shown]
	ds_read2_b64 v[2:5], v16 offset0:104 offset1:105
	buffer_load_dword v0, off, s[0:3], 0 offset:720
	buffer_load_dword v1, off, s[0:3], 0 offset:724
	;; [unrolled: 1-line block ×4, first 2 shown]
	s_waitcnt vmcnt(0) lgkmcnt(0)
	v_mul_f64 v[12:13], v[4:5], v[10:11]
	v_fma_f64 v[12:13], v[2:3], v[0:1], -v[12:13]
	v_mul_f64 v[2:3], v[2:3], v[10:11]
	v_fma_f64 v[2:3], v[4:5], v[0:1], v[2:3]
	buffer_load_dword v5, off, s[0:3], 0 offset:836
	buffer_load_dword v4, off, s[0:3], 0 offset:832
	s_waitcnt vmcnt(0)
	v_add_f64 v[4:5], v[4:5], -v[12:13]
	buffer_load_dword v13, off, s[0:3], 0 offset:844
	buffer_load_dword v12, off, s[0:3], 0 offset:840
	s_waitcnt vmcnt(0)
	v_add_f64 v[2:3], v[12:13], -v[2:3]
	buffer_store_dword v5, off, s[0:3], 0 offset:836
	buffer_store_dword v4, off, s[0:3], 0 offset:832
	buffer_store_dword v3, off, s[0:3], 0 offset:844
	buffer_store_dword v2, off, s[0:3], 0 offset:840
	ds_read2_b64 v[2:5], v16 offset0:106 offset1:107
	s_waitcnt lgkmcnt(0)
	v_mul_f64 v[12:13], v[4:5], v[10:11]
	v_fma_f64 v[12:13], v[2:3], v[0:1], -v[12:13]
	v_mul_f64 v[2:3], v[2:3], v[10:11]
	v_fma_f64 v[2:3], v[4:5], v[0:1], v[2:3]
	buffer_load_dword v4, off, s[0:3], 0 offset:848
	buffer_load_dword v5, off, s[0:3], 0 offset:852
	buffer_load_dword v20, off, s[0:3], 0 offset:856
	buffer_load_dword v21, off, s[0:3], 0 offset:860
	s_waitcnt vmcnt(2)
	v_add_f64 v[4:5], v[4:5], -v[12:13]
	s_waitcnt vmcnt(0)
	v_add_f64 v[2:3], v[20:21], -v[2:3]
	buffer_store_dword v5, off, s[0:3], 0 offset:852
	buffer_store_dword v4, off, s[0:3], 0 offset:848
	buffer_store_dword v3, off, s[0:3], 0 offset:860
	buffer_store_dword v2, off, s[0:3], 0 offset:856
	ds_read2_b64 v[2:5], v16 offset0:108 offset1:109
	s_waitcnt lgkmcnt(0)
	v_mul_f64 v[12:13], v[4:5], v[10:11]
	v_fma_f64 v[12:13], v[2:3], v[0:1], -v[12:13]
	v_mul_f64 v[2:3], v[2:3], v[10:11]
	v_fma_f64 v[2:3], v[4:5], v[0:1], v[2:3]
	buffer_load_dword v4, off, s[0:3], 0 offset:864
	buffer_load_dword v5, off, s[0:3], 0 offset:868
	buffer_load_dword v20, off, s[0:3], 0 offset:872
	buffer_load_dword v21, off, s[0:3], 0 offset:876
	s_waitcnt vmcnt(2)
	v_add_f64 v[4:5], v[4:5], -v[12:13]
	;; [unrolled: 18-line block ×5, first 2 shown]
	s_waitcnt vmcnt(0)
	v_add_f64 v[0:1], v[4:5], -v[0:1]
	buffer_store_dword v3, off, s[0:3], 0 offset:916
	buffer_store_dword v2, off, s[0:3], 0 offset:912
	;; [unrolled: 1-line block ×4, first 2 shown]
	ds_read2_b64 v[10:13], v16 offset0:116 offset1:117
	buffer_load_dword v0, off, s[0:3], 0 offset:720
	buffer_load_dword v1, off, s[0:3], 0 offset:724
	;; [unrolled: 1-line block ×4, first 2 shown]
	s_waitcnt vmcnt(0) lgkmcnt(0)
	v_mul_f64 v[4:5], v[12:13], v[2:3]
	v_fma_f64 v[4:5], v[10:11], v[0:1], -v[4:5]
	v_mul_f64 v[10:11], v[10:11], v[2:3]
	v_fma_f64 v[10:11], v[12:13], v[0:1], v[10:11]
	buffer_load_dword v13, off, s[0:3], 0 offset:932
	buffer_load_dword v12, off, s[0:3], 0 offset:928
	s_waitcnt vmcnt(0)
	v_add_f64 v[4:5], v[12:13], -v[4:5]
	buffer_load_dword v13, off, s[0:3], 0 offset:940
	buffer_load_dword v12, off, s[0:3], 0 offset:936
	s_waitcnt vmcnt(0)
	v_add_f64 v[10:11], v[12:13], -v[10:11]
	buffer_store_dword v5, off, s[0:3], 0 offset:932
	buffer_store_dword v4, off, s[0:3], 0 offset:928
	;; [unrolled: 1-line block ×4, first 2 shown]
	ds_read2_b64 v[10:13], v16 offset0:118 offset1:119
	s_waitcnt lgkmcnt(0)
	v_mul_f64 v[4:5], v[12:13], v[2:3]
	v_fma_f64 v[4:5], v[10:11], v[0:1], -v[4:5]
	v_mul_f64 v[10:11], v[10:11], v[2:3]
	v_fma_f64 v[10:11], v[12:13], v[0:1], v[10:11]
	buffer_load_dword v12, off, s[0:3], 0 offset:944
	buffer_load_dword v13, off, s[0:3], 0 offset:948
	;; [unrolled: 1-line block ×4, first 2 shown]
	s_waitcnt vmcnt(2)
	v_add_f64 v[4:5], v[12:13], -v[4:5]
	s_waitcnt vmcnt(0)
	v_add_f64 v[10:11], v[20:21], -v[10:11]
	buffer_store_dword v5, off, s[0:3], 0 offset:948
	buffer_store_dword v4, off, s[0:3], 0 offset:944
	;; [unrolled: 1-line block ×4, first 2 shown]
	ds_read2_b64 v[10:13], v16 offset0:120 offset1:121
	s_waitcnt lgkmcnt(0)
	v_mul_f64 v[4:5], v[12:13], v[2:3]
	v_fma_f64 v[4:5], v[10:11], v[0:1], -v[4:5]
	v_mul_f64 v[10:11], v[10:11], v[2:3]
	v_fma_f64 v[10:11], v[12:13], v[0:1], v[10:11]
	buffer_load_dword v12, off, s[0:3], 0 offset:960
	buffer_load_dword v13, off, s[0:3], 0 offset:964
	;; [unrolled: 1-line block ×4, first 2 shown]
	s_waitcnt vmcnt(2)
	v_add_f64 v[4:5], v[12:13], -v[4:5]
	s_waitcnt vmcnt(0)
	v_add_f64 v[10:11], v[20:21], -v[10:11]
	buffer_store_dword v5, off, s[0:3], 0 offset:964
	buffer_store_dword v4, off, s[0:3], 0 offset:960
	;; [unrolled: 1-line block ×4, first 2 shown]
	ds_read2_b64 v[10:13], v16 offset0:122 offset1:123
	s_waitcnt lgkmcnt(0)
	v_mul_f64 v[4:5], v[12:13], v[2:3]
	v_mul_f64 v[2:3], v[10:11], v[2:3]
	v_fma_f64 v[4:5], v[10:11], v[0:1], -v[4:5]
	v_fma_f64 v[0:1], v[12:13], v[0:1], v[2:3]
	buffer_load_dword v2, off, s[0:3], 0 offset:976
	buffer_load_dword v3, off, s[0:3], 0 offset:980
	;; [unrolled: 1-line block ×4, first 2 shown]
	s_waitcnt vmcnt(2)
	v_add_f64 v[2:3], v[2:3], -v[4:5]
	s_waitcnt vmcnt(0)
	v_add_f64 v[0:1], v[10:11], -v[0:1]
	buffer_store_dword v3, off, s[0:3], 0 offset:980
	buffer_store_dword v2, off, s[0:3], 0 offset:976
	;; [unrolled: 1-line block ×4, first 2 shown]
.LBB122_1077:
	s_or_b64 exec, exec, s[4:5]
	v_mov_b32_e32 v3, s40
	s_waitcnt vmcnt(0)
	s_barrier
	buffer_load_dword v0, v3, s[0:3], 0 offen
	buffer_load_dword v1, v3, s[0:3], 0 offen offset:4
	buffer_load_dword v2, v3, s[0:3], 0 offen offset:8
	s_nop 0
	buffer_load_dword v3, v3, s[0:3], 0 offen offset:12
	v_lshl_add_u32 v4, v19, 4, v16
	s_cmp_lt_i32 s65, 48
	s_waitcnt vmcnt(0)
	ds_write2_b64 v4, v[0:1], v[2:3] offset1:1
	s_waitcnt lgkmcnt(0)
	s_barrier
	ds_read2_b64 v[0:3], v16 offset0:92 offset1:93
	v_mov_b32_e32 v4, 46
	s_cbranch_scc1 .LBB122_1080
; %bb.1078:
	v_add_u32_e32 v5, 0x2f0, v16
	s_mov_b32 s16, 47
	v_mov_b32_e32 v4, 46
.LBB122_1079:                           ; =>This Inner Loop Header: Depth=1
	s_waitcnt lgkmcnt(0)
	v_cmp_gt_f64_e32 vcc, 0, v[2:3]
	v_cmp_gt_f64_e64 s[4:5], 0, v[0:1]
	ds_read2_b64 v[10:13], v5 offset1:1
	v_xor_b32_e32 v21, 0x80000000, v1
	v_xor_b32_e32 v23, 0x80000000, v3
	v_mov_b32_e32 v20, v0
	v_mov_b32_e32 v22, v2
	s_waitcnt lgkmcnt(0)
	v_xor_b32_e32 v25, 0x80000000, v13
	v_cndmask_b32_e32 v23, v3, v23, vcc
	v_cndmask_b32_e64 v21, v1, v21, s[4:5]
	v_cmp_gt_f64_e32 vcc, 0, v[12:13]
	v_cmp_gt_f64_e64 s[4:5], 0, v[10:11]
	v_add_f64 v[20:21], v[20:21], v[22:23]
	v_xor_b32_e32 v23, 0x80000000, v11
	v_mov_b32_e32 v22, v10
	v_mov_b32_e32 v24, v12
	v_add_u32_e32 v5, 16, v5
	v_cndmask_b32_e32 v25, v13, v25, vcc
	v_cndmask_b32_e64 v23, v11, v23, s[4:5]
	v_add_f64 v[22:23], v[22:23], v[24:25]
	v_mov_b32_e32 v24, s16
	s_add_i32 s16, s16, 1
	s_cmp_lg_u32 s65, s16
	v_cmp_lt_f64_e32 vcc, v[20:21], v[22:23]
	v_cndmask_b32_e32 v1, v1, v11, vcc
	v_cndmask_b32_e32 v0, v0, v10, vcc
	;; [unrolled: 1-line block ×5, first 2 shown]
	s_cbranch_scc1 .LBB122_1079
.LBB122_1080:
	s_waitcnt lgkmcnt(0)
	v_cmp_eq_f64_e32 vcc, 0, v[0:1]
	v_cmp_eq_f64_e64 s[4:5], 0, v[2:3]
	s_and_b64 s[4:5], vcc, s[4:5]
	s_and_saveexec_b64 s[16:17], s[4:5]
	s_xor_b64 s[4:5], exec, s[16:17]
; %bb.1081:
	v_cmp_ne_u32_e32 vcc, 0, v17
	v_cndmask_b32_e32 v17, 47, v17, vcc
; %bb.1082:
	s_andn2_saveexec_b64 s[4:5], s[4:5]
	s_cbranch_execz .LBB122_1088
; %bb.1083:
	v_cmp_ngt_f64_e64 s[16:17], |v[0:1]|, |v[2:3]|
	s_and_saveexec_b64 s[18:19], s[16:17]
	s_xor_b64 s[18:19], exec, s[18:19]
	s_cbranch_execz .LBB122_1085
; %bb.1084:
	v_div_scale_f64 v[10:11], s[16:17], v[2:3], v[2:3], v[0:1]
	v_rcp_f64_e32 v[12:13], v[10:11]
	v_fma_f64 v[20:21], -v[10:11], v[12:13], 1.0
	v_fma_f64 v[12:13], v[12:13], v[20:21], v[12:13]
	v_div_scale_f64 v[20:21], vcc, v[0:1], v[2:3], v[0:1]
	v_fma_f64 v[22:23], -v[10:11], v[12:13], 1.0
	v_fma_f64 v[12:13], v[12:13], v[22:23], v[12:13]
	v_mul_f64 v[22:23], v[20:21], v[12:13]
	v_fma_f64 v[10:11], -v[10:11], v[22:23], v[20:21]
	v_div_fmas_f64 v[10:11], v[10:11], v[12:13], v[22:23]
	v_div_fixup_f64 v[10:11], v[10:11], v[2:3], v[0:1]
	v_fma_f64 v[0:1], v[0:1], v[10:11], v[2:3]
	v_div_scale_f64 v[2:3], s[16:17], v[0:1], v[0:1], 1.0
	v_div_scale_f64 v[22:23], vcc, 1.0, v[0:1], 1.0
	v_rcp_f64_e32 v[12:13], v[2:3]
	v_fma_f64 v[20:21], -v[2:3], v[12:13], 1.0
	v_fma_f64 v[12:13], v[12:13], v[20:21], v[12:13]
	v_fma_f64 v[20:21], -v[2:3], v[12:13], 1.0
	v_fma_f64 v[12:13], v[12:13], v[20:21], v[12:13]
	v_mul_f64 v[20:21], v[22:23], v[12:13]
	v_fma_f64 v[2:3], -v[2:3], v[20:21], v[22:23]
	v_div_fmas_f64 v[2:3], v[2:3], v[12:13], v[20:21]
	v_div_fixup_f64 v[2:3], v[2:3], v[0:1], 1.0
	v_mul_f64 v[0:1], v[10:11], v[2:3]
	v_xor_b32_e32 v3, 0x80000000, v3
.LBB122_1085:
	s_andn2_saveexec_b64 s[18:19], s[18:19]
	s_cbranch_execz .LBB122_1087
; %bb.1086:
	v_div_scale_f64 v[10:11], s[16:17], v[0:1], v[0:1], v[2:3]
	v_rcp_f64_e32 v[12:13], v[10:11]
	v_fma_f64 v[20:21], -v[10:11], v[12:13], 1.0
	v_fma_f64 v[12:13], v[12:13], v[20:21], v[12:13]
	v_div_scale_f64 v[20:21], vcc, v[2:3], v[0:1], v[2:3]
	v_fma_f64 v[22:23], -v[10:11], v[12:13], 1.0
	v_fma_f64 v[12:13], v[12:13], v[22:23], v[12:13]
	v_mul_f64 v[22:23], v[20:21], v[12:13]
	v_fma_f64 v[10:11], -v[10:11], v[22:23], v[20:21]
	v_div_fmas_f64 v[10:11], v[10:11], v[12:13], v[22:23]
	v_div_fixup_f64 v[10:11], v[10:11], v[0:1], v[2:3]
	v_fma_f64 v[0:1], v[2:3], v[10:11], v[0:1]
	v_div_scale_f64 v[2:3], s[16:17], v[0:1], v[0:1], 1.0
	v_div_scale_f64 v[22:23], vcc, 1.0, v[0:1], 1.0
	v_rcp_f64_e32 v[12:13], v[2:3]
	v_fma_f64 v[20:21], -v[2:3], v[12:13], 1.0
	v_fma_f64 v[12:13], v[12:13], v[20:21], v[12:13]
	v_fma_f64 v[20:21], -v[2:3], v[12:13], 1.0
	v_fma_f64 v[12:13], v[12:13], v[20:21], v[12:13]
	v_mul_f64 v[20:21], v[22:23], v[12:13]
	v_fma_f64 v[2:3], -v[2:3], v[20:21], v[22:23]
	v_div_fmas_f64 v[2:3], v[2:3], v[12:13], v[20:21]
	v_div_fixup_f64 v[0:1], v[2:3], v[0:1], 1.0
	v_mul_f64 v[2:3], v[10:11], -v[0:1]
.LBB122_1087:
	s_or_b64 exec, exec, s[18:19]
.LBB122_1088:
	s_or_b64 exec, exec, s[4:5]
	v_cmp_ne_u32_e32 vcc, v19, v4
	s_and_saveexec_b64 s[4:5], vcc
	s_xor_b64 s[4:5], exec, s[4:5]
	s_cbranch_execz .LBB122_1094
; %bb.1089:
	v_cmp_eq_u32_e32 vcc, 46, v19
	s_and_saveexec_b64 s[18:19], vcc
	s_cbranch_execz .LBB122_1093
; %bb.1090:
	v_cmp_ne_u32_e32 vcc, 46, v4
	s_xor_b64 s[16:17], s[22:23], -1
	s_and_b64 s[16:17], s[16:17], vcc
	s_and_saveexec_b64 s[24:25], s[16:17]
	s_cbranch_execz .LBB122_1092
; %bb.1091:
	v_ashrrev_i32_e32 v5, 31, v4
	v_lshlrev_b64 v[10:11], 2, v[4:5]
	v_add_co_u32_e32 v10, vcc, v8, v10
	v_addc_co_u32_e32 v11, vcc, v9, v11, vcc
	global_load_dword v5, v[10:11], off
	global_load_dword v12, v[8:9], off offset:184
	s_waitcnt vmcnt(1)
	global_store_dword v[8:9], v5, off offset:184
	s_waitcnt vmcnt(1)
	global_store_dword v[10:11], v12, off
.LBB122_1092:
	s_or_b64 exec, exec, s[24:25]
	v_mov_b32_e32 v19, v4
	v_mov_b32_e32 v18, v4
.LBB122_1093:
	s_or_b64 exec, exec, s[18:19]
.LBB122_1094:
	s_andn2_saveexec_b64 s[4:5], s[4:5]
	s_cbranch_execz .LBB122_1096
; %bb.1095:
	v_mov_b32_e32 v11, s39
	buffer_load_dword v4, v11, s[0:3], 0 offen
	buffer_load_dword v5, v11, s[0:3], 0 offen offset:4
	buffer_load_dword v10, v11, s[0:3], 0 offen offset:8
	s_nop 0
	buffer_load_dword v11, v11, s[0:3], 0 offen offset:12
	v_mov_b32_e32 v19, 46
	s_waitcnt vmcnt(0)
	ds_write2_b64 v16, v[4:5], v[10:11] offset0:94 offset1:95
	v_mov_b32_e32 v11, s38
	buffer_load_dword v4, v11, s[0:3], 0 offen
	buffer_load_dword v5, v11, s[0:3], 0 offen offset:4
	buffer_load_dword v10, v11, s[0:3], 0 offen offset:8
	s_nop 0
	buffer_load_dword v11, v11, s[0:3], 0 offen offset:12
	s_waitcnt vmcnt(0)
	ds_write2_b64 v16, v[4:5], v[10:11] offset0:96 offset1:97
	v_mov_b32_e32 v11, s37
	buffer_load_dword v4, v11, s[0:3], 0 offen
	buffer_load_dword v5, v11, s[0:3], 0 offen offset:4
	buffer_load_dword v10, v11, s[0:3], 0 offen offset:8
	s_nop 0
	buffer_load_dword v11, v11, s[0:3], 0 offen offset:12
	;; [unrolled: 8-line block ×14, first 2 shown]
	s_waitcnt vmcnt(0)
	ds_write2_b64 v16, v[4:5], v[10:11] offset0:122 offset1:123
.LBB122_1096:
	s_or_b64 exec, exec, s[4:5]
	v_cmp_lt_i32_e32 vcc, 46, v19
	s_waitcnt vmcnt(0) lgkmcnt(0)
	s_barrier
	s_and_saveexec_b64 s[4:5], vcc
	s_cbranch_execz .LBB122_1098
; %bb.1097:
	buffer_load_dword v4, off, s[0:3], 0 offset:736
	buffer_load_dword v5, off, s[0:3], 0 offset:740
	;; [unrolled: 1-line block ×16, first 2 shown]
	s_waitcnt vmcnt(12)
	v_mul_f64 v[30:31], v[2:3], v[10:11]
	v_fma_f64 v[30:31], v[0:1], v[4:5], -v[30:31]
	v_mul_f64 v[0:1], v[0:1], v[10:11]
	v_fma_f64 v[4:5], v[2:3], v[4:5], v[0:1]
	buffer_store_dword v30, off, s[0:3], 0 offset:736
	buffer_store_dword v31, off, s[0:3], 0 offset:740
	buffer_store_dword v4, off, s[0:3], 0 offset:744
	buffer_store_dword v5, off, s[0:3], 0 offset:748
	ds_read2_b64 v[0:3], v16 offset0:94 offset1:95
	s_waitcnt lgkmcnt(0)
	v_mul_f64 v[10:11], v[2:3], v[4:5]
	v_fma_f64 v[10:11], v[0:1], v[30:31], -v[10:11]
	v_mul_f64 v[0:1], v[0:1], v[4:5]
	v_fma_f64 v[0:1], v[2:3], v[30:31], v[0:1]
	s_waitcnt vmcnt(14)
	v_add_f64 v[2:3], v[12:13], -v[10:11]
	s_waitcnt vmcnt(12)
	v_add_f64 v[0:1], v[20:21], -v[0:1]
	buffer_store_dword v2, off, s[0:3], 0 offset:752
	buffer_store_dword v3, off, s[0:3], 0 offset:756
	buffer_store_dword v0, off, s[0:3], 0 offset:760
	buffer_store_dword v1, off, s[0:3], 0 offset:764
	ds_read2_b64 v[0:3], v16 offset0:96 offset1:97
	s_waitcnt lgkmcnt(0)
	v_mul_f64 v[10:11], v[2:3], v[4:5]
	v_fma_f64 v[10:11], v[0:1], v[30:31], -v[10:11]
	v_mul_f64 v[0:1], v[0:1], v[4:5]
	v_fma_f64 v[0:1], v[2:3], v[30:31], v[0:1]
	s_waitcnt vmcnt(14)
	v_add_f64 v[2:3], v[22:23], -v[10:11]
	s_waitcnt vmcnt(12)
	v_add_f64 v[0:1], v[24:25], -v[0:1]
	;; [unrolled: 14-line block ×3, first 2 shown]
	buffer_store_dword v3, off, s[0:3], 0 offset:788
	buffer_store_dword v2, off, s[0:3], 0 offset:784
	buffer_store_dword v0, off, s[0:3], 0 offset:792
	buffer_store_dword v1, off, s[0:3], 0 offset:796
	ds_read2_b64 v[0:3], v16 offset0:100 offset1:101
	s_waitcnt lgkmcnt(0)
	v_mul_f64 v[10:11], v[2:3], v[4:5]
	v_fma_f64 v[10:11], v[0:1], v[30:31], -v[10:11]
	v_mul_f64 v[0:1], v[0:1], v[4:5]
	v_fma_f64 v[0:1], v[2:3], v[30:31], v[0:1]
	buffer_load_dword v2, off, s[0:3], 0 offset:800
	buffer_load_dword v3, off, s[0:3], 0 offset:804
	buffer_load_dword v12, off, s[0:3], 0 offset:808
	buffer_load_dword v13, off, s[0:3], 0 offset:812
	s_waitcnt vmcnt(2)
	v_add_f64 v[2:3], v[2:3], -v[10:11]
	s_waitcnt vmcnt(0)
	v_add_f64 v[0:1], v[12:13], -v[0:1]
	buffer_store_dword v3, off, s[0:3], 0 offset:804
	buffer_store_dword v2, off, s[0:3], 0 offset:800
	buffer_store_dword v1, off, s[0:3], 0 offset:812
	buffer_store_dword v0, off, s[0:3], 0 offset:808
	ds_read2_b64 v[0:3], v16 offset0:102 offset1:103
	s_waitcnt lgkmcnt(0)
	v_mul_f64 v[10:11], v[2:3], v[4:5]
	v_fma_f64 v[10:11], v[0:1], v[30:31], -v[10:11]
	v_mul_f64 v[0:1], v[0:1], v[4:5]
	v_fma_f64 v[0:1], v[2:3], v[30:31], v[0:1]
	buffer_load_dword v2, off, s[0:3], 0 offset:816
	buffer_load_dword v3, off, s[0:3], 0 offset:820
	buffer_load_dword v12, off, s[0:3], 0 offset:824
	buffer_load_dword v13, off, s[0:3], 0 offset:828
	s_waitcnt vmcnt(2)
	v_add_f64 v[2:3], v[2:3], -v[10:11]
	s_waitcnt vmcnt(0)
	v_add_f64 v[0:1], v[12:13], -v[0:1]
	;; [unrolled: 18-line block ×3, first 2 shown]
	buffer_store_dword v3, off, s[0:3], 0 offset:836
	buffer_store_dword v2, off, s[0:3], 0 offset:832
	;; [unrolled: 1-line block ×4, first 2 shown]
	ds_read2_b64 v[10:13], v16 offset0:106 offset1:107
	buffer_load_dword v0, off, s[0:3], 0 offset:736
	buffer_load_dword v1, off, s[0:3], 0 offset:740
	;; [unrolled: 1-line block ×4, first 2 shown]
	s_waitcnt vmcnt(0) lgkmcnt(0)
	v_mul_f64 v[4:5], v[12:13], v[2:3]
	v_fma_f64 v[4:5], v[10:11], v[0:1], -v[4:5]
	v_mul_f64 v[10:11], v[10:11], v[2:3]
	v_fma_f64 v[10:11], v[12:13], v[0:1], v[10:11]
	buffer_load_dword v13, off, s[0:3], 0 offset:852
	buffer_load_dword v12, off, s[0:3], 0 offset:848
	s_waitcnt vmcnt(0)
	v_add_f64 v[4:5], v[12:13], -v[4:5]
	buffer_load_dword v13, off, s[0:3], 0 offset:860
	buffer_load_dword v12, off, s[0:3], 0 offset:856
	s_waitcnt vmcnt(0)
	v_add_f64 v[10:11], v[12:13], -v[10:11]
	buffer_store_dword v5, off, s[0:3], 0 offset:852
	buffer_store_dword v4, off, s[0:3], 0 offset:848
	buffer_store_dword v11, off, s[0:3], 0 offset:860
	buffer_store_dword v10, off, s[0:3], 0 offset:856
	ds_read2_b64 v[10:13], v16 offset0:108 offset1:109
	s_waitcnt lgkmcnt(0)
	v_mul_f64 v[4:5], v[12:13], v[2:3]
	v_fma_f64 v[4:5], v[10:11], v[0:1], -v[4:5]
	v_mul_f64 v[10:11], v[10:11], v[2:3]
	v_fma_f64 v[10:11], v[12:13], v[0:1], v[10:11]
	buffer_load_dword v12, off, s[0:3], 0 offset:864
	buffer_load_dword v13, off, s[0:3], 0 offset:868
	buffer_load_dword v20, off, s[0:3], 0 offset:872
	buffer_load_dword v21, off, s[0:3], 0 offset:876
	s_waitcnt vmcnt(2)
	v_add_f64 v[4:5], v[12:13], -v[4:5]
	s_waitcnt vmcnt(0)
	v_add_f64 v[10:11], v[20:21], -v[10:11]
	buffer_store_dword v5, off, s[0:3], 0 offset:868
	buffer_store_dword v4, off, s[0:3], 0 offset:864
	buffer_store_dword v11, off, s[0:3], 0 offset:876
	buffer_store_dword v10, off, s[0:3], 0 offset:872
	ds_read2_b64 v[10:13], v16 offset0:110 offset1:111
	s_waitcnt lgkmcnt(0)
	v_mul_f64 v[4:5], v[12:13], v[2:3]
	v_fma_f64 v[4:5], v[10:11], v[0:1], -v[4:5]
	v_mul_f64 v[10:11], v[10:11], v[2:3]
	v_fma_f64 v[10:11], v[12:13], v[0:1], v[10:11]
	buffer_load_dword v12, off, s[0:3], 0 offset:880
	buffer_load_dword v13, off, s[0:3], 0 offset:884
	buffer_load_dword v20, off, s[0:3], 0 offset:888
	buffer_load_dword v21, off, s[0:3], 0 offset:892
	s_waitcnt vmcnt(2)
	v_add_f64 v[4:5], v[12:13], -v[4:5]
	;; [unrolled: 18-line block ×4, first 2 shown]
	s_waitcnt vmcnt(0)
	v_add_f64 v[10:11], v[20:21], -v[10:11]
	buffer_store_dword v5, off, s[0:3], 0 offset:916
	buffer_store_dword v4, off, s[0:3], 0 offset:912
	;; [unrolled: 1-line block ×4, first 2 shown]
	ds_read2_b64 v[10:13], v16 offset0:116 offset1:117
	s_waitcnt lgkmcnt(0)
	v_mul_f64 v[4:5], v[12:13], v[2:3]
	v_mul_f64 v[2:3], v[10:11], v[2:3]
	v_fma_f64 v[4:5], v[10:11], v[0:1], -v[4:5]
	v_fma_f64 v[0:1], v[12:13], v[0:1], v[2:3]
	buffer_load_dword v2, off, s[0:3], 0 offset:928
	buffer_load_dword v3, off, s[0:3], 0 offset:932
	;; [unrolled: 1-line block ×4, first 2 shown]
	s_waitcnt vmcnt(2)
	v_add_f64 v[2:3], v[2:3], -v[4:5]
	s_waitcnt vmcnt(0)
	v_add_f64 v[0:1], v[10:11], -v[0:1]
	buffer_store_dword v3, off, s[0:3], 0 offset:932
	buffer_store_dword v2, off, s[0:3], 0 offset:928
	;; [unrolled: 1-line block ×4, first 2 shown]
	ds_read2_b64 v[10:13], v16 offset0:118 offset1:119
	buffer_load_dword v0, off, s[0:3], 0 offset:736
	buffer_load_dword v1, off, s[0:3], 0 offset:740
	;; [unrolled: 1-line block ×4, first 2 shown]
	s_waitcnt vmcnt(0) lgkmcnt(0)
	v_mul_f64 v[4:5], v[12:13], v[2:3]
	v_fma_f64 v[4:5], v[10:11], v[0:1], -v[4:5]
	v_mul_f64 v[10:11], v[10:11], v[2:3]
	v_fma_f64 v[10:11], v[12:13], v[0:1], v[10:11]
	buffer_load_dword v13, off, s[0:3], 0 offset:948
	buffer_load_dword v12, off, s[0:3], 0 offset:944
	s_waitcnt vmcnt(0)
	v_add_f64 v[4:5], v[12:13], -v[4:5]
	buffer_load_dword v13, off, s[0:3], 0 offset:956
	buffer_load_dword v12, off, s[0:3], 0 offset:952
	s_waitcnt vmcnt(0)
	v_add_f64 v[10:11], v[12:13], -v[10:11]
	buffer_store_dword v5, off, s[0:3], 0 offset:948
	buffer_store_dword v4, off, s[0:3], 0 offset:944
	;; [unrolled: 1-line block ×4, first 2 shown]
	ds_read2_b64 v[10:13], v16 offset0:120 offset1:121
	s_waitcnt lgkmcnt(0)
	v_mul_f64 v[4:5], v[12:13], v[2:3]
	v_fma_f64 v[4:5], v[10:11], v[0:1], -v[4:5]
	v_mul_f64 v[10:11], v[10:11], v[2:3]
	v_fma_f64 v[10:11], v[12:13], v[0:1], v[10:11]
	buffer_load_dword v12, off, s[0:3], 0 offset:960
	buffer_load_dword v13, off, s[0:3], 0 offset:964
	;; [unrolled: 1-line block ×4, first 2 shown]
	s_waitcnt vmcnt(2)
	v_add_f64 v[4:5], v[12:13], -v[4:5]
	s_waitcnt vmcnt(0)
	v_add_f64 v[10:11], v[20:21], -v[10:11]
	buffer_store_dword v5, off, s[0:3], 0 offset:964
	buffer_store_dword v4, off, s[0:3], 0 offset:960
	;; [unrolled: 1-line block ×4, first 2 shown]
	ds_read2_b64 v[10:13], v16 offset0:122 offset1:123
	s_waitcnt lgkmcnt(0)
	v_mul_f64 v[4:5], v[12:13], v[2:3]
	v_mul_f64 v[2:3], v[10:11], v[2:3]
	v_fma_f64 v[4:5], v[10:11], v[0:1], -v[4:5]
	v_fma_f64 v[0:1], v[12:13], v[0:1], v[2:3]
	buffer_load_dword v2, off, s[0:3], 0 offset:976
	buffer_load_dword v3, off, s[0:3], 0 offset:980
	;; [unrolled: 1-line block ×4, first 2 shown]
	s_waitcnt vmcnt(2)
	v_add_f64 v[2:3], v[2:3], -v[4:5]
	s_waitcnt vmcnt(0)
	v_add_f64 v[0:1], v[10:11], -v[0:1]
	buffer_store_dword v3, off, s[0:3], 0 offset:980
	buffer_store_dword v2, off, s[0:3], 0 offset:976
	;; [unrolled: 1-line block ×4, first 2 shown]
.LBB122_1098:
	s_or_b64 exec, exec, s[4:5]
	v_mov_b32_e32 v3, s39
	s_waitcnt vmcnt(0)
	s_barrier
	buffer_load_dword v0, v3, s[0:3], 0 offen
	buffer_load_dword v1, v3, s[0:3], 0 offen offset:4
	buffer_load_dword v2, v3, s[0:3], 0 offen offset:8
	s_nop 0
	buffer_load_dword v3, v3, s[0:3], 0 offen offset:12
	v_lshl_add_u32 v4, v19, 4, v16
	s_cmp_lt_i32 s65, 49
	s_waitcnt vmcnt(0)
	ds_write2_b64 v4, v[0:1], v[2:3] offset1:1
	s_waitcnt lgkmcnt(0)
	s_barrier
	ds_read2_b64 v[0:3], v16 offset0:94 offset1:95
	v_mov_b32_e32 v4, 47
	s_cbranch_scc1 .LBB122_1101
; %bb.1099:
	v_add_u32_e32 v5, 0x300, v16
	s_mov_b32 s16, 48
	v_mov_b32_e32 v4, 47
.LBB122_1100:                           ; =>This Inner Loop Header: Depth=1
	s_waitcnt lgkmcnt(0)
	v_cmp_gt_f64_e32 vcc, 0, v[2:3]
	v_cmp_gt_f64_e64 s[4:5], 0, v[0:1]
	ds_read2_b64 v[10:13], v5 offset1:1
	v_xor_b32_e32 v21, 0x80000000, v1
	v_xor_b32_e32 v23, 0x80000000, v3
	v_mov_b32_e32 v20, v0
	v_mov_b32_e32 v22, v2
	s_waitcnt lgkmcnt(0)
	v_xor_b32_e32 v25, 0x80000000, v13
	v_cndmask_b32_e32 v23, v3, v23, vcc
	v_cndmask_b32_e64 v21, v1, v21, s[4:5]
	v_cmp_gt_f64_e32 vcc, 0, v[12:13]
	v_cmp_gt_f64_e64 s[4:5], 0, v[10:11]
	v_add_f64 v[20:21], v[20:21], v[22:23]
	v_xor_b32_e32 v23, 0x80000000, v11
	v_mov_b32_e32 v22, v10
	v_mov_b32_e32 v24, v12
	v_add_u32_e32 v5, 16, v5
	v_cndmask_b32_e32 v25, v13, v25, vcc
	v_cndmask_b32_e64 v23, v11, v23, s[4:5]
	v_add_f64 v[22:23], v[22:23], v[24:25]
	v_mov_b32_e32 v24, s16
	s_add_i32 s16, s16, 1
	s_cmp_lg_u32 s65, s16
	v_cmp_lt_f64_e32 vcc, v[20:21], v[22:23]
	v_cndmask_b32_e32 v1, v1, v11, vcc
	v_cndmask_b32_e32 v0, v0, v10, vcc
	;; [unrolled: 1-line block ×5, first 2 shown]
	s_cbranch_scc1 .LBB122_1100
.LBB122_1101:
	s_waitcnt lgkmcnt(0)
	v_cmp_eq_f64_e32 vcc, 0, v[0:1]
	v_cmp_eq_f64_e64 s[4:5], 0, v[2:3]
	s_and_b64 s[4:5], vcc, s[4:5]
	s_and_saveexec_b64 s[16:17], s[4:5]
	s_xor_b64 s[4:5], exec, s[16:17]
; %bb.1102:
	v_cmp_ne_u32_e32 vcc, 0, v17
	v_cndmask_b32_e32 v17, 48, v17, vcc
; %bb.1103:
	s_andn2_saveexec_b64 s[4:5], s[4:5]
	s_cbranch_execz .LBB122_1109
; %bb.1104:
	v_cmp_ngt_f64_e64 s[16:17], |v[0:1]|, |v[2:3]|
	s_and_saveexec_b64 s[18:19], s[16:17]
	s_xor_b64 s[18:19], exec, s[18:19]
	s_cbranch_execz .LBB122_1106
; %bb.1105:
	v_div_scale_f64 v[10:11], s[16:17], v[2:3], v[2:3], v[0:1]
	v_rcp_f64_e32 v[12:13], v[10:11]
	v_fma_f64 v[20:21], -v[10:11], v[12:13], 1.0
	v_fma_f64 v[12:13], v[12:13], v[20:21], v[12:13]
	v_div_scale_f64 v[20:21], vcc, v[0:1], v[2:3], v[0:1]
	v_fma_f64 v[22:23], -v[10:11], v[12:13], 1.0
	v_fma_f64 v[12:13], v[12:13], v[22:23], v[12:13]
	v_mul_f64 v[22:23], v[20:21], v[12:13]
	v_fma_f64 v[10:11], -v[10:11], v[22:23], v[20:21]
	v_div_fmas_f64 v[10:11], v[10:11], v[12:13], v[22:23]
	v_div_fixup_f64 v[10:11], v[10:11], v[2:3], v[0:1]
	v_fma_f64 v[0:1], v[0:1], v[10:11], v[2:3]
	v_div_scale_f64 v[2:3], s[16:17], v[0:1], v[0:1], 1.0
	v_div_scale_f64 v[22:23], vcc, 1.0, v[0:1], 1.0
	v_rcp_f64_e32 v[12:13], v[2:3]
	v_fma_f64 v[20:21], -v[2:3], v[12:13], 1.0
	v_fma_f64 v[12:13], v[12:13], v[20:21], v[12:13]
	v_fma_f64 v[20:21], -v[2:3], v[12:13], 1.0
	v_fma_f64 v[12:13], v[12:13], v[20:21], v[12:13]
	v_mul_f64 v[20:21], v[22:23], v[12:13]
	v_fma_f64 v[2:3], -v[2:3], v[20:21], v[22:23]
	v_div_fmas_f64 v[2:3], v[2:3], v[12:13], v[20:21]
	v_div_fixup_f64 v[2:3], v[2:3], v[0:1], 1.0
	v_mul_f64 v[0:1], v[10:11], v[2:3]
	v_xor_b32_e32 v3, 0x80000000, v3
.LBB122_1106:
	s_andn2_saveexec_b64 s[18:19], s[18:19]
	s_cbranch_execz .LBB122_1108
; %bb.1107:
	v_div_scale_f64 v[10:11], s[16:17], v[0:1], v[0:1], v[2:3]
	v_rcp_f64_e32 v[12:13], v[10:11]
	v_fma_f64 v[20:21], -v[10:11], v[12:13], 1.0
	v_fma_f64 v[12:13], v[12:13], v[20:21], v[12:13]
	v_div_scale_f64 v[20:21], vcc, v[2:3], v[0:1], v[2:3]
	v_fma_f64 v[22:23], -v[10:11], v[12:13], 1.0
	v_fma_f64 v[12:13], v[12:13], v[22:23], v[12:13]
	v_mul_f64 v[22:23], v[20:21], v[12:13]
	v_fma_f64 v[10:11], -v[10:11], v[22:23], v[20:21]
	v_div_fmas_f64 v[10:11], v[10:11], v[12:13], v[22:23]
	v_div_fixup_f64 v[10:11], v[10:11], v[0:1], v[2:3]
	v_fma_f64 v[0:1], v[2:3], v[10:11], v[0:1]
	v_div_scale_f64 v[2:3], s[16:17], v[0:1], v[0:1], 1.0
	v_div_scale_f64 v[22:23], vcc, 1.0, v[0:1], 1.0
	v_rcp_f64_e32 v[12:13], v[2:3]
	v_fma_f64 v[20:21], -v[2:3], v[12:13], 1.0
	v_fma_f64 v[12:13], v[12:13], v[20:21], v[12:13]
	v_fma_f64 v[20:21], -v[2:3], v[12:13], 1.0
	v_fma_f64 v[12:13], v[12:13], v[20:21], v[12:13]
	v_mul_f64 v[20:21], v[22:23], v[12:13]
	v_fma_f64 v[2:3], -v[2:3], v[20:21], v[22:23]
	v_div_fmas_f64 v[2:3], v[2:3], v[12:13], v[20:21]
	v_div_fixup_f64 v[0:1], v[2:3], v[0:1], 1.0
	v_mul_f64 v[2:3], v[10:11], -v[0:1]
.LBB122_1108:
	s_or_b64 exec, exec, s[18:19]
.LBB122_1109:
	s_or_b64 exec, exec, s[4:5]
	v_cmp_ne_u32_e32 vcc, v19, v4
	s_and_saveexec_b64 s[4:5], vcc
	s_xor_b64 s[4:5], exec, s[4:5]
	s_cbranch_execz .LBB122_1115
; %bb.1110:
	v_cmp_eq_u32_e32 vcc, 47, v19
	s_and_saveexec_b64 s[18:19], vcc
	s_cbranch_execz .LBB122_1114
; %bb.1111:
	v_cmp_ne_u32_e32 vcc, 47, v4
	s_xor_b64 s[16:17], s[22:23], -1
	s_and_b64 s[16:17], s[16:17], vcc
	s_and_saveexec_b64 s[24:25], s[16:17]
	s_cbranch_execz .LBB122_1113
; %bb.1112:
	v_ashrrev_i32_e32 v5, 31, v4
	v_lshlrev_b64 v[10:11], 2, v[4:5]
	v_add_co_u32_e32 v10, vcc, v8, v10
	v_addc_co_u32_e32 v11, vcc, v9, v11, vcc
	global_load_dword v5, v[10:11], off
	global_load_dword v12, v[8:9], off offset:188
	s_waitcnt vmcnt(1)
	global_store_dword v[8:9], v5, off offset:188
	s_waitcnt vmcnt(1)
	global_store_dword v[10:11], v12, off
.LBB122_1113:
	s_or_b64 exec, exec, s[24:25]
	v_mov_b32_e32 v19, v4
	v_mov_b32_e32 v18, v4
.LBB122_1114:
	s_or_b64 exec, exec, s[18:19]
.LBB122_1115:
	s_andn2_saveexec_b64 s[4:5], s[4:5]
	s_cbranch_execz .LBB122_1117
; %bb.1116:
	v_mov_b32_e32 v11, s38
	buffer_load_dword v4, v11, s[0:3], 0 offen
	buffer_load_dword v5, v11, s[0:3], 0 offen offset:4
	buffer_load_dword v10, v11, s[0:3], 0 offen offset:8
	s_nop 0
	buffer_load_dword v11, v11, s[0:3], 0 offen offset:12
	v_mov_b32_e32 v19, 47
	s_waitcnt vmcnt(0)
	ds_write2_b64 v16, v[4:5], v[10:11] offset0:96 offset1:97
	v_mov_b32_e32 v11, s37
	buffer_load_dword v4, v11, s[0:3], 0 offen
	buffer_load_dword v5, v11, s[0:3], 0 offen offset:4
	buffer_load_dword v10, v11, s[0:3], 0 offen offset:8
	s_nop 0
	buffer_load_dword v11, v11, s[0:3], 0 offen offset:12
	s_waitcnt vmcnt(0)
	ds_write2_b64 v16, v[4:5], v[10:11] offset0:98 offset1:99
	v_mov_b32_e32 v11, s36
	buffer_load_dword v4, v11, s[0:3], 0 offen
	buffer_load_dword v5, v11, s[0:3], 0 offen offset:4
	buffer_load_dword v10, v11, s[0:3], 0 offen offset:8
	s_nop 0
	buffer_load_dword v11, v11, s[0:3], 0 offen offset:12
	s_waitcnt vmcnt(0)
	ds_write2_b64 v16, v[4:5], v[10:11] offset0:100 offset1:101
	v_mov_b32_e32 v11, s35
	buffer_load_dword v4, v11, s[0:3], 0 offen
	buffer_load_dword v5, v11, s[0:3], 0 offen offset:4
	buffer_load_dword v10, v11, s[0:3], 0 offen offset:8
	s_nop 0
	buffer_load_dword v11, v11, s[0:3], 0 offen offset:12
	s_waitcnt vmcnt(0)
	ds_write2_b64 v16, v[4:5], v[10:11] offset0:102 offset1:103
	v_mov_b32_e32 v11, s34
	buffer_load_dword v4, v11, s[0:3], 0 offen
	buffer_load_dword v5, v11, s[0:3], 0 offen offset:4
	buffer_load_dword v10, v11, s[0:3], 0 offen offset:8
	s_nop 0
	buffer_load_dword v11, v11, s[0:3], 0 offen offset:12
	s_waitcnt vmcnt(0)
	ds_write2_b64 v16, v[4:5], v[10:11] offset0:104 offset1:105
	v_mov_b32_e32 v11, s33
	buffer_load_dword v4, v11, s[0:3], 0 offen
	buffer_load_dword v5, v11, s[0:3], 0 offen offset:4
	buffer_load_dword v10, v11, s[0:3], 0 offen offset:8
	s_nop 0
	buffer_load_dword v11, v11, s[0:3], 0 offen offset:12
	s_waitcnt vmcnt(0)
	ds_write2_b64 v16, v[4:5], v[10:11] offset0:106 offset1:107
	v_mov_b32_e32 v11, s31
	buffer_load_dword v4, v11, s[0:3], 0 offen
	buffer_load_dword v5, v11, s[0:3], 0 offen offset:4
	buffer_load_dword v10, v11, s[0:3], 0 offen offset:8
	s_nop 0
	buffer_load_dword v11, v11, s[0:3], 0 offen offset:12
	s_waitcnt vmcnt(0)
	ds_write2_b64 v16, v[4:5], v[10:11] offset0:108 offset1:109
	v_mov_b32_e32 v11, s30
	buffer_load_dword v4, v11, s[0:3], 0 offen
	buffer_load_dword v5, v11, s[0:3], 0 offen offset:4
	buffer_load_dword v10, v11, s[0:3], 0 offen offset:8
	s_nop 0
	buffer_load_dword v11, v11, s[0:3], 0 offen offset:12
	s_waitcnt vmcnt(0)
	ds_write2_b64 v16, v[4:5], v[10:11] offset0:110 offset1:111
	v_mov_b32_e32 v11, s29
	buffer_load_dword v4, v11, s[0:3], 0 offen
	buffer_load_dword v5, v11, s[0:3], 0 offen offset:4
	buffer_load_dword v10, v11, s[0:3], 0 offen offset:8
	s_nop 0
	buffer_load_dword v11, v11, s[0:3], 0 offen offset:12
	s_waitcnt vmcnt(0)
	ds_write2_b64 v16, v[4:5], v[10:11] offset0:112 offset1:113
	v_mov_b32_e32 v11, s28
	buffer_load_dword v4, v11, s[0:3], 0 offen
	buffer_load_dword v5, v11, s[0:3], 0 offen offset:4
	buffer_load_dword v10, v11, s[0:3], 0 offen offset:8
	s_nop 0
	buffer_load_dword v11, v11, s[0:3], 0 offen offset:12
	s_waitcnt vmcnt(0)
	ds_write2_b64 v16, v[4:5], v[10:11] offset0:114 offset1:115
	v_mov_b32_e32 v11, s27
	buffer_load_dword v4, v11, s[0:3], 0 offen
	buffer_load_dword v5, v11, s[0:3], 0 offen offset:4
	buffer_load_dword v10, v11, s[0:3], 0 offen offset:8
	s_nop 0
	buffer_load_dword v11, v11, s[0:3], 0 offen offset:12
	s_waitcnt vmcnt(0)
	ds_write2_b64 v16, v[4:5], v[10:11] offset0:116 offset1:117
	v_mov_b32_e32 v11, s26
	buffer_load_dword v4, v11, s[0:3], 0 offen
	buffer_load_dword v5, v11, s[0:3], 0 offen offset:4
	buffer_load_dword v10, v11, s[0:3], 0 offen offset:8
	s_nop 0
	buffer_load_dword v11, v11, s[0:3], 0 offen offset:12
	s_waitcnt vmcnt(0)
	ds_write2_b64 v16, v[4:5], v[10:11] offset0:118 offset1:119
	v_mov_b32_e32 v11, s20
	buffer_load_dword v4, v11, s[0:3], 0 offen
	buffer_load_dword v5, v11, s[0:3], 0 offen offset:4
	buffer_load_dword v10, v11, s[0:3], 0 offen offset:8
	s_nop 0
	buffer_load_dword v11, v11, s[0:3], 0 offen offset:12
	s_waitcnt vmcnt(0)
	ds_write2_b64 v16, v[4:5], v[10:11] offset0:120 offset1:121
	v_mov_b32_e32 v11, s7
	buffer_load_dword v4, v11, s[0:3], 0 offen
	buffer_load_dword v5, v11, s[0:3], 0 offen offset:4
	buffer_load_dword v10, v11, s[0:3], 0 offen offset:8
	s_nop 0
	buffer_load_dword v11, v11, s[0:3], 0 offen offset:12
	s_waitcnt vmcnt(0)
	ds_write2_b64 v16, v[4:5], v[10:11] offset0:122 offset1:123
.LBB122_1117:
	s_or_b64 exec, exec, s[4:5]
	v_cmp_lt_i32_e32 vcc, 47, v19
	s_waitcnt vmcnt(0) lgkmcnt(0)
	s_barrier
	s_and_saveexec_b64 s[4:5], vcc
	s_cbranch_execz .LBB122_1119
; %bb.1118:
	buffer_load_dword v4, off, s[0:3], 0 offset:752
	buffer_load_dword v5, off, s[0:3], 0 offset:756
	;; [unrolled: 1-line block ×16, first 2 shown]
	s_waitcnt vmcnt(12)
	v_mul_f64 v[30:31], v[2:3], v[10:11]
	v_fma_f64 v[30:31], v[0:1], v[4:5], -v[30:31]
	v_mul_f64 v[0:1], v[0:1], v[10:11]
	v_fma_f64 v[4:5], v[2:3], v[4:5], v[0:1]
	buffer_store_dword v30, off, s[0:3], 0 offset:752
	buffer_store_dword v31, off, s[0:3], 0 offset:756
	buffer_store_dword v4, off, s[0:3], 0 offset:760
	buffer_store_dword v5, off, s[0:3], 0 offset:764
	ds_read2_b64 v[0:3], v16 offset0:96 offset1:97
	s_waitcnt lgkmcnt(0)
	v_mul_f64 v[10:11], v[2:3], v[4:5]
	v_fma_f64 v[10:11], v[0:1], v[30:31], -v[10:11]
	v_mul_f64 v[0:1], v[0:1], v[4:5]
	v_fma_f64 v[0:1], v[2:3], v[30:31], v[0:1]
	s_waitcnt vmcnt(14)
	v_add_f64 v[2:3], v[12:13], -v[10:11]
	s_waitcnt vmcnt(12)
	v_add_f64 v[0:1], v[20:21], -v[0:1]
	buffer_store_dword v2, off, s[0:3], 0 offset:768
	buffer_store_dword v3, off, s[0:3], 0 offset:772
	buffer_store_dword v0, off, s[0:3], 0 offset:776
	buffer_store_dword v1, off, s[0:3], 0 offset:780
	ds_read2_b64 v[0:3], v16 offset0:98 offset1:99
	s_waitcnt lgkmcnt(0)
	v_mul_f64 v[10:11], v[2:3], v[4:5]
	v_fma_f64 v[10:11], v[0:1], v[30:31], -v[10:11]
	v_mul_f64 v[0:1], v[0:1], v[4:5]
	v_fma_f64 v[0:1], v[2:3], v[30:31], v[0:1]
	s_waitcnt vmcnt(14)
	v_add_f64 v[2:3], v[22:23], -v[10:11]
	s_waitcnt vmcnt(12)
	v_add_f64 v[0:1], v[24:25], -v[0:1]
	buffer_store_dword v2, off, s[0:3], 0 offset:784
	buffer_store_dword v3, off, s[0:3], 0 offset:788
	buffer_store_dword v0, off, s[0:3], 0 offset:792
	buffer_store_dword v1, off, s[0:3], 0 offset:796
	ds_read2_b64 v[0:3], v16 offset0:100 offset1:101
	s_waitcnt lgkmcnt(0)
	v_mul_f64 v[10:11], v[2:3], v[4:5]
	v_fma_f64 v[10:11], v[0:1], v[30:31], -v[10:11]
	v_mul_f64 v[0:1], v[0:1], v[4:5]
	v_fma_f64 v[0:1], v[2:3], v[30:31], v[0:1]
	s_waitcnt vmcnt(14)
	v_add_f64 v[2:3], v[26:27], -v[10:11]
	s_waitcnt vmcnt(12)
	v_add_f64 v[0:1], v[28:29], -v[0:1]
	buffer_store_dword v3, off, s[0:3], 0 offset:804
	buffer_store_dword v2, off, s[0:3], 0 offset:800
	buffer_store_dword v0, off, s[0:3], 0 offset:808
	buffer_store_dword v1, off, s[0:3], 0 offset:812
	ds_read2_b64 v[0:3], v16 offset0:102 offset1:103
	s_waitcnt lgkmcnt(0)
	v_mul_f64 v[10:11], v[2:3], v[4:5]
	v_fma_f64 v[10:11], v[0:1], v[30:31], -v[10:11]
	v_mul_f64 v[0:1], v[0:1], v[4:5]
	v_fma_f64 v[0:1], v[2:3], v[30:31], v[0:1]
	buffer_load_dword v2, off, s[0:3], 0 offset:816
	buffer_load_dword v3, off, s[0:3], 0 offset:820
	buffer_load_dword v12, off, s[0:3], 0 offset:824
	buffer_load_dword v13, off, s[0:3], 0 offset:828
	s_waitcnt vmcnt(2)
	v_add_f64 v[2:3], v[2:3], -v[10:11]
	s_waitcnt vmcnt(0)
	v_add_f64 v[0:1], v[12:13], -v[0:1]
	buffer_store_dword v3, off, s[0:3], 0 offset:820
	buffer_store_dword v2, off, s[0:3], 0 offset:816
	buffer_store_dword v1, off, s[0:3], 0 offset:828
	buffer_store_dword v0, off, s[0:3], 0 offset:824
	ds_read2_b64 v[0:3], v16 offset0:104 offset1:105
	s_waitcnt lgkmcnt(0)
	v_mul_f64 v[10:11], v[2:3], v[4:5]
	v_fma_f64 v[10:11], v[0:1], v[30:31], -v[10:11]
	v_mul_f64 v[0:1], v[0:1], v[4:5]
	v_fma_f64 v[0:1], v[2:3], v[30:31], v[0:1]
	buffer_load_dword v2, off, s[0:3], 0 offset:832
	buffer_load_dword v3, off, s[0:3], 0 offset:836
	buffer_load_dword v12, off, s[0:3], 0 offset:840
	buffer_load_dword v13, off, s[0:3], 0 offset:844
	s_waitcnt vmcnt(2)
	v_add_f64 v[2:3], v[2:3], -v[10:11]
	s_waitcnt vmcnt(0)
	v_add_f64 v[0:1], v[12:13], -v[0:1]
	;; [unrolled: 18-line block ×3, first 2 shown]
	buffer_store_dword v3, off, s[0:3], 0 offset:852
	buffer_store_dword v2, off, s[0:3], 0 offset:848
	;; [unrolled: 1-line block ×4, first 2 shown]
	ds_read2_b64 v[10:13], v16 offset0:108 offset1:109
	buffer_load_dword v0, off, s[0:3], 0 offset:752
	buffer_load_dword v1, off, s[0:3], 0 offset:756
	;; [unrolled: 1-line block ×4, first 2 shown]
	s_waitcnt vmcnt(0) lgkmcnt(0)
	v_mul_f64 v[4:5], v[12:13], v[2:3]
	v_fma_f64 v[4:5], v[10:11], v[0:1], -v[4:5]
	v_mul_f64 v[10:11], v[10:11], v[2:3]
	v_fma_f64 v[10:11], v[12:13], v[0:1], v[10:11]
	buffer_load_dword v13, off, s[0:3], 0 offset:868
	buffer_load_dword v12, off, s[0:3], 0 offset:864
	s_waitcnt vmcnt(0)
	v_add_f64 v[4:5], v[12:13], -v[4:5]
	buffer_load_dword v13, off, s[0:3], 0 offset:876
	buffer_load_dword v12, off, s[0:3], 0 offset:872
	s_waitcnt vmcnt(0)
	v_add_f64 v[10:11], v[12:13], -v[10:11]
	buffer_store_dword v5, off, s[0:3], 0 offset:868
	buffer_store_dword v4, off, s[0:3], 0 offset:864
	buffer_store_dword v11, off, s[0:3], 0 offset:876
	buffer_store_dword v10, off, s[0:3], 0 offset:872
	ds_read2_b64 v[10:13], v16 offset0:110 offset1:111
	s_waitcnt lgkmcnt(0)
	v_mul_f64 v[4:5], v[12:13], v[2:3]
	v_fma_f64 v[4:5], v[10:11], v[0:1], -v[4:5]
	v_mul_f64 v[10:11], v[10:11], v[2:3]
	v_fma_f64 v[10:11], v[12:13], v[0:1], v[10:11]
	buffer_load_dword v12, off, s[0:3], 0 offset:880
	buffer_load_dword v13, off, s[0:3], 0 offset:884
	buffer_load_dword v20, off, s[0:3], 0 offset:888
	buffer_load_dword v21, off, s[0:3], 0 offset:892
	s_waitcnt vmcnt(2)
	v_add_f64 v[4:5], v[12:13], -v[4:5]
	s_waitcnt vmcnt(0)
	v_add_f64 v[10:11], v[20:21], -v[10:11]
	buffer_store_dword v5, off, s[0:3], 0 offset:884
	buffer_store_dword v4, off, s[0:3], 0 offset:880
	buffer_store_dword v11, off, s[0:3], 0 offset:892
	buffer_store_dword v10, off, s[0:3], 0 offset:888
	ds_read2_b64 v[10:13], v16 offset0:112 offset1:113
	s_waitcnt lgkmcnt(0)
	v_mul_f64 v[4:5], v[12:13], v[2:3]
	v_fma_f64 v[4:5], v[10:11], v[0:1], -v[4:5]
	v_mul_f64 v[10:11], v[10:11], v[2:3]
	v_fma_f64 v[10:11], v[12:13], v[0:1], v[10:11]
	buffer_load_dword v12, off, s[0:3], 0 offset:896
	buffer_load_dword v13, off, s[0:3], 0 offset:900
	buffer_load_dword v20, off, s[0:3], 0 offset:904
	buffer_load_dword v21, off, s[0:3], 0 offset:908
	s_waitcnt vmcnt(2)
	v_add_f64 v[4:5], v[12:13], -v[4:5]
	;; [unrolled: 18-line block ×4, first 2 shown]
	s_waitcnt vmcnt(0)
	v_add_f64 v[10:11], v[20:21], -v[10:11]
	buffer_store_dword v5, off, s[0:3], 0 offset:932
	buffer_store_dword v4, off, s[0:3], 0 offset:928
	;; [unrolled: 1-line block ×4, first 2 shown]
	ds_read2_b64 v[10:13], v16 offset0:118 offset1:119
	s_waitcnt lgkmcnt(0)
	v_mul_f64 v[4:5], v[12:13], v[2:3]
	v_mul_f64 v[2:3], v[10:11], v[2:3]
	v_fma_f64 v[4:5], v[10:11], v[0:1], -v[4:5]
	v_fma_f64 v[0:1], v[12:13], v[0:1], v[2:3]
	buffer_load_dword v2, off, s[0:3], 0 offset:944
	buffer_load_dword v3, off, s[0:3], 0 offset:948
	;; [unrolled: 1-line block ×4, first 2 shown]
	s_waitcnt vmcnt(2)
	v_add_f64 v[2:3], v[2:3], -v[4:5]
	s_waitcnt vmcnt(0)
	v_add_f64 v[0:1], v[10:11], -v[0:1]
	buffer_store_dword v3, off, s[0:3], 0 offset:948
	buffer_store_dword v2, off, s[0:3], 0 offset:944
	;; [unrolled: 1-line block ×4, first 2 shown]
	ds_read2_b64 v[0:3], v16 offset0:120 offset1:121
	buffer_load_dword v4, off, s[0:3], 0 offset:752
	buffer_load_dword v5, off, s[0:3], 0 offset:756
	;; [unrolled: 1-line block ×4, first 2 shown]
	s_waitcnt vmcnt(0) lgkmcnt(0)
	v_mul_f64 v[12:13], v[2:3], v[10:11]
	v_fma_f64 v[12:13], v[0:1], v[4:5], -v[12:13]
	v_mul_f64 v[0:1], v[0:1], v[10:11]
	v_fma_f64 v[0:1], v[2:3], v[4:5], v[0:1]
	buffer_load_dword v3, off, s[0:3], 0 offset:964
	buffer_load_dword v2, off, s[0:3], 0 offset:960
	s_waitcnt vmcnt(0)
	v_add_f64 v[2:3], v[2:3], -v[12:13]
	buffer_load_dword v13, off, s[0:3], 0 offset:972
	buffer_load_dword v12, off, s[0:3], 0 offset:968
	s_waitcnt vmcnt(0)
	v_add_f64 v[0:1], v[12:13], -v[0:1]
	buffer_store_dword v3, off, s[0:3], 0 offset:964
	buffer_store_dword v2, off, s[0:3], 0 offset:960
	;; [unrolled: 1-line block ×4, first 2 shown]
	ds_read2_b64 v[0:3], v16 offset0:122 offset1:123
	s_waitcnt lgkmcnt(0)
	v_mul_f64 v[12:13], v[2:3], v[10:11]
	v_fma_f64 v[12:13], v[0:1], v[4:5], -v[12:13]
	v_mul_f64 v[0:1], v[0:1], v[10:11]
	v_fma_f64 v[0:1], v[2:3], v[4:5], v[0:1]
	buffer_load_dword v2, off, s[0:3], 0 offset:976
	buffer_load_dword v3, off, s[0:3], 0 offset:980
	buffer_load_dword v4, off, s[0:3], 0 offset:984
	buffer_load_dword v5, off, s[0:3], 0 offset:988
	s_waitcnt vmcnt(2)
	v_add_f64 v[2:3], v[2:3], -v[12:13]
	s_waitcnt vmcnt(0)
	v_add_f64 v[0:1], v[4:5], -v[0:1]
	buffer_store_dword v3, off, s[0:3], 0 offset:980
	buffer_store_dword v2, off, s[0:3], 0 offset:976
	;; [unrolled: 1-line block ×4, first 2 shown]
.LBB122_1119:
	s_or_b64 exec, exec, s[4:5]
	v_mov_b32_e32 v3, s38
	s_waitcnt vmcnt(0)
	s_barrier
	buffer_load_dword v0, v3, s[0:3], 0 offen
	buffer_load_dword v1, v3, s[0:3], 0 offen offset:4
	buffer_load_dword v2, v3, s[0:3], 0 offen offset:8
	s_nop 0
	buffer_load_dword v3, v3, s[0:3], 0 offen offset:12
	v_lshl_add_u32 v4, v19, 4, v16
	s_cmp_lt_i32 s65, 50
	s_waitcnt vmcnt(0)
	ds_write2_b64 v4, v[0:1], v[2:3] offset1:1
	s_waitcnt lgkmcnt(0)
	s_barrier
	ds_read2_b64 v[0:3], v16 offset0:96 offset1:97
	v_mov_b32_e32 v4, 48
	s_cbranch_scc1 .LBB122_1122
; %bb.1120:
	v_add_u32_e32 v5, 0x310, v16
	s_mov_b32 s16, 49
	v_mov_b32_e32 v4, 48
.LBB122_1121:                           ; =>This Inner Loop Header: Depth=1
	s_waitcnt lgkmcnt(0)
	v_cmp_gt_f64_e32 vcc, 0, v[2:3]
	v_cmp_gt_f64_e64 s[4:5], 0, v[0:1]
	ds_read2_b64 v[10:13], v5 offset1:1
	v_xor_b32_e32 v21, 0x80000000, v1
	v_xor_b32_e32 v23, 0x80000000, v3
	v_mov_b32_e32 v20, v0
	v_mov_b32_e32 v22, v2
	s_waitcnt lgkmcnt(0)
	v_xor_b32_e32 v25, 0x80000000, v13
	v_cndmask_b32_e32 v23, v3, v23, vcc
	v_cndmask_b32_e64 v21, v1, v21, s[4:5]
	v_cmp_gt_f64_e32 vcc, 0, v[12:13]
	v_cmp_gt_f64_e64 s[4:5], 0, v[10:11]
	v_add_f64 v[20:21], v[20:21], v[22:23]
	v_xor_b32_e32 v23, 0x80000000, v11
	v_mov_b32_e32 v22, v10
	v_mov_b32_e32 v24, v12
	v_add_u32_e32 v5, 16, v5
	v_cndmask_b32_e32 v25, v13, v25, vcc
	v_cndmask_b32_e64 v23, v11, v23, s[4:5]
	v_add_f64 v[22:23], v[22:23], v[24:25]
	v_mov_b32_e32 v24, s16
	s_add_i32 s16, s16, 1
	s_cmp_lg_u32 s65, s16
	v_cmp_lt_f64_e32 vcc, v[20:21], v[22:23]
	v_cndmask_b32_e32 v1, v1, v11, vcc
	v_cndmask_b32_e32 v0, v0, v10, vcc
	;; [unrolled: 1-line block ×5, first 2 shown]
	s_cbranch_scc1 .LBB122_1121
.LBB122_1122:
	s_waitcnt lgkmcnt(0)
	v_cmp_eq_f64_e32 vcc, 0, v[0:1]
	v_cmp_eq_f64_e64 s[4:5], 0, v[2:3]
	s_and_b64 s[4:5], vcc, s[4:5]
	s_and_saveexec_b64 s[16:17], s[4:5]
	s_xor_b64 s[4:5], exec, s[16:17]
; %bb.1123:
	v_cmp_ne_u32_e32 vcc, 0, v17
	v_cndmask_b32_e32 v17, 49, v17, vcc
; %bb.1124:
	s_andn2_saveexec_b64 s[4:5], s[4:5]
	s_cbranch_execz .LBB122_1130
; %bb.1125:
	v_cmp_ngt_f64_e64 s[16:17], |v[0:1]|, |v[2:3]|
	s_and_saveexec_b64 s[18:19], s[16:17]
	s_xor_b64 s[18:19], exec, s[18:19]
	s_cbranch_execz .LBB122_1127
; %bb.1126:
	v_div_scale_f64 v[10:11], s[16:17], v[2:3], v[2:3], v[0:1]
	v_rcp_f64_e32 v[12:13], v[10:11]
	v_fma_f64 v[20:21], -v[10:11], v[12:13], 1.0
	v_fma_f64 v[12:13], v[12:13], v[20:21], v[12:13]
	v_div_scale_f64 v[20:21], vcc, v[0:1], v[2:3], v[0:1]
	v_fma_f64 v[22:23], -v[10:11], v[12:13], 1.0
	v_fma_f64 v[12:13], v[12:13], v[22:23], v[12:13]
	v_mul_f64 v[22:23], v[20:21], v[12:13]
	v_fma_f64 v[10:11], -v[10:11], v[22:23], v[20:21]
	v_div_fmas_f64 v[10:11], v[10:11], v[12:13], v[22:23]
	v_div_fixup_f64 v[10:11], v[10:11], v[2:3], v[0:1]
	v_fma_f64 v[0:1], v[0:1], v[10:11], v[2:3]
	v_div_scale_f64 v[2:3], s[16:17], v[0:1], v[0:1], 1.0
	v_div_scale_f64 v[22:23], vcc, 1.0, v[0:1], 1.0
	v_rcp_f64_e32 v[12:13], v[2:3]
	v_fma_f64 v[20:21], -v[2:3], v[12:13], 1.0
	v_fma_f64 v[12:13], v[12:13], v[20:21], v[12:13]
	v_fma_f64 v[20:21], -v[2:3], v[12:13], 1.0
	v_fma_f64 v[12:13], v[12:13], v[20:21], v[12:13]
	v_mul_f64 v[20:21], v[22:23], v[12:13]
	v_fma_f64 v[2:3], -v[2:3], v[20:21], v[22:23]
	v_div_fmas_f64 v[2:3], v[2:3], v[12:13], v[20:21]
	v_div_fixup_f64 v[2:3], v[2:3], v[0:1], 1.0
	v_mul_f64 v[0:1], v[10:11], v[2:3]
	v_xor_b32_e32 v3, 0x80000000, v3
.LBB122_1127:
	s_andn2_saveexec_b64 s[18:19], s[18:19]
	s_cbranch_execz .LBB122_1129
; %bb.1128:
	v_div_scale_f64 v[10:11], s[16:17], v[0:1], v[0:1], v[2:3]
	v_rcp_f64_e32 v[12:13], v[10:11]
	v_fma_f64 v[20:21], -v[10:11], v[12:13], 1.0
	v_fma_f64 v[12:13], v[12:13], v[20:21], v[12:13]
	v_div_scale_f64 v[20:21], vcc, v[2:3], v[0:1], v[2:3]
	v_fma_f64 v[22:23], -v[10:11], v[12:13], 1.0
	v_fma_f64 v[12:13], v[12:13], v[22:23], v[12:13]
	v_mul_f64 v[22:23], v[20:21], v[12:13]
	v_fma_f64 v[10:11], -v[10:11], v[22:23], v[20:21]
	v_div_fmas_f64 v[10:11], v[10:11], v[12:13], v[22:23]
	v_div_fixup_f64 v[10:11], v[10:11], v[0:1], v[2:3]
	v_fma_f64 v[0:1], v[2:3], v[10:11], v[0:1]
	v_div_scale_f64 v[2:3], s[16:17], v[0:1], v[0:1], 1.0
	v_div_scale_f64 v[22:23], vcc, 1.0, v[0:1], 1.0
	v_rcp_f64_e32 v[12:13], v[2:3]
	v_fma_f64 v[20:21], -v[2:3], v[12:13], 1.0
	v_fma_f64 v[12:13], v[12:13], v[20:21], v[12:13]
	v_fma_f64 v[20:21], -v[2:3], v[12:13], 1.0
	v_fma_f64 v[12:13], v[12:13], v[20:21], v[12:13]
	v_mul_f64 v[20:21], v[22:23], v[12:13]
	v_fma_f64 v[2:3], -v[2:3], v[20:21], v[22:23]
	v_div_fmas_f64 v[2:3], v[2:3], v[12:13], v[20:21]
	v_div_fixup_f64 v[0:1], v[2:3], v[0:1], 1.0
	v_mul_f64 v[2:3], v[10:11], -v[0:1]
.LBB122_1129:
	s_or_b64 exec, exec, s[18:19]
.LBB122_1130:
	s_or_b64 exec, exec, s[4:5]
	v_cmp_ne_u32_e32 vcc, v19, v4
	s_and_saveexec_b64 s[4:5], vcc
	s_xor_b64 s[4:5], exec, s[4:5]
	s_cbranch_execz .LBB122_1136
; %bb.1131:
	v_cmp_eq_u32_e32 vcc, 48, v19
	s_and_saveexec_b64 s[18:19], vcc
	s_cbranch_execz .LBB122_1135
; %bb.1132:
	v_cmp_ne_u32_e32 vcc, 48, v4
	s_xor_b64 s[16:17], s[22:23], -1
	s_and_b64 s[16:17], s[16:17], vcc
	s_and_saveexec_b64 s[24:25], s[16:17]
	s_cbranch_execz .LBB122_1134
; %bb.1133:
	v_ashrrev_i32_e32 v5, 31, v4
	v_lshlrev_b64 v[10:11], 2, v[4:5]
	v_add_co_u32_e32 v10, vcc, v8, v10
	v_addc_co_u32_e32 v11, vcc, v9, v11, vcc
	global_load_dword v5, v[10:11], off
	global_load_dword v12, v[8:9], off offset:192
	s_waitcnt vmcnt(1)
	global_store_dword v[8:9], v5, off offset:192
	s_waitcnt vmcnt(1)
	global_store_dword v[10:11], v12, off
.LBB122_1134:
	s_or_b64 exec, exec, s[24:25]
	v_mov_b32_e32 v19, v4
	v_mov_b32_e32 v18, v4
.LBB122_1135:
	s_or_b64 exec, exec, s[18:19]
.LBB122_1136:
	s_andn2_saveexec_b64 s[4:5], s[4:5]
	s_cbranch_execz .LBB122_1138
; %bb.1137:
	v_mov_b32_e32 v11, s37
	buffer_load_dword v4, v11, s[0:3], 0 offen
	buffer_load_dword v5, v11, s[0:3], 0 offen offset:4
	buffer_load_dword v10, v11, s[0:3], 0 offen offset:8
	s_nop 0
	buffer_load_dword v11, v11, s[0:3], 0 offen offset:12
	v_mov_b32_e32 v19, 48
	s_waitcnt vmcnt(0)
	ds_write2_b64 v16, v[4:5], v[10:11] offset0:98 offset1:99
	v_mov_b32_e32 v11, s36
	buffer_load_dword v4, v11, s[0:3], 0 offen
	buffer_load_dword v5, v11, s[0:3], 0 offen offset:4
	buffer_load_dword v10, v11, s[0:3], 0 offen offset:8
	s_nop 0
	buffer_load_dword v11, v11, s[0:3], 0 offen offset:12
	s_waitcnt vmcnt(0)
	ds_write2_b64 v16, v[4:5], v[10:11] offset0:100 offset1:101
	v_mov_b32_e32 v11, s35
	buffer_load_dword v4, v11, s[0:3], 0 offen
	buffer_load_dword v5, v11, s[0:3], 0 offen offset:4
	buffer_load_dword v10, v11, s[0:3], 0 offen offset:8
	s_nop 0
	buffer_load_dword v11, v11, s[0:3], 0 offen offset:12
	;; [unrolled: 8-line block ×12, first 2 shown]
	s_waitcnt vmcnt(0)
	ds_write2_b64 v16, v[4:5], v[10:11] offset0:122 offset1:123
.LBB122_1138:
	s_or_b64 exec, exec, s[4:5]
	v_cmp_lt_i32_e32 vcc, 48, v19
	s_waitcnt vmcnt(0) lgkmcnt(0)
	s_barrier
	s_and_saveexec_b64 s[4:5], vcc
	s_cbranch_execz .LBB122_1140
; %bb.1139:
	buffer_load_dword v10, off, s[0:3], 0 offset:768
	buffer_load_dword v11, off, s[0:3], 0 offset:772
	;; [unrolled: 1-line block ×16, first 2 shown]
	s_waitcnt vmcnt(12)
	v_mul_f64 v[4:5], v[2:3], v[12:13]
	v_fma_f64 v[4:5], v[0:1], v[10:11], -v[4:5]
	v_mul_f64 v[0:1], v[0:1], v[12:13]
	v_fma_f64 v[10:11], v[2:3], v[10:11], v[0:1]
	buffer_store_dword v4, off, s[0:3], 0 offset:768
	buffer_store_dword v5, off, s[0:3], 0 offset:772
	buffer_store_dword v10, off, s[0:3], 0 offset:776
	buffer_store_dword v11, off, s[0:3], 0 offset:780
	ds_read2_b64 v[0:3], v16 offset0:98 offset1:99
	s_waitcnt lgkmcnt(0)
	v_mul_f64 v[12:13], v[2:3], v[10:11]
	v_fma_f64 v[12:13], v[0:1], v[4:5], -v[12:13]
	v_mul_f64 v[0:1], v[0:1], v[10:11]
	v_fma_f64 v[0:1], v[2:3], v[4:5], v[0:1]
	s_waitcnt vmcnt(14)
	v_add_f64 v[2:3], v[20:21], -v[12:13]
	s_waitcnt vmcnt(12)
	v_add_f64 v[0:1], v[22:23], -v[0:1]
	buffer_store_dword v2, off, s[0:3], 0 offset:784
	buffer_store_dword v3, off, s[0:3], 0 offset:788
	buffer_store_dword v0, off, s[0:3], 0 offset:792
	buffer_store_dword v1, off, s[0:3], 0 offset:796
	ds_read2_b64 v[0:3], v16 offset0:100 offset1:101
	s_waitcnt lgkmcnt(0)
	v_mul_f64 v[12:13], v[2:3], v[10:11]
	v_fma_f64 v[12:13], v[0:1], v[4:5], -v[12:13]
	v_mul_f64 v[0:1], v[0:1], v[10:11]
	v_fma_f64 v[0:1], v[2:3], v[4:5], v[0:1]
	s_waitcnt vmcnt(14)
	v_add_f64 v[2:3], v[24:25], -v[12:13]
	s_waitcnt vmcnt(12)
	v_add_f64 v[0:1], v[26:27], -v[0:1]
	;; [unrolled: 14-line block ×3, first 2 shown]
	buffer_store_dword v3, off, s[0:3], 0 offset:820
	buffer_store_dword v2, off, s[0:3], 0 offset:816
	buffer_store_dword v0, off, s[0:3], 0 offset:824
	buffer_store_dword v1, off, s[0:3], 0 offset:828
	ds_read2_b64 v[0:3], v16 offset0:104 offset1:105
	s_waitcnt lgkmcnt(0)
	v_mul_f64 v[12:13], v[2:3], v[10:11]
	v_fma_f64 v[12:13], v[0:1], v[4:5], -v[12:13]
	v_mul_f64 v[0:1], v[0:1], v[10:11]
	v_fma_f64 v[0:1], v[2:3], v[4:5], v[0:1]
	buffer_load_dword v2, off, s[0:3], 0 offset:832
	buffer_load_dword v3, off, s[0:3], 0 offset:836
	buffer_load_dword v20, off, s[0:3], 0 offset:840
	buffer_load_dword v21, off, s[0:3], 0 offset:844
	s_waitcnt vmcnt(2)
	v_add_f64 v[2:3], v[2:3], -v[12:13]
	s_waitcnt vmcnt(0)
	v_add_f64 v[0:1], v[20:21], -v[0:1]
	buffer_store_dword v3, off, s[0:3], 0 offset:836
	buffer_store_dword v2, off, s[0:3], 0 offset:832
	buffer_store_dword v1, off, s[0:3], 0 offset:844
	buffer_store_dword v0, off, s[0:3], 0 offset:840
	ds_read2_b64 v[0:3], v16 offset0:106 offset1:107
	s_waitcnt lgkmcnt(0)
	v_mul_f64 v[12:13], v[2:3], v[10:11]
	v_fma_f64 v[12:13], v[0:1], v[4:5], -v[12:13]
	v_mul_f64 v[0:1], v[0:1], v[10:11]
	v_fma_f64 v[0:1], v[2:3], v[4:5], v[0:1]
	buffer_load_dword v2, off, s[0:3], 0 offset:848
	buffer_load_dword v3, off, s[0:3], 0 offset:852
	buffer_load_dword v20, off, s[0:3], 0 offset:856
	buffer_load_dword v21, off, s[0:3], 0 offset:860
	s_waitcnt vmcnt(2)
	v_add_f64 v[2:3], v[2:3], -v[12:13]
	s_waitcnt vmcnt(0)
	v_add_f64 v[0:1], v[20:21], -v[0:1]
	;; [unrolled: 18-line block ×3, first 2 shown]
	buffer_store_dword v3, off, s[0:3], 0 offset:868
	buffer_store_dword v2, off, s[0:3], 0 offset:864
	;; [unrolled: 1-line block ×4, first 2 shown]
	ds_read2_b64 v[0:3], v16 offset0:110 offset1:111
	buffer_load_dword v4, off, s[0:3], 0 offset:768
	buffer_load_dword v5, off, s[0:3], 0 offset:772
	;; [unrolled: 1-line block ×4, first 2 shown]
	s_waitcnt vmcnt(0) lgkmcnt(0)
	v_mul_f64 v[12:13], v[2:3], v[10:11]
	v_fma_f64 v[12:13], v[0:1], v[4:5], -v[12:13]
	v_mul_f64 v[0:1], v[0:1], v[10:11]
	v_fma_f64 v[0:1], v[2:3], v[4:5], v[0:1]
	buffer_load_dword v3, off, s[0:3], 0 offset:884
	buffer_load_dword v2, off, s[0:3], 0 offset:880
	s_waitcnt vmcnt(0)
	v_add_f64 v[2:3], v[2:3], -v[12:13]
	buffer_load_dword v13, off, s[0:3], 0 offset:892
	buffer_load_dword v12, off, s[0:3], 0 offset:888
	s_waitcnt vmcnt(0)
	v_add_f64 v[0:1], v[12:13], -v[0:1]
	buffer_store_dword v3, off, s[0:3], 0 offset:884
	buffer_store_dword v2, off, s[0:3], 0 offset:880
	buffer_store_dword v1, off, s[0:3], 0 offset:892
	buffer_store_dword v0, off, s[0:3], 0 offset:888
	ds_read2_b64 v[0:3], v16 offset0:112 offset1:113
	s_waitcnt lgkmcnt(0)
	v_mul_f64 v[12:13], v[2:3], v[10:11]
	v_fma_f64 v[12:13], v[0:1], v[4:5], -v[12:13]
	v_mul_f64 v[0:1], v[0:1], v[10:11]
	v_fma_f64 v[0:1], v[2:3], v[4:5], v[0:1]
	buffer_load_dword v2, off, s[0:3], 0 offset:896
	buffer_load_dword v3, off, s[0:3], 0 offset:900
	buffer_load_dword v20, off, s[0:3], 0 offset:904
	buffer_load_dword v21, off, s[0:3], 0 offset:908
	s_waitcnt vmcnt(2)
	v_add_f64 v[2:3], v[2:3], -v[12:13]
	s_waitcnt vmcnt(0)
	v_add_f64 v[0:1], v[20:21], -v[0:1]
	buffer_store_dword v3, off, s[0:3], 0 offset:900
	buffer_store_dword v2, off, s[0:3], 0 offset:896
	buffer_store_dword v1, off, s[0:3], 0 offset:908
	buffer_store_dword v0, off, s[0:3], 0 offset:904
	ds_read2_b64 v[0:3], v16 offset0:114 offset1:115
	s_waitcnt lgkmcnt(0)
	v_mul_f64 v[12:13], v[2:3], v[10:11]
	v_fma_f64 v[12:13], v[0:1], v[4:5], -v[12:13]
	v_mul_f64 v[0:1], v[0:1], v[10:11]
	v_fma_f64 v[0:1], v[2:3], v[4:5], v[0:1]
	buffer_load_dword v2, off, s[0:3], 0 offset:912
	buffer_load_dword v3, off, s[0:3], 0 offset:916
	buffer_load_dword v20, off, s[0:3], 0 offset:920
	buffer_load_dword v21, off, s[0:3], 0 offset:924
	s_waitcnt vmcnt(2)
	v_add_f64 v[2:3], v[2:3], -v[12:13]
	;; [unrolled: 18-line block ×5, first 2 shown]
	s_waitcnt vmcnt(0)
	v_add_f64 v[0:1], v[4:5], -v[0:1]
	buffer_store_dword v3, off, s[0:3], 0 offset:964
	buffer_store_dword v2, off, s[0:3], 0 offset:960
	buffer_store_dword v1, off, s[0:3], 0 offset:972
	buffer_store_dword v0, off, s[0:3], 0 offset:968
	ds_read2_b64 v[0:3], v16 offset0:122 offset1:123
	buffer_load_dword v4, off, s[0:3], 0 offset:768
	buffer_load_dword v5, off, s[0:3], 0 offset:772
	;; [unrolled: 1-line block ×4, first 2 shown]
	s_waitcnt vmcnt(0) lgkmcnt(0)
	v_mul_f64 v[12:13], v[2:3], v[10:11]
	v_fma_f64 v[12:13], v[0:1], v[4:5], -v[12:13]
	v_mul_f64 v[0:1], v[0:1], v[10:11]
	v_fma_f64 v[0:1], v[2:3], v[4:5], v[0:1]
	buffer_load_dword v3, off, s[0:3], 0 offset:980
	buffer_load_dword v2, off, s[0:3], 0 offset:976
	;; [unrolled: 1-line block ×4, first 2 shown]
	s_waitcnt vmcnt(2)
	v_add_f64 v[2:3], v[2:3], -v[12:13]
	s_waitcnt vmcnt(0)
	v_add_f64 v[0:1], v[4:5], -v[0:1]
	buffer_store_dword v3, off, s[0:3], 0 offset:980
	buffer_store_dword v2, off, s[0:3], 0 offset:976
	;; [unrolled: 1-line block ×4, first 2 shown]
.LBB122_1140:
	s_or_b64 exec, exec, s[4:5]
	v_mov_b32_e32 v3, s37
	s_waitcnt vmcnt(0)
	s_barrier
	buffer_load_dword v0, v3, s[0:3], 0 offen
	buffer_load_dword v1, v3, s[0:3], 0 offen offset:4
	buffer_load_dword v2, v3, s[0:3], 0 offen offset:8
	s_nop 0
	buffer_load_dword v3, v3, s[0:3], 0 offen offset:12
	v_lshl_add_u32 v4, v19, 4, v16
	s_cmp_lt_i32 s65, 51
	s_waitcnt vmcnt(0)
	ds_write2_b64 v4, v[0:1], v[2:3] offset1:1
	s_waitcnt lgkmcnt(0)
	s_barrier
	ds_read2_b64 v[0:3], v16 offset0:98 offset1:99
	v_mov_b32_e32 v4, 49
	s_cbranch_scc1 .LBB122_1143
; %bb.1141:
	v_add_u32_e32 v5, 0x320, v16
	s_mov_b32 s16, 50
	v_mov_b32_e32 v4, 49
.LBB122_1142:                           ; =>This Inner Loop Header: Depth=1
	s_waitcnt lgkmcnt(0)
	v_cmp_gt_f64_e32 vcc, 0, v[2:3]
	v_cmp_gt_f64_e64 s[4:5], 0, v[0:1]
	ds_read2_b64 v[10:13], v5 offset1:1
	v_xor_b32_e32 v21, 0x80000000, v1
	v_xor_b32_e32 v23, 0x80000000, v3
	v_mov_b32_e32 v20, v0
	v_mov_b32_e32 v22, v2
	s_waitcnt lgkmcnt(0)
	v_xor_b32_e32 v25, 0x80000000, v13
	v_cndmask_b32_e32 v23, v3, v23, vcc
	v_cndmask_b32_e64 v21, v1, v21, s[4:5]
	v_cmp_gt_f64_e32 vcc, 0, v[12:13]
	v_cmp_gt_f64_e64 s[4:5], 0, v[10:11]
	v_add_f64 v[20:21], v[20:21], v[22:23]
	v_xor_b32_e32 v23, 0x80000000, v11
	v_mov_b32_e32 v22, v10
	v_mov_b32_e32 v24, v12
	v_add_u32_e32 v5, 16, v5
	v_cndmask_b32_e32 v25, v13, v25, vcc
	v_cndmask_b32_e64 v23, v11, v23, s[4:5]
	v_add_f64 v[22:23], v[22:23], v[24:25]
	v_mov_b32_e32 v24, s16
	s_add_i32 s16, s16, 1
	s_cmp_lg_u32 s65, s16
	v_cmp_lt_f64_e32 vcc, v[20:21], v[22:23]
	v_cndmask_b32_e32 v1, v1, v11, vcc
	v_cndmask_b32_e32 v0, v0, v10, vcc
	;; [unrolled: 1-line block ×5, first 2 shown]
	s_cbranch_scc1 .LBB122_1142
.LBB122_1143:
	s_waitcnt lgkmcnt(0)
	v_cmp_eq_f64_e32 vcc, 0, v[0:1]
	v_cmp_eq_f64_e64 s[4:5], 0, v[2:3]
	s_and_b64 s[4:5], vcc, s[4:5]
	s_and_saveexec_b64 s[16:17], s[4:5]
	s_xor_b64 s[4:5], exec, s[16:17]
; %bb.1144:
	v_cmp_ne_u32_e32 vcc, 0, v17
	v_cndmask_b32_e32 v17, 50, v17, vcc
; %bb.1145:
	s_andn2_saveexec_b64 s[4:5], s[4:5]
	s_cbranch_execz .LBB122_1151
; %bb.1146:
	v_cmp_ngt_f64_e64 s[16:17], |v[0:1]|, |v[2:3]|
	s_and_saveexec_b64 s[18:19], s[16:17]
	s_xor_b64 s[18:19], exec, s[18:19]
	s_cbranch_execz .LBB122_1148
; %bb.1147:
	v_div_scale_f64 v[10:11], s[16:17], v[2:3], v[2:3], v[0:1]
	v_rcp_f64_e32 v[12:13], v[10:11]
	v_fma_f64 v[20:21], -v[10:11], v[12:13], 1.0
	v_fma_f64 v[12:13], v[12:13], v[20:21], v[12:13]
	v_div_scale_f64 v[20:21], vcc, v[0:1], v[2:3], v[0:1]
	v_fma_f64 v[22:23], -v[10:11], v[12:13], 1.0
	v_fma_f64 v[12:13], v[12:13], v[22:23], v[12:13]
	v_mul_f64 v[22:23], v[20:21], v[12:13]
	v_fma_f64 v[10:11], -v[10:11], v[22:23], v[20:21]
	v_div_fmas_f64 v[10:11], v[10:11], v[12:13], v[22:23]
	v_div_fixup_f64 v[10:11], v[10:11], v[2:3], v[0:1]
	v_fma_f64 v[0:1], v[0:1], v[10:11], v[2:3]
	v_div_scale_f64 v[2:3], s[16:17], v[0:1], v[0:1], 1.0
	v_div_scale_f64 v[22:23], vcc, 1.0, v[0:1], 1.0
	v_rcp_f64_e32 v[12:13], v[2:3]
	v_fma_f64 v[20:21], -v[2:3], v[12:13], 1.0
	v_fma_f64 v[12:13], v[12:13], v[20:21], v[12:13]
	v_fma_f64 v[20:21], -v[2:3], v[12:13], 1.0
	v_fma_f64 v[12:13], v[12:13], v[20:21], v[12:13]
	v_mul_f64 v[20:21], v[22:23], v[12:13]
	v_fma_f64 v[2:3], -v[2:3], v[20:21], v[22:23]
	v_div_fmas_f64 v[2:3], v[2:3], v[12:13], v[20:21]
	v_div_fixup_f64 v[2:3], v[2:3], v[0:1], 1.0
	v_mul_f64 v[0:1], v[10:11], v[2:3]
	v_xor_b32_e32 v3, 0x80000000, v3
.LBB122_1148:
	s_andn2_saveexec_b64 s[18:19], s[18:19]
	s_cbranch_execz .LBB122_1150
; %bb.1149:
	v_div_scale_f64 v[10:11], s[16:17], v[0:1], v[0:1], v[2:3]
	v_rcp_f64_e32 v[12:13], v[10:11]
	v_fma_f64 v[20:21], -v[10:11], v[12:13], 1.0
	v_fma_f64 v[12:13], v[12:13], v[20:21], v[12:13]
	v_div_scale_f64 v[20:21], vcc, v[2:3], v[0:1], v[2:3]
	v_fma_f64 v[22:23], -v[10:11], v[12:13], 1.0
	v_fma_f64 v[12:13], v[12:13], v[22:23], v[12:13]
	v_mul_f64 v[22:23], v[20:21], v[12:13]
	v_fma_f64 v[10:11], -v[10:11], v[22:23], v[20:21]
	v_div_fmas_f64 v[10:11], v[10:11], v[12:13], v[22:23]
	v_div_fixup_f64 v[10:11], v[10:11], v[0:1], v[2:3]
	v_fma_f64 v[0:1], v[2:3], v[10:11], v[0:1]
	v_div_scale_f64 v[2:3], s[16:17], v[0:1], v[0:1], 1.0
	v_div_scale_f64 v[22:23], vcc, 1.0, v[0:1], 1.0
	v_rcp_f64_e32 v[12:13], v[2:3]
	v_fma_f64 v[20:21], -v[2:3], v[12:13], 1.0
	v_fma_f64 v[12:13], v[12:13], v[20:21], v[12:13]
	v_fma_f64 v[20:21], -v[2:3], v[12:13], 1.0
	v_fma_f64 v[12:13], v[12:13], v[20:21], v[12:13]
	v_mul_f64 v[20:21], v[22:23], v[12:13]
	v_fma_f64 v[2:3], -v[2:3], v[20:21], v[22:23]
	v_div_fmas_f64 v[2:3], v[2:3], v[12:13], v[20:21]
	v_div_fixup_f64 v[0:1], v[2:3], v[0:1], 1.0
	v_mul_f64 v[2:3], v[10:11], -v[0:1]
.LBB122_1150:
	s_or_b64 exec, exec, s[18:19]
.LBB122_1151:
	s_or_b64 exec, exec, s[4:5]
	v_cmp_ne_u32_e32 vcc, v19, v4
	s_and_saveexec_b64 s[4:5], vcc
	s_xor_b64 s[4:5], exec, s[4:5]
	s_cbranch_execz .LBB122_1157
; %bb.1152:
	v_cmp_eq_u32_e32 vcc, 49, v19
	s_and_saveexec_b64 s[18:19], vcc
	s_cbranch_execz .LBB122_1156
; %bb.1153:
	v_cmp_ne_u32_e32 vcc, 49, v4
	s_xor_b64 s[16:17], s[22:23], -1
	s_and_b64 s[16:17], s[16:17], vcc
	s_and_saveexec_b64 s[24:25], s[16:17]
	s_cbranch_execz .LBB122_1155
; %bb.1154:
	v_ashrrev_i32_e32 v5, 31, v4
	v_lshlrev_b64 v[10:11], 2, v[4:5]
	v_add_co_u32_e32 v10, vcc, v8, v10
	v_addc_co_u32_e32 v11, vcc, v9, v11, vcc
	global_load_dword v5, v[10:11], off
	global_load_dword v12, v[8:9], off offset:196
	s_waitcnt vmcnt(1)
	global_store_dword v[8:9], v5, off offset:196
	s_waitcnt vmcnt(1)
	global_store_dword v[10:11], v12, off
.LBB122_1155:
	s_or_b64 exec, exec, s[24:25]
	v_mov_b32_e32 v19, v4
	v_mov_b32_e32 v18, v4
.LBB122_1156:
	s_or_b64 exec, exec, s[18:19]
.LBB122_1157:
	s_andn2_saveexec_b64 s[4:5], s[4:5]
	s_cbranch_execz .LBB122_1159
; %bb.1158:
	v_mov_b32_e32 v11, s36
	v_mov_b32_e32 v20, s35
	v_mov_b32_e32 v24, s34
	v_mov_b32_e32 v28, s33
	v_mov_b32_e32 v32, s31
	v_mov_b32_e32 v36, s30
	v_mov_b32_e32 v40, s29
	v_mov_b32_e32 v44, s28
	v_mov_b32_e32 v48, s27
	v_mov_b32_e32 v52, s26
	v_mov_b32_e32 v56, s20
	v_mov_b32_e32 v60, s7
	buffer_load_dword v4, v11, s[0:3], 0 offen
	buffer_load_dword v5, v11, s[0:3], 0 offen offset:4
	buffer_load_dword v10, v11, s[0:3], 0 offen offset:8
	s_nop 0
	buffer_load_dword v11, v11, s[0:3], 0 offen offset:12
	s_nop 0
	buffer_load_dword v12, v20, s[0:3], 0 offen
	buffer_load_dword v13, v20, s[0:3], 0 offen offset:4
	buffer_load_dword v19, v20, s[0:3], 0 offen offset:8
	s_nop 0
	buffer_load_dword v20, v20, s[0:3], 0 offen offset:12
	s_nop 0
	;; [unrolled: 6-line block ×11, first 2 shown]
	buffer_load_dword v57, v60, s[0:3], 0 offen
	buffer_load_dword v58, v60, s[0:3], 0 offen offset:4
	buffer_load_dword v59, v60, s[0:3], 0 offen offset:8
	s_nop 0
	buffer_load_dword v60, v60, s[0:3], 0 offen offset:12
	s_waitcnt vmcnt(44)
	ds_write2_b64 v16, v[4:5], v[10:11] offset0:100 offset1:101
	s_waitcnt vmcnt(40)
	ds_write2_b64 v16, v[12:13], v[19:20] offset0:102 offset1:103
	s_waitcnt vmcnt(36)
	ds_write2_b64 v16, v[21:22], v[23:24] offset0:104 offset1:105
	s_waitcnt vmcnt(32)
	ds_write2_b64 v16, v[25:26], v[27:28] offset0:106 offset1:107
	s_waitcnt vmcnt(28)
	ds_write2_b64 v16, v[29:30], v[31:32] offset0:108 offset1:109
	s_waitcnt vmcnt(24)
	ds_write2_b64 v16, v[33:34], v[35:36] offset0:110 offset1:111
	s_waitcnt vmcnt(20)
	ds_write2_b64 v16, v[37:38], v[39:40] offset0:112 offset1:113
	s_waitcnt vmcnt(16)
	ds_write2_b64 v16, v[41:42], v[43:44] offset0:114 offset1:115
	s_waitcnt vmcnt(12)
	ds_write2_b64 v16, v[45:46], v[47:48] offset0:116 offset1:117
	s_waitcnt vmcnt(8)
	ds_write2_b64 v16, v[49:50], v[51:52] offset0:118 offset1:119
	s_waitcnt vmcnt(4)
	ds_write2_b64 v16, v[53:54], v[55:56] offset0:120 offset1:121
	s_waitcnt vmcnt(0)
	ds_write2_b64 v16, v[57:58], v[59:60] offset0:122 offset1:123
	v_mov_b32_e32 v19, 49
.LBB122_1159:
	s_or_b64 exec, exec, s[4:5]
	v_cmp_lt_i32_e32 vcc, 49, v19
	s_waitcnt vmcnt(0) lgkmcnt(0)
	s_barrier
	s_and_saveexec_b64 s[4:5], vcc
	s_cbranch_execz .LBB122_1161
; %bb.1160:
	buffer_load_dword v4, off, s[0:3], 0 offset:784
	buffer_load_dword v5, off, s[0:3], 0 offset:788
	;; [unrolled: 1-line block ×16, first 2 shown]
	s_waitcnt vmcnt(12)
	v_mul_f64 v[30:31], v[2:3], v[10:11]
	v_fma_f64 v[30:31], v[0:1], v[4:5], -v[30:31]
	v_mul_f64 v[0:1], v[0:1], v[10:11]
	v_fma_f64 v[4:5], v[2:3], v[4:5], v[0:1]
	buffer_store_dword v30, off, s[0:3], 0 offset:784
	buffer_store_dword v31, off, s[0:3], 0 offset:788
	buffer_store_dword v4, off, s[0:3], 0 offset:792
	buffer_store_dword v5, off, s[0:3], 0 offset:796
	ds_read2_b64 v[0:3], v16 offset0:100 offset1:101
	s_waitcnt lgkmcnt(0)
	v_mul_f64 v[10:11], v[2:3], v[4:5]
	v_fma_f64 v[10:11], v[0:1], v[30:31], -v[10:11]
	v_mul_f64 v[0:1], v[0:1], v[4:5]
	v_fma_f64 v[0:1], v[2:3], v[30:31], v[0:1]
	s_waitcnt vmcnt(14)
	v_add_f64 v[2:3], v[12:13], -v[10:11]
	s_waitcnt vmcnt(12)
	v_add_f64 v[0:1], v[20:21], -v[0:1]
	buffer_store_dword v2, off, s[0:3], 0 offset:800
	buffer_store_dword v3, off, s[0:3], 0 offset:804
	buffer_store_dword v0, off, s[0:3], 0 offset:808
	buffer_store_dword v1, off, s[0:3], 0 offset:812
	ds_read2_b64 v[0:3], v16 offset0:102 offset1:103
	s_waitcnt lgkmcnt(0)
	v_mul_f64 v[10:11], v[2:3], v[4:5]
	v_fma_f64 v[10:11], v[0:1], v[30:31], -v[10:11]
	v_mul_f64 v[0:1], v[0:1], v[4:5]
	v_fma_f64 v[0:1], v[2:3], v[30:31], v[0:1]
	s_waitcnt vmcnt(14)
	v_add_f64 v[2:3], v[22:23], -v[10:11]
	s_waitcnt vmcnt(12)
	v_add_f64 v[0:1], v[24:25], -v[0:1]
	;; [unrolled: 14-line block ×3, first 2 shown]
	buffer_store_dword v3, off, s[0:3], 0 offset:836
	buffer_store_dword v2, off, s[0:3], 0 offset:832
	buffer_store_dword v0, off, s[0:3], 0 offset:840
	buffer_store_dword v1, off, s[0:3], 0 offset:844
	ds_read2_b64 v[0:3], v16 offset0:106 offset1:107
	s_waitcnt lgkmcnt(0)
	v_mul_f64 v[10:11], v[2:3], v[4:5]
	v_fma_f64 v[10:11], v[0:1], v[30:31], -v[10:11]
	v_mul_f64 v[0:1], v[0:1], v[4:5]
	v_fma_f64 v[0:1], v[2:3], v[30:31], v[0:1]
	buffer_load_dword v2, off, s[0:3], 0 offset:848
	buffer_load_dword v3, off, s[0:3], 0 offset:852
	buffer_load_dword v12, off, s[0:3], 0 offset:856
	buffer_load_dword v13, off, s[0:3], 0 offset:860
	s_waitcnt vmcnt(2)
	v_add_f64 v[2:3], v[2:3], -v[10:11]
	s_waitcnt vmcnt(0)
	v_add_f64 v[0:1], v[12:13], -v[0:1]
	buffer_store_dword v3, off, s[0:3], 0 offset:852
	buffer_store_dword v2, off, s[0:3], 0 offset:848
	buffer_store_dword v1, off, s[0:3], 0 offset:860
	buffer_store_dword v0, off, s[0:3], 0 offset:856
	ds_read2_b64 v[0:3], v16 offset0:108 offset1:109
	s_waitcnt lgkmcnt(0)
	v_mul_f64 v[10:11], v[2:3], v[4:5]
	v_fma_f64 v[10:11], v[0:1], v[30:31], -v[10:11]
	v_mul_f64 v[0:1], v[0:1], v[4:5]
	v_fma_f64 v[0:1], v[2:3], v[30:31], v[0:1]
	buffer_load_dword v2, off, s[0:3], 0 offset:864
	buffer_load_dword v3, off, s[0:3], 0 offset:868
	buffer_load_dword v12, off, s[0:3], 0 offset:872
	buffer_load_dword v13, off, s[0:3], 0 offset:876
	s_waitcnt vmcnt(2)
	v_add_f64 v[2:3], v[2:3], -v[10:11]
	s_waitcnt vmcnt(0)
	v_add_f64 v[0:1], v[12:13], -v[0:1]
	buffer_store_dword v3, off, s[0:3], 0 offset:868
	buffer_store_dword v2, off, s[0:3], 0 offset:864
	buffer_store_dword v1, off, s[0:3], 0 offset:876
	buffer_store_dword v0, off, s[0:3], 0 offset:872
	ds_read2_b64 v[0:3], v16 offset0:110 offset1:111
	s_waitcnt lgkmcnt(0)
	v_mul_f64 v[10:11], v[2:3], v[4:5]
	v_fma_f64 v[10:11], v[0:1], v[30:31], -v[10:11]
	v_mul_f64 v[0:1], v[0:1], v[4:5]
	v_fma_f64 v[0:1], v[2:3], v[30:31], v[0:1]
	buffer_load_dword v2, off, s[0:3], 0 offset:880
	buffer_load_dword v3, off, s[0:3], 0 offset:884
	buffer_load_dword v4, off, s[0:3], 0 offset:888
	buffer_load_dword v5, off, s[0:3], 0 offset:892
	s_waitcnt vmcnt(2)
	v_add_f64 v[2:3], v[2:3], -v[10:11]
	s_waitcnt vmcnt(0)
	v_add_f64 v[0:1], v[4:5], -v[0:1]
	buffer_store_dword v3, off, s[0:3], 0 offset:884
	buffer_store_dword v2, off, s[0:3], 0 offset:880
	;; [unrolled: 1-line block ×4, first 2 shown]
	ds_read2_b64 v[10:13], v16 offset0:112 offset1:113
	buffer_load_dword v0, off, s[0:3], 0 offset:784
	buffer_load_dword v1, off, s[0:3], 0 offset:788
	;; [unrolled: 1-line block ×4, first 2 shown]
	s_waitcnt vmcnt(0) lgkmcnt(0)
	v_mul_f64 v[4:5], v[12:13], v[2:3]
	v_fma_f64 v[4:5], v[10:11], v[0:1], -v[4:5]
	v_mul_f64 v[10:11], v[10:11], v[2:3]
	v_fma_f64 v[10:11], v[12:13], v[0:1], v[10:11]
	buffer_load_dword v13, off, s[0:3], 0 offset:900
	buffer_load_dword v12, off, s[0:3], 0 offset:896
	s_waitcnt vmcnt(0)
	v_add_f64 v[4:5], v[12:13], -v[4:5]
	buffer_load_dword v13, off, s[0:3], 0 offset:908
	buffer_load_dword v12, off, s[0:3], 0 offset:904
	s_waitcnt vmcnt(0)
	v_add_f64 v[10:11], v[12:13], -v[10:11]
	buffer_store_dword v5, off, s[0:3], 0 offset:900
	buffer_store_dword v4, off, s[0:3], 0 offset:896
	buffer_store_dword v11, off, s[0:3], 0 offset:908
	buffer_store_dword v10, off, s[0:3], 0 offset:904
	ds_read2_b64 v[10:13], v16 offset0:114 offset1:115
	s_waitcnt lgkmcnt(0)
	v_mul_f64 v[4:5], v[12:13], v[2:3]
	v_fma_f64 v[4:5], v[10:11], v[0:1], -v[4:5]
	v_mul_f64 v[10:11], v[10:11], v[2:3]
	v_fma_f64 v[10:11], v[12:13], v[0:1], v[10:11]
	buffer_load_dword v12, off, s[0:3], 0 offset:912
	buffer_load_dword v13, off, s[0:3], 0 offset:916
	buffer_load_dword v20, off, s[0:3], 0 offset:920
	buffer_load_dword v21, off, s[0:3], 0 offset:924
	s_waitcnt vmcnt(2)
	v_add_f64 v[4:5], v[12:13], -v[4:5]
	s_waitcnt vmcnt(0)
	v_add_f64 v[10:11], v[20:21], -v[10:11]
	buffer_store_dword v5, off, s[0:3], 0 offset:916
	buffer_store_dword v4, off, s[0:3], 0 offset:912
	buffer_store_dword v11, off, s[0:3], 0 offset:924
	buffer_store_dword v10, off, s[0:3], 0 offset:920
	ds_read2_b64 v[10:13], v16 offset0:116 offset1:117
	s_waitcnt lgkmcnt(0)
	v_mul_f64 v[4:5], v[12:13], v[2:3]
	v_fma_f64 v[4:5], v[10:11], v[0:1], -v[4:5]
	v_mul_f64 v[10:11], v[10:11], v[2:3]
	v_fma_f64 v[10:11], v[12:13], v[0:1], v[10:11]
	buffer_load_dword v12, off, s[0:3], 0 offset:928
	buffer_load_dword v13, off, s[0:3], 0 offset:932
	buffer_load_dword v20, off, s[0:3], 0 offset:936
	buffer_load_dword v21, off, s[0:3], 0 offset:940
	s_waitcnt vmcnt(2)
	v_add_f64 v[4:5], v[12:13], -v[4:5]
	s_waitcnt vmcnt(0)
	v_add_f64 v[10:11], v[20:21], -v[10:11]
	buffer_store_dword v5, off, s[0:3], 0 offset:932
	buffer_store_dword v4, off, s[0:3], 0 offset:928
	buffer_store_dword v11, off, s[0:3], 0 offset:940
	buffer_store_dword v10, off, s[0:3], 0 offset:936
	ds_read2_b64 v[10:13], v16 offset0:118 offset1:119
	s_waitcnt lgkmcnt(0)
	v_mul_f64 v[4:5], v[12:13], v[2:3]
	v_fma_f64 v[4:5], v[10:11], v[0:1], -v[4:5]
	v_mul_f64 v[10:11], v[10:11], v[2:3]
	v_fma_f64 v[10:11], v[12:13], v[0:1], v[10:11]
	buffer_load_dword v12, off, s[0:3], 0 offset:944
	buffer_load_dword v13, off, s[0:3], 0 offset:948
	buffer_load_dword v20, off, s[0:3], 0 offset:952
	buffer_load_dword v21, off, s[0:3], 0 offset:956
	s_waitcnt vmcnt(2)
	v_add_f64 v[4:5], v[12:13], -v[4:5]
	s_waitcnt vmcnt(0)
	v_add_f64 v[10:11], v[20:21], -v[10:11]
	buffer_store_dword v5, off, s[0:3], 0 offset:948
	buffer_store_dword v4, off, s[0:3], 0 offset:944
	buffer_store_dword v11, off, s[0:3], 0 offset:956
	buffer_store_dword v10, off, s[0:3], 0 offset:952
	ds_read2_b64 v[10:13], v16 offset0:120 offset1:121
	s_waitcnt lgkmcnt(0)
	v_mul_f64 v[4:5], v[12:13], v[2:3]
	v_fma_f64 v[4:5], v[10:11], v[0:1], -v[4:5]
	v_mul_f64 v[10:11], v[10:11], v[2:3]
	v_fma_f64 v[10:11], v[12:13], v[0:1], v[10:11]
	buffer_load_dword v12, off, s[0:3], 0 offset:960
	buffer_load_dword v13, off, s[0:3], 0 offset:964
	buffer_load_dword v20, off, s[0:3], 0 offset:968
	buffer_load_dword v21, off, s[0:3], 0 offset:972
	s_waitcnt vmcnt(2)
	v_add_f64 v[4:5], v[12:13], -v[4:5]
	s_waitcnt vmcnt(0)
	v_add_f64 v[10:11], v[20:21], -v[10:11]
	buffer_store_dword v5, off, s[0:3], 0 offset:964
	buffer_store_dword v4, off, s[0:3], 0 offset:960
	;; [unrolled: 1-line block ×4, first 2 shown]
	ds_read2_b64 v[10:13], v16 offset0:122 offset1:123
	s_waitcnt lgkmcnt(0)
	v_mul_f64 v[4:5], v[12:13], v[2:3]
	v_mul_f64 v[2:3], v[10:11], v[2:3]
	v_fma_f64 v[4:5], v[10:11], v[0:1], -v[4:5]
	v_fma_f64 v[0:1], v[12:13], v[0:1], v[2:3]
	buffer_load_dword v2, off, s[0:3], 0 offset:976
	buffer_load_dword v3, off, s[0:3], 0 offset:980
	;; [unrolled: 1-line block ×4, first 2 shown]
	s_waitcnt vmcnt(2)
	v_add_f64 v[2:3], v[2:3], -v[4:5]
	s_waitcnt vmcnt(0)
	v_add_f64 v[0:1], v[10:11], -v[0:1]
	buffer_store_dword v3, off, s[0:3], 0 offset:980
	buffer_store_dword v2, off, s[0:3], 0 offset:976
	;; [unrolled: 1-line block ×4, first 2 shown]
.LBB122_1161:
	s_or_b64 exec, exec, s[4:5]
	v_mov_b32_e32 v3, s36
	s_waitcnt vmcnt(0)
	s_barrier
	buffer_load_dword v0, v3, s[0:3], 0 offen
	buffer_load_dword v1, v3, s[0:3], 0 offen offset:4
	buffer_load_dword v2, v3, s[0:3], 0 offen offset:8
	s_nop 0
	buffer_load_dword v3, v3, s[0:3], 0 offen offset:12
	v_lshl_add_u32 v4, v19, 4, v16
	s_cmp_lt_i32 s65, 52
	s_waitcnt vmcnt(0)
	ds_write2_b64 v4, v[0:1], v[2:3] offset1:1
	s_waitcnt lgkmcnt(0)
	s_barrier
	ds_read2_b64 v[0:3], v16 offset0:100 offset1:101
	v_mov_b32_e32 v4, 50
	s_cbranch_scc1 .LBB122_1164
; %bb.1162:
	v_add_u32_e32 v5, 0x330, v16
	s_mov_b32 s16, 51
	v_mov_b32_e32 v4, 50
.LBB122_1163:                           ; =>This Inner Loop Header: Depth=1
	s_waitcnt lgkmcnt(0)
	v_cmp_gt_f64_e32 vcc, 0, v[2:3]
	v_cmp_gt_f64_e64 s[4:5], 0, v[0:1]
	ds_read2_b64 v[10:13], v5 offset1:1
	v_xor_b32_e32 v21, 0x80000000, v1
	v_xor_b32_e32 v23, 0x80000000, v3
	v_mov_b32_e32 v20, v0
	v_mov_b32_e32 v22, v2
	s_waitcnt lgkmcnt(0)
	v_xor_b32_e32 v25, 0x80000000, v13
	v_cndmask_b32_e32 v23, v3, v23, vcc
	v_cndmask_b32_e64 v21, v1, v21, s[4:5]
	v_cmp_gt_f64_e32 vcc, 0, v[12:13]
	v_cmp_gt_f64_e64 s[4:5], 0, v[10:11]
	v_add_f64 v[20:21], v[20:21], v[22:23]
	v_xor_b32_e32 v23, 0x80000000, v11
	v_mov_b32_e32 v22, v10
	v_mov_b32_e32 v24, v12
	v_add_u32_e32 v5, 16, v5
	v_cndmask_b32_e32 v25, v13, v25, vcc
	v_cndmask_b32_e64 v23, v11, v23, s[4:5]
	v_add_f64 v[22:23], v[22:23], v[24:25]
	v_mov_b32_e32 v24, s16
	s_add_i32 s16, s16, 1
	s_cmp_lg_u32 s65, s16
	v_cmp_lt_f64_e32 vcc, v[20:21], v[22:23]
	v_cndmask_b32_e32 v1, v1, v11, vcc
	v_cndmask_b32_e32 v0, v0, v10, vcc
	v_cndmask_b32_e32 v3, v3, v13, vcc
	v_cndmask_b32_e32 v2, v2, v12, vcc
	v_cndmask_b32_e32 v4, v4, v24, vcc
	s_cbranch_scc1 .LBB122_1163
.LBB122_1164:
	s_waitcnt lgkmcnt(0)
	v_cmp_eq_f64_e32 vcc, 0, v[0:1]
	v_cmp_eq_f64_e64 s[4:5], 0, v[2:3]
	s_and_b64 s[4:5], vcc, s[4:5]
	s_and_saveexec_b64 s[16:17], s[4:5]
	s_xor_b64 s[4:5], exec, s[16:17]
; %bb.1165:
	v_cmp_ne_u32_e32 vcc, 0, v17
	v_cndmask_b32_e32 v17, 51, v17, vcc
; %bb.1166:
	s_andn2_saveexec_b64 s[4:5], s[4:5]
	s_cbranch_execz .LBB122_1172
; %bb.1167:
	v_cmp_ngt_f64_e64 s[16:17], |v[0:1]|, |v[2:3]|
	s_and_saveexec_b64 s[18:19], s[16:17]
	s_xor_b64 s[18:19], exec, s[18:19]
	s_cbranch_execz .LBB122_1169
; %bb.1168:
	v_div_scale_f64 v[10:11], s[16:17], v[2:3], v[2:3], v[0:1]
	v_rcp_f64_e32 v[12:13], v[10:11]
	v_fma_f64 v[20:21], -v[10:11], v[12:13], 1.0
	v_fma_f64 v[12:13], v[12:13], v[20:21], v[12:13]
	v_div_scale_f64 v[20:21], vcc, v[0:1], v[2:3], v[0:1]
	v_fma_f64 v[22:23], -v[10:11], v[12:13], 1.0
	v_fma_f64 v[12:13], v[12:13], v[22:23], v[12:13]
	v_mul_f64 v[22:23], v[20:21], v[12:13]
	v_fma_f64 v[10:11], -v[10:11], v[22:23], v[20:21]
	v_div_fmas_f64 v[10:11], v[10:11], v[12:13], v[22:23]
	v_div_fixup_f64 v[10:11], v[10:11], v[2:3], v[0:1]
	v_fma_f64 v[0:1], v[0:1], v[10:11], v[2:3]
	v_div_scale_f64 v[2:3], s[16:17], v[0:1], v[0:1], 1.0
	v_div_scale_f64 v[22:23], vcc, 1.0, v[0:1], 1.0
	v_rcp_f64_e32 v[12:13], v[2:3]
	v_fma_f64 v[20:21], -v[2:3], v[12:13], 1.0
	v_fma_f64 v[12:13], v[12:13], v[20:21], v[12:13]
	v_fma_f64 v[20:21], -v[2:3], v[12:13], 1.0
	v_fma_f64 v[12:13], v[12:13], v[20:21], v[12:13]
	v_mul_f64 v[20:21], v[22:23], v[12:13]
	v_fma_f64 v[2:3], -v[2:3], v[20:21], v[22:23]
	v_div_fmas_f64 v[2:3], v[2:3], v[12:13], v[20:21]
	v_div_fixup_f64 v[2:3], v[2:3], v[0:1], 1.0
	v_mul_f64 v[0:1], v[10:11], v[2:3]
	v_xor_b32_e32 v3, 0x80000000, v3
.LBB122_1169:
	s_andn2_saveexec_b64 s[18:19], s[18:19]
	s_cbranch_execz .LBB122_1171
; %bb.1170:
	v_div_scale_f64 v[10:11], s[16:17], v[0:1], v[0:1], v[2:3]
	v_rcp_f64_e32 v[12:13], v[10:11]
	v_fma_f64 v[20:21], -v[10:11], v[12:13], 1.0
	v_fma_f64 v[12:13], v[12:13], v[20:21], v[12:13]
	v_div_scale_f64 v[20:21], vcc, v[2:3], v[0:1], v[2:3]
	v_fma_f64 v[22:23], -v[10:11], v[12:13], 1.0
	v_fma_f64 v[12:13], v[12:13], v[22:23], v[12:13]
	v_mul_f64 v[22:23], v[20:21], v[12:13]
	v_fma_f64 v[10:11], -v[10:11], v[22:23], v[20:21]
	v_div_fmas_f64 v[10:11], v[10:11], v[12:13], v[22:23]
	v_div_fixup_f64 v[10:11], v[10:11], v[0:1], v[2:3]
	v_fma_f64 v[0:1], v[2:3], v[10:11], v[0:1]
	v_div_scale_f64 v[2:3], s[16:17], v[0:1], v[0:1], 1.0
	v_div_scale_f64 v[22:23], vcc, 1.0, v[0:1], 1.0
	v_rcp_f64_e32 v[12:13], v[2:3]
	v_fma_f64 v[20:21], -v[2:3], v[12:13], 1.0
	v_fma_f64 v[12:13], v[12:13], v[20:21], v[12:13]
	v_fma_f64 v[20:21], -v[2:3], v[12:13], 1.0
	v_fma_f64 v[12:13], v[12:13], v[20:21], v[12:13]
	v_mul_f64 v[20:21], v[22:23], v[12:13]
	v_fma_f64 v[2:3], -v[2:3], v[20:21], v[22:23]
	v_div_fmas_f64 v[2:3], v[2:3], v[12:13], v[20:21]
	v_div_fixup_f64 v[0:1], v[2:3], v[0:1], 1.0
	v_mul_f64 v[2:3], v[10:11], -v[0:1]
.LBB122_1171:
	s_or_b64 exec, exec, s[18:19]
.LBB122_1172:
	s_or_b64 exec, exec, s[4:5]
	v_cmp_ne_u32_e32 vcc, v19, v4
	s_and_saveexec_b64 s[4:5], vcc
	s_xor_b64 s[4:5], exec, s[4:5]
	s_cbranch_execz .LBB122_1178
; %bb.1173:
	v_cmp_eq_u32_e32 vcc, 50, v19
	s_and_saveexec_b64 s[18:19], vcc
	s_cbranch_execz .LBB122_1177
; %bb.1174:
	v_cmp_ne_u32_e32 vcc, 50, v4
	s_xor_b64 s[16:17], s[22:23], -1
	s_and_b64 s[16:17], s[16:17], vcc
	s_and_saveexec_b64 s[24:25], s[16:17]
	s_cbranch_execz .LBB122_1176
; %bb.1175:
	v_ashrrev_i32_e32 v5, 31, v4
	v_lshlrev_b64 v[10:11], 2, v[4:5]
	v_add_co_u32_e32 v10, vcc, v8, v10
	v_addc_co_u32_e32 v11, vcc, v9, v11, vcc
	global_load_dword v5, v[10:11], off
	global_load_dword v12, v[8:9], off offset:200
	s_waitcnt vmcnt(1)
	global_store_dword v[8:9], v5, off offset:200
	s_waitcnt vmcnt(1)
	global_store_dword v[10:11], v12, off
.LBB122_1176:
	s_or_b64 exec, exec, s[24:25]
	v_mov_b32_e32 v19, v4
	v_mov_b32_e32 v18, v4
.LBB122_1177:
	s_or_b64 exec, exec, s[18:19]
.LBB122_1178:
	s_andn2_saveexec_b64 s[4:5], s[4:5]
	s_cbranch_execz .LBB122_1180
; %bb.1179:
	v_mov_b32_e32 v11, s35
	v_mov_b32_e32 v20, s34
	;; [unrolled: 1-line block ×11, first 2 shown]
	buffer_load_dword v4, v11, s[0:3], 0 offen
	buffer_load_dword v5, v11, s[0:3], 0 offen offset:4
	buffer_load_dword v10, v11, s[0:3], 0 offen offset:8
	s_nop 0
	buffer_load_dword v11, v11, s[0:3], 0 offen offset:12
	s_nop 0
	buffer_load_dword v12, v20, s[0:3], 0 offen
	buffer_load_dword v13, v20, s[0:3], 0 offen offset:4
	buffer_load_dword v19, v20, s[0:3], 0 offen offset:8
	s_nop 0
	buffer_load_dword v20, v20, s[0:3], 0 offen offset:12
	s_nop 0
	;; [unrolled: 6-line block ×10, first 2 shown]
	buffer_load_dword v53, v56, s[0:3], 0 offen
	buffer_load_dword v54, v56, s[0:3], 0 offen offset:4
	buffer_load_dword v55, v56, s[0:3], 0 offen offset:8
	s_nop 0
	buffer_load_dword v56, v56, s[0:3], 0 offen offset:12
	s_waitcnt vmcnt(40)
	ds_write2_b64 v16, v[4:5], v[10:11] offset0:102 offset1:103
	s_waitcnt vmcnt(36)
	ds_write2_b64 v16, v[12:13], v[19:20] offset0:104 offset1:105
	;; [unrolled: 2-line block ×11, first 2 shown]
	v_mov_b32_e32 v19, 50
.LBB122_1180:
	s_or_b64 exec, exec, s[4:5]
	v_cmp_lt_i32_e32 vcc, 50, v19
	s_waitcnt vmcnt(0) lgkmcnt(0)
	s_barrier
	s_and_saveexec_b64 s[4:5], vcc
	s_cbranch_execz .LBB122_1182
; %bb.1181:
	buffer_load_dword v4, off, s[0:3], 0 offset:800
	buffer_load_dword v5, off, s[0:3], 0 offset:804
	;; [unrolled: 1-line block ×16, first 2 shown]
	s_waitcnt vmcnt(12)
	v_mul_f64 v[30:31], v[2:3], v[10:11]
	v_fma_f64 v[30:31], v[0:1], v[4:5], -v[30:31]
	v_mul_f64 v[0:1], v[0:1], v[10:11]
	v_fma_f64 v[4:5], v[2:3], v[4:5], v[0:1]
	buffer_store_dword v30, off, s[0:3], 0 offset:800
	buffer_store_dword v31, off, s[0:3], 0 offset:804
	buffer_store_dword v4, off, s[0:3], 0 offset:808
	buffer_store_dword v5, off, s[0:3], 0 offset:812
	ds_read2_b64 v[0:3], v16 offset0:102 offset1:103
	s_waitcnt lgkmcnt(0)
	v_mul_f64 v[10:11], v[2:3], v[4:5]
	v_fma_f64 v[10:11], v[0:1], v[30:31], -v[10:11]
	v_mul_f64 v[0:1], v[0:1], v[4:5]
	v_fma_f64 v[0:1], v[2:3], v[30:31], v[0:1]
	s_waitcnt vmcnt(14)
	v_add_f64 v[2:3], v[12:13], -v[10:11]
	s_waitcnt vmcnt(12)
	v_add_f64 v[0:1], v[20:21], -v[0:1]
	buffer_store_dword v2, off, s[0:3], 0 offset:816
	buffer_store_dword v3, off, s[0:3], 0 offset:820
	buffer_store_dword v0, off, s[0:3], 0 offset:824
	buffer_store_dword v1, off, s[0:3], 0 offset:828
	ds_read2_b64 v[0:3], v16 offset0:104 offset1:105
	s_waitcnt lgkmcnt(0)
	v_mul_f64 v[10:11], v[2:3], v[4:5]
	v_fma_f64 v[10:11], v[0:1], v[30:31], -v[10:11]
	v_mul_f64 v[0:1], v[0:1], v[4:5]
	v_fma_f64 v[0:1], v[2:3], v[30:31], v[0:1]
	s_waitcnt vmcnt(14)
	v_add_f64 v[2:3], v[22:23], -v[10:11]
	s_waitcnt vmcnt(12)
	v_add_f64 v[0:1], v[24:25], -v[0:1]
	;; [unrolled: 14-line block ×3, first 2 shown]
	buffer_store_dword v3, off, s[0:3], 0 offset:852
	buffer_store_dword v2, off, s[0:3], 0 offset:848
	buffer_store_dword v0, off, s[0:3], 0 offset:856
	buffer_store_dword v1, off, s[0:3], 0 offset:860
	ds_read2_b64 v[0:3], v16 offset0:108 offset1:109
	s_waitcnt lgkmcnt(0)
	v_mul_f64 v[10:11], v[2:3], v[4:5]
	v_fma_f64 v[10:11], v[0:1], v[30:31], -v[10:11]
	v_mul_f64 v[0:1], v[0:1], v[4:5]
	v_fma_f64 v[0:1], v[2:3], v[30:31], v[0:1]
	buffer_load_dword v2, off, s[0:3], 0 offset:864
	buffer_load_dword v3, off, s[0:3], 0 offset:868
	buffer_load_dword v12, off, s[0:3], 0 offset:872
	buffer_load_dword v13, off, s[0:3], 0 offset:876
	s_waitcnt vmcnt(2)
	v_add_f64 v[2:3], v[2:3], -v[10:11]
	s_waitcnt vmcnt(0)
	v_add_f64 v[0:1], v[12:13], -v[0:1]
	buffer_store_dword v3, off, s[0:3], 0 offset:868
	buffer_store_dword v2, off, s[0:3], 0 offset:864
	buffer_store_dword v1, off, s[0:3], 0 offset:876
	buffer_store_dword v0, off, s[0:3], 0 offset:872
	ds_read2_b64 v[0:3], v16 offset0:110 offset1:111
	s_waitcnt lgkmcnt(0)
	v_mul_f64 v[10:11], v[2:3], v[4:5]
	v_fma_f64 v[10:11], v[0:1], v[30:31], -v[10:11]
	v_mul_f64 v[0:1], v[0:1], v[4:5]
	v_fma_f64 v[0:1], v[2:3], v[30:31], v[0:1]
	buffer_load_dword v2, off, s[0:3], 0 offset:880
	buffer_load_dword v3, off, s[0:3], 0 offset:884
	buffer_load_dword v12, off, s[0:3], 0 offset:888
	buffer_load_dword v13, off, s[0:3], 0 offset:892
	s_waitcnt vmcnt(2)
	v_add_f64 v[2:3], v[2:3], -v[10:11]
	s_waitcnt vmcnt(0)
	v_add_f64 v[0:1], v[12:13], -v[0:1]
	;; [unrolled: 18-line block ×3, first 2 shown]
	buffer_store_dword v3, off, s[0:3], 0 offset:900
	buffer_store_dword v2, off, s[0:3], 0 offset:896
	;; [unrolled: 1-line block ×4, first 2 shown]
	ds_read2_b64 v[0:3], v16 offset0:114 offset1:115
	buffer_load_dword v4, off, s[0:3], 0 offset:800
	buffer_load_dword v5, off, s[0:3], 0 offset:804
	;; [unrolled: 1-line block ×4, first 2 shown]
	s_waitcnt vmcnt(0) lgkmcnt(0)
	v_mul_f64 v[12:13], v[2:3], v[10:11]
	v_fma_f64 v[12:13], v[0:1], v[4:5], -v[12:13]
	v_mul_f64 v[0:1], v[0:1], v[10:11]
	v_fma_f64 v[0:1], v[2:3], v[4:5], v[0:1]
	buffer_load_dword v3, off, s[0:3], 0 offset:916
	buffer_load_dword v2, off, s[0:3], 0 offset:912
	s_waitcnt vmcnt(0)
	v_add_f64 v[2:3], v[2:3], -v[12:13]
	buffer_load_dword v13, off, s[0:3], 0 offset:924
	buffer_load_dword v12, off, s[0:3], 0 offset:920
	s_waitcnt vmcnt(0)
	v_add_f64 v[0:1], v[12:13], -v[0:1]
	buffer_store_dword v3, off, s[0:3], 0 offset:916
	buffer_store_dword v2, off, s[0:3], 0 offset:912
	buffer_store_dword v1, off, s[0:3], 0 offset:924
	buffer_store_dword v0, off, s[0:3], 0 offset:920
	ds_read2_b64 v[0:3], v16 offset0:116 offset1:117
	s_waitcnt lgkmcnt(0)
	v_mul_f64 v[12:13], v[2:3], v[10:11]
	v_fma_f64 v[12:13], v[0:1], v[4:5], -v[12:13]
	v_mul_f64 v[0:1], v[0:1], v[10:11]
	v_fma_f64 v[0:1], v[2:3], v[4:5], v[0:1]
	buffer_load_dword v2, off, s[0:3], 0 offset:928
	buffer_load_dword v3, off, s[0:3], 0 offset:932
	buffer_load_dword v20, off, s[0:3], 0 offset:936
	buffer_load_dword v21, off, s[0:3], 0 offset:940
	s_waitcnt vmcnt(2)
	v_add_f64 v[2:3], v[2:3], -v[12:13]
	s_waitcnt vmcnt(0)
	v_add_f64 v[0:1], v[20:21], -v[0:1]
	buffer_store_dword v3, off, s[0:3], 0 offset:932
	buffer_store_dword v2, off, s[0:3], 0 offset:928
	buffer_store_dword v1, off, s[0:3], 0 offset:940
	buffer_store_dword v0, off, s[0:3], 0 offset:936
	ds_read2_b64 v[0:3], v16 offset0:118 offset1:119
	s_waitcnt lgkmcnt(0)
	v_mul_f64 v[12:13], v[2:3], v[10:11]
	v_fma_f64 v[12:13], v[0:1], v[4:5], -v[12:13]
	v_mul_f64 v[0:1], v[0:1], v[10:11]
	v_fma_f64 v[0:1], v[2:3], v[4:5], v[0:1]
	buffer_load_dword v2, off, s[0:3], 0 offset:944
	buffer_load_dword v3, off, s[0:3], 0 offset:948
	buffer_load_dword v20, off, s[0:3], 0 offset:952
	buffer_load_dword v21, off, s[0:3], 0 offset:956
	s_waitcnt vmcnt(2)
	v_add_f64 v[2:3], v[2:3], -v[12:13]
	;; [unrolled: 18-line block ×4, first 2 shown]
	s_waitcnt vmcnt(0)
	v_add_f64 v[0:1], v[4:5], -v[0:1]
	buffer_store_dword v3, off, s[0:3], 0 offset:980
	buffer_store_dword v2, off, s[0:3], 0 offset:976
	;; [unrolled: 1-line block ×4, first 2 shown]
.LBB122_1182:
	s_or_b64 exec, exec, s[4:5]
	v_mov_b32_e32 v3, s35
	s_waitcnt vmcnt(0)
	s_barrier
	buffer_load_dword v0, v3, s[0:3], 0 offen
	buffer_load_dword v1, v3, s[0:3], 0 offen offset:4
	buffer_load_dword v2, v3, s[0:3], 0 offen offset:8
	s_nop 0
	buffer_load_dword v3, v3, s[0:3], 0 offen offset:12
	v_lshl_add_u32 v4, v19, 4, v16
	s_cmp_lt_i32 s65, 53
	s_waitcnt vmcnt(0)
	ds_write2_b64 v4, v[0:1], v[2:3] offset1:1
	s_waitcnt lgkmcnt(0)
	s_barrier
	ds_read2_b64 v[0:3], v16 offset0:102 offset1:103
	v_mov_b32_e32 v4, 51
	s_cbranch_scc1 .LBB122_1185
; %bb.1183:
	v_add_u32_e32 v5, 0x340, v16
	s_mov_b32 s16, 52
	v_mov_b32_e32 v4, 51
.LBB122_1184:                           ; =>This Inner Loop Header: Depth=1
	s_waitcnt lgkmcnt(0)
	v_cmp_gt_f64_e32 vcc, 0, v[2:3]
	v_cmp_gt_f64_e64 s[4:5], 0, v[0:1]
	ds_read2_b64 v[10:13], v5 offset1:1
	v_xor_b32_e32 v21, 0x80000000, v1
	v_xor_b32_e32 v23, 0x80000000, v3
	v_mov_b32_e32 v20, v0
	v_mov_b32_e32 v22, v2
	s_waitcnt lgkmcnt(0)
	v_xor_b32_e32 v25, 0x80000000, v13
	v_cndmask_b32_e32 v23, v3, v23, vcc
	v_cndmask_b32_e64 v21, v1, v21, s[4:5]
	v_cmp_gt_f64_e32 vcc, 0, v[12:13]
	v_cmp_gt_f64_e64 s[4:5], 0, v[10:11]
	v_add_f64 v[20:21], v[20:21], v[22:23]
	v_xor_b32_e32 v23, 0x80000000, v11
	v_mov_b32_e32 v22, v10
	v_mov_b32_e32 v24, v12
	v_add_u32_e32 v5, 16, v5
	v_cndmask_b32_e32 v25, v13, v25, vcc
	v_cndmask_b32_e64 v23, v11, v23, s[4:5]
	v_add_f64 v[22:23], v[22:23], v[24:25]
	v_mov_b32_e32 v24, s16
	s_add_i32 s16, s16, 1
	s_cmp_lg_u32 s65, s16
	v_cmp_lt_f64_e32 vcc, v[20:21], v[22:23]
	v_cndmask_b32_e32 v1, v1, v11, vcc
	v_cndmask_b32_e32 v0, v0, v10, vcc
	;; [unrolled: 1-line block ×5, first 2 shown]
	s_cbranch_scc1 .LBB122_1184
.LBB122_1185:
	s_waitcnt lgkmcnt(0)
	v_cmp_eq_f64_e32 vcc, 0, v[0:1]
	v_cmp_eq_f64_e64 s[4:5], 0, v[2:3]
	s_and_b64 s[4:5], vcc, s[4:5]
	s_and_saveexec_b64 s[16:17], s[4:5]
	s_xor_b64 s[4:5], exec, s[16:17]
; %bb.1186:
	v_cmp_ne_u32_e32 vcc, 0, v17
	v_cndmask_b32_e32 v17, 52, v17, vcc
; %bb.1187:
	s_andn2_saveexec_b64 s[4:5], s[4:5]
	s_cbranch_execz .LBB122_1193
; %bb.1188:
	v_cmp_ngt_f64_e64 s[16:17], |v[0:1]|, |v[2:3]|
	s_and_saveexec_b64 s[18:19], s[16:17]
	s_xor_b64 s[18:19], exec, s[18:19]
	s_cbranch_execz .LBB122_1190
; %bb.1189:
	v_div_scale_f64 v[10:11], s[16:17], v[2:3], v[2:3], v[0:1]
	v_rcp_f64_e32 v[12:13], v[10:11]
	v_fma_f64 v[20:21], -v[10:11], v[12:13], 1.0
	v_fma_f64 v[12:13], v[12:13], v[20:21], v[12:13]
	v_div_scale_f64 v[20:21], vcc, v[0:1], v[2:3], v[0:1]
	v_fma_f64 v[22:23], -v[10:11], v[12:13], 1.0
	v_fma_f64 v[12:13], v[12:13], v[22:23], v[12:13]
	v_mul_f64 v[22:23], v[20:21], v[12:13]
	v_fma_f64 v[10:11], -v[10:11], v[22:23], v[20:21]
	v_div_fmas_f64 v[10:11], v[10:11], v[12:13], v[22:23]
	v_div_fixup_f64 v[10:11], v[10:11], v[2:3], v[0:1]
	v_fma_f64 v[0:1], v[0:1], v[10:11], v[2:3]
	v_div_scale_f64 v[2:3], s[16:17], v[0:1], v[0:1], 1.0
	v_div_scale_f64 v[22:23], vcc, 1.0, v[0:1], 1.0
	v_rcp_f64_e32 v[12:13], v[2:3]
	v_fma_f64 v[20:21], -v[2:3], v[12:13], 1.0
	v_fma_f64 v[12:13], v[12:13], v[20:21], v[12:13]
	v_fma_f64 v[20:21], -v[2:3], v[12:13], 1.0
	v_fma_f64 v[12:13], v[12:13], v[20:21], v[12:13]
	v_mul_f64 v[20:21], v[22:23], v[12:13]
	v_fma_f64 v[2:3], -v[2:3], v[20:21], v[22:23]
	v_div_fmas_f64 v[2:3], v[2:3], v[12:13], v[20:21]
	v_div_fixup_f64 v[2:3], v[2:3], v[0:1], 1.0
	v_mul_f64 v[0:1], v[10:11], v[2:3]
	v_xor_b32_e32 v3, 0x80000000, v3
.LBB122_1190:
	s_andn2_saveexec_b64 s[18:19], s[18:19]
	s_cbranch_execz .LBB122_1192
; %bb.1191:
	v_div_scale_f64 v[10:11], s[16:17], v[0:1], v[0:1], v[2:3]
	v_rcp_f64_e32 v[12:13], v[10:11]
	v_fma_f64 v[20:21], -v[10:11], v[12:13], 1.0
	v_fma_f64 v[12:13], v[12:13], v[20:21], v[12:13]
	v_div_scale_f64 v[20:21], vcc, v[2:3], v[0:1], v[2:3]
	v_fma_f64 v[22:23], -v[10:11], v[12:13], 1.0
	v_fma_f64 v[12:13], v[12:13], v[22:23], v[12:13]
	v_mul_f64 v[22:23], v[20:21], v[12:13]
	v_fma_f64 v[10:11], -v[10:11], v[22:23], v[20:21]
	v_div_fmas_f64 v[10:11], v[10:11], v[12:13], v[22:23]
	v_div_fixup_f64 v[10:11], v[10:11], v[0:1], v[2:3]
	v_fma_f64 v[0:1], v[2:3], v[10:11], v[0:1]
	v_div_scale_f64 v[2:3], s[16:17], v[0:1], v[0:1], 1.0
	v_div_scale_f64 v[22:23], vcc, 1.0, v[0:1], 1.0
	v_rcp_f64_e32 v[12:13], v[2:3]
	v_fma_f64 v[20:21], -v[2:3], v[12:13], 1.0
	v_fma_f64 v[12:13], v[12:13], v[20:21], v[12:13]
	v_fma_f64 v[20:21], -v[2:3], v[12:13], 1.0
	v_fma_f64 v[12:13], v[12:13], v[20:21], v[12:13]
	v_mul_f64 v[20:21], v[22:23], v[12:13]
	v_fma_f64 v[2:3], -v[2:3], v[20:21], v[22:23]
	v_div_fmas_f64 v[2:3], v[2:3], v[12:13], v[20:21]
	v_div_fixup_f64 v[0:1], v[2:3], v[0:1], 1.0
	v_mul_f64 v[2:3], v[10:11], -v[0:1]
.LBB122_1192:
	s_or_b64 exec, exec, s[18:19]
.LBB122_1193:
	s_or_b64 exec, exec, s[4:5]
	v_cmp_ne_u32_e32 vcc, v19, v4
	s_and_saveexec_b64 s[4:5], vcc
	s_xor_b64 s[4:5], exec, s[4:5]
	s_cbranch_execz .LBB122_1199
; %bb.1194:
	v_cmp_eq_u32_e32 vcc, 51, v19
	s_and_saveexec_b64 s[18:19], vcc
	s_cbranch_execz .LBB122_1198
; %bb.1195:
	v_cmp_ne_u32_e32 vcc, 51, v4
	s_xor_b64 s[16:17], s[22:23], -1
	s_and_b64 s[16:17], s[16:17], vcc
	s_and_saveexec_b64 s[24:25], s[16:17]
	s_cbranch_execz .LBB122_1197
; %bb.1196:
	v_ashrrev_i32_e32 v5, 31, v4
	v_lshlrev_b64 v[10:11], 2, v[4:5]
	v_add_co_u32_e32 v10, vcc, v8, v10
	v_addc_co_u32_e32 v11, vcc, v9, v11, vcc
	global_load_dword v5, v[10:11], off
	global_load_dword v12, v[8:9], off offset:204
	s_waitcnt vmcnt(1)
	global_store_dword v[8:9], v5, off offset:204
	s_waitcnt vmcnt(1)
	global_store_dword v[10:11], v12, off
.LBB122_1197:
	s_or_b64 exec, exec, s[24:25]
	v_mov_b32_e32 v19, v4
	v_mov_b32_e32 v18, v4
.LBB122_1198:
	s_or_b64 exec, exec, s[18:19]
.LBB122_1199:
	s_andn2_saveexec_b64 s[4:5], s[4:5]
	s_cbranch_execz .LBB122_1201
; %bb.1200:
	v_mov_b32_e32 v11, s34
	v_mov_b32_e32 v20, s33
	;; [unrolled: 1-line block ×10, first 2 shown]
	buffer_load_dword v4, v11, s[0:3], 0 offen
	buffer_load_dword v5, v11, s[0:3], 0 offen offset:4
	buffer_load_dword v10, v11, s[0:3], 0 offen offset:8
	s_nop 0
	buffer_load_dword v11, v11, s[0:3], 0 offen offset:12
	s_nop 0
	buffer_load_dword v12, v20, s[0:3], 0 offen
	buffer_load_dword v13, v20, s[0:3], 0 offen offset:4
	buffer_load_dword v19, v20, s[0:3], 0 offen offset:8
	s_nop 0
	buffer_load_dword v20, v20, s[0:3], 0 offen offset:12
	s_nop 0
	;; [unrolled: 6-line block ×9, first 2 shown]
	buffer_load_dword v49, v52, s[0:3], 0 offen
	buffer_load_dword v50, v52, s[0:3], 0 offen offset:4
	buffer_load_dword v51, v52, s[0:3], 0 offen offset:8
	s_nop 0
	buffer_load_dword v52, v52, s[0:3], 0 offen offset:12
	s_waitcnt vmcnt(36)
	ds_write2_b64 v16, v[4:5], v[10:11] offset0:104 offset1:105
	s_waitcnt vmcnt(32)
	ds_write2_b64 v16, v[12:13], v[19:20] offset0:106 offset1:107
	;; [unrolled: 2-line block ×10, first 2 shown]
	v_mov_b32_e32 v19, 51
.LBB122_1201:
	s_or_b64 exec, exec, s[4:5]
	v_cmp_lt_i32_e32 vcc, 51, v19
	s_waitcnt vmcnt(0) lgkmcnt(0)
	s_barrier
	s_and_saveexec_b64 s[4:5], vcc
	s_cbranch_execz .LBB122_1203
; %bb.1202:
	buffer_load_dword v4, off, s[0:3], 0 offset:816
	buffer_load_dword v5, off, s[0:3], 0 offset:820
	;; [unrolled: 1-line block ×16, first 2 shown]
	s_waitcnt vmcnt(12)
	v_mul_f64 v[30:31], v[2:3], v[10:11]
	v_fma_f64 v[30:31], v[0:1], v[4:5], -v[30:31]
	v_mul_f64 v[0:1], v[0:1], v[10:11]
	v_fma_f64 v[4:5], v[2:3], v[4:5], v[0:1]
	buffer_store_dword v30, off, s[0:3], 0 offset:816
	buffer_store_dword v31, off, s[0:3], 0 offset:820
	buffer_store_dword v4, off, s[0:3], 0 offset:824
	buffer_store_dword v5, off, s[0:3], 0 offset:828
	ds_read2_b64 v[0:3], v16 offset0:104 offset1:105
	s_waitcnt lgkmcnt(0)
	v_mul_f64 v[10:11], v[2:3], v[4:5]
	v_fma_f64 v[10:11], v[0:1], v[30:31], -v[10:11]
	v_mul_f64 v[0:1], v[0:1], v[4:5]
	v_fma_f64 v[0:1], v[2:3], v[30:31], v[0:1]
	s_waitcnt vmcnt(14)
	v_add_f64 v[2:3], v[12:13], -v[10:11]
	s_waitcnt vmcnt(12)
	v_add_f64 v[0:1], v[20:21], -v[0:1]
	buffer_store_dword v2, off, s[0:3], 0 offset:832
	buffer_store_dword v3, off, s[0:3], 0 offset:836
	buffer_store_dword v0, off, s[0:3], 0 offset:840
	buffer_store_dword v1, off, s[0:3], 0 offset:844
	ds_read2_b64 v[0:3], v16 offset0:106 offset1:107
	s_waitcnt lgkmcnt(0)
	v_mul_f64 v[10:11], v[2:3], v[4:5]
	v_fma_f64 v[10:11], v[0:1], v[30:31], -v[10:11]
	v_mul_f64 v[0:1], v[0:1], v[4:5]
	v_fma_f64 v[0:1], v[2:3], v[30:31], v[0:1]
	s_waitcnt vmcnt(14)
	v_add_f64 v[2:3], v[22:23], -v[10:11]
	s_waitcnt vmcnt(12)
	v_add_f64 v[0:1], v[24:25], -v[0:1]
	;; [unrolled: 14-line block ×3, first 2 shown]
	buffer_store_dword v3, off, s[0:3], 0 offset:868
	buffer_store_dword v2, off, s[0:3], 0 offset:864
	buffer_store_dword v0, off, s[0:3], 0 offset:872
	buffer_store_dword v1, off, s[0:3], 0 offset:876
	ds_read2_b64 v[0:3], v16 offset0:110 offset1:111
	s_waitcnt lgkmcnt(0)
	v_mul_f64 v[10:11], v[2:3], v[4:5]
	v_fma_f64 v[10:11], v[0:1], v[30:31], -v[10:11]
	v_mul_f64 v[0:1], v[0:1], v[4:5]
	v_fma_f64 v[0:1], v[2:3], v[30:31], v[0:1]
	buffer_load_dword v2, off, s[0:3], 0 offset:880
	buffer_load_dword v3, off, s[0:3], 0 offset:884
	buffer_load_dword v12, off, s[0:3], 0 offset:888
	buffer_load_dword v13, off, s[0:3], 0 offset:892
	s_waitcnt vmcnt(2)
	v_add_f64 v[2:3], v[2:3], -v[10:11]
	s_waitcnt vmcnt(0)
	v_add_f64 v[0:1], v[12:13], -v[0:1]
	buffer_store_dword v3, off, s[0:3], 0 offset:884
	buffer_store_dword v2, off, s[0:3], 0 offset:880
	buffer_store_dword v1, off, s[0:3], 0 offset:892
	buffer_store_dword v0, off, s[0:3], 0 offset:888
	ds_read2_b64 v[0:3], v16 offset0:112 offset1:113
	s_waitcnt lgkmcnt(0)
	v_mul_f64 v[10:11], v[2:3], v[4:5]
	v_fma_f64 v[10:11], v[0:1], v[30:31], -v[10:11]
	v_mul_f64 v[0:1], v[0:1], v[4:5]
	v_fma_f64 v[0:1], v[2:3], v[30:31], v[0:1]
	buffer_load_dword v2, off, s[0:3], 0 offset:896
	buffer_load_dword v3, off, s[0:3], 0 offset:900
	buffer_load_dword v12, off, s[0:3], 0 offset:904
	buffer_load_dword v13, off, s[0:3], 0 offset:908
	s_waitcnt vmcnt(2)
	v_add_f64 v[2:3], v[2:3], -v[10:11]
	s_waitcnt vmcnt(0)
	v_add_f64 v[0:1], v[12:13], -v[0:1]
	;; [unrolled: 18-line block ×3, first 2 shown]
	buffer_store_dword v3, off, s[0:3], 0 offset:916
	buffer_store_dword v2, off, s[0:3], 0 offset:912
	;; [unrolled: 1-line block ×4, first 2 shown]
	ds_read2_b64 v[0:3], v16 offset0:116 offset1:117
	buffer_load_dword v4, off, s[0:3], 0 offset:816
	buffer_load_dword v5, off, s[0:3], 0 offset:820
	;; [unrolled: 1-line block ×4, first 2 shown]
	s_waitcnt vmcnt(0) lgkmcnt(0)
	v_mul_f64 v[12:13], v[2:3], v[10:11]
	v_fma_f64 v[12:13], v[0:1], v[4:5], -v[12:13]
	v_mul_f64 v[0:1], v[0:1], v[10:11]
	v_fma_f64 v[0:1], v[2:3], v[4:5], v[0:1]
	buffer_load_dword v3, off, s[0:3], 0 offset:932
	buffer_load_dword v2, off, s[0:3], 0 offset:928
	s_waitcnt vmcnt(0)
	v_add_f64 v[2:3], v[2:3], -v[12:13]
	buffer_load_dword v13, off, s[0:3], 0 offset:940
	buffer_load_dword v12, off, s[0:3], 0 offset:936
	s_waitcnt vmcnt(0)
	v_add_f64 v[0:1], v[12:13], -v[0:1]
	buffer_store_dword v3, off, s[0:3], 0 offset:932
	buffer_store_dword v2, off, s[0:3], 0 offset:928
	buffer_store_dword v1, off, s[0:3], 0 offset:940
	buffer_store_dword v0, off, s[0:3], 0 offset:936
	ds_read2_b64 v[0:3], v16 offset0:118 offset1:119
	s_waitcnt lgkmcnt(0)
	v_mul_f64 v[12:13], v[2:3], v[10:11]
	v_fma_f64 v[12:13], v[0:1], v[4:5], -v[12:13]
	v_mul_f64 v[0:1], v[0:1], v[10:11]
	v_fma_f64 v[0:1], v[2:3], v[4:5], v[0:1]
	buffer_load_dword v2, off, s[0:3], 0 offset:944
	buffer_load_dword v3, off, s[0:3], 0 offset:948
	buffer_load_dword v20, off, s[0:3], 0 offset:952
	buffer_load_dword v21, off, s[0:3], 0 offset:956
	s_waitcnt vmcnt(2)
	v_add_f64 v[2:3], v[2:3], -v[12:13]
	s_waitcnt vmcnt(0)
	v_add_f64 v[0:1], v[20:21], -v[0:1]
	buffer_store_dword v3, off, s[0:3], 0 offset:948
	buffer_store_dword v2, off, s[0:3], 0 offset:944
	buffer_store_dword v1, off, s[0:3], 0 offset:956
	buffer_store_dword v0, off, s[0:3], 0 offset:952
	ds_read2_b64 v[0:3], v16 offset0:120 offset1:121
	s_waitcnt lgkmcnt(0)
	v_mul_f64 v[12:13], v[2:3], v[10:11]
	v_fma_f64 v[12:13], v[0:1], v[4:5], -v[12:13]
	v_mul_f64 v[0:1], v[0:1], v[10:11]
	v_fma_f64 v[0:1], v[2:3], v[4:5], v[0:1]
	buffer_load_dword v2, off, s[0:3], 0 offset:960
	buffer_load_dword v3, off, s[0:3], 0 offset:964
	buffer_load_dword v20, off, s[0:3], 0 offset:968
	buffer_load_dword v21, off, s[0:3], 0 offset:972
	s_waitcnt vmcnt(2)
	v_add_f64 v[2:3], v[2:3], -v[12:13]
	;; [unrolled: 18-line block ×3, first 2 shown]
	s_waitcnt vmcnt(0)
	v_add_f64 v[0:1], v[4:5], -v[0:1]
	buffer_store_dword v3, off, s[0:3], 0 offset:980
	buffer_store_dword v2, off, s[0:3], 0 offset:976
	;; [unrolled: 1-line block ×4, first 2 shown]
.LBB122_1203:
	s_or_b64 exec, exec, s[4:5]
	v_mov_b32_e32 v3, s34
	s_waitcnt vmcnt(0)
	s_barrier
	buffer_load_dword v0, v3, s[0:3], 0 offen
	buffer_load_dword v1, v3, s[0:3], 0 offen offset:4
	buffer_load_dword v2, v3, s[0:3], 0 offen offset:8
	s_nop 0
	buffer_load_dword v3, v3, s[0:3], 0 offen offset:12
	v_lshl_add_u32 v4, v19, 4, v16
	s_cmp_lt_i32 s65, 54
	s_waitcnt vmcnt(0)
	ds_write2_b64 v4, v[0:1], v[2:3] offset1:1
	s_waitcnt lgkmcnt(0)
	s_barrier
	ds_read2_b64 v[0:3], v16 offset0:104 offset1:105
	v_mov_b32_e32 v4, 52
	s_cbranch_scc1 .LBB122_1206
; %bb.1204:
	v_add_u32_e32 v5, 0x350, v16
	s_mov_b32 s16, 53
	v_mov_b32_e32 v4, 52
.LBB122_1205:                           ; =>This Inner Loop Header: Depth=1
	s_waitcnt lgkmcnt(0)
	v_cmp_gt_f64_e32 vcc, 0, v[2:3]
	v_cmp_gt_f64_e64 s[4:5], 0, v[0:1]
	ds_read2_b64 v[10:13], v5 offset1:1
	v_xor_b32_e32 v21, 0x80000000, v1
	v_xor_b32_e32 v23, 0x80000000, v3
	v_mov_b32_e32 v20, v0
	v_mov_b32_e32 v22, v2
	s_waitcnt lgkmcnt(0)
	v_xor_b32_e32 v25, 0x80000000, v13
	v_cndmask_b32_e32 v23, v3, v23, vcc
	v_cndmask_b32_e64 v21, v1, v21, s[4:5]
	v_cmp_gt_f64_e32 vcc, 0, v[12:13]
	v_cmp_gt_f64_e64 s[4:5], 0, v[10:11]
	v_add_f64 v[20:21], v[20:21], v[22:23]
	v_xor_b32_e32 v23, 0x80000000, v11
	v_mov_b32_e32 v22, v10
	v_mov_b32_e32 v24, v12
	v_add_u32_e32 v5, 16, v5
	v_cndmask_b32_e32 v25, v13, v25, vcc
	v_cndmask_b32_e64 v23, v11, v23, s[4:5]
	v_add_f64 v[22:23], v[22:23], v[24:25]
	v_mov_b32_e32 v24, s16
	s_add_i32 s16, s16, 1
	s_cmp_lg_u32 s65, s16
	v_cmp_lt_f64_e32 vcc, v[20:21], v[22:23]
	v_cndmask_b32_e32 v1, v1, v11, vcc
	v_cndmask_b32_e32 v0, v0, v10, vcc
	;; [unrolled: 1-line block ×5, first 2 shown]
	s_cbranch_scc1 .LBB122_1205
.LBB122_1206:
	s_waitcnt lgkmcnt(0)
	v_cmp_eq_f64_e32 vcc, 0, v[0:1]
	v_cmp_eq_f64_e64 s[4:5], 0, v[2:3]
	s_and_b64 s[4:5], vcc, s[4:5]
	s_and_saveexec_b64 s[16:17], s[4:5]
	s_xor_b64 s[4:5], exec, s[16:17]
; %bb.1207:
	v_cmp_ne_u32_e32 vcc, 0, v17
	v_cndmask_b32_e32 v17, 53, v17, vcc
; %bb.1208:
	s_andn2_saveexec_b64 s[4:5], s[4:5]
	s_cbranch_execz .LBB122_1214
; %bb.1209:
	v_cmp_ngt_f64_e64 s[16:17], |v[0:1]|, |v[2:3]|
	s_and_saveexec_b64 s[18:19], s[16:17]
	s_xor_b64 s[18:19], exec, s[18:19]
	s_cbranch_execz .LBB122_1211
; %bb.1210:
	v_div_scale_f64 v[10:11], s[16:17], v[2:3], v[2:3], v[0:1]
	v_rcp_f64_e32 v[12:13], v[10:11]
	v_fma_f64 v[20:21], -v[10:11], v[12:13], 1.0
	v_fma_f64 v[12:13], v[12:13], v[20:21], v[12:13]
	v_div_scale_f64 v[20:21], vcc, v[0:1], v[2:3], v[0:1]
	v_fma_f64 v[22:23], -v[10:11], v[12:13], 1.0
	v_fma_f64 v[12:13], v[12:13], v[22:23], v[12:13]
	v_mul_f64 v[22:23], v[20:21], v[12:13]
	v_fma_f64 v[10:11], -v[10:11], v[22:23], v[20:21]
	v_div_fmas_f64 v[10:11], v[10:11], v[12:13], v[22:23]
	v_div_fixup_f64 v[10:11], v[10:11], v[2:3], v[0:1]
	v_fma_f64 v[0:1], v[0:1], v[10:11], v[2:3]
	v_div_scale_f64 v[2:3], s[16:17], v[0:1], v[0:1], 1.0
	v_div_scale_f64 v[22:23], vcc, 1.0, v[0:1], 1.0
	v_rcp_f64_e32 v[12:13], v[2:3]
	v_fma_f64 v[20:21], -v[2:3], v[12:13], 1.0
	v_fma_f64 v[12:13], v[12:13], v[20:21], v[12:13]
	v_fma_f64 v[20:21], -v[2:3], v[12:13], 1.0
	v_fma_f64 v[12:13], v[12:13], v[20:21], v[12:13]
	v_mul_f64 v[20:21], v[22:23], v[12:13]
	v_fma_f64 v[2:3], -v[2:3], v[20:21], v[22:23]
	v_div_fmas_f64 v[2:3], v[2:3], v[12:13], v[20:21]
	v_div_fixup_f64 v[2:3], v[2:3], v[0:1], 1.0
	v_mul_f64 v[0:1], v[10:11], v[2:3]
	v_xor_b32_e32 v3, 0x80000000, v3
.LBB122_1211:
	s_andn2_saveexec_b64 s[18:19], s[18:19]
	s_cbranch_execz .LBB122_1213
; %bb.1212:
	v_div_scale_f64 v[10:11], s[16:17], v[0:1], v[0:1], v[2:3]
	v_rcp_f64_e32 v[12:13], v[10:11]
	v_fma_f64 v[20:21], -v[10:11], v[12:13], 1.0
	v_fma_f64 v[12:13], v[12:13], v[20:21], v[12:13]
	v_div_scale_f64 v[20:21], vcc, v[2:3], v[0:1], v[2:3]
	v_fma_f64 v[22:23], -v[10:11], v[12:13], 1.0
	v_fma_f64 v[12:13], v[12:13], v[22:23], v[12:13]
	v_mul_f64 v[22:23], v[20:21], v[12:13]
	v_fma_f64 v[10:11], -v[10:11], v[22:23], v[20:21]
	v_div_fmas_f64 v[10:11], v[10:11], v[12:13], v[22:23]
	v_div_fixup_f64 v[10:11], v[10:11], v[0:1], v[2:3]
	v_fma_f64 v[0:1], v[2:3], v[10:11], v[0:1]
	v_div_scale_f64 v[2:3], s[16:17], v[0:1], v[0:1], 1.0
	v_div_scale_f64 v[22:23], vcc, 1.0, v[0:1], 1.0
	v_rcp_f64_e32 v[12:13], v[2:3]
	v_fma_f64 v[20:21], -v[2:3], v[12:13], 1.0
	v_fma_f64 v[12:13], v[12:13], v[20:21], v[12:13]
	v_fma_f64 v[20:21], -v[2:3], v[12:13], 1.0
	v_fma_f64 v[12:13], v[12:13], v[20:21], v[12:13]
	v_mul_f64 v[20:21], v[22:23], v[12:13]
	v_fma_f64 v[2:3], -v[2:3], v[20:21], v[22:23]
	v_div_fmas_f64 v[2:3], v[2:3], v[12:13], v[20:21]
	v_div_fixup_f64 v[0:1], v[2:3], v[0:1], 1.0
	v_mul_f64 v[2:3], v[10:11], -v[0:1]
.LBB122_1213:
	s_or_b64 exec, exec, s[18:19]
.LBB122_1214:
	s_or_b64 exec, exec, s[4:5]
	v_cmp_ne_u32_e32 vcc, v19, v4
	s_and_saveexec_b64 s[4:5], vcc
	s_xor_b64 s[4:5], exec, s[4:5]
	s_cbranch_execz .LBB122_1220
; %bb.1215:
	v_cmp_eq_u32_e32 vcc, 52, v19
	s_and_saveexec_b64 s[18:19], vcc
	s_cbranch_execz .LBB122_1219
; %bb.1216:
	v_cmp_ne_u32_e32 vcc, 52, v4
	s_xor_b64 s[16:17], s[22:23], -1
	s_and_b64 s[16:17], s[16:17], vcc
	s_and_saveexec_b64 s[24:25], s[16:17]
	s_cbranch_execz .LBB122_1218
; %bb.1217:
	v_ashrrev_i32_e32 v5, 31, v4
	v_lshlrev_b64 v[10:11], 2, v[4:5]
	v_add_co_u32_e32 v10, vcc, v8, v10
	v_addc_co_u32_e32 v11, vcc, v9, v11, vcc
	global_load_dword v5, v[10:11], off
	global_load_dword v12, v[8:9], off offset:208
	s_waitcnt vmcnt(1)
	global_store_dword v[8:9], v5, off offset:208
	s_waitcnt vmcnt(1)
	global_store_dword v[10:11], v12, off
.LBB122_1218:
	s_or_b64 exec, exec, s[24:25]
	v_mov_b32_e32 v19, v4
	v_mov_b32_e32 v18, v4
.LBB122_1219:
	s_or_b64 exec, exec, s[18:19]
.LBB122_1220:
	s_andn2_saveexec_b64 s[4:5], s[4:5]
	s_cbranch_execz .LBB122_1222
; %bb.1221:
	v_mov_b32_e32 v11, s33
	v_mov_b32_e32 v20, s31
	;; [unrolled: 1-line block ×9, first 2 shown]
	buffer_load_dword v4, v11, s[0:3], 0 offen
	buffer_load_dword v5, v11, s[0:3], 0 offen offset:4
	buffer_load_dword v10, v11, s[0:3], 0 offen offset:8
	s_nop 0
	buffer_load_dword v11, v11, s[0:3], 0 offen offset:12
	s_nop 0
	buffer_load_dword v12, v20, s[0:3], 0 offen
	buffer_load_dword v13, v20, s[0:3], 0 offen offset:4
	buffer_load_dword v19, v20, s[0:3], 0 offen offset:8
	s_nop 0
	buffer_load_dword v20, v20, s[0:3], 0 offen offset:12
	s_nop 0
	;; [unrolled: 6-line block ×8, first 2 shown]
	buffer_load_dword v45, v48, s[0:3], 0 offen
	buffer_load_dword v46, v48, s[0:3], 0 offen offset:4
	buffer_load_dword v47, v48, s[0:3], 0 offen offset:8
	s_nop 0
	buffer_load_dword v48, v48, s[0:3], 0 offen offset:12
	s_waitcnt vmcnt(32)
	ds_write2_b64 v16, v[4:5], v[10:11] offset0:106 offset1:107
	s_waitcnt vmcnt(28)
	ds_write2_b64 v16, v[12:13], v[19:20] offset0:108 offset1:109
	;; [unrolled: 2-line block ×9, first 2 shown]
	v_mov_b32_e32 v19, 52
.LBB122_1222:
	s_or_b64 exec, exec, s[4:5]
	v_cmp_lt_i32_e32 vcc, 52, v19
	s_waitcnt vmcnt(0) lgkmcnt(0)
	s_barrier
	s_and_saveexec_b64 s[4:5], vcc
	s_cbranch_execz .LBB122_1224
; %bb.1223:
	buffer_load_dword v4, off, s[0:3], 0 offset:832
	buffer_load_dword v5, off, s[0:3], 0 offset:836
	;; [unrolled: 1-line block ×16, first 2 shown]
	s_waitcnt vmcnt(12)
	v_mul_f64 v[30:31], v[2:3], v[10:11]
	v_fma_f64 v[30:31], v[0:1], v[4:5], -v[30:31]
	v_mul_f64 v[0:1], v[0:1], v[10:11]
	v_fma_f64 v[4:5], v[2:3], v[4:5], v[0:1]
	buffer_store_dword v30, off, s[0:3], 0 offset:832
	buffer_store_dword v31, off, s[0:3], 0 offset:836
	buffer_store_dword v4, off, s[0:3], 0 offset:840
	buffer_store_dword v5, off, s[0:3], 0 offset:844
	ds_read2_b64 v[0:3], v16 offset0:106 offset1:107
	s_waitcnt lgkmcnt(0)
	v_mul_f64 v[10:11], v[2:3], v[4:5]
	v_fma_f64 v[10:11], v[0:1], v[30:31], -v[10:11]
	v_mul_f64 v[0:1], v[0:1], v[4:5]
	v_fma_f64 v[0:1], v[2:3], v[30:31], v[0:1]
	s_waitcnt vmcnt(14)
	v_add_f64 v[2:3], v[12:13], -v[10:11]
	s_waitcnt vmcnt(12)
	v_add_f64 v[0:1], v[20:21], -v[0:1]
	buffer_store_dword v2, off, s[0:3], 0 offset:848
	buffer_store_dword v3, off, s[0:3], 0 offset:852
	buffer_store_dword v0, off, s[0:3], 0 offset:856
	buffer_store_dword v1, off, s[0:3], 0 offset:860
	ds_read2_b64 v[0:3], v16 offset0:108 offset1:109
	s_waitcnt lgkmcnt(0)
	v_mul_f64 v[10:11], v[2:3], v[4:5]
	v_fma_f64 v[10:11], v[0:1], v[30:31], -v[10:11]
	v_mul_f64 v[0:1], v[0:1], v[4:5]
	v_fma_f64 v[0:1], v[2:3], v[30:31], v[0:1]
	s_waitcnt vmcnt(14)
	v_add_f64 v[2:3], v[22:23], -v[10:11]
	s_waitcnt vmcnt(12)
	v_add_f64 v[0:1], v[24:25], -v[0:1]
	;; [unrolled: 14-line block ×3, first 2 shown]
	buffer_store_dword v3, off, s[0:3], 0 offset:884
	buffer_store_dword v2, off, s[0:3], 0 offset:880
	buffer_store_dword v0, off, s[0:3], 0 offset:888
	buffer_store_dword v1, off, s[0:3], 0 offset:892
	ds_read2_b64 v[0:3], v16 offset0:112 offset1:113
	s_waitcnt lgkmcnt(0)
	v_mul_f64 v[10:11], v[2:3], v[4:5]
	v_fma_f64 v[10:11], v[0:1], v[30:31], -v[10:11]
	v_mul_f64 v[0:1], v[0:1], v[4:5]
	v_fma_f64 v[0:1], v[2:3], v[30:31], v[0:1]
	buffer_load_dword v2, off, s[0:3], 0 offset:896
	buffer_load_dword v3, off, s[0:3], 0 offset:900
	buffer_load_dword v12, off, s[0:3], 0 offset:904
	buffer_load_dword v13, off, s[0:3], 0 offset:908
	s_waitcnt vmcnt(2)
	v_add_f64 v[2:3], v[2:3], -v[10:11]
	s_waitcnt vmcnt(0)
	v_add_f64 v[0:1], v[12:13], -v[0:1]
	buffer_store_dword v3, off, s[0:3], 0 offset:900
	buffer_store_dword v2, off, s[0:3], 0 offset:896
	buffer_store_dword v1, off, s[0:3], 0 offset:908
	buffer_store_dword v0, off, s[0:3], 0 offset:904
	ds_read2_b64 v[0:3], v16 offset0:114 offset1:115
	s_waitcnt lgkmcnt(0)
	v_mul_f64 v[10:11], v[2:3], v[4:5]
	v_fma_f64 v[10:11], v[0:1], v[30:31], -v[10:11]
	v_mul_f64 v[0:1], v[0:1], v[4:5]
	v_fma_f64 v[0:1], v[2:3], v[30:31], v[0:1]
	buffer_load_dword v2, off, s[0:3], 0 offset:912
	buffer_load_dword v3, off, s[0:3], 0 offset:916
	buffer_load_dword v12, off, s[0:3], 0 offset:920
	buffer_load_dword v13, off, s[0:3], 0 offset:924
	s_waitcnt vmcnt(2)
	v_add_f64 v[2:3], v[2:3], -v[10:11]
	s_waitcnt vmcnt(0)
	v_add_f64 v[0:1], v[12:13], -v[0:1]
	;; [unrolled: 18-line block ×3, first 2 shown]
	buffer_store_dword v3, off, s[0:3], 0 offset:932
	buffer_store_dword v2, off, s[0:3], 0 offset:928
	;; [unrolled: 1-line block ×4, first 2 shown]
	ds_read2_b64 v[0:3], v16 offset0:118 offset1:119
	buffer_load_dword v4, off, s[0:3], 0 offset:832
	buffer_load_dword v5, off, s[0:3], 0 offset:836
	;; [unrolled: 1-line block ×4, first 2 shown]
	s_waitcnt vmcnt(0) lgkmcnt(0)
	v_mul_f64 v[12:13], v[2:3], v[10:11]
	v_fma_f64 v[12:13], v[0:1], v[4:5], -v[12:13]
	v_mul_f64 v[0:1], v[0:1], v[10:11]
	v_fma_f64 v[0:1], v[2:3], v[4:5], v[0:1]
	buffer_load_dword v3, off, s[0:3], 0 offset:948
	buffer_load_dword v2, off, s[0:3], 0 offset:944
	s_waitcnt vmcnt(0)
	v_add_f64 v[2:3], v[2:3], -v[12:13]
	buffer_load_dword v13, off, s[0:3], 0 offset:956
	buffer_load_dword v12, off, s[0:3], 0 offset:952
	s_waitcnt vmcnt(0)
	v_add_f64 v[0:1], v[12:13], -v[0:1]
	buffer_store_dword v3, off, s[0:3], 0 offset:948
	buffer_store_dword v2, off, s[0:3], 0 offset:944
	;; [unrolled: 1-line block ×4, first 2 shown]
	ds_read2_b64 v[0:3], v16 offset0:120 offset1:121
	s_waitcnt lgkmcnt(0)
	v_mul_f64 v[12:13], v[2:3], v[10:11]
	v_fma_f64 v[12:13], v[0:1], v[4:5], -v[12:13]
	v_mul_f64 v[0:1], v[0:1], v[10:11]
	v_fma_f64 v[0:1], v[2:3], v[4:5], v[0:1]
	buffer_load_dword v2, off, s[0:3], 0 offset:960
	buffer_load_dword v3, off, s[0:3], 0 offset:964
	;; [unrolled: 1-line block ×4, first 2 shown]
	s_waitcnt vmcnt(2)
	v_add_f64 v[2:3], v[2:3], -v[12:13]
	s_waitcnt vmcnt(0)
	v_add_f64 v[0:1], v[20:21], -v[0:1]
	buffer_store_dword v3, off, s[0:3], 0 offset:964
	buffer_store_dword v2, off, s[0:3], 0 offset:960
	buffer_store_dword v1, off, s[0:3], 0 offset:972
	buffer_store_dword v0, off, s[0:3], 0 offset:968
	ds_read2_b64 v[0:3], v16 offset0:122 offset1:123
	s_waitcnt lgkmcnt(0)
	v_mul_f64 v[12:13], v[2:3], v[10:11]
	v_fma_f64 v[12:13], v[0:1], v[4:5], -v[12:13]
	v_mul_f64 v[0:1], v[0:1], v[10:11]
	v_fma_f64 v[0:1], v[2:3], v[4:5], v[0:1]
	buffer_load_dword v2, off, s[0:3], 0 offset:976
	buffer_load_dword v3, off, s[0:3], 0 offset:980
	;; [unrolled: 1-line block ×4, first 2 shown]
	s_waitcnt vmcnt(2)
	v_add_f64 v[2:3], v[2:3], -v[12:13]
	s_waitcnt vmcnt(0)
	v_add_f64 v[0:1], v[4:5], -v[0:1]
	buffer_store_dword v3, off, s[0:3], 0 offset:980
	buffer_store_dword v2, off, s[0:3], 0 offset:976
	;; [unrolled: 1-line block ×4, first 2 shown]
.LBB122_1224:
	s_or_b64 exec, exec, s[4:5]
	v_mov_b32_e32 v3, s33
	s_waitcnt vmcnt(0)
	s_barrier
	buffer_load_dword v0, v3, s[0:3], 0 offen
	buffer_load_dword v1, v3, s[0:3], 0 offen offset:4
	buffer_load_dword v2, v3, s[0:3], 0 offen offset:8
	s_nop 0
	buffer_load_dword v3, v3, s[0:3], 0 offen offset:12
	v_lshl_add_u32 v4, v19, 4, v16
	s_cmp_lt_i32 s65, 55
	s_waitcnt vmcnt(0)
	ds_write2_b64 v4, v[0:1], v[2:3] offset1:1
	s_waitcnt lgkmcnt(0)
	s_barrier
	ds_read2_b64 v[0:3], v16 offset0:106 offset1:107
	v_mov_b32_e32 v4, 53
	s_cbranch_scc1 .LBB122_1227
; %bb.1225:
	v_add_u32_e32 v5, 0x360, v16
	s_mov_b32 s16, 54
	v_mov_b32_e32 v4, 53
.LBB122_1226:                           ; =>This Inner Loop Header: Depth=1
	s_waitcnt lgkmcnt(0)
	v_cmp_gt_f64_e32 vcc, 0, v[2:3]
	v_cmp_gt_f64_e64 s[4:5], 0, v[0:1]
	ds_read2_b64 v[10:13], v5 offset1:1
	v_xor_b32_e32 v21, 0x80000000, v1
	v_xor_b32_e32 v23, 0x80000000, v3
	v_mov_b32_e32 v20, v0
	v_mov_b32_e32 v22, v2
	s_waitcnt lgkmcnt(0)
	v_xor_b32_e32 v25, 0x80000000, v13
	v_cndmask_b32_e32 v23, v3, v23, vcc
	v_cndmask_b32_e64 v21, v1, v21, s[4:5]
	v_cmp_gt_f64_e32 vcc, 0, v[12:13]
	v_cmp_gt_f64_e64 s[4:5], 0, v[10:11]
	v_add_f64 v[20:21], v[20:21], v[22:23]
	v_xor_b32_e32 v23, 0x80000000, v11
	v_mov_b32_e32 v22, v10
	v_mov_b32_e32 v24, v12
	v_add_u32_e32 v5, 16, v5
	v_cndmask_b32_e32 v25, v13, v25, vcc
	v_cndmask_b32_e64 v23, v11, v23, s[4:5]
	v_add_f64 v[22:23], v[22:23], v[24:25]
	v_mov_b32_e32 v24, s16
	s_add_i32 s16, s16, 1
	s_cmp_lg_u32 s65, s16
	v_cmp_lt_f64_e32 vcc, v[20:21], v[22:23]
	v_cndmask_b32_e32 v1, v1, v11, vcc
	v_cndmask_b32_e32 v0, v0, v10, vcc
	v_cndmask_b32_e32 v3, v3, v13, vcc
	v_cndmask_b32_e32 v2, v2, v12, vcc
	v_cndmask_b32_e32 v4, v4, v24, vcc
	s_cbranch_scc1 .LBB122_1226
.LBB122_1227:
	s_waitcnt lgkmcnt(0)
	v_cmp_eq_f64_e32 vcc, 0, v[0:1]
	v_cmp_eq_f64_e64 s[4:5], 0, v[2:3]
	s_and_b64 s[4:5], vcc, s[4:5]
	s_and_saveexec_b64 s[16:17], s[4:5]
	s_xor_b64 s[4:5], exec, s[16:17]
; %bb.1228:
	v_cmp_ne_u32_e32 vcc, 0, v17
	v_cndmask_b32_e32 v17, 54, v17, vcc
; %bb.1229:
	s_andn2_saveexec_b64 s[4:5], s[4:5]
	s_cbranch_execz .LBB122_1235
; %bb.1230:
	v_cmp_ngt_f64_e64 s[16:17], |v[0:1]|, |v[2:3]|
	s_and_saveexec_b64 s[18:19], s[16:17]
	s_xor_b64 s[18:19], exec, s[18:19]
	s_cbranch_execz .LBB122_1232
; %bb.1231:
	v_div_scale_f64 v[10:11], s[16:17], v[2:3], v[2:3], v[0:1]
	v_rcp_f64_e32 v[12:13], v[10:11]
	v_fma_f64 v[20:21], -v[10:11], v[12:13], 1.0
	v_fma_f64 v[12:13], v[12:13], v[20:21], v[12:13]
	v_div_scale_f64 v[20:21], vcc, v[0:1], v[2:3], v[0:1]
	v_fma_f64 v[22:23], -v[10:11], v[12:13], 1.0
	v_fma_f64 v[12:13], v[12:13], v[22:23], v[12:13]
	v_mul_f64 v[22:23], v[20:21], v[12:13]
	v_fma_f64 v[10:11], -v[10:11], v[22:23], v[20:21]
	v_div_fmas_f64 v[10:11], v[10:11], v[12:13], v[22:23]
	v_div_fixup_f64 v[10:11], v[10:11], v[2:3], v[0:1]
	v_fma_f64 v[0:1], v[0:1], v[10:11], v[2:3]
	v_div_scale_f64 v[2:3], s[16:17], v[0:1], v[0:1], 1.0
	v_div_scale_f64 v[22:23], vcc, 1.0, v[0:1], 1.0
	v_rcp_f64_e32 v[12:13], v[2:3]
	v_fma_f64 v[20:21], -v[2:3], v[12:13], 1.0
	v_fma_f64 v[12:13], v[12:13], v[20:21], v[12:13]
	v_fma_f64 v[20:21], -v[2:3], v[12:13], 1.0
	v_fma_f64 v[12:13], v[12:13], v[20:21], v[12:13]
	v_mul_f64 v[20:21], v[22:23], v[12:13]
	v_fma_f64 v[2:3], -v[2:3], v[20:21], v[22:23]
	v_div_fmas_f64 v[2:3], v[2:3], v[12:13], v[20:21]
	v_div_fixup_f64 v[2:3], v[2:3], v[0:1], 1.0
	v_mul_f64 v[0:1], v[10:11], v[2:3]
	v_xor_b32_e32 v3, 0x80000000, v3
.LBB122_1232:
	s_andn2_saveexec_b64 s[18:19], s[18:19]
	s_cbranch_execz .LBB122_1234
; %bb.1233:
	v_div_scale_f64 v[10:11], s[16:17], v[0:1], v[0:1], v[2:3]
	v_rcp_f64_e32 v[12:13], v[10:11]
	v_fma_f64 v[20:21], -v[10:11], v[12:13], 1.0
	v_fma_f64 v[12:13], v[12:13], v[20:21], v[12:13]
	v_div_scale_f64 v[20:21], vcc, v[2:3], v[0:1], v[2:3]
	v_fma_f64 v[22:23], -v[10:11], v[12:13], 1.0
	v_fma_f64 v[12:13], v[12:13], v[22:23], v[12:13]
	v_mul_f64 v[22:23], v[20:21], v[12:13]
	v_fma_f64 v[10:11], -v[10:11], v[22:23], v[20:21]
	v_div_fmas_f64 v[10:11], v[10:11], v[12:13], v[22:23]
	v_div_fixup_f64 v[10:11], v[10:11], v[0:1], v[2:3]
	v_fma_f64 v[0:1], v[2:3], v[10:11], v[0:1]
	v_div_scale_f64 v[2:3], s[16:17], v[0:1], v[0:1], 1.0
	v_div_scale_f64 v[22:23], vcc, 1.0, v[0:1], 1.0
	v_rcp_f64_e32 v[12:13], v[2:3]
	v_fma_f64 v[20:21], -v[2:3], v[12:13], 1.0
	v_fma_f64 v[12:13], v[12:13], v[20:21], v[12:13]
	v_fma_f64 v[20:21], -v[2:3], v[12:13], 1.0
	v_fma_f64 v[12:13], v[12:13], v[20:21], v[12:13]
	v_mul_f64 v[20:21], v[22:23], v[12:13]
	v_fma_f64 v[2:3], -v[2:3], v[20:21], v[22:23]
	v_div_fmas_f64 v[2:3], v[2:3], v[12:13], v[20:21]
	v_div_fixup_f64 v[0:1], v[2:3], v[0:1], 1.0
	v_mul_f64 v[2:3], v[10:11], -v[0:1]
.LBB122_1234:
	s_or_b64 exec, exec, s[18:19]
.LBB122_1235:
	s_or_b64 exec, exec, s[4:5]
	v_cmp_ne_u32_e32 vcc, v19, v4
	s_and_saveexec_b64 s[4:5], vcc
	s_xor_b64 s[4:5], exec, s[4:5]
	s_cbranch_execz .LBB122_1241
; %bb.1236:
	v_cmp_eq_u32_e32 vcc, 53, v19
	s_and_saveexec_b64 s[18:19], vcc
	s_cbranch_execz .LBB122_1240
; %bb.1237:
	v_cmp_ne_u32_e32 vcc, 53, v4
	s_xor_b64 s[16:17], s[22:23], -1
	s_and_b64 s[16:17], s[16:17], vcc
	s_and_saveexec_b64 s[24:25], s[16:17]
	s_cbranch_execz .LBB122_1239
; %bb.1238:
	v_ashrrev_i32_e32 v5, 31, v4
	v_lshlrev_b64 v[10:11], 2, v[4:5]
	v_add_co_u32_e32 v10, vcc, v8, v10
	v_addc_co_u32_e32 v11, vcc, v9, v11, vcc
	global_load_dword v5, v[10:11], off
	global_load_dword v12, v[8:9], off offset:212
	s_waitcnt vmcnt(1)
	global_store_dword v[8:9], v5, off offset:212
	s_waitcnt vmcnt(1)
	global_store_dword v[10:11], v12, off
.LBB122_1239:
	s_or_b64 exec, exec, s[24:25]
	v_mov_b32_e32 v19, v4
	v_mov_b32_e32 v18, v4
.LBB122_1240:
	s_or_b64 exec, exec, s[18:19]
.LBB122_1241:
	s_andn2_saveexec_b64 s[4:5], s[4:5]
	s_cbranch_execz .LBB122_1243
; %bb.1242:
	v_mov_b32_e32 v11, s31
	v_mov_b32_e32 v20, s30
	;; [unrolled: 1-line block ×8, first 2 shown]
	buffer_load_dword v4, v11, s[0:3], 0 offen
	buffer_load_dword v5, v11, s[0:3], 0 offen offset:4
	buffer_load_dword v10, v11, s[0:3], 0 offen offset:8
	s_nop 0
	buffer_load_dword v11, v11, s[0:3], 0 offen offset:12
	s_nop 0
	buffer_load_dword v12, v20, s[0:3], 0 offen
	buffer_load_dword v13, v20, s[0:3], 0 offen offset:4
	buffer_load_dword v19, v20, s[0:3], 0 offen offset:8
	s_nop 0
	buffer_load_dword v20, v20, s[0:3], 0 offen offset:12
	s_nop 0
	;; [unrolled: 6-line block ×7, first 2 shown]
	buffer_load_dword v41, v44, s[0:3], 0 offen
	buffer_load_dword v42, v44, s[0:3], 0 offen offset:4
	buffer_load_dword v43, v44, s[0:3], 0 offen offset:8
	s_nop 0
	buffer_load_dword v44, v44, s[0:3], 0 offen offset:12
	s_waitcnt vmcnt(28)
	ds_write2_b64 v16, v[4:5], v[10:11] offset0:108 offset1:109
	s_waitcnt vmcnt(24)
	ds_write2_b64 v16, v[12:13], v[19:20] offset0:110 offset1:111
	;; [unrolled: 2-line block ×8, first 2 shown]
	v_mov_b32_e32 v19, 53
.LBB122_1243:
	s_or_b64 exec, exec, s[4:5]
	v_cmp_lt_i32_e32 vcc, 53, v19
	s_waitcnt vmcnt(0) lgkmcnt(0)
	s_barrier
	s_and_saveexec_b64 s[4:5], vcc
	s_cbranch_execz .LBB122_1245
; %bb.1244:
	buffer_load_dword v10, off, s[0:3], 0 offset:848
	buffer_load_dword v11, off, s[0:3], 0 offset:852
	;; [unrolled: 1-line block ×16, first 2 shown]
	s_waitcnt vmcnt(12)
	v_mul_f64 v[4:5], v[2:3], v[12:13]
	v_fma_f64 v[4:5], v[0:1], v[10:11], -v[4:5]
	v_mul_f64 v[0:1], v[0:1], v[12:13]
	v_fma_f64 v[0:1], v[2:3], v[10:11], v[0:1]
	buffer_store_dword v4, off, s[0:3], 0 offset:848
	buffer_store_dword v5, off, s[0:3], 0 offset:852
	buffer_store_dword v0, off, s[0:3], 0 offset:856
	buffer_store_dword v1, off, s[0:3], 0 offset:860
	ds_read2_b64 v[10:13], v16 offset0:108 offset1:109
	s_waitcnt lgkmcnt(0)
	v_mul_f64 v[2:3], v[12:13], v[0:1]
	v_fma_f64 v[2:3], v[10:11], v[4:5], -v[2:3]
	v_mul_f64 v[10:11], v[10:11], v[0:1]
	s_waitcnt vmcnt(14)
	v_add_f64 v[2:3], v[20:21], -v[2:3]
	v_fma_f64 v[10:11], v[12:13], v[4:5], v[10:11]
	s_waitcnt vmcnt(12)
	v_add_f64 v[10:11], v[22:23], -v[10:11]
	buffer_store_dword v2, off, s[0:3], 0 offset:864
	buffer_store_dword v3, off, s[0:3], 0 offset:868
	buffer_store_dword v10, off, s[0:3], 0 offset:872
	buffer_store_dword v11, off, s[0:3], 0 offset:876
	ds_read2_b64 v[10:13], v16 offset0:110 offset1:111
	s_waitcnt lgkmcnt(0)
	v_mul_f64 v[2:3], v[12:13], v[0:1]
	v_fma_f64 v[2:3], v[10:11], v[4:5], -v[2:3]
	v_mul_f64 v[10:11], v[10:11], v[0:1]
	s_waitcnt vmcnt(14)
	v_add_f64 v[2:3], v[24:25], -v[2:3]
	v_fma_f64 v[10:11], v[12:13], v[4:5], v[10:11]
	s_waitcnt vmcnt(12)
	v_add_f64 v[10:11], v[26:27], -v[10:11]
	;; [unrolled: 14-line block ×3, first 2 shown]
	buffer_store_dword v3, off, s[0:3], 0 offset:900
	buffer_store_dword v2, off, s[0:3], 0 offset:896
	;; [unrolled: 1-line block ×4, first 2 shown]
	ds_read2_b64 v[10:13], v16 offset0:114 offset1:115
	s_waitcnt lgkmcnt(0)
	v_mul_f64 v[2:3], v[12:13], v[0:1]
	v_fma_f64 v[2:3], v[10:11], v[4:5], -v[2:3]
	v_mul_f64 v[10:11], v[10:11], v[0:1]
	v_fma_f64 v[10:11], v[12:13], v[4:5], v[10:11]
	buffer_load_dword v12, off, s[0:3], 0 offset:912
	buffer_load_dword v13, off, s[0:3], 0 offset:916
	;; [unrolled: 1-line block ×4, first 2 shown]
	s_waitcnt vmcnt(2)
	v_add_f64 v[2:3], v[12:13], -v[2:3]
	s_waitcnt vmcnt(0)
	v_add_f64 v[10:11], v[20:21], -v[10:11]
	buffer_store_dword v3, off, s[0:3], 0 offset:916
	buffer_store_dword v2, off, s[0:3], 0 offset:912
	;; [unrolled: 1-line block ×4, first 2 shown]
	ds_read2_b64 v[10:13], v16 offset0:116 offset1:117
	s_waitcnt lgkmcnt(0)
	v_mul_f64 v[2:3], v[12:13], v[0:1]
	v_fma_f64 v[2:3], v[10:11], v[4:5], -v[2:3]
	v_mul_f64 v[10:11], v[10:11], v[0:1]
	v_fma_f64 v[10:11], v[12:13], v[4:5], v[10:11]
	buffer_load_dword v12, off, s[0:3], 0 offset:928
	buffer_load_dword v13, off, s[0:3], 0 offset:932
	;; [unrolled: 1-line block ×4, first 2 shown]
	s_waitcnt vmcnt(2)
	v_add_f64 v[2:3], v[12:13], -v[2:3]
	s_waitcnt vmcnt(0)
	v_add_f64 v[10:11], v[20:21], -v[10:11]
	buffer_store_dword v3, off, s[0:3], 0 offset:932
	buffer_store_dword v2, off, s[0:3], 0 offset:928
	;; [unrolled: 1-line block ×4, first 2 shown]
	ds_read2_b64 v[10:13], v16 offset0:118 offset1:119
	s_waitcnt lgkmcnt(0)
	v_mul_f64 v[2:3], v[12:13], v[0:1]
	v_mul_f64 v[0:1], v[10:11], v[0:1]
	v_fma_f64 v[2:3], v[10:11], v[4:5], -v[2:3]
	v_fma_f64 v[0:1], v[12:13], v[4:5], v[0:1]
	buffer_load_dword v4, off, s[0:3], 0 offset:944
	buffer_load_dword v5, off, s[0:3], 0 offset:948
	;; [unrolled: 1-line block ×4, first 2 shown]
	s_waitcnt vmcnt(2)
	v_add_f64 v[2:3], v[4:5], -v[2:3]
	s_waitcnt vmcnt(0)
	v_add_f64 v[0:1], v[10:11], -v[0:1]
	buffer_store_dword v3, off, s[0:3], 0 offset:948
	buffer_store_dword v2, off, s[0:3], 0 offset:944
	;; [unrolled: 1-line block ×4, first 2 shown]
	ds_read2_b64 v[0:3], v16 offset0:120 offset1:121
	buffer_load_dword v4, off, s[0:3], 0 offset:848
	buffer_load_dword v5, off, s[0:3], 0 offset:852
	;; [unrolled: 1-line block ×4, first 2 shown]
	s_waitcnt vmcnt(0) lgkmcnt(0)
	v_mul_f64 v[12:13], v[2:3], v[10:11]
	v_fma_f64 v[12:13], v[0:1], v[4:5], -v[12:13]
	v_mul_f64 v[0:1], v[0:1], v[10:11]
	v_fma_f64 v[0:1], v[2:3], v[4:5], v[0:1]
	buffer_load_dword v3, off, s[0:3], 0 offset:964
	buffer_load_dword v2, off, s[0:3], 0 offset:960
	s_waitcnt vmcnt(0)
	v_add_f64 v[2:3], v[2:3], -v[12:13]
	buffer_load_dword v13, off, s[0:3], 0 offset:972
	buffer_load_dword v12, off, s[0:3], 0 offset:968
	s_waitcnt vmcnt(0)
	v_add_f64 v[0:1], v[12:13], -v[0:1]
	buffer_store_dword v3, off, s[0:3], 0 offset:964
	buffer_store_dword v2, off, s[0:3], 0 offset:960
	;; [unrolled: 1-line block ×4, first 2 shown]
	ds_read2_b64 v[0:3], v16 offset0:122 offset1:123
	s_waitcnt lgkmcnt(0)
	v_mul_f64 v[12:13], v[2:3], v[10:11]
	v_fma_f64 v[12:13], v[0:1], v[4:5], -v[12:13]
	v_mul_f64 v[0:1], v[0:1], v[10:11]
	v_fma_f64 v[0:1], v[2:3], v[4:5], v[0:1]
	buffer_load_dword v2, off, s[0:3], 0 offset:976
	buffer_load_dword v3, off, s[0:3], 0 offset:980
	buffer_load_dword v4, off, s[0:3], 0 offset:984
	buffer_load_dword v5, off, s[0:3], 0 offset:988
	s_waitcnt vmcnt(2)
	v_add_f64 v[2:3], v[2:3], -v[12:13]
	s_waitcnt vmcnt(0)
	v_add_f64 v[0:1], v[4:5], -v[0:1]
	buffer_store_dword v3, off, s[0:3], 0 offset:980
	buffer_store_dword v2, off, s[0:3], 0 offset:976
	;; [unrolled: 1-line block ×4, first 2 shown]
.LBB122_1245:
	s_or_b64 exec, exec, s[4:5]
	v_mov_b32_e32 v3, s31
	s_waitcnt vmcnt(0)
	s_barrier
	buffer_load_dword v0, v3, s[0:3], 0 offen
	buffer_load_dword v1, v3, s[0:3], 0 offen offset:4
	buffer_load_dword v2, v3, s[0:3], 0 offen offset:8
	s_nop 0
	buffer_load_dword v3, v3, s[0:3], 0 offen offset:12
	v_lshl_add_u32 v4, v19, 4, v16
	s_cmp_lt_i32 s65, 56
	s_waitcnt vmcnt(0)
	ds_write2_b64 v4, v[0:1], v[2:3] offset1:1
	s_waitcnt lgkmcnt(0)
	s_barrier
	ds_read2_b64 v[0:3], v16 offset0:108 offset1:109
	v_mov_b32_e32 v4, 54
	s_cbranch_scc1 .LBB122_1248
; %bb.1246:
	v_add_u32_e32 v5, 0x370, v16
	s_mov_b32 s16, 55
	v_mov_b32_e32 v4, 54
.LBB122_1247:                           ; =>This Inner Loop Header: Depth=1
	s_waitcnt lgkmcnt(0)
	v_cmp_gt_f64_e32 vcc, 0, v[2:3]
	v_cmp_gt_f64_e64 s[4:5], 0, v[0:1]
	ds_read2_b64 v[10:13], v5 offset1:1
	v_xor_b32_e32 v21, 0x80000000, v1
	v_xor_b32_e32 v23, 0x80000000, v3
	v_mov_b32_e32 v20, v0
	v_mov_b32_e32 v22, v2
	s_waitcnt lgkmcnt(0)
	v_xor_b32_e32 v25, 0x80000000, v13
	v_cndmask_b32_e32 v23, v3, v23, vcc
	v_cndmask_b32_e64 v21, v1, v21, s[4:5]
	v_cmp_gt_f64_e32 vcc, 0, v[12:13]
	v_cmp_gt_f64_e64 s[4:5], 0, v[10:11]
	v_add_f64 v[20:21], v[20:21], v[22:23]
	v_xor_b32_e32 v23, 0x80000000, v11
	v_mov_b32_e32 v22, v10
	v_mov_b32_e32 v24, v12
	v_add_u32_e32 v5, 16, v5
	v_cndmask_b32_e32 v25, v13, v25, vcc
	v_cndmask_b32_e64 v23, v11, v23, s[4:5]
	v_add_f64 v[22:23], v[22:23], v[24:25]
	v_mov_b32_e32 v24, s16
	s_add_i32 s16, s16, 1
	s_cmp_lg_u32 s65, s16
	v_cmp_lt_f64_e32 vcc, v[20:21], v[22:23]
	v_cndmask_b32_e32 v1, v1, v11, vcc
	v_cndmask_b32_e32 v0, v0, v10, vcc
	;; [unrolled: 1-line block ×5, first 2 shown]
	s_cbranch_scc1 .LBB122_1247
.LBB122_1248:
	s_waitcnt lgkmcnt(0)
	v_cmp_eq_f64_e32 vcc, 0, v[0:1]
	v_cmp_eq_f64_e64 s[4:5], 0, v[2:3]
	s_and_b64 s[4:5], vcc, s[4:5]
	s_and_saveexec_b64 s[16:17], s[4:5]
	s_xor_b64 s[4:5], exec, s[16:17]
; %bb.1249:
	v_cmp_ne_u32_e32 vcc, 0, v17
	v_cndmask_b32_e32 v17, 55, v17, vcc
; %bb.1250:
	s_andn2_saveexec_b64 s[4:5], s[4:5]
	s_cbranch_execz .LBB122_1256
; %bb.1251:
	v_cmp_ngt_f64_e64 s[16:17], |v[0:1]|, |v[2:3]|
	s_and_saveexec_b64 s[18:19], s[16:17]
	s_xor_b64 s[18:19], exec, s[18:19]
	s_cbranch_execz .LBB122_1253
; %bb.1252:
	v_div_scale_f64 v[10:11], s[16:17], v[2:3], v[2:3], v[0:1]
	v_rcp_f64_e32 v[12:13], v[10:11]
	v_fma_f64 v[20:21], -v[10:11], v[12:13], 1.0
	v_fma_f64 v[12:13], v[12:13], v[20:21], v[12:13]
	v_div_scale_f64 v[20:21], vcc, v[0:1], v[2:3], v[0:1]
	v_fma_f64 v[22:23], -v[10:11], v[12:13], 1.0
	v_fma_f64 v[12:13], v[12:13], v[22:23], v[12:13]
	v_mul_f64 v[22:23], v[20:21], v[12:13]
	v_fma_f64 v[10:11], -v[10:11], v[22:23], v[20:21]
	v_div_fmas_f64 v[10:11], v[10:11], v[12:13], v[22:23]
	v_div_fixup_f64 v[10:11], v[10:11], v[2:3], v[0:1]
	v_fma_f64 v[0:1], v[0:1], v[10:11], v[2:3]
	v_div_scale_f64 v[2:3], s[16:17], v[0:1], v[0:1], 1.0
	v_div_scale_f64 v[22:23], vcc, 1.0, v[0:1], 1.0
	v_rcp_f64_e32 v[12:13], v[2:3]
	v_fma_f64 v[20:21], -v[2:3], v[12:13], 1.0
	v_fma_f64 v[12:13], v[12:13], v[20:21], v[12:13]
	v_fma_f64 v[20:21], -v[2:3], v[12:13], 1.0
	v_fma_f64 v[12:13], v[12:13], v[20:21], v[12:13]
	v_mul_f64 v[20:21], v[22:23], v[12:13]
	v_fma_f64 v[2:3], -v[2:3], v[20:21], v[22:23]
	v_div_fmas_f64 v[2:3], v[2:3], v[12:13], v[20:21]
	v_div_fixup_f64 v[2:3], v[2:3], v[0:1], 1.0
	v_mul_f64 v[0:1], v[10:11], v[2:3]
	v_xor_b32_e32 v3, 0x80000000, v3
.LBB122_1253:
	s_andn2_saveexec_b64 s[18:19], s[18:19]
	s_cbranch_execz .LBB122_1255
; %bb.1254:
	v_div_scale_f64 v[10:11], s[16:17], v[0:1], v[0:1], v[2:3]
	v_rcp_f64_e32 v[12:13], v[10:11]
	v_fma_f64 v[20:21], -v[10:11], v[12:13], 1.0
	v_fma_f64 v[12:13], v[12:13], v[20:21], v[12:13]
	v_div_scale_f64 v[20:21], vcc, v[2:3], v[0:1], v[2:3]
	v_fma_f64 v[22:23], -v[10:11], v[12:13], 1.0
	v_fma_f64 v[12:13], v[12:13], v[22:23], v[12:13]
	v_mul_f64 v[22:23], v[20:21], v[12:13]
	v_fma_f64 v[10:11], -v[10:11], v[22:23], v[20:21]
	v_div_fmas_f64 v[10:11], v[10:11], v[12:13], v[22:23]
	v_div_fixup_f64 v[10:11], v[10:11], v[0:1], v[2:3]
	v_fma_f64 v[0:1], v[2:3], v[10:11], v[0:1]
	v_div_scale_f64 v[2:3], s[16:17], v[0:1], v[0:1], 1.0
	v_div_scale_f64 v[22:23], vcc, 1.0, v[0:1], 1.0
	v_rcp_f64_e32 v[12:13], v[2:3]
	v_fma_f64 v[20:21], -v[2:3], v[12:13], 1.0
	v_fma_f64 v[12:13], v[12:13], v[20:21], v[12:13]
	v_fma_f64 v[20:21], -v[2:3], v[12:13], 1.0
	v_fma_f64 v[12:13], v[12:13], v[20:21], v[12:13]
	v_mul_f64 v[20:21], v[22:23], v[12:13]
	v_fma_f64 v[2:3], -v[2:3], v[20:21], v[22:23]
	v_div_fmas_f64 v[2:3], v[2:3], v[12:13], v[20:21]
	v_div_fixup_f64 v[0:1], v[2:3], v[0:1], 1.0
	v_mul_f64 v[2:3], v[10:11], -v[0:1]
.LBB122_1255:
	s_or_b64 exec, exec, s[18:19]
.LBB122_1256:
	s_or_b64 exec, exec, s[4:5]
	v_cmp_ne_u32_e32 vcc, v19, v4
	s_and_saveexec_b64 s[4:5], vcc
	s_xor_b64 s[4:5], exec, s[4:5]
	s_cbranch_execz .LBB122_1262
; %bb.1257:
	v_cmp_eq_u32_e32 vcc, 54, v19
	s_and_saveexec_b64 s[18:19], vcc
	s_cbranch_execz .LBB122_1261
; %bb.1258:
	v_cmp_ne_u32_e32 vcc, 54, v4
	s_xor_b64 s[16:17], s[22:23], -1
	s_and_b64 s[16:17], s[16:17], vcc
	s_and_saveexec_b64 s[24:25], s[16:17]
	s_cbranch_execz .LBB122_1260
; %bb.1259:
	v_ashrrev_i32_e32 v5, 31, v4
	v_lshlrev_b64 v[10:11], 2, v[4:5]
	v_add_co_u32_e32 v10, vcc, v8, v10
	v_addc_co_u32_e32 v11, vcc, v9, v11, vcc
	global_load_dword v5, v[10:11], off
	global_load_dword v12, v[8:9], off offset:216
	s_waitcnt vmcnt(1)
	global_store_dword v[8:9], v5, off offset:216
	s_waitcnt vmcnt(1)
	global_store_dword v[10:11], v12, off
.LBB122_1260:
	s_or_b64 exec, exec, s[24:25]
	v_mov_b32_e32 v19, v4
	v_mov_b32_e32 v18, v4
.LBB122_1261:
	s_or_b64 exec, exec, s[18:19]
.LBB122_1262:
	s_andn2_saveexec_b64 s[4:5], s[4:5]
	s_cbranch_execz .LBB122_1264
; %bb.1263:
	v_mov_b32_e32 v11, s30
	v_mov_b32_e32 v20, s29
	;; [unrolled: 1-line block ×7, first 2 shown]
	buffer_load_dword v4, v11, s[0:3], 0 offen
	buffer_load_dword v5, v11, s[0:3], 0 offen offset:4
	buffer_load_dword v10, v11, s[0:3], 0 offen offset:8
	s_nop 0
	buffer_load_dword v11, v11, s[0:3], 0 offen offset:12
	s_nop 0
	buffer_load_dword v12, v20, s[0:3], 0 offen
	buffer_load_dword v13, v20, s[0:3], 0 offen offset:4
	buffer_load_dword v19, v20, s[0:3], 0 offen offset:8
	s_nop 0
	buffer_load_dword v20, v20, s[0:3], 0 offen offset:12
	s_nop 0
	;; [unrolled: 6-line block ×6, first 2 shown]
	buffer_load_dword v37, v40, s[0:3], 0 offen
	buffer_load_dword v38, v40, s[0:3], 0 offen offset:4
	buffer_load_dword v39, v40, s[0:3], 0 offen offset:8
	s_nop 0
	buffer_load_dword v40, v40, s[0:3], 0 offen offset:12
	s_waitcnt vmcnt(24)
	ds_write2_b64 v16, v[4:5], v[10:11] offset0:110 offset1:111
	s_waitcnt vmcnt(20)
	ds_write2_b64 v16, v[12:13], v[19:20] offset0:112 offset1:113
	;; [unrolled: 2-line block ×7, first 2 shown]
	v_mov_b32_e32 v19, 54
.LBB122_1264:
	s_or_b64 exec, exec, s[4:5]
	v_cmp_lt_i32_e32 vcc, 54, v19
	s_waitcnt vmcnt(0) lgkmcnt(0)
	s_barrier
	s_and_saveexec_b64 s[4:5], vcc
	s_cbranch_execz .LBB122_1266
; %bb.1265:
	buffer_load_dword v10, off, s[0:3], 0 offset:864
	buffer_load_dword v11, off, s[0:3], 0 offset:868
	;; [unrolled: 1-line block ×16, first 2 shown]
	s_waitcnt vmcnt(12)
	v_mul_f64 v[4:5], v[2:3], v[12:13]
	v_fma_f64 v[4:5], v[0:1], v[10:11], -v[4:5]
	v_mul_f64 v[0:1], v[0:1], v[12:13]
	v_fma_f64 v[0:1], v[2:3], v[10:11], v[0:1]
	buffer_store_dword v4, off, s[0:3], 0 offset:864
	buffer_store_dword v5, off, s[0:3], 0 offset:868
	buffer_store_dword v0, off, s[0:3], 0 offset:872
	buffer_store_dword v1, off, s[0:3], 0 offset:876
	ds_read2_b64 v[10:13], v16 offset0:110 offset1:111
	s_waitcnt lgkmcnt(0)
	v_mul_f64 v[2:3], v[12:13], v[0:1]
	v_fma_f64 v[2:3], v[10:11], v[4:5], -v[2:3]
	v_mul_f64 v[10:11], v[10:11], v[0:1]
	s_waitcnt vmcnt(14)
	v_add_f64 v[2:3], v[20:21], -v[2:3]
	v_fma_f64 v[10:11], v[12:13], v[4:5], v[10:11]
	s_waitcnt vmcnt(12)
	v_add_f64 v[10:11], v[22:23], -v[10:11]
	buffer_store_dword v2, off, s[0:3], 0 offset:880
	buffer_store_dword v3, off, s[0:3], 0 offset:884
	buffer_store_dword v10, off, s[0:3], 0 offset:888
	buffer_store_dword v11, off, s[0:3], 0 offset:892
	ds_read2_b64 v[10:13], v16 offset0:112 offset1:113
	s_waitcnt lgkmcnt(0)
	v_mul_f64 v[2:3], v[12:13], v[0:1]
	v_fma_f64 v[2:3], v[10:11], v[4:5], -v[2:3]
	v_mul_f64 v[10:11], v[10:11], v[0:1]
	s_waitcnt vmcnt(14)
	v_add_f64 v[2:3], v[24:25], -v[2:3]
	v_fma_f64 v[10:11], v[12:13], v[4:5], v[10:11]
	s_waitcnt vmcnt(12)
	v_add_f64 v[10:11], v[26:27], -v[10:11]
	;; [unrolled: 14-line block ×3, first 2 shown]
	buffer_store_dword v3, off, s[0:3], 0 offset:916
	buffer_store_dword v2, off, s[0:3], 0 offset:912
	;; [unrolled: 1-line block ×4, first 2 shown]
	ds_read2_b64 v[10:13], v16 offset0:116 offset1:117
	s_waitcnt lgkmcnt(0)
	v_mul_f64 v[2:3], v[12:13], v[0:1]
	v_fma_f64 v[2:3], v[10:11], v[4:5], -v[2:3]
	v_mul_f64 v[10:11], v[10:11], v[0:1]
	v_fma_f64 v[10:11], v[12:13], v[4:5], v[10:11]
	buffer_load_dword v12, off, s[0:3], 0 offset:928
	buffer_load_dword v13, off, s[0:3], 0 offset:932
	;; [unrolled: 1-line block ×4, first 2 shown]
	s_waitcnt vmcnt(2)
	v_add_f64 v[2:3], v[12:13], -v[2:3]
	s_waitcnt vmcnt(0)
	v_add_f64 v[10:11], v[20:21], -v[10:11]
	buffer_store_dword v3, off, s[0:3], 0 offset:932
	buffer_store_dword v2, off, s[0:3], 0 offset:928
	;; [unrolled: 1-line block ×4, first 2 shown]
	ds_read2_b64 v[10:13], v16 offset0:118 offset1:119
	s_waitcnt lgkmcnt(0)
	v_mul_f64 v[2:3], v[12:13], v[0:1]
	v_fma_f64 v[2:3], v[10:11], v[4:5], -v[2:3]
	v_mul_f64 v[10:11], v[10:11], v[0:1]
	v_fma_f64 v[10:11], v[12:13], v[4:5], v[10:11]
	buffer_load_dword v12, off, s[0:3], 0 offset:944
	buffer_load_dword v13, off, s[0:3], 0 offset:948
	buffer_load_dword v20, off, s[0:3], 0 offset:952
	buffer_load_dword v21, off, s[0:3], 0 offset:956
	s_waitcnt vmcnt(2)
	v_add_f64 v[2:3], v[12:13], -v[2:3]
	s_waitcnt vmcnt(0)
	v_add_f64 v[10:11], v[20:21], -v[10:11]
	buffer_store_dword v3, off, s[0:3], 0 offset:948
	buffer_store_dword v2, off, s[0:3], 0 offset:944
	buffer_store_dword v11, off, s[0:3], 0 offset:956
	buffer_store_dword v10, off, s[0:3], 0 offset:952
	ds_read2_b64 v[10:13], v16 offset0:120 offset1:121
	s_waitcnt lgkmcnt(0)
	v_mul_f64 v[2:3], v[12:13], v[0:1]
	v_mul_f64 v[0:1], v[10:11], v[0:1]
	v_fma_f64 v[2:3], v[10:11], v[4:5], -v[2:3]
	v_fma_f64 v[0:1], v[12:13], v[4:5], v[0:1]
	buffer_load_dword v4, off, s[0:3], 0 offset:960
	buffer_load_dword v5, off, s[0:3], 0 offset:964
	;; [unrolled: 1-line block ×4, first 2 shown]
	s_waitcnt vmcnt(2)
	v_add_f64 v[2:3], v[4:5], -v[2:3]
	s_waitcnt vmcnt(0)
	v_add_f64 v[0:1], v[10:11], -v[0:1]
	buffer_store_dword v3, off, s[0:3], 0 offset:964
	buffer_store_dword v2, off, s[0:3], 0 offset:960
	buffer_store_dword v1, off, s[0:3], 0 offset:972
	buffer_store_dword v0, off, s[0:3], 0 offset:968
	ds_read2_b64 v[0:3], v16 offset0:122 offset1:123
	buffer_load_dword v4, off, s[0:3], 0 offset:864
	buffer_load_dword v5, off, s[0:3], 0 offset:868
	;; [unrolled: 1-line block ×4, first 2 shown]
	s_waitcnt vmcnt(0) lgkmcnt(0)
	v_mul_f64 v[12:13], v[2:3], v[10:11]
	v_fma_f64 v[12:13], v[0:1], v[4:5], -v[12:13]
	v_mul_f64 v[0:1], v[0:1], v[10:11]
	v_fma_f64 v[0:1], v[2:3], v[4:5], v[0:1]
	buffer_load_dword v3, off, s[0:3], 0 offset:980
	buffer_load_dword v2, off, s[0:3], 0 offset:976
	;; [unrolled: 1-line block ×4, first 2 shown]
	s_waitcnt vmcnt(2)
	v_add_f64 v[2:3], v[2:3], -v[12:13]
	s_waitcnt vmcnt(0)
	v_add_f64 v[0:1], v[4:5], -v[0:1]
	buffer_store_dword v3, off, s[0:3], 0 offset:980
	buffer_store_dword v2, off, s[0:3], 0 offset:976
	;; [unrolled: 1-line block ×4, first 2 shown]
.LBB122_1266:
	s_or_b64 exec, exec, s[4:5]
	v_mov_b32_e32 v3, s30
	s_waitcnt vmcnt(0)
	s_barrier
	buffer_load_dword v0, v3, s[0:3], 0 offen
	buffer_load_dword v1, v3, s[0:3], 0 offen offset:4
	buffer_load_dword v2, v3, s[0:3], 0 offen offset:8
	s_nop 0
	buffer_load_dword v3, v3, s[0:3], 0 offen offset:12
	v_lshl_add_u32 v4, v19, 4, v16
	s_cmp_lt_i32 s65, 57
	s_waitcnt vmcnt(0)
	ds_write2_b64 v4, v[0:1], v[2:3] offset1:1
	s_waitcnt lgkmcnt(0)
	s_barrier
	ds_read2_b64 v[0:3], v16 offset0:110 offset1:111
	v_mov_b32_e32 v4, 55
	s_cbranch_scc1 .LBB122_1269
; %bb.1267:
	v_add_u32_e32 v5, 0x380, v16
	s_mov_b32 s16, 56
	v_mov_b32_e32 v4, 55
.LBB122_1268:                           ; =>This Inner Loop Header: Depth=1
	s_waitcnt lgkmcnt(0)
	v_cmp_gt_f64_e32 vcc, 0, v[2:3]
	v_cmp_gt_f64_e64 s[4:5], 0, v[0:1]
	ds_read2_b64 v[10:13], v5 offset1:1
	v_xor_b32_e32 v21, 0x80000000, v1
	v_xor_b32_e32 v23, 0x80000000, v3
	v_mov_b32_e32 v20, v0
	v_mov_b32_e32 v22, v2
	s_waitcnt lgkmcnt(0)
	v_xor_b32_e32 v25, 0x80000000, v13
	v_cndmask_b32_e32 v23, v3, v23, vcc
	v_cndmask_b32_e64 v21, v1, v21, s[4:5]
	v_cmp_gt_f64_e32 vcc, 0, v[12:13]
	v_cmp_gt_f64_e64 s[4:5], 0, v[10:11]
	v_add_f64 v[20:21], v[20:21], v[22:23]
	v_xor_b32_e32 v23, 0x80000000, v11
	v_mov_b32_e32 v22, v10
	v_mov_b32_e32 v24, v12
	v_add_u32_e32 v5, 16, v5
	v_cndmask_b32_e32 v25, v13, v25, vcc
	v_cndmask_b32_e64 v23, v11, v23, s[4:5]
	v_add_f64 v[22:23], v[22:23], v[24:25]
	v_mov_b32_e32 v24, s16
	s_add_i32 s16, s16, 1
	s_cmp_lg_u32 s65, s16
	v_cmp_lt_f64_e32 vcc, v[20:21], v[22:23]
	v_cndmask_b32_e32 v1, v1, v11, vcc
	v_cndmask_b32_e32 v0, v0, v10, vcc
	v_cndmask_b32_e32 v3, v3, v13, vcc
	v_cndmask_b32_e32 v2, v2, v12, vcc
	v_cndmask_b32_e32 v4, v4, v24, vcc
	s_cbranch_scc1 .LBB122_1268
.LBB122_1269:
	s_waitcnt lgkmcnt(0)
	v_cmp_eq_f64_e32 vcc, 0, v[0:1]
	v_cmp_eq_f64_e64 s[4:5], 0, v[2:3]
	s_and_b64 s[4:5], vcc, s[4:5]
	s_and_saveexec_b64 s[16:17], s[4:5]
	s_xor_b64 s[4:5], exec, s[16:17]
; %bb.1270:
	v_cmp_ne_u32_e32 vcc, 0, v17
	v_cndmask_b32_e32 v17, 56, v17, vcc
; %bb.1271:
	s_andn2_saveexec_b64 s[4:5], s[4:5]
	s_cbranch_execz .LBB122_1277
; %bb.1272:
	v_cmp_ngt_f64_e64 s[16:17], |v[0:1]|, |v[2:3]|
	s_and_saveexec_b64 s[18:19], s[16:17]
	s_xor_b64 s[18:19], exec, s[18:19]
	s_cbranch_execz .LBB122_1274
; %bb.1273:
	v_div_scale_f64 v[10:11], s[16:17], v[2:3], v[2:3], v[0:1]
	v_rcp_f64_e32 v[12:13], v[10:11]
	v_fma_f64 v[20:21], -v[10:11], v[12:13], 1.0
	v_fma_f64 v[12:13], v[12:13], v[20:21], v[12:13]
	v_div_scale_f64 v[20:21], vcc, v[0:1], v[2:3], v[0:1]
	v_fma_f64 v[22:23], -v[10:11], v[12:13], 1.0
	v_fma_f64 v[12:13], v[12:13], v[22:23], v[12:13]
	v_mul_f64 v[22:23], v[20:21], v[12:13]
	v_fma_f64 v[10:11], -v[10:11], v[22:23], v[20:21]
	v_div_fmas_f64 v[10:11], v[10:11], v[12:13], v[22:23]
	v_div_fixup_f64 v[10:11], v[10:11], v[2:3], v[0:1]
	v_fma_f64 v[0:1], v[0:1], v[10:11], v[2:3]
	v_div_scale_f64 v[2:3], s[16:17], v[0:1], v[0:1], 1.0
	v_div_scale_f64 v[22:23], vcc, 1.0, v[0:1], 1.0
	v_rcp_f64_e32 v[12:13], v[2:3]
	v_fma_f64 v[20:21], -v[2:3], v[12:13], 1.0
	v_fma_f64 v[12:13], v[12:13], v[20:21], v[12:13]
	v_fma_f64 v[20:21], -v[2:3], v[12:13], 1.0
	v_fma_f64 v[12:13], v[12:13], v[20:21], v[12:13]
	v_mul_f64 v[20:21], v[22:23], v[12:13]
	v_fma_f64 v[2:3], -v[2:3], v[20:21], v[22:23]
	v_div_fmas_f64 v[2:3], v[2:3], v[12:13], v[20:21]
	v_div_fixup_f64 v[2:3], v[2:3], v[0:1], 1.0
	v_mul_f64 v[0:1], v[10:11], v[2:3]
	v_xor_b32_e32 v3, 0x80000000, v3
.LBB122_1274:
	s_andn2_saveexec_b64 s[18:19], s[18:19]
	s_cbranch_execz .LBB122_1276
; %bb.1275:
	v_div_scale_f64 v[10:11], s[16:17], v[0:1], v[0:1], v[2:3]
	v_rcp_f64_e32 v[12:13], v[10:11]
	v_fma_f64 v[20:21], -v[10:11], v[12:13], 1.0
	v_fma_f64 v[12:13], v[12:13], v[20:21], v[12:13]
	v_div_scale_f64 v[20:21], vcc, v[2:3], v[0:1], v[2:3]
	v_fma_f64 v[22:23], -v[10:11], v[12:13], 1.0
	v_fma_f64 v[12:13], v[12:13], v[22:23], v[12:13]
	v_mul_f64 v[22:23], v[20:21], v[12:13]
	v_fma_f64 v[10:11], -v[10:11], v[22:23], v[20:21]
	v_div_fmas_f64 v[10:11], v[10:11], v[12:13], v[22:23]
	v_div_fixup_f64 v[10:11], v[10:11], v[0:1], v[2:3]
	v_fma_f64 v[0:1], v[2:3], v[10:11], v[0:1]
	v_div_scale_f64 v[2:3], s[16:17], v[0:1], v[0:1], 1.0
	v_div_scale_f64 v[22:23], vcc, 1.0, v[0:1], 1.0
	v_rcp_f64_e32 v[12:13], v[2:3]
	v_fma_f64 v[20:21], -v[2:3], v[12:13], 1.0
	v_fma_f64 v[12:13], v[12:13], v[20:21], v[12:13]
	v_fma_f64 v[20:21], -v[2:3], v[12:13], 1.0
	v_fma_f64 v[12:13], v[12:13], v[20:21], v[12:13]
	v_mul_f64 v[20:21], v[22:23], v[12:13]
	v_fma_f64 v[2:3], -v[2:3], v[20:21], v[22:23]
	v_div_fmas_f64 v[2:3], v[2:3], v[12:13], v[20:21]
	v_div_fixup_f64 v[0:1], v[2:3], v[0:1], 1.0
	v_mul_f64 v[2:3], v[10:11], -v[0:1]
.LBB122_1276:
	s_or_b64 exec, exec, s[18:19]
.LBB122_1277:
	s_or_b64 exec, exec, s[4:5]
	v_cmp_ne_u32_e32 vcc, v19, v4
	s_and_saveexec_b64 s[4:5], vcc
	s_xor_b64 s[4:5], exec, s[4:5]
	s_cbranch_execz .LBB122_1283
; %bb.1278:
	v_cmp_eq_u32_e32 vcc, 55, v19
	s_and_saveexec_b64 s[18:19], vcc
	s_cbranch_execz .LBB122_1282
; %bb.1279:
	v_cmp_ne_u32_e32 vcc, 55, v4
	s_xor_b64 s[16:17], s[22:23], -1
	s_and_b64 s[16:17], s[16:17], vcc
	s_and_saveexec_b64 s[24:25], s[16:17]
	s_cbranch_execz .LBB122_1281
; %bb.1280:
	v_ashrrev_i32_e32 v5, 31, v4
	v_lshlrev_b64 v[10:11], 2, v[4:5]
	v_add_co_u32_e32 v10, vcc, v8, v10
	v_addc_co_u32_e32 v11, vcc, v9, v11, vcc
	global_load_dword v5, v[10:11], off
	global_load_dword v12, v[8:9], off offset:220
	s_waitcnt vmcnt(1)
	global_store_dword v[8:9], v5, off offset:220
	s_waitcnt vmcnt(1)
	global_store_dword v[10:11], v12, off
.LBB122_1281:
	s_or_b64 exec, exec, s[24:25]
	v_mov_b32_e32 v19, v4
	v_mov_b32_e32 v18, v4
.LBB122_1282:
	s_or_b64 exec, exec, s[18:19]
.LBB122_1283:
	s_andn2_saveexec_b64 s[4:5], s[4:5]
	s_cbranch_execz .LBB122_1285
; %bb.1284:
	v_mov_b32_e32 v11, s29
	v_mov_b32_e32 v20, s28
	;; [unrolled: 1-line block ×6, first 2 shown]
	buffer_load_dword v4, v11, s[0:3], 0 offen
	buffer_load_dword v5, v11, s[0:3], 0 offen offset:4
	buffer_load_dword v10, v11, s[0:3], 0 offen offset:8
	s_nop 0
	buffer_load_dword v11, v11, s[0:3], 0 offen offset:12
	s_nop 0
	buffer_load_dword v12, v20, s[0:3], 0 offen
	buffer_load_dword v13, v20, s[0:3], 0 offen offset:4
	buffer_load_dword v19, v20, s[0:3], 0 offen offset:8
	s_nop 0
	buffer_load_dword v20, v20, s[0:3], 0 offen offset:12
	s_nop 0
	;; [unrolled: 6-line block ×5, first 2 shown]
	buffer_load_dword v33, v36, s[0:3], 0 offen
	buffer_load_dword v34, v36, s[0:3], 0 offen offset:4
	buffer_load_dword v35, v36, s[0:3], 0 offen offset:8
	s_nop 0
	buffer_load_dword v36, v36, s[0:3], 0 offen offset:12
	s_waitcnt vmcnt(20)
	ds_write2_b64 v16, v[4:5], v[10:11] offset0:112 offset1:113
	s_waitcnt vmcnt(16)
	ds_write2_b64 v16, v[12:13], v[19:20] offset0:114 offset1:115
	s_waitcnt vmcnt(12)
	ds_write2_b64 v16, v[21:22], v[23:24] offset0:116 offset1:117
	s_waitcnt vmcnt(8)
	ds_write2_b64 v16, v[25:26], v[27:28] offset0:118 offset1:119
	s_waitcnt vmcnt(4)
	ds_write2_b64 v16, v[29:30], v[31:32] offset0:120 offset1:121
	s_waitcnt vmcnt(0)
	ds_write2_b64 v16, v[33:34], v[35:36] offset0:122 offset1:123
	v_mov_b32_e32 v19, 55
.LBB122_1285:
	s_or_b64 exec, exec, s[4:5]
	v_cmp_lt_i32_e32 vcc, 55, v19
	s_waitcnt vmcnt(0) lgkmcnt(0)
	s_barrier
	s_and_saveexec_b64 s[4:5], vcc
	s_cbranch_execz .LBB122_1287
; %bb.1286:
	buffer_load_dword v4, off, s[0:3], 0 offset:880
	buffer_load_dword v5, off, s[0:3], 0 offset:884
	buffer_load_dword v10, off, s[0:3], 0 offset:888
	buffer_load_dword v11, off, s[0:3], 0 offset:892
	buffer_load_dword v12, off, s[0:3], 0 offset:896
	buffer_load_dword v13, off, s[0:3], 0 offset:900
	buffer_load_dword v20, off, s[0:3], 0 offset:904
	buffer_load_dword v21, off, s[0:3], 0 offset:908
	buffer_load_dword v22, off, s[0:3], 0 offset:912
	buffer_load_dword v23, off, s[0:3], 0 offset:916
	buffer_load_dword v24, off, s[0:3], 0 offset:920
	buffer_load_dword v25, off, s[0:3], 0 offset:924
	buffer_load_dword v26, off, s[0:3], 0 offset:928
	buffer_load_dword v27, off, s[0:3], 0 offset:932
	buffer_load_dword v28, off, s[0:3], 0 offset:936
	buffer_load_dword v29, off, s[0:3], 0 offset:940
	s_waitcnt vmcnt(12)
	v_mul_f64 v[30:31], v[2:3], v[10:11]
	v_fma_f64 v[30:31], v[0:1], v[4:5], -v[30:31]
	v_mul_f64 v[0:1], v[0:1], v[10:11]
	v_fma_f64 v[4:5], v[2:3], v[4:5], v[0:1]
	buffer_store_dword v30, off, s[0:3], 0 offset:880
	buffer_store_dword v31, off, s[0:3], 0 offset:884
	buffer_store_dword v4, off, s[0:3], 0 offset:888
	buffer_store_dword v5, off, s[0:3], 0 offset:892
	ds_read2_b64 v[0:3], v16 offset0:112 offset1:113
	s_waitcnt lgkmcnt(0)
	v_mul_f64 v[10:11], v[2:3], v[4:5]
	v_fma_f64 v[10:11], v[0:1], v[30:31], -v[10:11]
	v_mul_f64 v[0:1], v[0:1], v[4:5]
	v_fma_f64 v[0:1], v[2:3], v[30:31], v[0:1]
	s_waitcnt vmcnt(14)
	v_add_f64 v[2:3], v[12:13], -v[10:11]
	s_waitcnt vmcnt(12)
	v_add_f64 v[0:1], v[20:21], -v[0:1]
	buffer_store_dword v2, off, s[0:3], 0 offset:896
	buffer_store_dword v3, off, s[0:3], 0 offset:900
	buffer_store_dword v0, off, s[0:3], 0 offset:904
	buffer_store_dword v1, off, s[0:3], 0 offset:908
	ds_read2_b64 v[0:3], v16 offset0:114 offset1:115
	s_waitcnt lgkmcnt(0)
	v_mul_f64 v[10:11], v[2:3], v[4:5]
	v_fma_f64 v[10:11], v[0:1], v[30:31], -v[10:11]
	v_mul_f64 v[0:1], v[0:1], v[4:5]
	v_fma_f64 v[0:1], v[2:3], v[30:31], v[0:1]
	s_waitcnt vmcnt(14)
	v_add_f64 v[2:3], v[22:23], -v[10:11]
	s_waitcnt vmcnt(12)
	v_add_f64 v[0:1], v[24:25], -v[0:1]
	;; [unrolled: 14-line block ×3, first 2 shown]
	buffer_store_dword v3, off, s[0:3], 0 offset:932
	buffer_store_dword v2, off, s[0:3], 0 offset:928
	buffer_store_dword v0, off, s[0:3], 0 offset:936
	buffer_store_dword v1, off, s[0:3], 0 offset:940
	ds_read2_b64 v[0:3], v16 offset0:118 offset1:119
	s_waitcnt lgkmcnt(0)
	v_mul_f64 v[10:11], v[2:3], v[4:5]
	v_fma_f64 v[10:11], v[0:1], v[30:31], -v[10:11]
	v_mul_f64 v[0:1], v[0:1], v[4:5]
	v_fma_f64 v[0:1], v[2:3], v[30:31], v[0:1]
	buffer_load_dword v2, off, s[0:3], 0 offset:944
	buffer_load_dword v3, off, s[0:3], 0 offset:948
	buffer_load_dword v12, off, s[0:3], 0 offset:952
	buffer_load_dword v13, off, s[0:3], 0 offset:956
	s_waitcnt vmcnt(2)
	v_add_f64 v[2:3], v[2:3], -v[10:11]
	s_waitcnt vmcnt(0)
	v_add_f64 v[0:1], v[12:13], -v[0:1]
	buffer_store_dword v3, off, s[0:3], 0 offset:948
	buffer_store_dword v2, off, s[0:3], 0 offset:944
	buffer_store_dword v1, off, s[0:3], 0 offset:956
	buffer_store_dword v0, off, s[0:3], 0 offset:952
	ds_read2_b64 v[0:3], v16 offset0:120 offset1:121
	s_waitcnt lgkmcnt(0)
	v_mul_f64 v[10:11], v[2:3], v[4:5]
	v_fma_f64 v[10:11], v[0:1], v[30:31], -v[10:11]
	v_mul_f64 v[0:1], v[0:1], v[4:5]
	v_fma_f64 v[0:1], v[2:3], v[30:31], v[0:1]
	buffer_load_dword v2, off, s[0:3], 0 offset:960
	buffer_load_dword v3, off, s[0:3], 0 offset:964
	buffer_load_dword v12, off, s[0:3], 0 offset:968
	buffer_load_dword v13, off, s[0:3], 0 offset:972
	s_waitcnt vmcnt(2)
	v_add_f64 v[2:3], v[2:3], -v[10:11]
	s_waitcnt vmcnt(0)
	v_add_f64 v[0:1], v[12:13], -v[0:1]
	;; [unrolled: 18-line block ×3, first 2 shown]
	buffer_store_dword v3, off, s[0:3], 0 offset:980
	buffer_store_dword v2, off, s[0:3], 0 offset:976
	;; [unrolled: 1-line block ×4, first 2 shown]
.LBB122_1287:
	s_or_b64 exec, exec, s[4:5]
	v_mov_b32_e32 v3, s29
	s_waitcnt vmcnt(0)
	s_barrier
	buffer_load_dword v0, v3, s[0:3], 0 offen
	buffer_load_dword v1, v3, s[0:3], 0 offen offset:4
	buffer_load_dword v2, v3, s[0:3], 0 offen offset:8
	s_nop 0
	buffer_load_dword v3, v3, s[0:3], 0 offen offset:12
	v_lshl_add_u32 v4, v19, 4, v16
	s_cmp_lt_i32 s65, 58
	s_waitcnt vmcnt(0)
	ds_write2_b64 v4, v[0:1], v[2:3] offset1:1
	s_waitcnt lgkmcnt(0)
	s_barrier
	ds_read2_b64 v[0:3], v16 offset0:112 offset1:113
	v_mov_b32_e32 v4, 56
	s_cbranch_scc1 .LBB122_1290
; %bb.1288:
	v_add_u32_e32 v5, 0x390, v16
	s_mov_b32 s16, 57
	v_mov_b32_e32 v4, 56
.LBB122_1289:                           ; =>This Inner Loop Header: Depth=1
	s_waitcnt lgkmcnt(0)
	v_cmp_gt_f64_e32 vcc, 0, v[2:3]
	v_cmp_gt_f64_e64 s[4:5], 0, v[0:1]
	ds_read2_b64 v[10:13], v5 offset1:1
	v_xor_b32_e32 v21, 0x80000000, v1
	v_xor_b32_e32 v23, 0x80000000, v3
	v_mov_b32_e32 v20, v0
	v_mov_b32_e32 v22, v2
	s_waitcnt lgkmcnt(0)
	v_xor_b32_e32 v25, 0x80000000, v13
	v_cndmask_b32_e32 v23, v3, v23, vcc
	v_cndmask_b32_e64 v21, v1, v21, s[4:5]
	v_cmp_gt_f64_e32 vcc, 0, v[12:13]
	v_cmp_gt_f64_e64 s[4:5], 0, v[10:11]
	v_add_f64 v[20:21], v[20:21], v[22:23]
	v_xor_b32_e32 v23, 0x80000000, v11
	v_mov_b32_e32 v22, v10
	v_mov_b32_e32 v24, v12
	v_add_u32_e32 v5, 16, v5
	v_cndmask_b32_e32 v25, v13, v25, vcc
	v_cndmask_b32_e64 v23, v11, v23, s[4:5]
	v_add_f64 v[22:23], v[22:23], v[24:25]
	v_mov_b32_e32 v24, s16
	s_add_i32 s16, s16, 1
	s_cmp_lg_u32 s65, s16
	v_cmp_lt_f64_e32 vcc, v[20:21], v[22:23]
	v_cndmask_b32_e32 v1, v1, v11, vcc
	v_cndmask_b32_e32 v0, v0, v10, vcc
	;; [unrolled: 1-line block ×5, first 2 shown]
	s_cbranch_scc1 .LBB122_1289
.LBB122_1290:
	s_waitcnt lgkmcnt(0)
	v_cmp_eq_f64_e32 vcc, 0, v[0:1]
	v_cmp_eq_f64_e64 s[4:5], 0, v[2:3]
	s_and_b64 s[4:5], vcc, s[4:5]
	s_and_saveexec_b64 s[16:17], s[4:5]
	s_xor_b64 s[4:5], exec, s[16:17]
; %bb.1291:
	v_cmp_ne_u32_e32 vcc, 0, v17
	v_cndmask_b32_e32 v17, 57, v17, vcc
; %bb.1292:
	s_andn2_saveexec_b64 s[4:5], s[4:5]
	s_cbranch_execz .LBB122_1298
; %bb.1293:
	v_cmp_ngt_f64_e64 s[16:17], |v[0:1]|, |v[2:3]|
	s_and_saveexec_b64 s[18:19], s[16:17]
	s_xor_b64 s[18:19], exec, s[18:19]
	s_cbranch_execz .LBB122_1295
; %bb.1294:
	v_div_scale_f64 v[10:11], s[16:17], v[2:3], v[2:3], v[0:1]
	v_rcp_f64_e32 v[12:13], v[10:11]
	v_fma_f64 v[20:21], -v[10:11], v[12:13], 1.0
	v_fma_f64 v[12:13], v[12:13], v[20:21], v[12:13]
	v_div_scale_f64 v[20:21], vcc, v[0:1], v[2:3], v[0:1]
	v_fma_f64 v[22:23], -v[10:11], v[12:13], 1.0
	v_fma_f64 v[12:13], v[12:13], v[22:23], v[12:13]
	v_mul_f64 v[22:23], v[20:21], v[12:13]
	v_fma_f64 v[10:11], -v[10:11], v[22:23], v[20:21]
	v_div_fmas_f64 v[10:11], v[10:11], v[12:13], v[22:23]
	v_div_fixup_f64 v[10:11], v[10:11], v[2:3], v[0:1]
	v_fma_f64 v[0:1], v[0:1], v[10:11], v[2:3]
	v_div_scale_f64 v[2:3], s[16:17], v[0:1], v[0:1], 1.0
	v_div_scale_f64 v[22:23], vcc, 1.0, v[0:1], 1.0
	v_rcp_f64_e32 v[12:13], v[2:3]
	v_fma_f64 v[20:21], -v[2:3], v[12:13], 1.0
	v_fma_f64 v[12:13], v[12:13], v[20:21], v[12:13]
	v_fma_f64 v[20:21], -v[2:3], v[12:13], 1.0
	v_fma_f64 v[12:13], v[12:13], v[20:21], v[12:13]
	v_mul_f64 v[20:21], v[22:23], v[12:13]
	v_fma_f64 v[2:3], -v[2:3], v[20:21], v[22:23]
	v_div_fmas_f64 v[2:3], v[2:3], v[12:13], v[20:21]
	v_div_fixup_f64 v[2:3], v[2:3], v[0:1], 1.0
	v_mul_f64 v[0:1], v[10:11], v[2:3]
	v_xor_b32_e32 v3, 0x80000000, v3
.LBB122_1295:
	s_andn2_saveexec_b64 s[18:19], s[18:19]
	s_cbranch_execz .LBB122_1297
; %bb.1296:
	v_div_scale_f64 v[10:11], s[16:17], v[0:1], v[0:1], v[2:3]
	v_rcp_f64_e32 v[12:13], v[10:11]
	v_fma_f64 v[20:21], -v[10:11], v[12:13], 1.0
	v_fma_f64 v[12:13], v[12:13], v[20:21], v[12:13]
	v_div_scale_f64 v[20:21], vcc, v[2:3], v[0:1], v[2:3]
	v_fma_f64 v[22:23], -v[10:11], v[12:13], 1.0
	v_fma_f64 v[12:13], v[12:13], v[22:23], v[12:13]
	v_mul_f64 v[22:23], v[20:21], v[12:13]
	v_fma_f64 v[10:11], -v[10:11], v[22:23], v[20:21]
	v_div_fmas_f64 v[10:11], v[10:11], v[12:13], v[22:23]
	v_div_fixup_f64 v[10:11], v[10:11], v[0:1], v[2:3]
	v_fma_f64 v[0:1], v[2:3], v[10:11], v[0:1]
	v_div_scale_f64 v[2:3], s[16:17], v[0:1], v[0:1], 1.0
	v_div_scale_f64 v[22:23], vcc, 1.0, v[0:1], 1.0
	v_rcp_f64_e32 v[12:13], v[2:3]
	v_fma_f64 v[20:21], -v[2:3], v[12:13], 1.0
	v_fma_f64 v[12:13], v[12:13], v[20:21], v[12:13]
	v_fma_f64 v[20:21], -v[2:3], v[12:13], 1.0
	v_fma_f64 v[12:13], v[12:13], v[20:21], v[12:13]
	v_mul_f64 v[20:21], v[22:23], v[12:13]
	v_fma_f64 v[2:3], -v[2:3], v[20:21], v[22:23]
	v_div_fmas_f64 v[2:3], v[2:3], v[12:13], v[20:21]
	v_div_fixup_f64 v[0:1], v[2:3], v[0:1], 1.0
	v_mul_f64 v[2:3], v[10:11], -v[0:1]
.LBB122_1297:
	s_or_b64 exec, exec, s[18:19]
.LBB122_1298:
	s_or_b64 exec, exec, s[4:5]
	v_cmp_ne_u32_e32 vcc, v19, v4
	s_and_saveexec_b64 s[4:5], vcc
	s_xor_b64 s[4:5], exec, s[4:5]
	s_cbranch_execz .LBB122_1304
; %bb.1299:
	v_cmp_eq_u32_e32 vcc, 56, v19
	s_and_saveexec_b64 s[18:19], vcc
	s_cbranch_execz .LBB122_1303
; %bb.1300:
	v_cmp_ne_u32_e32 vcc, 56, v4
	s_xor_b64 s[16:17], s[22:23], -1
	s_and_b64 s[16:17], s[16:17], vcc
	s_and_saveexec_b64 s[24:25], s[16:17]
	s_cbranch_execz .LBB122_1302
; %bb.1301:
	v_ashrrev_i32_e32 v5, 31, v4
	v_lshlrev_b64 v[10:11], 2, v[4:5]
	v_add_co_u32_e32 v10, vcc, v8, v10
	v_addc_co_u32_e32 v11, vcc, v9, v11, vcc
	global_load_dword v5, v[10:11], off
	global_load_dword v12, v[8:9], off offset:224
	s_waitcnt vmcnt(1)
	global_store_dword v[8:9], v5, off offset:224
	s_waitcnt vmcnt(1)
	global_store_dword v[10:11], v12, off
.LBB122_1302:
	s_or_b64 exec, exec, s[24:25]
	v_mov_b32_e32 v19, v4
	v_mov_b32_e32 v18, v4
.LBB122_1303:
	s_or_b64 exec, exec, s[18:19]
.LBB122_1304:
	s_andn2_saveexec_b64 s[4:5], s[4:5]
	s_cbranch_execz .LBB122_1306
; %bb.1305:
	v_mov_b32_e32 v11, s28
	v_mov_b32_e32 v20, s27
	;; [unrolled: 1-line block ×5, first 2 shown]
	buffer_load_dword v4, v11, s[0:3], 0 offen
	buffer_load_dword v5, v11, s[0:3], 0 offen offset:4
	buffer_load_dword v10, v11, s[0:3], 0 offen offset:8
	s_nop 0
	buffer_load_dword v11, v11, s[0:3], 0 offen offset:12
	s_nop 0
	buffer_load_dword v12, v20, s[0:3], 0 offen
	buffer_load_dword v13, v20, s[0:3], 0 offen offset:4
	buffer_load_dword v19, v20, s[0:3], 0 offen offset:8
	s_nop 0
	buffer_load_dword v20, v20, s[0:3], 0 offen offset:12
	s_nop 0
	;; [unrolled: 6-line block ×4, first 2 shown]
	buffer_load_dword v29, v32, s[0:3], 0 offen
	buffer_load_dword v30, v32, s[0:3], 0 offen offset:4
	buffer_load_dword v31, v32, s[0:3], 0 offen offset:8
	s_nop 0
	buffer_load_dword v32, v32, s[0:3], 0 offen offset:12
	s_waitcnt vmcnt(16)
	ds_write2_b64 v16, v[4:5], v[10:11] offset0:114 offset1:115
	s_waitcnt vmcnt(12)
	ds_write2_b64 v16, v[12:13], v[19:20] offset0:116 offset1:117
	;; [unrolled: 2-line block ×5, first 2 shown]
	v_mov_b32_e32 v19, 56
.LBB122_1306:
	s_or_b64 exec, exec, s[4:5]
	v_cmp_lt_i32_e32 vcc, 56, v19
	s_waitcnt vmcnt(0) lgkmcnt(0)
	s_barrier
	s_and_saveexec_b64 s[4:5], vcc
	s_cbranch_execz .LBB122_1308
; %bb.1307:
	buffer_load_dword v4, off, s[0:3], 0 offset:896
	buffer_load_dword v5, off, s[0:3], 0 offset:900
	;; [unrolled: 1-line block ×16, first 2 shown]
	s_waitcnt vmcnt(12)
	v_mul_f64 v[30:31], v[2:3], v[10:11]
	v_fma_f64 v[30:31], v[0:1], v[4:5], -v[30:31]
	v_mul_f64 v[0:1], v[0:1], v[10:11]
	v_fma_f64 v[4:5], v[2:3], v[4:5], v[0:1]
	buffer_store_dword v30, off, s[0:3], 0 offset:896
	buffer_store_dword v31, off, s[0:3], 0 offset:900
	buffer_store_dword v4, off, s[0:3], 0 offset:904
	buffer_store_dword v5, off, s[0:3], 0 offset:908
	ds_read2_b64 v[0:3], v16 offset0:114 offset1:115
	s_waitcnt lgkmcnt(0)
	v_mul_f64 v[10:11], v[2:3], v[4:5]
	v_fma_f64 v[10:11], v[0:1], v[30:31], -v[10:11]
	v_mul_f64 v[0:1], v[0:1], v[4:5]
	v_fma_f64 v[0:1], v[2:3], v[30:31], v[0:1]
	s_waitcnt vmcnt(14)
	v_add_f64 v[2:3], v[12:13], -v[10:11]
	s_waitcnt vmcnt(12)
	v_add_f64 v[0:1], v[20:21], -v[0:1]
	buffer_store_dword v2, off, s[0:3], 0 offset:912
	buffer_store_dword v3, off, s[0:3], 0 offset:916
	buffer_store_dword v0, off, s[0:3], 0 offset:920
	buffer_store_dword v1, off, s[0:3], 0 offset:924
	ds_read2_b64 v[0:3], v16 offset0:116 offset1:117
	s_waitcnt lgkmcnt(0)
	v_mul_f64 v[10:11], v[2:3], v[4:5]
	v_fma_f64 v[10:11], v[0:1], v[30:31], -v[10:11]
	v_mul_f64 v[0:1], v[0:1], v[4:5]
	v_fma_f64 v[0:1], v[2:3], v[30:31], v[0:1]
	s_waitcnt vmcnt(14)
	v_add_f64 v[2:3], v[22:23], -v[10:11]
	s_waitcnt vmcnt(12)
	v_add_f64 v[0:1], v[24:25], -v[0:1]
	;; [unrolled: 14-line block ×3, first 2 shown]
	buffer_store_dword v3, off, s[0:3], 0 offset:948
	buffer_store_dword v2, off, s[0:3], 0 offset:944
	;; [unrolled: 1-line block ×4, first 2 shown]
	ds_read2_b64 v[0:3], v16 offset0:120 offset1:121
	s_waitcnt lgkmcnt(0)
	v_mul_f64 v[10:11], v[2:3], v[4:5]
	v_fma_f64 v[10:11], v[0:1], v[30:31], -v[10:11]
	v_mul_f64 v[0:1], v[0:1], v[4:5]
	v_fma_f64 v[0:1], v[2:3], v[30:31], v[0:1]
	buffer_load_dword v2, off, s[0:3], 0 offset:960
	buffer_load_dword v3, off, s[0:3], 0 offset:964
	;; [unrolled: 1-line block ×4, first 2 shown]
	s_waitcnt vmcnt(2)
	v_add_f64 v[2:3], v[2:3], -v[10:11]
	s_waitcnt vmcnt(0)
	v_add_f64 v[0:1], v[12:13], -v[0:1]
	buffer_store_dword v3, off, s[0:3], 0 offset:964
	buffer_store_dword v2, off, s[0:3], 0 offset:960
	;; [unrolled: 1-line block ×4, first 2 shown]
	ds_read2_b64 v[0:3], v16 offset0:122 offset1:123
	s_waitcnt lgkmcnt(0)
	v_mul_f64 v[10:11], v[2:3], v[4:5]
	v_fma_f64 v[10:11], v[0:1], v[30:31], -v[10:11]
	v_mul_f64 v[0:1], v[0:1], v[4:5]
	v_fma_f64 v[0:1], v[2:3], v[30:31], v[0:1]
	buffer_load_dword v2, off, s[0:3], 0 offset:976
	buffer_load_dword v3, off, s[0:3], 0 offset:980
	;; [unrolled: 1-line block ×4, first 2 shown]
	s_waitcnt vmcnt(2)
	v_add_f64 v[2:3], v[2:3], -v[10:11]
	s_waitcnt vmcnt(0)
	v_add_f64 v[0:1], v[4:5], -v[0:1]
	buffer_store_dword v3, off, s[0:3], 0 offset:980
	buffer_store_dword v2, off, s[0:3], 0 offset:976
	buffer_store_dword v1, off, s[0:3], 0 offset:988
	buffer_store_dword v0, off, s[0:3], 0 offset:984
.LBB122_1308:
	s_or_b64 exec, exec, s[4:5]
	v_mov_b32_e32 v3, s28
	s_waitcnt vmcnt(0)
	s_barrier
	buffer_load_dword v0, v3, s[0:3], 0 offen
	buffer_load_dword v1, v3, s[0:3], 0 offen offset:4
	buffer_load_dword v2, v3, s[0:3], 0 offen offset:8
	s_nop 0
	buffer_load_dword v3, v3, s[0:3], 0 offen offset:12
	v_lshl_add_u32 v4, v19, 4, v16
	s_cmp_lt_i32 s65, 59
	s_waitcnt vmcnt(0)
	ds_write2_b64 v4, v[0:1], v[2:3] offset1:1
	s_waitcnt lgkmcnt(0)
	s_barrier
	ds_read2_b64 v[0:3], v16 offset0:114 offset1:115
	v_mov_b32_e32 v4, 57
	s_cbranch_scc1 .LBB122_1311
; %bb.1309:
	v_add_u32_e32 v5, 0x3a0, v16
	s_mov_b32 s16, 58
	v_mov_b32_e32 v4, 57
.LBB122_1310:                           ; =>This Inner Loop Header: Depth=1
	s_waitcnt lgkmcnt(0)
	v_cmp_gt_f64_e32 vcc, 0, v[2:3]
	v_cmp_gt_f64_e64 s[4:5], 0, v[0:1]
	ds_read2_b64 v[10:13], v5 offset1:1
	v_xor_b32_e32 v21, 0x80000000, v1
	v_xor_b32_e32 v23, 0x80000000, v3
	v_mov_b32_e32 v20, v0
	v_mov_b32_e32 v22, v2
	s_waitcnt lgkmcnt(0)
	v_xor_b32_e32 v25, 0x80000000, v13
	v_cndmask_b32_e32 v23, v3, v23, vcc
	v_cndmask_b32_e64 v21, v1, v21, s[4:5]
	v_cmp_gt_f64_e32 vcc, 0, v[12:13]
	v_cmp_gt_f64_e64 s[4:5], 0, v[10:11]
	v_add_f64 v[20:21], v[20:21], v[22:23]
	v_xor_b32_e32 v23, 0x80000000, v11
	v_mov_b32_e32 v22, v10
	v_mov_b32_e32 v24, v12
	v_add_u32_e32 v5, 16, v5
	v_cndmask_b32_e32 v25, v13, v25, vcc
	v_cndmask_b32_e64 v23, v11, v23, s[4:5]
	v_add_f64 v[22:23], v[22:23], v[24:25]
	v_mov_b32_e32 v24, s16
	s_add_i32 s16, s16, 1
	s_cmp_lg_u32 s65, s16
	v_cmp_lt_f64_e32 vcc, v[20:21], v[22:23]
	v_cndmask_b32_e32 v1, v1, v11, vcc
	v_cndmask_b32_e32 v0, v0, v10, vcc
	v_cndmask_b32_e32 v3, v3, v13, vcc
	v_cndmask_b32_e32 v2, v2, v12, vcc
	v_cndmask_b32_e32 v4, v4, v24, vcc
	s_cbranch_scc1 .LBB122_1310
.LBB122_1311:
	s_waitcnt lgkmcnt(0)
	v_cmp_eq_f64_e32 vcc, 0, v[0:1]
	v_cmp_eq_f64_e64 s[4:5], 0, v[2:3]
	s_and_b64 s[4:5], vcc, s[4:5]
	s_and_saveexec_b64 s[16:17], s[4:5]
	s_xor_b64 s[4:5], exec, s[16:17]
; %bb.1312:
	v_cmp_ne_u32_e32 vcc, 0, v17
	v_cndmask_b32_e32 v17, 58, v17, vcc
; %bb.1313:
	s_andn2_saveexec_b64 s[4:5], s[4:5]
	s_cbranch_execz .LBB122_1319
; %bb.1314:
	v_cmp_ngt_f64_e64 s[16:17], |v[0:1]|, |v[2:3]|
	s_and_saveexec_b64 s[18:19], s[16:17]
	s_xor_b64 s[18:19], exec, s[18:19]
	s_cbranch_execz .LBB122_1316
; %bb.1315:
	v_div_scale_f64 v[10:11], s[16:17], v[2:3], v[2:3], v[0:1]
	v_rcp_f64_e32 v[12:13], v[10:11]
	v_fma_f64 v[20:21], -v[10:11], v[12:13], 1.0
	v_fma_f64 v[12:13], v[12:13], v[20:21], v[12:13]
	v_div_scale_f64 v[20:21], vcc, v[0:1], v[2:3], v[0:1]
	v_fma_f64 v[22:23], -v[10:11], v[12:13], 1.0
	v_fma_f64 v[12:13], v[12:13], v[22:23], v[12:13]
	v_mul_f64 v[22:23], v[20:21], v[12:13]
	v_fma_f64 v[10:11], -v[10:11], v[22:23], v[20:21]
	v_div_fmas_f64 v[10:11], v[10:11], v[12:13], v[22:23]
	v_div_fixup_f64 v[10:11], v[10:11], v[2:3], v[0:1]
	v_fma_f64 v[0:1], v[0:1], v[10:11], v[2:3]
	v_div_scale_f64 v[2:3], s[16:17], v[0:1], v[0:1], 1.0
	v_div_scale_f64 v[22:23], vcc, 1.0, v[0:1], 1.0
	v_rcp_f64_e32 v[12:13], v[2:3]
	v_fma_f64 v[20:21], -v[2:3], v[12:13], 1.0
	v_fma_f64 v[12:13], v[12:13], v[20:21], v[12:13]
	v_fma_f64 v[20:21], -v[2:3], v[12:13], 1.0
	v_fma_f64 v[12:13], v[12:13], v[20:21], v[12:13]
	v_mul_f64 v[20:21], v[22:23], v[12:13]
	v_fma_f64 v[2:3], -v[2:3], v[20:21], v[22:23]
	v_div_fmas_f64 v[2:3], v[2:3], v[12:13], v[20:21]
	v_div_fixup_f64 v[2:3], v[2:3], v[0:1], 1.0
	v_mul_f64 v[0:1], v[10:11], v[2:3]
	v_xor_b32_e32 v3, 0x80000000, v3
.LBB122_1316:
	s_andn2_saveexec_b64 s[18:19], s[18:19]
	s_cbranch_execz .LBB122_1318
; %bb.1317:
	v_div_scale_f64 v[10:11], s[16:17], v[0:1], v[0:1], v[2:3]
	v_rcp_f64_e32 v[12:13], v[10:11]
	v_fma_f64 v[20:21], -v[10:11], v[12:13], 1.0
	v_fma_f64 v[12:13], v[12:13], v[20:21], v[12:13]
	v_div_scale_f64 v[20:21], vcc, v[2:3], v[0:1], v[2:3]
	v_fma_f64 v[22:23], -v[10:11], v[12:13], 1.0
	v_fma_f64 v[12:13], v[12:13], v[22:23], v[12:13]
	v_mul_f64 v[22:23], v[20:21], v[12:13]
	v_fma_f64 v[10:11], -v[10:11], v[22:23], v[20:21]
	v_div_fmas_f64 v[10:11], v[10:11], v[12:13], v[22:23]
	v_div_fixup_f64 v[10:11], v[10:11], v[0:1], v[2:3]
	v_fma_f64 v[0:1], v[2:3], v[10:11], v[0:1]
	v_div_scale_f64 v[2:3], s[16:17], v[0:1], v[0:1], 1.0
	v_div_scale_f64 v[22:23], vcc, 1.0, v[0:1], 1.0
	v_rcp_f64_e32 v[12:13], v[2:3]
	v_fma_f64 v[20:21], -v[2:3], v[12:13], 1.0
	v_fma_f64 v[12:13], v[12:13], v[20:21], v[12:13]
	v_fma_f64 v[20:21], -v[2:3], v[12:13], 1.0
	v_fma_f64 v[12:13], v[12:13], v[20:21], v[12:13]
	v_mul_f64 v[20:21], v[22:23], v[12:13]
	v_fma_f64 v[2:3], -v[2:3], v[20:21], v[22:23]
	v_div_fmas_f64 v[2:3], v[2:3], v[12:13], v[20:21]
	v_div_fixup_f64 v[0:1], v[2:3], v[0:1], 1.0
	v_mul_f64 v[2:3], v[10:11], -v[0:1]
.LBB122_1318:
	s_or_b64 exec, exec, s[18:19]
.LBB122_1319:
	s_or_b64 exec, exec, s[4:5]
	v_cmp_ne_u32_e32 vcc, v19, v4
	s_and_saveexec_b64 s[4:5], vcc
	s_xor_b64 s[4:5], exec, s[4:5]
	s_cbranch_execz .LBB122_1325
; %bb.1320:
	v_cmp_eq_u32_e32 vcc, 57, v19
	s_and_saveexec_b64 s[18:19], vcc
	s_cbranch_execz .LBB122_1324
; %bb.1321:
	v_cmp_ne_u32_e32 vcc, 57, v4
	s_xor_b64 s[16:17], s[22:23], -1
	s_and_b64 s[16:17], s[16:17], vcc
	s_and_saveexec_b64 s[24:25], s[16:17]
	s_cbranch_execz .LBB122_1323
; %bb.1322:
	v_ashrrev_i32_e32 v5, 31, v4
	v_lshlrev_b64 v[10:11], 2, v[4:5]
	v_add_co_u32_e32 v10, vcc, v8, v10
	v_addc_co_u32_e32 v11, vcc, v9, v11, vcc
	global_load_dword v5, v[10:11], off
	global_load_dword v12, v[8:9], off offset:228
	s_waitcnt vmcnt(1)
	global_store_dword v[8:9], v5, off offset:228
	s_waitcnt vmcnt(1)
	global_store_dword v[10:11], v12, off
.LBB122_1323:
	s_or_b64 exec, exec, s[24:25]
	v_mov_b32_e32 v19, v4
	v_mov_b32_e32 v18, v4
.LBB122_1324:
	s_or_b64 exec, exec, s[18:19]
.LBB122_1325:
	s_andn2_saveexec_b64 s[4:5], s[4:5]
	s_cbranch_execz .LBB122_1327
; %bb.1326:
	v_mov_b32_e32 v11, s27
	v_mov_b32_e32 v20, s26
	v_mov_b32_e32 v24, s20
	v_mov_b32_e32 v28, s7
	buffer_load_dword v4, v11, s[0:3], 0 offen
	buffer_load_dword v5, v11, s[0:3], 0 offen offset:4
	buffer_load_dword v10, v11, s[0:3], 0 offen offset:8
	s_nop 0
	buffer_load_dword v11, v11, s[0:3], 0 offen offset:12
	s_nop 0
	buffer_load_dword v12, v20, s[0:3], 0 offen
	buffer_load_dword v13, v20, s[0:3], 0 offen offset:4
	buffer_load_dword v19, v20, s[0:3], 0 offen offset:8
	s_nop 0
	buffer_load_dword v20, v20, s[0:3], 0 offen offset:12
	s_nop 0
	;; [unrolled: 6-line block ×3, first 2 shown]
	buffer_load_dword v25, v28, s[0:3], 0 offen
	buffer_load_dword v26, v28, s[0:3], 0 offen offset:4
	buffer_load_dword v27, v28, s[0:3], 0 offen offset:8
	s_nop 0
	buffer_load_dword v28, v28, s[0:3], 0 offen offset:12
	s_waitcnt vmcnt(12)
	ds_write2_b64 v16, v[4:5], v[10:11] offset0:116 offset1:117
	s_waitcnt vmcnt(8)
	ds_write2_b64 v16, v[12:13], v[19:20] offset0:118 offset1:119
	;; [unrolled: 2-line block ×4, first 2 shown]
	v_mov_b32_e32 v19, 57
.LBB122_1327:
	s_or_b64 exec, exec, s[4:5]
	v_cmp_lt_i32_e32 vcc, 57, v19
	s_waitcnt vmcnt(0) lgkmcnt(0)
	s_barrier
	s_and_saveexec_b64 s[4:5], vcc
	s_cbranch_execz .LBB122_1329
; %bb.1328:
	buffer_load_dword v4, off, s[0:3], 0 offset:920
	buffer_load_dword v5, off, s[0:3], 0 offset:924
	;; [unrolled: 1-line block ×20, first 2 shown]
	s_waitcnt vmcnt(18)
	v_mul_f64 v[12:13], v[2:3], v[4:5]
	v_mul_f64 v[4:5], v[0:1], v[4:5]
	s_waitcnt vmcnt(16)
	v_fma_f64 v[44:45], v[0:1], v[10:11], -v[12:13]
	v_fma_f64 v[4:5], v[2:3], v[10:11], v[4:5]
	ds_read2_b64 v[0:3], v16 offset0:116 offset1:117
	ds_read2_b64 v[10:13], v16 offset0:118 offset1:119
	;; [unrolled: 1-line block ×4, first 2 shown]
	buffer_store_dword v44, off, s[0:3], 0 offset:912
	buffer_store_dword v45, off, s[0:3], 0 offset:916
	;; [unrolled: 1-line block ×4, first 2 shown]
	s_waitcnt lgkmcnt(3)
	v_mul_f64 v[46:47], v[2:3], v[4:5]
	v_mul_f64 v[48:49], v[0:1], v[4:5]
	s_waitcnt lgkmcnt(2)
	v_mul_f64 v[50:51], v[12:13], v[4:5]
	v_mul_f64 v[52:53], v[10:11], v[4:5]
	;; [unrolled: 3-line block ×4, first 2 shown]
	v_fma_f64 v[0:1], v[0:1], v[44:45], -v[46:47]
	v_fma_f64 v[2:3], v[2:3], v[44:45], v[48:49]
	v_fma_f64 v[10:11], v[10:11], v[44:45], -v[50:51]
	v_fma_f64 v[12:13], v[12:13], v[44:45], v[52:53]
	v_fma_f64 v[20:21], v[20:21], v[44:45], -v[54:55]
	v_fma_f64 v[22:23], v[22:23], v[44:45], v[56:57]
	v_fma_f64 v[24:25], v[24:25], v[44:45], -v[58:59]
	v_fma_f64 v[4:5], v[26:27], v[44:45], v[4:5]
	s_waitcnt vmcnt(18)
	v_add_f64 v[0:1], v[28:29], -v[0:1]
	s_waitcnt vmcnt(16)
	v_add_f64 v[2:3], v[30:31], -v[2:3]
	;; [unrolled: 2-line block ×8, first 2 shown]
	buffer_store_dword v0, off, s[0:3], 0 offset:928
	buffer_store_dword v1, off, s[0:3], 0 offset:932
	;; [unrolled: 1-line block ×16, first 2 shown]
.LBB122_1329:
	s_or_b64 exec, exec, s[4:5]
	v_mov_b32_e32 v3, s27
	s_waitcnt vmcnt(0)
	s_barrier
	buffer_load_dword v0, v3, s[0:3], 0 offen
	buffer_load_dword v1, v3, s[0:3], 0 offen offset:4
	buffer_load_dword v2, v3, s[0:3], 0 offen offset:8
	s_nop 0
	buffer_load_dword v3, v3, s[0:3], 0 offen offset:12
	v_lshl_add_u32 v4, v19, 4, v16
	s_cmp_lt_i32 s65, 60
	s_waitcnt vmcnt(0)
	ds_write2_b64 v4, v[0:1], v[2:3] offset1:1
	s_waitcnt lgkmcnt(0)
	s_barrier
	ds_read2_b64 v[0:3], v16 offset0:116 offset1:117
	v_mov_b32_e32 v4, 58
	s_cbranch_scc1 .LBB122_1332
; %bb.1330:
	v_add_u32_e32 v5, 0x3b0, v16
	s_mov_b32 s16, 59
	v_mov_b32_e32 v4, 58
.LBB122_1331:                           ; =>This Inner Loop Header: Depth=1
	s_waitcnt lgkmcnt(0)
	v_cmp_gt_f64_e32 vcc, 0, v[2:3]
	v_cmp_gt_f64_e64 s[4:5], 0, v[0:1]
	ds_read2_b64 v[10:13], v5 offset1:1
	v_xor_b32_e32 v21, 0x80000000, v1
	v_xor_b32_e32 v23, 0x80000000, v3
	v_mov_b32_e32 v20, v0
	v_mov_b32_e32 v22, v2
	s_waitcnt lgkmcnt(0)
	v_xor_b32_e32 v25, 0x80000000, v13
	v_cndmask_b32_e32 v23, v3, v23, vcc
	v_cndmask_b32_e64 v21, v1, v21, s[4:5]
	v_cmp_gt_f64_e32 vcc, 0, v[12:13]
	v_cmp_gt_f64_e64 s[4:5], 0, v[10:11]
	v_add_f64 v[20:21], v[20:21], v[22:23]
	v_xor_b32_e32 v23, 0x80000000, v11
	v_mov_b32_e32 v22, v10
	v_mov_b32_e32 v24, v12
	v_add_u32_e32 v5, 16, v5
	v_cndmask_b32_e32 v25, v13, v25, vcc
	v_cndmask_b32_e64 v23, v11, v23, s[4:5]
	v_add_f64 v[22:23], v[22:23], v[24:25]
	v_mov_b32_e32 v24, s16
	s_add_i32 s16, s16, 1
	s_cmp_lg_u32 s65, s16
	v_cmp_lt_f64_e32 vcc, v[20:21], v[22:23]
	v_cndmask_b32_e32 v1, v1, v11, vcc
	v_cndmask_b32_e32 v0, v0, v10, vcc
	;; [unrolled: 1-line block ×5, first 2 shown]
	s_cbranch_scc1 .LBB122_1331
.LBB122_1332:
	s_waitcnt lgkmcnt(0)
	v_cmp_eq_f64_e32 vcc, 0, v[0:1]
	v_cmp_eq_f64_e64 s[4:5], 0, v[2:3]
	s_and_b64 s[4:5], vcc, s[4:5]
	s_and_saveexec_b64 s[16:17], s[4:5]
	s_xor_b64 s[4:5], exec, s[16:17]
; %bb.1333:
	v_cmp_ne_u32_e32 vcc, 0, v17
	v_cndmask_b32_e32 v17, 59, v17, vcc
; %bb.1334:
	s_andn2_saveexec_b64 s[4:5], s[4:5]
	s_cbranch_execz .LBB122_1340
; %bb.1335:
	v_cmp_ngt_f64_e64 s[16:17], |v[0:1]|, |v[2:3]|
	s_and_saveexec_b64 s[18:19], s[16:17]
	s_xor_b64 s[18:19], exec, s[18:19]
	s_cbranch_execz .LBB122_1337
; %bb.1336:
	v_div_scale_f64 v[10:11], s[16:17], v[2:3], v[2:3], v[0:1]
	v_rcp_f64_e32 v[12:13], v[10:11]
	v_fma_f64 v[20:21], -v[10:11], v[12:13], 1.0
	v_fma_f64 v[12:13], v[12:13], v[20:21], v[12:13]
	v_div_scale_f64 v[20:21], vcc, v[0:1], v[2:3], v[0:1]
	v_fma_f64 v[22:23], -v[10:11], v[12:13], 1.0
	v_fma_f64 v[12:13], v[12:13], v[22:23], v[12:13]
	v_mul_f64 v[22:23], v[20:21], v[12:13]
	v_fma_f64 v[10:11], -v[10:11], v[22:23], v[20:21]
	v_div_fmas_f64 v[10:11], v[10:11], v[12:13], v[22:23]
	v_div_fixup_f64 v[10:11], v[10:11], v[2:3], v[0:1]
	v_fma_f64 v[0:1], v[0:1], v[10:11], v[2:3]
	v_div_scale_f64 v[2:3], s[16:17], v[0:1], v[0:1], 1.0
	v_div_scale_f64 v[22:23], vcc, 1.0, v[0:1], 1.0
	v_rcp_f64_e32 v[12:13], v[2:3]
	v_fma_f64 v[20:21], -v[2:3], v[12:13], 1.0
	v_fma_f64 v[12:13], v[12:13], v[20:21], v[12:13]
	v_fma_f64 v[20:21], -v[2:3], v[12:13], 1.0
	v_fma_f64 v[12:13], v[12:13], v[20:21], v[12:13]
	v_mul_f64 v[20:21], v[22:23], v[12:13]
	v_fma_f64 v[2:3], -v[2:3], v[20:21], v[22:23]
	v_div_fmas_f64 v[2:3], v[2:3], v[12:13], v[20:21]
	v_div_fixup_f64 v[2:3], v[2:3], v[0:1], 1.0
	v_mul_f64 v[0:1], v[10:11], v[2:3]
	v_xor_b32_e32 v3, 0x80000000, v3
.LBB122_1337:
	s_andn2_saveexec_b64 s[18:19], s[18:19]
	s_cbranch_execz .LBB122_1339
; %bb.1338:
	v_div_scale_f64 v[10:11], s[16:17], v[0:1], v[0:1], v[2:3]
	v_rcp_f64_e32 v[12:13], v[10:11]
	v_fma_f64 v[20:21], -v[10:11], v[12:13], 1.0
	v_fma_f64 v[12:13], v[12:13], v[20:21], v[12:13]
	v_div_scale_f64 v[20:21], vcc, v[2:3], v[0:1], v[2:3]
	v_fma_f64 v[22:23], -v[10:11], v[12:13], 1.0
	v_fma_f64 v[12:13], v[12:13], v[22:23], v[12:13]
	v_mul_f64 v[22:23], v[20:21], v[12:13]
	v_fma_f64 v[10:11], -v[10:11], v[22:23], v[20:21]
	v_div_fmas_f64 v[10:11], v[10:11], v[12:13], v[22:23]
	v_div_fixup_f64 v[10:11], v[10:11], v[0:1], v[2:3]
	v_fma_f64 v[0:1], v[2:3], v[10:11], v[0:1]
	v_div_scale_f64 v[2:3], s[16:17], v[0:1], v[0:1], 1.0
	v_div_scale_f64 v[22:23], vcc, 1.0, v[0:1], 1.0
	v_rcp_f64_e32 v[12:13], v[2:3]
	v_fma_f64 v[20:21], -v[2:3], v[12:13], 1.0
	v_fma_f64 v[12:13], v[12:13], v[20:21], v[12:13]
	v_fma_f64 v[20:21], -v[2:3], v[12:13], 1.0
	v_fma_f64 v[12:13], v[12:13], v[20:21], v[12:13]
	v_mul_f64 v[20:21], v[22:23], v[12:13]
	v_fma_f64 v[2:3], -v[2:3], v[20:21], v[22:23]
	v_div_fmas_f64 v[2:3], v[2:3], v[12:13], v[20:21]
	v_div_fixup_f64 v[0:1], v[2:3], v[0:1], 1.0
	v_mul_f64 v[2:3], v[10:11], -v[0:1]
.LBB122_1339:
	s_or_b64 exec, exec, s[18:19]
.LBB122_1340:
	s_or_b64 exec, exec, s[4:5]
	v_cmp_ne_u32_e32 vcc, v19, v4
	s_and_saveexec_b64 s[4:5], vcc
	s_xor_b64 s[4:5], exec, s[4:5]
	s_cbranch_execz .LBB122_1346
; %bb.1341:
	v_cmp_eq_u32_e32 vcc, 58, v19
	s_and_saveexec_b64 s[18:19], vcc
	s_cbranch_execz .LBB122_1345
; %bb.1342:
	v_cmp_ne_u32_e32 vcc, 58, v4
	s_xor_b64 s[16:17], s[22:23], -1
	s_and_b64 s[16:17], s[16:17], vcc
	s_and_saveexec_b64 s[24:25], s[16:17]
	s_cbranch_execz .LBB122_1344
; %bb.1343:
	v_ashrrev_i32_e32 v5, 31, v4
	v_lshlrev_b64 v[10:11], 2, v[4:5]
	v_add_co_u32_e32 v10, vcc, v8, v10
	v_addc_co_u32_e32 v11, vcc, v9, v11, vcc
	global_load_dword v5, v[10:11], off
	global_load_dword v12, v[8:9], off offset:232
	s_waitcnt vmcnt(1)
	global_store_dword v[8:9], v5, off offset:232
	s_waitcnt vmcnt(1)
	global_store_dword v[10:11], v12, off
.LBB122_1344:
	s_or_b64 exec, exec, s[24:25]
	v_mov_b32_e32 v19, v4
	v_mov_b32_e32 v18, v4
.LBB122_1345:
	s_or_b64 exec, exec, s[18:19]
.LBB122_1346:
	s_andn2_saveexec_b64 s[4:5], s[4:5]
	s_cbranch_execz .LBB122_1348
; %bb.1347:
	v_mov_b32_e32 v11, s26
	v_mov_b32_e32 v20, s20
	;; [unrolled: 1-line block ×3, first 2 shown]
	buffer_load_dword v4, v11, s[0:3], 0 offen
	buffer_load_dword v5, v11, s[0:3], 0 offen offset:4
	buffer_load_dword v10, v11, s[0:3], 0 offen offset:8
	s_nop 0
	buffer_load_dword v11, v11, s[0:3], 0 offen offset:12
	s_nop 0
	buffer_load_dword v12, v20, s[0:3], 0 offen
	buffer_load_dword v13, v20, s[0:3], 0 offen offset:4
	buffer_load_dword v19, v20, s[0:3], 0 offen offset:8
	s_nop 0
	buffer_load_dword v20, v20, s[0:3], 0 offen offset:12
	s_nop 0
	buffer_load_dword v21, v24, s[0:3], 0 offen
	buffer_load_dword v22, v24, s[0:3], 0 offen offset:4
	buffer_load_dword v23, v24, s[0:3], 0 offen offset:8
	s_nop 0
	buffer_load_dword v24, v24, s[0:3], 0 offen offset:12
	s_waitcnt vmcnt(8)
	ds_write2_b64 v16, v[4:5], v[10:11] offset0:118 offset1:119
	s_waitcnt vmcnt(4)
	ds_write2_b64 v16, v[12:13], v[19:20] offset0:120 offset1:121
	;; [unrolled: 2-line block ×3, first 2 shown]
	v_mov_b32_e32 v19, 58
.LBB122_1348:
	s_or_b64 exec, exec, s[4:5]
	v_cmp_lt_i32_e32 vcc, 58, v19
	s_waitcnt vmcnt(0) lgkmcnt(0)
	s_barrier
	s_and_saveexec_b64 s[4:5], vcc
	s_cbranch_execz .LBB122_1350
; %bb.1349:
	buffer_load_dword v4, off, s[0:3], 0 offset:936
	buffer_load_dword v5, off, s[0:3], 0 offset:940
	;; [unrolled: 1-line block ×16, first 2 shown]
	s_waitcnt vmcnt(14)
	v_mul_f64 v[10:11], v[0:1], v[4:5]
	v_mul_f64 v[22:23], v[2:3], v[4:5]
	s_waitcnt vmcnt(12)
	v_fma_f64 v[36:37], v[2:3], v[20:21], v[10:11]
	ds_read2_b64 v[2:5], v16 offset0:118 offset1:119
	ds_read2_b64 v[10:13], v16 offset0:120 offset1:121
	v_fma_f64 v[0:1], v[0:1], v[20:21], -v[22:23]
	ds_read2_b64 v[20:23], v16 offset0:122 offset1:123
	s_waitcnt lgkmcnt(2)
	v_mul_f64 v[38:39], v[4:5], v[36:37]
	v_mul_f64 v[40:41], v[2:3], v[36:37]
	s_waitcnt lgkmcnt(1)
	v_mul_f64 v[42:43], v[12:13], v[36:37]
	v_mul_f64 v[44:45], v[10:11], v[36:37]
	;; [unrolled: 3-line block ×3, first 2 shown]
	buffer_store_dword v0, off, s[0:3], 0 offset:928
	buffer_store_dword v1, off, s[0:3], 0 offset:932
	v_fma_f64 v[2:3], v[2:3], v[0:1], -v[38:39]
	v_fma_f64 v[4:5], v[4:5], v[0:1], v[40:41]
	v_fma_f64 v[10:11], v[10:11], v[0:1], -v[42:43]
	v_fma_f64 v[12:13], v[12:13], v[0:1], v[44:45]
	;; [unrolled: 2-line block ×3, first 2 shown]
	buffer_store_dword v36, off, s[0:3], 0 offset:936
	buffer_store_dword v37, off, s[0:3], 0 offset:940
	s_waitcnt vmcnt(14)
	v_add_f64 v[2:3], v[24:25], -v[2:3]
	s_waitcnt vmcnt(12)
	v_add_f64 v[4:5], v[26:27], -v[4:5]
	;; [unrolled: 2-line block ×6, first 2 shown]
	buffer_store_dword v2, off, s[0:3], 0 offset:944
	buffer_store_dword v3, off, s[0:3], 0 offset:948
	;; [unrolled: 1-line block ×12, first 2 shown]
.LBB122_1350:
	s_or_b64 exec, exec, s[4:5]
	v_mov_b32_e32 v3, s26
	s_waitcnt vmcnt(0)
	s_barrier
	buffer_load_dword v0, v3, s[0:3], 0 offen
	buffer_load_dword v1, v3, s[0:3], 0 offen offset:4
	buffer_load_dword v2, v3, s[0:3], 0 offen offset:8
	s_nop 0
	buffer_load_dword v3, v3, s[0:3], 0 offen offset:12
	v_lshl_add_u32 v4, v19, 4, v16
	s_cmp_lt_i32 s65, 61
	s_waitcnt vmcnt(0)
	ds_write2_b64 v4, v[0:1], v[2:3] offset1:1
	s_waitcnt lgkmcnt(0)
	s_barrier
	ds_read2_b64 v[0:3], v16 offset0:118 offset1:119
	v_mov_b32_e32 v4, 59
	s_cbranch_scc1 .LBB122_1353
; %bb.1351:
	v_add_u32_e32 v5, 0x3c0, v16
	s_mov_b32 s16, 60
	v_mov_b32_e32 v4, 59
.LBB122_1352:                           ; =>This Inner Loop Header: Depth=1
	s_waitcnt lgkmcnt(0)
	v_cmp_gt_f64_e32 vcc, 0, v[2:3]
	v_cmp_gt_f64_e64 s[4:5], 0, v[0:1]
	ds_read2_b64 v[10:13], v5 offset1:1
	v_xor_b32_e32 v21, 0x80000000, v1
	v_xor_b32_e32 v23, 0x80000000, v3
	v_mov_b32_e32 v20, v0
	v_mov_b32_e32 v22, v2
	s_waitcnt lgkmcnt(0)
	v_xor_b32_e32 v25, 0x80000000, v13
	v_cndmask_b32_e32 v23, v3, v23, vcc
	v_cndmask_b32_e64 v21, v1, v21, s[4:5]
	v_cmp_gt_f64_e32 vcc, 0, v[12:13]
	v_cmp_gt_f64_e64 s[4:5], 0, v[10:11]
	v_add_f64 v[20:21], v[20:21], v[22:23]
	v_xor_b32_e32 v23, 0x80000000, v11
	v_mov_b32_e32 v22, v10
	v_mov_b32_e32 v24, v12
	v_add_u32_e32 v5, 16, v5
	v_cndmask_b32_e32 v25, v13, v25, vcc
	v_cndmask_b32_e64 v23, v11, v23, s[4:5]
	v_add_f64 v[22:23], v[22:23], v[24:25]
	v_mov_b32_e32 v24, s16
	s_add_i32 s16, s16, 1
	s_cmp_lg_u32 s65, s16
	v_cmp_lt_f64_e32 vcc, v[20:21], v[22:23]
	v_cndmask_b32_e32 v1, v1, v11, vcc
	v_cndmask_b32_e32 v0, v0, v10, vcc
	;; [unrolled: 1-line block ×5, first 2 shown]
	s_cbranch_scc1 .LBB122_1352
.LBB122_1353:
	s_waitcnt lgkmcnt(0)
	v_cmp_eq_f64_e32 vcc, 0, v[0:1]
	v_cmp_eq_f64_e64 s[4:5], 0, v[2:3]
	s_and_b64 s[4:5], vcc, s[4:5]
	s_and_saveexec_b64 s[16:17], s[4:5]
	s_xor_b64 s[4:5], exec, s[16:17]
; %bb.1354:
	v_cmp_ne_u32_e32 vcc, 0, v17
	v_cndmask_b32_e32 v17, 60, v17, vcc
; %bb.1355:
	s_andn2_saveexec_b64 s[4:5], s[4:5]
	s_cbranch_execz .LBB122_1361
; %bb.1356:
	v_cmp_ngt_f64_e64 s[16:17], |v[0:1]|, |v[2:3]|
	s_and_saveexec_b64 s[18:19], s[16:17]
	s_xor_b64 s[18:19], exec, s[18:19]
	s_cbranch_execz .LBB122_1358
; %bb.1357:
	v_div_scale_f64 v[10:11], s[16:17], v[2:3], v[2:3], v[0:1]
	v_rcp_f64_e32 v[12:13], v[10:11]
	v_fma_f64 v[20:21], -v[10:11], v[12:13], 1.0
	v_fma_f64 v[12:13], v[12:13], v[20:21], v[12:13]
	v_div_scale_f64 v[20:21], vcc, v[0:1], v[2:3], v[0:1]
	v_fma_f64 v[22:23], -v[10:11], v[12:13], 1.0
	v_fma_f64 v[12:13], v[12:13], v[22:23], v[12:13]
	v_mul_f64 v[22:23], v[20:21], v[12:13]
	v_fma_f64 v[10:11], -v[10:11], v[22:23], v[20:21]
	v_div_fmas_f64 v[10:11], v[10:11], v[12:13], v[22:23]
	v_div_fixup_f64 v[10:11], v[10:11], v[2:3], v[0:1]
	v_fma_f64 v[0:1], v[0:1], v[10:11], v[2:3]
	v_div_scale_f64 v[2:3], s[16:17], v[0:1], v[0:1], 1.0
	v_div_scale_f64 v[22:23], vcc, 1.0, v[0:1], 1.0
	v_rcp_f64_e32 v[12:13], v[2:3]
	v_fma_f64 v[20:21], -v[2:3], v[12:13], 1.0
	v_fma_f64 v[12:13], v[12:13], v[20:21], v[12:13]
	v_fma_f64 v[20:21], -v[2:3], v[12:13], 1.0
	v_fma_f64 v[12:13], v[12:13], v[20:21], v[12:13]
	v_mul_f64 v[20:21], v[22:23], v[12:13]
	v_fma_f64 v[2:3], -v[2:3], v[20:21], v[22:23]
	v_div_fmas_f64 v[2:3], v[2:3], v[12:13], v[20:21]
	v_div_fixup_f64 v[2:3], v[2:3], v[0:1], 1.0
	v_mul_f64 v[0:1], v[10:11], v[2:3]
	v_xor_b32_e32 v3, 0x80000000, v3
.LBB122_1358:
	s_andn2_saveexec_b64 s[18:19], s[18:19]
	s_cbranch_execz .LBB122_1360
; %bb.1359:
	v_div_scale_f64 v[10:11], s[16:17], v[0:1], v[0:1], v[2:3]
	v_rcp_f64_e32 v[12:13], v[10:11]
	v_fma_f64 v[20:21], -v[10:11], v[12:13], 1.0
	v_fma_f64 v[12:13], v[12:13], v[20:21], v[12:13]
	v_div_scale_f64 v[20:21], vcc, v[2:3], v[0:1], v[2:3]
	v_fma_f64 v[22:23], -v[10:11], v[12:13], 1.0
	v_fma_f64 v[12:13], v[12:13], v[22:23], v[12:13]
	v_mul_f64 v[22:23], v[20:21], v[12:13]
	v_fma_f64 v[10:11], -v[10:11], v[22:23], v[20:21]
	v_div_fmas_f64 v[10:11], v[10:11], v[12:13], v[22:23]
	v_div_fixup_f64 v[10:11], v[10:11], v[0:1], v[2:3]
	v_fma_f64 v[0:1], v[2:3], v[10:11], v[0:1]
	v_div_scale_f64 v[2:3], s[16:17], v[0:1], v[0:1], 1.0
	v_div_scale_f64 v[22:23], vcc, 1.0, v[0:1], 1.0
	v_rcp_f64_e32 v[12:13], v[2:3]
	v_fma_f64 v[20:21], -v[2:3], v[12:13], 1.0
	v_fma_f64 v[12:13], v[12:13], v[20:21], v[12:13]
	v_fma_f64 v[20:21], -v[2:3], v[12:13], 1.0
	v_fma_f64 v[12:13], v[12:13], v[20:21], v[12:13]
	v_mul_f64 v[20:21], v[22:23], v[12:13]
	v_fma_f64 v[2:3], -v[2:3], v[20:21], v[22:23]
	v_div_fmas_f64 v[2:3], v[2:3], v[12:13], v[20:21]
	v_div_fixup_f64 v[0:1], v[2:3], v[0:1], 1.0
	v_mul_f64 v[2:3], v[10:11], -v[0:1]
.LBB122_1360:
	s_or_b64 exec, exec, s[18:19]
.LBB122_1361:
	s_or_b64 exec, exec, s[4:5]
	v_cmp_ne_u32_e32 vcc, v19, v4
	s_and_saveexec_b64 s[4:5], vcc
	s_xor_b64 s[4:5], exec, s[4:5]
	s_cbranch_execz .LBB122_1367
; %bb.1362:
	v_cmp_eq_u32_e32 vcc, 59, v19
	s_and_saveexec_b64 s[18:19], vcc
	s_cbranch_execz .LBB122_1366
; %bb.1363:
	v_cmp_ne_u32_e32 vcc, 59, v4
	s_xor_b64 s[16:17], s[22:23], -1
	s_and_b64 s[16:17], s[16:17], vcc
	s_and_saveexec_b64 s[24:25], s[16:17]
	s_cbranch_execz .LBB122_1365
; %bb.1364:
	v_ashrrev_i32_e32 v5, 31, v4
	v_lshlrev_b64 v[10:11], 2, v[4:5]
	v_add_co_u32_e32 v10, vcc, v8, v10
	v_addc_co_u32_e32 v11, vcc, v9, v11, vcc
	global_load_dword v5, v[10:11], off
	global_load_dword v12, v[8:9], off offset:236
	s_waitcnt vmcnt(1)
	global_store_dword v[8:9], v5, off offset:236
	s_waitcnt vmcnt(1)
	global_store_dword v[10:11], v12, off
.LBB122_1365:
	s_or_b64 exec, exec, s[24:25]
	v_mov_b32_e32 v19, v4
	v_mov_b32_e32 v18, v4
.LBB122_1366:
	s_or_b64 exec, exec, s[18:19]
.LBB122_1367:
	s_andn2_saveexec_b64 s[4:5], s[4:5]
	s_cbranch_execz .LBB122_1369
; %bb.1368:
	v_mov_b32_e32 v11, s20
	v_mov_b32_e32 v20, s7
	buffer_load_dword v4, v11, s[0:3], 0 offen
	buffer_load_dword v5, v11, s[0:3], 0 offen offset:4
	buffer_load_dword v10, v11, s[0:3], 0 offen offset:8
	s_nop 0
	buffer_load_dword v11, v11, s[0:3], 0 offen offset:12
	s_nop 0
	buffer_load_dword v12, v20, s[0:3], 0 offen
	buffer_load_dword v13, v20, s[0:3], 0 offen offset:4
	buffer_load_dword v19, v20, s[0:3], 0 offen offset:8
	s_nop 0
	buffer_load_dword v20, v20, s[0:3], 0 offen offset:12
	s_waitcnt vmcnt(4)
	ds_write2_b64 v16, v[4:5], v[10:11] offset0:120 offset1:121
	s_waitcnt vmcnt(0)
	ds_write2_b64 v16, v[12:13], v[19:20] offset0:122 offset1:123
	v_mov_b32_e32 v19, 59
.LBB122_1369:
	s_or_b64 exec, exec, s[4:5]
	v_cmp_lt_i32_e32 vcc, 59, v19
	s_waitcnt vmcnt(0) lgkmcnt(0)
	s_barrier
	s_and_saveexec_b64 s[4:5], vcc
	s_cbranch_execz .LBB122_1371
; %bb.1370:
	buffer_load_dword v4, off, s[0:3], 0 offset:952
	buffer_load_dword v5, off, s[0:3], 0 offset:956
	;; [unrolled: 1-line block ×12, first 2 shown]
	s_waitcnt vmcnt(10)
	v_mul_f64 v[10:11], v[0:1], v[4:5]
	v_mul_f64 v[30:31], v[2:3], v[4:5]
	s_waitcnt vmcnt(8)
	v_fma_f64 v[32:33], v[2:3], v[20:21], v[10:11]
	ds_read2_b64 v[2:5], v16 offset0:120 offset1:121
	ds_read2_b64 v[10:13], v16 offset0:122 offset1:123
	v_fma_f64 v[0:1], v[0:1], v[20:21], -v[30:31]
	s_waitcnt lgkmcnt(1)
	v_mul_f64 v[20:21], v[4:5], v[32:33]
	v_mul_f64 v[30:31], v[2:3], v[32:33]
	s_waitcnt lgkmcnt(0)
	v_mul_f64 v[34:35], v[12:13], v[32:33]
	v_mul_f64 v[36:37], v[10:11], v[32:33]
	buffer_store_dword v0, off, s[0:3], 0 offset:944
	buffer_store_dword v1, off, s[0:3], 0 offset:948
	;; [unrolled: 1-line block ×3, first 2 shown]
	v_fma_f64 v[2:3], v[2:3], v[0:1], -v[20:21]
	v_fma_f64 v[4:5], v[4:5], v[0:1], v[30:31]
	v_fma_f64 v[10:11], v[10:11], v[0:1], -v[34:35]
	v_fma_f64 v[12:13], v[12:13], v[0:1], v[36:37]
	s_waitcnt vmcnt(9)
	v_add_f64 v[2:3], v[22:23], -v[2:3]
	s_waitcnt vmcnt(7)
	v_add_f64 v[4:5], v[24:25], -v[4:5]
	;; [unrolled: 2-line block ×4, first 2 shown]
	buffer_store_dword v33, off, s[0:3], 0 offset:956
	buffer_store_dword v2, off, s[0:3], 0 offset:960
	buffer_store_dword v3, off, s[0:3], 0 offset:964
	buffer_store_dword v4, off, s[0:3], 0 offset:968
	buffer_store_dword v5, off, s[0:3], 0 offset:972
	buffer_store_dword v0, off, s[0:3], 0 offset:976
	buffer_store_dword v1, off, s[0:3], 0 offset:980
	buffer_store_dword v10, off, s[0:3], 0 offset:984
	buffer_store_dword v11, off, s[0:3], 0 offset:988
.LBB122_1371:
	s_or_b64 exec, exec, s[4:5]
	v_mov_b32_e32 v3, s20
	s_waitcnt vmcnt(0)
	s_barrier
	buffer_load_dword v0, v3, s[0:3], 0 offen
	buffer_load_dword v1, v3, s[0:3], 0 offen offset:4
	buffer_load_dword v2, v3, s[0:3], 0 offen offset:8
	s_nop 0
	buffer_load_dword v3, v3, s[0:3], 0 offen offset:12
	v_lshl_add_u32 v4, v19, 4, v16
	s_cmp_lt_i32 s65, 62
	s_waitcnt vmcnt(0)
	ds_write2_b64 v4, v[0:1], v[2:3] offset1:1
	s_waitcnt lgkmcnt(0)
	s_barrier
	ds_read2_b64 v[0:3], v16 offset0:120 offset1:121
	v_mov_b32_e32 v4, 60
	s_cbranch_scc1 .LBB122_1374
; %bb.1372:
	v_add_u32_e32 v5, 0x3d0, v16
	s_mov_b32 s16, 61
	v_mov_b32_e32 v4, 60
.LBB122_1373:                           ; =>This Inner Loop Header: Depth=1
	s_waitcnt lgkmcnt(0)
	v_cmp_gt_f64_e32 vcc, 0, v[2:3]
	v_cmp_gt_f64_e64 s[4:5], 0, v[0:1]
	ds_read2_b64 v[10:13], v5 offset1:1
	v_xor_b32_e32 v21, 0x80000000, v1
	v_xor_b32_e32 v23, 0x80000000, v3
	v_mov_b32_e32 v20, v0
	v_mov_b32_e32 v22, v2
	s_waitcnt lgkmcnt(0)
	v_xor_b32_e32 v25, 0x80000000, v13
	v_cndmask_b32_e32 v23, v3, v23, vcc
	v_cndmask_b32_e64 v21, v1, v21, s[4:5]
	v_cmp_gt_f64_e32 vcc, 0, v[12:13]
	v_cmp_gt_f64_e64 s[4:5], 0, v[10:11]
	v_add_f64 v[20:21], v[20:21], v[22:23]
	v_xor_b32_e32 v23, 0x80000000, v11
	v_mov_b32_e32 v22, v10
	v_mov_b32_e32 v24, v12
	v_add_u32_e32 v5, 16, v5
	v_cndmask_b32_e32 v25, v13, v25, vcc
	v_cndmask_b32_e64 v23, v11, v23, s[4:5]
	v_add_f64 v[22:23], v[22:23], v[24:25]
	v_mov_b32_e32 v24, s16
	s_add_i32 s16, s16, 1
	s_cmp_lg_u32 s65, s16
	v_cmp_lt_f64_e32 vcc, v[20:21], v[22:23]
	v_cndmask_b32_e32 v1, v1, v11, vcc
	v_cndmask_b32_e32 v0, v0, v10, vcc
	;; [unrolled: 1-line block ×5, first 2 shown]
	s_cbranch_scc1 .LBB122_1373
.LBB122_1374:
	s_waitcnt lgkmcnt(0)
	v_cmp_eq_f64_e32 vcc, 0, v[0:1]
	v_cmp_eq_f64_e64 s[4:5], 0, v[2:3]
	s_and_b64 s[4:5], vcc, s[4:5]
	s_and_saveexec_b64 s[16:17], s[4:5]
	s_xor_b64 s[4:5], exec, s[16:17]
; %bb.1375:
	v_cmp_ne_u32_e32 vcc, 0, v17
	v_cndmask_b32_e32 v17, 61, v17, vcc
; %bb.1376:
	s_andn2_saveexec_b64 s[4:5], s[4:5]
	s_cbranch_execz .LBB122_1382
; %bb.1377:
	v_cmp_ngt_f64_e64 s[16:17], |v[0:1]|, |v[2:3]|
	s_and_saveexec_b64 s[18:19], s[16:17]
	s_xor_b64 s[18:19], exec, s[18:19]
	s_cbranch_execz .LBB122_1379
; %bb.1378:
	v_div_scale_f64 v[10:11], s[16:17], v[2:3], v[2:3], v[0:1]
	v_rcp_f64_e32 v[12:13], v[10:11]
	v_fma_f64 v[20:21], -v[10:11], v[12:13], 1.0
	v_fma_f64 v[12:13], v[12:13], v[20:21], v[12:13]
	v_div_scale_f64 v[20:21], vcc, v[0:1], v[2:3], v[0:1]
	v_fma_f64 v[22:23], -v[10:11], v[12:13], 1.0
	v_fma_f64 v[12:13], v[12:13], v[22:23], v[12:13]
	v_mul_f64 v[22:23], v[20:21], v[12:13]
	v_fma_f64 v[10:11], -v[10:11], v[22:23], v[20:21]
	v_div_fmas_f64 v[10:11], v[10:11], v[12:13], v[22:23]
	v_div_fixup_f64 v[10:11], v[10:11], v[2:3], v[0:1]
	v_fma_f64 v[0:1], v[0:1], v[10:11], v[2:3]
	v_div_scale_f64 v[2:3], s[16:17], v[0:1], v[0:1], 1.0
	v_div_scale_f64 v[22:23], vcc, 1.0, v[0:1], 1.0
	v_rcp_f64_e32 v[12:13], v[2:3]
	v_fma_f64 v[20:21], -v[2:3], v[12:13], 1.0
	v_fma_f64 v[12:13], v[12:13], v[20:21], v[12:13]
	v_fma_f64 v[20:21], -v[2:3], v[12:13], 1.0
	v_fma_f64 v[12:13], v[12:13], v[20:21], v[12:13]
	v_mul_f64 v[20:21], v[22:23], v[12:13]
	v_fma_f64 v[2:3], -v[2:3], v[20:21], v[22:23]
	v_div_fmas_f64 v[2:3], v[2:3], v[12:13], v[20:21]
	v_div_fixup_f64 v[2:3], v[2:3], v[0:1], 1.0
	v_mul_f64 v[0:1], v[10:11], v[2:3]
	v_xor_b32_e32 v3, 0x80000000, v3
.LBB122_1379:
	s_andn2_saveexec_b64 s[18:19], s[18:19]
	s_cbranch_execz .LBB122_1381
; %bb.1380:
	v_div_scale_f64 v[10:11], s[16:17], v[0:1], v[0:1], v[2:3]
	v_rcp_f64_e32 v[12:13], v[10:11]
	v_fma_f64 v[20:21], -v[10:11], v[12:13], 1.0
	v_fma_f64 v[12:13], v[12:13], v[20:21], v[12:13]
	v_div_scale_f64 v[20:21], vcc, v[2:3], v[0:1], v[2:3]
	v_fma_f64 v[22:23], -v[10:11], v[12:13], 1.0
	v_fma_f64 v[12:13], v[12:13], v[22:23], v[12:13]
	v_mul_f64 v[22:23], v[20:21], v[12:13]
	v_fma_f64 v[10:11], -v[10:11], v[22:23], v[20:21]
	v_div_fmas_f64 v[10:11], v[10:11], v[12:13], v[22:23]
	v_div_fixup_f64 v[10:11], v[10:11], v[0:1], v[2:3]
	v_fma_f64 v[0:1], v[2:3], v[10:11], v[0:1]
	v_div_scale_f64 v[2:3], s[16:17], v[0:1], v[0:1], 1.0
	v_div_scale_f64 v[22:23], vcc, 1.0, v[0:1], 1.0
	v_rcp_f64_e32 v[12:13], v[2:3]
	v_fma_f64 v[20:21], -v[2:3], v[12:13], 1.0
	v_fma_f64 v[12:13], v[12:13], v[20:21], v[12:13]
	v_fma_f64 v[20:21], -v[2:3], v[12:13], 1.0
	v_fma_f64 v[12:13], v[12:13], v[20:21], v[12:13]
	v_mul_f64 v[20:21], v[22:23], v[12:13]
	v_fma_f64 v[2:3], -v[2:3], v[20:21], v[22:23]
	v_div_fmas_f64 v[2:3], v[2:3], v[12:13], v[20:21]
	v_div_fixup_f64 v[0:1], v[2:3], v[0:1], 1.0
	v_mul_f64 v[2:3], v[10:11], -v[0:1]
.LBB122_1381:
	s_or_b64 exec, exec, s[18:19]
.LBB122_1382:
	s_or_b64 exec, exec, s[4:5]
	v_cmp_ne_u32_e32 vcc, v19, v4
	s_and_saveexec_b64 s[4:5], vcc
	s_xor_b64 s[4:5], exec, s[4:5]
	s_cbranch_execz .LBB122_1388
; %bb.1383:
	v_cmp_eq_u32_e32 vcc, 60, v19
	s_and_saveexec_b64 s[18:19], vcc
	s_cbranch_execz .LBB122_1387
; %bb.1384:
	v_cmp_ne_u32_e32 vcc, 60, v4
	s_xor_b64 s[16:17], s[22:23], -1
	s_and_b64 s[16:17], s[16:17], vcc
	s_and_saveexec_b64 s[24:25], s[16:17]
	s_cbranch_execz .LBB122_1386
; %bb.1385:
	v_ashrrev_i32_e32 v5, 31, v4
	v_lshlrev_b64 v[10:11], 2, v[4:5]
	v_add_co_u32_e32 v10, vcc, v8, v10
	v_addc_co_u32_e32 v11, vcc, v9, v11, vcc
	global_load_dword v5, v[10:11], off
	global_load_dword v12, v[8:9], off offset:240
	s_waitcnt vmcnt(1)
	global_store_dword v[8:9], v5, off offset:240
	s_waitcnt vmcnt(1)
	global_store_dword v[10:11], v12, off
.LBB122_1386:
	s_or_b64 exec, exec, s[24:25]
	v_mov_b32_e32 v19, v4
	v_mov_b32_e32 v18, v4
.LBB122_1387:
	s_or_b64 exec, exec, s[18:19]
.LBB122_1388:
	s_andn2_saveexec_b64 s[4:5], s[4:5]
	s_cbranch_execz .LBB122_1390
; %bb.1389:
	v_mov_b32_e32 v11, s7
	buffer_load_dword v4, v11, s[0:3], 0 offen
	buffer_load_dword v5, v11, s[0:3], 0 offen offset:4
	buffer_load_dword v10, v11, s[0:3], 0 offen offset:8
	s_nop 0
	buffer_load_dword v11, v11, s[0:3], 0 offen offset:12
	v_mov_b32_e32 v19, 60
	s_waitcnt vmcnt(0)
	ds_write2_b64 v16, v[4:5], v[10:11] offset0:122 offset1:123
.LBB122_1390:
	s_or_b64 exec, exec, s[4:5]
	v_cmp_lt_i32_e32 vcc, 60, v19
	s_waitcnt vmcnt(0) lgkmcnt(0)
	s_barrier
	s_and_saveexec_b64 s[4:5], vcc
	s_cbranch_execz .LBB122_1392
; %bb.1391:
	buffer_load_dword v4, off, s[0:3], 0 offset:968
	buffer_load_dword v5, off, s[0:3], 0 offset:972
	;; [unrolled: 1-line block ×8, first 2 shown]
	s_waitcnt vmcnt(6)
	v_mul_f64 v[22:23], v[0:1], v[4:5]
	v_mul_f64 v[24:25], v[2:3], v[4:5]
	s_waitcnt vmcnt(4)
	v_fma_f64 v[22:23], v[2:3], v[10:11], v[22:23]
	ds_read2_b64 v[2:5], v16 offset0:122 offset1:123
	v_fma_f64 v[0:1], v[0:1], v[10:11], -v[24:25]
	s_waitcnt lgkmcnt(0)
	v_mul_f64 v[10:11], v[4:5], v[22:23]
	v_mul_f64 v[24:25], v[2:3], v[22:23]
	v_fma_f64 v[2:3], v[2:3], v[0:1], -v[10:11]
	v_fma_f64 v[4:5], v[4:5], v[0:1], v[24:25]
	s_waitcnt vmcnt(2)
	v_add_f64 v[2:3], v[12:13], -v[2:3]
	s_waitcnt vmcnt(0)
	v_add_f64 v[4:5], v[20:21], -v[4:5]
	buffer_store_dword v0, off, s[0:3], 0 offset:960
	buffer_store_dword v1, off, s[0:3], 0 offset:964
	;; [unrolled: 1-line block ×8, first 2 shown]
.LBB122_1392:
	s_or_b64 exec, exec, s[4:5]
	v_mov_b32_e32 v3, s7
	s_waitcnt vmcnt(0)
	s_barrier
	buffer_load_dword v0, v3, s[0:3], 0 offen
	buffer_load_dword v1, v3, s[0:3], 0 offen offset:4
	buffer_load_dword v2, v3, s[0:3], 0 offen offset:8
	s_nop 0
	buffer_load_dword v3, v3, s[0:3], 0 offen offset:12
	v_lshl_add_u32 v4, v19, 4, v16
	s_cmp_lt_i32 s65, 63
	s_waitcnt vmcnt(0)
	ds_write2_b64 v4, v[0:1], v[2:3] offset1:1
	s_waitcnt lgkmcnt(0)
	s_barrier
	ds_read2_b64 v[0:3], v16 offset0:122 offset1:123
	v_mov_b32_e32 v4, 61
	s_cbranch_scc1 .LBB122_1395
; %bb.1393:
	v_add_u32_e32 v5, 0x3e0, v16
	s_mov_b32 s16, 62
	v_mov_b32_e32 v4, 61
.LBB122_1394:                           ; =>This Inner Loop Header: Depth=1
	s_waitcnt lgkmcnt(0)
	v_cmp_gt_f64_e32 vcc, 0, v[2:3]
	v_cmp_gt_f64_e64 s[4:5], 0, v[0:1]
	ds_read2_b64 v[10:13], v5 offset1:1
	v_xor_b32_e32 v16, 0x80000000, v1
	v_xor_b32_e32 v23, 0x80000000, v3
	v_mov_b32_e32 v20, v0
	v_mov_b32_e32 v22, v2
	s_waitcnt lgkmcnt(0)
	v_xor_b32_e32 v25, 0x80000000, v13
	v_cndmask_b32_e32 v23, v3, v23, vcc
	v_cndmask_b32_e64 v21, v1, v16, s[4:5]
	v_cmp_gt_f64_e32 vcc, 0, v[12:13]
	v_cmp_gt_f64_e64 s[4:5], 0, v[10:11]
	v_xor_b32_e32 v16, 0x80000000, v11
	v_add_f64 v[20:21], v[20:21], v[22:23]
	v_mov_b32_e32 v22, v10
	v_mov_b32_e32 v24, v12
	v_add_u32_e32 v5, 16, v5
	v_cndmask_b32_e32 v25, v13, v25, vcc
	v_cndmask_b32_e64 v23, v11, v16, s[4:5]
	v_add_f64 v[22:23], v[22:23], v[24:25]
	v_mov_b32_e32 v16, s16
	s_add_i32 s16, s16, 1
	s_cmp_lg_u32 s65, s16
	v_cmp_lt_f64_e32 vcc, v[20:21], v[22:23]
	v_cndmask_b32_e32 v1, v1, v11, vcc
	v_cndmask_b32_e32 v0, v0, v10, vcc
	;; [unrolled: 1-line block ×5, first 2 shown]
	s_cbranch_scc1 .LBB122_1394
.LBB122_1395:
	s_waitcnt lgkmcnt(0)
	v_cmp_eq_f64_e32 vcc, 0, v[0:1]
	v_cmp_eq_f64_e64 s[4:5], 0, v[2:3]
	s_and_b64 s[4:5], vcc, s[4:5]
	s_and_saveexec_b64 s[16:17], s[4:5]
	s_xor_b64 s[4:5], exec, s[16:17]
; %bb.1396:
	v_cmp_ne_u32_e32 vcc, 0, v17
	v_cndmask_b32_e32 v17, 62, v17, vcc
; %bb.1397:
	s_andn2_saveexec_b64 s[4:5], s[4:5]
	s_cbranch_execz .LBB122_1403
; %bb.1398:
	v_cmp_ngt_f64_e64 s[16:17], |v[0:1]|, |v[2:3]|
	s_and_saveexec_b64 s[18:19], s[16:17]
	s_xor_b64 s[18:19], exec, s[18:19]
	s_cbranch_execz .LBB122_1400
; %bb.1399:
	v_div_scale_f64 v[10:11], s[16:17], v[2:3], v[2:3], v[0:1]
	v_rcp_f64_e32 v[12:13], v[10:11]
	v_fma_f64 v[20:21], -v[10:11], v[12:13], 1.0
	v_fma_f64 v[12:13], v[12:13], v[20:21], v[12:13]
	v_div_scale_f64 v[20:21], vcc, v[0:1], v[2:3], v[0:1]
	v_fma_f64 v[22:23], -v[10:11], v[12:13], 1.0
	v_fma_f64 v[12:13], v[12:13], v[22:23], v[12:13]
	v_mul_f64 v[22:23], v[20:21], v[12:13]
	v_fma_f64 v[10:11], -v[10:11], v[22:23], v[20:21]
	v_div_fmas_f64 v[10:11], v[10:11], v[12:13], v[22:23]
	v_div_fixup_f64 v[10:11], v[10:11], v[2:3], v[0:1]
	v_fma_f64 v[0:1], v[0:1], v[10:11], v[2:3]
	v_div_scale_f64 v[2:3], s[16:17], v[0:1], v[0:1], 1.0
	v_div_scale_f64 v[22:23], vcc, 1.0, v[0:1], 1.0
	v_rcp_f64_e32 v[12:13], v[2:3]
	v_fma_f64 v[20:21], -v[2:3], v[12:13], 1.0
	v_fma_f64 v[12:13], v[12:13], v[20:21], v[12:13]
	v_fma_f64 v[20:21], -v[2:3], v[12:13], 1.0
	v_fma_f64 v[12:13], v[12:13], v[20:21], v[12:13]
	v_mul_f64 v[20:21], v[22:23], v[12:13]
	v_fma_f64 v[2:3], -v[2:3], v[20:21], v[22:23]
	v_div_fmas_f64 v[2:3], v[2:3], v[12:13], v[20:21]
	v_div_fixup_f64 v[2:3], v[2:3], v[0:1], 1.0
	v_mul_f64 v[0:1], v[10:11], v[2:3]
	v_xor_b32_e32 v3, 0x80000000, v3
.LBB122_1400:
	s_andn2_saveexec_b64 s[18:19], s[18:19]
	s_cbranch_execz .LBB122_1402
; %bb.1401:
	v_div_scale_f64 v[10:11], s[16:17], v[0:1], v[0:1], v[2:3]
	v_rcp_f64_e32 v[12:13], v[10:11]
	v_fma_f64 v[20:21], -v[10:11], v[12:13], 1.0
	v_fma_f64 v[12:13], v[12:13], v[20:21], v[12:13]
	v_div_scale_f64 v[20:21], vcc, v[2:3], v[0:1], v[2:3]
	v_fma_f64 v[22:23], -v[10:11], v[12:13], 1.0
	v_fma_f64 v[12:13], v[12:13], v[22:23], v[12:13]
	v_mul_f64 v[22:23], v[20:21], v[12:13]
	v_fma_f64 v[10:11], -v[10:11], v[22:23], v[20:21]
	v_div_fmas_f64 v[10:11], v[10:11], v[12:13], v[22:23]
	v_div_fixup_f64 v[10:11], v[10:11], v[0:1], v[2:3]
	v_fma_f64 v[0:1], v[2:3], v[10:11], v[0:1]
	v_div_scale_f64 v[2:3], s[16:17], v[0:1], v[0:1], 1.0
	v_div_scale_f64 v[22:23], vcc, 1.0, v[0:1], 1.0
	v_rcp_f64_e32 v[12:13], v[2:3]
	v_fma_f64 v[20:21], -v[2:3], v[12:13], 1.0
	v_fma_f64 v[12:13], v[12:13], v[20:21], v[12:13]
	v_fma_f64 v[20:21], -v[2:3], v[12:13], 1.0
	v_fma_f64 v[12:13], v[12:13], v[20:21], v[12:13]
	v_mul_f64 v[20:21], v[22:23], v[12:13]
	v_fma_f64 v[2:3], -v[2:3], v[20:21], v[22:23]
	v_div_fmas_f64 v[2:3], v[2:3], v[12:13], v[20:21]
	v_div_fixup_f64 v[0:1], v[2:3], v[0:1], 1.0
	v_mul_f64 v[2:3], v[10:11], -v[0:1]
.LBB122_1402:
	s_or_b64 exec, exec, s[18:19]
.LBB122_1403:
	s_or_b64 exec, exec, s[4:5]
	v_cmp_ne_u32_e32 vcc, v19, v4
	v_mov_b32_e32 v10, 61
	s_and_saveexec_b64 s[4:5], vcc
	s_cbranch_execz .LBB122_1409
; %bb.1404:
	v_cmp_eq_u32_e32 vcc, 61, v19
	s_and_saveexec_b64 s[18:19], vcc
	s_cbranch_execz .LBB122_1408
; %bb.1405:
	v_cmp_ne_u32_e32 vcc, 61, v4
	s_xor_b64 s[16:17], s[22:23], -1
	s_and_b64 s[16:17], s[16:17], vcc
	s_and_saveexec_b64 s[22:23], s[16:17]
	s_cbranch_execz .LBB122_1407
; %bb.1406:
	v_ashrrev_i32_e32 v5, 31, v4
	v_lshlrev_b64 v[10:11], 2, v[4:5]
	v_add_co_u32_e32 v10, vcc, v8, v10
	v_addc_co_u32_e32 v11, vcc, v9, v11, vcc
	global_load_dword v5, v[10:11], off
	global_load_dword v12, v[8:9], off offset:244
	s_waitcnt vmcnt(1)
	global_store_dword v[8:9], v5, off offset:244
	s_waitcnt vmcnt(1)
	global_store_dword v[10:11], v12, off
.LBB122_1407:
	s_or_b64 exec, exec, s[22:23]
	v_mov_b32_e32 v19, v4
	v_mov_b32_e32 v18, v4
.LBB122_1408:
	s_or_b64 exec, exec, s[18:19]
	v_mov_b32_e32 v10, v19
.LBB122_1409:
	s_or_b64 exec, exec, s[4:5]
	v_cmp_lt_i32_e32 vcc, 61, v10
	s_waitcnt vmcnt(0)
	s_barrier
	s_and_saveexec_b64 s[4:5], vcc
	s_cbranch_execz .LBB122_1411
; %bb.1410:
	buffer_load_dword v4, off, s[0:3], 0 offset:984
	buffer_load_dword v5, off, s[0:3], 0 offset:988
	;; [unrolled: 1-line block ×4, first 2 shown]
	s_waitcnt vmcnt(2)
	v_mul_f64 v[11:12], v[2:3], v[4:5]
	v_mul_f64 v[4:5], v[0:1], v[4:5]
	s_waitcnt vmcnt(0)
	v_fma_f64 v[0:1], v[0:1], v[8:9], -v[11:12]
	v_fma_f64 v[2:3], v[2:3], v[8:9], v[4:5]
	buffer_store_dword v0, off, s[0:3], 0 offset:976
	buffer_store_dword v1, off, s[0:3], 0 offset:980
	;; [unrolled: 1-line block ×4, first 2 shown]
.LBB122_1411:
	s_or_b64 exec, exec, s[4:5]
	v_cmp_gt_i32_e32 vcc, 62, v10
	v_ashrrev_i32_e32 v11, 31, v10
	s_waitcnt vmcnt(0)
	s_barrier
	s_and_saveexec_b64 s[4:5], vcc
	s_cbranch_execz .LBB122_1413
; %bb.1412:
	v_readlane_b32 s12, v61, 0
	v_readlane_b32 s13, v61, 1
	;; [unrolled: 1-line block ×8, first 2 shown]
	s_mov_b64 s[10:11], s[14:15]
	s_mov_b64 s[12:13], s[16:17]
	;; [unrolled: 1-line block ×3, first 2 shown]
	v_mul_lo_u32 v2, s15, v6
	v_mul_lo_u32 v3, s14, v7
	v_mad_u64_u32 v[0:1], s[14:15], s14, v6, 0
	v_add3_u32 v1, v1, v3, v2
	v_lshlrev_b64 v[0:1], 2, v[0:1]
	v_mov_b32_e32 v2, s11
	v_add_co_u32_e32 v0, vcc, s10, v0
	v_addc_co_u32_e32 v1, vcc, v2, v1, vcc
	s_lshl_b64 s[10:11], s[12:13], 2
	v_mov_b32_e32 v2, s11
	v_add_co_u32_e32 v3, vcc, s10, v0
	v_addc_co_u32_e32 v2, vcc, v1, v2, vcc
	v_lshlrev_b64 v[0:1], 2, v[10:11]
	v_add_co_u32_e32 v0, vcc, v3, v0
	v_addc_co_u32_e32 v1, vcc, v2, v1, vcc
	v_add3_u32 v2, v18, s21, 1
	global_store_dword v[0:1], v2, off
.LBB122_1413:
	s_or_b64 exec, exec, s[4:5]
	v_cmp_eq_u32_e32 vcc, 0, v10
	s_and_saveexec_b64 s[10:11], vcc
	s_cbranch_execz .LBB122_1416
; %bb.1414:
	v_lshlrev_b64 v[0:1], 2, v[6:7]
	v_readlane_b32 s4, v61, 11
	v_readlane_b32 s5, v61, 12
	v_mov_b32_e32 v2, s5
	v_add_co_u32_e32 v0, vcc, s4, v0
	v_addc_co_u32_e32 v1, vcc, v2, v1, vcc
	global_load_dword v2, v[0:1], off
	v_cmp_ne_u32_e64 s[4:5], 0, v17
	s_waitcnt vmcnt(0)
	v_cmp_eq_u32_e32 vcc, 0, v2
	s_and_b64 s[4:5], vcc, s[4:5]
	s_and_b64 exec, exec, s[4:5]
	s_cbranch_execz .LBB122_1416
; %bb.1415:
	v_add_u32_e32 v2, s21, v17
	global_store_dword v[0:1], v2, off
.LBB122_1416:
	s_or_b64 exec, exec, s[10:11]
	v_mov_b32_e32 v7, s83
	v_mov_b32_e32 v8, s82
	buffer_load_dword v0, off, s[0:3], 0
	buffer_load_dword v1, off, s[0:3], 0 offset:4
	buffer_load_dword v2, off, s[0:3], 0 offset:8
	;; [unrolled: 1-line block ×3, first 2 shown]
	buffer_load_dword v4, v7, s[0:3], 0 offen
	buffer_load_dword v5, v7, s[0:3], 0 offen offset:4
	buffer_load_dword v6, v7, s[0:3], 0 offen offset:8
	s_nop 0
	buffer_load_dword v7, v7, s[0:3], 0 offen offset:12
	v_mov_b32_e32 v9, s81
	buffer_load_dword v16, v8, s[0:3], 0 offen
	buffer_load_dword v17, v8, s[0:3], 0 offen offset:4
	buffer_load_dword v18, v8, s[0:3], 0 offen offset:8
	;; [unrolled: 1-line block ×3, first 2 shown]
	buffer_load_dword v20, v9, s[0:3], 0 offen
	buffer_load_dword v21, v9, s[0:3], 0 offen offset:4
	buffer_load_dword v22, v9, s[0:3], 0 offen offset:8
	buffer_load_dword v23, v9, s[0:3], 0 offen offset:12
	v_mov_b32_e32 v8, s86
	buffer_load_dword v24, v8, s[0:3], 0 offen
	buffer_load_dword v25, v8, s[0:3], 0 offen offset:4
	buffer_load_dword v26, v8, s[0:3], 0 offen offset:8
	buffer_load_dword v27, v8, s[0:3], 0 offen offset:12
	v_mov_b32_e32 v8, s80
	buffer_load_dword v28, v8, s[0:3], 0 offen
	buffer_load_dword v29, v8, s[0:3], 0 offen offset:4
	buffer_load_dword v30, v8, s[0:3], 0 offen offset:8
	buffer_load_dword v31, v8, s[0:3], 0 offen offset:12
	v_mov_b32_e32 v8, s79
	buffer_load_dword v32, v8, s[0:3], 0 offen
	buffer_load_dword v33, v8, s[0:3], 0 offen offset:4
	buffer_load_dword v34, v8, s[0:3], 0 offen offset:8
	;; [unrolled: 1-line block ×3, first 2 shown]
	v_lshlrev_b64 v[12:13], 4, v[10:11]
	v_readlane_b32 s4, v61, 8
	v_mov_b32_e32 v11, s57
	v_mov_b32_e32 v39, s9
	;; [unrolled: 1-line block ×3, first 2 shown]
	v_add_u32_e32 v44, s4, v10
	buffer_load_dword v8, v11, s[0:3], 0 offen
	buffer_load_dword v9, v11, s[0:3], 0 offen offset:4
	buffer_load_dword v10, v11, s[0:3], 0 offen offset:8
	s_nop 0
	buffer_load_dword v11, v11, s[0:3], 0 offen offset:12
	s_nop 0
	buffer_load_dword v36, v39, s[0:3], 0 offen
	buffer_load_dword v37, v39, s[0:3], 0 offen offset:4
	buffer_load_dword v38, v39, s[0:3], 0 offen offset:8
	s_nop 0
	buffer_load_dword v39, v39, s[0:3], 0 offen offset:12
	s_nop 0
	buffer_load_dword v40, v43, s[0:3], 0 offen
	buffer_load_dword v41, v43, s[0:3], 0 offen offset:4
	buffer_load_dword v42, v43, s[0:3], 0 offen offset:8
	s_nop 0
	buffer_load_dword v43, v43, s[0:3], 0 offen offset:12
	v_readlane_b32 s10, v61, 9
	v_add_co_u32_e32 v12, vcc, v14, v12
	v_readlane_b32 s11, v61, 10
	v_ashrrev_i32_e32 v45, 31, v44
	v_addc_co_u32_e32 v13, vcc, v15, v13, vcc
	v_mov_b32_e32 v49, s11
	v_add_u32_e32 v46, s6, v44
	v_lshlrev_b64 v[44:45], 4, v[44:45]
	v_add_co_u32_e32 v50, vcc, s10, v12
	v_ashrrev_i32_e32 v47, 31, v46
	v_addc_co_u32_e32 v51, vcc, v13, v49, vcc
	v_add_u32_e32 v48, s6, v46
	v_lshlrev_b64 v[46:47], 4, v[46:47]
	v_add_co_u32_e32 v44, vcc, v14, v44
	v_addc_co_u32_e32 v45, vcc, v15, v45, vcc
	v_add_co_u32_e32 v46, vcc, v14, v46
	v_mov_b32_e32 v54, s77
	v_addc_co_u32_e32 v47, vcc, v15, v47, vcc
	v_ashrrev_i32_e32 v49, 31, v48
	v_lshlrev_b64 v[52:53], 4, v[48:49]
	s_waitcnt vmcnt(36)
	global_store_dwordx4 v[12:13], v[0:3], off
	s_waitcnt vmcnt(33)
	global_store_dwordx4 v[50:51], v[4:7], off
	;; [unrolled: 2-line block ×4, first 2 shown]
	buffer_load_dword v0, v54, s[0:3], 0 offen
	buffer_load_dword v1, v54, s[0:3], 0 offen offset:4
	buffer_load_dword v2, v54, s[0:3], 0 offen offset:8
	;; [unrolled: 1-line block ×3, first 2 shown]
	v_add_co_u32_e32 v4, vcc, v14, v52
	v_addc_co_u32_e32 v5, vcc, v15, v53, vcc
	s_waitcnt vmcnt(28)
	global_store_dwordx4 v[4:5], v[24:27], off
	v_mov_b32_e32 v7, s76
	buffer_load_dword v4, v7, s[0:3], 0 offen
	buffer_load_dword v5, v7, s[0:3], 0 offen offset:4
	buffer_load_dword v6, v7, s[0:3], 0 offen offset:8
	s_nop 0
	buffer_load_dword v7, v7, s[0:3], 0 offen offset:12
	v_add_u32_e32 v12, s6, v48
	v_ashrrev_i32_e32 v13, 31, v12
	v_lshlrev_b64 v[16:17], 4, v[12:13]
	v_add_u32_e32 v12, s6, v12
	v_add_co_u32_e32 v16, vcc, v14, v16
	v_addc_co_u32_e32 v17, vcc, v15, v17, vcc
	v_ashrrev_i32_e32 v13, 31, v12
	s_waitcnt vmcnt(29)
	global_store_dwordx4 v[16:17], v[28:31], off
	v_lshlrev_b64 v[20:21], 4, v[12:13]
	v_mov_b32_e32 v13, s75
	buffer_load_dword v16, v13, s[0:3], 0 offen
	buffer_load_dword v17, v13, s[0:3], 0 offen offset:4
	buffer_load_dword v18, v13, s[0:3], 0 offen offset:8
	;; [unrolled: 1-line block ×3, first 2 shown]
	v_add_co_u32_e32 v20, vcc, v14, v20
	v_add_u32_e32 v12, s6, v12
	v_addc_co_u32_e32 v21, vcc, v15, v21, vcc
	v_ashrrev_i32_e32 v13, 31, v12
	s_waitcnt vmcnt(30)
	global_store_dwordx4 v[20:21], v[32:35], off
	v_lshlrev_b64 v[24:25], 4, v[12:13]
	v_mov_b32_e32 v13, s74
	buffer_load_dword v20, v13, s[0:3], 0 offen
	buffer_load_dword v21, v13, s[0:3], 0 offen offset:4
	buffer_load_dword v22, v13, s[0:3], 0 offen offset:8
	;; [unrolled: 1-line block ×3, first 2 shown]
	v_add_co_u32_e32 v24, vcc, v14, v24
	v_addc_co_u32_e32 v25, vcc, v15, v25, vcc
	s_waitcnt vmcnt(31)
	global_store_dwordx4 v[24:25], v[8:11], off
	v_add_u32_e32 v12, s6, v12
	v_mov_b32_e32 v11, s73
	buffer_load_dword v8, v11, s[0:3], 0 offen
	buffer_load_dword v9, v11, s[0:3], 0 offen offset:4
	buffer_load_dword v10, v11, s[0:3], 0 offen offset:8
	s_nop 0
	buffer_load_dword v11, v11, s[0:3], 0 offen offset:12
	v_ashrrev_i32_e32 v13, 31, v12
	v_lshlrev_b64 v[24:25], 4, v[12:13]
	v_add_u32_e32 v12, s6, v12
	v_add_co_u32_e32 v24, vcc, v14, v24
	v_addc_co_u32_e32 v25, vcc, v15, v25, vcc
	v_ashrrev_i32_e32 v13, 31, v12
	s_waitcnt vmcnt(32)
	global_store_dwordx4 v[24:25], v[36:39], off
	v_lshlrev_b64 v[28:29], 4, v[12:13]
	v_mov_b32_e32 v13, s72
	buffer_load_dword v24, v13, s[0:3], 0 offen
	buffer_load_dword v25, v13, s[0:3], 0 offen offset:4
	buffer_load_dword v26, v13, s[0:3], 0 offen offset:8
	buffer_load_dword v27, v13, s[0:3], 0 offen offset:12
	v_add_co_u32_e32 v28, vcc, v14, v28
	v_add_u32_e32 v12, s6, v12
	v_addc_co_u32_e32 v29, vcc, v15, v29, vcc
	v_ashrrev_i32_e32 v13, 31, v12
	s_waitcnt vmcnt(33)
	global_store_dwordx4 v[28:29], v[40:43], off
	v_lshlrev_b64 v[32:33], 4, v[12:13]
	v_mov_b32_e32 v13, s71
	buffer_load_dword v28, v13, s[0:3], 0 offen
	buffer_load_dword v29, v13, s[0:3], 0 offen offset:4
	buffer_load_dword v30, v13, s[0:3], 0 offen offset:8
	buffer_load_dword v31, v13, s[0:3], 0 offen offset:12
	v_add_co_u32_e32 v32, vcc, v14, v32
	v_add_u32_e32 v12, s6, v12
	;; [unrolled: 12-line block ×16, first 2 shown]
	v_addc_co_u32_e32 v33, vcc, v15, v33, vcc
	v_ashrrev_i32_e32 v13, 31, v12
	s_waitcnt vmcnt(30)
	global_store_dwordx4 v[32:33], v[0:3], off
	v_lshlrev_b64 v[32:33], 4, v[12:13]
	v_mov_b32_e32 v13, s56
	buffer_load_dword v0, v13, s[0:3], 0 offen
	buffer_load_dword v1, v13, s[0:3], 0 offen offset:4
	buffer_load_dword v2, v13, s[0:3], 0 offen offset:8
	;; [unrolled: 1-line block ×3, first 2 shown]
	v_add_co_u32_e32 v32, vcc, v14, v32
	v_addc_co_u32_e32 v33, vcc, v15, v33, vcc
	v_mov_b32_e32 v13, s55
	v_add_u32_e32 v12, s6, v12
	s_waitcnt vmcnt(30)
	global_store_dwordx4 v[32:33], v[4:7], off
	buffer_load_dword v4, v13, s[0:3], 0 offen
	s_nop 0
	buffer_load_dword v5, v13, s[0:3], 0 offen offset:4
	buffer_load_dword v6, v13, s[0:3], 0 offen offset:8
	;; [unrolled: 1-line block ×3, first 2 shown]
	v_ashrrev_i32_e32 v13, 31, v12
	v_lshlrev_b64 v[32:33], 4, v[12:13]
	v_add_u32_e32 v12, s6, v12
	v_add_co_u32_e32 v32, vcc, v14, v32
	v_addc_co_u32_e32 v33, vcc, v15, v33, vcc
	v_mov_b32_e32 v13, s54
	s_waitcnt vmcnt(30)
	global_store_dwordx4 v[32:33], v[16:19], off
	buffer_load_dword v16, v13, s[0:3], 0 offen
	s_nop 0
	buffer_load_dword v17, v13, s[0:3], 0 offen offset:4
	buffer_load_dword v18, v13, s[0:3], 0 offen offset:8
	;; [unrolled: 1-line block ×3, first 2 shown]
	v_ashrrev_i32_e32 v13, 31, v12
	v_lshlrev_b64 v[32:33], 4, v[12:13]
	v_mov_b32_e32 v13, s53
	v_add_co_u32_e32 v32, vcc, v14, v32
	v_addc_co_u32_e32 v33, vcc, v15, v33, vcc
	v_add_u32_e32 v12, s6, v12
	s_waitcnt vmcnt(30)
	global_store_dwordx4 v[32:33], v[20:23], off
	buffer_load_dword v20, v13, s[0:3], 0 offen
	s_nop 0
	buffer_load_dword v21, v13, s[0:3], 0 offen offset:4
	buffer_load_dword v22, v13, s[0:3], 0 offen offset:8
	;; [unrolled: 1-line block ×3, first 2 shown]
	v_ashrrev_i32_e32 v13, 31, v12
	v_lshlrev_b64 v[32:33], 4, v[12:13]
	v_mov_b32_e32 v13, s52
	v_add_co_u32_e32 v32, vcc, v14, v32
	v_addc_co_u32_e32 v33, vcc, v15, v33, vcc
	v_add_u32_e32 v12, s6, v12
	s_waitcnt vmcnt(30)
	global_store_dwordx4 v[32:33], v[8:11], off
	buffer_load_dword v8, v13, s[0:3], 0 offen
	s_nop 0
	buffer_load_dword v9, v13, s[0:3], 0 offen offset:4
	buffer_load_dword v10, v13, s[0:3], 0 offen offset:8
	;; [unrolled: 1-line block ×3, first 2 shown]
	v_ashrrev_i32_e32 v13, 31, v12
	v_lshlrev_b64 v[32:33], 4, v[12:13]
	v_add_u32_e32 v12, s6, v12
	v_add_co_u32_e32 v32, vcc, v14, v32
	v_addc_co_u32_e32 v33, vcc, v15, v33, vcc
	v_ashrrev_i32_e32 v13, 31, v12
	s_waitcnt vmcnt(30)
	global_store_dwordx4 v[32:33], v[24:27], off
	v_lshlrev_b64 v[32:33], 4, v[12:13]
	v_mov_b32_e32 v13, s51
	buffer_load_dword v24, v13, s[0:3], 0 offen
	buffer_load_dword v25, v13, s[0:3], 0 offen offset:4
	buffer_load_dword v26, v13, s[0:3], 0 offen offset:8
	;; [unrolled: 1-line block ×3, first 2 shown]
	v_add_co_u32_e32 v32, vcc, v14, v32
	v_add_u32_e32 v12, s6, v12
	v_addc_co_u32_e32 v33, vcc, v15, v33, vcc
	v_ashrrev_i32_e32 v13, 31, v12
	s_waitcnt vmcnt(30)
	global_store_dwordx4 v[32:33], v[28:31], off
	v_lshlrev_b64 v[32:33], 4, v[12:13]
	v_mov_b32_e32 v13, s50
	buffer_load_dword v28, v13, s[0:3], 0 offen
	buffer_load_dword v29, v13, s[0:3], 0 offen offset:4
	buffer_load_dword v30, v13, s[0:3], 0 offen offset:8
	;; [unrolled: 1-line block ×3, first 2 shown]
	v_add_co_u32_e32 v32, vcc, v14, v32
	v_addc_co_u32_e32 v33, vcc, v15, v33, vcc
	s_waitcnt vmcnt(30)
	global_store_dwordx4 v[32:33], v[0:3], off
	s_nop 0
	v_add_u32_e32 v0, s6, v12
	v_ashrrev_i32_e32 v1, 31, v0
	v_lshlrev_b64 v[1:2], 4, v[0:1]
	v_add_co_u32_e32 v1, vcc, v14, v1
	v_addc_co_u32_e32 v2, vcc, v15, v2, vcc
	s_waitcnt vmcnt(26)
	global_store_dwordx4 v[1:2], v[4:7], off
	s_nop 0
	v_mov_b32_e32 v7, s49
	v_add_u32_e32 v4, s6, v0
	buffer_load_dword v0, v7, s[0:3], 0 offen
	buffer_load_dword v1, v7, s[0:3], 0 offen offset:4
	buffer_load_dword v2, v7, s[0:3], 0 offen offset:8
	;; [unrolled: 1-line block ×3, first 2 shown]
	v_ashrrev_i32_e32 v5, 31, v4
	v_lshlrev_b64 v[5:6], 4, v[4:5]
	v_add_u32_e32 v12, s6, v4
	v_add_co_u32_e32 v5, vcc, v14, v5
	v_addc_co_u32_e32 v6, vcc, v15, v6, vcc
	v_ashrrev_i32_e32 v13, 31, v12
	s_waitcnt vmcnt(26)
	global_store_dwordx4 v[5:6], v[16:19], off
	s_nop 0
	v_lshlrev_b64 v[16:17], 4, v[12:13]
	v_mov_b32_e32 v13, s48
	buffer_load_dword v4, v13, s[0:3], 0 offen
	buffer_load_dword v5, v13, s[0:3], 0 offen offset:4
	buffer_load_dword v6, v13, s[0:3], 0 offen offset:8
	;; [unrolled: 1-line block ×3, first 2 shown]
	v_add_co_u32_e32 v16, vcc, v14, v16
	v_add_u32_e32 v12, s6, v12
	v_addc_co_u32_e32 v17, vcc, v15, v17, vcc
	v_ashrrev_i32_e32 v13, 31, v12
	s_waitcnt vmcnt(26)
	global_store_dwordx4 v[16:17], v[20:23], off
	s_nop 0
	v_lshlrev_b64 v[20:21], 4, v[12:13]
	v_mov_b32_e32 v13, s46
	buffer_load_dword v16, v13, s[0:3], 0 offen
	buffer_load_dword v17, v13, s[0:3], 0 offen offset:4
	buffer_load_dword v18, v13, s[0:3], 0 offen offset:8
	;; [unrolled: 1-line block ×3, first 2 shown]
	v_add_co_u32_e32 v20, vcc, v14, v20
	v_add_u32_e32 v12, s6, v12
	v_addc_co_u32_e32 v21, vcc, v15, v21, vcc
	v_ashrrev_i32_e32 v13, 31, v12
	s_waitcnt vmcnt(26)
	global_store_dwordx4 v[20:21], v[8:11], off
	v_lshlrev_b64 v[32:33], 4, v[12:13]
	v_mov_b32_e32 v13, s45
	buffer_load_dword v8, v13, s[0:3], 0 offen
	buffer_load_dword v9, v13, s[0:3], 0 offen offset:4
	buffer_load_dword v10, v13, s[0:3], 0 offen offset:8
	;; [unrolled: 1-line block ×3, first 2 shown]
	v_mov_b32_e32 v13, s44
	buffer_load_dword v20, v13, s[0:3], 0 offen
	buffer_load_dword v21, v13, s[0:3], 0 offen offset:4
	buffer_load_dword v22, v13, s[0:3], 0 offen offset:8
	;; [unrolled: 1-line block ×3, first 2 shown]
	v_add_co_u32_e32 v32, vcc, v14, v32
	v_add_u32_e32 v12, s6, v12
	v_addc_co_u32_e32 v33, vcc, v15, v33, vcc
	v_ashrrev_i32_e32 v13, 31, v12
	s_waitcnt vmcnt(30)
	global_store_dwordx4 v[32:33], v[24:27], off
	v_lshlrev_b64 v[32:33], 4, v[12:13]
	v_mov_b32_e32 v13, s43
	buffer_load_dword v24, v13, s[0:3], 0 offen
	buffer_load_dword v25, v13, s[0:3], 0 offen offset:4
	buffer_load_dword v26, v13, s[0:3], 0 offen offset:8
	;; [unrolled: 1-line block ×3, first 2 shown]
	v_add_co_u32_e32 v32, vcc, v14, v32
	v_addc_co_u32_e32 v33, vcc, v15, v33, vcc
	s_waitcnt vmcnt(30)
	global_store_dwordx4 v[32:33], v[28:31], off
	v_mov_b32_e32 v13, s42
	buffer_load_dword v28, v13, s[0:3], 0 offen
	buffer_load_dword v29, v13, s[0:3], 0 offen offset:4
	buffer_load_dword v30, v13, s[0:3], 0 offen offset:8
	;; [unrolled: 1-line block ×3, first 2 shown]
	v_add_u32_e32 v12, s6, v12
	v_ashrrev_i32_e32 v13, 31, v12
	v_lshlrev_b64 v[36:37], 4, v[12:13]
	v_mov_b32_e32 v13, s41
	buffer_load_dword v32, v13, s[0:3], 0 offen
	buffer_load_dword v33, v13, s[0:3], 0 offen offset:4
	buffer_load_dword v34, v13, s[0:3], 0 offen offset:8
	buffer_load_dword v35, v13, s[0:3], 0 offen offset:12
	v_add_co_u32_e32 v36, vcc, v14, v36
	v_add_u32_e32 v12, s6, v12
	v_addc_co_u32_e32 v37, vcc, v15, v37, vcc
	v_ashrrev_i32_e32 v13, 31, v12
	s_waitcnt vmcnt(33)
	global_store_dwordx4 v[36:37], v[0:3], off
	v_lshlrev_b64 v[36:37], 4, v[12:13]
	v_mov_b32_e32 v13, s40
	buffer_load_dword v0, v13, s[0:3], 0 offen
	buffer_load_dword v1, v13, s[0:3], 0 offen offset:4
	buffer_load_dword v2, v13, s[0:3], 0 offen offset:8
	buffer_load_dword v3, v13, s[0:3], 0 offen offset:12
	v_add_co_u32_e32 v36, vcc, v14, v36
	v_add_u32_e32 v12, s6, v12
	v_addc_co_u32_e32 v37, vcc, v15, v37, vcc
	v_ashrrev_i32_e32 v13, 31, v12
	s_waitcnt vmcnt(33)
	global_store_dwordx4 v[36:37], v[4:7], off
	;; [unrolled: 12-line block ×3, first 2 shown]
	v_lshlrev_b64 v[36:37], 4, v[12:13]
	v_mov_b32_e32 v13, s38
	buffer_load_dword v16, v13, s[0:3], 0 offen
	buffer_load_dword v17, v13, s[0:3], 0 offen offset:4
	buffer_load_dword v18, v13, s[0:3], 0 offen offset:8
	;; [unrolled: 1-line block ×3, first 2 shown]
	v_add_co_u32_e32 v36, vcc, v14, v36
	v_addc_co_u32_e32 v37, vcc, v15, v37, vcc
	s_waitcnt vmcnt(33)
	global_store_dwordx4 v[36:37], v[8:11], off
	s_nop 0
	v_add_u32_e32 v8, s6, v12
	v_ashrrev_i32_e32 v9, 31, v8
	v_lshlrev_b64 v[9:10], 4, v[8:9]
	v_add_u32_e32 v12, s6, v8
	v_add_co_u32_e32 v9, vcc, v14, v9
	v_addc_co_u32_e32 v10, vcc, v15, v10, vcc
	v_ashrrev_i32_e32 v13, 31, v12
	s_waitcnt vmcnt(30)
	global_store_dwordx4 v[9:10], v[20:23], off
	s_nop 0
	v_lshlrev_b64 v[20:21], 4, v[12:13]
	v_mov_b32_e32 v13, s37
	buffer_load_dword v8, v13, s[0:3], 0 offen
	buffer_load_dword v9, v13, s[0:3], 0 offen offset:4
	buffer_load_dword v10, v13, s[0:3], 0 offen offset:8
	buffer_load_dword v11, v13, s[0:3], 0 offen offset:12
	v_add_co_u32_e32 v20, vcc, v14, v20
	v_add_u32_e32 v12, s6, v12
	v_addc_co_u32_e32 v21, vcc, v15, v21, vcc
	v_ashrrev_i32_e32 v13, 31, v12
	s_waitcnt vmcnt(30)
	global_store_dwordx4 v[20:21], v[24:27], off
	v_lshlrev_b64 v[20:21], 4, v[12:13]
	v_add_u32_e32 v12, s6, v12
	v_add_co_u32_e32 v20, vcc, v14, v20
	v_addc_co_u32_e32 v21, vcc, v15, v21, vcc
	v_ashrrev_i32_e32 v13, 31, v12
	s_waitcnt vmcnt(26)
	global_store_dwordx4 v[20:21], v[28:31], off
	v_lshlrev_b64 v[20:21], 4, v[12:13]
	v_mov_b32_e32 v13, s36
	v_add_co_u32_e32 v20, vcc, v14, v20
	v_addc_co_u32_e32 v21, vcc, v15, v21, vcc
	s_waitcnt vmcnt(23)
	global_store_dwordx4 v[20:21], v[32:35], off
	buffer_load_dword v20, v13, s[0:3], 0 offen
	s_nop 0
	buffer_load_dword v21, v13, s[0:3], 0 offen offset:4
	buffer_load_dword v22, v13, s[0:3], 0 offen offset:8
	;; [unrolled: 1-line block ×3, first 2 shown]
	v_add_u32_e32 v12, s6, v12
	v_ashrrev_i32_e32 v13, 31, v12
	v_lshlrev_b64 v[24:25], 4, v[12:13]
	v_add_u32_e32 v12, s6, v12
	v_add_co_u32_e32 v24, vcc, v14, v24
	v_addc_co_u32_e32 v25, vcc, v15, v25, vcc
	v_ashrrev_i32_e32 v13, 31, v12
	s_waitcnt vmcnt(23)
	global_store_dwordx4 v[24:25], v[0:3], off
	v_lshlrev_b64 v[24:25], 4, v[12:13]
	v_mov_b32_e32 v13, s35
	buffer_load_dword v0, v13, s[0:3], 0 offen
	buffer_load_dword v1, v13, s[0:3], 0 offen offset:4
	buffer_load_dword v2, v13, s[0:3], 0 offen offset:8
	;; [unrolled: 1-line block ×3, first 2 shown]
	v_add_co_u32_e32 v24, vcc, v14, v24
	v_add_u32_e32 v12, s6, v12
	v_addc_co_u32_e32 v25, vcc, v15, v25, vcc
	v_ashrrev_i32_e32 v13, 31, v12
	s_waitcnt vmcnt(23)
	global_store_dwordx4 v[24:25], v[4:7], off
	v_lshlrev_b64 v[24:25], 4, v[12:13]
	v_mov_b32_e32 v13, s34
	buffer_load_dword v4, v13, s[0:3], 0 offen
	buffer_load_dword v5, v13, s[0:3], 0 offen offset:4
	buffer_load_dword v6, v13, s[0:3], 0 offen offset:8
	;; [unrolled: 1-line block ×3, first 2 shown]
	v_add_co_u32_e32 v24, vcc, v14, v24
	v_addc_co_u32_e32 v25, vcc, v15, v25, vcc
	v_mov_b32_e32 v13, s33
	v_add_u32_e32 v12, s6, v12
	s_waitcnt vmcnt(23)
	global_store_dwordx4 v[24:25], v[16:19], off
	buffer_load_dword v16, v13, s[0:3], 0 offen
	s_nop 0
	buffer_load_dword v17, v13, s[0:3], 0 offen offset:4
	buffer_load_dword v18, v13, s[0:3], 0 offen offset:8
	;; [unrolled: 1-line block ×3, first 2 shown]
	v_ashrrev_i32_e32 v13, 31, v12
	v_lshlrev_b64 v[32:33], 4, v[12:13]
	v_mov_b32_e32 v13, s31
	buffer_load_dword v24, v13, s[0:3], 0 offen
	buffer_load_dword v25, v13, s[0:3], 0 offen offset:4
	buffer_load_dword v26, v13, s[0:3], 0 offen offset:8
	;; [unrolled: 1-line block ×3, first 2 shown]
	v_mov_b32_e32 v13, s30
	buffer_load_dword v28, v13, s[0:3], 0 offen
	buffer_load_dword v29, v13, s[0:3], 0 offen offset:4
	buffer_load_dword v30, v13, s[0:3], 0 offen offset:8
	;; [unrolled: 1-line block ×3, first 2 shown]
	v_add_co_u32_e32 v32, vcc, v14, v32
	v_addc_co_u32_e32 v33, vcc, v15, v33, vcc
	v_mov_b32_e32 v13, s29
	v_add_u32_e32 v12, s6, v12
	s_waitcnt vmcnt(30)
	global_store_dwordx4 v[32:33], v[8:11], off
	buffer_load_dword v8, v13, s[0:3], 0 offen
	s_nop 0
	buffer_load_dword v9, v13, s[0:3], 0 offen offset:4
	buffer_load_dword v10, v13, s[0:3], 0 offen offset:8
	;; [unrolled: 1-line block ×3, first 2 shown]
	v_ashrrev_i32_e32 v13, 31, v12
	v_lshlrev_b64 v[36:37], 4, v[12:13]
	v_mov_b32_e32 v13, s28
	buffer_load_dword v32, v13, s[0:3], 0 offen
	buffer_load_dword v33, v13, s[0:3], 0 offen offset:4
	buffer_load_dword v34, v13, s[0:3], 0 offen offset:8
	;; [unrolled: 1-line block ×3, first 2 shown]
	v_add_co_u32_e32 v40, vcc, v14, v36
	v_mov_b32_e32 v13, s27
	v_addc_co_u32_e32 v41, vcc, v15, v37, vcc
	buffer_load_dword v36, v13, s[0:3], 0 offen
	buffer_load_dword v37, v13, s[0:3], 0 offen offset:4
	buffer_load_dword v38, v13, s[0:3], 0 offen offset:8
	;; [unrolled: 1-line block ×3, first 2 shown]
	v_add_u32_e32 v12, s6, v12
	v_ashrrev_i32_e32 v13, 31, v12
	v_lshlrev_b64 v[44:45], 4, v[12:13]
	v_mov_b32_e32 v13, s20
	v_add_co_u32_e32 v44, vcc, v14, v44
	v_addc_co_u32_e32 v45, vcc, v15, v45, vcc
	v_add_u32_e32 v12, s6, v12
	s_waitcnt vmcnt(36)
	global_store_dwordx4 v[40:41], v[20:23], off
	v_mov_b32_e32 v40, s26
	buffer_load_dword v20, v40, s[0:3], 0 offen
	buffer_load_dword v21, v40, s[0:3], 0 offen offset:4
	buffer_load_dword v22, v40, s[0:3], 0 offen offset:8
	;; [unrolled: 1-line block ×3, first 2 shown]
	s_nop 0
	buffer_load_dword v40, v13, s[0:3], 0 offen
	buffer_load_dword v41, v13, s[0:3], 0 offen offset:4
	buffer_load_dword v42, v13, s[0:3], 0 offen offset:8
	;; [unrolled: 1-line block ×3, first 2 shown]
	v_mov_b32_e32 v13, s7
	s_waitcnt vmcnt(40)
	global_store_dwordx4 v[44:45], v[0:3], off
	buffer_load_dword v0, v13, s[0:3], 0 offen
	s_nop 0
	buffer_load_dword v1, v13, s[0:3], 0 offen offset:4
	buffer_load_dword v2, v13, s[0:3], 0 offen offset:8
	;; [unrolled: 1-line block ×3, first 2 shown]
	v_ashrrev_i32_e32 v13, 31, v12
	v_lshlrev_b64 v[44:45], 4, v[12:13]
	v_add_co_u32_e32 v44, vcc, v14, v44
	v_addc_co_u32_e32 v45, vcc, v15, v45, vcc
	s_waitcnt vmcnt(40)
	global_store_dwordx4 v[44:45], v[4:7], off
	s_nop 0
	v_add_u32_e32 v4, s6, v12
	v_ashrrev_i32_e32 v5, 31, v4
	v_lshlrev_b64 v[5:6], 4, v[4:5]
	v_add_u32_e32 v4, s6, v4
	v_add_co_u32_e32 v5, vcc, v14, v5
	v_addc_co_u32_e32 v6, vcc, v15, v6, vcc
	s_waitcnt vmcnt(36)
	global_store_dwordx4 v[5:6], v[16:19], off
	v_ashrrev_i32_e32 v5, 31, v4
	v_lshlrev_b64 v[5:6], 4, v[4:5]
	v_add_u32_e32 v4, s6, v4
	v_add_co_u32_e32 v5, vcc, v14, v5
	v_addc_co_u32_e32 v6, vcc, v15, v6, vcc
	s_waitcnt vmcnt(33)
	global_store_dwordx4 v[5:6], v[24:27], off
	;; [unrolled: 7-line block ×8, first 2 shown]
	v_ashrrev_i32_e32 v5, 31, v4
	v_lshlrev_b64 v[4:5], 4, v[4:5]
	v_add_co_u32_e32 v4, vcc, v14, v4
	v_addc_co_u32_e32 v5, vcc, v15, v5, vcc
	s_waitcnt vmcnt(9)
	global_store_dwordx4 v[4:5], v[0:3], off
.LBB122_1417:
	s_endpgm
	.section	.rodata,"a",@progbits
	.p2align	6, 0x0
	.amdhsa_kernel _ZN9rocsolver6v33100L18getf2_small_kernelILi62E19rocblas_complex_numIdEiiPS3_EEvT1_T3_lS5_lPS5_llPT2_S5_S5_S7_l
		.amdhsa_group_segment_fixed_size 0
		.amdhsa_private_segment_fixed_size 1008
		.amdhsa_kernarg_size 352
		.amdhsa_user_sgpr_count 6
		.amdhsa_user_sgpr_private_segment_buffer 1
		.amdhsa_user_sgpr_dispatch_ptr 0
		.amdhsa_user_sgpr_queue_ptr 0
		.amdhsa_user_sgpr_kernarg_segment_ptr 1
		.amdhsa_user_sgpr_dispatch_id 0
		.amdhsa_user_sgpr_flat_scratch_init 0
		.amdhsa_user_sgpr_private_segment_size 0
		.amdhsa_uses_dynamic_stack 0
		.amdhsa_system_sgpr_private_segment_wavefront_offset 1
		.amdhsa_system_sgpr_workgroup_id_x 1
		.amdhsa_system_sgpr_workgroup_id_y 1
		.amdhsa_system_sgpr_workgroup_id_z 0
		.amdhsa_system_sgpr_workgroup_info 0
		.amdhsa_system_vgpr_workitem_id 1
		.amdhsa_next_free_vgpr 62
		.amdhsa_next_free_sgpr 100
		.amdhsa_reserve_vcc 1
		.amdhsa_reserve_flat_scratch 0
		.amdhsa_float_round_mode_32 0
		.amdhsa_float_round_mode_16_64 0
		.amdhsa_float_denorm_mode_32 3
		.amdhsa_float_denorm_mode_16_64 3
		.amdhsa_dx10_clamp 1
		.amdhsa_ieee_mode 1
		.amdhsa_fp16_overflow 0
		.amdhsa_exception_fp_ieee_invalid_op 0
		.amdhsa_exception_fp_denorm_src 0
		.amdhsa_exception_fp_ieee_div_zero 0
		.amdhsa_exception_fp_ieee_overflow 0
		.amdhsa_exception_fp_ieee_underflow 0
		.amdhsa_exception_fp_ieee_inexact 0
		.amdhsa_exception_int_div_zero 0
	.end_amdhsa_kernel
	.section	.text._ZN9rocsolver6v33100L18getf2_small_kernelILi62E19rocblas_complex_numIdEiiPS3_EEvT1_T3_lS5_lPS5_llPT2_S5_S5_S7_l,"axG",@progbits,_ZN9rocsolver6v33100L18getf2_small_kernelILi62E19rocblas_complex_numIdEiiPS3_EEvT1_T3_lS5_lPS5_llPT2_S5_S5_S7_l,comdat
.Lfunc_end122:
	.size	_ZN9rocsolver6v33100L18getf2_small_kernelILi62E19rocblas_complex_numIdEiiPS3_EEvT1_T3_lS5_lPS5_llPT2_S5_S5_S7_l, .Lfunc_end122-_ZN9rocsolver6v33100L18getf2_small_kernelILi62E19rocblas_complex_numIdEiiPS3_EEvT1_T3_lS5_lPS5_llPT2_S5_S5_S7_l
                                        ; -- End function
	.set _ZN9rocsolver6v33100L18getf2_small_kernelILi62E19rocblas_complex_numIdEiiPS3_EEvT1_T3_lS5_lPS5_llPT2_S5_S5_S7_l.num_vgpr, 62
	.set _ZN9rocsolver6v33100L18getf2_small_kernelILi62E19rocblas_complex_numIdEiiPS3_EEvT1_T3_lS5_lPS5_llPT2_S5_S5_S7_l.num_agpr, 0
	.set _ZN9rocsolver6v33100L18getf2_small_kernelILi62E19rocblas_complex_numIdEiiPS3_EEvT1_T3_lS5_lPS5_llPT2_S5_S5_S7_l.numbered_sgpr, 100
	.set _ZN9rocsolver6v33100L18getf2_small_kernelILi62E19rocblas_complex_numIdEiiPS3_EEvT1_T3_lS5_lPS5_llPT2_S5_S5_S7_l.num_named_barrier, 0
	.set _ZN9rocsolver6v33100L18getf2_small_kernelILi62E19rocblas_complex_numIdEiiPS3_EEvT1_T3_lS5_lPS5_llPT2_S5_S5_S7_l.private_seg_size, 1008
	.set _ZN9rocsolver6v33100L18getf2_small_kernelILi62E19rocblas_complex_numIdEiiPS3_EEvT1_T3_lS5_lPS5_llPT2_S5_S5_S7_l.uses_vcc, 1
	.set _ZN9rocsolver6v33100L18getf2_small_kernelILi62E19rocblas_complex_numIdEiiPS3_EEvT1_T3_lS5_lPS5_llPT2_S5_S5_S7_l.uses_flat_scratch, 0
	.set _ZN9rocsolver6v33100L18getf2_small_kernelILi62E19rocblas_complex_numIdEiiPS3_EEvT1_T3_lS5_lPS5_llPT2_S5_S5_S7_l.has_dyn_sized_stack, 0
	.set _ZN9rocsolver6v33100L18getf2_small_kernelILi62E19rocblas_complex_numIdEiiPS3_EEvT1_T3_lS5_lPS5_llPT2_S5_S5_S7_l.has_recursion, 0
	.set _ZN9rocsolver6v33100L18getf2_small_kernelILi62E19rocblas_complex_numIdEiiPS3_EEvT1_T3_lS5_lPS5_llPT2_S5_S5_S7_l.has_indirect_call, 0
	.section	.AMDGPU.csdata,"",@progbits
; Kernel info:
; codeLenInByte = 202528
; TotalNumSgprs: 104
; NumVgprs: 62
; ScratchSize: 1008
; MemoryBound: 0
; FloatMode: 240
; IeeeMode: 1
; LDSByteSize: 0 bytes/workgroup (compile time only)
; SGPRBlocks: 12
; VGPRBlocks: 15
; NumSGPRsForWavesPerEU: 104
; NumVGPRsForWavesPerEU: 62
; Occupancy: 4
; WaveLimiterHint : 1
; COMPUTE_PGM_RSRC2:SCRATCH_EN: 1
; COMPUTE_PGM_RSRC2:USER_SGPR: 6
; COMPUTE_PGM_RSRC2:TRAP_HANDLER: 0
; COMPUTE_PGM_RSRC2:TGID_X_EN: 1
; COMPUTE_PGM_RSRC2:TGID_Y_EN: 1
; COMPUTE_PGM_RSRC2:TGID_Z_EN: 0
; COMPUTE_PGM_RSRC2:TIDIG_COMP_CNT: 1
	.section	.text._ZN9rocsolver6v33100L23getf2_npvt_small_kernelILi62E19rocblas_complex_numIdEiiPS3_EEvT1_T3_lS5_lPT2_S5_S5_,"axG",@progbits,_ZN9rocsolver6v33100L23getf2_npvt_small_kernelILi62E19rocblas_complex_numIdEiiPS3_EEvT1_T3_lS5_lPT2_S5_S5_,comdat
	.globl	_ZN9rocsolver6v33100L23getf2_npvt_small_kernelILi62E19rocblas_complex_numIdEiiPS3_EEvT1_T3_lS5_lPT2_S5_S5_ ; -- Begin function _ZN9rocsolver6v33100L23getf2_npvt_small_kernelILi62E19rocblas_complex_numIdEiiPS3_EEvT1_T3_lS5_lPT2_S5_S5_
	.p2align	8
	.type	_ZN9rocsolver6v33100L23getf2_npvt_small_kernelILi62E19rocblas_complex_numIdEiiPS3_EEvT1_T3_lS5_lPT2_S5_S5_,@function
_ZN9rocsolver6v33100L23getf2_npvt_small_kernelILi62E19rocblas_complex_numIdEiiPS3_EEvT1_T3_lS5_lPT2_S5_S5_: ; @_ZN9rocsolver6v33100L23getf2_npvt_small_kernelILi62E19rocblas_complex_numIdEiiPS3_EEvT1_T3_lS5_lPT2_S5_S5_
; %bb.0:
	s_load_dword s6, s[4:5], 0x44
	s_load_dwordx2 s[74:75], s[4:5], 0x30
	s_add_u32 s0, s0, s8
	s_addc_u32 s1, s1, 0
	s_waitcnt lgkmcnt(0)
	s_lshr_b32 s12, s6, 16
	s_mul_i32 s7, s7, s12
	v_add_u32_e32 v20, s7, v1
	v_cmp_gt_i32_e32 vcc, s74, v20
	s_and_saveexec_b64 s[6:7], vcc
	s_cbranch_execnz .LBB123_1
; %bb.676:
	s_getpc_b64 s[98:99]
.Lpost_getpc37:
	s_add_u32 s98, s98, (.LBB123_675-.Lpost_getpc37)&4294967295
	s_addc_u32 s99, s99, (.LBB123_675-.Lpost_getpc37)>>32
	s_setpc_b64 s[98:99]
.LBB123_1:
	s_load_dwordx4 s[8:11], s[4:5], 0x8
	s_load_dword s6, s[4:5], 0x18
	s_load_dwordx4 s[80:83], s[4:5], 0x20
	v_ashrrev_i32_e32 v21, 31, v20
	s_movk_i32 s13, 0x60
	s_movk_i32 s14, 0x70
	s_waitcnt lgkmcnt(0)
	s_ashr_i32 s7, s6, 31
	v_mul_lo_u32 v4, s81, v20
	v_mul_lo_u32 v5, s80, v21
	v_mad_u64_u32 v[2:3], s[4:5], s80, v20, 0
	s_lshl_b64 s[4:5], s[10:11], 4
	s_movk_i32 s15, 0x80
	v_add3_u32 v3, v3, v5, v4
	v_lshlrev_b64 v[2:3], 4, v[2:3]
	v_mov_b32_e32 v4, s9
	v_add_co_u32_e32 v2, vcc, s8, v2
	v_addc_co_u32_e32 v3, vcc, v4, v3, vcc
	v_add_co_u32_e32 v2, vcc, s4, v2
	v_mov_b32_e32 v4, s5
	v_addc_co_u32_e32 v3, vcc, v3, v4, vcc
	v_lshlrev_b32_e32 v4, 4, v0
	v_add_co_u32_e32 v8, vcc, v2, v4
	v_addc_co_u32_e32 v9, vcc, 0, v3, vcc
	global_load_dwordx4 v[4:7], v[8:9], off
	s_lshl_b64 s[8:9], s[6:7], 4
	s_add_i32 s7, s6, s6
	s_mul_i32 s5, s12, 0x3e0
	s_movk_i32 s4, 0x3e0
	s_add_i32 s5, s5, 0
	s_movk_i32 s12, 0x50
	s_movk_i32 s16, 0x90
	;; [unrolled: 1-line block ×54, first 2 shown]
	v_mad_u32_u24 v121, v1, s4, 0
	v_lshl_add_u32 v125, v1, 4, s5
	v_cmp_eq_u32_e64 s[4:5], 0, v0
	s_waitcnt vmcnt(0)
	buffer_store_dword v7, off, s[0:3], 0 offset:12
	buffer_store_dword v6, off, s[0:3], 0 offset:8
	;; [unrolled: 1-line block ×3, first 2 shown]
	buffer_store_dword v4, off, s[0:3], 0
	v_add_co_u32_e32 v5, vcc, s8, v8
	buffer_store_dword v8, off, s[0:3], 0 offset:992 ; 4-byte Folded Spill
	s_nop 0
	buffer_store_dword v9, off, s[0:3], 0 offset:996 ; 4-byte Folded Spill
	v_mov_b32_e32 v4, s9
	v_add_u32_e32 v8, s7, v0
	v_addc_co_u32_e32 v6, vcc, v9, v4, vcc
	buffer_store_dword v5, off, s[0:3], 0 offset:1000 ; 4-byte Folded Spill
	s_nop 0
	buffer_store_dword v6, off, s[0:3], 0 offset:1004 ; 4-byte Folded Spill
	v_ashrrev_i32_e32 v9, 31, v8
	global_load_dwordx4 v[4:7], v[5:6], off
	s_waitcnt vmcnt(0)
	buffer_store_dword v7, off, s[0:3], 0 offset:28
	buffer_store_dword v6, off, s[0:3], 0 offset:24
	buffer_store_dword v5, off, s[0:3], 0 offset:20
	buffer_store_dword v4, off, s[0:3], 0 offset:16
	v_lshlrev_b64 v[4:5], 4, v[8:9]
	v_add_u32_e32 v8, s6, v8
	v_add_co_u32_e32 v4, vcc, v2, v4
	v_addc_co_u32_e32 v5, vcc, v3, v5, vcc
	buffer_store_dword v4, off, s[0:3], 0 offset:1008 ; 4-byte Folded Spill
	s_nop 0
	buffer_store_dword v5, off, s[0:3], 0 offset:1012 ; 4-byte Folded Spill
	v_ashrrev_i32_e32 v9, 31, v8
	global_load_dwordx4 v[4:7], v[4:5], off
	s_waitcnt vmcnt(0)
	buffer_store_dword v7, off, s[0:3], 0 offset:44
	buffer_store_dword v6, off, s[0:3], 0 offset:40
	buffer_store_dword v5, off, s[0:3], 0 offset:36
	buffer_store_dword v4, off, s[0:3], 0 offset:32
	v_lshlrev_b64 v[4:5], 4, v[8:9]
	v_add_u32_e32 v8, s6, v8
	v_add_co_u32_e32 v4, vcc, v2, v4
	;; [unrolled: 14-line block ×58, first 2 shown]
	v_addc_co_u32_e32 v5, vcc, v3, v5, vcc
	buffer_store_dword v4, off, s[0:3], 0 offset:1464 ; 4-byte Folded Spill
	s_nop 0
	buffer_store_dword v5, off, s[0:3], 0 offset:1468 ; 4-byte Folded Spill
	v_ashrrev_i32_e32 v9, 31, v8
	global_load_dwordx4 v[4:7], v[4:5], off
	s_waitcnt vmcnt(0)
	buffer_store_dword v7, off, s[0:3], 0 offset:956
	buffer_store_dword v6, off, s[0:3], 0 offset:952
	;; [unrolled: 1-line block ×4, first 2 shown]
	v_lshlrev_b64 v[4:5], 4, v[8:9]
	v_add_co_u32_e32 v4, vcc, v2, v4
	v_addc_co_u32_e32 v5, vcc, v3, v5, vcc
	buffer_store_dword v4, off, s[0:3], 0 offset:1480 ; 4-byte Folded Spill
	s_nop 0
	buffer_store_dword v5, off, s[0:3], 0 offset:1484 ; 4-byte Folded Spill
	global_load_dwordx4 v[4:7], v[4:5], off
	s_waitcnt vmcnt(0)
	buffer_store_dword v7, off, s[0:3], 0 offset:972
	buffer_store_dword v6, off, s[0:3], 0 offset:968
	;; [unrolled: 1-line block ×4, first 2 shown]
	v_add_u32_e32 v4, s6, v8
	v_ashrrev_i32_e32 v5, 31, v4
	v_lshlrev_b64 v[4:5], 4, v[4:5]
	v_cmp_ne_u32_e64 s[6:7], 0, v0
	v_add_co_u32_e32 v2, vcc, v2, v4
	v_addc_co_u32_e32 v3, vcc, v3, v5, vcc
	buffer_store_dword v2, off, s[0:3], 0 offset:1392 ; 4-byte Folded Spill
	s_nop 0
	buffer_store_dword v3, off, s[0:3], 0 offset:1396 ; 4-byte Folded Spill
	global_load_dwordx4 v[2:5], v[2:3], off
	s_waitcnt vmcnt(0)
	buffer_store_dword v5, off, s[0:3], 0 offset:988
	buffer_store_dword v4, off, s[0:3], 0 offset:984
	;; [unrolled: 1-line block ×4, first 2 shown]
	s_and_saveexec_b64 s[10:11], s[4:5]
	s_cbranch_execz .LBB123_12
; %bb.2:
	buffer_load_dword v2, off, s[0:3], 0 offset:992 ; 4-byte Folded Reload
	buffer_load_dword v3, off, s[0:3], 0 offset:996 ; 4-byte Folded Reload
	s_mov_b32 s70, 16
	s_waitcnt vmcnt(0)
	global_load_dwordx4 v[2:5], v[2:3], off
	s_waitcnt vmcnt(0)
	ds_write2_b64 v125, v[2:3], v[4:5] offset1:1
	s_branch .LBB123_4
.LBB123_3:                              ;   in Loop: Header=BB123_4 Depth=1
	s_andn2_b64 vcc, exec, s[8:9]
	s_cbranch_vccz .LBB123_6
.LBB123_4:                              ; =>This Inner Loop Header: Depth=1
	v_mov_b32_e32 v19, s70
	buffer_load_dword v3, v19, s[0:3], 0 offen
	buffer_load_dword v4, v19, s[0:3], 0 offen offset:4
	buffer_load_dword v5, v19, s[0:3], 0 offen offset:8
	;; [unrolled: 1-line block ×15, first 2 shown]
	v_add_u32_e32 v2, s70, v121
	s_mov_b32 s71, s70
	s_mov_b64 s[8:9], -1
	s_cmpk_eq_i32 s70, 0x390
	s_waitcnt vmcnt(12)
	ds_write2_b64 v2, v[3:4], v[5:6] offset1:1
	s_waitcnt vmcnt(8)
	ds_write2_b64 v2, v[7:8], v[9:10] offset0:2 offset1:3
	s_waitcnt vmcnt(4)
	ds_write2_b64 v2, v[11:12], v[13:14] offset0:4 offset1:5
	;; [unrolled: 2-line block ×3, first 2 shown]
	buffer_load_dword v4, v19, s[0:3], 0 offen offset:76
	buffer_load_dword v3, v19, s[0:3], 0 offen offset:72
	;; [unrolled: 1-line block ×4, first 2 shown]
	s_waitcnt vmcnt(0)
	ds_write2_b64 v2, v[5:6], v[3:4] offset0:8 offset1:9
	s_cbranch_scc1 .LBB123_3
; %bb.5:                                ;   in Loop: Header=BB123_4 Depth=1
	v_mov_b32_e32 v14, s71
	buffer_load_dword v3, v14, s[0:3], 0 offen offset:80
	buffer_load_dword v4, v14, s[0:3], 0 offen offset:84
	;; [unrolled: 1-line block ×11, first 2 shown]
	s_nop 0
	buffer_load_dword v14, v14, s[0:3], 0 offen offset:124
	s_addk_i32 s70, 0x80
	s_mov_b64 s[8:9], 0
	s_waitcnt vmcnt(8)
	ds_write2_b64 v2, v[3:4], v[5:6] offset0:10 offset1:11
	s_waitcnt vmcnt(4)
	ds_write2_b64 v2, v[7:8], v[9:10] offset0:12 offset1:13
	;; [unrolled: 2-line block ×3, first 2 shown]
	s_branch .LBB123_3
.LBB123_6:
	ds_read2_b64 v[2:5], v125 offset1:1
	s_waitcnt lgkmcnt(0)
	v_cmp_neq_f64_e32 vcc, 0, v[2:3]
	v_cmp_neq_f64_e64 s[8:9], 0, v[4:5]
	s_or_b64 s[8:9], vcc, s[8:9]
	s_and_b64 exec, exec, s[8:9]
	s_cbranch_execz .LBB123_12
; %bb.7:
	v_cmp_ngt_f64_e64 s[8:9], |v[2:3]|, |v[4:5]|
                                        ; implicit-def: $vgpr6_vgpr7
	s_and_saveexec_b64 s[70:71], s[8:9]
	s_xor_b64 s[8:9], exec, s[70:71]
                                        ; implicit-def: $vgpr8_vgpr9
	s_cbranch_execz .LBB123_9
; %bb.8:
	v_div_scale_f64 v[6:7], s[70:71], v[4:5], v[4:5], v[2:3]
	v_rcp_f64_e32 v[8:9], v[6:7]
	v_fma_f64 v[10:11], -v[6:7], v[8:9], 1.0
	v_fma_f64 v[8:9], v[8:9], v[10:11], v[8:9]
	v_div_scale_f64 v[10:11], vcc, v[2:3], v[4:5], v[2:3]
	v_fma_f64 v[12:13], -v[6:7], v[8:9], 1.0
	v_fma_f64 v[8:9], v[8:9], v[12:13], v[8:9]
	v_mul_f64 v[12:13], v[10:11], v[8:9]
	v_fma_f64 v[6:7], -v[6:7], v[12:13], v[10:11]
	v_div_fmas_f64 v[6:7], v[6:7], v[8:9], v[12:13]
	v_div_fixup_f64 v[6:7], v[6:7], v[4:5], v[2:3]
	v_fma_f64 v[2:3], v[2:3], v[6:7], v[4:5]
	v_div_scale_f64 v[4:5], s[70:71], v[2:3], v[2:3], 1.0
	v_div_scale_f64 v[12:13], vcc, 1.0, v[2:3], 1.0
	v_rcp_f64_e32 v[8:9], v[4:5]
	v_fma_f64 v[10:11], -v[4:5], v[8:9], 1.0
	v_fma_f64 v[8:9], v[8:9], v[10:11], v[8:9]
	v_fma_f64 v[10:11], -v[4:5], v[8:9], 1.0
	v_fma_f64 v[8:9], v[8:9], v[10:11], v[8:9]
	v_mul_f64 v[10:11], v[12:13], v[8:9]
	v_fma_f64 v[4:5], -v[4:5], v[10:11], v[12:13]
	v_div_fmas_f64 v[4:5], v[4:5], v[8:9], v[10:11]
	v_div_fixup_f64 v[8:9], v[4:5], v[2:3], 1.0
                                        ; implicit-def: $vgpr2_vgpr3
	v_mul_f64 v[6:7], v[6:7], v[8:9]
	v_xor_b32_e32 v9, 0x80000000, v9
.LBB123_9:
	s_andn2_saveexec_b64 s[8:9], s[8:9]
	s_cbranch_execz .LBB123_11
; %bb.10:
	v_div_scale_f64 v[6:7], s[70:71], v[2:3], v[2:3], v[4:5]
	v_rcp_f64_e32 v[8:9], v[6:7]
	v_fma_f64 v[10:11], -v[6:7], v[8:9], 1.0
	v_fma_f64 v[8:9], v[8:9], v[10:11], v[8:9]
	v_div_scale_f64 v[10:11], vcc, v[4:5], v[2:3], v[4:5]
	v_fma_f64 v[12:13], -v[6:7], v[8:9], 1.0
	v_fma_f64 v[8:9], v[8:9], v[12:13], v[8:9]
	v_mul_f64 v[12:13], v[10:11], v[8:9]
	v_fma_f64 v[6:7], -v[6:7], v[12:13], v[10:11]
	v_div_fmas_f64 v[6:7], v[6:7], v[8:9], v[12:13]
	v_div_fixup_f64 v[8:9], v[6:7], v[2:3], v[4:5]
	v_fma_f64 v[2:3], v[4:5], v[8:9], v[2:3]
	v_div_scale_f64 v[4:5], s[70:71], v[2:3], v[2:3], 1.0
	v_div_scale_f64 v[12:13], vcc, 1.0, v[2:3], 1.0
	v_rcp_f64_e32 v[6:7], v[4:5]
	v_fma_f64 v[10:11], -v[4:5], v[6:7], 1.0
	v_fma_f64 v[6:7], v[6:7], v[10:11], v[6:7]
	v_fma_f64 v[10:11], -v[4:5], v[6:7], 1.0
	v_fma_f64 v[6:7], v[6:7], v[10:11], v[6:7]
	v_mul_f64 v[10:11], v[12:13], v[6:7]
	v_fma_f64 v[4:5], -v[4:5], v[10:11], v[12:13]
	v_div_fmas_f64 v[4:5], v[4:5], v[6:7], v[10:11]
	v_div_fixup_f64 v[6:7], v[4:5], v[2:3], 1.0
	v_mul_f64 v[8:9], v[8:9], -v[6:7]
.LBB123_11:
	s_or_b64 exec, exec, s[8:9]
	ds_write2_b64 v125, v[6:7], v[8:9] offset1:1
.LBB123_12:
	s_or_b64 exec, exec, s[10:11]
	s_mov_b32 s8, s22
                                        ; implicit-def: $vgpr126 : SGPR spill to VGPR lane
	buffer_store_dword v20, off, s[0:3], 0 offset:1936 ; 4-byte Folded Spill
	s_nop 0
	buffer_store_dword v21, off, s[0:3], 0 offset:1940 ; 4-byte Folded Spill
	v_writelane_b32 v126, s8, 0
	s_mov_b32 s8, s23
	v_writelane_b32 v126, s8, 1
	s_mov_b32 s8, s29
	;; [unrolled: 2-line block ×20, first 2 shown]
	s_waitcnt vmcnt(0) lgkmcnt(0)
	s_barrier
	ds_read2_b64 v[28:31], v125 offset1:1
	v_writelane_b32 v126, s8, 20
	s_mov_b32 s8, s64
	v_writelane_b32 v126, s8, 21
	s_mov_b32 s8, s66
	;; [unrolled: 2-line block ×3, first 2 shown]
	v_mul_u32_u24_e32 v9, 0x3e0, v1
	s_mov_b32 s70, 16
	s_mov_b32 s72, 32
	;; [unrolled: 1-line block ×35, first 2 shown]
	v_writelane_b32 v126, s8, 23
	s_and_saveexec_b64 s[8:9], s[6:7]
	s_cbranch_execz .LBB123_17
; %bb.13:
	buffer_load_dword v1, off, s[0:3], 0 offset:8
	buffer_load_dword v2, off, s[0:3], 0 offset:12
	buffer_load_dword v3, off, s[0:3], 0
	buffer_load_dword v4, off, s[0:3], 0 offset:4
	s_mov_b32 s10, 16
	s_waitcnt vmcnt(2) lgkmcnt(0)
	v_mul_f64 v[5:6], v[30:31], v[1:2]
	v_mul_f64 v[7:8], v[28:29], v[1:2]
	s_waitcnt vmcnt(0)
	v_fma_f64 v[1:2], v[28:29], v[3:4], -v[5:6]
	v_fma_f64 v[3:4], v[30:31], v[3:4], v[7:8]
	buffer_store_dword v1, off, s[0:3], 0
	buffer_store_dword v2, off, s[0:3], 0 offset:4
	buffer_store_dword v3, off, s[0:3], 0 offset:8
	;; [unrolled: 1-line block ×3, first 2 shown]
	s_branch .LBB123_15
.LBB123_14:                             ;   in Loop: Header=BB123_15 Depth=1
	s_andn2_b64 vcc, exec, s[6:7]
	s_cbranch_vccz .LBB123_17
.LBB123_15:                             ; =>This Inner Loop Header: Depth=1
	v_add_u32_e32 v5, s10, v121
	ds_read2_b64 v[10:13], v5 offset1:1
	v_mov_b32_e32 v8, s10
	s_mov_b32 s11, s10
	s_mov_b64 s[6:7], -1
	s_cmpk_eq_i32 s10, 0x390
	s_waitcnt lgkmcnt(0)
	v_mul_f64 v[6:7], v[12:13], v[3:4]
	v_fma_f64 v[6:7], v[10:11], v[1:2], -v[6:7]
	v_mul_f64 v[10:11], v[10:11], v[3:4]
	v_fma_f64 v[10:11], v[12:13], v[1:2], v[10:11]
	buffer_load_dword v12, v8, s[0:3], 0 offen
	buffer_load_dword v13, v8, s[0:3], 0 offen offset:4
	buffer_load_dword v14, v8, s[0:3], 0 offen offset:8
	;; [unrolled: 1-line block ×15, first 2 shown]
	s_waitcnt vmcnt(14)
	v_add_f64 v[6:7], v[12:13], -v[6:7]
	s_waitcnt vmcnt(12)
	v_add_f64 v[10:11], v[14:15], -v[10:11]
	buffer_store_dword v6, v8, s[0:3], 0 offen
	buffer_store_dword v7, v8, s[0:3], 0 offen offset:4
	buffer_store_dword v10, v8, s[0:3], 0 offen offset:8
	buffer_store_dword v11, v8, s[0:3], 0 offen offset:12
	ds_read2_b64 v[10:13], v5 offset0:2 offset1:3
	s_waitcnt lgkmcnt(0)
	v_mul_f64 v[6:7], v[12:13], v[3:4]
	v_fma_f64 v[6:7], v[10:11], v[1:2], -v[6:7]
	v_mul_f64 v[10:11], v[10:11], v[3:4]
	s_waitcnt vmcnt(14)
	v_add_f64 v[6:7], v[16:17], -v[6:7]
	v_fma_f64 v[10:11], v[12:13], v[1:2], v[10:11]
	s_waitcnt vmcnt(12)
	v_add_f64 v[10:11], v[18:19], -v[10:11]
	buffer_store_dword v6, v8, s[0:3], 0 offen offset:16
	buffer_store_dword v7, v8, s[0:3], 0 offen offset:20
	buffer_store_dword v10, v8, s[0:3], 0 offen offset:24
	buffer_store_dword v11, v8, s[0:3], 0 offen offset:28
	ds_read2_b64 v[10:13], v5 offset0:4 offset1:5
	s_waitcnt lgkmcnt(0)
	v_mul_f64 v[6:7], v[12:13], v[3:4]
	v_fma_f64 v[6:7], v[10:11], v[1:2], -v[6:7]
	v_mul_f64 v[10:11], v[10:11], v[3:4]
	s_waitcnt vmcnt(14)
	v_add_f64 v[6:7], v[20:21], -v[6:7]
	v_fma_f64 v[10:11], v[12:13], v[1:2], v[10:11]
	s_waitcnt vmcnt(12)
	v_add_f64 v[10:11], v[22:23], -v[10:11]
	buffer_store_dword v6, v8, s[0:3], 0 offen offset:32
	;; [unrolled: 14-line block ×3, first 2 shown]
	buffer_store_dword v6, v8, s[0:3], 0 offen offset:48
	buffer_store_dword v10, v8, s[0:3], 0 offen offset:56
	;; [unrolled: 1-line block ×3, first 2 shown]
	ds_read2_b64 v[10:13], v5 offset0:8 offset1:9
	s_waitcnt lgkmcnt(0)
	v_mul_f64 v[6:7], v[12:13], v[3:4]
	v_fma_f64 v[6:7], v[10:11], v[1:2], -v[6:7]
	v_mul_f64 v[10:11], v[10:11], v[3:4]
	v_fma_f64 v[10:11], v[12:13], v[1:2], v[10:11]
	buffer_load_dword v12, v8, s[0:3], 0 offen offset:64
	buffer_load_dword v13, v8, s[0:3], 0 offen offset:68
	buffer_load_dword v14, v8, s[0:3], 0 offen offset:72
	buffer_load_dword v15, v8, s[0:3], 0 offen offset:76
	s_waitcnt vmcnt(2)
	v_add_f64 v[6:7], v[12:13], -v[6:7]
	s_waitcnt vmcnt(0)
	v_add_f64 v[10:11], v[14:15], -v[10:11]
	buffer_store_dword v7, v8, s[0:3], 0 offen offset:68
	buffer_store_dword v6, v8, s[0:3], 0 offen offset:64
	;; [unrolled: 1-line block ×4, first 2 shown]
	s_cbranch_scc1 .LBB123_14
; %bb.16:                               ;   in Loop: Header=BB123_15 Depth=1
	ds_read2_b64 v[10:13], v5 offset0:10 offset1:11
	v_mov_b32_e32 v24, s11
	s_addk_i32 s10, 0x80
	s_mov_b64 s[6:7], 0
	s_waitcnt lgkmcnt(0)
	v_mul_f64 v[6:7], v[12:13], v[3:4]
	v_fma_f64 v[6:7], v[10:11], v[1:2], -v[6:7]
	v_mul_f64 v[10:11], v[10:11], v[3:4]
	v_fma_f64 v[10:11], v[12:13], v[1:2], v[10:11]
	buffer_load_dword v12, v24, s[0:3], 0 offen offset:80
	buffer_load_dword v13, v24, s[0:3], 0 offen offset:84
	;; [unrolled: 1-line block ×12, first 2 shown]
	s_waitcnt vmcnt(10)
	v_add_f64 v[6:7], v[12:13], -v[6:7]
	s_waitcnt vmcnt(8)
	v_add_f64 v[10:11], v[14:15], -v[10:11]
	buffer_store_dword v6, v24, s[0:3], 0 offen offset:80
	buffer_store_dword v7, v24, s[0:3], 0 offen offset:84
	;; [unrolled: 1-line block ×4, first 2 shown]
	ds_read2_b64 v[10:13], v5 offset0:12 offset1:13
	s_waitcnt lgkmcnt(0)
	v_mul_f64 v[6:7], v[12:13], v[3:4]
	v_fma_f64 v[6:7], v[10:11], v[1:2], -v[6:7]
	v_mul_f64 v[10:11], v[10:11], v[3:4]
	s_waitcnt vmcnt(10)
	v_add_f64 v[6:7], v[16:17], -v[6:7]
	v_fma_f64 v[10:11], v[12:13], v[1:2], v[10:11]
	s_waitcnt vmcnt(8)
	v_add_f64 v[10:11], v[18:19], -v[10:11]
	buffer_store_dword v6, v24, s[0:3], 0 offen offset:96
	buffer_store_dword v7, v24, s[0:3], 0 offen offset:100
	;; [unrolled: 1-line block ×4, first 2 shown]
	ds_read2_b64 v[5:8], v5 offset0:14 offset1:15
	s_waitcnt lgkmcnt(0)
	v_mul_f64 v[10:11], v[7:8], v[3:4]
	v_fma_f64 v[10:11], v[5:6], v[1:2], -v[10:11]
	v_mul_f64 v[5:6], v[5:6], v[3:4]
	v_fma_f64 v[5:6], v[7:8], v[1:2], v[5:6]
	s_waitcnt vmcnt(10)
	v_add_f64 v[7:8], v[20:21], -v[10:11]
	s_waitcnt vmcnt(8)
	v_add_f64 v[5:6], v[22:23], -v[5:6]
	buffer_store_dword v7, v24, s[0:3], 0 offen offset:112
	buffer_store_dword v8, v24, s[0:3], 0 offen offset:116
	;; [unrolled: 1-line block ×4, first 2 shown]
	s_branch .LBB123_14
.LBB123_17:
	s_or_b64 exec, exec, s[8:9]
	v_cmp_eq_u32_e32 vcc, 1, v0
	s_waitcnt vmcnt(0) lgkmcnt(0)
	s_barrier
	s_and_saveexec_b64 s[8:9], vcc
	s_cbranch_execz .LBB123_26
; %bb.18:
	v_mov_b32_e32 v4, s70
	buffer_load_dword v1, v4, s[0:3], 0 offen
	buffer_load_dword v2, v4, s[0:3], 0 offen offset:4
	buffer_load_dword v3, v4, s[0:3], 0 offen offset:8
	s_nop 0
	buffer_load_dword v4, v4, s[0:3], 0 offen offset:12
	s_mov_b32 s6, 32
	s_waitcnt vmcnt(0)
	ds_write2_b64 v125, v[1:2], v[3:4] offset1:1
.LBB123_19:                             ; =>This Inner Loop Header: Depth=1
	v_mov_b32_e32 v18, s6
	buffer_load_dword v1, v18, s[0:3], 0 offen
	buffer_load_dword v2, v18, s[0:3], 0 offen offset:4
	buffer_load_dword v3, v18, s[0:3], 0 offen offset:8
	;; [unrolled: 1-line block ×15, first 2 shown]
	v_add_u32_e32 v19, s6, v121
	s_addk_i32 s6, 0xf0
	s_cmpk_lg_i32 s6, 0x3e0
	s_waitcnt vmcnt(12)
	ds_write2_b64 v19, v[1:2], v[3:4] offset1:1
	s_waitcnt vmcnt(8)
	ds_write2_b64 v19, v[5:6], v[7:8] offset0:2 offset1:3
	s_waitcnt vmcnt(4)
	ds_write2_b64 v19, v[10:11], v[12:13] offset0:4 offset1:5
	s_waitcnt vmcnt(0)
	ds_write2_b64 v19, v[14:15], v[16:17] offset0:6 offset1:7
	buffer_load_dword v2, v18, s[0:3], 0 offen offset:76
	buffer_load_dword v1, v18, s[0:3], 0 offen offset:72
	buffer_load_dword v4, v18, s[0:3], 0 offen offset:68
	buffer_load_dword v3, v18, s[0:3], 0 offen offset:64
	s_waitcnt vmcnt(0)
	ds_write2_b64 v19, v[3:4], v[1:2] offset0:8 offset1:9
	buffer_load_dword v2, v18, s[0:3], 0 offen offset:92
	buffer_load_dword v1, v18, s[0:3], 0 offen offset:88
	buffer_load_dword v4, v18, s[0:3], 0 offen offset:84
	buffer_load_dword v3, v18, s[0:3], 0 offen offset:80
	s_waitcnt vmcnt(0)
	ds_write2_b64 v19, v[3:4], v[1:2] offset0:10 offset1:11
	;; [unrolled: 6-line block ×11, first 2 shown]
	s_cbranch_scc1 .LBB123_19
; %bb.20:
	ds_read2_b64 v[1:4], v125 offset1:1
	s_waitcnt lgkmcnt(0)
	v_cmp_neq_f64_e32 vcc, 0, v[1:2]
	v_cmp_neq_f64_e64 s[6:7], 0, v[3:4]
	s_or_b64 s[6:7], vcc, s[6:7]
	s_and_b64 exec, exec, s[6:7]
	s_cbranch_execz .LBB123_26
; %bb.21:
	v_cmp_ngt_f64_e64 s[6:7], |v[1:2]|, |v[3:4]|
                                        ; implicit-def: $vgpr5_vgpr6
	s_and_saveexec_b64 s[10:11], s[6:7]
	s_xor_b64 s[6:7], exec, s[10:11]
                                        ; implicit-def: $vgpr7_vgpr8
	s_cbranch_execz .LBB123_23
; %bb.22:
	v_div_scale_f64 v[5:6], s[10:11], v[3:4], v[3:4], v[1:2]
	v_rcp_f64_e32 v[7:8], v[5:6]
	v_fma_f64 v[10:11], -v[5:6], v[7:8], 1.0
	v_fma_f64 v[7:8], v[7:8], v[10:11], v[7:8]
	v_div_scale_f64 v[10:11], vcc, v[1:2], v[3:4], v[1:2]
	v_fma_f64 v[12:13], -v[5:6], v[7:8], 1.0
	v_fma_f64 v[7:8], v[7:8], v[12:13], v[7:8]
	v_mul_f64 v[12:13], v[10:11], v[7:8]
	v_fma_f64 v[5:6], -v[5:6], v[12:13], v[10:11]
	v_div_fmas_f64 v[5:6], v[5:6], v[7:8], v[12:13]
	v_div_fixup_f64 v[5:6], v[5:6], v[3:4], v[1:2]
	v_fma_f64 v[1:2], v[1:2], v[5:6], v[3:4]
	v_div_scale_f64 v[3:4], s[10:11], v[1:2], v[1:2], 1.0
	v_div_scale_f64 v[12:13], vcc, 1.0, v[1:2], 1.0
	v_rcp_f64_e32 v[7:8], v[3:4]
	v_fma_f64 v[10:11], -v[3:4], v[7:8], 1.0
	v_fma_f64 v[7:8], v[7:8], v[10:11], v[7:8]
	v_fma_f64 v[10:11], -v[3:4], v[7:8], 1.0
	v_fma_f64 v[7:8], v[7:8], v[10:11], v[7:8]
	v_mul_f64 v[10:11], v[12:13], v[7:8]
	v_fma_f64 v[3:4], -v[3:4], v[10:11], v[12:13]
	v_div_fmas_f64 v[3:4], v[3:4], v[7:8], v[10:11]
	v_div_fixup_f64 v[7:8], v[3:4], v[1:2], 1.0
                                        ; implicit-def: $vgpr1_vgpr2
	v_mul_f64 v[5:6], v[5:6], v[7:8]
	v_xor_b32_e32 v8, 0x80000000, v8
.LBB123_23:
	s_andn2_saveexec_b64 s[6:7], s[6:7]
	s_cbranch_execz .LBB123_25
; %bb.24:
	v_div_scale_f64 v[5:6], s[10:11], v[1:2], v[1:2], v[3:4]
	v_rcp_f64_e32 v[7:8], v[5:6]
	v_fma_f64 v[10:11], -v[5:6], v[7:8], 1.0
	v_fma_f64 v[7:8], v[7:8], v[10:11], v[7:8]
	v_div_scale_f64 v[10:11], vcc, v[3:4], v[1:2], v[3:4]
	v_fma_f64 v[12:13], -v[5:6], v[7:8], 1.0
	v_fma_f64 v[7:8], v[7:8], v[12:13], v[7:8]
	v_mul_f64 v[12:13], v[10:11], v[7:8]
	v_fma_f64 v[5:6], -v[5:6], v[12:13], v[10:11]
	v_div_fmas_f64 v[5:6], v[5:6], v[7:8], v[12:13]
	v_div_fixup_f64 v[7:8], v[5:6], v[1:2], v[3:4]
	v_fma_f64 v[1:2], v[3:4], v[7:8], v[1:2]
	v_div_scale_f64 v[3:4], s[10:11], v[1:2], v[1:2], 1.0
	v_div_scale_f64 v[12:13], vcc, 1.0, v[1:2], 1.0
	v_rcp_f64_e32 v[5:6], v[3:4]
	v_fma_f64 v[10:11], -v[3:4], v[5:6], 1.0
	v_fma_f64 v[5:6], v[5:6], v[10:11], v[5:6]
	v_fma_f64 v[10:11], -v[3:4], v[5:6], 1.0
	v_fma_f64 v[5:6], v[5:6], v[10:11], v[5:6]
	v_mul_f64 v[10:11], v[12:13], v[5:6]
	v_fma_f64 v[3:4], -v[3:4], v[10:11], v[12:13]
	v_div_fmas_f64 v[3:4], v[3:4], v[5:6], v[10:11]
	v_div_fixup_f64 v[5:6], v[3:4], v[1:2], 1.0
	v_mul_f64 v[7:8], v[7:8], -v[5:6]
.LBB123_25:
	s_or_b64 exec, exec, s[6:7]
	ds_write2_b64 v125, v[5:6], v[7:8] offset1:1
.LBB123_26:
	s_or_b64 exec, exec, s[8:9]
	s_waitcnt lgkmcnt(0)
	s_barrier
	ds_read2_b64 v[1:4], v125 offset1:1
	v_cmp_lt_u32_e32 vcc, 1, v0
	s_waitcnt lgkmcnt(0)
	buffer_store_dword v1, off, s[0:3], 0 offset:1488 ; 4-byte Folded Spill
	s_nop 0
	buffer_store_dword v2, off, s[0:3], 0 offset:1492 ; 4-byte Folded Spill
	buffer_store_dword v3, off, s[0:3], 0 offset:1496 ; 4-byte Folded Spill
	;; [unrolled: 1-line block ×3, first 2 shown]
	s_and_saveexec_b64 s[6:7], vcc
	s_cbranch_execz .LBB123_29
; %bb.27:
	buffer_load_dword v1, off, s[0:3], 0 offset:24
	buffer_load_dword v2, off, s[0:3], 0 offset:28
	;; [unrolled: 1-line block ×4, first 2 shown]
	buffer_load_dword v10, off, s[0:3], 0 offset:1488 ; 4-byte Folded Reload
	buffer_load_dword v11, off, s[0:3], 0 offset:1492 ; 4-byte Folded Reload
	;; [unrolled: 1-line block ×4, first 2 shown]
	s_mov_b32 s8, 32
	s_waitcnt vmcnt(2)
	v_mul_f64 v[7:8], v[10:11], v[1:2]
	s_waitcnt vmcnt(0)
	v_mul_f64 v[5:6], v[12:13], v[1:2]
	v_fma_f64 v[1:2], v[10:11], v[3:4], -v[5:6]
	v_fma_f64 v[3:4], v[12:13], v[3:4], v[7:8]
	buffer_store_dword v1, off, s[0:3], 0 offset:16
	buffer_store_dword v2, off, s[0:3], 0 offset:20
	;; [unrolled: 1-line block ×4, first 2 shown]
.LBB123_28:                             ; =>This Inner Loop Header: Depth=1
	v_add_u32_e32 v6, s8, v121
	ds_read2_b64 v[10:13], v6 offset1:1
	v_mov_b32_e32 v5, s8
	s_addk_i32 s8, 0x60
	s_cmpk_lg_i32 s8, 0x3e0
	s_waitcnt lgkmcnt(0)
	v_mul_f64 v[7:8], v[12:13], v[3:4]
	v_fma_f64 v[7:8], v[10:11], v[1:2], -v[7:8]
	v_mul_f64 v[10:11], v[10:11], v[3:4]
	v_fma_f64 v[10:11], v[12:13], v[1:2], v[10:11]
	buffer_load_dword v12, v5, s[0:3], 0 offen
	buffer_load_dword v13, v5, s[0:3], 0 offen offset:4
	buffer_load_dword v14, v5, s[0:3], 0 offen offset:8
	;; [unrolled: 1-line block ×15, first 2 shown]
	s_waitcnt vmcnt(14)
	v_add_f64 v[7:8], v[12:13], -v[7:8]
	s_waitcnt vmcnt(12)
	v_add_f64 v[10:11], v[14:15], -v[10:11]
	buffer_store_dword v7, v5, s[0:3], 0 offen
	buffer_store_dword v8, v5, s[0:3], 0 offen offset:4
	buffer_store_dword v10, v5, s[0:3], 0 offen offset:8
	buffer_store_dword v11, v5, s[0:3], 0 offen offset:12
	ds_read2_b64 v[10:13], v6 offset0:2 offset1:3
	s_waitcnt lgkmcnt(0)
	v_mul_f64 v[7:8], v[12:13], v[3:4]
	v_fma_f64 v[7:8], v[10:11], v[1:2], -v[7:8]
	v_mul_f64 v[10:11], v[10:11], v[3:4]
	s_waitcnt vmcnt(14)
	v_add_f64 v[7:8], v[16:17], -v[7:8]
	v_fma_f64 v[10:11], v[12:13], v[1:2], v[10:11]
	s_waitcnt vmcnt(12)
	v_add_f64 v[10:11], v[18:19], -v[10:11]
	buffer_store_dword v7, v5, s[0:3], 0 offen offset:16
	buffer_store_dword v8, v5, s[0:3], 0 offen offset:20
	buffer_store_dword v10, v5, s[0:3], 0 offen offset:24
	buffer_store_dword v11, v5, s[0:3], 0 offen offset:28
	ds_read2_b64 v[10:13], v6 offset0:4 offset1:5
	s_waitcnt lgkmcnt(0)
	v_mul_f64 v[7:8], v[12:13], v[3:4]
	v_fma_f64 v[7:8], v[10:11], v[1:2], -v[7:8]
	v_mul_f64 v[10:11], v[10:11], v[3:4]
	s_waitcnt vmcnt(14)
	v_add_f64 v[7:8], v[20:21], -v[7:8]
	v_fma_f64 v[10:11], v[12:13], v[1:2], v[10:11]
	s_waitcnt vmcnt(12)
	v_add_f64 v[10:11], v[22:23], -v[10:11]
	buffer_store_dword v7, v5, s[0:3], 0 offen offset:32
	;; [unrolled: 14-line block ×3, first 2 shown]
	buffer_store_dword v7, v5, s[0:3], 0 offen offset:48
	buffer_store_dword v10, v5, s[0:3], 0 offen offset:56
	buffer_store_dword v11, v5, s[0:3], 0 offen offset:60
	ds_read2_b64 v[10:13], v6 offset0:8 offset1:9
	s_waitcnt lgkmcnt(0)
	v_mul_f64 v[7:8], v[12:13], v[3:4]
	v_fma_f64 v[7:8], v[10:11], v[1:2], -v[7:8]
	v_mul_f64 v[10:11], v[10:11], v[3:4]
	v_fma_f64 v[10:11], v[12:13], v[1:2], v[10:11]
	buffer_load_dword v12, v5, s[0:3], 0 offen offset:64
	buffer_load_dword v13, v5, s[0:3], 0 offen offset:68
	;; [unrolled: 1-line block ×4, first 2 shown]
	s_waitcnt vmcnt(2)
	v_add_f64 v[7:8], v[12:13], -v[7:8]
	s_waitcnt vmcnt(0)
	v_add_f64 v[10:11], v[14:15], -v[10:11]
	buffer_store_dword v8, v5, s[0:3], 0 offen offset:68
	buffer_store_dword v7, v5, s[0:3], 0 offen offset:64
	buffer_store_dword v11, v5, s[0:3], 0 offen offset:76
	buffer_store_dword v10, v5, s[0:3], 0 offen offset:72
	ds_read2_b64 v[10:13], v6 offset0:10 offset1:11
	s_waitcnt lgkmcnt(0)
	v_mul_f64 v[6:7], v[12:13], v[3:4]
	v_fma_f64 v[6:7], v[10:11], v[1:2], -v[6:7]
	v_mul_f64 v[10:11], v[10:11], v[3:4]
	v_fma_f64 v[10:11], v[12:13], v[1:2], v[10:11]
	buffer_load_dword v12, v5, s[0:3], 0 offen offset:80
	buffer_load_dword v13, v5, s[0:3], 0 offen offset:84
	;; [unrolled: 1-line block ×4, first 2 shown]
	s_waitcnt vmcnt(2)
	v_add_f64 v[6:7], v[12:13], -v[6:7]
	s_waitcnt vmcnt(0)
	v_add_f64 v[10:11], v[14:15], -v[10:11]
	buffer_store_dword v7, v5, s[0:3], 0 offen offset:84
	buffer_store_dword v6, v5, s[0:3], 0 offen offset:80
	;; [unrolled: 1-line block ×4, first 2 shown]
	s_cbranch_scc1 .LBB123_28
.LBB123_29:
	s_or_b64 exec, exec, s[6:7]
	v_cmp_eq_u32_e32 vcc, 2, v0
	s_waitcnt vmcnt(0)
	s_barrier
	s_and_saveexec_b64 s[8:9], vcc
	s_cbranch_execz .LBB123_40
; %bb.30:
	v_mov_b32_e32 v4, s72
	buffer_load_dword v1, v4, s[0:3], 0 offen
	buffer_load_dword v2, v4, s[0:3], 0 offen offset:4
	buffer_load_dword v3, v4, s[0:3], 0 offen offset:8
	s_nop 0
	buffer_load_dword v4, v4, s[0:3], 0 offen offset:12
	s_mov_b32 s10, 48
	s_waitcnt vmcnt(0)
	ds_write2_b64 v125, v[1:2], v[3:4] offset1:1
	s_branch .LBB123_32
.LBB123_31:                             ;   in Loop: Header=BB123_32 Depth=1
	s_andn2_b64 vcc, exec, s[6:7]
	s_cbranch_vccz .LBB123_34
.LBB123_32:                             ; =>This Inner Loop Header: Depth=1
	v_mov_b32_e32 v1, s10
	buffer_load_dword v2, v1, s[0:3], 0 offen
	buffer_load_dword v3, v1, s[0:3], 0 offen offset:4
	buffer_load_dword v4, v1, s[0:3], 0 offen offset:8
	;; [unrolled: 1-line block ×11, first 2 shown]
	s_mov_b32 s11, s10
	v_add_u32_e32 v1, s10, v121
	s_cmpk_eq_i32 s10, 0x3b0
	s_mov_b64 s[6:7], -1
	s_waitcnt vmcnt(8)
	ds_write2_b64 v1, v[2:3], v[4:5] offset1:1
	s_waitcnt vmcnt(4)
	ds_write2_b64 v1, v[6:7], v[10:11] offset0:2 offset1:3
	s_waitcnt vmcnt(0)
	ds_write2_b64 v1, v[12:13], v[14:15] offset0:4 offset1:5
	s_cbranch_scc1 .LBB123_31
; %bb.33:                               ;   in Loop: Header=BB123_32 Depth=1
	v_mov_b32_e32 v8, s11
	buffer_load_dword v2, v8, s[0:3], 0 offen offset:48
	buffer_load_dword v3, v8, s[0:3], 0 offen offset:52
	;; [unrolled: 1-line block ×16, first 2 shown]
	s_addk_i32 s10, 0x80
	s_mov_b64 s[6:7], 0
	s_waitcnt vmcnt(12)
	ds_write2_b64 v1, v[2:3], v[4:5] offset0:6 offset1:7
	s_waitcnt vmcnt(8)
	ds_write2_b64 v1, v[6:7], v[10:11] offset0:8 offset1:9
	;; [unrolled: 2-line block ×4, first 2 shown]
	buffer_load_dword v3, v8, s[0:3], 0 offen offset:124
	buffer_load_dword v2, v8, s[0:3], 0 offen offset:120
	;; [unrolled: 1-line block ×4, first 2 shown]
	s_waitcnt vmcnt(0)
	ds_write2_b64 v1, v[4:5], v[2:3] offset0:14 offset1:15
	s_branch .LBB123_31
.LBB123_34:
	ds_read2_b64 v[1:4], v125 offset1:1
	s_waitcnt lgkmcnt(0)
	v_cmp_neq_f64_e32 vcc, 0, v[1:2]
	v_cmp_neq_f64_e64 s[6:7], 0, v[3:4]
	s_or_b64 s[6:7], vcc, s[6:7]
	s_and_b64 exec, exec, s[6:7]
	s_cbranch_execz .LBB123_40
; %bb.35:
	v_cmp_ngt_f64_e64 s[6:7], |v[1:2]|, |v[3:4]|
                                        ; implicit-def: $vgpr5_vgpr6
	s_and_saveexec_b64 s[10:11], s[6:7]
	s_xor_b64 s[6:7], exec, s[10:11]
                                        ; implicit-def: $vgpr7_vgpr8
	s_cbranch_execz .LBB123_37
; %bb.36:
	v_div_scale_f64 v[5:6], s[10:11], v[3:4], v[3:4], v[1:2]
	v_rcp_f64_e32 v[7:8], v[5:6]
	v_fma_f64 v[10:11], -v[5:6], v[7:8], 1.0
	v_fma_f64 v[7:8], v[7:8], v[10:11], v[7:8]
	v_div_scale_f64 v[10:11], vcc, v[1:2], v[3:4], v[1:2]
	v_fma_f64 v[12:13], -v[5:6], v[7:8], 1.0
	v_fma_f64 v[7:8], v[7:8], v[12:13], v[7:8]
	v_mul_f64 v[12:13], v[10:11], v[7:8]
	v_fma_f64 v[5:6], -v[5:6], v[12:13], v[10:11]
	v_div_fmas_f64 v[5:6], v[5:6], v[7:8], v[12:13]
	v_div_fixup_f64 v[5:6], v[5:6], v[3:4], v[1:2]
	v_fma_f64 v[1:2], v[1:2], v[5:6], v[3:4]
	v_div_scale_f64 v[3:4], s[10:11], v[1:2], v[1:2], 1.0
	v_div_scale_f64 v[12:13], vcc, 1.0, v[1:2], 1.0
	v_rcp_f64_e32 v[7:8], v[3:4]
	v_fma_f64 v[10:11], -v[3:4], v[7:8], 1.0
	v_fma_f64 v[7:8], v[7:8], v[10:11], v[7:8]
	v_fma_f64 v[10:11], -v[3:4], v[7:8], 1.0
	v_fma_f64 v[7:8], v[7:8], v[10:11], v[7:8]
	v_mul_f64 v[10:11], v[12:13], v[7:8]
	v_fma_f64 v[3:4], -v[3:4], v[10:11], v[12:13]
	v_div_fmas_f64 v[3:4], v[3:4], v[7:8], v[10:11]
	v_div_fixup_f64 v[7:8], v[3:4], v[1:2], 1.0
                                        ; implicit-def: $vgpr1_vgpr2
	v_mul_f64 v[5:6], v[5:6], v[7:8]
	v_xor_b32_e32 v8, 0x80000000, v8
.LBB123_37:
	s_andn2_saveexec_b64 s[6:7], s[6:7]
	s_cbranch_execz .LBB123_39
; %bb.38:
	v_div_scale_f64 v[5:6], s[10:11], v[1:2], v[1:2], v[3:4]
	v_rcp_f64_e32 v[7:8], v[5:6]
	v_fma_f64 v[10:11], -v[5:6], v[7:8], 1.0
	v_fma_f64 v[7:8], v[7:8], v[10:11], v[7:8]
	v_div_scale_f64 v[10:11], vcc, v[3:4], v[1:2], v[3:4]
	v_fma_f64 v[12:13], -v[5:6], v[7:8], 1.0
	v_fma_f64 v[7:8], v[7:8], v[12:13], v[7:8]
	v_mul_f64 v[12:13], v[10:11], v[7:8]
	v_fma_f64 v[5:6], -v[5:6], v[12:13], v[10:11]
	v_div_fmas_f64 v[5:6], v[5:6], v[7:8], v[12:13]
	v_div_fixup_f64 v[7:8], v[5:6], v[1:2], v[3:4]
	v_fma_f64 v[1:2], v[3:4], v[7:8], v[1:2]
	v_div_scale_f64 v[3:4], s[10:11], v[1:2], v[1:2], 1.0
	v_div_scale_f64 v[12:13], vcc, 1.0, v[1:2], 1.0
	v_rcp_f64_e32 v[5:6], v[3:4]
	v_fma_f64 v[10:11], -v[3:4], v[5:6], 1.0
	v_fma_f64 v[5:6], v[5:6], v[10:11], v[5:6]
	v_fma_f64 v[10:11], -v[3:4], v[5:6], 1.0
	v_fma_f64 v[5:6], v[5:6], v[10:11], v[5:6]
	v_mul_f64 v[10:11], v[12:13], v[5:6]
	v_fma_f64 v[3:4], -v[3:4], v[10:11], v[12:13]
	v_div_fmas_f64 v[3:4], v[3:4], v[5:6], v[10:11]
	v_div_fixup_f64 v[5:6], v[3:4], v[1:2], 1.0
	v_mul_f64 v[7:8], v[7:8], -v[5:6]
.LBB123_39:
	s_or_b64 exec, exec, s[6:7]
	ds_write2_b64 v125, v[5:6], v[7:8] offset1:1
.LBB123_40:
	s_or_b64 exec, exec, s[8:9]
	s_waitcnt lgkmcnt(0)
	s_barrier
	ds_read2_b64 v[22:25], v125 offset1:1
	v_cmp_lt_u32_e32 vcc, 2, v0
	s_and_saveexec_b64 s[6:7], vcc
	s_cbranch_execz .LBB123_45
; %bb.41:
	buffer_load_dword v1, off, s[0:3], 0 offset:40
	buffer_load_dword v2, off, s[0:3], 0 offset:44
	;; [unrolled: 1-line block ×4, first 2 shown]
	s_mov_b32 s10, 48
	s_waitcnt vmcnt(2) lgkmcnt(0)
	v_mul_f64 v[5:6], v[24:25], v[1:2]
	v_mul_f64 v[7:8], v[22:23], v[1:2]
	s_waitcnt vmcnt(0)
	v_fma_f64 v[1:2], v[22:23], v[3:4], -v[5:6]
	v_fma_f64 v[3:4], v[24:25], v[3:4], v[7:8]
	buffer_store_dword v1, off, s[0:3], 0 offset:32
	buffer_store_dword v2, off, s[0:3], 0 offset:36
	;; [unrolled: 1-line block ×4, first 2 shown]
	s_branch .LBB123_43
.LBB123_42:                             ;   in Loop: Header=BB123_43 Depth=1
	s_andn2_b64 vcc, exec, s[8:9]
	s_cbranch_vccz .LBB123_45
.LBB123_43:                             ; =>This Inner Loop Header: Depth=1
	v_add_u32_e32 v5, s10, v121
	ds_read2_b64 v[10:13], v5 offset1:1
	v_mov_b32_e32 v8, s10
	s_mov_b32 s11, s10
	s_mov_b64 s[8:9], -1
	s_cmpk_eq_i32 s10, 0x3b0
	s_waitcnt lgkmcnt(0)
	v_mul_f64 v[6:7], v[12:13], v[3:4]
	v_mul_f64 v[3:4], v[10:11], v[3:4]
	v_fma_f64 v[6:7], v[10:11], v[1:2], -v[6:7]
	v_fma_f64 v[1:2], v[12:13], v[1:2], v[3:4]
	buffer_load_dword v3, v8, s[0:3], 0 offen
	buffer_load_dword v4, v8, s[0:3], 0 offen offset:4
	buffer_load_dword v10, v8, s[0:3], 0 offen offset:8
	;; [unrolled: 1-line block ×11, first 2 shown]
	s_waitcnt vmcnt(10)
	v_add_f64 v[3:4], v[3:4], -v[6:7]
	s_waitcnt vmcnt(8)
	v_add_f64 v[1:2], v[10:11], -v[1:2]
	buffer_store_dword v4, v8, s[0:3], 0 offen offset:4
	buffer_store_dword v3, v8, s[0:3], 0 offen
	buffer_store_dword v2, v8, s[0:3], 0 offen offset:12
	buffer_store_dword v1, v8, s[0:3], 0 offen offset:8
	ds_read2_b64 v[10:13], v5 offset0:2 offset1:3
	buffer_load_dword v2, off, s[0:3], 0 offset:36
	buffer_load_dword v1, off, s[0:3], 0 offset:32
	;; [unrolled: 1-line block ×4, first 2 shown]
	s_waitcnt vmcnt(0) lgkmcnt(0)
	v_mul_f64 v[6:7], v[12:13], v[3:4]
	v_fma_f64 v[6:7], v[10:11], v[1:2], -v[6:7]
	v_mul_f64 v[10:11], v[10:11], v[3:4]
	v_add_f64 v[6:7], v[14:15], -v[6:7]
	v_fma_f64 v[10:11], v[12:13], v[1:2], v[10:11]
	v_add_f64 v[10:11], v[16:17], -v[10:11]
	buffer_store_dword v7, v8, s[0:3], 0 offen offset:20
	buffer_store_dword v6, v8, s[0:3], 0 offen offset:16
	;; [unrolled: 1-line block ×4, first 2 shown]
	ds_read2_b64 v[10:13], v5 offset0:4 offset1:5
	s_waitcnt lgkmcnt(0)
	v_mul_f64 v[6:7], v[12:13], v[3:4]
	v_fma_f64 v[6:7], v[10:11], v[1:2], -v[6:7]
	v_mul_f64 v[10:11], v[10:11], v[3:4]
	v_add_f64 v[6:7], v[18:19], -v[6:7]
	v_fma_f64 v[10:11], v[12:13], v[1:2], v[10:11]
	v_add_f64 v[10:11], v[20:21], -v[10:11]
	buffer_store_dword v7, v8, s[0:3], 0 offen offset:36
	buffer_store_dword v6, v8, s[0:3], 0 offen offset:32
	;; [unrolled: 1-line block ×4, first 2 shown]
	s_cbranch_scc1 .LBB123_42
; %bb.44:                               ;   in Loop: Header=BB123_43 Depth=1
	ds_read2_b64 v[5:8], v5 offset0:6 offset1:7
	v_mov_b32_e32 v14, s11
	s_add_i32 s10, s10, 64
	s_mov_b64 s[8:9], 0
	s_waitcnt lgkmcnt(0)
	v_mul_f64 v[10:11], v[7:8], v[3:4]
	v_fma_f64 v[10:11], v[5:6], v[1:2], -v[10:11]
	v_mul_f64 v[5:6], v[5:6], v[3:4]
	v_fma_f64 v[5:6], v[7:8], v[1:2], v[5:6]
	buffer_load_dword v7, v14, s[0:3], 0 offen offset:48
	buffer_load_dword v8, v14, s[0:3], 0 offen offset:52
	;; [unrolled: 1-line block ×4, first 2 shown]
	s_waitcnt vmcnt(2)
	v_add_f64 v[7:8], v[7:8], -v[10:11]
	s_waitcnt vmcnt(0)
	v_add_f64 v[5:6], v[12:13], -v[5:6]
	buffer_store_dword v7, v14, s[0:3], 0 offen offset:48
	buffer_store_dword v8, v14, s[0:3], 0 offen offset:52
	buffer_store_dword v5, v14, s[0:3], 0 offen offset:56
	buffer_store_dword v6, v14, s[0:3], 0 offen offset:60
	s_branch .LBB123_42
.LBB123_45:
	s_or_b64 exec, exec, s[6:7]
	v_cmp_eq_u32_e32 vcc, 3, v0
	s_waitcnt vmcnt(0) lgkmcnt(0)
	s_barrier
	s_and_saveexec_b64 s[8:9], vcc
	s_cbranch_execz .LBB123_54
; %bb.46:
	v_mov_b32_e32 v4, s94
	buffer_load_dword v1, v4, s[0:3], 0 offen
	buffer_load_dword v2, v4, s[0:3], 0 offen offset:4
	buffer_load_dword v3, v4, s[0:3], 0 offen offset:8
	s_nop 0
	buffer_load_dword v4, v4, s[0:3], 0 offen offset:12
	s_mov_b32 s6, 64
	s_waitcnt vmcnt(0)
	ds_write2_b64 v125, v[1:2], v[3:4] offset1:1
.LBB123_47:                             ; =>This Inner Loop Header: Depth=1
	v_mov_b32_e32 v8, s6
	buffer_load_dword v1, v8, s[0:3], 0 offen
	buffer_load_dword v2, v8, s[0:3], 0 offen offset:4
	buffer_load_dword v3, v8, s[0:3], 0 offen offset:8
	;; [unrolled: 1-line block ×6, first 2 shown]
	s_nop 0
	buffer_load_dword v8, v8, s[0:3], 0 offen offset:28
	v_add_u32_e32 v10, s6, v121
	s_add_i32 s6, s6, 32
	s_cmpk_lg_i32 s6, 0x3e0
	s_waitcnt vmcnt(4)
	ds_write2_b64 v10, v[1:2], v[3:4] offset1:1
	s_waitcnt vmcnt(0)
	ds_write2_b64 v10, v[5:6], v[7:8] offset0:2 offset1:3
	s_cbranch_scc1 .LBB123_47
; %bb.48:
	ds_read2_b64 v[1:4], v125 offset1:1
	s_waitcnt lgkmcnt(0)
	v_cmp_neq_f64_e32 vcc, 0, v[1:2]
	v_cmp_neq_f64_e64 s[6:7], 0, v[3:4]
	s_or_b64 s[6:7], vcc, s[6:7]
	s_and_b64 exec, exec, s[6:7]
	s_cbranch_execz .LBB123_54
; %bb.49:
	v_cmp_ngt_f64_e64 s[6:7], |v[1:2]|, |v[3:4]|
                                        ; implicit-def: $vgpr5_vgpr6
	s_and_saveexec_b64 s[10:11], s[6:7]
	s_xor_b64 s[6:7], exec, s[10:11]
                                        ; implicit-def: $vgpr7_vgpr8
	s_cbranch_execz .LBB123_51
; %bb.50:
	v_div_scale_f64 v[5:6], s[10:11], v[3:4], v[3:4], v[1:2]
	v_rcp_f64_e32 v[7:8], v[5:6]
	v_fma_f64 v[10:11], -v[5:6], v[7:8], 1.0
	v_fma_f64 v[7:8], v[7:8], v[10:11], v[7:8]
	v_div_scale_f64 v[10:11], vcc, v[1:2], v[3:4], v[1:2]
	v_fma_f64 v[12:13], -v[5:6], v[7:8], 1.0
	v_fma_f64 v[7:8], v[7:8], v[12:13], v[7:8]
	v_mul_f64 v[12:13], v[10:11], v[7:8]
	v_fma_f64 v[5:6], -v[5:6], v[12:13], v[10:11]
	v_div_fmas_f64 v[5:6], v[5:6], v[7:8], v[12:13]
	v_div_fixup_f64 v[5:6], v[5:6], v[3:4], v[1:2]
	v_fma_f64 v[1:2], v[1:2], v[5:6], v[3:4]
	v_div_scale_f64 v[3:4], s[10:11], v[1:2], v[1:2], 1.0
	v_div_scale_f64 v[12:13], vcc, 1.0, v[1:2], 1.0
	v_rcp_f64_e32 v[7:8], v[3:4]
	v_fma_f64 v[10:11], -v[3:4], v[7:8], 1.0
	v_fma_f64 v[7:8], v[7:8], v[10:11], v[7:8]
	v_fma_f64 v[10:11], -v[3:4], v[7:8], 1.0
	v_fma_f64 v[7:8], v[7:8], v[10:11], v[7:8]
	v_mul_f64 v[10:11], v[12:13], v[7:8]
	v_fma_f64 v[3:4], -v[3:4], v[10:11], v[12:13]
	v_div_fmas_f64 v[3:4], v[3:4], v[7:8], v[10:11]
	v_div_fixup_f64 v[7:8], v[3:4], v[1:2], 1.0
                                        ; implicit-def: $vgpr1_vgpr2
	v_mul_f64 v[5:6], v[5:6], v[7:8]
	v_xor_b32_e32 v8, 0x80000000, v8
.LBB123_51:
	s_andn2_saveexec_b64 s[6:7], s[6:7]
	s_cbranch_execz .LBB123_53
; %bb.52:
	v_div_scale_f64 v[5:6], s[10:11], v[1:2], v[1:2], v[3:4]
	v_rcp_f64_e32 v[7:8], v[5:6]
	v_fma_f64 v[10:11], -v[5:6], v[7:8], 1.0
	v_fma_f64 v[7:8], v[7:8], v[10:11], v[7:8]
	v_div_scale_f64 v[10:11], vcc, v[3:4], v[1:2], v[3:4]
	v_fma_f64 v[12:13], -v[5:6], v[7:8], 1.0
	v_fma_f64 v[7:8], v[7:8], v[12:13], v[7:8]
	v_mul_f64 v[12:13], v[10:11], v[7:8]
	v_fma_f64 v[5:6], -v[5:6], v[12:13], v[10:11]
	v_div_fmas_f64 v[5:6], v[5:6], v[7:8], v[12:13]
	v_div_fixup_f64 v[7:8], v[5:6], v[1:2], v[3:4]
	v_fma_f64 v[1:2], v[3:4], v[7:8], v[1:2]
	v_div_scale_f64 v[3:4], s[10:11], v[1:2], v[1:2], 1.0
	v_div_scale_f64 v[12:13], vcc, 1.0, v[1:2], 1.0
	v_rcp_f64_e32 v[5:6], v[3:4]
	v_fma_f64 v[10:11], -v[3:4], v[5:6], 1.0
	v_fma_f64 v[5:6], v[5:6], v[10:11], v[5:6]
	v_fma_f64 v[10:11], -v[3:4], v[5:6], 1.0
	v_fma_f64 v[5:6], v[5:6], v[10:11], v[5:6]
	v_mul_f64 v[10:11], v[12:13], v[5:6]
	v_fma_f64 v[3:4], -v[3:4], v[10:11], v[12:13]
	v_div_fmas_f64 v[3:4], v[3:4], v[5:6], v[10:11]
	v_div_fixup_f64 v[5:6], v[3:4], v[1:2], 1.0
	v_mul_f64 v[7:8], v[7:8], -v[5:6]
.LBB123_53:
	s_or_b64 exec, exec, s[6:7]
	ds_write2_b64 v125, v[5:6], v[7:8] offset1:1
.LBB123_54:
	s_or_b64 exec, exec, s[8:9]
	s_waitcnt lgkmcnt(0)
	s_barrier
	ds_read2_b64 v[17:20], v125 offset1:1
	v_cmp_lt_u32_e32 vcc, 3, v0
	s_and_saveexec_b64 s[6:7], vcc
	s_cbranch_execz .LBB123_57
; %bb.55:
	buffer_load_dword v1, off, s[0:3], 0 offset:56
	buffer_load_dword v2, off, s[0:3], 0 offset:60
	;; [unrolled: 1-line block ×4, first 2 shown]
	s_mov_b32 s8, 64
	s_waitcnt vmcnt(2) lgkmcnt(0)
	v_mul_f64 v[5:6], v[19:20], v[1:2]
	v_mul_f64 v[1:2], v[17:18], v[1:2]
	s_waitcnt vmcnt(0)
	v_fma_f64 v[5:6], v[17:18], v[3:4], -v[5:6]
	v_fma_f64 v[1:2], v[19:20], v[3:4], v[1:2]
	buffer_store_dword v5, off, s[0:3], 0 offset:48
	buffer_store_dword v6, off, s[0:3], 0 offset:52
	buffer_store_dword v1, off, s[0:3], 0 offset:56
	buffer_store_dword v2, off, s[0:3], 0 offset:60
.LBB123_56:                             ; =>This Inner Loop Header: Depth=1
	v_add_u32_e32 v14, s8, v121
	ds_read2_b64 v[1:4], v14 offset1:1
	buffer_load_dword v5, off, s[0:3], 0 offset:48
	buffer_load_dword v6, off, s[0:3], 0 offset:52
	;; [unrolled: 1-line block ×4, first 2 shown]
	v_mov_b32_e32 v16, s8
	s_add_i32 s8, s8, 32
	s_cmpk_lg_i32 s8, 0x3e0
	s_waitcnt vmcnt(0) lgkmcnt(0)
	v_mul_f64 v[10:11], v[3:4], v[7:8]
	v_fma_f64 v[10:11], v[1:2], v[5:6], -v[10:11]
	v_mul_f64 v[1:2], v[1:2], v[7:8]
	v_fma_f64 v[1:2], v[3:4], v[5:6], v[1:2]
	buffer_load_dword v3, v16, s[0:3], 0 offen
	buffer_load_dword v4, v16, s[0:3], 0 offen offset:4
	buffer_load_dword v5, v16, s[0:3], 0 offen offset:8
	;; [unrolled: 1-line block ×7, first 2 shown]
	s_waitcnt vmcnt(6)
	v_add_f64 v[3:4], v[3:4], -v[10:11]
	s_waitcnt vmcnt(4)
	v_add_f64 v[1:2], v[5:6], -v[1:2]
	buffer_store_dword v4, v16, s[0:3], 0 offen offset:4
	buffer_store_dword v3, v16, s[0:3], 0 offen
	buffer_store_dword v2, v16, s[0:3], 0 offen offset:12
	buffer_store_dword v1, v16, s[0:3], 0 offen offset:8
	ds_read2_b64 v[1:4], v14 offset0:2 offset1:3
	buffer_load_dword v6, off, s[0:3], 0 offset:52
	buffer_load_dword v5, off, s[0:3], 0 offset:48
	;; [unrolled: 1-line block ×4, first 2 shown]
	s_waitcnt vmcnt(0) lgkmcnt(0)
	v_mul_f64 v[14:15], v[3:4], v[10:11]
	v_fma_f64 v[14:15], v[1:2], v[5:6], -v[14:15]
	v_mul_f64 v[1:2], v[1:2], v[10:11]
	v_fma_f64 v[1:2], v[3:4], v[5:6], v[1:2]
	v_add_f64 v[3:4], v[7:8], -v[14:15]
	v_add_f64 v[1:2], v[12:13], -v[1:2]
	buffer_store_dword v4, v16, s[0:3], 0 offen offset:20
	buffer_store_dword v3, v16, s[0:3], 0 offen offset:16
	;; [unrolled: 1-line block ×4, first 2 shown]
	s_cbranch_scc1 .LBB123_56
.LBB123_57:
	s_or_b64 exec, exec, s[6:7]
	v_cmp_eq_u32_e32 vcc, 4, v0
	s_waitcnt vmcnt(0) lgkmcnt(0)
	s_barrier
	s_and_saveexec_b64 s[8:9], vcc
	s_cbranch_execz .LBB123_66
; %bb.58:
	v_mov_b32_e32 v4, s93
	buffer_load_dword v1, v4, s[0:3], 0 offen
	buffer_load_dword v2, v4, s[0:3], 0 offen offset:4
	buffer_load_dword v3, v4, s[0:3], 0 offen offset:8
	s_nop 0
	buffer_load_dword v4, v4, s[0:3], 0 offen offset:12
	s_movk_i32 s6, 0x50
	s_waitcnt vmcnt(0)
	ds_write2_b64 v125, v[1:2], v[3:4] offset1:1
.LBB123_59:                             ; =>This Inner Loop Header: Depth=1
	v_mov_b32_e32 v13, s6
	buffer_load_dword v1, v13, s[0:3], 0 offen
	buffer_load_dword v2, v13, s[0:3], 0 offen offset:4
	buffer_load_dword v3, v13, s[0:3], 0 offen offset:8
	;; [unrolled: 1-line block ×10, first 2 shown]
	s_nop 0
	buffer_load_dword v13, v13, s[0:3], 0 offen offset:44
	v_add_u32_e32 v14, s6, v121
	s_add_i32 s6, s6, 48
	s_cmpk_lg_i32 s6, 0x3e0
	s_waitcnt vmcnt(8)
	ds_write2_b64 v14, v[1:2], v[3:4] offset1:1
	s_waitcnt vmcnt(4)
	ds_write2_b64 v14, v[5:6], v[7:8] offset0:2 offset1:3
	s_waitcnt vmcnt(0)
	ds_write2_b64 v14, v[10:11], v[12:13] offset0:4 offset1:5
	s_cbranch_scc1 .LBB123_59
; %bb.60:
	ds_read2_b64 v[1:4], v125 offset1:1
	s_waitcnt lgkmcnt(0)
	v_cmp_neq_f64_e32 vcc, 0, v[1:2]
	v_cmp_neq_f64_e64 s[6:7], 0, v[3:4]
	s_or_b64 s[6:7], vcc, s[6:7]
	s_and_b64 exec, exec, s[6:7]
	s_cbranch_execz .LBB123_66
; %bb.61:
	v_cmp_ngt_f64_e64 s[6:7], |v[1:2]|, |v[3:4]|
                                        ; implicit-def: $vgpr5_vgpr6
	s_and_saveexec_b64 s[10:11], s[6:7]
	s_xor_b64 s[6:7], exec, s[10:11]
                                        ; implicit-def: $vgpr7_vgpr8
	s_cbranch_execz .LBB123_63
; %bb.62:
	v_div_scale_f64 v[5:6], s[10:11], v[3:4], v[3:4], v[1:2]
	v_rcp_f64_e32 v[7:8], v[5:6]
	v_fma_f64 v[10:11], -v[5:6], v[7:8], 1.0
	v_fma_f64 v[7:8], v[7:8], v[10:11], v[7:8]
	v_div_scale_f64 v[10:11], vcc, v[1:2], v[3:4], v[1:2]
	v_fma_f64 v[12:13], -v[5:6], v[7:8], 1.0
	v_fma_f64 v[7:8], v[7:8], v[12:13], v[7:8]
	v_mul_f64 v[12:13], v[10:11], v[7:8]
	v_fma_f64 v[5:6], -v[5:6], v[12:13], v[10:11]
	v_div_fmas_f64 v[5:6], v[5:6], v[7:8], v[12:13]
	v_div_fixup_f64 v[5:6], v[5:6], v[3:4], v[1:2]
	v_fma_f64 v[1:2], v[1:2], v[5:6], v[3:4]
	v_div_scale_f64 v[3:4], s[10:11], v[1:2], v[1:2], 1.0
	v_div_scale_f64 v[12:13], vcc, 1.0, v[1:2], 1.0
	v_rcp_f64_e32 v[7:8], v[3:4]
	v_fma_f64 v[10:11], -v[3:4], v[7:8], 1.0
	v_fma_f64 v[7:8], v[7:8], v[10:11], v[7:8]
	v_fma_f64 v[10:11], -v[3:4], v[7:8], 1.0
	v_fma_f64 v[7:8], v[7:8], v[10:11], v[7:8]
	v_mul_f64 v[10:11], v[12:13], v[7:8]
	v_fma_f64 v[3:4], -v[3:4], v[10:11], v[12:13]
	v_div_fmas_f64 v[3:4], v[3:4], v[7:8], v[10:11]
	v_div_fixup_f64 v[7:8], v[3:4], v[1:2], 1.0
                                        ; implicit-def: $vgpr1_vgpr2
	v_mul_f64 v[5:6], v[5:6], v[7:8]
	v_xor_b32_e32 v8, 0x80000000, v8
.LBB123_63:
	s_andn2_saveexec_b64 s[6:7], s[6:7]
	s_cbranch_execz .LBB123_65
; %bb.64:
	v_div_scale_f64 v[5:6], s[10:11], v[1:2], v[1:2], v[3:4]
	v_rcp_f64_e32 v[7:8], v[5:6]
	v_fma_f64 v[10:11], -v[5:6], v[7:8], 1.0
	v_fma_f64 v[7:8], v[7:8], v[10:11], v[7:8]
	v_div_scale_f64 v[10:11], vcc, v[3:4], v[1:2], v[3:4]
	v_fma_f64 v[12:13], -v[5:6], v[7:8], 1.0
	v_fma_f64 v[7:8], v[7:8], v[12:13], v[7:8]
	v_mul_f64 v[12:13], v[10:11], v[7:8]
	v_fma_f64 v[5:6], -v[5:6], v[12:13], v[10:11]
	v_div_fmas_f64 v[5:6], v[5:6], v[7:8], v[12:13]
	v_div_fixup_f64 v[7:8], v[5:6], v[1:2], v[3:4]
	v_fma_f64 v[1:2], v[3:4], v[7:8], v[1:2]
	v_div_scale_f64 v[3:4], s[10:11], v[1:2], v[1:2], 1.0
	v_div_scale_f64 v[12:13], vcc, 1.0, v[1:2], 1.0
	v_rcp_f64_e32 v[5:6], v[3:4]
	v_fma_f64 v[10:11], -v[3:4], v[5:6], 1.0
	v_fma_f64 v[5:6], v[5:6], v[10:11], v[5:6]
	v_fma_f64 v[10:11], -v[3:4], v[5:6], 1.0
	v_fma_f64 v[5:6], v[5:6], v[10:11], v[5:6]
	v_mul_f64 v[10:11], v[12:13], v[5:6]
	v_fma_f64 v[3:4], -v[3:4], v[10:11], v[12:13]
	v_div_fmas_f64 v[3:4], v[3:4], v[5:6], v[10:11]
	v_div_fixup_f64 v[5:6], v[3:4], v[1:2], 1.0
	v_mul_f64 v[7:8], v[7:8], -v[5:6]
.LBB123_65:
	s_or_b64 exec, exec, s[6:7]
	ds_write2_b64 v125, v[5:6], v[7:8] offset1:1
.LBB123_66:
	s_or_b64 exec, exec, s[8:9]
	buffer_store_dword v17, off, s[0:3], 0 offset:1976 ; 4-byte Folded Spill
	s_nop 0
	buffer_store_dword v18, off, s[0:3], 0 offset:1980 ; 4-byte Folded Spill
	buffer_store_dword v19, off, s[0:3], 0 offset:1984 ; 4-byte Folded Spill
	;; [unrolled: 1-line block ×3, first 2 shown]
	s_waitcnt vmcnt(0) lgkmcnt(0)
	s_barrier
	ds_read2_b64 v[1:4], v125 offset1:1
	v_cmp_lt_u32_e32 vcc, 4, v0
	s_waitcnt lgkmcnt(0)
	buffer_store_dword v1, off, s[0:3], 0 offset:1504 ; 4-byte Folded Spill
	s_nop 0
	buffer_store_dword v2, off, s[0:3], 0 offset:1508 ; 4-byte Folded Spill
	buffer_store_dword v3, off, s[0:3], 0 offset:1512 ; 4-byte Folded Spill
	;; [unrolled: 1-line block ×3, first 2 shown]
	s_and_saveexec_b64 s[6:7], vcc
	s_cbranch_execz .LBB123_69
; %bb.67:
	buffer_load_dword v1, off, s[0:3], 0 offset:72
	buffer_load_dword v2, off, s[0:3], 0 offset:76
	;; [unrolled: 1-line block ×4, first 2 shown]
	buffer_load_dword v10, off, s[0:3], 0 offset:1504 ; 4-byte Folded Reload
	buffer_load_dword v11, off, s[0:3], 0 offset:1508 ; 4-byte Folded Reload
	;; [unrolled: 1-line block ×4, first 2 shown]
	s_movk_i32 s8, 0x50
	s_waitcnt vmcnt(0)
	v_mul_f64 v[5:6], v[12:13], v[1:2]
	v_mul_f64 v[1:2], v[10:11], v[1:2]
	v_fma_f64 v[5:6], v[10:11], v[3:4], -v[5:6]
	v_fma_f64 v[1:2], v[12:13], v[3:4], v[1:2]
	buffer_store_dword v5, off, s[0:3], 0 offset:64
	buffer_store_dword v6, off, s[0:3], 0 offset:68
	buffer_store_dword v1, off, s[0:3], 0 offset:72
	buffer_store_dword v2, off, s[0:3], 0 offset:76
.LBB123_68:                             ; =>This Inner Loop Header: Depth=1
	buffer_load_dword v5, off, s[0:3], 0 offset:72
	s_nop 0
	buffer_load_dword v6, off, s[0:3], 0 offset:76
	buffer_load_dword v7, off, s[0:3], 0 offset:64
	;; [unrolled: 1-line block ×3, first 2 shown]
	v_mov_b32_e32 v17, s8
	buffer_load_dword v10, v17, s[0:3], 0 offen
	buffer_load_dword v11, v17, s[0:3], 0 offen offset:4
	buffer_load_dword v12, v17, s[0:3], 0 offen offset:8
	;; [unrolled: 1-line block ×3, first 2 shown]
	v_add_u32_e32 v18, s8, v121
	ds_read2_b64 v[1:4], v18 offset1:1
	buffer_load_dword v14, v17, s[0:3], 0 offen offset:16
	s_add_i32 s8, s8, 48
	s_cmpk_lg_i32 s8, 0x3e0
	s_waitcnt vmcnt(7) lgkmcnt(0)
	v_mul_f64 v[15:16], v[3:4], v[5:6]
	v_mul_f64 v[5:6], v[1:2], v[5:6]
	s_waitcnt vmcnt(5)
	v_fma_f64 v[1:2], v[1:2], v[7:8], -v[15:16]
	v_fma_f64 v[3:4], v[3:4], v[7:8], v[5:6]
	s_waitcnt vmcnt(3)
	v_add_f64 v[1:2], v[10:11], -v[1:2]
	s_waitcnt vmcnt(1)
	v_add_f64 v[3:4], v[12:13], -v[3:4]
	buffer_store_dword v2, v17, s[0:3], 0 offen offset:4
	buffer_store_dword v1, v17, s[0:3], 0 offen
	buffer_store_dword v4, v17, s[0:3], 0 offen offset:12
	buffer_store_dword v3, v17, s[0:3], 0 offen offset:8
	buffer_load_dword v6, off, s[0:3], 0 offset:76
	buffer_load_dword v5, off, s[0:3], 0 offset:72
	;; [unrolled: 1-line block ×4, first 2 shown]
	buffer_load_dword v15, v17, s[0:3], 0 offen offset:20
	buffer_load_dword v10, v17, s[0:3], 0 offen offset:24
	;; [unrolled: 1-line block ×3, first 2 shown]
	ds_read2_b64 v[1:4], v18 offset0:2 offset1:3
	s_waitcnt vmcnt(5) lgkmcnt(0)
	v_mul_f64 v[12:13], v[3:4], v[5:6]
	v_mul_f64 v[5:6], v[1:2], v[5:6]
	s_waitcnt vmcnt(3)
	v_fma_f64 v[1:2], v[1:2], v[7:8], -v[12:13]
	v_fma_f64 v[3:4], v[3:4], v[7:8], v[5:6]
	s_waitcnt vmcnt(2)
	v_add_f64 v[1:2], v[14:15], -v[1:2]
	s_waitcnt vmcnt(0)
	v_add_f64 v[3:4], v[10:11], -v[3:4]
	buffer_store_dword v2, v17, s[0:3], 0 offen offset:20
	buffer_store_dword v1, v17, s[0:3], 0 offen offset:16
	;; [unrolled: 1-line block ×4, first 2 shown]
	buffer_load_dword v5, off, s[0:3], 0 offset:72
	buffer_load_dword v6, off, s[0:3], 0 offset:76
	;; [unrolled: 1-line block ×4, first 2 shown]
	buffer_load_dword v10, v17, s[0:3], 0 offen offset:32
	buffer_load_dword v11, v17, s[0:3], 0 offen offset:36
	;; [unrolled: 1-line block ×4, first 2 shown]
	ds_read2_b64 v[1:4], v18 offset0:4 offset1:5
	s_waitcnt vmcnt(6) lgkmcnt(0)
	v_mul_f64 v[14:15], v[3:4], v[5:6]
	v_mul_f64 v[5:6], v[1:2], v[5:6]
	s_waitcnt vmcnt(4)
	v_fma_f64 v[1:2], v[1:2], v[7:8], -v[14:15]
	v_fma_f64 v[3:4], v[3:4], v[7:8], v[5:6]
	s_waitcnt vmcnt(2)
	v_add_f64 v[1:2], v[10:11], -v[1:2]
	s_waitcnt vmcnt(0)
	v_add_f64 v[3:4], v[12:13], -v[3:4]
	buffer_store_dword v2, v17, s[0:3], 0 offen offset:36
	buffer_store_dword v1, v17, s[0:3], 0 offen offset:32
	;; [unrolled: 1-line block ×4, first 2 shown]
	s_cbranch_scc1 .LBB123_68
.LBB123_69:
	s_or_b64 exec, exec, s[6:7]
	v_cmp_eq_u32_e32 vcc, 5, v0
	s_waitcnt vmcnt(0)
	s_barrier
	s_and_saveexec_b64 s[8:9], vcc
	s_cbranch_execz .LBB123_78
; %bb.70:
	v_mov_b32_e32 v4, s78
	buffer_load_dword v1, v4, s[0:3], 0 offen
	buffer_load_dword v2, v4, s[0:3], 0 offen offset:4
	buffer_load_dword v3, v4, s[0:3], 0 offen offset:8
	s_nop 0
	buffer_load_dword v4, v4, s[0:3], 0 offen offset:12
	s_movk_i32 s6, 0x60
	s_waitcnt vmcnt(0)
	ds_write2_b64 v125, v[1:2], v[3:4] offset1:1
.LBB123_71:                             ; =>This Inner Loop Header: Depth=1
	v_mov_b32_e32 v18, s6
	buffer_load_dword v1, v18, s[0:3], 0 offen
	buffer_load_dword v2, v18, s[0:3], 0 offen offset:4
	buffer_load_dword v3, v18, s[0:3], 0 offen offset:8
	;; [unrolled: 1-line block ×15, first 2 shown]
	v_add_u32_e32 v19, s6, v121
	s_addk_i32 s6, 0xe0
	s_cmpk_lg_i32 s6, 0x3e0
	s_waitcnt vmcnt(12)
	ds_write2_b64 v19, v[1:2], v[3:4] offset1:1
	s_waitcnt vmcnt(8)
	ds_write2_b64 v19, v[5:6], v[7:8] offset0:2 offset1:3
	s_waitcnt vmcnt(4)
	ds_write2_b64 v19, v[10:11], v[12:13] offset0:4 offset1:5
	;; [unrolled: 2-line block ×3, first 2 shown]
	buffer_load_dword v2, v18, s[0:3], 0 offen offset:76
	buffer_load_dword v1, v18, s[0:3], 0 offen offset:72
	buffer_load_dword v4, v18, s[0:3], 0 offen offset:68
	buffer_load_dword v3, v18, s[0:3], 0 offen offset:64
	s_waitcnt vmcnt(0)
	ds_write2_b64 v19, v[3:4], v[1:2] offset0:8 offset1:9
	buffer_load_dword v2, v18, s[0:3], 0 offen offset:92
	buffer_load_dword v1, v18, s[0:3], 0 offen offset:88
	buffer_load_dword v4, v18, s[0:3], 0 offen offset:84
	buffer_load_dword v3, v18, s[0:3], 0 offen offset:80
	s_waitcnt vmcnt(0)
	ds_write2_b64 v19, v[3:4], v[1:2] offset0:10 offset1:11
	;; [unrolled: 6-line block ×10, first 2 shown]
	s_cbranch_scc1 .LBB123_71
; %bb.72:
	ds_read2_b64 v[1:4], v125 offset1:1
	s_waitcnt lgkmcnt(0)
	v_cmp_neq_f64_e32 vcc, 0, v[1:2]
	v_cmp_neq_f64_e64 s[6:7], 0, v[3:4]
	s_or_b64 s[6:7], vcc, s[6:7]
	s_and_b64 exec, exec, s[6:7]
	s_cbranch_execz .LBB123_78
; %bb.73:
	v_cmp_ngt_f64_e64 s[6:7], |v[1:2]|, |v[3:4]|
                                        ; implicit-def: $vgpr5_vgpr6
	s_and_saveexec_b64 s[10:11], s[6:7]
	s_xor_b64 s[6:7], exec, s[10:11]
                                        ; implicit-def: $vgpr7_vgpr8
	s_cbranch_execz .LBB123_75
; %bb.74:
	v_div_scale_f64 v[5:6], s[10:11], v[3:4], v[3:4], v[1:2]
	v_rcp_f64_e32 v[7:8], v[5:6]
	v_fma_f64 v[10:11], -v[5:6], v[7:8], 1.0
	v_fma_f64 v[7:8], v[7:8], v[10:11], v[7:8]
	v_div_scale_f64 v[10:11], vcc, v[1:2], v[3:4], v[1:2]
	v_fma_f64 v[12:13], -v[5:6], v[7:8], 1.0
	v_fma_f64 v[7:8], v[7:8], v[12:13], v[7:8]
	v_mul_f64 v[12:13], v[10:11], v[7:8]
	v_fma_f64 v[5:6], -v[5:6], v[12:13], v[10:11]
	v_div_fmas_f64 v[5:6], v[5:6], v[7:8], v[12:13]
	v_div_fixup_f64 v[5:6], v[5:6], v[3:4], v[1:2]
	v_fma_f64 v[1:2], v[1:2], v[5:6], v[3:4]
	v_div_scale_f64 v[3:4], s[10:11], v[1:2], v[1:2], 1.0
	v_div_scale_f64 v[12:13], vcc, 1.0, v[1:2], 1.0
	v_rcp_f64_e32 v[7:8], v[3:4]
	v_fma_f64 v[10:11], -v[3:4], v[7:8], 1.0
	v_fma_f64 v[7:8], v[7:8], v[10:11], v[7:8]
	v_fma_f64 v[10:11], -v[3:4], v[7:8], 1.0
	v_fma_f64 v[7:8], v[7:8], v[10:11], v[7:8]
	v_mul_f64 v[10:11], v[12:13], v[7:8]
	v_fma_f64 v[3:4], -v[3:4], v[10:11], v[12:13]
	v_div_fmas_f64 v[3:4], v[3:4], v[7:8], v[10:11]
	v_div_fixup_f64 v[7:8], v[3:4], v[1:2], 1.0
                                        ; implicit-def: $vgpr1_vgpr2
	v_mul_f64 v[5:6], v[5:6], v[7:8]
	v_xor_b32_e32 v8, 0x80000000, v8
.LBB123_75:
	s_andn2_saveexec_b64 s[6:7], s[6:7]
	s_cbranch_execz .LBB123_77
; %bb.76:
	v_div_scale_f64 v[5:6], s[10:11], v[1:2], v[1:2], v[3:4]
	v_rcp_f64_e32 v[7:8], v[5:6]
	v_fma_f64 v[10:11], -v[5:6], v[7:8], 1.0
	v_fma_f64 v[7:8], v[7:8], v[10:11], v[7:8]
	v_div_scale_f64 v[10:11], vcc, v[3:4], v[1:2], v[3:4]
	v_fma_f64 v[12:13], -v[5:6], v[7:8], 1.0
	v_fma_f64 v[7:8], v[7:8], v[12:13], v[7:8]
	v_mul_f64 v[12:13], v[10:11], v[7:8]
	v_fma_f64 v[5:6], -v[5:6], v[12:13], v[10:11]
	v_div_fmas_f64 v[5:6], v[5:6], v[7:8], v[12:13]
	v_div_fixup_f64 v[7:8], v[5:6], v[1:2], v[3:4]
	v_fma_f64 v[1:2], v[3:4], v[7:8], v[1:2]
	v_div_scale_f64 v[3:4], s[10:11], v[1:2], v[1:2], 1.0
	v_div_scale_f64 v[12:13], vcc, 1.0, v[1:2], 1.0
	v_rcp_f64_e32 v[5:6], v[3:4]
	v_fma_f64 v[10:11], -v[3:4], v[5:6], 1.0
	v_fma_f64 v[5:6], v[5:6], v[10:11], v[5:6]
	v_fma_f64 v[10:11], -v[3:4], v[5:6], 1.0
	v_fma_f64 v[5:6], v[5:6], v[10:11], v[5:6]
	v_mul_f64 v[10:11], v[12:13], v[5:6]
	v_fma_f64 v[3:4], -v[3:4], v[10:11], v[12:13]
	v_div_fmas_f64 v[3:4], v[3:4], v[5:6], v[10:11]
	v_div_fixup_f64 v[5:6], v[3:4], v[1:2], 1.0
	v_mul_f64 v[7:8], v[7:8], -v[5:6]
.LBB123_77:
	s_or_b64 exec, exec, s[6:7]
	ds_write2_b64 v125, v[5:6], v[7:8] offset1:1
.LBB123_78:
	s_or_b64 exec, exec, s[8:9]
	s_waitcnt lgkmcnt(0)
	s_barrier
	ds_read2_b64 v[1:4], v125 offset1:1
	v_cmp_lt_u32_e32 vcc, 5, v0
	s_waitcnt lgkmcnt(0)
	buffer_store_dword v1, off, s[0:3], 0 offset:1520 ; 4-byte Folded Spill
	s_nop 0
	buffer_store_dword v2, off, s[0:3], 0 offset:1524 ; 4-byte Folded Spill
	buffer_store_dword v3, off, s[0:3], 0 offset:1528 ; 4-byte Folded Spill
	;; [unrolled: 1-line block ×3, first 2 shown]
	s_and_saveexec_b64 s[6:7], vcc
	s_cbranch_execz .LBB123_81
; %bb.79:
	buffer_load_dword v1, off, s[0:3], 0 offset:88
	buffer_load_dword v2, off, s[0:3], 0 offset:92
	;; [unrolled: 1-line block ×4, first 2 shown]
	buffer_load_dword v10, off, s[0:3], 0 offset:1520 ; 4-byte Folded Reload
	buffer_load_dword v11, off, s[0:3], 0 offset:1524 ; 4-byte Folded Reload
	;; [unrolled: 1-line block ×4, first 2 shown]
	s_movk_i32 s8, 0x60
	s_waitcnt vmcnt(2)
	v_mul_f64 v[7:8], v[10:11], v[1:2]
	s_waitcnt vmcnt(0)
	v_mul_f64 v[5:6], v[12:13], v[1:2]
	v_fma_f64 v[1:2], v[10:11], v[3:4], -v[5:6]
	v_fma_f64 v[3:4], v[12:13], v[3:4], v[7:8]
	buffer_store_dword v1, off, s[0:3], 0 offset:80
	buffer_store_dword v2, off, s[0:3], 0 offset:84
	;; [unrolled: 1-line block ×4, first 2 shown]
.LBB123_80:                             ; =>This Inner Loop Header: Depth=1
	v_add_u32_e32 v6, s8, v121
	ds_read2_b64 v[10:13], v6 offset1:1
	v_mov_b32_e32 v5, s8
	s_addk_i32 s8, 0x70
	s_cmpk_lg_i32 s8, 0x3e0
	s_waitcnt lgkmcnt(0)
	v_mul_f64 v[7:8], v[12:13], v[3:4]
	v_mul_f64 v[3:4], v[10:11], v[3:4]
	v_fma_f64 v[7:8], v[10:11], v[1:2], -v[7:8]
	v_fma_f64 v[1:2], v[12:13], v[1:2], v[3:4]
	buffer_load_dword v3, v5, s[0:3], 0 offen
	buffer_load_dword v4, v5, s[0:3], 0 offen offset:4
	buffer_load_dword v10, v5, s[0:3], 0 offen offset:8
	;; [unrolled: 1-line block ×11, first 2 shown]
	s_waitcnt vmcnt(10)
	v_add_f64 v[3:4], v[3:4], -v[7:8]
	s_waitcnt vmcnt(8)
	v_add_f64 v[1:2], v[10:11], -v[1:2]
	buffer_store_dword v4, v5, s[0:3], 0 offen offset:4
	buffer_store_dword v3, v5, s[0:3], 0 offen
	buffer_store_dword v2, v5, s[0:3], 0 offen offset:12
	buffer_store_dword v1, v5, s[0:3], 0 offen offset:8
	ds_read2_b64 v[1:4], v6 offset0:2 offset1:3
	buffer_load_dword v8, off, s[0:3], 0 offset:84
	buffer_load_dword v7, off, s[0:3], 0 offset:80
	;; [unrolled: 1-line block ×4, first 2 shown]
	s_waitcnt vmcnt(0) lgkmcnt(0)
	v_mul_f64 v[20:21], v[3:4], v[10:11]
	v_fma_f64 v[20:21], v[1:2], v[7:8], -v[20:21]
	v_mul_f64 v[1:2], v[1:2], v[10:11]
	v_fma_f64 v[1:2], v[3:4], v[7:8], v[1:2]
	v_add_f64 v[3:4], v[12:13], -v[20:21]
	v_add_f64 v[1:2], v[14:15], -v[1:2]
	buffer_store_dword v4, v5, s[0:3], 0 offen offset:20
	buffer_store_dword v3, v5, s[0:3], 0 offen offset:16
	;; [unrolled: 1-line block ×4, first 2 shown]
	ds_read2_b64 v[1:4], v6 offset0:4 offset1:5
	buffer_load_dword v7, off, s[0:3], 0 offset:80
	buffer_load_dword v8, off, s[0:3], 0 offset:84
	;; [unrolled: 1-line block ×4, first 2 shown]
	s_waitcnt vmcnt(0) lgkmcnt(0)
	v_mul_f64 v[12:13], v[3:4], v[10:11]
	v_fma_f64 v[12:13], v[1:2], v[7:8], -v[12:13]
	v_mul_f64 v[1:2], v[1:2], v[10:11]
	v_fma_f64 v[1:2], v[3:4], v[7:8], v[1:2]
	v_add_f64 v[3:4], v[16:17], -v[12:13]
	v_add_f64 v[1:2], v[18:19], -v[1:2]
	buffer_store_dword v4, v5, s[0:3], 0 offen offset:36
	buffer_store_dword v3, v5, s[0:3], 0 offen offset:32
	;; [unrolled: 1-line block ×4, first 2 shown]
	ds_read2_b64 v[1:4], v6 offset0:6 offset1:7
	buffer_load_dword v7, off, s[0:3], 0 offset:80
	buffer_load_dword v8, off, s[0:3], 0 offset:84
	;; [unrolled: 1-line block ×4, first 2 shown]
	s_waitcnt vmcnt(0) lgkmcnt(0)
	v_mul_f64 v[12:13], v[3:4], v[10:11]
	v_fma_f64 v[12:13], v[1:2], v[7:8], -v[12:13]
	v_mul_f64 v[1:2], v[1:2], v[10:11]
	v_fma_f64 v[1:2], v[3:4], v[7:8], v[1:2]
	buffer_load_dword v3, v5, s[0:3], 0 offen offset:48
	buffer_load_dword v4, v5, s[0:3], 0 offen offset:52
	;; [unrolled: 1-line block ×4, first 2 shown]
	s_waitcnt vmcnt(2)
	v_add_f64 v[3:4], v[3:4], -v[12:13]
	s_waitcnt vmcnt(0)
	v_add_f64 v[1:2], v[7:8], -v[1:2]
	buffer_store_dword v4, v5, s[0:3], 0 offen offset:52
	buffer_store_dword v3, v5, s[0:3], 0 offen offset:48
	;; [unrolled: 1-line block ×4, first 2 shown]
	ds_read2_b64 v[10:13], v6 offset0:8 offset1:9
	buffer_load_dword v1, off, s[0:3], 0 offset:80
	buffer_load_dword v2, off, s[0:3], 0 offset:84
	;; [unrolled: 1-line block ×4, first 2 shown]
	s_waitcnt vmcnt(0) lgkmcnt(0)
	v_mul_f64 v[7:8], v[12:13], v[3:4]
	v_fma_f64 v[7:8], v[10:11], v[1:2], -v[7:8]
	v_mul_f64 v[10:11], v[10:11], v[3:4]
	v_fma_f64 v[10:11], v[12:13], v[1:2], v[10:11]
	buffer_load_dword v12, v5, s[0:3], 0 offen offset:64
	buffer_load_dword v13, v5, s[0:3], 0 offen offset:68
	;; [unrolled: 1-line block ×4, first 2 shown]
	s_waitcnt vmcnt(2)
	v_add_f64 v[7:8], v[12:13], -v[7:8]
	s_waitcnt vmcnt(0)
	v_add_f64 v[10:11], v[14:15], -v[10:11]
	buffer_store_dword v8, v5, s[0:3], 0 offen offset:68
	buffer_store_dword v7, v5, s[0:3], 0 offen offset:64
	;; [unrolled: 1-line block ×4, first 2 shown]
	ds_read2_b64 v[10:13], v6 offset0:10 offset1:11
	s_waitcnt lgkmcnt(0)
	v_mul_f64 v[7:8], v[12:13], v[3:4]
	v_fma_f64 v[7:8], v[10:11], v[1:2], -v[7:8]
	v_mul_f64 v[10:11], v[10:11], v[3:4]
	v_fma_f64 v[10:11], v[12:13], v[1:2], v[10:11]
	buffer_load_dword v12, v5, s[0:3], 0 offen offset:80
	buffer_load_dword v13, v5, s[0:3], 0 offen offset:84
	;; [unrolled: 1-line block ×4, first 2 shown]
	s_waitcnt vmcnt(2)
	v_add_f64 v[7:8], v[12:13], -v[7:8]
	s_waitcnt vmcnt(0)
	v_add_f64 v[10:11], v[14:15], -v[10:11]
	buffer_store_dword v8, v5, s[0:3], 0 offen offset:84
	buffer_store_dword v7, v5, s[0:3], 0 offen offset:80
	;; [unrolled: 1-line block ×4, first 2 shown]
	ds_read2_b64 v[10:13], v6 offset0:12 offset1:13
	s_waitcnt lgkmcnt(0)
	v_mul_f64 v[6:7], v[12:13], v[3:4]
	v_fma_f64 v[6:7], v[10:11], v[1:2], -v[6:7]
	v_mul_f64 v[10:11], v[10:11], v[3:4]
	v_fma_f64 v[10:11], v[12:13], v[1:2], v[10:11]
	buffer_load_dword v12, v5, s[0:3], 0 offen offset:96
	buffer_load_dword v13, v5, s[0:3], 0 offen offset:100
	;; [unrolled: 1-line block ×4, first 2 shown]
	s_waitcnt vmcnt(2)
	v_add_f64 v[6:7], v[12:13], -v[6:7]
	s_waitcnt vmcnt(0)
	v_add_f64 v[10:11], v[14:15], -v[10:11]
	buffer_store_dword v7, v5, s[0:3], 0 offen offset:100
	buffer_store_dword v6, v5, s[0:3], 0 offen offset:96
	;; [unrolled: 1-line block ×4, first 2 shown]
	s_cbranch_scc1 .LBB123_80
.LBB123_81:
	s_or_b64 exec, exec, s[6:7]
	v_cmp_eq_u32_e32 vcc, 6, v0
	s_waitcnt vmcnt(0)
	s_barrier
	s_and_saveexec_b64 s[8:9], vcc
	s_cbranch_execz .LBB123_90
; %bb.82:
	v_mov_b32_e32 v4, s77
	buffer_load_dword v1, v4, s[0:3], 0 offen
	buffer_load_dword v2, v4, s[0:3], 0 offen offset:4
	buffer_load_dword v3, v4, s[0:3], 0 offen offset:8
	s_nop 0
	buffer_load_dword v4, v4, s[0:3], 0 offen offset:12
	s_movk_i32 s6, 0x70
	s_waitcnt vmcnt(0)
	ds_write2_b64 v125, v[1:2], v[3:4] offset1:1
.LBB123_83:                             ; =>This Inner Loop Header: Depth=1
	v_mov_b32_e32 v18, s6
	buffer_load_dword v1, v18, s[0:3], 0 offen
	buffer_load_dword v2, v18, s[0:3], 0 offen offset:4
	buffer_load_dword v3, v18, s[0:3], 0 offen offset:8
	;; [unrolled: 1-line block ×15, first 2 shown]
	v_add_u32_e32 v19, s6, v121
	s_addk_i32 s6, 0xb0
	s_cmpk_lg_i32 s6, 0x3e0
	s_waitcnt vmcnt(12)
	ds_write2_b64 v19, v[1:2], v[3:4] offset1:1
	s_waitcnt vmcnt(8)
	ds_write2_b64 v19, v[5:6], v[7:8] offset0:2 offset1:3
	s_waitcnt vmcnt(4)
	ds_write2_b64 v19, v[10:11], v[12:13] offset0:4 offset1:5
	;; [unrolled: 2-line block ×3, first 2 shown]
	buffer_load_dword v2, v18, s[0:3], 0 offen offset:76
	buffer_load_dword v1, v18, s[0:3], 0 offen offset:72
	buffer_load_dword v4, v18, s[0:3], 0 offen offset:68
	buffer_load_dword v3, v18, s[0:3], 0 offen offset:64
	s_waitcnt vmcnt(0)
	ds_write2_b64 v19, v[3:4], v[1:2] offset0:8 offset1:9
	buffer_load_dword v2, v18, s[0:3], 0 offen offset:92
	buffer_load_dword v1, v18, s[0:3], 0 offen offset:88
	buffer_load_dword v4, v18, s[0:3], 0 offen offset:84
	buffer_load_dword v3, v18, s[0:3], 0 offen offset:80
	s_waitcnt vmcnt(0)
	ds_write2_b64 v19, v[3:4], v[1:2] offset0:10 offset1:11
	;; [unrolled: 6-line block ×7, first 2 shown]
	s_cbranch_scc1 .LBB123_83
; %bb.84:
	ds_read2_b64 v[1:4], v125 offset1:1
	s_waitcnt lgkmcnt(0)
	v_cmp_neq_f64_e32 vcc, 0, v[1:2]
	v_cmp_neq_f64_e64 s[6:7], 0, v[3:4]
	s_or_b64 s[6:7], vcc, s[6:7]
	s_and_b64 exec, exec, s[6:7]
	s_cbranch_execz .LBB123_90
; %bb.85:
	v_cmp_ngt_f64_e64 s[6:7], |v[1:2]|, |v[3:4]|
                                        ; implicit-def: $vgpr5_vgpr6
	s_and_saveexec_b64 s[10:11], s[6:7]
	s_xor_b64 s[6:7], exec, s[10:11]
                                        ; implicit-def: $vgpr7_vgpr8
	s_cbranch_execz .LBB123_87
; %bb.86:
	v_div_scale_f64 v[5:6], s[10:11], v[3:4], v[3:4], v[1:2]
	v_rcp_f64_e32 v[7:8], v[5:6]
	v_fma_f64 v[10:11], -v[5:6], v[7:8], 1.0
	v_fma_f64 v[7:8], v[7:8], v[10:11], v[7:8]
	v_div_scale_f64 v[10:11], vcc, v[1:2], v[3:4], v[1:2]
	v_fma_f64 v[12:13], -v[5:6], v[7:8], 1.0
	v_fma_f64 v[7:8], v[7:8], v[12:13], v[7:8]
	v_mul_f64 v[12:13], v[10:11], v[7:8]
	v_fma_f64 v[5:6], -v[5:6], v[12:13], v[10:11]
	v_div_fmas_f64 v[5:6], v[5:6], v[7:8], v[12:13]
	v_div_fixup_f64 v[5:6], v[5:6], v[3:4], v[1:2]
	v_fma_f64 v[1:2], v[1:2], v[5:6], v[3:4]
	v_div_scale_f64 v[3:4], s[10:11], v[1:2], v[1:2], 1.0
	v_div_scale_f64 v[12:13], vcc, 1.0, v[1:2], 1.0
	v_rcp_f64_e32 v[7:8], v[3:4]
	v_fma_f64 v[10:11], -v[3:4], v[7:8], 1.0
	v_fma_f64 v[7:8], v[7:8], v[10:11], v[7:8]
	v_fma_f64 v[10:11], -v[3:4], v[7:8], 1.0
	v_fma_f64 v[7:8], v[7:8], v[10:11], v[7:8]
	v_mul_f64 v[10:11], v[12:13], v[7:8]
	v_fma_f64 v[3:4], -v[3:4], v[10:11], v[12:13]
	v_div_fmas_f64 v[3:4], v[3:4], v[7:8], v[10:11]
	v_div_fixup_f64 v[7:8], v[3:4], v[1:2], 1.0
                                        ; implicit-def: $vgpr1_vgpr2
	v_mul_f64 v[5:6], v[5:6], v[7:8]
	v_xor_b32_e32 v8, 0x80000000, v8
.LBB123_87:
	s_andn2_saveexec_b64 s[6:7], s[6:7]
	s_cbranch_execz .LBB123_89
; %bb.88:
	v_div_scale_f64 v[5:6], s[10:11], v[1:2], v[1:2], v[3:4]
	v_rcp_f64_e32 v[7:8], v[5:6]
	v_fma_f64 v[10:11], -v[5:6], v[7:8], 1.0
	v_fma_f64 v[7:8], v[7:8], v[10:11], v[7:8]
	v_div_scale_f64 v[10:11], vcc, v[3:4], v[1:2], v[3:4]
	v_fma_f64 v[12:13], -v[5:6], v[7:8], 1.0
	v_fma_f64 v[7:8], v[7:8], v[12:13], v[7:8]
	v_mul_f64 v[12:13], v[10:11], v[7:8]
	v_fma_f64 v[5:6], -v[5:6], v[12:13], v[10:11]
	v_div_fmas_f64 v[5:6], v[5:6], v[7:8], v[12:13]
	v_div_fixup_f64 v[7:8], v[5:6], v[1:2], v[3:4]
	v_fma_f64 v[1:2], v[3:4], v[7:8], v[1:2]
	v_div_scale_f64 v[3:4], s[10:11], v[1:2], v[1:2], 1.0
	v_div_scale_f64 v[12:13], vcc, 1.0, v[1:2], 1.0
	v_rcp_f64_e32 v[5:6], v[3:4]
	v_fma_f64 v[10:11], -v[3:4], v[5:6], 1.0
	v_fma_f64 v[5:6], v[5:6], v[10:11], v[5:6]
	v_fma_f64 v[10:11], -v[3:4], v[5:6], 1.0
	v_fma_f64 v[5:6], v[5:6], v[10:11], v[5:6]
	v_mul_f64 v[10:11], v[12:13], v[5:6]
	v_fma_f64 v[3:4], -v[3:4], v[10:11], v[12:13]
	v_div_fmas_f64 v[3:4], v[3:4], v[5:6], v[10:11]
	v_div_fixup_f64 v[5:6], v[3:4], v[1:2], 1.0
	v_mul_f64 v[7:8], v[7:8], -v[5:6]
.LBB123_89:
	s_or_b64 exec, exec, s[6:7]
	ds_write2_b64 v125, v[5:6], v[7:8] offset1:1
.LBB123_90:
	s_or_b64 exec, exec, s[8:9]
	s_waitcnt lgkmcnt(0)
	s_barrier
	ds_read2_b64 v[1:4], v125 offset1:1
	v_cmp_lt_u32_e32 vcc, 6, v0
	s_waitcnt lgkmcnt(0)
	buffer_store_dword v1, off, s[0:3], 0 offset:1536 ; 4-byte Folded Spill
	s_nop 0
	buffer_store_dword v2, off, s[0:3], 0 offset:1540 ; 4-byte Folded Spill
	buffer_store_dword v3, off, s[0:3], 0 offset:1544 ; 4-byte Folded Spill
	;; [unrolled: 1-line block ×3, first 2 shown]
	s_and_saveexec_b64 s[6:7], vcc
	s_cbranch_execz .LBB123_93
; %bb.91:
	buffer_load_dword v1, off, s[0:3], 0 offset:104
	buffer_load_dword v2, off, s[0:3], 0 offset:108
	;; [unrolled: 1-line block ×4, first 2 shown]
	buffer_load_dword v10, off, s[0:3], 0 offset:1536 ; 4-byte Folded Reload
	buffer_load_dword v11, off, s[0:3], 0 offset:1540 ; 4-byte Folded Reload
	;; [unrolled: 1-line block ×4, first 2 shown]
	s_movk_i32 s8, 0x70
	s_waitcnt vmcnt(0)
	v_mul_f64 v[5:6], v[12:13], v[1:2]
	v_mul_f64 v[1:2], v[10:11], v[1:2]
	v_fma_f64 v[5:6], v[10:11], v[3:4], -v[5:6]
	v_fma_f64 v[1:2], v[12:13], v[3:4], v[1:2]
	buffer_store_dword v5, off, s[0:3], 0 offset:96
	buffer_store_dword v6, off, s[0:3], 0 offset:100
	;; [unrolled: 1-line block ×4, first 2 shown]
.LBB123_92:                             ; =>This Inner Loop Header: Depth=1
	buffer_load_dword v7, off, s[0:3], 0 offset:104
	buffer_load_dword v8, off, s[0:3], 0 offset:108
	;; [unrolled: 1-line block ×4, first 2 shown]
	v_mov_b32_e32 v1, s8
	buffer_load_dword v12, v1, s[0:3], 0 offen
	buffer_load_dword v13, v1, s[0:3], 0 offen offset:4
	buffer_load_dword v14, v1, s[0:3], 0 offen offset:8
	;; [unrolled: 1-line block ×3, first 2 shown]
	v_add_u32_e32 v2, s8, v121
	ds_read2_b64 v[3:6], v2 offset1:1
	buffer_load_dword v16, v1, s[0:3], 0 offen offset:16
	buffer_load_dword v17, v1, s[0:3], 0 offen offset:20
	;; [unrolled: 1-line block ×3, first 2 shown]
	s_addk_i32 s8, 0x50
	s_cmpk_lg_i32 s8, 0x3e0
	s_waitcnt vmcnt(9) lgkmcnt(0)
	v_mul_f64 v[19:20], v[5:6], v[7:8]
	v_mul_f64 v[7:8], v[3:4], v[7:8]
	s_waitcnt vmcnt(7)
	v_fma_f64 v[3:4], v[3:4], v[10:11], -v[19:20]
	v_fma_f64 v[5:6], v[5:6], v[10:11], v[7:8]
	s_waitcnt vmcnt(5)
	v_add_f64 v[3:4], v[12:13], -v[3:4]
	s_waitcnt vmcnt(3)
	v_add_f64 v[5:6], v[14:15], -v[5:6]
	buffer_store_dword v4, v1, s[0:3], 0 offen offset:4
	buffer_store_dword v3, v1, s[0:3], 0 offen
	buffer_store_dword v6, v1, s[0:3], 0 offen offset:12
	buffer_store_dword v5, v1, s[0:3], 0 offen offset:8
	buffer_load_dword v8, off, s[0:3], 0 offset:108
	buffer_load_dword v7, off, s[0:3], 0 offset:104
	;; [unrolled: 1-line block ×4, first 2 shown]
	buffer_load_dword v19, v1, s[0:3], 0 offen offset:28
	ds_read2_b64 v[3:6], v2 offset0:2 offset1:3
	buffer_load_dword v12, v1, s[0:3], 0 offen offset:32
	buffer_load_dword v13, v1, s[0:3], 0 offen offset:36
	;; [unrolled: 1-line block ×3, first 2 shown]
	s_waitcnt vmcnt(6) lgkmcnt(0)
	v_mul_f64 v[20:21], v[5:6], v[7:8]
	v_mul_f64 v[7:8], v[3:4], v[7:8]
	s_waitcnt vmcnt(4)
	v_fma_f64 v[3:4], v[3:4], v[10:11], -v[20:21]
	v_fma_f64 v[5:6], v[5:6], v[10:11], v[7:8]
	v_add_f64 v[3:4], v[16:17], -v[3:4]
	s_waitcnt vmcnt(3)
	v_add_f64 v[5:6], v[18:19], -v[5:6]
	buffer_store_dword v4, v1, s[0:3], 0 offen offset:20
	buffer_store_dword v3, v1, s[0:3], 0 offen offset:16
	;; [unrolled: 1-line block ×4, first 2 shown]
	buffer_load_dword v7, off, s[0:3], 0 offset:104
	buffer_load_dword v8, off, s[0:3], 0 offset:108
	;; [unrolled: 1-line block ×4, first 2 shown]
	buffer_load_dword v15, v1, s[0:3], 0 offen offset:44
	ds_read2_b64 v[3:6], v2 offset0:4 offset1:5
	buffer_load_dword v16, v1, s[0:3], 0 offen offset:48
	s_waitcnt vmcnt(4) lgkmcnt(0)
	v_mul_f64 v[17:18], v[5:6], v[7:8]
	v_mul_f64 v[7:8], v[3:4], v[7:8]
	s_waitcnt vmcnt(2)
	v_fma_f64 v[3:4], v[3:4], v[10:11], -v[17:18]
	v_fma_f64 v[5:6], v[5:6], v[10:11], v[7:8]
	v_add_f64 v[3:4], v[12:13], -v[3:4]
	s_waitcnt vmcnt(1)
	v_add_f64 v[5:6], v[14:15], -v[5:6]
	buffer_store_dword v4, v1, s[0:3], 0 offen offset:36
	buffer_store_dword v3, v1, s[0:3], 0 offen offset:32
	;; [unrolled: 1-line block ×4, first 2 shown]
	buffer_load_dword v7, off, s[0:3], 0 offset:104
	buffer_load_dword v8, off, s[0:3], 0 offset:108
	;; [unrolled: 1-line block ×4, first 2 shown]
	buffer_load_dword v17, v1, s[0:3], 0 offen offset:52
	buffer_load_dword v12, v1, s[0:3], 0 offen offset:56
	;; [unrolled: 1-line block ×3, first 2 shown]
	ds_read2_b64 v[3:6], v2 offset0:6 offset1:7
	s_waitcnt vmcnt(5) lgkmcnt(0)
	v_mul_f64 v[14:15], v[5:6], v[7:8]
	v_mul_f64 v[7:8], v[3:4], v[7:8]
	s_waitcnt vmcnt(3)
	v_fma_f64 v[3:4], v[3:4], v[10:11], -v[14:15]
	v_fma_f64 v[5:6], v[5:6], v[10:11], v[7:8]
	s_waitcnt vmcnt(2)
	v_add_f64 v[3:4], v[16:17], -v[3:4]
	s_waitcnt vmcnt(0)
	v_add_f64 v[5:6], v[12:13], -v[5:6]
	buffer_store_dword v4, v1, s[0:3], 0 offen offset:52
	buffer_store_dword v3, v1, s[0:3], 0 offen offset:48
	;; [unrolled: 1-line block ×4, first 2 shown]
	buffer_load_dword v6, off, s[0:3], 0 offset:104
	s_nop 0
	buffer_load_dword v7, off, s[0:3], 0 offset:108
	buffer_load_dword v10, off, s[0:3], 0 offset:96
	;; [unrolled: 1-line block ×3, first 2 shown]
	buffer_load_dword v12, v1, s[0:3], 0 offen offset:64
	buffer_load_dword v13, v1, s[0:3], 0 offen offset:68
	buffer_load_dword v14, v1, s[0:3], 0 offen offset:72
	buffer_load_dword v15, v1, s[0:3], 0 offen offset:76
	ds_read2_b64 v[2:5], v2 offset0:8 offset1:9
	s_waitcnt vmcnt(6) lgkmcnt(0)
	v_mul_f64 v[16:17], v[4:5], v[6:7]
	v_mul_f64 v[6:7], v[2:3], v[6:7]
	s_waitcnt vmcnt(4)
	v_fma_f64 v[2:3], v[2:3], v[10:11], -v[16:17]
	v_fma_f64 v[4:5], v[4:5], v[10:11], v[6:7]
	s_waitcnt vmcnt(2)
	v_add_f64 v[2:3], v[12:13], -v[2:3]
	s_waitcnt vmcnt(0)
	v_add_f64 v[4:5], v[14:15], -v[4:5]
	buffer_store_dword v3, v1, s[0:3], 0 offen offset:68
	buffer_store_dword v2, v1, s[0:3], 0 offen offset:64
	;; [unrolled: 1-line block ×4, first 2 shown]
	s_cbranch_scc1 .LBB123_92
.LBB123_93:
	s_or_b64 exec, exec, s[6:7]
	v_cmp_eq_u32_e32 vcc, 7, v0
	s_waitcnt vmcnt(0)
	s_barrier
	s_and_saveexec_b64 s[8:9], vcc
	s_cbranch_execz .LBB123_102
; %bb.94:
	v_mov_b32_e32 v4, s92
	buffer_load_dword v1, v4, s[0:3], 0 offen
	buffer_load_dword v2, v4, s[0:3], 0 offen offset:4
	buffer_load_dword v3, v4, s[0:3], 0 offen offset:8
	s_nop 0
	buffer_load_dword v4, v4, s[0:3], 0 offen offset:12
	s_movk_i32 s6, 0x80
	s_waitcnt vmcnt(0)
	ds_write2_b64 v125, v[1:2], v[3:4] offset1:1
.LBB123_95:                             ; =>This Inner Loop Header: Depth=1
	v_mov_b32_e32 v18, s6
	buffer_load_dword v1, v18, s[0:3], 0 offen
	buffer_load_dword v2, v18, s[0:3], 0 offen offset:4
	buffer_load_dword v3, v18, s[0:3], 0 offen offset:8
	;; [unrolled: 1-line block ×15, first 2 shown]
	v_add_u32_e32 v19, s6, v121
	s_addk_i32 s6, 0x120
	s_cmpk_lg_i32 s6, 0x3e0
	s_waitcnt vmcnt(12)
	ds_write2_b64 v19, v[1:2], v[3:4] offset1:1
	s_waitcnt vmcnt(8)
	ds_write2_b64 v19, v[5:6], v[7:8] offset0:2 offset1:3
	s_waitcnt vmcnt(4)
	ds_write2_b64 v19, v[10:11], v[12:13] offset0:4 offset1:5
	;; [unrolled: 2-line block ×3, first 2 shown]
	buffer_load_dword v2, v18, s[0:3], 0 offen offset:76
	buffer_load_dword v1, v18, s[0:3], 0 offen offset:72
	buffer_load_dword v4, v18, s[0:3], 0 offen offset:68
	buffer_load_dword v3, v18, s[0:3], 0 offen offset:64
	s_waitcnt vmcnt(0)
	ds_write2_b64 v19, v[3:4], v[1:2] offset0:8 offset1:9
	buffer_load_dword v2, v18, s[0:3], 0 offen offset:92
	buffer_load_dword v1, v18, s[0:3], 0 offen offset:88
	buffer_load_dword v4, v18, s[0:3], 0 offen offset:84
	buffer_load_dword v3, v18, s[0:3], 0 offen offset:80
	s_waitcnt vmcnt(0)
	ds_write2_b64 v19, v[3:4], v[1:2] offset0:10 offset1:11
	;; [unrolled: 6-line block ×14, first 2 shown]
	s_cbranch_scc1 .LBB123_95
; %bb.96:
	ds_read2_b64 v[1:4], v125 offset1:1
	s_waitcnt lgkmcnt(0)
	v_cmp_neq_f64_e32 vcc, 0, v[1:2]
	v_cmp_neq_f64_e64 s[6:7], 0, v[3:4]
	s_or_b64 s[6:7], vcc, s[6:7]
	s_and_b64 exec, exec, s[6:7]
	s_cbranch_execz .LBB123_102
; %bb.97:
	v_cmp_ngt_f64_e64 s[6:7], |v[1:2]|, |v[3:4]|
                                        ; implicit-def: $vgpr5_vgpr6
	s_and_saveexec_b64 s[10:11], s[6:7]
	s_xor_b64 s[6:7], exec, s[10:11]
                                        ; implicit-def: $vgpr7_vgpr8
	s_cbranch_execz .LBB123_99
; %bb.98:
	v_div_scale_f64 v[5:6], s[10:11], v[3:4], v[3:4], v[1:2]
	v_rcp_f64_e32 v[7:8], v[5:6]
	v_fma_f64 v[10:11], -v[5:6], v[7:8], 1.0
	v_fma_f64 v[7:8], v[7:8], v[10:11], v[7:8]
	v_div_scale_f64 v[10:11], vcc, v[1:2], v[3:4], v[1:2]
	v_fma_f64 v[12:13], -v[5:6], v[7:8], 1.0
	v_fma_f64 v[7:8], v[7:8], v[12:13], v[7:8]
	v_mul_f64 v[12:13], v[10:11], v[7:8]
	v_fma_f64 v[5:6], -v[5:6], v[12:13], v[10:11]
	v_div_fmas_f64 v[5:6], v[5:6], v[7:8], v[12:13]
	v_div_fixup_f64 v[5:6], v[5:6], v[3:4], v[1:2]
	v_fma_f64 v[1:2], v[1:2], v[5:6], v[3:4]
	v_div_scale_f64 v[3:4], s[10:11], v[1:2], v[1:2], 1.0
	v_div_scale_f64 v[12:13], vcc, 1.0, v[1:2], 1.0
	v_rcp_f64_e32 v[7:8], v[3:4]
	v_fma_f64 v[10:11], -v[3:4], v[7:8], 1.0
	v_fma_f64 v[7:8], v[7:8], v[10:11], v[7:8]
	v_fma_f64 v[10:11], -v[3:4], v[7:8], 1.0
	v_fma_f64 v[7:8], v[7:8], v[10:11], v[7:8]
	v_mul_f64 v[10:11], v[12:13], v[7:8]
	v_fma_f64 v[3:4], -v[3:4], v[10:11], v[12:13]
	v_div_fmas_f64 v[3:4], v[3:4], v[7:8], v[10:11]
	v_div_fixup_f64 v[7:8], v[3:4], v[1:2], 1.0
                                        ; implicit-def: $vgpr1_vgpr2
	v_mul_f64 v[5:6], v[5:6], v[7:8]
	v_xor_b32_e32 v8, 0x80000000, v8
.LBB123_99:
	s_andn2_saveexec_b64 s[6:7], s[6:7]
	s_cbranch_execz .LBB123_101
; %bb.100:
	v_div_scale_f64 v[5:6], s[10:11], v[1:2], v[1:2], v[3:4]
	v_rcp_f64_e32 v[7:8], v[5:6]
	v_fma_f64 v[10:11], -v[5:6], v[7:8], 1.0
	v_fma_f64 v[7:8], v[7:8], v[10:11], v[7:8]
	v_div_scale_f64 v[10:11], vcc, v[3:4], v[1:2], v[3:4]
	v_fma_f64 v[12:13], -v[5:6], v[7:8], 1.0
	v_fma_f64 v[7:8], v[7:8], v[12:13], v[7:8]
	v_mul_f64 v[12:13], v[10:11], v[7:8]
	v_fma_f64 v[5:6], -v[5:6], v[12:13], v[10:11]
	v_div_fmas_f64 v[5:6], v[5:6], v[7:8], v[12:13]
	v_div_fixup_f64 v[7:8], v[5:6], v[1:2], v[3:4]
	v_fma_f64 v[1:2], v[3:4], v[7:8], v[1:2]
	v_div_scale_f64 v[3:4], s[10:11], v[1:2], v[1:2], 1.0
	v_div_scale_f64 v[12:13], vcc, 1.0, v[1:2], 1.0
	v_rcp_f64_e32 v[5:6], v[3:4]
	v_fma_f64 v[10:11], -v[3:4], v[5:6], 1.0
	v_fma_f64 v[5:6], v[5:6], v[10:11], v[5:6]
	v_fma_f64 v[10:11], -v[3:4], v[5:6], 1.0
	v_fma_f64 v[5:6], v[5:6], v[10:11], v[5:6]
	v_mul_f64 v[10:11], v[12:13], v[5:6]
	v_fma_f64 v[3:4], -v[3:4], v[10:11], v[12:13]
	v_div_fmas_f64 v[3:4], v[3:4], v[5:6], v[10:11]
	v_div_fixup_f64 v[5:6], v[3:4], v[1:2], 1.0
	v_mul_f64 v[7:8], v[7:8], -v[5:6]
.LBB123_101:
	s_or_b64 exec, exec, s[6:7]
	ds_write2_b64 v125, v[5:6], v[7:8] offset1:1
.LBB123_102:
	s_or_b64 exec, exec, s[8:9]
	s_waitcnt lgkmcnt(0)
	s_barrier
	ds_read2_b64 v[1:4], v125 offset1:1
	v_cmp_lt_u32_e32 vcc, 7, v0
	s_waitcnt lgkmcnt(0)
	buffer_store_dword v1, off, s[0:3], 0 offset:1552 ; 4-byte Folded Spill
	s_nop 0
	buffer_store_dword v2, off, s[0:3], 0 offset:1556 ; 4-byte Folded Spill
	buffer_store_dword v3, off, s[0:3], 0 offset:1560 ; 4-byte Folded Spill
	;; [unrolled: 1-line block ×3, first 2 shown]
	s_and_saveexec_b64 s[6:7], vcc
	s_cbranch_execz .LBB123_105
; %bb.103:
	buffer_load_dword v1, off, s[0:3], 0 offset:120
	buffer_load_dword v2, off, s[0:3], 0 offset:124
	;; [unrolled: 1-line block ×4, first 2 shown]
	buffer_load_dword v10, off, s[0:3], 0 offset:1552 ; 4-byte Folded Reload
	buffer_load_dword v11, off, s[0:3], 0 offset:1556 ; 4-byte Folded Reload
	;; [unrolled: 1-line block ×4, first 2 shown]
	s_movk_i32 s8, 0x80
	s_waitcnt vmcnt(0)
	v_mul_f64 v[5:6], v[12:13], v[1:2]
	v_mul_f64 v[1:2], v[10:11], v[1:2]
	v_fma_f64 v[5:6], v[10:11], v[3:4], -v[5:6]
	v_fma_f64 v[1:2], v[12:13], v[3:4], v[1:2]
	buffer_store_dword v5, off, s[0:3], 0 offset:112
	buffer_store_dword v6, off, s[0:3], 0 offset:116
	;; [unrolled: 1-line block ×4, first 2 shown]
.LBB123_104:                            ; =>This Inner Loop Header: Depth=1
	buffer_load_dword v7, off, s[0:3], 0 offset:120
	buffer_load_dword v8, off, s[0:3], 0 offset:124
	;; [unrolled: 1-line block ×4, first 2 shown]
	v_mov_b32_e32 v1, s8
	buffer_load_dword v12, v1, s[0:3], 0 offen
	buffer_load_dword v13, v1, s[0:3], 0 offen offset:4
	buffer_load_dword v14, v1, s[0:3], 0 offen offset:8
	;; [unrolled: 1-line block ×3, first 2 shown]
	v_add_u32_e32 v2, s8, v121
	ds_read2_b64 v[3:6], v2 offset1:1
	buffer_load_dword v16, v1, s[0:3], 0 offen offset:16
	buffer_load_dword v17, v1, s[0:3], 0 offen offset:20
	;; [unrolled: 1-line block ×3, first 2 shown]
	s_addk_i32 s8, 0x60
	s_cmpk_lg_i32 s8, 0x3e0
	s_waitcnt vmcnt(9) lgkmcnt(0)
	v_mul_f64 v[19:20], v[5:6], v[7:8]
	v_mul_f64 v[7:8], v[3:4], v[7:8]
	s_waitcnt vmcnt(7)
	v_fma_f64 v[3:4], v[3:4], v[10:11], -v[19:20]
	v_fma_f64 v[5:6], v[5:6], v[10:11], v[7:8]
	s_waitcnt vmcnt(5)
	v_add_f64 v[3:4], v[12:13], -v[3:4]
	s_waitcnt vmcnt(3)
	v_add_f64 v[5:6], v[14:15], -v[5:6]
	buffer_store_dword v4, v1, s[0:3], 0 offen offset:4
	buffer_store_dword v3, v1, s[0:3], 0 offen
	buffer_store_dword v6, v1, s[0:3], 0 offen offset:12
	buffer_store_dword v5, v1, s[0:3], 0 offen offset:8
	buffer_load_dword v8, off, s[0:3], 0 offset:124
	buffer_load_dword v7, off, s[0:3], 0 offset:120
	;; [unrolled: 1-line block ×4, first 2 shown]
	buffer_load_dword v19, v1, s[0:3], 0 offen offset:28
	ds_read2_b64 v[3:6], v2 offset0:2 offset1:3
	buffer_load_dword v12, v1, s[0:3], 0 offen offset:32
	buffer_load_dword v13, v1, s[0:3], 0 offen offset:36
	;; [unrolled: 1-line block ×3, first 2 shown]
	s_waitcnt vmcnt(6) lgkmcnt(0)
	v_mul_f64 v[20:21], v[5:6], v[7:8]
	v_mul_f64 v[7:8], v[3:4], v[7:8]
	s_waitcnt vmcnt(4)
	v_fma_f64 v[3:4], v[3:4], v[10:11], -v[20:21]
	v_fma_f64 v[5:6], v[5:6], v[10:11], v[7:8]
	v_add_f64 v[3:4], v[16:17], -v[3:4]
	s_waitcnt vmcnt(3)
	v_add_f64 v[5:6], v[18:19], -v[5:6]
	buffer_store_dword v4, v1, s[0:3], 0 offen offset:20
	buffer_store_dword v3, v1, s[0:3], 0 offen offset:16
	;; [unrolled: 1-line block ×4, first 2 shown]
	buffer_load_dword v7, off, s[0:3], 0 offset:120
	buffer_load_dword v8, off, s[0:3], 0 offset:124
	;; [unrolled: 1-line block ×4, first 2 shown]
	buffer_load_dword v15, v1, s[0:3], 0 offen offset:44
	ds_read2_b64 v[3:6], v2 offset0:4 offset1:5
	buffer_load_dword v16, v1, s[0:3], 0 offen offset:48
	buffer_load_dword v17, v1, s[0:3], 0 offen offset:52
	;; [unrolled: 1-line block ×3, first 2 shown]
	s_waitcnt vmcnt(6) lgkmcnt(0)
	v_mul_f64 v[19:20], v[5:6], v[7:8]
	v_mul_f64 v[7:8], v[3:4], v[7:8]
	s_waitcnt vmcnt(4)
	v_fma_f64 v[3:4], v[3:4], v[10:11], -v[19:20]
	v_fma_f64 v[5:6], v[5:6], v[10:11], v[7:8]
	v_add_f64 v[3:4], v[12:13], -v[3:4]
	s_waitcnt vmcnt(3)
	v_add_f64 v[5:6], v[14:15], -v[5:6]
	buffer_store_dword v4, v1, s[0:3], 0 offen offset:36
	buffer_store_dword v3, v1, s[0:3], 0 offen offset:32
	;; [unrolled: 1-line block ×4, first 2 shown]
	buffer_load_dword v7, off, s[0:3], 0 offset:120
	buffer_load_dword v8, off, s[0:3], 0 offset:124
	;; [unrolled: 1-line block ×4, first 2 shown]
	buffer_load_dword v19, v1, s[0:3], 0 offen offset:60
	ds_read2_b64 v[3:6], v2 offset0:6 offset1:7
	buffer_load_dword v12, v1, s[0:3], 0 offen offset:64
	s_waitcnt vmcnt(4) lgkmcnt(0)
	v_mul_f64 v[13:14], v[5:6], v[7:8]
	v_mul_f64 v[7:8], v[3:4], v[7:8]
	s_waitcnt vmcnt(2)
	v_fma_f64 v[3:4], v[3:4], v[10:11], -v[13:14]
	v_fma_f64 v[5:6], v[5:6], v[10:11], v[7:8]
	v_add_f64 v[3:4], v[16:17], -v[3:4]
	s_waitcnt vmcnt(1)
	v_add_f64 v[5:6], v[18:19], -v[5:6]
	buffer_store_dword v4, v1, s[0:3], 0 offen offset:52
	buffer_store_dword v3, v1, s[0:3], 0 offen offset:48
	buffer_store_dword v6, v1, s[0:3], 0 offen offset:60
	buffer_store_dword v5, v1, s[0:3], 0 offen offset:56
	buffer_load_dword v7, off, s[0:3], 0 offset:120
	buffer_load_dword v8, off, s[0:3], 0 offset:124
	;; [unrolled: 1-line block ×4, first 2 shown]
	buffer_load_dword v13, v1, s[0:3], 0 offen offset:68
	buffer_load_dword v14, v1, s[0:3], 0 offen offset:72
	buffer_load_dword v15, v1, s[0:3], 0 offen offset:76
	ds_read2_b64 v[3:6], v2 offset0:8 offset1:9
	s_waitcnt vmcnt(5) lgkmcnt(0)
	v_mul_f64 v[16:17], v[5:6], v[7:8]
	v_mul_f64 v[7:8], v[3:4], v[7:8]
	s_waitcnt vmcnt(3)
	v_fma_f64 v[3:4], v[3:4], v[10:11], -v[16:17]
	v_fma_f64 v[5:6], v[5:6], v[10:11], v[7:8]
	s_waitcnt vmcnt(2)
	v_add_f64 v[3:4], v[12:13], -v[3:4]
	s_waitcnt vmcnt(0)
	v_add_f64 v[5:6], v[14:15], -v[5:6]
	buffer_store_dword v4, v1, s[0:3], 0 offen offset:68
	buffer_store_dword v3, v1, s[0:3], 0 offen offset:64
	;; [unrolled: 1-line block ×4, first 2 shown]
	buffer_load_dword v6, off, s[0:3], 0 offset:120
	s_nop 0
	buffer_load_dword v7, off, s[0:3], 0 offset:124
	buffer_load_dword v10, off, s[0:3], 0 offset:112
	;; [unrolled: 1-line block ×3, first 2 shown]
	buffer_load_dword v12, v1, s[0:3], 0 offen offset:80
	buffer_load_dword v13, v1, s[0:3], 0 offen offset:84
	;; [unrolled: 1-line block ×4, first 2 shown]
	ds_read2_b64 v[2:5], v2 offset0:10 offset1:11
	s_waitcnt vmcnt(6) lgkmcnt(0)
	v_mul_f64 v[16:17], v[4:5], v[6:7]
	v_mul_f64 v[6:7], v[2:3], v[6:7]
	s_waitcnt vmcnt(4)
	v_fma_f64 v[2:3], v[2:3], v[10:11], -v[16:17]
	v_fma_f64 v[4:5], v[4:5], v[10:11], v[6:7]
	s_waitcnt vmcnt(2)
	v_add_f64 v[2:3], v[12:13], -v[2:3]
	s_waitcnt vmcnt(0)
	v_add_f64 v[4:5], v[14:15], -v[4:5]
	buffer_store_dword v3, v1, s[0:3], 0 offen offset:84
	buffer_store_dword v2, v1, s[0:3], 0 offen offset:80
	;; [unrolled: 1-line block ×4, first 2 shown]
	s_cbranch_scc1 .LBB123_104
.LBB123_105:
	s_or_b64 exec, exec, s[6:7]
	v_cmp_eq_u32_e32 vcc, 8, v0
	s_waitcnt vmcnt(0)
	s_barrier
	s_and_saveexec_b64 s[8:9], vcc
	s_cbranch_execz .LBB123_116
; %bb.106:
	v_mov_b32_e32 v4, s73
	buffer_load_dword v1, v4, s[0:3], 0 offen
	buffer_load_dword v2, v4, s[0:3], 0 offen offset:4
	buffer_load_dword v3, v4, s[0:3], 0 offen offset:8
	s_nop 0
	buffer_load_dword v4, v4, s[0:3], 0 offen offset:12
	s_movk_i32 s10, 0x90
	s_waitcnt vmcnt(0)
	ds_write2_b64 v125, v[1:2], v[3:4] offset1:1
	s_branch .LBB123_108
.LBB123_107:                            ;   in Loop: Header=BB123_108 Depth=1
	s_andn2_b64 vcc, exec, s[6:7]
	s_cbranch_vccz .LBB123_110
.LBB123_108:                            ; =>This Inner Loop Header: Depth=1
	v_mov_b32_e32 v8, s10
	buffer_load_dword v2, v8, s[0:3], 0 offen
	buffer_load_dword v3, v8, s[0:3], 0 offen offset:4
	buffer_load_dword v4, v8, s[0:3], 0 offen offset:8
	;; [unrolled: 1-line block ×15, first 2 shown]
	v_add_u32_e32 v1, s10, v121
	s_mov_b32 s11, s10
	s_mov_b64 s[6:7], -1
	s_cmpk_eq_i32 s10, 0x390
	s_waitcnt vmcnt(12)
	ds_write2_b64 v1, v[2:3], v[4:5] offset1:1
	s_waitcnt vmcnt(8)
	ds_write2_b64 v1, v[6:7], v[10:11] offset0:2 offset1:3
	s_waitcnt vmcnt(4)
	ds_write2_b64 v1, v[12:13], v[14:15] offset0:4 offset1:5
	s_waitcnt vmcnt(0)
	ds_write2_b64 v1, v[16:17], v[18:19] offset0:6 offset1:7
	buffer_load_dword v3, v8, s[0:3], 0 offen offset:76
	buffer_load_dword v2, v8, s[0:3], 0 offen offset:72
	;; [unrolled: 1-line block ×4, first 2 shown]
	s_waitcnt vmcnt(0)
	ds_write2_b64 v1, v[4:5], v[2:3] offset0:8 offset1:9
	s_cbranch_scc1 .LBB123_107
; %bb.109:                              ;   in Loop: Header=BB123_108 Depth=1
	v_mov_b32_e32 v8, s11
	buffer_load_dword v2, v8, s[0:3], 0 offen offset:80
	buffer_load_dword v3, v8, s[0:3], 0 offen offset:84
	;; [unrolled: 1-line block ×12, first 2 shown]
	s_addk_i32 s10, 0x80
	s_mov_b64 s[6:7], 0
	s_waitcnt vmcnt(8)
	ds_write2_b64 v1, v[2:3], v[4:5] offset0:10 offset1:11
	s_waitcnt vmcnt(4)
	ds_write2_b64 v1, v[6:7], v[10:11] offset0:12 offset1:13
	;; [unrolled: 2-line block ×3, first 2 shown]
	s_branch .LBB123_107
.LBB123_110:
	ds_read2_b64 v[1:4], v125 offset1:1
	s_waitcnt lgkmcnt(0)
	v_cmp_neq_f64_e32 vcc, 0, v[1:2]
	v_cmp_neq_f64_e64 s[6:7], 0, v[3:4]
	s_or_b64 s[6:7], vcc, s[6:7]
	s_and_b64 exec, exec, s[6:7]
	s_cbranch_execz .LBB123_116
; %bb.111:
	v_cmp_ngt_f64_e64 s[6:7], |v[1:2]|, |v[3:4]|
                                        ; implicit-def: $vgpr5_vgpr6
	s_and_saveexec_b64 s[10:11], s[6:7]
	s_xor_b64 s[6:7], exec, s[10:11]
                                        ; implicit-def: $vgpr7_vgpr8
	s_cbranch_execz .LBB123_113
; %bb.112:
	v_div_scale_f64 v[5:6], s[10:11], v[3:4], v[3:4], v[1:2]
	v_rcp_f64_e32 v[7:8], v[5:6]
	v_fma_f64 v[10:11], -v[5:6], v[7:8], 1.0
	v_fma_f64 v[7:8], v[7:8], v[10:11], v[7:8]
	v_div_scale_f64 v[10:11], vcc, v[1:2], v[3:4], v[1:2]
	v_fma_f64 v[12:13], -v[5:6], v[7:8], 1.0
	v_fma_f64 v[7:8], v[7:8], v[12:13], v[7:8]
	v_mul_f64 v[12:13], v[10:11], v[7:8]
	v_fma_f64 v[5:6], -v[5:6], v[12:13], v[10:11]
	v_div_fmas_f64 v[5:6], v[5:6], v[7:8], v[12:13]
	v_div_fixup_f64 v[5:6], v[5:6], v[3:4], v[1:2]
	v_fma_f64 v[1:2], v[1:2], v[5:6], v[3:4]
	v_div_scale_f64 v[3:4], s[10:11], v[1:2], v[1:2], 1.0
	v_div_scale_f64 v[12:13], vcc, 1.0, v[1:2], 1.0
	v_rcp_f64_e32 v[7:8], v[3:4]
	v_fma_f64 v[10:11], -v[3:4], v[7:8], 1.0
	v_fma_f64 v[7:8], v[7:8], v[10:11], v[7:8]
	v_fma_f64 v[10:11], -v[3:4], v[7:8], 1.0
	v_fma_f64 v[7:8], v[7:8], v[10:11], v[7:8]
	v_mul_f64 v[10:11], v[12:13], v[7:8]
	v_fma_f64 v[3:4], -v[3:4], v[10:11], v[12:13]
	v_div_fmas_f64 v[3:4], v[3:4], v[7:8], v[10:11]
	v_div_fixup_f64 v[7:8], v[3:4], v[1:2], 1.0
                                        ; implicit-def: $vgpr1_vgpr2
	v_mul_f64 v[5:6], v[5:6], v[7:8]
	v_xor_b32_e32 v8, 0x80000000, v8
.LBB123_113:
	s_andn2_saveexec_b64 s[6:7], s[6:7]
	s_cbranch_execz .LBB123_115
; %bb.114:
	v_div_scale_f64 v[5:6], s[10:11], v[1:2], v[1:2], v[3:4]
	v_rcp_f64_e32 v[7:8], v[5:6]
	v_fma_f64 v[10:11], -v[5:6], v[7:8], 1.0
	v_fma_f64 v[7:8], v[7:8], v[10:11], v[7:8]
	v_div_scale_f64 v[10:11], vcc, v[3:4], v[1:2], v[3:4]
	v_fma_f64 v[12:13], -v[5:6], v[7:8], 1.0
	v_fma_f64 v[7:8], v[7:8], v[12:13], v[7:8]
	v_mul_f64 v[12:13], v[10:11], v[7:8]
	v_fma_f64 v[5:6], -v[5:6], v[12:13], v[10:11]
	v_div_fmas_f64 v[5:6], v[5:6], v[7:8], v[12:13]
	v_div_fixup_f64 v[7:8], v[5:6], v[1:2], v[3:4]
	v_fma_f64 v[1:2], v[3:4], v[7:8], v[1:2]
	v_div_scale_f64 v[3:4], s[10:11], v[1:2], v[1:2], 1.0
	v_div_scale_f64 v[12:13], vcc, 1.0, v[1:2], 1.0
	v_rcp_f64_e32 v[5:6], v[3:4]
	v_fma_f64 v[10:11], -v[3:4], v[5:6], 1.0
	v_fma_f64 v[5:6], v[5:6], v[10:11], v[5:6]
	v_fma_f64 v[10:11], -v[3:4], v[5:6], 1.0
	v_fma_f64 v[5:6], v[5:6], v[10:11], v[5:6]
	v_mul_f64 v[10:11], v[12:13], v[5:6]
	v_fma_f64 v[3:4], -v[3:4], v[10:11], v[12:13]
	v_div_fmas_f64 v[3:4], v[3:4], v[5:6], v[10:11]
	v_div_fixup_f64 v[5:6], v[3:4], v[1:2], 1.0
	v_mul_f64 v[7:8], v[7:8], -v[5:6]
.LBB123_115:
	s_or_b64 exec, exec, s[6:7]
	ds_write2_b64 v125, v[5:6], v[7:8] offset1:1
.LBB123_116:
	s_or_b64 exec, exec, s[8:9]
	s_waitcnt lgkmcnt(0)
	s_barrier
	ds_read2_b64 v[1:4], v125 offset1:1
	v_cmp_lt_u32_e32 vcc, 8, v0
	s_waitcnt lgkmcnt(0)
	buffer_store_dword v1, off, s[0:3], 0 offset:1568 ; 4-byte Folded Spill
	s_nop 0
	buffer_store_dword v2, off, s[0:3], 0 offset:1572 ; 4-byte Folded Spill
	buffer_store_dword v3, off, s[0:3], 0 offset:1576 ; 4-byte Folded Spill
	;; [unrolled: 1-line block ×3, first 2 shown]
	s_and_saveexec_b64 s[6:7], vcc
	s_cbranch_execz .LBB123_121
; %bb.117:
	buffer_load_dword v1, off, s[0:3], 0 offset:136
	buffer_load_dword v2, off, s[0:3], 0 offset:140
	;; [unrolled: 1-line block ×4, first 2 shown]
	buffer_load_dword v10, off, s[0:3], 0 offset:1568 ; 4-byte Folded Reload
	buffer_load_dword v11, off, s[0:3], 0 offset:1572 ; 4-byte Folded Reload
	;; [unrolled: 1-line block ×4, first 2 shown]
	s_movk_i32 s10, 0x90
	s_waitcnt vmcnt(2)
	v_mul_f64 v[7:8], v[10:11], v[1:2]
	s_waitcnt vmcnt(0)
	v_mul_f64 v[5:6], v[12:13], v[1:2]
	v_fma_f64 v[1:2], v[10:11], v[3:4], -v[5:6]
	v_fma_f64 v[3:4], v[12:13], v[3:4], v[7:8]
	buffer_store_dword v1, off, s[0:3], 0 offset:128
	buffer_store_dword v2, off, s[0:3], 0 offset:132
	;; [unrolled: 1-line block ×4, first 2 shown]
	s_branch .LBB123_119
.LBB123_118:                            ;   in Loop: Header=BB123_119 Depth=1
	s_andn2_b64 vcc, exec, s[8:9]
	s_cbranch_vccz .LBB123_121
.LBB123_119:                            ; =>This Inner Loop Header: Depth=1
	v_add_u32_e32 v5, s10, v121
	ds_read2_b64 v[10:13], v5 offset1:1
	v_mov_b32_e32 v8, s10
	s_mov_b32 s11, s10
	s_mov_b64 s[8:9], -1
	s_cmpk_eq_i32 s10, 0x3d0
	s_waitcnt vmcnt(0) lgkmcnt(0)
	v_mul_f64 v[6:7], v[12:13], v[3:4]
	v_mul_f64 v[3:4], v[10:11], v[3:4]
	v_fma_f64 v[6:7], v[10:11], v[1:2], -v[6:7]
	v_fma_f64 v[1:2], v[12:13], v[1:2], v[3:4]
	buffer_load_dword v3, v8, s[0:3], 0 offen
	buffer_load_dword v4, v8, s[0:3], 0 offen offset:4
	buffer_load_dword v10, v8, s[0:3], 0 offen offset:8
	;; [unrolled: 1-line block ×3, first 2 shown]
	s_waitcnt vmcnt(2)
	v_add_f64 v[3:4], v[3:4], -v[6:7]
	s_waitcnt vmcnt(0)
	v_add_f64 v[1:2], v[10:11], -v[1:2]
	buffer_store_dword v3, v8, s[0:3], 0 offen
	buffer_store_dword v4, v8, s[0:3], 0 offen offset:4
	buffer_store_dword v1, v8, s[0:3], 0 offen offset:8
	;; [unrolled: 1-line block ×3, first 2 shown]
                                        ; implicit-def: $vgpr1_vgpr2
                                        ; implicit-def: $vgpr3_vgpr4
	s_cbranch_scc1 .LBB123_118
; %bb.120:                              ;   in Loop: Header=BB123_119 Depth=1
	buffer_load_dword v6, off, s[0:3], 0 offset:136
	buffer_load_dword v7, off, s[0:3], 0 offset:140
	;; [unrolled: 1-line block ×4, first 2 shown]
	v_mov_b32_e32 v8, s11
	buffer_load_dword v12, v8, s[0:3], 0 offen offset:16
	buffer_load_dword v13, v8, s[0:3], 0 offen offset:20
	;; [unrolled: 1-line block ×4, first 2 shown]
	ds_read2_b64 v[1:4], v5 offset0:2 offset1:3
	s_add_i32 s10, s10, 64
	s_mov_b64 s[8:9], 0
	s_waitcnt vmcnt(6) lgkmcnt(0)
	v_mul_f64 v[16:17], v[3:4], v[6:7]
	v_mul_f64 v[6:7], v[1:2], v[6:7]
	s_waitcnt vmcnt(4)
	v_fma_f64 v[1:2], v[1:2], v[10:11], -v[16:17]
	v_fma_f64 v[3:4], v[3:4], v[10:11], v[6:7]
	s_waitcnt vmcnt(2)
	v_add_f64 v[1:2], v[12:13], -v[1:2]
	s_waitcnt vmcnt(0)
	v_add_f64 v[3:4], v[14:15], -v[3:4]
	buffer_store_dword v2, v8, s[0:3], 0 offen offset:20
	buffer_store_dword v1, v8, s[0:3], 0 offen offset:16
	;; [unrolled: 1-line block ×4, first 2 shown]
	buffer_load_dword v7, off, s[0:3], 0 offset:140
	buffer_load_dword v6, off, s[0:3], 0 offset:136
	;; [unrolled: 1-line block ×4, first 2 shown]
	buffer_load_dword v13, v8, s[0:3], 0 offen offset:36
	buffer_load_dword v12, v8, s[0:3], 0 offen offset:32
	;; [unrolled: 1-line block ×4, first 2 shown]
	ds_read2_b64 v[1:4], v5 offset0:4 offset1:5
	s_waitcnt vmcnt(6) lgkmcnt(0)
	v_mul_f64 v[16:17], v[3:4], v[6:7]
	v_mul_f64 v[6:7], v[1:2], v[6:7]
	s_waitcnt vmcnt(4)
	v_fma_f64 v[1:2], v[1:2], v[10:11], -v[16:17]
	v_fma_f64 v[3:4], v[3:4], v[10:11], v[6:7]
	s_waitcnt vmcnt(2)
	v_add_f64 v[1:2], v[12:13], -v[1:2]
	s_waitcnt vmcnt(0)
	v_add_f64 v[3:4], v[14:15], -v[3:4]
	buffer_store_dword v2, v8, s[0:3], 0 offen offset:36
	buffer_store_dword v1, v8, s[0:3], 0 offen offset:32
	;; [unrolled: 1-line block ×4, first 2 shown]
	buffer_load_dword v6, off, s[0:3], 0 offset:136
	buffer_load_dword v7, off, s[0:3], 0 offset:140
	buffer_load_dword v10, off, s[0:3], 0 offset:128
	buffer_load_dword v11, off, s[0:3], 0 offset:132
	buffer_load_dword v13, v8, s[0:3], 0 offen offset:52
	buffer_load_dword v12, v8, s[0:3], 0 offen offset:48
	;; [unrolled: 1-line block ×4, first 2 shown]
	ds_read2_b64 v[1:4], v5 offset0:6 offset1:7
	s_waitcnt vmcnt(6) lgkmcnt(0)
	v_mul_f64 v[16:17], v[3:4], v[6:7]
	v_mul_f64 v[5:6], v[1:2], v[6:7]
	s_waitcnt vmcnt(4)
	v_fma_f64 v[1:2], v[1:2], v[10:11], -v[16:17]
	v_fma_f64 v[3:4], v[3:4], v[10:11], v[5:6]
	s_waitcnt vmcnt(2)
	v_add_f64 v[1:2], v[12:13], -v[1:2]
	s_waitcnt vmcnt(0)
	v_add_f64 v[3:4], v[14:15], -v[3:4]
	buffer_store_dword v2, v8, s[0:3], 0 offen offset:52
	buffer_store_dword v1, v8, s[0:3], 0 offen offset:48
	;; [unrolled: 1-line block ×4, first 2 shown]
	buffer_load_dword v1, off, s[0:3], 0 offset:128
	s_nop 0
	buffer_load_dword v2, off, s[0:3], 0 offset:132
	buffer_load_dword v3, off, s[0:3], 0 offset:136
	;; [unrolled: 1-line block ×3, first 2 shown]
	s_branch .LBB123_118
.LBB123_121:
	s_or_b64 exec, exec, s[6:7]
	v_cmp_eq_u32_e32 vcc, 9, v0
	s_waitcnt vmcnt(0)
	s_barrier
	s_and_saveexec_b64 s[8:9], vcc
	s_cbranch_execz .LBB123_130
; %bb.122:
	v_mov_b32_e32 v4, s91
	buffer_load_dword v1, v4, s[0:3], 0 offen
	buffer_load_dword v2, v4, s[0:3], 0 offen offset:4
	buffer_load_dword v3, v4, s[0:3], 0 offen offset:8
	s_nop 0
	buffer_load_dword v4, v4, s[0:3], 0 offen offset:12
	s_movk_i32 s6, 0xa0
	s_waitcnt vmcnt(0)
	ds_write2_b64 v125, v[1:2], v[3:4] offset1:1
.LBB123_123:                            ; =>This Inner Loop Header: Depth=1
	v_mov_b32_e32 v18, s6
	buffer_load_dword v1, v18, s[0:3], 0 offen
	buffer_load_dword v2, v18, s[0:3], 0 offen offset:4
	buffer_load_dword v3, v18, s[0:3], 0 offen offset:8
	;; [unrolled: 1-line block ×15, first 2 shown]
	v_add_u32_e32 v19, s6, v121
	s_addk_i32 s6, 0xd0
	s_cmpk_lg_i32 s6, 0x3e0
	s_waitcnt vmcnt(12)
	ds_write2_b64 v19, v[1:2], v[3:4] offset1:1
	s_waitcnt vmcnt(8)
	ds_write2_b64 v19, v[5:6], v[7:8] offset0:2 offset1:3
	s_waitcnt vmcnt(4)
	ds_write2_b64 v19, v[10:11], v[12:13] offset0:4 offset1:5
	;; [unrolled: 2-line block ×3, first 2 shown]
	buffer_load_dword v2, v18, s[0:3], 0 offen offset:76
	buffer_load_dword v1, v18, s[0:3], 0 offen offset:72
	buffer_load_dword v4, v18, s[0:3], 0 offen offset:68
	buffer_load_dword v3, v18, s[0:3], 0 offen offset:64
	s_waitcnt vmcnt(0)
	ds_write2_b64 v19, v[3:4], v[1:2] offset0:8 offset1:9
	buffer_load_dword v2, v18, s[0:3], 0 offen offset:92
	buffer_load_dword v1, v18, s[0:3], 0 offen offset:88
	buffer_load_dword v4, v18, s[0:3], 0 offen offset:84
	buffer_load_dword v3, v18, s[0:3], 0 offen offset:80
	s_waitcnt vmcnt(0)
	ds_write2_b64 v19, v[3:4], v[1:2] offset0:10 offset1:11
	;; [unrolled: 6-line block ×9, first 2 shown]
	s_cbranch_scc1 .LBB123_123
; %bb.124:
	ds_read2_b64 v[1:4], v125 offset1:1
	s_waitcnt lgkmcnt(0)
	v_cmp_neq_f64_e32 vcc, 0, v[1:2]
	v_cmp_neq_f64_e64 s[6:7], 0, v[3:4]
	s_or_b64 s[6:7], vcc, s[6:7]
	s_and_b64 exec, exec, s[6:7]
	s_cbranch_execz .LBB123_130
; %bb.125:
	v_cmp_ngt_f64_e64 s[6:7], |v[1:2]|, |v[3:4]|
                                        ; implicit-def: $vgpr5_vgpr6
	s_and_saveexec_b64 s[10:11], s[6:7]
	s_xor_b64 s[6:7], exec, s[10:11]
                                        ; implicit-def: $vgpr7_vgpr8
	s_cbranch_execz .LBB123_127
; %bb.126:
	v_div_scale_f64 v[5:6], s[10:11], v[3:4], v[3:4], v[1:2]
	v_rcp_f64_e32 v[7:8], v[5:6]
	v_fma_f64 v[10:11], -v[5:6], v[7:8], 1.0
	v_fma_f64 v[7:8], v[7:8], v[10:11], v[7:8]
	v_div_scale_f64 v[10:11], vcc, v[1:2], v[3:4], v[1:2]
	v_fma_f64 v[12:13], -v[5:6], v[7:8], 1.0
	v_fma_f64 v[7:8], v[7:8], v[12:13], v[7:8]
	v_mul_f64 v[12:13], v[10:11], v[7:8]
	v_fma_f64 v[5:6], -v[5:6], v[12:13], v[10:11]
	v_div_fmas_f64 v[5:6], v[5:6], v[7:8], v[12:13]
	v_div_fixup_f64 v[5:6], v[5:6], v[3:4], v[1:2]
	v_fma_f64 v[1:2], v[1:2], v[5:6], v[3:4]
	v_div_scale_f64 v[3:4], s[10:11], v[1:2], v[1:2], 1.0
	v_div_scale_f64 v[12:13], vcc, 1.0, v[1:2], 1.0
	v_rcp_f64_e32 v[7:8], v[3:4]
	v_fma_f64 v[10:11], -v[3:4], v[7:8], 1.0
	v_fma_f64 v[7:8], v[7:8], v[10:11], v[7:8]
	v_fma_f64 v[10:11], -v[3:4], v[7:8], 1.0
	v_fma_f64 v[7:8], v[7:8], v[10:11], v[7:8]
	v_mul_f64 v[10:11], v[12:13], v[7:8]
	v_fma_f64 v[3:4], -v[3:4], v[10:11], v[12:13]
	v_div_fmas_f64 v[3:4], v[3:4], v[7:8], v[10:11]
	v_div_fixup_f64 v[7:8], v[3:4], v[1:2], 1.0
                                        ; implicit-def: $vgpr1_vgpr2
	v_mul_f64 v[5:6], v[5:6], v[7:8]
	v_xor_b32_e32 v8, 0x80000000, v8
.LBB123_127:
	s_andn2_saveexec_b64 s[6:7], s[6:7]
	s_cbranch_execz .LBB123_129
; %bb.128:
	v_div_scale_f64 v[5:6], s[10:11], v[1:2], v[1:2], v[3:4]
	v_rcp_f64_e32 v[7:8], v[5:6]
	v_fma_f64 v[10:11], -v[5:6], v[7:8], 1.0
	v_fma_f64 v[7:8], v[7:8], v[10:11], v[7:8]
	v_div_scale_f64 v[10:11], vcc, v[3:4], v[1:2], v[3:4]
	v_fma_f64 v[12:13], -v[5:6], v[7:8], 1.0
	v_fma_f64 v[7:8], v[7:8], v[12:13], v[7:8]
	v_mul_f64 v[12:13], v[10:11], v[7:8]
	v_fma_f64 v[5:6], -v[5:6], v[12:13], v[10:11]
	v_div_fmas_f64 v[5:6], v[5:6], v[7:8], v[12:13]
	v_div_fixup_f64 v[7:8], v[5:6], v[1:2], v[3:4]
	v_fma_f64 v[1:2], v[3:4], v[7:8], v[1:2]
	v_div_scale_f64 v[3:4], s[10:11], v[1:2], v[1:2], 1.0
	v_div_scale_f64 v[12:13], vcc, 1.0, v[1:2], 1.0
	v_rcp_f64_e32 v[5:6], v[3:4]
	v_fma_f64 v[10:11], -v[3:4], v[5:6], 1.0
	v_fma_f64 v[5:6], v[5:6], v[10:11], v[5:6]
	v_fma_f64 v[10:11], -v[3:4], v[5:6], 1.0
	v_fma_f64 v[5:6], v[5:6], v[10:11], v[5:6]
	v_mul_f64 v[10:11], v[12:13], v[5:6]
	v_fma_f64 v[3:4], -v[3:4], v[10:11], v[12:13]
	v_div_fmas_f64 v[3:4], v[3:4], v[5:6], v[10:11]
	v_div_fixup_f64 v[5:6], v[3:4], v[1:2], 1.0
	v_mul_f64 v[7:8], v[7:8], -v[5:6]
.LBB123_129:
	s_or_b64 exec, exec, s[6:7]
	ds_write2_b64 v125, v[5:6], v[7:8] offset1:1
.LBB123_130:
	s_or_b64 exec, exec, s[8:9]
	s_waitcnt lgkmcnt(0)
	s_barrier
	ds_read2_b64 v[1:4], v125 offset1:1
	v_cmp_lt_u32_e32 vcc, 9, v0
	s_waitcnt lgkmcnt(0)
	buffer_store_dword v1, off, s[0:3], 0 offset:1584 ; 4-byte Folded Spill
	s_nop 0
	buffer_store_dword v2, off, s[0:3], 0 offset:1588 ; 4-byte Folded Spill
	buffer_store_dword v3, off, s[0:3], 0 offset:1592 ; 4-byte Folded Spill
	;; [unrolled: 1-line block ×3, first 2 shown]
	s_and_saveexec_b64 s[6:7], vcc
	s_cbranch_execz .LBB123_133
; %bb.131:
	buffer_load_dword v1, off, s[0:3], 0 offset:152
	buffer_load_dword v2, off, s[0:3], 0 offset:156
	;; [unrolled: 1-line block ×4, first 2 shown]
	buffer_load_dword v10, off, s[0:3], 0 offset:1584 ; 4-byte Folded Reload
	buffer_load_dword v11, off, s[0:3], 0 offset:1588 ; 4-byte Folded Reload
	;; [unrolled: 1-line block ×4, first 2 shown]
	s_movk_i32 s8, 0xa0
	s_waitcnt vmcnt(0)
	v_mul_f64 v[5:6], v[12:13], v[1:2]
	v_mul_f64 v[1:2], v[10:11], v[1:2]
	v_fma_f64 v[5:6], v[10:11], v[3:4], -v[5:6]
	v_fma_f64 v[1:2], v[12:13], v[3:4], v[1:2]
	buffer_store_dword v5, off, s[0:3], 0 offset:144
	buffer_store_dword v6, off, s[0:3], 0 offset:148
	;; [unrolled: 1-line block ×4, first 2 shown]
.LBB123_132:                            ; =>This Inner Loop Header: Depth=1
	buffer_load_dword v7, off, s[0:3], 0 offset:152
	buffer_load_dword v8, off, s[0:3], 0 offset:156
	;; [unrolled: 1-line block ×4, first 2 shown]
	v_mov_b32_e32 v1, s8
	buffer_load_dword v12, v1, s[0:3], 0 offen
	buffer_load_dword v13, v1, s[0:3], 0 offen offset:4
	buffer_load_dword v14, v1, s[0:3], 0 offen offset:8
	;; [unrolled: 1-line block ×3, first 2 shown]
	v_add_u32_e32 v2, s8, v121
	ds_read2_b64 v[3:6], v2 offset1:1
	buffer_load_dword v16, v1, s[0:3], 0 offen offset:16
	buffer_load_dword v17, v1, s[0:3], 0 offen offset:20
	;; [unrolled: 1-line block ×3, first 2 shown]
	s_add_i32 s8, s8, 64
	s_cmpk_lg_i32 s8, 0x3e0
	s_waitcnt vmcnt(9) lgkmcnt(0)
	v_mul_f64 v[19:20], v[5:6], v[7:8]
	v_mul_f64 v[7:8], v[3:4], v[7:8]
	s_waitcnt vmcnt(7)
	v_fma_f64 v[3:4], v[3:4], v[10:11], -v[19:20]
	v_fma_f64 v[5:6], v[5:6], v[10:11], v[7:8]
	s_waitcnt vmcnt(5)
	v_add_f64 v[3:4], v[12:13], -v[3:4]
	s_waitcnt vmcnt(3)
	v_add_f64 v[5:6], v[14:15], -v[5:6]
	buffer_store_dword v4, v1, s[0:3], 0 offen offset:4
	buffer_store_dword v3, v1, s[0:3], 0 offen
	buffer_store_dword v6, v1, s[0:3], 0 offen offset:12
	buffer_store_dword v5, v1, s[0:3], 0 offen offset:8
	buffer_load_dword v8, off, s[0:3], 0 offset:156
	buffer_load_dword v7, off, s[0:3], 0 offset:152
	;; [unrolled: 1-line block ×4, first 2 shown]
	buffer_load_dword v19, v1, s[0:3], 0 offen offset:28
	ds_read2_b64 v[3:6], v2 offset0:2 offset1:3
	buffer_load_dword v12, v1, s[0:3], 0 offen offset:32
	s_waitcnt vmcnt(4) lgkmcnt(0)
	v_mul_f64 v[13:14], v[5:6], v[7:8]
	v_mul_f64 v[7:8], v[3:4], v[7:8]
	s_waitcnt vmcnt(2)
	v_fma_f64 v[3:4], v[3:4], v[10:11], -v[13:14]
	v_fma_f64 v[5:6], v[5:6], v[10:11], v[7:8]
	v_add_f64 v[3:4], v[16:17], -v[3:4]
	s_waitcnt vmcnt(1)
	v_add_f64 v[5:6], v[18:19], -v[5:6]
	buffer_store_dword v4, v1, s[0:3], 0 offen offset:20
	buffer_store_dword v3, v1, s[0:3], 0 offen offset:16
	;; [unrolled: 1-line block ×4, first 2 shown]
	buffer_load_dword v7, off, s[0:3], 0 offset:152
	buffer_load_dword v8, off, s[0:3], 0 offset:156
	;; [unrolled: 1-line block ×4, first 2 shown]
	buffer_load_dword v13, v1, s[0:3], 0 offen offset:36
	buffer_load_dword v14, v1, s[0:3], 0 offen offset:40
	;; [unrolled: 1-line block ×3, first 2 shown]
	ds_read2_b64 v[3:6], v2 offset0:4 offset1:5
	s_waitcnt vmcnt(5) lgkmcnt(0)
	v_mul_f64 v[16:17], v[5:6], v[7:8]
	v_mul_f64 v[7:8], v[3:4], v[7:8]
	s_waitcnt vmcnt(3)
	v_fma_f64 v[3:4], v[3:4], v[10:11], -v[16:17]
	v_fma_f64 v[5:6], v[5:6], v[10:11], v[7:8]
	s_waitcnt vmcnt(2)
	v_add_f64 v[3:4], v[12:13], -v[3:4]
	s_waitcnt vmcnt(0)
	v_add_f64 v[5:6], v[14:15], -v[5:6]
	buffer_store_dword v4, v1, s[0:3], 0 offen offset:36
	buffer_store_dword v3, v1, s[0:3], 0 offen offset:32
	;; [unrolled: 1-line block ×4, first 2 shown]
	buffer_load_dword v6, off, s[0:3], 0 offset:152
	s_nop 0
	buffer_load_dword v7, off, s[0:3], 0 offset:156
	buffer_load_dword v10, off, s[0:3], 0 offset:144
	;; [unrolled: 1-line block ×3, first 2 shown]
	buffer_load_dword v12, v1, s[0:3], 0 offen offset:48
	buffer_load_dword v13, v1, s[0:3], 0 offen offset:52
	;; [unrolled: 1-line block ×4, first 2 shown]
	ds_read2_b64 v[2:5], v2 offset0:6 offset1:7
	s_waitcnt vmcnt(6) lgkmcnt(0)
	v_mul_f64 v[16:17], v[4:5], v[6:7]
	v_mul_f64 v[6:7], v[2:3], v[6:7]
	s_waitcnt vmcnt(4)
	v_fma_f64 v[2:3], v[2:3], v[10:11], -v[16:17]
	v_fma_f64 v[4:5], v[4:5], v[10:11], v[6:7]
	s_waitcnt vmcnt(2)
	v_add_f64 v[2:3], v[12:13], -v[2:3]
	s_waitcnt vmcnt(0)
	v_add_f64 v[4:5], v[14:15], -v[4:5]
	buffer_store_dword v3, v1, s[0:3], 0 offen offset:52
	buffer_store_dword v2, v1, s[0:3], 0 offen offset:48
	buffer_store_dword v5, v1, s[0:3], 0 offen offset:60
	buffer_store_dword v4, v1, s[0:3], 0 offen offset:56
	s_cbranch_scc1 .LBB123_132
.LBB123_133:
	s_or_b64 exec, exec, s[6:7]
	v_cmp_eq_u32_e32 vcc, 10, v0
	s_waitcnt vmcnt(0)
	s_barrier
	s_and_saveexec_b64 s[8:9], vcc
	s_cbranch_execz .LBB123_142
; %bb.134:
	v_mov_b32_e32 v4, s17
	buffer_load_dword v1, v4, s[0:3], 0 offen
	buffer_load_dword v2, v4, s[0:3], 0 offen offset:4
	buffer_load_dword v3, v4, s[0:3], 0 offen offset:8
	s_nop 0
	buffer_load_dword v4, v4, s[0:3], 0 offen offset:12
	s_movk_i32 s6, 0xb0
	s_waitcnt vmcnt(0)
	ds_write2_b64 v125, v[1:2], v[3:4] offset1:1
.LBB123_135:                            ; =>This Inner Loop Header: Depth=1
	v_mov_b32_e32 v18, s6
	buffer_load_dword v1, v18, s[0:3], 0 offen
	buffer_load_dword v2, v18, s[0:3], 0 offen offset:4
	buffer_load_dword v3, v18, s[0:3], 0 offen offset:8
	;; [unrolled: 1-line block ×15, first 2 shown]
	v_add_u32_e32 v19, s6, v121
	s_addk_i32 s6, 0x110
	s_cmpk_lg_i32 s6, 0x3e0
	s_waitcnt vmcnt(12)
	ds_write2_b64 v19, v[1:2], v[3:4] offset1:1
	s_waitcnt vmcnt(8)
	ds_write2_b64 v19, v[5:6], v[7:8] offset0:2 offset1:3
	s_waitcnt vmcnt(4)
	ds_write2_b64 v19, v[10:11], v[12:13] offset0:4 offset1:5
	s_waitcnt vmcnt(0)
	ds_write2_b64 v19, v[14:15], v[16:17] offset0:6 offset1:7
	buffer_load_dword v2, v18, s[0:3], 0 offen offset:76
	buffer_load_dword v1, v18, s[0:3], 0 offen offset:72
	buffer_load_dword v4, v18, s[0:3], 0 offen offset:68
	buffer_load_dword v3, v18, s[0:3], 0 offen offset:64
	s_waitcnt vmcnt(0)
	ds_write2_b64 v19, v[3:4], v[1:2] offset0:8 offset1:9
	buffer_load_dword v2, v18, s[0:3], 0 offen offset:92
	buffer_load_dword v1, v18, s[0:3], 0 offen offset:88
	buffer_load_dword v4, v18, s[0:3], 0 offen offset:84
	buffer_load_dword v3, v18, s[0:3], 0 offen offset:80
	s_waitcnt vmcnt(0)
	ds_write2_b64 v19, v[3:4], v[1:2] offset0:10 offset1:11
	;; [unrolled: 6-line block ×13, first 2 shown]
	s_cbranch_scc1 .LBB123_135
; %bb.136:
	ds_read2_b64 v[1:4], v125 offset1:1
	s_waitcnt lgkmcnt(0)
	v_cmp_neq_f64_e32 vcc, 0, v[1:2]
	v_cmp_neq_f64_e64 s[6:7], 0, v[3:4]
	s_or_b64 s[6:7], vcc, s[6:7]
	s_and_b64 exec, exec, s[6:7]
	s_cbranch_execz .LBB123_142
; %bb.137:
	v_cmp_ngt_f64_e64 s[6:7], |v[1:2]|, |v[3:4]|
                                        ; implicit-def: $vgpr5_vgpr6
	s_and_saveexec_b64 s[10:11], s[6:7]
	s_xor_b64 s[6:7], exec, s[10:11]
                                        ; implicit-def: $vgpr7_vgpr8
	s_cbranch_execz .LBB123_139
; %bb.138:
	v_div_scale_f64 v[5:6], s[10:11], v[3:4], v[3:4], v[1:2]
	v_rcp_f64_e32 v[7:8], v[5:6]
	v_fma_f64 v[10:11], -v[5:6], v[7:8], 1.0
	v_fma_f64 v[7:8], v[7:8], v[10:11], v[7:8]
	v_div_scale_f64 v[10:11], vcc, v[1:2], v[3:4], v[1:2]
	v_fma_f64 v[12:13], -v[5:6], v[7:8], 1.0
	v_fma_f64 v[7:8], v[7:8], v[12:13], v[7:8]
	v_mul_f64 v[12:13], v[10:11], v[7:8]
	v_fma_f64 v[5:6], -v[5:6], v[12:13], v[10:11]
	v_div_fmas_f64 v[5:6], v[5:6], v[7:8], v[12:13]
	v_div_fixup_f64 v[5:6], v[5:6], v[3:4], v[1:2]
	v_fma_f64 v[1:2], v[1:2], v[5:6], v[3:4]
	v_div_scale_f64 v[3:4], s[10:11], v[1:2], v[1:2], 1.0
	v_div_scale_f64 v[12:13], vcc, 1.0, v[1:2], 1.0
	v_rcp_f64_e32 v[7:8], v[3:4]
	v_fma_f64 v[10:11], -v[3:4], v[7:8], 1.0
	v_fma_f64 v[7:8], v[7:8], v[10:11], v[7:8]
	v_fma_f64 v[10:11], -v[3:4], v[7:8], 1.0
	v_fma_f64 v[7:8], v[7:8], v[10:11], v[7:8]
	v_mul_f64 v[10:11], v[12:13], v[7:8]
	v_fma_f64 v[3:4], -v[3:4], v[10:11], v[12:13]
	v_div_fmas_f64 v[3:4], v[3:4], v[7:8], v[10:11]
	v_div_fixup_f64 v[7:8], v[3:4], v[1:2], 1.0
                                        ; implicit-def: $vgpr1_vgpr2
	v_mul_f64 v[5:6], v[5:6], v[7:8]
	v_xor_b32_e32 v8, 0x80000000, v8
.LBB123_139:
	s_andn2_saveexec_b64 s[6:7], s[6:7]
	s_cbranch_execz .LBB123_141
; %bb.140:
	v_div_scale_f64 v[5:6], s[10:11], v[1:2], v[1:2], v[3:4]
	v_rcp_f64_e32 v[7:8], v[5:6]
	v_fma_f64 v[10:11], -v[5:6], v[7:8], 1.0
	v_fma_f64 v[7:8], v[7:8], v[10:11], v[7:8]
	v_div_scale_f64 v[10:11], vcc, v[3:4], v[1:2], v[3:4]
	v_fma_f64 v[12:13], -v[5:6], v[7:8], 1.0
	v_fma_f64 v[7:8], v[7:8], v[12:13], v[7:8]
	v_mul_f64 v[12:13], v[10:11], v[7:8]
	v_fma_f64 v[5:6], -v[5:6], v[12:13], v[10:11]
	v_div_fmas_f64 v[5:6], v[5:6], v[7:8], v[12:13]
	v_div_fixup_f64 v[7:8], v[5:6], v[1:2], v[3:4]
	v_fma_f64 v[1:2], v[3:4], v[7:8], v[1:2]
	v_div_scale_f64 v[3:4], s[10:11], v[1:2], v[1:2], 1.0
	v_div_scale_f64 v[12:13], vcc, 1.0, v[1:2], 1.0
	v_rcp_f64_e32 v[5:6], v[3:4]
	v_fma_f64 v[10:11], -v[3:4], v[5:6], 1.0
	v_fma_f64 v[5:6], v[5:6], v[10:11], v[5:6]
	v_fma_f64 v[10:11], -v[3:4], v[5:6], 1.0
	v_fma_f64 v[5:6], v[5:6], v[10:11], v[5:6]
	v_mul_f64 v[10:11], v[12:13], v[5:6]
	v_fma_f64 v[3:4], -v[3:4], v[10:11], v[12:13]
	v_div_fmas_f64 v[3:4], v[3:4], v[5:6], v[10:11]
	v_div_fixup_f64 v[5:6], v[3:4], v[1:2], 1.0
	v_mul_f64 v[7:8], v[7:8], -v[5:6]
.LBB123_141:
	s_or_b64 exec, exec, s[6:7]
	ds_write2_b64 v125, v[5:6], v[7:8] offset1:1
.LBB123_142:
	s_or_b64 exec, exec, s[8:9]
	s_waitcnt lgkmcnt(0)
	s_barrier
	ds_read2_b64 v[1:4], v125 offset1:1
	v_cmp_lt_u32_e32 vcc, 10, v0
	s_waitcnt lgkmcnt(0)
	buffer_store_dword v1, off, s[0:3], 0 offset:1600 ; 4-byte Folded Spill
	s_nop 0
	buffer_store_dword v2, off, s[0:3], 0 offset:1604 ; 4-byte Folded Spill
	buffer_store_dword v3, off, s[0:3], 0 offset:1608 ; 4-byte Folded Spill
	;; [unrolled: 1-line block ×3, first 2 shown]
	s_and_saveexec_b64 s[6:7], vcc
	s_cbranch_execz .LBB123_145
; %bb.143:
	buffer_load_dword v1, off, s[0:3], 0 offset:168
	buffer_load_dword v2, off, s[0:3], 0 offset:172
	;; [unrolled: 1-line block ×4, first 2 shown]
	buffer_load_dword v10, off, s[0:3], 0 offset:1600 ; 4-byte Folded Reload
	buffer_load_dword v11, off, s[0:3], 0 offset:1604 ; 4-byte Folded Reload
	;; [unrolled: 1-line block ×4, first 2 shown]
	s_movk_i32 s8, 0xb0
	s_waitcnt vmcnt(0)
	v_mul_f64 v[5:6], v[12:13], v[1:2]
	v_mul_f64 v[1:2], v[10:11], v[1:2]
	v_fma_f64 v[5:6], v[10:11], v[3:4], -v[5:6]
	v_fma_f64 v[1:2], v[12:13], v[3:4], v[1:2]
	buffer_store_dword v5, off, s[0:3], 0 offset:160
	buffer_store_dword v6, off, s[0:3], 0 offset:164
	;; [unrolled: 1-line block ×4, first 2 shown]
.LBB123_144:                            ; =>This Inner Loop Header: Depth=1
	buffer_load_dword v5, off, s[0:3], 0 offset:168
	s_nop 0
	buffer_load_dword v6, off, s[0:3], 0 offset:172
	buffer_load_dword v7, off, s[0:3], 0 offset:160
	;; [unrolled: 1-line block ×3, first 2 shown]
	v_mov_b32_e32 v17, s8
	buffer_load_dword v10, v17, s[0:3], 0 offen
	buffer_load_dword v11, v17, s[0:3], 0 offen offset:4
	buffer_load_dword v12, v17, s[0:3], 0 offen offset:8
	;; [unrolled: 1-line block ×3, first 2 shown]
	v_add_u32_e32 v18, s8, v121
	ds_read2_b64 v[1:4], v18 offset1:1
	buffer_load_dword v14, v17, s[0:3], 0 offen offset:16
	s_add_i32 s8, s8, 48
	s_cmpk_lg_i32 s8, 0x3e0
	s_waitcnt vmcnt(7) lgkmcnt(0)
	v_mul_f64 v[15:16], v[3:4], v[5:6]
	v_mul_f64 v[5:6], v[1:2], v[5:6]
	s_waitcnt vmcnt(5)
	v_fma_f64 v[1:2], v[1:2], v[7:8], -v[15:16]
	v_fma_f64 v[3:4], v[3:4], v[7:8], v[5:6]
	s_waitcnt vmcnt(3)
	v_add_f64 v[1:2], v[10:11], -v[1:2]
	s_waitcnt vmcnt(1)
	v_add_f64 v[3:4], v[12:13], -v[3:4]
	buffer_store_dword v2, v17, s[0:3], 0 offen offset:4
	buffer_store_dword v1, v17, s[0:3], 0 offen
	buffer_store_dword v4, v17, s[0:3], 0 offen offset:12
	buffer_store_dword v3, v17, s[0:3], 0 offen offset:8
	buffer_load_dword v6, off, s[0:3], 0 offset:172
	buffer_load_dword v5, off, s[0:3], 0 offset:168
	;; [unrolled: 1-line block ×4, first 2 shown]
	buffer_load_dword v15, v17, s[0:3], 0 offen offset:20
	buffer_load_dword v10, v17, s[0:3], 0 offen offset:24
	;; [unrolled: 1-line block ×3, first 2 shown]
	ds_read2_b64 v[1:4], v18 offset0:2 offset1:3
	s_waitcnt vmcnt(5) lgkmcnt(0)
	v_mul_f64 v[12:13], v[3:4], v[5:6]
	v_mul_f64 v[5:6], v[1:2], v[5:6]
	s_waitcnt vmcnt(3)
	v_fma_f64 v[1:2], v[1:2], v[7:8], -v[12:13]
	v_fma_f64 v[3:4], v[3:4], v[7:8], v[5:6]
	s_waitcnt vmcnt(2)
	v_add_f64 v[1:2], v[14:15], -v[1:2]
	s_waitcnt vmcnt(0)
	v_add_f64 v[3:4], v[10:11], -v[3:4]
	buffer_store_dword v2, v17, s[0:3], 0 offen offset:20
	buffer_store_dword v1, v17, s[0:3], 0 offen offset:16
	;; [unrolled: 1-line block ×4, first 2 shown]
	buffer_load_dword v5, off, s[0:3], 0 offset:168
	buffer_load_dword v6, off, s[0:3], 0 offset:172
	;; [unrolled: 1-line block ×4, first 2 shown]
	buffer_load_dword v10, v17, s[0:3], 0 offen offset:32
	buffer_load_dword v11, v17, s[0:3], 0 offen offset:36
	;; [unrolled: 1-line block ×4, first 2 shown]
	ds_read2_b64 v[1:4], v18 offset0:4 offset1:5
	s_waitcnt vmcnt(6) lgkmcnt(0)
	v_mul_f64 v[14:15], v[3:4], v[5:6]
	v_mul_f64 v[5:6], v[1:2], v[5:6]
	s_waitcnt vmcnt(4)
	v_fma_f64 v[1:2], v[1:2], v[7:8], -v[14:15]
	v_fma_f64 v[3:4], v[3:4], v[7:8], v[5:6]
	s_waitcnt vmcnt(2)
	v_add_f64 v[1:2], v[10:11], -v[1:2]
	s_waitcnt vmcnt(0)
	v_add_f64 v[3:4], v[12:13], -v[3:4]
	buffer_store_dword v2, v17, s[0:3], 0 offen offset:36
	buffer_store_dword v1, v17, s[0:3], 0 offen offset:32
	;; [unrolled: 1-line block ×4, first 2 shown]
	s_cbranch_scc1 .LBB123_144
.LBB123_145:
	s_or_b64 exec, exec, s[6:7]
	v_cmp_eq_u32_e32 vcc, 11, v0
	s_waitcnt vmcnt(0)
	s_barrier
	s_and_saveexec_b64 s[8:9], vcc
	s_cbranch_execz .LBB123_154
; %bb.146:
	v_mov_b32_e32 v4, s90
	buffer_load_dword v1, v4, s[0:3], 0 offen
	buffer_load_dword v2, v4, s[0:3], 0 offen offset:4
	buffer_load_dword v3, v4, s[0:3], 0 offen offset:8
	s_nop 0
	buffer_load_dword v4, v4, s[0:3], 0 offen offset:12
	s_movk_i32 s6, 0xc0
	s_waitcnt vmcnt(0)
	ds_write2_b64 v125, v[1:2], v[3:4] offset1:1
.LBB123_147:                            ; =>This Inner Loop Header: Depth=1
	v_mov_b32_e32 v18, s6
	buffer_load_dword v1, v18, s[0:3], 0 offen
	buffer_load_dword v2, v18, s[0:3], 0 offen offset:4
	buffer_load_dword v3, v18, s[0:3], 0 offen offset:8
	;; [unrolled: 1-line block ×15, first 2 shown]
	v_add_u32_e32 v19, s6, v121
	s_addk_i32 s6, 0xa0
	s_cmpk_lg_i32 s6, 0x3e0
	s_waitcnt vmcnt(12)
	ds_write2_b64 v19, v[1:2], v[3:4] offset1:1
	s_waitcnt vmcnt(8)
	ds_write2_b64 v19, v[5:6], v[7:8] offset0:2 offset1:3
	s_waitcnt vmcnt(4)
	ds_write2_b64 v19, v[10:11], v[12:13] offset0:4 offset1:5
	;; [unrolled: 2-line block ×3, first 2 shown]
	buffer_load_dword v2, v18, s[0:3], 0 offen offset:76
	buffer_load_dword v1, v18, s[0:3], 0 offen offset:72
	buffer_load_dword v4, v18, s[0:3], 0 offen offset:68
	buffer_load_dword v3, v18, s[0:3], 0 offen offset:64
	s_waitcnt vmcnt(0)
	ds_write2_b64 v19, v[3:4], v[1:2] offset0:8 offset1:9
	buffer_load_dword v2, v18, s[0:3], 0 offen offset:92
	buffer_load_dword v1, v18, s[0:3], 0 offen offset:88
	buffer_load_dword v4, v18, s[0:3], 0 offen offset:84
	buffer_load_dword v3, v18, s[0:3], 0 offen offset:80
	s_waitcnt vmcnt(0)
	ds_write2_b64 v19, v[3:4], v[1:2] offset0:10 offset1:11
	;; [unrolled: 6-line block ×6, first 2 shown]
	s_cbranch_scc1 .LBB123_147
; %bb.148:
	ds_read2_b64 v[1:4], v125 offset1:1
	s_waitcnt lgkmcnt(0)
	v_cmp_neq_f64_e32 vcc, 0, v[1:2]
	v_cmp_neq_f64_e64 s[6:7], 0, v[3:4]
	s_or_b64 s[6:7], vcc, s[6:7]
	s_and_b64 exec, exec, s[6:7]
	s_cbranch_execz .LBB123_154
; %bb.149:
	v_cmp_ngt_f64_e64 s[6:7], |v[1:2]|, |v[3:4]|
                                        ; implicit-def: $vgpr5_vgpr6
	s_and_saveexec_b64 s[10:11], s[6:7]
	s_xor_b64 s[6:7], exec, s[10:11]
                                        ; implicit-def: $vgpr7_vgpr8
	s_cbranch_execz .LBB123_151
; %bb.150:
	v_div_scale_f64 v[5:6], s[10:11], v[3:4], v[3:4], v[1:2]
	v_rcp_f64_e32 v[7:8], v[5:6]
	v_fma_f64 v[10:11], -v[5:6], v[7:8], 1.0
	v_fma_f64 v[7:8], v[7:8], v[10:11], v[7:8]
	v_div_scale_f64 v[10:11], vcc, v[1:2], v[3:4], v[1:2]
	v_fma_f64 v[12:13], -v[5:6], v[7:8], 1.0
	v_fma_f64 v[7:8], v[7:8], v[12:13], v[7:8]
	v_mul_f64 v[12:13], v[10:11], v[7:8]
	v_fma_f64 v[5:6], -v[5:6], v[12:13], v[10:11]
	v_div_fmas_f64 v[5:6], v[5:6], v[7:8], v[12:13]
	v_div_fixup_f64 v[5:6], v[5:6], v[3:4], v[1:2]
	v_fma_f64 v[1:2], v[1:2], v[5:6], v[3:4]
	v_div_scale_f64 v[3:4], s[10:11], v[1:2], v[1:2], 1.0
	v_div_scale_f64 v[12:13], vcc, 1.0, v[1:2], 1.0
	v_rcp_f64_e32 v[7:8], v[3:4]
	v_fma_f64 v[10:11], -v[3:4], v[7:8], 1.0
	v_fma_f64 v[7:8], v[7:8], v[10:11], v[7:8]
	v_fma_f64 v[10:11], -v[3:4], v[7:8], 1.0
	v_fma_f64 v[7:8], v[7:8], v[10:11], v[7:8]
	v_mul_f64 v[10:11], v[12:13], v[7:8]
	v_fma_f64 v[3:4], -v[3:4], v[10:11], v[12:13]
	v_div_fmas_f64 v[3:4], v[3:4], v[7:8], v[10:11]
	v_div_fixup_f64 v[7:8], v[3:4], v[1:2], 1.0
                                        ; implicit-def: $vgpr1_vgpr2
	v_mul_f64 v[5:6], v[5:6], v[7:8]
	v_xor_b32_e32 v8, 0x80000000, v8
.LBB123_151:
	s_andn2_saveexec_b64 s[6:7], s[6:7]
	s_cbranch_execz .LBB123_153
; %bb.152:
	v_div_scale_f64 v[5:6], s[10:11], v[1:2], v[1:2], v[3:4]
	v_rcp_f64_e32 v[7:8], v[5:6]
	v_fma_f64 v[10:11], -v[5:6], v[7:8], 1.0
	v_fma_f64 v[7:8], v[7:8], v[10:11], v[7:8]
	v_div_scale_f64 v[10:11], vcc, v[3:4], v[1:2], v[3:4]
	v_fma_f64 v[12:13], -v[5:6], v[7:8], 1.0
	v_fma_f64 v[7:8], v[7:8], v[12:13], v[7:8]
	v_mul_f64 v[12:13], v[10:11], v[7:8]
	v_fma_f64 v[5:6], -v[5:6], v[12:13], v[10:11]
	v_div_fmas_f64 v[5:6], v[5:6], v[7:8], v[12:13]
	v_div_fixup_f64 v[7:8], v[5:6], v[1:2], v[3:4]
	v_fma_f64 v[1:2], v[3:4], v[7:8], v[1:2]
	v_div_scale_f64 v[3:4], s[10:11], v[1:2], v[1:2], 1.0
	v_div_scale_f64 v[12:13], vcc, 1.0, v[1:2], 1.0
	v_rcp_f64_e32 v[5:6], v[3:4]
	v_fma_f64 v[10:11], -v[3:4], v[5:6], 1.0
	v_fma_f64 v[5:6], v[5:6], v[10:11], v[5:6]
	v_fma_f64 v[10:11], -v[3:4], v[5:6], 1.0
	v_fma_f64 v[5:6], v[5:6], v[10:11], v[5:6]
	v_mul_f64 v[10:11], v[12:13], v[5:6]
	v_fma_f64 v[3:4], -v[3:4], v[10:11], v[12:13]
	v_div_fmas_f64 v[3:4], v[3:4], v[5:6], v[10:11]
	v_div_fixup_f64 v[5:6], v[3:4], v[1:2], 1.0
	v_mul_f64 v[7:8], v[7:8], -v[5:6]
.LBB123_153:
	s_or_b64 exec, exec, s[6:7]
	ds_write2_b64 v125, v[5:6], v[7:8] offset1:1
.LBB123_154:
	s_or_b64 exec, exec, s[8:9]
	s_waitcnt lgkmcnt(0)
	s_barrier
	ds_read2_b64 v[1:4], v125 offset1:1
	v_cmp_lt_u32_e32 vcc, 11, v0
	s_waitcnt lgkmcnt(0)
	buffer_store_dword v1, off, s[0:3], 0 offset:1616 ; 4-byte Folded Spill
	s_nop 0
	buffer_store_dword v2, off, s[0:3], 0 offset:1620 ; 4-byte Folded Spill
	buffer_store_dword v3, off, s[0:3], 0 offset:1624 ; 4-byte Folded Spill
	;; [unrolled: 1-line block ×3, first 2 shown]
	s_and_saveexec_b64 s[6:7], vcc
	s_cbranch_execz .LBB123_157
; %bb.155:
	buffer_load_dword v1, off, s[0:3], 0 offset:184
	buffer_load_dword v2, off, s[0:3], 0 offset:188
	;; [unrolled: 1-line block ×4, first 2 shown]
	buffer_load_dword v10, off, s[0:3], 0 offset:1616 ; 4-byte Folded Reload
	buffer_load_dword v11, off, s[0:3], 0 offset:1620 ; 4-byte Folded Reload
	buffer_load_dword v12, off, s[0:3], 0 offset:1624 ; 4-byte Folded Reload
	buffer_load_dword v13, off, s[0:3], 0 offset:1628 ; 4-byte Folded Reload
	s_movk_i32 s8, 0xc0
	s_waitcnt vmcnt(0)
	v_mul_f64 v[5:6], v[12:13], v[1:2]
	v_mul_f64 v[1:2], v[10:11], v[1:2]
	v_fma_f64 v[5:6], v[10:11], v[3:4], -v[5:6]
	v_fma_f64 v[1:2], v[12:13], v[3:4], v[1:2]
	buffer_store_dword v5, off, s[0:3], 0 offset:176
	buffer_store_dword v6, off, s[0:3], 0 offset:180
	;; [unrolled: 1-line block ×4, first 2 shown]
.LBB123_156:                            ; =>This Inner Loop Header: Depth=1
	buffer_load_dword v7, off, s[0:3], 0 offset:184
	buffer_load_dword v8, off, s[0:3], 0 offset:188
	;; [unrolled: 1-line block ×4, first 2 shown]
	v_mov_b32_e32 v1, s8
	buffer_load_dword v12, v1, s[0:3], 0 offen
	buffer_load_dword v13, v1, s[0:3], 0 offen offset:4
	buffer_load_dword v14, v1, s[0:3], 0 offen offset:8
	;; [unrolled: 1-line block ×3, first 2 shown]
	v_add_u32_e32 v2, s8, v121
	ds_read2_b64 v[3:6], v2 offset1:1
	buffer_load_dword v16, v1, s[0:3], 0 offen offset:16
	buffer_load_dword v17, v1, s[0:3], 0 offen offset:20
	;; [unrolled: 1-line block ×3, first 2 shown]
	s_addk_i32 s8, 0x50
	s_cmpk_lg_i32 s8, 0x3e0
	s_waitcnt vmcnt(9) lgkmcnt(0)
	v_mul_f64 v[19:20], v[5:6], v[7:8]
	v_mul_f64 v[7:8], v[3:4], v[7:8]
	s_waitcnt vmcnt(7)
	v_fma_f64 v[3:4], v[3:4], v[10:11], -v[19:20]
	v_fma_f64 v[5:6], v[5:6], v[10:11], v[7:8]
	s_waitcnt vmcnt(5)
	v_add_f64 v[3:4], v[12:13], -v[3:4]
	s_waitcnt vmcnt(3)
	v_add_f64 v[5:6], v[14:15], -v[5:6]
	buffer_store_dword v4, v1, s[0:3], 0 offen offset:4
	buffer_store_dword v3, v1, s[0:3], 0 offen
	buffer_store_dword v6, v1, s[0:3], 0 offen offset:12
	buffer_store_dword v5, v1, s[0:3], 0 offen offset:8
	buffer_load_dword v8, off, s[0:3], 0 offset:188
	buffer_load_dword v7, off, s[0:3], 0 offset:184
	buffer_load_dword v11, off, s[0:3], 0 offset:180
	buffer_load_dword v10, off, s[0:3], 0 offset:176
	buffer_load_dword v19, v1, s[0:3], 0 offen offset:28
	ds_read2_b64 v[3:6], v2 offset0:2 offset1:3
	buffer_load_dword v12, v1, s[0:3], 0 offen offset:32
	buffer_load_dword v13, v1, s[0:3], 0 offen offset:36
	;; [unrolled: 1-line block ×3, first 2 shown]
	s_waitcnt vmcnt(6) lgkmcnt(0)
	v_mul_f64 v[20:21], v[5:6], v[7:8]
	v_mul_f64 v[7:8], v[3:4], v[7:8]
	s_waitcnt vmcnt(4)
	v_fma_f64 v[3:4], v[3:4], v[10:11], -v[20:21]
	v_fma_f64 v[5:6], v[5:6], v[10:11], v[7:8]
	v_add_f64 v[3:4], v[16:17], -v[3:4]
	s_waitcnt vmcnt(3)
	v_add_f64 v[5:6], v[18:19], -v[5:6]
	buffer_store_dword v4, v1, s[0:3], 0 offen offset:20
	buffer_store_dword v3, v1, s[0:3], 0 offen offset:16
	;; [unrolled: 1-line block ×4, first 2 shown]
	buffer_load_dword v7, off, s[0:3], 0 offset:184
	buffer_load_dword v8, off, s[0:3], 0 offset:188
	;; [unrolled: 1-line block ×4, first 2 shown]
	buffer_load_dword v15, v1, s[0:3], 0 offen offset:44
	ds_read2_b64 v[3:6], v2 offset0:4 offset1:5
	buffer_load_dword v16, v1, s[0:3], 0 offen offset:48
	s_waitcnt vmcnt(4) lgkmcnt(0)
	v_mul_f64 v[17:18], v[5:6], v[7:8]
	v_mul_f64 v[7:8], v[3:4], v[7:8]
	s_waitcnt vmcnt(2)
	v_fma_f64 v[3:4], v[3:4], v[10:11], -v[17:18]
	v_fma_f64 v[5:6], v[5:6], v[10:11], v[7:8]
	v_add_f64 v[3:4], v[12:13], -v[3:4]
	s_waitcnt vmcnt(1)
	v_add_f64 v[5:6], v[14:15], -v[5:6]
	buffer_store_dword v4, v1, s[0:3], 0 offen offset:36
	buffer_store_dword v3, v1, s[0:3], 0 offen offset:32
	;; [unrolled: 1-line block ×4, first 2 shown]
	buffer_load_dword v7, off, s[0:3], 0 offset:184
	buffer_load_dword v8, off, s[0:3], 0 offset:188
	;; [unrolled: 1-line block ×4, first 2 shown]
	buffer_load_dword v17, v1, s[0:3], 0 offen offset:52
	buffer_load_dword v12, v1, s[0:3], 0 offen offset:56
	;; [unrolled: 1-line block ×3, first 2 shown]
	ds_read2_b64 v[3:6], v2 offset0:6 offset1:7
	s_waitcnt vmcnt(5) lgkmcnt(0)
	v_mul_f64 v[14:15], v[5:6], v[7:8]
	v_mul_f64 v[7:8], v[3:4], v[7:8]
	s_waitcnt vmcnt(3)
	v_fma_f64 v[3:4], v[3:4], v[10:11], -v[14:15]
	v_fma_f64 v[5:6], v[5:6], v[10:11], v[7:8]
	s_waitcnt vmcnt(2)
	v_add_f64 v[3:4], v[16:17], -v[3:4]
	s_waitcnt vmcnt(0)
	v_add_f64 v[5:6], v[12:13], -v[5:6]
	buffer_store_dword v4, v1, s[0:3], 0 offen offset:52
	buffer_store_dword v3, v1, s[0:3], 0 offen offset:48
	;; [unrolled: 1-line block ×4, first 2 shown]
	buffer_load_dword v6, off, s[0:3], 0 offset:184
	s_nop 0
	buffer_load_dword v7, off, s[0:3], 0 offset:188
	buffer_load_dword v10, off, s[0:3], 0 offset:176
	;; [unrolled: 1-line block ×3, first 2 shown]
	buffer_load_dword v12, v1, s[0:3], 0 offen offset:64
	buffer_load_dword v13, v1, s[0:3], 0 offen offset:68
	;; [unrolled: 1-line block ×4, first 2 shown]
	ds_read2_b64 v[2:5], v2 offset0:8 offset1:9
	s_waitcnt vmcnt(6) lgkmcnt(0)
	v_mul_f64 v[16:17], v[4:5], v[6:7]
	v_mul_f64 v[6:7], v[2:3], v[6:7]
	s_waitcnt vmcnt(4)
	v_fma_f64 v[2:3], v[2:3], v[10:11], -v[16:17]
	v_fma_f64 v[4:5], v[4:5], v[10:11], v[6:7]
	s_waitcnt vmcnt(2)
	v_add_f64 v[2:3], v[12:13], -v[2:3]
	s_waitcnt vmcnt(0)
	v_add_f64 v[4:5], v[14:15], -v[4:5]
	buffer_store_dword v3, v1, s[0:3], 0 offen offset:68
	buffer_store_dword v2, v1, s[0:3], 0 offen offset:64
	;; [unrolled: 1-line block ×4, first 2 shown]
	s_cbranch_scc1 .LBB123_156
.LBB123_157:
	s_or_b64 exec, exec, s[6:7]
	v_cmp_eq_u32_e32 vcc, 12, v0
	s_waitcnt vmcnt(0)
	s_barrier
	s_and_saveexec_b64 s[8:9], vcc
	s_cbranch_execz .LBB123_166
; %bb.158:
	v_mov_b32_e32 v4, s19
	buffer_load_dword v1, v4, s[0:3], 0 offen
	buffer_load_dword v2, v4, s[0:3], 0 offen offset:4
	buffer_load_dword v3, v4, s[0:3], 0 offen offset:8
	s_nop 0
	buffer_load_dword v4, v4, s[0:3], 0 offen offset:12
	s_movk_i32 s6, 0xd0
	s_waitcnt vmcnt(0)
	ds_write2_b64 v125, v[1:2], v[3:4] offset1:1
.LBB123_159:                            ; =>This Inner Loop Header: Depth=1
	v_mov_b32_e32 v18, s6
	buffer_load_dword v1, v18, s[0:3], 0 offen
	buffer_load_dword v2, v18, s[0:3], 0 offen offset:4
	buffer_load_dword v3, v18, s[0:3], 0 offen offset:8
	buffer_load_dword v4, v18, s[0:3], 0 offen offset:12
	buffer_load_dword v5, v18, s[0:3], 0 offen offset:16
	buffer_load_dword v6, v18, s[0:3], 0 offen offset:20
	buffer_load_dword v7, v18, s[0:3], 0 offen offset:24
	buffer_load_dword v8, v18, s[0:3], 0 offen offset:28
	buffer_load_dword v10, v18, s[0:3], 0 offen offset:32
	buffer_load_dword v11, v18, s[0:3], 0 offen offset:36
	buffer_load_dword v12, v18, s[0:3], 0 offen offset:40
	buffer_load_dword v13, v18, s[0:3], 0 offen offset:44
	buffer_load_dword v14, v18, s[0:3], 0 offen offset:48
	buffer_load_dword v15, v18, s[0:3], 0 offen offset:52
	buffer_load_dword v16, v18, s[0:3], 0 offen offset:56
	buffer_load_dword v17, v18, s[0:3], 0 offen offset:60
	v_add_u32_e32 v19, s6, v121
	s_addk_i32 s6, 0x70
	s_cmpk_lg_i32 s6, 0x3e0
	s_waitcnt vmcnt(12)
	ds_write2_b64 v19, v[1:2], v[3:4] offset1:1
	s_waitcnt vmcnt(8)
	ds_write2_b64 v19, v[5:6], v[7:8] offset0:2 offset1:3
	s_waitcnt vmcnt(4)
	ds_write2_b64 v19, v[10:11], v[12:13] offset0:4 offset1:5
	;; [unrolled: 2-line block ×3, first 2 shown]
	buffer_load_dword v2, v18, s[0:3], 0 offen offset:76
	buffer_load_dword v1, v18, s[0:3], 0 offen offset:72
	buffer_load_dword v4, v18, s[0:3], 0 offen offset:68
	buffer_load_dword v3, v18, s[0:3], 0 offen offset:64
	s_waitcnt vmcnt(0)
	ds_write2_b64 v19, v[3:4], v[1:2] offset0:8 offset1:9
	buffer_load_dword v2, v18, s[0:3], 0 offen offset:92
	buffer_load_dword v1, v18, s[0:3], 0 offen offset:88
	buffer_load_dword v4, v18, s[0:3], 0 offen offset:84
	buffer_load_dword v3, v18, s[0:3], 0 offen offset:80
	s_waitcnt vmcnt(0)
	ds_write2_b64 v19, v[3:4], v[1:2] offset0:10 offset1:11
	;; [unrolled: 6-line block ×3, first 2 shown]
	s_cbranch_scc1 .LBB123_159
; %bb.160:
	ds_read2_b64 v[1:4], v125 offset1:1
	s_waitcnt lgkmcnt(0)
	v_cmp_neq_f64_e32 vcc, 0, v[1:2]
	v_cmp_neq_f64_e64 s[6:7], 0, v[3:4]
	s_or_b64 s[6:7], vcc, s[6:7]
	s_and_b64 exec, exec, s[6:7]
	s_cbranch_execz .LBB123_166
; %bb.161:
	v_cmp_ngt_f64_e64 s[6:7], |v[1:2]|, |v[3:4]|
                                        ; implicit-def: $vgpr5_vgpr6
	s_and_saveexec_b64 s[10:11], s[6:7]
	s_xor_b64 s[6:7], exec, s[10:11]
                                        ; implicit-def: $vgpr7_vgpr8
	s_cbranch_execz .LBB123_163
; %bb.162:
	v_div_scale_f64 v[5:6], s[10:11], v[3:4], v[3:4], v[1:2]
	v_rcp_f64_e32 v[7:8], v[5:6]
	v_fma_f64 v[10:11], -v[5:6], v[7:8], 1.0
	v_fma_f64 v[7:8], v[7:8], v[10:11], v[7:8]
	v_div_scale_f64 v[10:11], vcc, v[1:2], v[3:4], v[1:2]
	v_fma_f64 v[12:13], -v[5:6], v[7:8], 1.0
	v_fma_f64 v[7:8], v[7:8], v[12:13], v[7:8]
	v_mul_f64 v[12:13], v[10:11], v[7:8]
	v_fma_f64 v[5:6], -v[5:6], v[12:13], v[10:11]
	v_div_fmas_f64 v[5:6], v[5:6], v[7:8], v[12:13]
	v_div_fixup_f64 v[5:6], v[5:6], v[3:4], v[1:2]
	v_fma_f64 v[1:2], v[1:2], v[5:6], v[3:4]
	v_div_scale_f64 v[3:4], s[10:11], v[1:2], v[1:2], 1.0
	v_div_scale_f64 v[12:13], vcc, 1.0, v[1:2], 1.0
	v_rcp_f64_e32 v[7:8], v[3:4]
	v_fma_f64 v[10:11], -v[3:4], v[7:8], 1.0
	v_fma_f64 v[7:8], v[7:8], v[10:11], v[7:8]
	v_fma_f64 v[10:11], -v[3:4], v[7:8], 1.0
	v_fma_f64 v[7:8], v[7:8], v[10:11], v[7:8]
	v_mul_f64 v[10:11], v[12:13], v[7:8]
	v_fma_f64 v[3:4], -v[3:4], v[10:11], v[12:13]
	v_div_fmas_f64 v[3:4], v[3:4], v[7:8], v[10:11]
	v_div_fixup_f64 v[7:8], v[3:4], v[1:2], 1.0
                                        ; implicit-def: $vgpr1_vgpr2
	v_mul_f64 v[5:6], v[5:6], v[7:8]
	v_xor_b32_e32 v8, 0x80000000, v8
.LBB123_163:
	s_andn2_saveexec_b64 s[6:7], s[6:7]
	s_cbranch_execz .LBB123_165
; %bb.164:
	v_div_scale_f64 v[5:6], s[10:11], v[1:2], v[1:2], v[3:4]
	v_rcp_f64_e32 v[7:8], v[5:6]
	v_fma_f64 v[10:11], -v[5:6], v[7:8], 1.0
	v_fma_f64 v[7:8], v[7:8], v[10:11], v[7:8]
	v_div_scale_f64 v[10:11], vcc, v[3:4], v[1:2], v[3:4]
	v_fma_f64 v[12:13], -v[5:6], v[7:8], 1.0
	v_fma_f64 v[7:8], v[7:8], v[12:13], v[7:8]
	v_mul_f64 v[12:13], v[10:11], v[7:8]
	v_fma_f64 v[5:6], -v[5:6], v[12:13], v[10:11]
	v_div_fmas_f64 v[5:6], v[5:6], v[7:8], v[12:13]
	v_div_fixup_f64 v[7:8], v[5:6], v[1:2], v[3:4]
	v_fma_f64 v[1:2], v[3:4], v[7:8], v[1:2]
	v_div_scale_f64 v[3:4], s[10:11], v[1:2], v[1:2], 1.0
	v_div_scale_f64 v[12:13], vcc, 1.0, v[1:2], 1.0
	v_rcp_f64_e32 v[5:6], v[3:4]
	v_fma_f64 v[10:11], -v[3:4], v[5:6], 1.0
	v_fma_f64 v[5:6], v[5:6], v[10:11], v[5:6]
	v_fma_f64 v[10:11], -v[3:4], v[5:6], 1.0
	v_fma_f64 v[5:6], v[5:6], v[10:11], v[5:6]
	v_mul_f64 v[10:11], v[12:13], v[5:6]
	v_fma_f64 v[3:4], -v[3:4], v[10:11], v[12:13]
	v_div_fmas_f64 v[3:4], v[3:4], v[5:6], v[10:11]
	v_div_fixup_f64 v[5:6], v[3:4], v[1:2], 1.0
	v_mul_f64 v[7:8], v[7:8], -v[5:6]
.LBB123_165:
	s_or_b64 exec, exec, s[6:7]
	ds_write2_b64 v125, v[5:6], v[7:8] offset1:1
.LBB123_166:
	s_or_b64 exec, exec, s[8:9]
	s_waitcnt lgkmcnt(0)
	s_barrier
	ds_read2_b64 v[1:4], v125 offset1:1
	v_cmp_lt_u32_e32 vcc, 12, v0
	s_waitcnt lgkmcnt(0)
	buffer_store_dword v1, off, s[0:3], 0 offset:1632 ; 4-byte Folded Spill
	s_nop 0
	buffer_store_dword v2, off, s[0:3], 0 offset:1636 ; 4-byte Folded Spill
	buffer_store_dword v3, off, s[0:3], 0 offset:1640 ; 4-byte Folded Spill
	;; [unrolled: 1-line block ×3, first 2 shown]
	s_and_saveexec_b64 s[6:7], vcc
	s_cbranch_execz .LBB123_169
; %bb.167:
	buffer_load_dword v1, off, s[0:3], 0 offset:200
	buffer_load_dword v2, off, s[0:3], 0 offset:204
	buffer_load_dword v3, off, s[0:3], 0 offset:192
	buffer_load_dword v4, off, s[0:3], 0 offset:196
	buffer_load_dword v10, off, s[0:3], 0 offset:1632 ; 4-byte Folded Reload
	buffer_load_dword v11, off, s[0:3], 0 offset:1636 ; 4-byte Folded Reload
	;; [unrolled: 1-line block ×4, first 2 shown]
	s_movk_i32 s8, 0xd0
	s_waitcnt vmcnt(0)
	v_mul_f64 v[5:6], v[12:13], v[1:2]
	v_mul_f64 v[1:2], v[10:11], v[1:2]
	v_fma_f64 v[5:6], v[10:11], v[3:4], -v[5:6]
	v_fma_f64 v[1:2], v[12:13], v[3:4], v[1:2]
	buffer_store_dword v5, off, s[0:3], 0 offset:192
	buffer_store_dword v6, off, s[0:3], 0 offset:196
	;; [unrolled: 1-line block ×4, first 2 shown]
.LBB123_168:                            ; =>This Inner Loop Header: Depth=1
	buffer_load_dword v7, off, s[0:3], 0 offset:200
	buffer_load_dword v8, off, s[0:3], 0 offset:204
	;; [unrolled: 1-line block ×4, first 2 shown]
	v_mov_b32_e32 v1, s8
	buffer_load_dword v12, v1, s[0:3], 0 offen
	buffer_load_dword v13, v1, s[0:3], 0 offen offset:4
	buffer_load_dword v14, v1, s[0:3], 0 offen offset:8
	;; [unrolled: 1-line block ×3, first 2 shown]
	v_add_u32_e32 v2, s8, v121
	ds_read2_b64 v[3:6], v2 offset1:1
	buffer_load_dword v16, v1, s[0:3], 0 offen offset:16
	buffer_load_dword v17, v1, s[0:3], 0 offen offset:20
	;; [unrolled: 1-line block ×3, first 2 shown]
	s_addk_i32 s8, 0x70
	s_cmpk_lg_i32 s8, 0x3e0
	s_waitcnt vmcnt(9) lgkmcnt(0)
	v_mul_f64 v[19:20], v[5:6], v[7:8]
	v_mul_f64 v[7:8], v[3:4], v[7:8]
	s_waitcnt vmcnt(7)
	v_fma_f64 v[3:4], v[3:4], v[10:11], -v[19:20]
	v_fma_f64 v[5:6], v[5:6], v[10:11], v[7:8]
	s_waitcnt vmcnt(5)
	v_add_f64 v[3:4], v[12:13], -v[3:4]
	s_waitcnt vmcnt(3)
	v_add_f64 v[5:6], v[14:15], -v[5:6]
	buffer_store_dword v4, v1, s[0:3], 0 offen offset:4
	buffer_store_dword v3, v1, s[0:3], 0 offen
	buffer_store_dword v6, v1, s[0:3], 0 offen offset:12
	buffer_store_dword v5, v1, s[0:3], 0 offen offset:8
	buffer_load_dword v8, off, s[0:3], 0 offset:204
	buffer_load_dword v7, off, s[0:3], 0 offset:200
	buffer_load_dword v11, off, s[0:3], 0 offset:196
	buffer_load_dword v10, off, s[0:3], 0 offset:192
	buffer_load_dword v19, v1, s[0:3], 0 offen offset:28
	ds_read2_b64 v[3:6], v2 offset0:2 offset1:3
	buffer_load_dword v12, v1, s[0:3], 0 offen offset:32
	buffer_load_dword v13, v1, s[0:3], 0 offen offset:36
	buffer_load_dword v14, v1, s[0:3], 0 offen offset:40
	s_waitcnt vmcnt(6) lgkmcnt(0)
	v_mul_f64 v[20:21], v[5:6], v[7:8]
	v_mul_f64 v[7:8], v[3:4], v[7:8]
	s_waitcnt vmcnt(4)
	v_fma_f64 v[3:4], v[3:4], v[10:11], -v[20:21]
	v_fma_f64 v[5:6], v[5:6], v[10:11], v[7:8]
	v_add_f64 v[3:4], v[16:17], -v[3:4]
	s_waitcnt vmcnt(3)
	v_add_f64 v[5:6], v[18:19], -v[5:6]
	buffer_store_dword v4, v1, s[0:3], 0 offen offset:20
	buffer_store_dword v3, v1, s[0:3], 0 offen offset:16
	buffer_store_dword v6, v1, s[0:3], 0 offen offset:28
	buffer_store_dword v5, v1, s[0:3], 0 offen offset:24
	buffer_load_dword v7, off, s[0:3], 0 offset:200
	buffer_load_dword v8, off, s[0:3], 0 offset:204
	buffer_load_dword v10, off, s[0:3], 0 offset:192
	buffer_load_dword v11, off, s[0:3], 0 offset:196
	buffer_load_dword v15, v1, s[0:3], 0 offen offset:44
	ds_read2_b64 v[3:6], v2 offset0:4 offset1:5
	buffer_load_dword v16, v1, s[0:3], 0 offen offset:48
	buffer_load_dword v17, v1, s[0:3], 0 offen offset:52
	buffer_load_dword v18, v1, s[0:3], 0 offen offset:56
	s_waitcnt vmcnt(6) lgkmcnt(0)
	v_mul_f64 v[19:20], v[5:6], v[7:8]
	v_mul_f64 v[7:8], v[3:4], v[7:8]
	s_waitcnt vmcnt(4)
	v_fma_f64 v[3:4], v[3:4], v[10:11], -v[19:20]
	v_fma_f64 v[5:6], v[5:6], v[10:11], v[7:8]
	v_add_f64 v[3:4], v[12:13], -v[3:4]
	s_waitcnt vmcnt(3)
	v_add_f64 v[5:6], v[14:15], -v[5:6]
	buffer_store_dword v4, v1, s[0:3], 0 offen offset:36
	buffer_store_dword v3, v1, s[0:3], 0 offen offset:32
	;; [unrolled: 22-line block ×3, first 2 shown]
	buffer_store_dword v6, v1, s[0:3], 0 offen offset:60
	buffer_store_dword v5, v1, s[0:3], 0 offen offset:56
	buffer_load_dword v7, off, s[0:3], 0 offset:200
	buffer_load_dword v8, off, s[0:3], 0 offset:204
	;; [unrolled: 1-line block ×4, first 2 shown]
	buffer_load_dword v15, v1, s[0:3], 0 offen offset:76
	ds_read2_b64 v[3:6], v2 offset0:8 offset1:9
	buffer_load_dword v16, v1, s[0:3], 0 offen offset:80
	s_waitcnt vmcnt(4) lgkmcnt(0)
	v_mul_f64 v[17:18], v[5:6], v[7:8]
	v_mul_f64 v[7:8], v[3:4], v[7:8]
	s_waitcnt vmcnt(2)
	v_fma_f64 v[3:4], v[3:4], v[10:11], -v[17:18]
	v_fma_f64 v[5:6], v[5:6], v[10:11], v[7:8]
	v_add_f64 v[3:4], v[12:13], -v[3:4]
	s_waitcnt vmcnt(1)
	v_add_f64 v[5:6], v[14:15], -v[5:6]
	buffer_store_dword v4, v1, s[0:3], 0 offen offset:68
	buffer_store_dword v3, v1, s[0:3], 0 offen offset:64
	;; [unrolled: 1-line block ×4, first 2 shown]
	buffer_load_dword v7, off, s[0:3], 0 offset:200
	buffer_load_dword v8, off, s[0:3], 0 offset:204
	;; [unrolled: 1-line block ×4, first 2 shown]
	buffer_load_dword v17, v1, s[0:3], 0 offen offset:84
	buffer_load_dword v12, v1, s[0:3], 0 offen offset:88
	;; [unrolled: 1-line block ×3, first 2 shown]
	ds_read2_b64 v[3:6], v2 offset0:10 offset1:11
	s_waitcnt vmcnt(5) lgkmcnt(0)
	v_mul_f64 v[14:15], v[5:6], v[7:8]
	v_mul_f64 v[7:8], v[3:4], v[7:8]
	s_waitcnt vmcnt(3)
	v_fma_f64 v[3:4], v[3:4], v[10:11], -v[14:15]
	v_fma_f64 v[5:6], v[5:6], v[10:11], v[7:8]
	s_waitcnt vmcnt(2)
	v_add_f64 v[3:4], v[16:17], -v[3:4]
	s_waitcnt vmcnt(0)
	v_add_f64 v[5:6], v[12:13], -v[5:6]
	buffer_store_dword v4, v1, s[0:3], 0 offen offset:84
	buffer_store_dword v3, v1, s[0:3], 0 offen offset:80
	;; [unrolled: 1-line block ×4, first 2 shown]
	buffer_load_dword v6, off, s[0:3], 0 offset:200
	s_nop 0
	buffer_load_dword v7, off, s[0:3], 0 offset:204
	buffer_load_dword v10, off, s[0:3], 0 offset:192
	;; [unrolled: 1-line block ×3, first 2 shown]
	buffer_load_dword v12, v1, s[0:3], 0 offen offset:96
	buffer_load_dword v13, v1, s[0:3], 0 offen offset:100
	;; [unrolled: 1-line block ×4, first 2 shown]
	ds_read2_b64 v[2:5], v2 offset0:12 offset1:13
	s_waitcnt vmcnt(6) lgkmcnt(0)
	v_mul_f64 v[16:17], v[4:5], v[6:7]
	v_mul_f64 v[6:7], v[2:3], v[6:7]
	s_waitcnt vmcnt(4)
	v_fma_f64 v[2:3], v[2:3], v[10:11], -v[16:17]
	v_fma_f64 v[4:5], v[4:5], v[10:11], v[6:7]
	s_waitcnt vmcnt(2)
	v_add_f64 v[2:3], v[12:13], -v[2:3]
	s_waitcnt vmcnt(0)
	v_add_f64 v[4:5], v[14:15], -v[4:5]
	buffer_store_dword v3, v1, s[0:3], 0 offen offset:100
	buffer_store_dword v2, v1, s[0:3], 0 offen offset:96
	;; [unrolled: 1-line block ×4, first 2 shown]
	s_cbranch_scc1 .LBB123_168
.LBB123_169:
	s_or_b64 exec, exec, s[6:7]
	v_cmp_eq_u32_e32 vcc, 13, v0
	s_waitcnt vmcnt(0)
	s_barrier
	s_and_saveexec_b64 s[8:9], vcc
	s_cbranch_execz .LBB123_178
; %bb.170:
	v_mov_b32_e32 v4, s89
	buffer_load_dword v1, v4, s[0:3], 0 offen
	buffer_load_dword v2, v4, s[0:3], 0 offen offset:4
	buffer_load_dword v3, v4, s[0:3], 0 offen offset:8
	s_nop 0
	buffer_load_dword v4, v4, s[0:3], 0 offen offset:12
	s_movk_i32 s6, 0xe0
	s_waitcnt vmcnt(0)
	ds_write2_b64 v125, v[1:2], v[3:4] offset1:1
.LBB123_171:                            ; =>This Inner Loop Header: Depth=1
	v_mov_b32_e32 v18, s6
	buffer_load_dword v1, v18, s[0:3], 0 offen
	buffer_load_dword v2, v18, s[0:3], 0 offen offset:4
	buffer_load_dword v3, v18, s[0:3], 0 offen offset:8
	;; [unrolled: 1-line block ×15, first 2 shown]
	v_add_u32_e32 v19, s6, v121
	s_addk_i32 s6, 0x100
	s_cmpk_lg_i32 s6, 0x3e0
	s_waitcnt vmcnt(12)
	ds_write2_b64 v19, v[1:2], v[3:4] offset1:1
	s_waitcnt vmcnt(8)
	ds_write2_b64 v19, v[5:6], v[7:8] offset0:2 offset1:3
	s_waitcnt vmcnt(4)
	ds_write2_b64 v19, v[10:11], v[12:13] offset0:4 offset1:5
	s_waitcnt vmcnt(0)
	ds_write2_b64 v19, v[14:15], v[16:17] offset0:6 offset1:7
	buffer_load_dword v2, v18, s[0:3], 0 offen offset:76
	buffer_load_dword v1, v18, s[0:3], 0 offen offset:72
	buffer_load_dword v4, v18, s[0:3], 0 offen offset:68
	buffer_load_dword v3, v18, s[0:3], 0 offen offset:64
	s_waitcnt vmcnt(0)
	ds_write2_b64 v19, v[3:4], v[1:2] offset0:8 offset1:9
	buffer_load_dword v2, v18, s[0:3], 0 offen offset:92
	buffer_load_dword v1, v18, s[0:3], 0 offen offset:88
	buffer_load_dword v4, v18, s[0:3], 0 offen offset:84
	buffer_load_dword v3, v18, s[0:3], 0 offen offset:80
	s_waitcnt vmcnt(0)
	ds_write2_b64 v19, v[3:4], v[1:2] offset0:10 offset1:11
	buffer_load_dword v2, v18, s[0:3], 0 offen offset:108
	buffer_load_dword v1, v18, s[0:3], 0 offen offset:104
	buffer_load_dword v4, v18, s[0:3], 0 offen offset:100
	buffer_load_dword v3, v18, s[0:3], 0 offen offset:96
	s_waitcnt vmcnt(0)
	ds_write2_b64 v19, v[3:4], v[1:2] offset0:12 offset1:13
	buffer_load_dword v2, v18, s[0:3], 0 offen offset:124
	buffer_load_dword v1, v18, s[0:3], 0 offen offset:120
	buffer_load_dword v4, v18, s[0:3], 0 offen offset:116
	buffer_load_dword v3, v18, s[0:3], 0 offen offset:112
	s_waitcnt vmcnt(0)
	ds_write2_b64 v19, v[3:4], v[1:2] offset0:14 offset1:15
	buffer_load_dword v1, v18, s[0:3], 0 offen offset:128
	buffer_load_dword v2, v18, s[0:3], 0 offen offset:132
	buffer_load_dword v3, v18, s[0:3], 0 offen offset:136
	buffer_load_dword v4, v18, s[0:3], 0 offen offset:140
	s_waitcnt vmcnt(0)
	ds_write2_b64 v19, v[1:2], v[3:4] offset0:16 offset1:17
	buffer_load_dword v1, v18, s[0:3], 0 offen offset:144
	buffer_load_dword v2, v18, s[0:3], 0 offen offset:148
	buffer_load_dword v3, v18, s[0:3], 0 offen offset:152
	buffer_load_dword v4, v18, s[0:3], 0 offen offset:156
	s_waitcnt vmcnt(0)
	ds_write2_b64 v19, v[1:2], v[3:4] offset0:18 offset1:19
	buffer_load_dword v1, v18, s[0:3], 0 offen offset:160
	buffer_load_dword v2, v18, s[0:3], 0 offen offset:164
	buffer_load_dword v3, v18, s[0:3], 0 offen offset:168
	buffer_load_dword v4, v18, s[0:3], 0 offen offset:172
	s_waitcnt vmcnt(0)
	ds_write2_b64 v19, v[1:2], v[3:4] offset0:20 offset1:21
	buffer_load_dword v1, v18, s[0:3], 0 offen offset:176
	buffer_load_dword v2, v18, s[0:3], 0 offen offset:180
	buffer_load_dword v3, v18, s[0:3], 0 offen offset:184
	buffer_load_dword v4, v18, s[0:3], 0 offen offset:188
	s_waitcnt vmcnt(0)
	ds_write2_b64 v19, v[1:2], v[3:4] offset0:22 offset1:23
	buffer_load_dword v1, v18, s[0:3], 0 offen offset:192
	buffer_load_dword v2, v18, s[0:3], 0 offen offset:196
	buffer_load_dword v3, v18, s[0:3], 0 offen offset:200
	buffer_load_dword v4, v18, s[0:3], 0 offen offset:204
	s_waitcnt vmcnt(0)
	ds_write2_b64 v19, v[1:2], v[3:4] offset0:24 offset1:25
	buffer_load_dword v1, v18, s[0:3], 0 offen offset:208
	buffer_load_dword v2, v18, s[0:3], 0 offen offset:212
	buffer_load_dword v3, v18, s[0:3], 0 offen offset:216
	buffer_load_dword v4, v18, s[0:3], 0 offen offset:220
	s_waitcnt vmcnt(0)
	ds_write2_b64 v19, v[1:2], v[3:4] offset0:26 offset1:27
	buffer_load_dword v1, v18, s[0:3], 0 offen offset:224
	buffer_load_dword v2, v18, s[0:3], 0 offen offset:228
	buffer_load_dword v3, v18, s[0:3], 0 offen offset:232
	buffer_load_dword v4, v18, s[0:3], 0 offen offset:236
	s_waitcnt vmcnt(0)
	ds_write2_b64 v19, v[1:2], v[3:4] offset0:28 offset1:29
	buffer_load_dword v1, v18, s[0:3], 0 offen offset:240
	buffer_load_dword v2, v18, s[0:3], 0 offen offset:244
	buffer_load_dword v3, v18, s[0:3], 0 offen offset:248
	buffer_load_dword v4, v18, s[0:3], 0 offen offset:252
	s_waitcnt vmcnt(0)
	ds_write2_b64 v19, v[1:2], v[3:4] offset0:30 offset1:31
	s_cbranch_scc1 .LBB123_171
; %bb.172:
	ds_read2_b64 v[1:4], v125 offset1:1
	s_waitcnt lgkmcnt(0)
	v_cmp_neq_f64_e32 vcc, 0, v[1:2]
	v_cmp_neq_f64_e64 s[6:7], 0, v[3:4]
	s_or_b64 s[6:7], vcc, s[6:7]
	s_and_b64 exec, exec, s[6:7]
	s_cbranch_execz .LBB123_178
; %bb.173:
	v_cmp_ngt_f64_e64 s[6:7], |v[1:2]|, |v[3:4]|
                                        ; implicit-def: $vgpr5_vgpr6
	s_and_saveexec_b64 s[10:11], s[6:7]
	s_xor_b64 s[6:7], exec, s[10:11]
                                        ; implicit-def: $vgpr7_vgpr8
	s_cbranch_execz .LBB123_175
; %bb.174:
	v_div_scale_f64 v[5:6], s[10:11], v[3:4], v[3:4], v[1:2]
	v_rcp_f64_e32 v[7:8], v[5:6]
	v_fma_f64 v[10:11], -v[5:6], v[7:8], 1.0
	v_fma_f64 v[7:8], v[7:8], v[10:11], v[7:8]
	v_div_scale_f64 v[10:11], vcc, v[1:2], v[3:4], v[1:2]
	v_fma_f64 v[12:13], -v[5:6], v[7:8], 1.0
	v_fma_f64 v[7:8], v[7:8], v[12:13], v[7:8]
	v_mul_f64 v[12:13], v[10:11], v[7:8]
	v_fma_f64 v[5:6], -v[5:6], v[12:13], v[10:11]
	v_div_fmas_f64 v[5:6], v[5:6], v[7:8], v[12:13]
	v_div_fixup_f64 v[5:6], v[5:6], v[3:4], v[1:2]
	v_fma_f64 v[1:2], v[1:2], v[5:6], v[3:4]
	v_div_scale_f64 v[3:4], s[10:11], v[1:2], v[1:2], 1.0
	v_div_scale_f64 v[12:13], vcc, 1.0, v[1:2], 1.0
	v_rcp_f64_e32 v[7:8], v[3:4]
	v_fma_f64 v[10:11], -v[3:4], v[7:8], 1.0
	v_fma_f64 v[7:8], v[7:8], v[10:11], v[7:8]
	v_fma_f64 v[10:11], -v[3:4], v[7:8], 1.0
	v_fma_f64 v[7:8], v[7:8], v[10:11], v[7:8]
	v_mul_f64 v[10:11], v[12:13], v[7:8]
	v_fma_f64 v[3:4], -v[3:4], v[10:11], v[12:13]
	v_div_fmas_f64 v[3:4], v[3:4], v[7:8], v[10:11]
	v_div_fixup_f64 v[7:8], v[3:4], v[1:2], 1.0
                                        ; implicit-def: $vgpr1_vgpr2
	v_mul_f64 v[5:6], v[5:6], v[7:8]
	v_xor_b32_e32 v8, 0x80000000, v8
.LBB123_175:
	s_andn2_saveexec_b64 s[6:7], s[6:7]
	s_cbranch_execz .LBB123_177
; %bb.176:
	v_div_scale_f64 v[5:6], s[10:11], v[1:2], v[1:2], v[3:4]
	v_rcp_f64_e32 v[7:8], v[5:6]
	v_fma_f64 v[10:11], -v[5:6], v[7:8], 1.0
	v_fma_f64 v[7:8], v[7:8], v[10:11], v[7:8]
	v_div_scale_f64 v[10:11], vcc, v[3:4], v[1:2], v[3:4]
	v_fma_f64 v[12:13], -v[5:6], v[7:8], 1.0
	v_fma_f64 v[7:8], v[7:8], v[12:13], v[7:8]
	v_mul_f64 v[12:13], v[10:11], v[7:8]
	v_fma_f64 v[5:6], -v[5:6], v[12:13], v[10:11]
	v_div_fmas_f64 v[5:6], v[5:6], v[7:8], v[12:13]
	v_div_fixup_f64 v[7:8], v[5:6], v[1:2], v[3:4]
	v_fma_f64 v[1:2], v[3:4], v[7:8], v[1:2]
	v_div_scale_f64 v[3:4], s[10:11], v[1:2], v[1:2], 1.0
	v_div_scale_f64 v[12:13], vcc, 1.0, v[1:2], 1.0
	v_rcp_f64_e32 v[5:6], v[3:4]
	v_fma_f64 v[10:11], -v[3:4], v[5:6], 1.0
	v_fma_f64 v[5:6], v[5:6], v[10:11], v[5:6]
	v_fma_f64 v[10:11], -v[3:4], v[5:6], 1.0
	v_fma_f64 v[5:6], v[5:6], v[10:11], v[5:6]
	v_mul_f64 v[10:11], v[12:13], v[5:6]
	v_fma_f64 v[3:4], -v[3:4], v[10:11], v[12:13]
	v_div_fmas_f64 v[3:4], v[3:4], v[5:6], v[10:11]
	v_div_fixup_f64 v[5:6], v[3:4], v[1:2], 1.0
	v_mul_f64 v[7:8], v[7:8], -v[5:6]
.LBB123_177:
	s_or_b64 exec, exec, s[6:7]
	ds_write2_b64 v125, v[5:6], v[7:8] offset1:1
.LBB123_178:
	s_or_b64 exec, exec, s[8:9]
	s_waitcnt lgkmcnt(0)
	s_barrier
	ds_read2_b64 v[1:4], v125 offset1:1
	v_cmp_lt_u32_e32 vcc, 13, v0
	s_waitcnt lgkmcnt(0)
	buffer_store_dword v1, off, s[0:3], 0 offset:1648 ; 4-byte Folded Spill
	s_nop 0
	buffer_store_dword v2, off, s[0:3], 0 offset:1652 ; 4-byte Folded Spill
	buffer_store_dword v3, off, s[0:3], 0 offset:1656 ; 4-byte Folded Spill
	;; [unrolled: 1-line block ×3, first 2 shown]
	s_and_saveexec_b64 s[6:7], vcc
	s_cbranch_execz .LBB123_181
; %bb.179:
	buffer_load_dword v1, off, s[0:3], 0 offset:216
	buffer_load_dword v2, off, s[0:3], 0 offset:220
	;; [unrolled: 1-line block ×4, first 2 shown]
	buffer_load_dword v10, off, s[0:3], 0 offset:1648 ; 4-byte Folded Reload
	buffer_load_dword v11, off, s[0:3], 0 offset:1652 ; 4-byte Folded Reload
	;; [unrolled: 1-line block ×4, first 2 shown]
	s_movk_i32 s8, 0xe0
	s_waitcnt vmcnt(0)
	v_mul_f64 v[5:6], v[12:13], v[1:2]
	v_mul_f64 v[1:2], v[10:11], v[1:2]
	v_fma_f64 v[5:6], v[10:11], v[3:4], -v[5:6]
	v_fma_f64 v[1:2], v[12:13], v[3:4], v[1:2]
	buffer_store_dword v5, off, s[0:3], 0 offset:208
	buffer_store_dword v6, off, s[0:3], 0 offset:212
	;; [unrolled: 1-line block ×4, first 2 shown]
.LBB123_180:                            ; =>This Inner Loop Header: Depth=1
	buffer_load_dword v7, off, s[0:3], 0 offset:216
	buffer_load_dword v8, off, s[0:3], 0 offset:220
	;; [unrolled: 1-line block ×4, first 2 shown]
	v_mov_b32_e32 v1, s8
	buffer_load_dword v12, v1, s[0:3], 0 offen
	buffer_load_dword v13, v1, s[0:3], 0 offen offset:4
	buffer_load_dword v14, v1, s[0:3], 0 offen offset:8
	;; [unrolled: 1-line block ×3, first 2 shown]
	v_add_u32_e32 v2, s8, v121
	ds_read2_b64 v[3:6], v2 offset1:1
	buffer_load_dword v16, v1, s[0:3], 0 offen offset:16
	buffer_load_dword v17, v1, s[0:3], 0 offen offset:20
	buffer_load_dword v18, v1, s[0:3], 0 offen offset:24
	s_addk_i32 s8, 0x60
	s_cmpk_lg_i32 s8, 0x3e0
	s_waitcnt vmcnt(9) lgkmcnt(0)
	v_mul_f64 v[19:20], v[5:6], v[7:8]
	v_mul_f64 v[7:8], v[3:4], v[7:8]
	s_waitcnt vmcnt(7)
	v_fma_f64 v[3:4], v[3:4], v[10:11], -v[19:20]
	v_fma_f64 v[5:6], v[5:6], v[10:11], v[7:8]
	s_waitcnt vmcnt(5)
	v_add_f64 v[3:4], v[12:13], -v[3:4]
	s_waitcnt vmcnt(3)
	v_add_f64 v[5:6], v[14:15], -v[5:6]
	buffer_store_dword v4, v1, s[0:3], 0 offen offset:4
	buffer_store_dword v3, v1, s[0:3], 0 offen
	buffer_store_dword v6, v1, s[0:3], 0 offen offset:12
	buffer_store_dword v5, v1, s[0:3], 0 offen offset:8
	buffer_load_dword v8, off, s[0:3], 0 offset:220
	buffer_load_dword v7, off, s[0:3], 0 offset:216
	buffer_load_dword v11, off, s[0:3], 0 offset:212
	buffer_load_dword v10, off, s[0:3], 0 offset:208
	buffer_load_dword v19, v1, s[0:3], 0 offen offset:28
	ds_read2_b64 v[3:6], v2 offset0:2 offset1:3
	buffer_load_dword v12, v1, s[0:3], 0 offen offset:32
	buffer_load_dword v13, v1, s[0:3], 0 offen offset:36
	;; [unrolled: 1-line block ×3, first 2 shown]
	s_waitcnt vmcnt(6) lgkmcnt(0)
	v_mul_f64 v[20:21], v[5:6], v[7:8]
	v_mul_f64 v[7:8], v[3:4], v[7:8]
	s_waitcnt vmcnt(4)
	v_fma_f64 v[3:4], v[3:4], v[10:11], -v[20:21]
	v_fma_f64 v[5:6], v[5:6], v[10:11], v[7:8]
	v_add_f64 v[3:4], v[16:17], -v[3:4]
	s_waitcnt vmcnt(3)
	v_add_f64 v[5:6], v[18:19], -v[5:6]
	buffer_store_dword v4, v1, s[0:3], 0 offen offset:20
	buffer_store_dword v3, v1, s[0:3], 0 offen offset:16
	;; [unrolled: 1-line block ×4, first 2 shown]
	buffer_load_dword v7, off, s[0:3], 0 offset:216
	buffer_load_dword v8, off, s[0:3], 0 offset:220
	;; [unrolled: 1-line block ×4, first 2 shown]
	buffer_load_dword v15, v1, s[0:3], 0 offen offset:44
	ds_read2_b64 v[3:6], v2 offset0:4 offset1:5
	buffer_load_dword v16, v1, s[0:3], 0 offen offset:48
	buffer_load_dword v17, v1, s[0:3], 0 offen offset:52
	;; [unrolled: 1-line block ×3, first 2 shown]
	s_waitcnt vmcnt(6) lgkmcnt(0)
	v_mul_f64 v[19:20], v[5:6], v[7:8]
	v_mul_f64 v[7:8], v[3:4], v[7:8]
	s_waitcnt vmcnt(4)
	v_fma_f64 v[3:4], v[3:4], v[10:11], -v[19:20]
	v_fma_f64 v[5:6], v[5:6], v[10:11], v[7:8]
	v_add_f64 v[3:4], v[12:13], -v[3:4]
	s_waitcnt vmcnt(3)
	v_add_f64 v[5:6], v[14:15], -v[5:6]
	buffer_store_dword v4, v1, s[0:3], 0 offen offset:36
	buffer_store_dword v3, v1, s[0:3], 0 offen offset:32
	;; [unrolled: 1-line block ×4, first 2 shown]
	buffer_load_dword v7, off, s[0:3], 0 offset:216
	buffer_load_dword v8, off, s[0:3], 0 offset:220
	;; [unrolled: 1-line block ×4, first 2 shown]
	buffer_load_dword v19, v1, s[0:3], 0 offen offset:60
	ds_read2_b64 v[3:6], v2 offset0:6 offset1:7
	buffer_load_dword v12, v1, s[0:3], 0 offen offset:64
	s_waitcnt vmcnt(4) lgkmcnt(0)
	v_mul_f64 v[13:14], v[5:6], v[7:8]
	v_mul_f64 v[7:8], v[3:4], v[7:8]
	s_waitcnt vmcnt(2)
	v_fma_f64 v[3:4], v[3:4], v[10:11], -v[13:14]
	v_fma_f64 v[5:6], v[5:6], v[10:11], v[7:8]
	v_add_f64 v[3:4], v[16:17], -v[3:4]
	s_waitcnt vmcnt(1)
	v_add_f64 v[5:6], v[18:19], -v[5:6]
	buffer_store_dword v4, v1, s[0:3], 0 offen offset:52
	buffer_store_dword v3, v1, s[0:3], 0 offen offset:48
	;; [unrolled: 1-line block ×4, first 2 shown]
	buffer_load_dword v7, off, s[0:3], 0 offset:216
	buffer_load_dword v8, off, s[0:3], 0 offset:220
	;; [unrolled: 1-line block ×4, first 2 shown]
	buffer_load_dword v13, v1, s[0:3], 0 offen offset:68
	buffer_load_dword v14, v1, s[0:3], 0 offen offset:72
	;; [unrolled: 1-line block ×3, first 2 shown]
	ds_read2_b64 v[3:6], v2 offset0:8 offset1:9
	s_waitcnt vmcnt(5) lgkmcnt(0)
	v_mul_f64 v[16:17], v[5:6], v[7:8]
	v_mul_f64 v[7:8], v[3:4], v[7:8]
	s_waitcnt vmcnt(3)
	v_fma_f64 v[3:4], v[3:4], v[10:11], -v[16:17]
	v_fma_f64 v[5:6], v[5:6], v[10:11], v[7:8]
	s_waitcnt vmcnt(2)
	v_add_f64 v[3:4], v[12:13], -v[3:4]
	s_waitcnt vmcnt(0)
	v_add_f64 v[5:6], v[14:15], -v[5:6]
	buffer_store_dword v4, v1, s[0:3], 0 offen offset:68
	buffer_store_dword v3, v1, s[0:3], 0 offen offset:64
	buffer_store_dword v6, v1, s[0:3], 0 offen offset:76
	buffer_store_dword v5, v1, s[0:3], 0 offen offset:72
	buffer_load_dword v6, off, s[0:3], 0 offset:216
	s_nop 0
	buffer_load_dword v7, off, s[0:3], 0 offset:220
	buffer_load_dword v10, off, s[0:3], 0 offset:208
	;; [unrolled: 1-line block ×3, first 2 shown]
	buffer_load_dword v12, v1, s[0:3], 0 offen offset:80
	buffer_load_dword v13, v1, s[0:3], 0 offen offset:84
	;; [unrolled: 1-line block ×4, first 2 shown]
	ds_read2_b64 v[2:5], v2 offset0:10 offset1:11
	s_waitcnt vmcnt(6) lgkmcnt(0)
	v_mul_f64 v[16:17], v[4:5], v[6:7]
	v_mul_f64 v[6:7], v[2:3], v[6:7]
	s_waitcnt vmcnt(4)
	v_fma_f64 v[2:3], v[2:3], v[10:11], -v[16:17]
	v_fma_f64 v[4:5], v[4:5], v[10:11], v[6:7]
	s_waitcnt vmcnt(2)
	v_add_f64 v[2:3], v[12:13], -v[2:3]
	s_waitcnt vmcnt(0)
	v_add_f64 v[4:5], v[14:15], -v[4:5]
	buffer_store_dword v3, v1, s[0:3], 0 offen offset:84
	buffer_store_dword v2, v1, s[0:3], 0 offen offset:80
	;; [unrolled: 1-line block ×4, first 2 shown]
	s_cbranch_scc1 .LBB123_180
.LBB123_181:
	s_or_b64 exec, exec, s[6:7]
	v_cmp_eq_u32_e32 vcc, 14, v0
	s_waitcnt vmcnt(0)
	s_barrier
	s_and_saveexec_b64 s[8:9], vcc
	s_cbranch_execz .LBB123_192
; %bb.182:
	v_mov_b32_e32 v4, s88
	buffer_load_dword v1, v4, s[0:3], 0 offen
	buffer_load_dword v2, v4, s[0:3], 0 offen offset:4
	buffer_load_dword v3, v4, s[0:3], 0 offen offset:8
	s_nop 0
	buffer_load_dword v4, v4, s[0:3], 0 offen offset:12
	s_movk_i32 s10, 0xf0
	s_waitcnt vmcnt(0)
	ds_write2_b64 v125, v[1:2], v[3:4] offset1:1
	s_branch .LBB123_184
.LBB123_183:                            ;   in Loop: Header=BB123_184 Depth=1
	s_andn2_b64 vcc, exec, s[6:7]
	s_cbranch_vccz .LBB123_186
.LBB123_184:                            ; =>This Inner Loop Header: Depth=1
	v_mov_b32_e32 v8, s10
	buffer_load_dword v2, v8, s[0:3], 0 offen
	buffer_load_dword v3, v8, s[0:3], 0 offen offset:4
	buffer_load_dword v4, v8, s[0:3], 0 offen offset:8
	;; [unrolled: 1-line block ×15, first 2 shown]
	v_add_u32_e32 v1, s10, v121
	s_mov_b32 s11, s10
	s_mov_b64 s[6:7], -1
	s_cmpk_eq_i32 s10, 0x370
	s_waitcnt vmcnt(12)
	ds_write2_b64 v1, v[2:3], v[4:5] offset1:1
	s_waitcnt vmcnt(8)
	ds_write2_b64 v1, v[6:7], v[10:11] offset0:2 offset1:3
	s_waitcnt vmcnt(4)
	ds_write2_b64 v1, v[12:13], v[14:15] offset0:4 offset1:5
	;; [unrolled: 2-line block ×3, first 2 shown]
	buffer_load_dword v3, v8, s[0:3], 0 offen offset:76
	buffer_load_dword v2, v8, s[0:3], 0 offen offset:72
	buffer_load_dword v5, v8, s[0:3], 0 offen offset:68
	buffer_load_dword v4, v8, s[0:3], 0 offen offset:64
	s_waitcnt vmcnt(0)
	ds_write2_b64 v1, v[4:5], v[2:3] offset0:8 offset1:9
	buffer_load_dword v3, v8, s[0:3], 0 offen offset:92
	buffer_load_dword v2, v8, s[0:3], 0 offen offset:88
	buffer_load_dword v5, v8, s[0:3], 0 offen offset:84
	buffer_load_dword v4, v8, s[0:3], 0 offen offset:80
	s_waitcnt vmcnt(0)
	ds_write2_b64 v1, v[4:5], v[2:3] offset0:10 offset1:11
	buffer_load_dword v3, v8, s[0:3], 0 offen offset:108
	buffer_load_dword v2, v8, s[0:3], 0 offen offset:104
	buffer_load_dword v5, v8, s[0:3], 0 offen offset:100
	buffer_load_dword v4, v8, s[0:3], 0 offen offset:96
	s_waitcnt vmcnt(0)
	ds_write2_b64 v1, v[4:5], v[2:3] offset0:12 offset1:13
	s_cbranch_scc1 .LBB123_183
; %bb.185:                              ;   in Loop: Header=BB123_184 Depth=1
	v_mov_b32_e32 v5, s11
	buffer_load_dword v2, v5, s[0:3], 0 offen offset:112
	buffer_load_dword v3, v5, s[0:3], 0 offen offset:116
	;; [unrolled: 1-line block ×3, first 2 shown]
	s_nop 0
	buffer_load_dword v5, v5, s[0:3], 0 offen offset:124
	s_addk_i32 s10, 0x80
	s_mov_b64 s[6:7], 0
	s_waitcnt vmcnt(0)
	ds_write2_b64 v1, v[2:3], v[4:5] offset0:14 offset1:15
	s_branch .LBB123_183
.LBB123_186:
	ds_read2_b64 v[1:4], v125 offset1:1
	s_waitcnt lgkmcnt(0)
	v_cmp_neq_f64_e32 vcc, 0, v[1:2]
	v_cmp_neq_f64_e64 s[6:7], 0, v[3:4]
	s_or_b64 s[6:7], vcc, s[6:7]
	s_and_b64 exec, exec, s[6:7]
	s_cbranch_execz .LBB123_192
; %bb.187:
	v_cmp_ngt_f64_e64 s[6:7], |v[1:2]|, |v[3:4]|
                                        ; implicit-def: $vgpr5_vgpr6
	s_and_saveexec_b64 s[10:11], s[6:7]
	s_xor_b64 s[6:7], exec, s[10:11]
                                        ; implicit-def: $vgpr7_vgpr8
	s_cbranch_execz .LBB123_189
; %bb.188:
	v_div_scale_f64 v[5:6], s[10:11], v[3:4], v[3:4], v[1:2]
	v_rcp_f64_e32 v[7:8], v[5:6]
	v_fma_f64 v[10:11], -v[5:6], v[7:8], 1.0
	v_fma_f64 v[7:8], v[7:8], v[10:11], v[7:8]
	v_div_scale_f64 v[10:11], vcc, v[1:2], v[3:4], v[1:2]
	v_fma_f64 v[12:13], -v[5:6], v[7:8], 1.0
	v_fma_f64 v[7:8], v[7:8], v[12:13], v[7:8]
	v_mul_f64 v[12:13], v[10:11], v[7:8]
	v_fma_f64 v[5:6], -v[5:6], v[12:13], v[10:11]
	v_div_fmas_f64 v[5:6], v[5:6], v[7:8], v[12:13]
	v_div_fixup_f64 v[5:6], v[5:6], v[3:4], v[1:2]
	v_fma_f64 v[1:2], v[1:2], v[5:6], v[3:4]
	v_div_scale_f64 v[3:4], s[10:11], v[1:2], v[1:2], 1.0
	v_div_scale_f64 v[12:13], vcc, 1.0, v[1:2], 1.0
	v_rcp_f64_e32 v[7:8], v[3:4]
	v_fma_f64 v[10:11], -v[3:4], v[7:8], 1.0
	v_fma_f64 v[7:8], v[7:8], v[10:11], v[7:8]
	v_fma_f64 v[10:11], -v[3:4], v[7:8], 1.0
	v_fma_f64 v[7:8], v[7:8], v[10:11], v[7:8]
	v_mul_f64 v[10:11], v[12:13], v[7:8]
	v_fma_f64 v[3:4], -v[3:4], v[10:11], v[12:13]
	v_div_fmas_f64 v[3:4], v[3:4], v[7:8], v[10:11]
	v_div_fixup_f64 v[7:8], v[3:4], v[1:2], 1.0
                                        ; implicit-def: $vgpr1_vgpr2
	v_mul_f64 v[5:6], v[5:6], v[7:8]
	v_xor_b32_e32 v8, 0x80000000, v8
.LBB123_189:
	s_andn2_saveexec_b64 s[6:7], s[6:7]
	s_cbranch_execz .LBB123_191
; %bb.190:
	v_div_scale_f64 v[5:6], s[10:11], v[1:2], v[1:2], v[3:4]
	v_rcp_f64_e32 v[7:8], v[5:6]
	v_fma_f64 v[10:11], -v[5:6], v[7:8], 1.0
	v_fma_f64 v[7:8], v[7:8], v[10:11], v[7:8]
	v_div_scale_f64 v[10:11], vcc, v[3:4], v[1:2], v[3:4]
	v_fma_f64 v[12:13], -v[5:6], v[7:8], 1.0
	v_fma_f64 v[7:8], v[7:8], v[12:13], v[7:8]
	v_mul_f64 v[12:13], v[10:11], v[7:8]
	v_fma_f64 v[5:6], -v[5:6], v[12:13], v[10:11]
	v_div_fmas_f64 v[5:6], v[5:6], v[7:8], v[12:13]
	v_div_fixup_f64 v[7:8], v[5:6], v[1:2], v[3:4]
	v_fma_f64 v[1:2], v[3:4], v[7:8], v[1:2]
	v_div_scale_f64 v[3:4], s[10:11], v[1:2], v[1:2], 1.0
	v_div_scale_f64 v[12:13], vcc, 1.0, v[1:2], 1.0
	v_rcp_f64_e32 v[5:6], v[3:4]
	v_fma_f64 v[10:11], -v[3:4], v[5:6], 1.0
	v_fma_f64 v[5:6], v[5:6], v[10:11], v[5:6]
	v_fma_f64 v[10:11], -v[3:4], v[5:6], 1.0
	v_fma_f64 v[5:6], v[5:6], v[10:11], v[5:6]
	v_mul_f64 v[10:11], v[12:13], v[5:6]
	v_fma_f64 v[3:4], -v[3:4], v[10:11], v[12:13]
	v_div_fmas_f64 v[3:4], v[3:4], v[5:6], v[10:11]
	v_div_fixup_f64 v[5:6], v[3:4], v[1:2], 1.0
	v_mul_f64 v[7:8], v[7:8], -v[5:6]
.LBB123_191:
	s_or_b64 exec, exec, s[6:7]
	ds_write2_b64 v125, v[5:6], v[7:8] offset1:1
.LBB123_192:
	s_or_b64 exec, exec, s[8:9]
	s_waitcnt lgkmcnt(0)
	s_barrier
	ds_read2_b64 v[1:4], v125 offset1:1
	v_cmp_lt_u32_e32 vcc, 14, v0
	s_waitcnt lgkmcnt(0)
	buffer_store_dword v1, off, s[0:3], 0 offset:1664 ; 4-byte Folded Spill
	s_nop 0
	buffer_store_dword v2, off, s[0:3], 0 offset:1668 ; 4-byte Folded Spill
	buffer_store_dword v3, off, s[0:3], 0 offset:1672 ; 4-byte Folded Spill
	;; [unrolled: 1-line block ×3, first 2 shown]
	s_and_saveexec_b64 s[6:7], vcc
	s_cbranch_execz .LBB123_197
; %bb.193:
	buffer_load_dword v1, off, s[0:3], 0 offset:232
	buffer_load_dword v2, off, s[0:3], 0 offset:236
	buffer_load_dword v3, off, s[0:3], 0 offset:224
	buffer_load_dword v4, off, s[0:3], 0 offset:228
	buffer_load_dword v10, off, s[0:3], 0 offset:1664 ; 4-byte Folded Reload
	buffer_load_dword v11, off, s[0:3], 0 offset:1668 ; 4-byte Folded Reload
	;; [unrolled: 1-line block ×4, first 2 shown]
	s_movk_i32 s10, 0xf0
	s_waitcnt vmcnt(2)
	v_mul_f64 v[7:8], v[10:11], v[1:2]
	s_waitcnt vmcnt(0)
	v_mul_f64 v[5:6], v[12:13], v[1:2]
	v_fma_f64 v[1:2], v[10:11], v[3:4], -v[5:6]
	v_fma_f64 v[3:4], v[12:13], v[3:4], v[7:8]
	buffer_store_dword v1, off, s[0:3], 0 offset:224
	buffer_store_dword v2, off, s[0:3], 0 offset:228
	;; [unrolled: 1-line block ×4, first 2 shown]
	s_branch .LBB123_195
.LBB123_194:                            ;   in Loop: Header=BB123_195 Depth=1
	s_andn2_b64 vcc, exec, s[8:9]
	s_cbranch_vccz .LBB123_197
.LBB123_195:                            ; =>This Inner Loop Header: Depth=1
	v_mov_b32_e32 v8, s10
	buffer_load_dword v6, v8, s[0:3], 0 offen
	buffer_load_dword v7, v8, s[0:3], 0 offen offset:4
	buffer_load_dword v14, v8, s[0:3], 0 offen offset:8
	buffer_load_dword v15, v8, s[0:3], 0 offen offset:12
	v_add_u32_e32 v5, s10, v121
	ds_read2_b64 v[10:13], v5 offset1:1
	s_mov_b32 s11, s10
	s_cmpk_eq_i32 s10, 0x3b0
	s_mov_b64 s[8:9], -1
	s_waitcnt vmcnt(4) lgkmcnt(0)
	v_mul_f64 v[16:17], v[12:13], v[3:4]
	v_mul_f64 v[3:4], v[10:11], v[3:4]
	v_fma_f64 v[10:11], v[10:11], v[1:2], -v[16:17]
	v_fma_f64 v[1:2], v[12:13], v[1:2], v[3:4]
	s_waitcnt vmcnt(2)
	v_add_f64 v[3:4], v[6:7], -v[10:11]
	s_waitcnt vmcnt(0)
	v_add_f64 v[1:2], v[14:15], -v[1:2]
	buffer_store_dword v4, v8, s[0:3], 0 offen offset:4
	buffer_store_dword v3, v8, s[0:3], 0 offen
	buffer_store_dword v2, v8, s[0:3], 0 offen offset:12
	buffer_store_dword v1, v8, s[0:3], 0 offen offset:8
	buffer_load_dword v7, off, s[0:3], 0 offset:236
	buffer_load_dword v6, off, s[0:3], 0 offset:232
	buffer_load_dword v11, off, s[0:3], 0 offset:228
	buffer_load_dword v10, off, s[0:3], 0 offset:224
	buffer_load_dword v13, v8, s[0:3], 0 offen offset:20
	buffer_load_dword v12, v8, s[0:3], 0 offen offset:16
	;; [unrolled: 1-line block ×4, first 2 shown]
	ds_read2_b64 v[1:4], v5 offset0:2 offset1:3
	s_waitcnt vmcnt(6) lgkmcnt(0)
	v_mul_f64 v[16:17], v[3:4], v[6:7]
	v_mul_f64 v[6:7], v[1:2], v[6:7]
	s_waitcnt vmcnt(4)
	v_fma_f64 v[1:2], v[1:2], v[10:11], -v[16:17]
	v_fma_f64 v[3:4], v[3:4], v[10:11], v[6:7]
	s_waitcnt vmcnt(2)
	v_add_f64 v[1:2], v[12:13], -v[1:2]
	s_waitcnt vmcnt(0)
	v_add_f64 v[3:4], v[14:15], -v[3:4]
	buffer_store_dword v2, v8, s[0:3], 0 offen offset:20
	buffer_store_dword v1, v8, s[0:3], 0 offen offset:16
	buffer_store_dword v4, v8, s[0:3], 0 offen offset:28
	buffer_store_dword v3, v8, s[0:3], 0 offen offset:24
	buffer_load_dword v6, off, s[0:3], 0 offset:232
	buffer_load_dword v7, off, s[0:3], 0 offset:236
	;; [unrolled: 1-line block ×4, first 2 shown]
	buffer_load_dword v13, v8, s[0:3], 0 offen offset:36
	buffer_load_dword v12, v8, s[0:3], 0 offen offset:32
	;; [unrolled: 1-line block ×4, first 2 shown]
	ds_read2_b64 v[1:4], v5 offset0:4 offset1:5
	s_waitcnt vmcnt(6) lgkmcnt(0)
	v_mul_f64 v[16:17], v[3:4], v[6:7]
	v_mul_f64 v[6:7], v[1:2], v[6:7]
	s_waitcnt vmcnt(4)
	v_fma_f64 v[1:2], v[1:2], v[10:11], -v[16:17]
	v_fma_f64 v[3:4], v[3:4], v[10:11], v[6:7]
	s_waitcnt vmcnt(2)
	v_add_f64 v[1:2], v[12:13], -v[1:2]
	s_waitcnt vmcnt(0)
	v_add_f64 v[3:4], v[14:15], -v[3:4]
	buffer_store_dword v2, v8, s[0:3], 0 offen offset:36
	buffer_store_dword v1, v8, s[0:3], 0 offen offset:32
	;; [unrolled: 1-line block ×4, first 2 shown]
                                        ; implicit-def: $vgpr1_vgpr2
                                        ; implicit-def: $vgpr3_vgpr4
	s_cbranch_scc1 .LBB123_194
; %bb.196:                              ;   in Loop: Header=BB123_195 Depth=1
	ds_read2_b64 v[1:4], v5 offset0:6 offset1:7
	buffer_load_dword v5, off, s[0:3], 0 offset:224
	buffer_load_dword v6, off, s[0:3], 0 offset:228
	;; [unrolled: 1-line block ×4, first 2 shown]
	s_add_i32 s10, s10, 64
	s_mov_b64 s[8:9], 0
	s_waitcnt vmcnt(0) lgkmcnt(0)
	v_mul_f64 v[10:11], v[3:4], v[7:8]
	v_fma_f64 v[10:11], v[1:2], v[5:6], -v[10:11]
	v_mul_f64 v[1:2], v[1:2], v[7:8]
	v_mov_b32_e32 v7, s11
	v_fma_f64 v[1:2], v[3:4], v[5:6], v[1:2]
	buffer_load_dword v3, v7, s[0:3], 0 offen offset:48
	buffer_load_dword v4, v7, s[0:3], 0 offen offset:52
	;; [unrolled: 1-line block ×4, first 2 shown]
	s_waitcnt vmcnt(2)
	v_add_f64 v[3:4], v[3:4], -v[10:11]
	s_waitcnt vmcnt(0)
	v_add_f64 v[1:2], v[5:6], -v[1:2]
	buffer_store_dword v4, v7, s[0:3], 0 offen offset:52
	buffer_store_dword v3, v7, s[0:3], 0 offen offset:48
	;; [unrolled: 1-line block ×4, first 2 shown]
	buffer_load_dword v2, off, s[0:3], 0 offset:228
	s_nop 0
	buffer_load_dword v1, off, s[0:3], 0 offset:224
	buffer_load_dword v4, off, s[0:3], 0 offset:236
	;; [unrolled: 1-line block ×3, first 2 shown]
	s_branch .LBB123_194
.LBB123_197:
	s_or_b64 exec, exec, s[6:7]
	v_cmp_eq_u32_e32 vcc, 15, v0
	s_waitcnt vmcnt(0)
	s_barrier
	s_and_saveexec_b64 s[8:9], vcc
	s_cbranch_execz .LBB123_206
; %bb.198:
	v_readlane_b32 s6, v126, 0
	v_mov_b32_e32 v4, s6
	buffer_load_dword v1, v4, s[0:3], 0 offen
	buffer_load_dword v2, v4, s[0:3], 0 offen offset:4
	buffer_load_dword v3, v4, s[0:3], 0 offen offset:8
	s_nop 0
	buffer_load_dword v4, v4, s[0:3], 0 offen offset:12
	s_movk_i32 s6, 0x100
	s_waitcnt vmcnt(0)
	ds_write2_b64 v125, v[1:2], v[3:4] offset1:1
.LBB123_199:                            ; =>This Inner Loop Header: Depth=1
	v_mov_b32_e32 v8, s6
	buffer_load_dword v1, v8, s[0:3], 0 offen
	buffer_load_dword v2, v8, s[0:3], 0 offen offset:4
	buffer_load_dword v3, v8, s[0:3], 0 offen offset:8
	;; [unrolled: 1-line block ×6, first 2 shown]
	s_nop 0
	buffer_load_dword v8, v8, s[0:3], 0 offen offset:28
	v_add_u32_e32 v10, s6, v121
	s_add_i32 s6, s6, 32
	s_cmpk_lg_i32 s6, 0x3e0
	s_waitcnt vmcnt(4)
	ds_write2_b64 v10, v[1:2], v[3:4] offset1:1
	s_waitcnt vmcnt(0)
	ds_write2_b64 v10, v[5:6], v[7:8] offset0:2 offset1:3
	s_cbranch_scc1 .LBB123_199
; %bb.200:
	ds_read2_b64 v[1:4], v125 offset1:1
	s_waitcnt lgkmcnt(0)
	v_cmp_neq_f64_e32 vcc, 0, v[1:2]
	v_cmp_neq_f64_e64 s[6:7], 0, v[3:4]
	s_or_b64 s[6:7], vcc, s[6:7]
	s_and_b64 exec, exec, s[6:7]
	s_cbranch_execz .LBB123_206
; %bb.201:
	v_cmp_ngt_f64_e64 s[6:7], |v[1:2]|, |v[3:4]|
                                        ; implicit-def: $vgpr5_vgpr6
	s_and_saveexec_b64 s[10:11], s[6:7]
	s_xor_b64 s[6:7], exec, s[10:11]
                                        ; implicit-def: $vgpr7_vgpr8
	s_cbranch_execz .LBB123_203
; %bb.202:
	v_div_scale_f64 v[5:6], s[10:11], v[3:4], v[3:4], v[1:2]
	v_rcp_f64_e32 v[7:8], v[5:6]
	v_fma_f64 v[10:11], -v[5:6], v[7:8], 1.0
	v_fma_f64 v[7:8], v[7:8], v[10:11], v[7:8]
	v_div_scale_f64 v[10:11], vcc, v[1:2], v[3:4], v[1:2]
	v_fma_f64 v[12:13], -v[5:6], v[7:8], 1.0
	v_fma_f64 v[7:8], v[7:8], v[12:13], v[7:8]
	v_mul_f64 v[12:13], v[10:11], v[7:8]
	v_fma_f64 v[5:6], -v[5:6], v[12:13], v[10:11]
	v_div_fmas_f64 v[5:6], v[5:6], v[7:8], v[12:13]
	v_div_fixup_f64 v[5:6], v[5:6], v[3:4], v[1:2]
	v_fma_f64 v[1:2], v[1:2], v[5:6], v[3:4]
	v_div_scale_f64 v[3:4], s[10:11], v[1:2], v[1:2], 1.0
	v_div_scale_f64 v[12:13], vcc, 1.0, v[1:2], 1.0
	v_rcp_f64_e32 v[7:8], v[3:4]
	v_fma_f64 v[10:11], -v[3:4], v[7:8], 1.0
	v_fma_f64 v[7:8], v[7:8], v[10:11], v[7:8]
	v_fma_f64 v[10:11], -v[3:4], v[7:8], 1.0
	v_fma_f64 v[7:8], v[7:8], v[10:11], v[7:8]
	v_mul_f64 v[10:11], v[12:13], v[7:8]
	v_fma_f64 v[3:4], -v[3:4], v[10:11], v[12:13]
	v_div_fmas_f64 v[3:4], v[3:4], v[7:8], v[10:11]
	v_div_fixup_f64 v[7:8], v[3:4], v[1:2], 1.0
                                        ; implicit-def: $vgpr1_vgpr2
	v_mul_f64 v[5:6], v[5:6], v[7:8]
	v_xor_b32_e32 v8, 0x80000000, v8
.LBB123_203:
	s_andn2_saveexec_b64 s[6:7], s[6:7]
	s_cbranch_execz .LBB123_205
; %bb.204:
	v_div_scale_f64 v[5:6], s[10:11], v[1:2], v[1:2], v[3:4]
	v_rcp_f64_e32 v[7:8], v[5:6]
	v_fma_f64 v[10:11], -v[5:6], v[7:8], 1.0
	v_fma_f64 v[7:8], v[7:8], v[10:11], v[7:8]
	v_div_scale_f64 v[10:11], vcc, v[3:4], v[1:2], v[3:4]
	v_fma_f64 v[12:13], -v[5:6], v[7:8], 1.0
	v_fma_f64 v[7:8], v[7:8], v[12:13], v[7:8]
	v_mul_f64 v[12:13], v[10:11], v[7:8]
	v_fma_f64 v[5:6], -v[5:6], v[12:13], v[10:11]
	v_div_fmas_f64 v[5:6], v[5:6], v[7:8], v[12:13]
	v_div_fixup_f64 v[7:8], v[5:6], v[1:2], v[3:4]
	v_fma_f64 v[1:2], v[3:4], v[7:8], v[1:2]
	v_div_scale_f64 v[3:4], s[10:11], v[1:2], v[1:2], 1.0
	v_div_scale_f64 v[12:13], vcc, 1.0, v[1:2], 1.0
	v_rcp_f64_e32 v[5:6], v[3:4]
	v_fma_f64 v[10:11], -v[3:4], v[5:6], 1.0
	v_fma_f64 v[5:6], v[5:6], v[10:11], v[5:6]
	v_fma_f64 v[10:11], -v[3:4], v[5:6], 1.0
	v_fma_f64 v[5:6], v[5:6], v[10:11], v[5:6]
	v_mul_f64 v[10:11], v[12:13], v[5:6]
	v_fma_f64 v[3:4], -v[3:4], v[10:11], v[12:13]
	v_div_fmas_f64 v[3:4], v[3:4], v[5:6], v[10:11]
	v_div_fixup_f64 v[5:6], v[3:4], v[1:2], 1.0
	v_mul_f64 v[7:8], v[7:8], -v[5:6]
.LBB123_205:
	s_or_b64 exec, exec, s[6:7]
	ds_write2_b64 v125, v[5:6], v[7:8] offset1:1
.LBB123_206:
	s_or_b64 exec, exec, s[8:9]
	s_waitcnt lgkmcnt(0)
	s_barrier
	ds_read2_b64 v[1:4], v125 offset1:1
	v_cmp_lt_u32_e32 vcc, 15, v0
	s_waitcnt lgkmcnt(0)
	buffer_store_dword v1, off, s[0:3], 0 offset:1680 ; 4-byte Folded Spill
	s_nop 0
	buffer_store_dword v2, off, s[0:3], 0 offset:1684 ; 4-byte Folded Spill
	buffer_store_dword v3, off, s[0:3], 0 offset:1688 ; 4-byte Folded Spill
	;; [unrolled: 1-line block ×3, first 2 shown]
	s_and_saveexec_b64 s[6:7], vcc
	s_cbranch_execz .LBB123_209
; %bb.207:
	buffer_load_dword v1, off, s[0:3], 0 offset:248
	buffer_load_dword v2, off, s[0:3], 0 offset:252
	;; [unrolled: 1-line block ×4, first 2 shown]
	buffer_load_dword v10, off, s[0:3], 0 offset:1680 ; 4-byte Folded Reload
	buffer_load_dword v11, off, s[0:3], 0 offset:1684 ; 4-byte Folded Reload
	;; [unrolled: 1-line block ×4, first 2 shown]
	s_movk_i32 s8, 0x100
	s_waitcnt vmcnt(0)
	v_mul_f64 v[5:6], v[12:13], v[1:2]
	v_mul_f64 v[1:2], v[10:11], v[1:2]
	v_fma_f64 v[5:6], v[10:11], v[3:4], -v[5:6]
	v_fma_f64 v[1:2], v[12:13], v[3:4], v[1:2]
	buffer_store_dword v5, off, s[0:3], 0 offset:240
	buffer_store_dword v6, off, s[0:3], 0 offset:244
	;; [unrolled: 1-line block ×4, first 2 shown]
.LBB123_208:                            ; =>This Inner Loop Header: Depth=1
	v_add_u32_e32 v14, s8, v121
	ds_read2_b64 v[1:4], v14 offset1:1
	buffer_load_dword v5, off, s[0:3], 0 offset:240
	buffer_load_dword v6, off, s[0:3], 0 offset:244
	;; [unrolled: 1-line block ×4, first 2 shown]
	v_mov_b32_e32 v16, s8
	s_add_i32 s8, s8, 32
	s_cmpk_lg_i32 s8, 0x3e0
	s_waitcnt vmcnt(0) lgkmcnt(0)
	v_mul_f64 v[10:11], v[3:4], v[7:8]
	v_fma_f64 v[10:11], v[1:2], v[5:6], -v[10:11]
	v_mul_f64 v[1:2], v[1:2], v[7:8]
	v_fma_f64 v[1:2], v[3:4], v[5:6], v[1:2]
	buffer_load_dword v3, v16, s[0:3], 0 offen
	buffer_load_dword v4, v16, s[0:3], 0 offen offset:4
	buffer_load_dword v5, v16, s[0:3], 0 offen offset:8
	;; [unrolled: 1-line block ×7, first 2 shown]
	s_waitcnt vmcnt(6)
	v_add_f64 v[3:4], v[3:4], -v[10:11]
	s_waitcnt vmcnt(4)
	v_add_f64 v[1:2], v[5:6], -v[1:2]
	buffer_store_dword v4, v16, s[0:3], 0 offen offset:4
	buffer_store_dword v3, v16, s[0:3], 0 offen
	buffer_store_dword v2, v16, s[0:3], 0 offen offset:12
	buffer_store_dword v1, v16, s[0:3], 0 offen offset:8
	ds_read2_b64 v[1:4], v14 offset0:2 offset1:3
	buffer_load_dword v6, off, s[0:3], 0 offset:244
	buffer_load_dword v5, off, s[0:3], 0 offset:240
	;; [unrolled: 1-line block ×4, first 2 shown]
	s_waitcnt vmcnt(0) lgkmcnt(0)
	v_mul_f64 v[14:15], v[3:4], v[10:11]
	v_fma_f64 v[14:15], v[1:2], v[5:6], -v[14:15]
	v_mul_f64 v[1:2], v[1:2], v[10:11]
	v_fma_f64 v[1:2], v[3:4], v[5:6], v[1:2]
	v_add_f64 v[3:4], v[7:8], -v[14:15]
	v_add_f64 v[1:2], v[12:13], -v[1:2]
	buffer_store_dword v4, v16, s[0:3], 0 offen offset:20
	buffer_store_dword v3, v16, s[0:3], 0 offen offset:16
	;; [unrolled: 1-line block ×4, first 2 shown]
	s_cbranch_scc1 .LBB123_208
.LBB123_209:
	s_or_b64 exec, exec, s[6:7]
	v_cmp_eq_u32_e32 vcc, 16, v0
	s_waitcnt vmcnt(0)
	s_barrier
	s_and_saveexec_b64 s[8:9], vcc
	s_cbranch_execz .LBB123_218
; %bb.210:
	v_readlane_b32 s6, v126, 1
	v_mov_b32_e32 v4, s6
	buffer_load_dword v1, v4, s[0:3], 0 offen
	buffer_load_dword v2, v4, s[0:3], 0 offen offset:4
	buffer_load_dword v3, v4, s[0:3], 0 offen offset:8
	s_nop 0
	buffer_load_dword v4, v4, s[0:3], 0 offen offset:12
	s_movk_i32 s6, 0x110
	s_waitcnt vmcnt(0)
	ds_write2_b64 v125, v[1:2], v[3:4] offset1:1
.LBB123_211:                            ; =>This Inner Loop Header: Depth=1
	v_mov_b32_e32 v18, s6
	buffer_load_dword v1, v18, s[0:3], 0 offen
	buffer_load_dword v2, v18, s[0:3], 0 offen offset:4
	buffer_load_dword v3, v18, s[0:3], 0 offen offset:8
	;; [unrolled: 1-line block ×15, first 2 shown]
	v_add_u32_e32 v19, s6, v121
	s_addk_i32 s6, 0xf0
	s_cmpk_lg_i32 s6, 0x3e0
	s_waitcnt vmcnt(12)
	ds_write2_b64 v19, v[1:2], v[3:4] offset1:1
	s_waitcnt vmcnt(8)
	ds_write2_b64 v19, v[5:6], v[7:8] offset0:2 offset1:3
	s_waitcnt vmcnt(4)
	ds_write2_b64 v19, v[10:11], v[12:13] offset0:4 offset1:5
	;; [unrolled: 2-line block ×3, first 2 shown]
	buffer_load_dword v2, v18, s[0:3], 0 offen offset:76
	buffer_load_dword v1, v18, s[0:3], 0 offen offset:72
	buffer_load_dword v4, v18, s[0:3], 0 offen offset:68
	buffer_load_dword v3, v18, s[0:3], 0 offen offset:64
	s_waitcnt vmcnt(0)
	ds_write2_b64 v19, v[3:4], v[1:2] offset0:8 offset1:9
	buffer_load_dword v2, v18, s[0:3], 0 offen offset:92
	buffer_load_dword v1, v18, s[0:3], 0 offen offset:88
	buffer_load_dword v4, v18, s[0:3], 0 offen offset:84
	buffer_load_dword v3, v18, s[0:3], 0 offen offset:80
	s_waitcnt vmcnt(0)
	ds_write2_b64 v19, v[3:4], v[1:2] offset0:10 offset1:11
	;; [unrolled: 6-line block ×11, first 2 shown]
	s_cbranch_scc1 .LBB123_211
; %bb.212:
	ds_read2_b64 v[1:4], v125 offset1:1
	s_waitcnt lgkmcnt(0)
	v_cmp_neq_f64_e32 vcc, 0, v[1:2]
	v_cmp_neq_f64_e64 s[6:7], 0, v[3:4]
	s_or_b64 s[6:7], vcc, s[6:7]
	s_and_b64 exec, exec, s[6:7]
	s_cbranch_execz .LBB123_218
; %bb.213:
	v_cmp_ngt_f64_e64 s[6:7], |v[1:2]|, |v[3:4]|
                                        ; implicit-def: $vgpr5_vgpr6
	s_and_saveexec_b64 s[10:11], s[6:7]
	s_xor_b64 s[6:7], exec, s[10:11]
                                        ; implicit-def: $vgpr7_vgpr8
	s_cbranch_execz .LBB123_215
; %bb.214:
	v_div_scale_f64 v[5:6], s[10:11], v[3:4], v[3:4], v[1:2]
	v_rcp_f64_e32 v[7:8], v[5:6]
	v_fma_f64 v[10:11], -v[5:6], v[7:8], 1.0
	v_fma_f64 v[7:8], v[7:8], v[10:11], v[7:8]
	v_div_scale_f64 v[10:11], vcc, v[1:2], v[3:4], v[1:2]
	v_fma_f64 v[12:13], -v[5:6], v[7:8], 1.0
	v_fma_f64 v[7:8], v[7:8], v[12:13], v[7:8]
	v_mul_f64 v[12:13], v[10:11], v[7:8]
	v_fma_f64 v[5:6], -v[5:6], v[12:13], v[10:11]
	v_div_fmas_f64 v[5:6], v[5:6], v[7:8], v[12:13]
	v_div_fixup_f64 v[5:6], v[5:6], v[3:4], v[1:2]
	v_fma_f64 v[1:2], v[1:2], v[5:6], v[3:4]
	v_div_scale_f64 v[3:4], s[10:11], v[1:2], v[1:2], 1.0
	v_div_scale_f64 v[12:13], vcc, 1.0, v[1:2], 1.0
	v_rcp_f64_e32 v[7:8], v[3:4]
	v_fma_f64 v[10:11], -v[3:4], v[7:8], 1.0
	v_fma_f64 v[7:8], v[7:8], v[10:11], v[7:8]
	v_fma_f64 v[10:11], -v[3:4], v[7:8], 1.0
	v_fma_f64 v[7:8], v[7:8], v[10:11], v[7:8]
	v_mul_f64 v[10:11], v[12:13], v[7:8]
	v_fma_f64 v[3:4], -v[3:4], v[10:11], v[12:13]
	v_div_fmas_f64 v[3:4], v[3:4], v[7:8], v[10:11]
	v_div_fixup_f64 v[7:8], v[3:4], v[1:2], 1.0
                                        ; implicit-def: $vgpr1_vgpr2
	v_mul_f64 v[5:6], v[5:6], v[7:8]
	v_xor_b32_e32 v8, 0x80000000, v8
.LBB123_215:
	s_andn2_saveexec_b64 s[6:7], s[6:7]
	s_cbranch_execz .LBB123_217
; %bb.216:
	v_div_scale_f64 v[5:6], s[10:11], v[1:2], v[1:2], v[3:4]
	v_rcp_f64_e32 v[7:8], v[5:6]
	v_fma_f64 v[10:11], -v[5:6], v[7:8], 1.0
	v_fma_f64 v[7:8], v[7:8], v[10:11], v[7:8]
	v_div_scale_f64 v[10:11], vcc, v[3:4], v[1:2], v[3:4]
	v_fma_f64 v[12:13], -v[5:6], v[7:8], 1.0
	v_fma_f64 v[7:8], v[7:8], v[12:13], v[7:8]
	v_mul_f64 v[12:13], v[10:11], v[7:8]
	v_fma_f64 v[5:6], -v[5:6], v[12:13], v[10:11]
	v_div_fmas_f64 v[5:6], v[5:6], v[7:8], v[12:13]
	v_div_fixup_f64 v[7:8], v[5:6], v[1:2], v[3:4]
	v_fma_f64 v[1:2], v[3:4], v[7:8], v[1:2]
	v_div_scale_f64 v[3:4], s[10:11], v[1:2], v[1:2], 1.0
	v_div_scale_f64 v[12:13], vcc, 1.0, v[1:2], 1.0
	v_rcp_f64_e32 v[5:6], v[3:4]
	v_fma_f64 v[10:11], -v[3:4], v[5:6], 1.0
	v_fma_f64 v[5:6], v[5:6], v[10:11], v[5:6]
	v_fma_f64 v[10:11], -v[3:4], v[5:6], 1.0
	v_fma_f64 v[5:6], v[5:6], v[10:11], v[5:6]
	v_mul_f64 v[10:11], v[12:13], v[5:6]
	v_fma_f64 v[3:4], -v[3:4], v[10:11], v[12:13]
	v_div_fmas_f64 v[3:4], v[3:4], v[5:6], v[10:11]
	v_div_fixup_f64 v[5:6], v[3:4], v[1:2], 1.0
	v_mul_f64 v[7:8], v[7:8], -v[5:6]
.LBB123_217:
	s_or_b64 exec, exec, s[6:7]
	ds_write2_b64 v125, v[5:6], v[7:8] offset1:1
.LBB123_218:
	s_or_b64 exec, exec, s[8:9]
	s_waitcnt lgkmcnt(0)
	s_barrier
	ds_read2_b64 v[1:4], v125 offset1:1
	v_cmp_lt_u32_e32 vcc, 16, v0
	s_waitcnt lgkmcnt(0)
	buffer_store_dword v1, off, s[0:3], 0 offset:1696 ; 4-byte Folded Spill
	s_nop 0
	buffer_store_dword v2, off, s[0:3], 0 offset:1700 ; 4-byte Folded Spill
	buffer_store_dword v3, off, s[0:3], 0 offset:1704 ; 4-byte Folded Spill
	;; [unrolled: 1-line block ×3, first 2 shown]
	s_and_saveexec_b64 s[6:7], vcc
	s_cbranch_execz .LBB123_221
; %bb.219:
	buffer_load_dword v1, off, s[0:3], 0 offset:264
	buffer_load_dword v2, off, s[0:3], 0 offset:268
	;; [unrolled: 1-line block ×4, first 2 shown]
	buffer_load_dword v10, off, s[0:3], 0 offset:1696 ; 4-byte Folded Reload
	buffer_load_dword v11, off, s[0:3], 0 offset:1700 ; 4-byte Folded Reload
	;; [unrolled: 1-line block ×4, first 2 shown]
	s_movk_i32 s8, 0x110
	s_waitcnt vmcnt(0)
	v_mul_f64 v[5:6], v[12:13], v[1:2]
	v_mul_f64 v[1:2], v[10:11], v[1:2]
	v_fma_f64 v[5:6], v[10:11], v[3:4], -v[5:6]
	v_fma_f64 v[1:2], v[12:13], v[3:4], v[1:2]
	buffer_store_dword v5, off, s[0:3], 0 offset:256
	buffer_store_dword v6, off, s[0:3], 0 offset:260
	;; [unrolled: 1-line block ×4, first 2 shown]
.LBB123_220:                            ; =>This Inner Loop Header: Depth=1
	buffer_load_dword v7, off, s[0:3], 0 offset:264
	buffer_load_dword v8, off, s[0:3], 0 offset:268
	buffer_load_dword v10, off, s[0:3], 0 offset:256
	buffer_load_dword v11, off, s[0:3], 0 offset:260
	v_mov_b32_e32 v1, s8
	buffer_load_dword v12, v1, s[0:3], 0 offen
	buffer_load_dword v13, v1, s[0:3], 0 offen offset:4
	buffer_load_dword v14, v1, s[0:3], 0 offen offset:8
	;; [unrolled: 1-line block ×3, first 2 shown]
	v_add_u32_e32 v2, s8, v121
	ds_read2_b64 v[3:6], v2 offset1:1
	buffer_load_dword v16, v1, s[0:3], 0 offen offset:16
	buffer_load_dword v17, v1, s[0:3], 0 offen offset:20
	;; [unrolled: 1-line block ×3, first 2 shown]
	s_addk_i32 s8, 0x50
	s_cmpk_lg_i32 s8, 0x3e0
	s_waitcnt vmcnt(9) lgkmcnt(0)
	v_mul_f64 v[19:20], v[5:6], v[7:8]
	v_mul_f64 v[7:8], v[3:4], v[7:8]
	s_waitcnt vmcnt(7)
	v_fma_f64 v[3:4], v[3:4], v[10:11], -v[19:20]
	v_fma_f64 v[5:6], v[5:6], v[10:11], v[7:8]
	s_waitcnt vmcnt(5)
	v_add_f64 v[3:4], v[12:13], -v[3:4]
	s_waitcnt vmcnt(3)
	v_add_f64 v[5:6], v[14:15], -v[5:6]
	buffer_store_dword v4, v1, s[0:3], 0 offen offset:4
	buffer_store_dword v3, v1, s[0:3], 0 offen
	buffer_store_dword v6, v1, s[0:3], 0 offen offset:12
	buffer_store_dword v5, v1, s[0:3], 0 offen offset:8
	buffer_load_dword v8, off, s[0:3], 0 offset:268
	buffer_load_dword v7, off, s[0:3], 0 offset:264
	buffer_load_dword v11, off, s[0:3], 0 offset:260
	buffer_load_dword v10, off, s[0:3], 0 offset:256
	buffer_load_dword v19, v1, s[0:3], 0 offen offset:28
	ds_read2_b64 v[3:6], v2 offset0:2 offset1:3
	buffer_load_dword v12, v1, s[0:3], 0 offen offset:32
	buffer_load_dword v13, v1, s[0:3], 0 offen offset:36
	;; [unrolled: 1-line block ×3, first 2 shown]
	s_waitcnt vmcnt(6) lgkmcnt(0)
	v_mul_f64 v[20:21], v[5:6], v[7:8]
	v_mul_f64 v[7:8], v[3:4], v[7:8]
	s_waitcnt vmcnt(4)
	v_fma_f64 v[3:4], v[3:4], v[10:11], -v[20:21]
	v_fma_f64 v[5:6], v[5:6], v[10:11], v[7:8]
	v_add_f64 v[3:4], v[16:17], -v[3:4]
	s_waitcnt vmcnt(3)
	v_add_f64 v[5:6], v[18:19], -v[5:6]
	buffer_store_dword v4, v1, s[0:3], 0 offen offset:20
	buffer_store_dword v3, v1, s[0:3], 0 offen offset:16
	;; [unrolled: 1-line block ×4, first 2 shown]
	buffer_load_dword v7, off, s[0:3], 0 offset:264
	buffer_load_dword v8, off, s[0:3], 0 offset:268
	;; [unrolled: 1-line block ×4, first 2 shown]
	buffer_load_dword v15, v1, s[0:3], 0 offen offset:44
	ds_read2_b64 v[3:6], v2 offset0:4 offset1:5
	buffer_load_dword v16, v1, s[0:3], 0 offen offset:48
	s_waitcnt vmcnt(4) lgkmcnt(0)
	v_mul_f64 v[17:18], v[5:6], v[7:8]
	v_mul_f64 v[7:8], v[3:4], v[7:8]
	s_waitcnt vmcnt(2)
	v_fma_f64 v[3:4], v[3:4], v[10:11], -v[17:18]
	v_fma_f64 v[5:6], v[5:6], v[10:11], v[7:8]
	v_add_f64 v[3:4], v[12:13], -v[3:4]
	s_waitcnt vmcnt(1)
	v_add_f64 v[5:6], v[14:15], -v[5:6]
	buffer_store_dword v4, v1, s[0:3], 0 offen offset:36
	buffer_store_dword v3, v1, s[0:3], 0 offen offset:32
	;; [unrolled: 1-line block ×4, first 2 shown]
	buffer_load_dword v7, off, s[0:3], 0 offset:264
	buffer_load_dword v8, off, s[0:3], 0 offset:268
	;; [unrolled: 1-line block ×4, first 2 shown]
	buffer_load_dword v17, v1, s[0:3], 0 offen offset:52
	buffer_load_dword v12, v1, s[0:3], 0 offen offset:56
	buffer_load_dword v13, v1, s[0:3], 0 offen offset:60
	ds_read2_b64 v[3:6], v2 offset0:6 offset1:7
	s_waitcnt vmcnt(5) lgkmcnt(0)
	v_mul_f64 v[14:15], v[5:6], v[7:8]
	v_mul_f64 v[7:8], v[3:4], v[7:8]
	s_waitcnt vmcnt(3)
	v_fma_f64 v[3:4], v[3:4], v[10:11], -v[14:15]
	v_fma_f64 v[5:6], v[5:6], v[10:11], v[7:8]
	s_waitcnt vmcnt(2)
	v_add_f64 v[3:4], v[16:17], -v[3:4]
	s_waitcnt vmcnt(0)
	v_add_f64 v[5:6], v[12:13], -v[5:6]
	buffer_store_dword v4, v1, s[0:3], 0 offen offset:52
	buffer_store_dword v3, v1, s[0:3], 0 offen offset:48
	;; [unrolled: 1-line block ×4, first 2 shown]
	buffer_load_dword v6, off, s[0:3], 0 offset:264
	s_nop 0
	buffer_load_dword v7, off, s[0:3], 0 offset:268
	buffer_load_dword v10, off, s[0:3], 0 offset:256
	;; [unrolled: 1-line block ×3, first 2 shown]
	buffer_load_dword v12, v1, s[0:3], 0 offen offset:64
	buffer_load_dword v13, v1, s[0:3], 0 offen offset:68
	;; [unrolled: 1-line block ×4, first 2 shown]
	ds_read2_b64 v[2:5], v2 offset0:8 offset1:9
	s_waitcnt vmcnt(6) lgkmcnt(0)
	v_mul_f64 v[16:17], v[4:5], v[6:7]
	v_mul_f64 v[6:7], v[2:3], v[6:7]
	s_waitcnt vmcnt(4)
	v_fma_f64 v[2:3], v[2:3], v[10:11], -v[16:17]
	v_fma_f64 v[4:5], v[4:5], v[10:11], v[6:7]
	s_waitcnt vmcnt(2)
	v_add_f64 v[2:3], v[12:13], -v[2:3]
	s_waitcnt vmcnt(0)
	v_add_f64 v[4:5], v[14:15], -v[4:5]
	buffer_store_dword v3, v1, s[0:3], 0 offen offset:68
	buffer_store_dword v2, v1, s[0:3], 0 offen offset:64
	;; [unrolled: 1-line block ×4, first 2 shown]
	s_cbranch_scc1 .LBB123_220
.LBB123_221:
	s_or_b64 exec, exec, s[6:7]
	v_cmp_eq_u32_e32 vcc, 17, v0
	s_waitcnt vmcnt(0)
	s_barrier
	s_and_saveexec_b64 s[8:9], vcc
	s_cbranch_execz .LBB123_230
; %bb.222:
	v_mov_b32_e32 v4, s87
	buffer_load_dword v1, v4, s[0:3], 0 offen
	buffer_load_dword v2, v4, s[0:3], 0 offen offset:4
	buffer_load_dword v3, v4, s[0:3], 0 offen offset:8
	s_nop 0
	buffer_load_dword v4, v4, s[0:3], 0 offen offset:12
	s_movk_i32 s6, 0x120
	s_waitcnt vmcnt(0)
	ds_write2_b64 v125, v[1:2], v[3:4] offset1:1
.LBB123_223:                            ; =>This Inner Loop Header: Depth=1
	v_mov_b32_e32 v18, s6
	buffer_load_dword v1, v18, s[0:3], 0 offen
	buffer_load_dword v2, v18, s[0:3], 0 offen offset:4
	buffer_load_dword v3, v18, s[0:3], 0 offen offset:8
	buffer_load_dword v4, v18, s[0:3], 0 offen offset:12
	buffer_load_dword v5, v18, s[0:3], 0 offen offset:16
	buffer_load_dword v6, v18, s[0:3], 0 offen offset:20
	buffer_load_dword v7, v18, s[0:3], 0 offen offset:24
	buffer_load_dword v8, v18, s[0:3], 0 offen offset:28
	buffer_load_dword v10, v18, s[0:3], 0 offen offset:32
	buffer_load_dword v11, v18, s[0:3], 0 offen offset:36
	buffer_load_dword v12, v18, s[0:3], 0 offen offset:40
	buffer_load_dword v13, v18, s[0:3], 0 offen offset:44
	buffer_load_dword v14, v18, s[0:3], 0 offen offset:48
	buffer_load_dword v15, v18, s[0:3], 0 offen offset:52
	buffer_load_dword v16, v18, s[0:3], 0 offen offset:56
	buffer_load_dword v17, v18, s[0:3], 0 offen offset:60
	v_add_u32_e32 v19, s6, v121
	s_addk_i32 s6, 0xb0
	s_cmpk_lg_i32 s6, 0x3e0
	s_waitcnt vmcnt(12)
	ds_write2_b64 v19, v[1:2], v[3:4] offset1:1
	s_waitcnt vmcnt(8)
	ds_write2_b64 v19, v[5:6], v[7:8] offset0:2 offset1:3
	s_waitcnt vmcnt(4)
	ds_write2_b64 v19, v[10:11], v[12:13] offset0:4 offset1:5
	;; [unrolled: 2-line block ×3, first 2 shown]
	buffer_load_dword v2, v18, s[0:3], 0 offen offset:76
	buffer_load_dword v1, v18, s[0:3], 0 offen offset:72
	buffer_load_dword v4, v18, s[0:3], 0 offen offset:68
	buffer_load_dword v3, v18, s[0:3], 0 offen offset:64
	s_waitcnt vmcnt(0)
	ds_write2_b64 v19, v[3:4], v[1:2] offset0:8 offset1:9
	buffer_load_dword v2, v18, s[0:3], 0 offen offset:92
	buffer_load_dword v1, v18, s[0:3], 0 offen offset:88
	buffer_load_dword v4, v18, s[0:3], 0 offen offset:84
	buffer_load_dword v3, v18, s[0:3], 0 offen offset:80
	s_waitcnt vmcnt(0)
	ds_write2_b64 v19, v[3:4], v[1:2] offset0:10 offset1:11
	;; [unrolled: 6-line block ×7, first 2 shown]
	s_cbranch_scc1 .LBB123_223
; %bb.224:
	ds_read2_b64 v[1:4], v125 offset1:1
	s_waitcnt lgkmcnt(0)
	v_cmp_neq_f64_e32 vcc, 0, v[1:2]
	v_cmp_neq_f64_e64 s[6:7], 0, v[3:4]
	s_or_b64 s[6:7], vcc, s[6:7]
	s_and_b64 exec, exec, s[6:7]
	s_cbranch_execz .LBB123_230
; %bb.225:
	v_cmp_ngt_f64_e64 s[6:7], |v[1:2]|, |v[3:4]|
                                        ; implicit-def: $vgpr5_vgpr6
	s_and_saveexec_b64 s[10:11], s[6:7]
	s_xor_b64 s[6:7], exec, s[10:11]
                                        ; implicit-def: $vgpr7_vgpr8
	s_cbranch_execz .LBB123_227
; %bb.226:
	v_div_scale_f64 v[5:6], s[10:11], v[3:4], v[3:4], v[1:2]
	v_rcp_f64_e32 v[7:8], v[5:6]
	v_fma_f64 v[10:11], -v[5:6], v[7:8], 1.0
	v_fma_f64 v[7:8], v[7:8], v[10:11], v[7:8]
	v_div_scale_f64 v[10:11], vcc, v[1:2], v[3:4], v[1:2]
	v_fma_f64 v[12:13], -v[5:6], v[7:8], 1.0
	v_fma_f64 v[7:8], v[7:8], v[12:13], v[7:8]
	v_mul_f64 v[12:13], v[10:11], v[7:8]
	v_fma_f64 v[5:6], -v[5:6], v[12:13], v[10:11]
	v_div_fmas_f64 v[5:6], v[5:6], v[7:8], v[12:13]
	v_div_fixup_f64 v[5:6], v[5:6], v[3:4], v[1:2]
	v_fma_f64 v[1:2], v[1:2], v[5:6], v[3:4]
	v_div_scale_f64 v[3:4], s[10:11], v[1:2], v[1:2], 1.0
	v_div_scale_f64 v[12:13], vcc, 1.0, v[1:2], 1.0
	v_rcp_f64_e32 v[7:8], v[3:4]
	v_fma_f64 v[10:11], -v[3:4], v[7:8], 1.0
	v_fma_f64 v[7:8], v[7:8], v[10:11], v[7:8]
	v_fma_f64 v[10:11], -v[3:4], v[7:8], 1.0
	v_fma_f64 v[7:8], v[7:8], v[10:11], v[7:8]
	v_mul_f64 v[10:11], v[12:13], v[7:8]
	v_fma_f64 v[3:4], -v[3:4], v[10:11], v[12:13]
	v_div_fmas_f64 v[3:4], v[3:4], v[7:8], v[10:11]
	v_div_fixup_f64 v[7:8], v[3:4], v[1:2], 1.0
                                        ; implicit-def: $vgpr1_vgpr2
	v_mul_f64 v[5:6], v[5:6], v[7:8]
	v_xor_b32_e32 v8, 0x80000000, v8
.LBB123_227:
	s_andn2_saveexec_b64 s[6:7], s[6:7]
	s_cbranch_execz .LBB123_229
; %bb.228:
	v_div_scale_f64 v[5:6], s[10:11], v[1:2], v[1:2], v[3:4]
	v_rcp_f64_e32 v[7:8], v[5:6]
	v_fma_f64 v[10:11], -v[5:6], v[7:8], 1.0
	v_fma_f64 v[7:8], v[7:8], v[10:11], v[7:8]
	v_div_scale_f64 v[10:11], vcc, v[3:4], v[1:2], v[3:4]
	v_fma_f64 v[12:13], -v[5:6], v[7:8], 1.0
	v_fma_f64 v[7:8], v[7:8], v[12:13], v[7:8]
	v_mul_f64 v[12:13], v[10:11], v[7:8]
	v_fma_f64 v[5:6], -v[5:6], v[12:13], v[10:11]
	v_div_fmas_f64 v[5:6], v[5:6], v[7:8], v[12:13]
	v_div_fixup_f64 v[7:8], v[5:6], v[1:2], v[3:4]
	v_fma_f64 v[1:2], v[3:4], v[7:8], v[1:2]
	v_div_scale_f64 v[3:4], s[10:11], v[1:2], v[1:2], 1.0
	v_div_scale_f64 v[12:13], vcc, 1.0, v[1:2], 1.0
	v_rcp_f64_e32 v[5:6], v[3:4]
	v_fma_f64 v[10:11], -v[3:4], v[5:6], 1.0
	v_fma_f64 v[5:6], v[5:6], v[10:11], v[5:6]
	v_fma_f64 v[10:11], -v[3:4], v[5:6], 1.0
	v_fma_f64 v[5:6], v[5:6], v[10:11], v[5:6]
	v_mul_f64 v[10:11], v[12:13], v[5:6]
	v_fma_f64 v[3:4], -v[3:4], v[10:11], v[12:13]
	v_div_fmas_f64 v[3:4], v[3:4], v[5:6], v[10:11]
	v_div_fixup_f64 v[5:6], v[3:4], v[1:2], 1.0
	v_mul_f64 v[7:8], v[7:8], -v[5:6]
.LBB123_229:
	s_or_b64 exec, exec, s[6:7]
	ds_write2_b64 v125, v[5:6], v[7:8] offset1:1
.LBB123_230:
	s_or_b64 exec, exec, s[8:9]
	s_waitcnt lgkmcnt(0)
	s_barrier
	ds_read2_b64 v[1:4], v125 offset1:1
	v_cmp_lt_u32_e32 vcc, 17, v0
	s_waitcnt lgkmcnt(0)
	buffer_store_dword v1, off, s[0:3], 0 offset:1712 ; 4-byte Folded Spill
	s_nop 0
	buffer_store_dword v2, off, s[0:3], 0 offset:1716 ; 4-byte Folded Spill
	buffer_store_dword v3, off, s[0:3], 0 offset:1720 ; 4-byte Folded Spill
	;; [unrolled: 1-line block ×3, first 2 shown]
	s_and_saveexec_b64 s[6:7], vcc
	s_cbranch_execz .LBB123_233
; %bb.231:
	buffer_load_dword v1, off, s[0:3], 0 offset:280
	buffer_load_dword v2, off, s[0:3], 0 offset:284
	;; [unrolled: 1-line block ×4, first 2 shown]
	buffer_load_dword v10, off, s[0:3], 0 offset:1712 ; 4-byte Folded Reload
	buffer_load_dword v11, off, s[0:3], 0 offset:1716 ; 4-byte Folded Reload
	;; [unrolled: 1-line block ×4, first 2 shown]
	s_movk_i32 s8, 0x120
	s_waitcnt vmcnt(0)
	v_mul_f64 v[5:6], v[12:13], v[1:2]
	v_mul_f64 v[1:2], v[10:11], v[1:2]
	v_fma_f64 v[5:6], v[10:11], v[3:4], -v[5:6]
	v_fma_f64 v[1:2], v[12:13], v[3:4], v[1:2]
	buffer_store_dword v5, off, s[0:3], 0 offset:272
	buffer_store_dword v6, off, s[0:3], 0 offset:276
	;; [unrolled: 1-line block ×4, first 2 shown]
.LBB123_232:                            ; =>This Inner Loop Header: Depth=1
	buffer_load_dword v7, off, s[0:3], 0 offset:280
	buffer_load_dword v8, off, s[0:3], 0 offset:284
	;; [unrolled: 1-line block ×4, first 2 shown]
	v_mov_b32_e32 v1, s8
	buffer_load_dword v12, v1, s[0:3], 0 offen
	buffer_load_dword v13, v1, s[0:3], 0 offen offset:4
	buffer_load_dword v14, v1, s[0:3], 0 offen offset:8
	;; [unrolled: 1-line block ×3, first 2 shown]
	v_add_u32_e32 v2, s8, v121
	ds_read2_b64 v[3:6], v2 offset1:1
	buffer_load_dword v16, v1, s[0:3], 0 offen offset:16
	buffer_load_dword v17, v1, s[0:3], 0 offen offset:20
	;; [unrolled: 1-line block ×3, first 2 shown]
	s_add_i32 s8, s8, 64
	s_cmpk_lg_i32 s8, 0x3e0
	s_waitcnt vmcnt(9) lgkmcnt(0)
	v_mul_f64 v[19:20], v[5:6], v[7:8]
	v_mul_f64 v[7:8], v[3:4], v[7:8]
	s_waitcnt vmcnt(7)
	v_fma_f64 v[3:4], v[3:4], v[10:11], -v[19:20]
	v_fma_f64 v[5:6], v[5:6], v[10:11], v[7:8]
	s_waitcnt vmcnt(5)
	v_add_f64 v[3:4], v[12:13], -v[3:4]
	s_waitcnt vmcnt(3)
	v_add_f64 v[5:6], v[14:15], -v[5:6]
	buffer_store_dword v4, v1, s[0:3], 0 offen offset:4
	buffer_store_dword v3, v1, s[0:3], 0 offen
	buffer_store_dword v6, v1, s[0:3], 0 offen offset:12
	buffer_store_dword v5, v1, s[0:3], 0 offen offset:8
	buffer_load_dword v8, off, s[0:3], 0 offset:284
	buffer_load_dword v7, off, s[0:3], 0 offset:280
	;; [unrolled: 1-line block ×4, first 2 shown]
	buffer_load_dword v19, v1, s[0:3], 0 offen offset:28
	ds_read2_b64 v[3:6], v2 offset0:2 offset1:3
	buffer_load_dword v12, v1, s[0:3], 0 offen offset:32
	s_waitcnt vmcnt(4) lgkmcnt(0)
	v_mul_f64 v[13:14], v[5:6], v[7:8]
	v_mul_f64 v[7:8], v[3:4], v[7:8]
	s_waitcnt vmcnt(2)
	v_fma_f64 v[3:4], v[3:4], v[10:11], -v[13:14]
	v_fma_f64 v[5:6], v[5:6], v[10:11], v[7:8]
	v_add_f64 v[3:4], v[16:17], -v[3:4]
	s_waitcnt vmcnt(1)
	v_add_f64 v[5:6], v[18:19], -v[5:6]
	buffer_store_dword v4, v1, s[0:3], 0 offen offset:20
	buffer_store_dword v3, v1, s[0:3], 0 offen offset:16
	;; [unrolled: 1-line block ×4, first 2 shown]
	buffer_load_dword v7, off, s[0:3], 0 offset:280
	buffer_load_dword v8, off, s[0:3], 0 offset:284
	;; [unrolled: 1-line block ×4, first 2 shown]
	buffer_load_dword v13, v1, s[0:3], 0 offen offset:36
	buffer_load_dword v14, v1, s[0:3], 0 offen offset:40
	;; [unrolled: 1-line block ×3, first 2 shown]
	ds_read2_b64 v[3:6], v2 offset0:4 offset1:5
	s_waitcnt vmcnt(5) lgkmcnt(0)
	v_mul_f64 v[16:17], v[5:6], v[7:8]
	v_mul_f64 v[7:8], v[3:4], v[7:8]
	s_waitcnt vmcnt(3)
	v_fma_f64 v[3:4], v[3:4], v[10:11], -v[16:17]
	v_fma_f64 v[5:6], v[5:6], v[10:11], v[7:8]
	s_waitcnt vmcnt(2)
	v_add_f64 v[3:4], v[12:13], -v[3:4]
	s_waitcnt vmcnt(0)
	v_add_f64 v[5:6], v[14:15], -v[5:6]
	buffer_store_dword v4, v1, s[0:3], 0 offen offset:36
	buffer_store_dword v3, v1, s[0:3], 0 offen offset:32
	;; [unrolled: 1-line block ×4, first 2 shown]
	buffer_load_dword v6, off, s[0:3], 0 offset:280
	s_nop 0
	buffer_load_dword v7, off, s[0:3], 0 offset:284
	buffer_load_dword v10, off, s[0:3], 0 offset:272
	;; [unrolled: 1-line block ×3, first 2 shown]
	buffer_load_dword v12, v1, s[0:3], 0 offen offset:48
	buffer_load_dword v13, v1, s[0:3], 0 offen offset:52
	;; [unrolled: 1-line block ×4, first 2 shown]
	ds_read2_b64 v[2:5], v2 offset0:6 offset1:7
	s_waitcnt vmcnt(6) lgkmcnt(0)
	v_mul_f64 v[16:17], v[4:5], v[6:7]
	v_mul_f64 v[6:7], v[2:3], v[6:7]
	s_waitcnt vmcnt(4)
	v_fma_f64 v[2:3], v[2:3], v[10:11], -v[16:17]
	v_fma_f64 v[4:5], v[4:5], v[10:11], v[6:7]
	s_waitcnt vmcnt(2)
	v_add_f64 v[2:3], v[12:13], -v[2:3]
	s_waitcnt vmcnt(0)
	v_add_f64 v[4:5], v[14:15], -v[4:5]
	buffer_store_dword v3, v1, s[0:3], 0 offen offset:52
	buffer_store_dword v2, v1, s[0:3], 0 offen offset:48
	;; [unrolled: 1-line block ×4, first 2 shown]
	s_cbranch_scc1 .LBB123_232
.LBB123_233:
	s_or_b64 exec, exec, s[6:7]
	v_cmp_eq_u32_e32 vcc, 18, v0
	s_waitcnt vmcnt(0)
	s_barrier
	s_and_saveexec_b64 s[8:9], vcc
	s_cbranch_execz .LBB123_244
; %bb.234:
	v_mov_b32_e32 v4, s86
	buffer_load_dword v1, v4, s[0:3], 0 offen
	buffer_load_dword v2, v4, s[0:3], 0 offen offset:4
	buffer_load_dword v3, v4, s[0:3], 0 offen offset:8
	s_nop 0
	buffer_load_dword v4, v4, s[0:3], 0 offen offset:12
	s_movk_i32 s10, 0x130
	s_waitcnt vmcnt(0)
	ds_write2_b64 v125, v[1:2], v[3:4] offset1:1
	s_branch .LBB123_236
.LBB123_235:                            ;   in Loop: Header=BB123_236 Depth=1
	s_andn2_b64 vcc, exec, s[6:7]
	s_cbranch_vccz .LBB123_238
.LBB123_236:                            ; =>This Inner Loop Header: Depth=1
	v_mov_b32_e32 v1, s10
	buffer_load_dword v2, v1, s[0:3], 0 offen
	buffer_load_dword v3, v1, s[0:3], 0 offen offset:4
	buffer_load_dword v4, v1, s[0:3], 0 offen offset:8
	;; [unrolled: 1-line block ×11, first 2 shown]
	s_mov_b32 s11, s10
	v_add_u32_e32 v1, s10, v121
	s_cmpk_eq_i32 s10, 0x3b0
	s_mov_b64 s[6:7], -1
	s_waitcnt vmcnt(8)
	ds_write2_b64 v1, v[2:3], v[4:5] offset1:1
	s_waitcnt vmcnt(4)
	ds_write2_b64 v1, v[6:7], v[10:11] offset0:2 offset1:3
	s_waitcnt vmcnt(0)
	ds_write2_b64 v1, v[12:13], v[14:15] offset0:4 offset1:5
	s_cbranch_scc1 .LBB123_235
; %bb.237:                              ;   in Loop: Header=BB123_236 Depth=1
	v_mov_b32_e32 v8, s11
	buffer_load_dword v2, v8, s[0:3], 0 offen offset:48
	buffer_load_dword v3, v8, s[0:3], 0 offen offset:52
	;; [unrolled: 1-line block ×16, first 2 shown]
	s_addk_i32 s10, 0x80
	s_mov_b64 s[6:7], 0
	s_waitcnt vmcnt(12)
	ds_write2_b64 v1, v[2:3], v[4:5] offset0:6 offset1:7
	s_waitcnt vmcnt(8)
	ds_write2_b64 v1, v[6:7], v[10:11] offset0:8 offset1:9
	;; [unrolled: 2-line block ×4, first 2 shown]
	buffer_load_dword v3, v8, s[0:3], 0 offen offset:124
	buffer_load_dword v2, v8, s[0:3], 0 offen offset:120
	;; [unrolled: 1-line block ×4, first 2 shown]
	s_waitcnt vmcnt(0)
	ds_write2_b64 v1, v[4:5], v[2:3] offset0:14 offset1:15
	s_branch .LBB123_235
.LBB123_238:
	ds_read2_b64 v[1:4], v125 offset1:1
	s_waitcnt lgkmcnt(0)
	v_cmp_neq_f64_e32 vcc, 0, v[1:2]
	v_cmp_neq_f64_e64 s[6:7], 0, v[3:4]
	s_or_b64 s[6:7], vcc, s[6:7]
	s_and_b64 exec, exec, s[6:7]
	s_cbranch_execz .LBB123_244
; %bb.239:
	v_cmp_ngt_f64_e64 s[6:7], |v[1:2]|, |v[3:4]|
                                        ; implicit-def: $vgpr5_vgpr6
	s_and_saveexec_b64 s[10:11], s[6:7]
	s_xor_b64 s[6:7], exec, s[10:11]
                                        ; implicit-def: $vgpr7_vgpr8
	s_cbranch_execz .LBB123_241
; %bb.240:
	v_div_scale_f64 v[5:6], s[10:11], v[3:4], v[3:4], v[1:2]
	v_rcp_f64_e32 v[7:8], v[5:6]
	v_fma_f64 v[10:11], -v[5:6], v[7:8], 1.0
	v_fma_f64 v[7:8], v[7:8], v[10:11], v[7:8]
	v_div_scale_f64 v[10:11], vcc, v[1:2], v[3:4], v[1:2]
	v_fma_f64 v[12:13], -v[5:6], v[7:8], 1.0
	v_fma_f64 v[7:8], v[7:8], v[12:13], v[7:8]
	v_mul_f64 v[12:13], v[10:11], v[7:8]
	v_fma_f64 v[5:6], -v[5:6], v[12:13], v[10:11]
	v_div_fmas_f64 v[5:6], v[5:6], v[7:8], v[12:13]
	v_div_fixup_f64 v[5:6], v[5:6], v[3:4], v[1:2]
	v_fma_f64 v[1:2], v[1:2], v[5:6], v[3:4]
	v_div_scale_f64 v[3:4], s[10:11], v[1:2], v[1:2], 1.0
	v_div_scale_f64 v[12:13], vcc, 1.0, v[1:2], 1.0
	v_rcp_f64_e32 v[7:8], v[3:4]
	v_fma_f64 v[10:11], -v[3:4], v[7:8], 1.0
	v_fma_f64 v[7:8], v[7:8], v[10:11], v[7:8]
	v_fma_f64 v[10:11], -v[3:4], v[7:8], 1.0
	v_fma_f64 v[7:8], v[7:8], v[10:11], v[7:8]
	v_mul_f64 v[10:11], v[12:13], v[7:8]
	v_fma_f64 v[3:4], -v[3:4], v[10:11], v[12:13]
	v_div_fmas_f64 v[3:4], v[3:4], v[7:8], v[10:11]
	v_div_fixup_f64 v[7:8], v[3:4], v[1:2], 1.0
                                        ; implicit-def: $vgpr1_vgpr2
	v_mul_f64 v[5:6], v[5:6], v[7:8]
	v_xor_b32_e32 v8, 0x80000000, v8
.LBB123_241:
	s_andn2_saveexec_b64 s[6:7], s[6:7]
	s_cbranch_execz .LBB123_243
; %bb.242:
	v_div_scale_f64 v[5:6], s[10:11], v[1:2], v[1:2], v[3:4]
	v_rcp_f64_e32 v[7:8], v[5:6]
	v_fma_f64 v[10:11], -v[5:6], v[7:8], 1.0
	v_fma_f64 v[7:8], v[7:8], v[10:11], v[7:8]
	v_div_scale_f64 v[10:11], vcc, v[3:4], v[1:2], v[3:4]
	v_fma_f64 v[12:13], -v[5:6], v[7:8], 1.0
	v_fma_f64 v[7:8], v[7:8], v[12:13], v[7:8]
	v_mul_f64 v[12:13], v[10:11], v[7:8]
	v_fma_f64 v[5:6], -v[5:6], v[12:13], v[10:11]
	v_div_fmas_f64 v[5:6], v[5:6], v[7:8], v[12:13]
	v_div_fixup_f64 v[7:8], v[5:6], v[1:2], v[3:4]
	v_fma_f64 v[1:2], v[3:4], v[7:8], v[1:2]
	v_div_scale_f64 v[3:4], s[10:11], v[1:2], v[1:2], 1.0
	v_div_scale_f64 v[12:13], vcc, 1.0, v[1:2], 1.0
	v_rcp_f64_e32 v[5:6], v[3:4]
	v_fma_f64 v[10:11], -v[3:4], v[5:6], 1.0
	v_fma_f64 v[5:6], v[5:6], v[10:11], v[5:6]
	v_fma_f64 v[10:11], -v[3:4], v[5:6], 1.0
	v_fma_f64 v[5:6], v[5:6], v[10:11], v[5:6]
	v_mul_f64 v[10:11], v[12:13], v[5:6]
	v_fma_f64 v[3:4], -v[3:4], v[10:11], v[12:13]
	v_div_fmas_f64 v[3:4], v[3:4], v[5:6], v[10:11]
	v_div_fixup_f64 v[5:6], v[3:4], v[1:2], 1.0
	v_mul_f64 v[7:8], v[7:8], -v[5:6]
.LBB123_243:
	s_or_b64 exec, exec, s[6:7]
	ds_write2_b64 v125, v[5:6], v[7:8] offset1:1
.LBB123_244:
	s_or_b64 exec, exec, s[8:9]
	s_waitcnt lgkmcnt(0)
	s_barrier
	ds_read2_b64 v[1:4], v125 offset1:1
	v_cmp_lt_u32_e32 vcc, 18, v0
	s_waitcnt lgkmcnt(0)
	buffer_store_dword v1, off, s[0:3], 0 offset:1728 ; 4-byte Folded Spill
	s_nop 0
	buffer_store_dword v2, off, s[0:3], 0 offset:1732 ; 4-byte Folded Spill
	buffer_store_dword v3, off, s[0:3], 0 offset:1736 ; 4-byte Folded Spill
	buffer_store_dword v4, off, s[0:3], 0 offset:1740 ; 4-byte Folded Spill
	s_and_saveexec_b64 s[6:7], vcc
	s_cbranch_execz .LBB123_249
; %bb.245:
	buffer_load_dword v1, off, s[0:3], 0 offset:296
	buffer_load_dword v2, off, s[0:3], 0 offset:300
	;; [unrolled: 1-line block ×4, first 2 shown]
	buffer_load_dword v10, off, s[0:3], 0 offset:1728 ; 4-byte Folded Reload
	buffer_load_dword v11, off, s[0:3], 0 offset:1732 ; 4-byte Folded Reload
	;; [unrolled: 1-line block ×4, first 2 shown]
	s_movk_i32 s10, 0x130
	s_waitcnt vmcnt(2)
	v_mul_f64 v[7:8], v[10:11], v[1:2]
	s_waitcnt vmcnt(0)
	v_mul_f64 v[5:6], v[12:13], v[1:2]
	v_fma_f64 v[1:2], v[10:11], v[3:4], -v[5:6]
	v_fma_f64 v[3:4], v[12:13], v[3:4], v[7:8]
	buffer_store_dword v1, off, s[0:3], 0 offset:288
	buffer_store_dword v2, off, s[0:3], 0 offset:292
	buffer_store_dword v3, off, s[0:3], 0 offset:296
	buffer_store_dword v4, off, s[0:3], 0 offset:300
	s_branch .LBB123_247
.LBB123_246:                            ;   in Loop: Header=BB123_247 Depth=1
	s_andn2_b64 vcc, exec, s[8:9]
	s_cbranch_vccz .LBB123_249
.LBB123_247:                            ; =>This Inner Loop Header: Depth=1
	v_mov_b32_e32 v8, s10
	buffer_load_dword v6, v8, s[0:3], 0 offen
	buffer_load_dword v7, v8, s[0:3], 0 offen offset:4
	buffer_load_dword v14, v8, s[0:3], 0 offen offset:8
	;; [unrolled: 1-line block ×3, first 2 shown]
	v_add_u32_e32 v5, s10, v121
	ds_read2_b64 v[10:13], v5 offset1:1
	s_mov_b32 s11, s10
	s_cmpk_eq_i32 s10, 0x3b0
	s_mov_b64 s[8:9], -1
	s_waitcnt vmcnt(4) lgkmcnt(0)
	v_mul_f64 v[16:17], v[12:13], v[3:4]
	v_mul_f64 v[3:4], v[10:11], v[3:4]
	v_fma_f64 v[10:11], v[10:11], v[1:2], -v[16:17]
	v_fma_f64 v[1:2], v[12:13], v[1:2], v[3:4]
	s_waitcnt vmcnt(2)
	v_add_f64 v[3:4], v[6:7], -v[10:11]
	s_waitcnt vmcnt(0)
	v_add_f64 v[1:2], v[14:15], -v[1:2]
	buffer_store_dword v4, v8, s[0:3], 0 offen offset:4
	buffer_store_dword v3, v8, s[0:3], 0 offen
	buffer_store_dword v2, v8, s[0:3], 0 offen offset:12
	buffer_store_dword v1, v8, s[0:3], 0 offen offset:8
	buffer_load_dword v7, off, s[0:3], 0 offset:300
	buffer_load_dword v6, off, s[0:3], 0 offset:296
	buffer_load_dword v11, off, s[0:3], 0 offset:292
	buffer_load_dword v10, off, s[0:3], 0 offset:288
	buffer_load_dword v13, v8, s[0:3], 0 offen offset:20
	buffer_load_dword v12, v8, s[0:3], 0 offen offset:16
	;; [unrolled: 1-line block ×4, first 2 shown]
	ds_read2_b64 v[1:4], v5 offset0:2 offset1:3
	s_waitcnt vmcnt(6) lgkmcnt(0)
	v_mul_f64 v[16:17], v[3:4], v[6:7]
	v_mul_f64 v[6:7], v[1:2], v[6:7]
	s_waitcnt vmcnt(4)
	v_fma_f64 v[1:2], v[1:2], v[10:11], -v[16:17]
	v_fma_f64 v[3:4], v[3:4], v[10:11], v[6:7]
	s_waitcnt vmcnt(2)
	v_add_f64 v[1:2], v[12:13], -v[1:2]
	s_waitcnt vmcnt(0)
	v_add_f64 v[3:4], v[14:15], -v[3:4]
	buffer_store_dword v2, v8, s[0:3], 0 offen offset:20
	buffer_store_dword v1, v8, s[0:3], 0 offen offset:16
	;; [unrolled: 1-line block ×4, first 2 shown]
	buffer_load_dword v6, off, s[0:3], 0 offset:296
	buffer_load_dword v7, off, s[0:3], 0 offset:300
	;; [unrolled: 1-line block ×4, first 2 shown]
	buffer_load_dword v13, v8, s[0:3], 0 offen offset:36
	buffer_load_dword v12, v8, s[0:3], 0 offen offset:32
	;; [unrolled: 1-line block ×4, first 2 shown]
	ds_read2_b64 v[1:4], v5 offset0:4 offset1:5
	s_waitcnt vmcnt(6) lgkmcnt(0)
	v_mul_f64 v[16:17], v[3:4], v[6:7]
	v_mul_f64 v[6:7], v[1:2], v[6:7]
	s_waitcnt vmcnt(4)
	v_fma_f64 v[1:2], v[1:2], v[10:11], -v[16:17]
	v_fma_f64 v[3:4], v[3:4], v[10:11], v[6:7]
	s_waitcnt vmcnt(2)
	v_add_f64 v[1:2], v[12:13], -v[1:2]
	s_waitcnt vmcnt(0)
	v_add_f64 v[3:4], v[14:15], -v[3:4]
	buffer_store_dword v2, v8, s[0:3], 0 offen offset:36
	buffer_store_dword v1, v8, s[0:3], 0 offen offset:32
	;; [unrolled: 1-line block ×4, first 2 shown]
                                        ; implicit-def: $vgpr1_vgpr2
                                        ; implicit-def: $vgpr3_vgpr4
	s_cbranch_scc1 .LBB123_246
; %bb.248:                              ;   in Loop: Header=BB123_247 Depth=1
	ds_read2_b64 v[1:4], v5 offset0:6 offset1:7
	buffer_load_dword v5, off, s[0:3], 0 offset:288
	buffer_load_dword v6, off, s[0:3], 0 offset:292
	;; [unrolled: 1-line block ×4, first 2 shown]
	s_add_i32 s10, s10, 64
	s_mov_b64 s[8:9], 0
	s_waitcnt vmcnt(0) lgkmcnt(0)
	v_mul_f64 v[10:11], v[3:4], v[7:8]
	v_fma_f64 v[10:11], v[1:2], v[5:6], -v[10:11]
	v_mul_f64 v[1:2], v[1:2], v[7:8]
	v_mov_b32_e32 v7, s11
	v_fma_f64 v[1:2], v[3:4], v[5:6], v[1:2]
	buffer_load_dword v3, v7, s[0:3], 0 offen offset:48
	buffer_load_dword v4, v7, s[0:3], 0 offen offset:52
	;; [unrolled: 1-line block ×4, first 2 shown]
	s_waitcnt vmcnt(2)
	v_add_f64 v[3:4], v[3:4], -v[10:11]
	s_waitcnt vmcnt(0)
	v_add_f64 v[1:2], v[5:6], -v[1:2]
	buffer_store_dword v4, v7, s[0:3], 0 offen offset:52
	buffer_store_dword v3, v7, s[0:3], 0 offen offset:48
	;; [unrolled: 1-line block ×4, first 2 shown]
	buffer_load_dword v2, off, s[0:3], 0 offset:292
	s_nop 0
	buffer_load_dword v1, off, s[0:3], 0 offset:288
	buffer_load_dword v4, off, s[0:3], 0 offset:300
	;; [unrolled: 1-line block ×3, first 2 shown]
	s_branch .LBB123_246
.LBB123_249:
	s_or_b64 exec, exec, s[6:7]
	v_cmp_eq_u32_e32 vcc, 19, v0
	s_waitcnt vmcnt(0)
	s_barrier
	s_and_saveexec_b64 s[8:9], vcc
	s_cbranch_execz .LBB123_258
; %bb.250:
	v_mov_b32_e32 v4, s85
	buffer_load_dword v1, v4, s[0:3], 0 offen
	buffer_load_dword v2, v4, s[0:3], 0 offen offset:4
	buffer_load_dword v3, v4, s[0:3], 0 offen offset:8
	s_nop 0
	buffer_load_dword v4, v4, s[0:3], 0 offen offset:12
	s_movk_i32 s6, 0x140
	s_waitcnt vmcnt(0)
	ds_write2_b64 v125, v[1:2], v[3:4] offset1:1
.LBB123_251:                            ; =>This Inner Loop Header: Depth=1
	v_mov_b32_e32 v18, s6
	buffer_load_dword v1, v18, s[0:3], 0 offen
	buffer_load_dword v2, v18, s[0:3], 0 offen offset:4
	buffer_load_dword v3, v18, s[0:3], 0 offen offset:8
	;; [unrolled: 1-line block ×15, first 2 shown]
	v_add_u32_e32 v19, s6, v121
	s_addk_i32 s6, 0xe0
	s_cmpk_lg_i32 s6, 0x3e0
	s_waitcnt vmcnt(12)
	ds_write2_b64 v19, v[1:2], v[3:4] offset1:1
	s_waitcnt vmcnt(8)
	ds_write2_b64 v19, v[5:6], v[7:8] offset0:2 offset1:3
	s_waitcnt vmcnt(4)
	ds_write2_b64 v19, v[10:11], v[12:13] offset0:4 offset1:5
	;; [unrolled: 2-line block ×3, first 2 shown]
	buffer_load_dword v2, v18, s[0:3], 0 offen offset:76
	buffer_load_dword v1, v18, s[0:3], 0 offen offset:72
	buffer_load_dword v4, v18, s[0:3], 0 offen offset:68
	buffer_load_dword v3, v18, s[0:3], 0 offen offset:64
	s_waitcnt vmcnt(0)
	ds_write2_b64 v19, v[3:4], v[1:2] offset0:8 offset1:9
	buffer_load_dword v2, v18, s[0:3], 0 offen offset:92
	buffer_load_dword v1, v18, s[0:3], 0 offen offset:88
	buffer_load_dword v4, v18, s[0:3], 0 offen offset:84
	buffer_load_dword v3, v18, s[0:3], 0 offen offset:80
	s_waitcnt vmcnt(0)
	ds_write2_b64 v19, v[3:4], v[1:2] offset0:10 offset1:11
	;; [unrolled: 6-line block ×10, first 2 shown]
	s_cbranch_scc1 .LBB123_251
; %bb.252:
	ds_read2_b64 v[1:4], v125 offset1:1
	s_waitcnt lgkmcnt(0)
	v_cmp_neq_f64_e32 vcc, 0, v[1:2]
	v_cmp_neq_f64_e64 s[6:7], 0, v[3:4]
	s_or_b64 s[6:7], vcc, s[6:7]
	s_and_b64 exec, exec, s[6:7]
	s_cbranch_execz .LBB123_258
; %bb.253:
	v_cmp_ngt_f64_e64 s[6:7], |v[1:2]|, |v[3:4]|
                                        ; implicit-def: $vgpr5_vgpr6
	s_and_saveexec_b64 s[10:11], s[6:7]
	s_xor_b64 s[6:7], exec, s[10:11]
                                        ; implicit-def: $vgpr7_vgpr8
	s_cbranch_execz .LBB123_255
; %bb.254:
	v_div_scale_f64 v[5:6], s[10:11], v[3:4], v[3:4], v[1:2]
	v_rcp_f64_e32 v[7:8], v[5:6]
	v_fma_f64 v[10:11], -v[5:6], v[7:8], 1.0
	v_fma_f64 v[7:8], v[7:8], v[10:11], v[7:8]
	v_div_scale_f64 v[10:11], vcc, v[1:2], v[3:4], v[1:2]
	v_fma_f64 v[12:13], -v[5:6], v[7:8], 1.0
	v_fma_f64 v[7:8], v[7:8], v[12:13], v[7:8]
	v_mul_f64 v[12:13], v[10:11], v[7:8]
	v_fma_f64 v[5:6], -v[5:6], v[12:13], v[10:11]
	v_div_fmas_f64 v[5:6], v[5:6], v[7:8], v[12:13]
	v_div_fixup_f64 v[5:6], v[5:6], v[3:4], v[1:2]
	v_fma_f64 v[1:2], v[1:2], v[5:6], v[3:4]
	v_div_scale_f64 v[3:4], s[10:11], v[1:2], v[1:2], 1.0
	v_div_scale_f64 v[12:13], vcc, 1.0, v[1:2], 1.0
	v_rcp_f64_e32 v[7:8], v[3:4]
	v_fma_f64 v[10:11], -v[3:4], v[7:8], 1.0
	v_fma_f64 v[7:8], v[7:8], v[10:11], v[7:8]
	v_fma_f64 v[10:11], -v[3:4], v[7:8], 1.0
	v_fma_f64 v[7:8], v[7:8], v[10:11], v[7:8]
	v_mul_f64 v[10:11], v[12:13], v[7:8]
	v_fma_f64 v[3:4], -v[3:4], v[10:11], v[12:13]
	v_div_fmas_f64 v[3:4], v[3:4], v[7:8], v[10:11]
	v_div_fixup_f64 v[7:8], v[3:4], v[1:2], 1.0
                                        ; implicit-def: $vgpr1_vgpr2
	v_mul_f64 v[5:6], v[5:6], v[7:8]
	v_xor_b32_e32 v8, 0x80000000, v8
.LBB123_255:
	s_andn2_saveexec_b64 s[6:7], s[6:7]
	s_cbranch_execz .LBB123_257
; %bb.256:
	v_div_scale_f64 v[5:6], s[10:11], v[1:2], v[1:2], v[3:4]
	v_rcp_f64_e32 v[7:8], v[5:6]
	v_fma_f64 v[10:11], -v[5:6], v[7:8], 1.0
	v_fma_f64 v[7:8], v[7:8], v[10:11], v[7:8]
	v_div_scale_f64 v[10:11], vcc, v[3:4], v[1:2], v[3:4]
	v_fma_f64 v[12:13], -v[5:6], v[7:8], 1.0
	v_fma_f64 v[7:8], v[7:8], v[12:13], v[7:8]
	v_mul_f64 v[12:13], v[10:11], v[7:8]
	v_fma_f64 v[5:6], -v[5:6], v[12:13], v[10:11]
	v_div_fmas_f64 v[5:6], v[5:6], v[7:8], v[12:13]
	v_div_fixup_f64 v[7:8], v[5:6], v[1:2], v[3:4]
	v_fma_f64 v[1:2], v[3:4], v[7:8], v[1:2]
	v_div_scale_f64 v[3:4], s[10:11], v[1:2], v[1:2], 1.0
	v_div_scale_f64 v[12:13], vcc, 1.0, v[1:2], 1.0
	v_rcp_f64_e32 v[5:6], v[3:4]
	v_fma_f64 v[10:11], -v[3:4], v[5:6], 1.0
	v_fma_f64 v[5:6], v[5:6], v[10:11], v[5:6]
	v_fma_f64 v[10:11], -v[3:4], v[5:6], 1.0
	v_fma_f64 v[5:6], v[5:6], v[10:11], v[5:6]
	v_mul_f64 v[10:11], v[12:13], v[5:6]
	v_fma_f64 v[3:4], -v[3:4], v[10:11], v[12:13]
	v_div_fmas_f64 v[3:4], v[3:4], v[5:6], v[10:11]
	v_div_fixup_f64 v[5:6], v[3:4], v[1:2], 1.0
	v_mul_f64 v[7:8], v[7:8], -v[5:6]
.LBB123_257:
	s_or_b64 exec, exec, s[6:7]
	ds_write2_b64 v125, v[5:6], v[7:8] offset1:1
.LBB123_258:
	s_or_b64 exec, exec, s[8:9]
	s_waitcnt lgkmcnt(0)
	s_barrier
	ds_read2_b64 v[1:4], v125 offset1:1
	v_cmp_lt_u32_e32 vcc, 19, v0
	s_waitcnt lgkmcnt(0)
	buffer_store_dword v1, off, s[0:3], 0 offset:1744 ; 4-byte Folded Spill
	s_nop 0
	buffer_store_dword v2, off, s[0:3], 0 offset:1748 ; 4-byte Folded Spill
	buffer_store_dword v3, off, s[0:3], 0 offset:1752 ; 4-byte Folded Spill
	;; [unrolled: 1-line block ×3, first 2 shown]
	s_and_saveexec_b64 s[6:7], vcc
	s_cbranch_execz .LBB123_261
; %bb.259:
	buffer_load_dword v1, off, s[0:3], 0 offset:312
	buffer_load_dword v2, off, s[0:3], 0 offset:316
	buffer_load_dword v3, off, s[0:3], 0 offset:304
	buffer_load_dword v4, off, s[0:3], 0 offset:308
	buffer_load_dword v10, off, s[0:3], 0 offset:1744 ; 4-byte Folded Reload
	buffer_load_dword v11, off, s[0:3], 0 offset:1748 ; 4-byte Folded Reload
	;; [unrolled: 1-line block ×4, first 2 shown]
	s_movk_i32 s8, 0x140
	s_waitcnt vmcnt(0)
	v_mul_f64 v[5:6], v[12:13], v[1:2]
	v_mul_f64 v[1:2], v[10:11], v[1:2]
	v_fma_f64 v[5:6], v[10:11], v[3:4], -v[5:6]
	v_fma_f64 v[1:2], v[12:13], v[3:4], v[1:2]
	buffer_store_dword v5, off, s[0:3], 0 offset:304
	buffer_store_dword v6, off, s[0:3], 0 offset:308
	;; [unrolled: 1-line block ×4, first 2 shown]
.LBB123_260:                            ; =>This Inner Loop Header: Depth=1
	buffer_load_dword v7, off, s[0:3], 0 offset:312
	buffer_load_dword v8, off, s[0:3], 0 offset:316
	;; [unrolled: 1-line block ×4, first 2 shown]
	v_mov_b32_e32 v1, s8
	buffer_load_dword v12, v1, s[0:3], 0 offen
	buffer_load_dword v13, v1, s[0:3], 0 offen offset:4
	buffer_load_dword v14, v1, s[0:3], 0 offen offset:8
	buffer_load_dword v15, v1, s[0:3], 0 offen offset:12
	v_add_u32_e32 v2, s8, v121
	ds_read2_b64 v[3:6], v2 offset1:1
	buffer_load_dword v16, v1, s[0:3], 0 offen offset:16
	buffer_load_dword v17, v1, s[0:3], 0 offen offset:20
	;; [unrolled: 1-line block ×3, first 2 shown]
	s_addk_i32 s8, 0x70
	s_cmpk_lg_i32 s8, 0x3e0
	s_waitcnt vmcnt(9) lgkmcnt(0)
	v_mul_f64 v[19:20], v[5:6], v[7:8]
	v_mul_f64 v[7:8], v[3:4], v[7:8]
	s_waitcnt vmcnt(7)
	v_fma_f64 v[3:4], v[3:4], v[10:11], -v[19:20]
	v_fma_f64 v[5:6], v[5:6], v[10:11], v[7:8]
	s_waitcnt vmcnt(5)
	v_add_f64 v[3:4], v[12:13], -v[3:4]
	s_waitcnt vmcnt(3)
	v_add_f64 v[5:6], v[14:15], -v[5:6]
	buffer_store_dword v4, v1, s[0:3], 0 offen offset:4
	buffer_store_dword v3, v1, s[0:3], 0 offen
	buffer_store_dword v6, v1, s[0:3], 0 offen offset:12
	buffer_store_dword v5, v1, s[0:3], 0 offen offset:8
	buffer_load_dword v8, off, s[0:3], 0 offset:316
	buffer_load_dword v7, off, s[0:3], 0 offset:312
	buffer_load_dword v11, off, s[0:3], 0 offset:308
	buffer_load_dword v10, off, s[0:3], 0 offset:304
	buffer_load_dword v19, v1, s[0:3], 0 offen offset:28
	ds_read2_b64 v[3:6], v2 offset0:2 offset1:3
	buffer_load_dword v12, v1, s[0:3], 0 offen offset:32
	buffer_load_dword v13, v1, s[0:3], 0 offen offset:36
	buffer_load_dword v14, v1, s[0:3], 0 offen offset:40
	s_waitcnt vmcnt(6) lgkmcnt(0)
	v_mul_f64 v[20:21], v[5:6], v[7:8]
	v_mul_f64 v[7:8], v[3:4], v[7:8]
	s_waitcnt vmcnt(4)
	v_fma_f64 v[3:4], v[3:4], v[10:11], -v[20:21]
	v_fma_f64 v[5:6], v[5:6], v[10:11], v[7:8]
	v_add_f64 v[3:4], v[16:17], -v[3:4]
	s_waitcnt vmcnt(3)
	v_add_f64 v[5:6], v[18:19], -v[5:6]
	buffer_store_dword v4, v1, s[0:3], 0 offen offset:20
	buffer_store_dword v3, v1, s[0:3], 0 offen offset:16
	buffer_store_dword v6, v1, s[0:3], 0 offen offset:28
	buffer_store_dword v5, v1, s[0:3], 0 offen offset:24
	buffer_load_dword v7, off, s[0:3], 0 offset:312
	buffer_load_dword v8, off, s[0:3], 0 offset:316
	buffer_load_dword v10, off, s[0:3], 0 offset:304
	buffer_load_dword v11, off, s[0:3], 0 offset:308
	buffer_load_dword v15, v1, s[0:3], 0 offen offset:44
	ds_read2_b64 v[3:6], v2 offset0:4 offset1:5
	buffer_load_dword v16, v1, s[0:3], 0 offen offset:48
	buffer_load_dword v17, v1, s[0:3], 0 offen offset:52
	buffer_load_dword v18, v1, s[0:3], 0 offen offset:56
	s_waitcnt vmcnt(6) lgkmcnt(0)
	v_mul_f64 v[19:20], v[5:6], v[7:8]
	v_mul_f64 v[7:8], v[3:4], v[7:8]
	s_waitcnt vmcnt(4)
	v_fma_f64 v[3:4], v[3:4], v[10:11], -v[19:20]
	v_fma_f64 v[5:6], v[5:6], v[10:11], v[7:8]
	v_add_f64 v[3:4], v[12:13], -v[3:4]
	s_waitcnt vmcnt(3)
	v_add_f64 v[5:6], v[14:15], -v[5:6]
	buffer_store_dword v4, v1, s[0:3], 0 offen offset:36
	buffer_store_dword v3, v1, s[0:3], 0 offen offset:32
	;; [unrolled: 22-line block ×3, first 2 shown]
	buffer_store_dword v6, v1, s[0:3], 0 offen offset:60
	buffer_store_dword v5, v1, s[0:3], 0 offen offset:56
	buffer_load_dword v7, off, s[0:3], 0 offset:312
	buffer_load_dword v8, off, s[0:3], 0 offset:316
	;; [unrolled: 1-line block ×4, first 2 shown]
	buffer_load_dword v15, v1, s[0:3], 0 offen offset:76
	ds_read2_b64 v[3:6], v2 offset0:8 offset1:9
	buffer_load_dword v16, v1, s[0:3], 0 offen offset:80
	s_waitcnt vmcnt(4) lgkmcnt(0)
	v_mul_f64 v[17:18], v[5:6], v[7:8]
	v_mul_f64 v[7:8], v[3:4], v[7:8]
	s_waitcnt vmcnt(2)
	v_fma_f64 v[3:4], v[3:4], v[10:11], -v[17:18]
	v_fma_f64 v[5:6], v[5:6], v[10:11], v[7:8]
	v_add_f64 v[3:4], v[12:13], -v[3:4]
	s_waitcnt vmcnt(1)
	v_add_f64 v[5:6], v[14:15], -v[5:6]
	buffer_store_dword v4, v1, s[0:3], 0 offen offset:68
	buffer_store_dword v3, v1, s[0:3], 0 offen offset:64
	;; [unrolled: 1-line block ×4, first 2 shown]
	buffer_load_dword v7, off, s[0:3], 0 offset:312
	buffer_load_dword v8, off, s[0:3], 0 offset:316
	;; [unrolled: 1-line block ×4, first 2 shown]
	buffer_load_dword v17, v1, s[0:3], 0 offen offset:84
	buffer_load_dword v12, v1, s[0:3], 0 offen offset:88
	;; [unrolled: 1-line block ×3, first 2 shown]
	ds_read2_b64 v[3:6], v2 offset0:10 offset1:11
	s_waitcnt vmcnt(5) lgkmcnt(0)
	v_mul_f64 v[14:15], v[5:6], v[7:8]
	v_mul_f64 v[7:8], v[3:4], v[7:8]
	s_waitcnt vmcnt(3)
	v_fma_f64 v[3:4], v[3:4], v[10:11], -v[14:15]
	v_fma_f64 v[5:6], v[5:6], v[10:11], v[7:8]
	s_waitcnt vmcnt(2)
	v_add_f64 v[3:4], v[16:17], -v[3:4]
	s_waitcnt vmcnt(0)
	v_add_f64 v[5:6], v[12:13], -v[5:6]
	buffer_store_dword v4, v1, s[0:3], 0 offen offset:84
	buffer_store_dword v3, v1, s[0:3], 0 offen offset:80
	;; [unrolled: 1-line block ×4, first 2 shown]
	buffer_load_dword v6, off, s[0:3], 0 offset:312
	s_nop 0
	buffer_load_dword v7, off, s[0:3], 0 offset:316
	buffer_load_dword v10, off, s[0:3], 0 offset:304
	;; [unrolled: 1-line block ×3, first 2 shown]
	buffer_load_dword v12, v1, s[0:3], 0 offen offset:96
	buffer_load_dword v13, v1, s[0:3], 0 offen offset:100
	;; [unrolled: 1-line block ×4, first 2 shown]
	ds_read2_b64 v[2:5], v2 offset0:12 offset1:13
	s_waitcnt vmcnt(6) lgkmcnt(0)
	v_mul_f64 v[16:17], v[4:5], v[6:7]
	v_mul_f64 v[6:7], v[2:3], v[6:7]
	s_waitcnt vmcnt(4)
	v_fma_f64 v[2:3], v[2:3], v[10:11], -v[16:17]
	v_fma_f64 v[4:5], v[4:5], v[10:11], v[6:7]
	s_waitcnt vmcnt(2)
	v_add_f64 v[2:3], v[12:13], -v[2:3]
	s_waitcnt vmcnt(0)
	v_add_f64 v[4:5], v[14:15], -v[4:5]
	buffer_store_dword v3, v1, s[0:3], 0 offen offset:100
	buffer_store_dword v2, v1, s[0:3], 0 offen offset:96
	;; [unrolled: 1-line block ×4, first 2 shown]
	s_cbranch_scc1 .LBB123_260
.LBB123_261:
	s_or_b64 exec, exec, s[6:7]
	v_cmp_eq_u32_e32 vcc, 20, v0
	s_waitcnt vmcnt(0)
	s_barrier
	s_and_saveexec_b64 s[8:9], vcc
	s_cbranch_execz .LBB123_272
; %bb.262:
	v_mov_b32_e32 v4, s84
	buffer_load_dword v1, v4, s[0:3], 0 offen
	buffer_load_dword v2, v4, s[0:3], 0 offen offset:4
	buffer_load_dword v3, v4, s[0:3], 0 offen offset:8
	s_nop 0
	buffer_load_dword v4, v4, s[0:3], 0 offen offset:12
	s_movk_i32 s10, 0x150
	s_waitcnt vmcnt(0)
	ds_write2_b64 v125, v[1:2], v[3:4] offset1:1
	s_branch .LBB123_264
.LBB123_263:                            ;   in Loop: Header=BB123_264 Depth=1
	s_andn2_b64 vcc, exec, s[6:7]
	s_cbranch_vccz .LBB123_266
.LBB123_264:                            ; =>This Inner Loop Header: Depth=1
	v_mov_b32_e32 v1, s10
	buffer_load_dword v2, v1, s[0:3], 0 offen
	buffer_load_dword v3, v1, s[0:3], 0 offen offset:4
	buffer_load_dword v4, v1, s[0:3], 0 offen offset:8
	;; [unrolled: 1-line block ×3, first 2 shown]
	s_mov_b32 s11, s10
	v_add_u32_e32 v1, s10, v121
	s_cmpk_eq_i32 s10, 0x3d0
	s_mov_b64 s[6:7], -1
	s_waitcnt vmcnt(0)
	ds_write2_b64 v1, v[2:3], v[4:5] offset1:1
	s_cbranch_scc1 .LBB123_263
; %bb.265:                              ;   in Loop: Header=BB123_264 Depth=1
	v_mov_b32_e32 v8, s11
	buffer_load_dword v2, v8, s[0:3], 0 offen offset:16
	buffer_load_dword v3, v8, s[0:3], 0 offen offset:20
	;; [unrolled: 1-line block ×16, first 2 shown]
	s_addk_i32 s10, 0x80
	s_mov_b64 s[6:7], 0
	s_waitcnt vmcnt(12)
	ds_write2_b64 v1, v[2:3], v[4:5] offset0:2 offset1:3
	s_waitcnt vmcnt(8)
	ds_write2_b64 v1, v[6:7], v[10:11] offset0:4 offset1:5
	;; [unrolled: 2-line block ×4, first 2 shown]
	buffer_load_dword v3, v8, s[0:3], 0 offen offset:92
	buffer_load_dword v2, v8, s[0:3], 0 offen offset:88
	buffer_load_dword v5, v8, s[0:3], 0 offen offset:84
	buffer_load_dword v4, v8, s[0:3], 0 offen offset:80
	s_waitcnt vmcnt(0)
	ds_write2_b64 v1, v[4:5], v[2:3] offset0:10 offset1:11
	buffer_load_dword v3, v8, s[0:3], 0 offen offset:108
	buffer_load_dword v2, v8, s[0:3], 0 offen offset:104
	buffer_load_dword v5, v8, s[0:3], 0 offen offset:100
	buffer_load_dword v4, v8, s[0:3], 0 offen offset:96
	s_waitcnt vmcnt(0)
	ds_write2_b64 v1, v[4:5], v[2:3] offset0:12 offset1:13
	;; [unrolled: 6-line block ×3, first 2 shown]
	s_branch .LBB123_263
.LBB123_266:
	ds_read2_b64 v[1:4], v125 offset1:1
	s_waitcnt lgkmcnt(0)
	v_cmp_neq_f64_e32 vcc, 0, v[1:2]
	v_cmp_neq_f64_e64 s[6:7], 0, v[3:4]
	s_or_b64 s[6:7], vcc, s[6:7]
	s_and_b64 exec, exec, s[6:7]
	s_cbranch_execz .LBB123_272
; %bb.267:
	v_cmp_ngt_f64_e64 s[6:7], |v[1:2]|, |v[3:4]|
                                        ; implicit-def: $vgpr5_vgpr6
	s_and_saveexec_b64 s[10:11], s[6:7]
	s_xor_b64 s[6:7], exec, s[10:11]
                                        ; implicit-def: $vgpr7_vgpr8
	s_cbranch_execz .LBB123_269
; %bb.268:
	v_div_scale_f64 v[5:6], s[10:11], v[3:4], v[3:4], v[1:2]
	v_rcp_f64_e32 v[7:8], v[5:6]
	v_fma_f64 v[10:11], -v[5:6], v[7:8], 1.0
	v_fma_f64 v[7:8], v[7:8], v[10:11], v[7:8]
	v_div_scale_f64 v[10:11], vcc, v[1:2], v[3:4], v[1:2]
	v_fma_f64 v[12:13], -v[5:6], v[7:8], 1.0
	v_fma_f64 v[7:8], v[7:8], v[12:13], v[7:8]
	v_mul_f64 v[12:13], v[10:11], v[7:8]
	v_fma_f64 v[5:6], -v[5:6], v[12:13], v[10:11]
	v_div_fmas_f64 v[5:6], v[5:6], v[7:8], v[12:13]
	v_div_fixup_f64 v[5:6], v[5:6], v[3:4], v[1:2]
	v_fma_f64 v[1:2], v[1:2], v[5:6], v[3:4]
	v_div_scale_f64 v[3:4], s[10:11], v[1:2], v[1:2], 1.0
	v_div_scale_f64 v[12:13], vcc, 1.0, v[1:2], 1.0
	v_rcp_f64_e32 v[7:8], v[3:4]
	v_fma_f64 v[10:11], -v[3:4], v[7:8], 1.0
	v_fma_f64 v[7:8], v[7:8], v[10:11], v[7:8]
	v_fma_f64 v[10:11], -v[3:4], v[7:8], 1.0
	v_fma_f64 v[7:8], v[7:8], v[10:11], v[7:8]
	v_mul_f64 v[10:11], v[12:13], v[7:8]
	v_fma_f64 v[3:4], -v[3:4], v[10:11], v[12:13]
	v_div_fmas_f64 v[3:4], v[3:4], v[7:8], v[10:11]
	v_div_fixup_f64 v[7:8], v[3:4], v[1:2], 1.0
                                        ; implicit-def: $vgpr1_vgpr2
	v_mul_f64 v[5:6], v[5:6], v[7:8]
	v_xor_b32_e32 v8, 0x80000000, v8
.LBB123_269:
	s_andn2_saveexec_b64 s[6:7], s[6:7]
	s_cbranch_execz .LBB123_271
; %bb.270:
	v_div_scale_f64 v[5:6], s[10:11], v[1:2], v[1:2], v[3:4]
	v_rcp_f64_e32 v[7:8], v[5:6]
	v_fma_f64 v[10:11], -v[5:6], v[7:8], 1.0
	v_fma_f64 v[7:8], v[7:8], v[10:11], v[7:8]
	v_div_scale_f64 v[10:11], vcc, v[3:4], v[1:2], v[3:4]
	v_fma_f64 v[12:13], -v[5:6], v[7:8], 1.0
	v_fma_f64 v[7:8], v[7:8], v[12:13], v[7:8]
	v_mul_f64 v[12:13], v[10:11], v[7:8]
	v_fma_f64 v[5:6], -v[5:6], v[12:13], v[10:11]
	v_div_fmas_f64 v[5:6], v[5:6], v[7:8], v[12:13]
	v_div_fixup_f64 v[7:8], v[5:6], v[1:2], v[3:4]
	v_fma_f64 v[1:2], v[3:4], v[7:8], v[1:2]
	v_div_scale_f64 v[3:4], s[10:11], v[1:2], v[1:2], 1.0
	v_div_scale_f64 v[12:13], vcc, 1.0, v[1:2], 1.0
	v_rcp_f64_e32 v[5:6], v[3:4]
	v_fma_f64 v[10:11], -v[3:4], v[5:6], 1.0
	v_fma_f64 v[5:6], v[5:6], v[10:11], v[5:6]
	v_fma_f64 v[10:11], -v[3:4], v[5:6], 1.0
	v_fma_f64 v[5:6], v[5:6], v[10:11], v[5:6]
	v_mul_f64 v[10:11], v[12:13], v[5:6]
	v_fma_f64 v[3:4], -v[3:4], v[10:11], v[12:13]
	v_div_fmas_f64 v[3:4], v[3:4], v[5:6], v[10:11]
	v_div_fixup_f64 v[5:6], v[3:4], v[1:2], 1.0
	v_mul_f64 v[7:8], v[7:8], -v[5:6]
.LBB123_271:
	s_or_b64 exec, exec, s[6:7]
	ds_write2_b64 v125, v[5:6], v[7:8] offset1:1
.LBB123_272:
	s_or_b64 exec, exec, s[8:9]
	s_waitcnt lgkmcnt(0)
	s_barrier
	ds_read2_b64 v[1:4], v125 offset1:1
	v_cmp_lt_u32_e32 vcc, 20, v0
	s_waitcnt lgkmcnt(0)
	buffer_store_dword v1, off, s[0:3], 0 offset:1760 ; 4-byte Folded Spill
	s_nop 0
	buffer_store_dword v2, off, s[0:3], 0 offset:1764 ; 4-byte Folded Spill
	buffer_store_dword v3, off, s[0:3], 0 offset:1768 ; 4-byte Folded Spill
	;; [unrolled: 1-line block ×3, first 2 shown]
	s_and_saveexec_b64 s[6:7], vcc
	s_cbranch_execz .LBB123_277
; %bb.273:
	buffer_load_dword v1, off, s[0:3], 0 offset:328
	buffer_load_dword v2, off, s[0:3], 0 offset:332
	;; [unrolled: 1-line block ×4, first 2 shown]
	buffer_load_dword v10, off, s[0:3], 0 offset:1760 ; 4-byte Folded Reload
	buffer_load_dword v11, off, s[0:3], 0 offset:1764 ; 4-byte Folded Reload
	;; [unrolled: 1-line block ×4, first 2 shown]
	s_movk_i32 s10, 0x150
	s_waitcnt vmcnt(2)
	v_mul_f64 v[7:8], v[10:11], v[1:2]
	s_waitcnt vmcnt(0)
	v_mul_f64 v[5:6], v[12:13], v[1:2]
	v_fma_f64 v[1:2], v[10:11], v[3:4], -v[5:6]
	v_fma_f64 v[3:4], v[12:13], v[3:4], v[7:8]
	buffer_store_dword v1, off, s[0:3], 0 offset:320
	buffer_store_dword v2, off, s[0:3], 0 offset:324
	;; [unrolled: 1-line block ×4, first 2 shown]
	s_branch .LBB123_275
.LBB123_274:                            ;   in Loop: Header=BB123_275 Depth=1
	s_andn2_b64 vcc, exec, s[8:9]
	s_cbranch_vccz .LBB123_277
.LBB123_275:                            ; =>This Inner Loop Header: Depth=1
	v_add_u32_e32 v5, s10, v121
	ds_read2_b64 v[10:13], v5 offset1:1
	v_mov_b32_e32 v8, s10
	s_mov_b32 s11, s10
	s_mov_b64 s[8:9], -1
	s_cmpk_eq_i32 s10, 0x3d0
	s_waitcnt vmcnt(0) lgkmcnt(0)
	v_mul_f64 v[6:7], v[12:13], v[3:4]
	v_mul_f64 v[3:4], v[10:11], v[3:4]
	v_fma_f64 v[6:7], v[10:11], v[1:2], -v[6:7]
	v_fma_f64 v[1:2], v[12:13], v[1:2], v[3:4]
	buffer_load_dword v3, v8, s[0:3], 0 offen
	buffer_load_dword v4, v8, s[0:3], 0 offen offset:4
	buffer_load_dword v10, v8, s[0:3], 0 offen offset:8
	;; [unrolled: 1-line block ×3, first 2 shown]
	s_waitcnt vmcnt(2)
	v_add_f64 v[3:4], v[3:4], -v[6:7]
	s_waitcnt vmcnt(0)
	v_add_f64 v[1:2], v[10:11], -v[1:2]
	buffer_store_dword v3, v8, s[0:3], 0 offen
	buffer_store_dword v4, v8, s[0:3], 0 offen offset:4
	buffer_store_dword v1, v8, s[0:3], 0 offen offset:8
	;; [unrolled: 1-line block ×3, first 2 shown]
                                        ; implicit-def: $vgpr1_vgpr2
                                        ; implicit-def: $vgpr3_vgpr4
	s_cbranch_scc1 .LBB123_274
; %bb.276:                              ;   in Loop: Header=BB123_275 Depth=1
	buffer_load_dword v6, off, s[0:3], 0 offset:328
	buffer_load_dword v7, off, s[0:3], 0 offset:332
	;; [unrolled: 1-line block ×4, first 2 shown]
	v_mov_b32_e32 v8, s11
	buffer_load_dword v12, v8, s[0:3], 0 offen offset:16
	buffer_load_dword v13, v8, s[0:3], 0 offen offset:20
	;; [unrolled: 1-line block ×4, first 2 shown]
	ds_read2_b64 v[1:4], v5 offset0:2 offset1:3
	s_add_i32 s10, s10, 64
	s_mov_b64 s[8:9], 0
	s_waitcnt vmcnt(6) lgkmcnt(0)
	v_mul_f64 v[16:17], v[3:4], v[6:7]
	v_mul_f64 v[6:7], v[1:2], v[6:7]
	s_waitcnt vmcnt(4)
	v_fma_f64 v[1:2], v[1:2], v[10:11], -v[16:17]
	v_fma_f64 v[3:4], v[3:4], v[10:11], v[6:7]
	s_waitcnt vmcnt(2)
	v_add_f64 v[1:2], v[12:13], -v[1:2]
	s_waitcnt vmcnt(0)
	v_add_f64 v[3:4], v[14:15], -v[3:4]
	buffer_store_dword v2, v8, s[0:3], 0 offen offset:20
	buffer_store_dword v1, v8, s[0:3], 0 offen offset:16
	;; [unrolled: 1-line block ×4, first 2 shown]
	buffer_load_dword v7, off, s[0:3], 0 offset:332
	buffer_load_dword v6, off, s[0:3], 0 offset:328
	;; [unrolled: 1-line block ×4, first 2 shown]
	buffer_load_dword v13, v8, s[0:3], 0 offen offset:36
	buffer_load_dword v12, v8, s[0:3], 0 offen offset:32
	;; [unrolled: 1-line block ×4, first 2 shown]
	ds_read2_b64 v[1:4], v5 offset0:4 offset1:5
	s_waitcnt vmcnt(6) lgkmcnt(0)
	v_mul_f64 v[16:17], v[3:4], v[6:7]
	v_mul_f64 v[6:7], v[1:2], v[6:7]
	s_waitcnt vmcnt(4)
	v_fma_f64 v[1:2], v[1:2], v[10:11], -v[16:17]
	v_fma_f64 v[3:4], v[3:4], v[10:11], v[6:7]
	s_waitcnt vmcnt(2)
	v_add_f64 v[1:2], v[12:13], -v[1:2]
	s_waitcnt vmcnt(0)
	v_add_f64 v[3:4], v[14:15], -v[3:4]
	buffer_store_dword v2, v8, s[0:3], 0 offen offset:36
	buffer_store_dword v1, v8, s[0:3], 0 offen offset:32
	;; [unrolled: 1-line block ×4, first 2 shown]
	buffer_load_dword v6, off, s[0:3], 0 offset:328
	buffer_load_dword v7, off, s[0:3], 0 offset:332
	;; [unrolled: 1-line block ×4, first 2 shown]
	buffer_load_dword v13, v8, s[0:3], 0 offen offset:52
	buffer_load_dword v12, v8, s[0:3], 0 offen offset:48
	;; [unrolled: 1-line block ×4, first 2 shown]
	ds_read2_b64 v[1:4], v5 offset0:6 offset1:7
	s_waitcnt vmcnt(6) lgkmcnt(0)
	v_mul_f64 v[16:17], v[3:4], v[6:7]
	v_mul_f64 v[5:6], v[1:2], v[6:7]
	s_waitcnt vmcnt(4)
	v_fma_f64 v[1:2], v[1:2], v[10:11], -v[16:17]
	v_fma_f64 v[3:4], v[3:4], v[10:11], v[5:6]
	s_waitcnt vmcnt(2)
	v_add_f64 v[1:2], v[12:13], -v[1:2]
	s_waitcnt vmcnt(0)
	v_add_f64 v[3:4], v[14:15], -v[3:4]
	buffer_store_dword v2, v8, s[0:3], 0 offen offset:52
	buffer_store_dword v1, v8, s[0:3], 0 offen offset:48
	;; [unrolled: 1-line block ×4, first 2 shown]
	buffer_load_dword v1, off, s[0:3], 0 offset:320
	s_nop 0
	buffer_load_dword v2, off, s[0:3], 0 offset:324
	buffer_load_dword v3, off, s[0:3], 0 offset:328
	;; [unrolled: 1-line block ×3, first 2 shown]
	s_branch .LBB123_274
.LBB123_277:
	s_or_b64 exec, exec, s[6:7]
	v_cmp_eq_u32_e32 vcc, 21, v0
	s_waitcnt vmcnt(0)
	s_barrier
	s_and_saveexec_b64 s[8:9], vcc
	s_cbranch_execz .LBB123_286
; %bb.278:
	v_mov_b32_e32 v4, s81
	buffer_load_dword v1, v4, s[0:3], 0 offen
	buffer_load_dword v2, v4, s[0:3], 0 offen offset:4
	buffer_load_dword v3, v4, s[0:3], 0 offen offset:8
	s_nop 0
	buffer_load_dword v4, v4, s[0:3], 0 offen offset:12
	s_movk_i32 s6, 0x160
	s_waitcnt vmcnt(0)
	ds_write2_b64 v125, v[1:2], v[3:4] offset1:1
.LBB123_279:                            ; =>This Inner Loop Header: Depth=1
	v_mov_b32_e32 v18, s6
	buffer_load_dword v1, v18, s[0:3], 0 offen
	buffer_load_dword v2, v18, s[0:3], 0 offen offset:4
	buffer_load_dword v3, v18, s[0:3], 0 offen offset:8
	;; [unrolled: 1-line block ×15, first 2 shown]
	v_add_u32_e32 v19, s6, v121
	s_addk_i32 s6, 0xa0
	s_cmpk_lg_i32 s6, 0x3e0
	s_waitcnt vmcnt(12)
	ds_write2_b64 v19, v[1:2], v[3:4] offset1:1
	s_waitcnt vmcnt(8)
	ds_write2_b64 v19, v[5:6], v[7:8] offset0:2 offset1:3
	s_waitcnt vmcnt(4)
	ds_write2_b64 v19, v[10:11], v[12:13] offset0:4 offset1:5
	;; [unrolled: 2-line block ×3, first 2 shown]
	buffer_load_dword v2, v18, s[0:3], 0 offen offset:76
	buffer_load_dword v1, v18, s[0:3], 0 offen offset:72
	buffer_load_dword v4, v18, s[0:3], 0 offen offset:68
	buffer_load_dword v3, v18, s[0:3], 0 offen offset:64
	s_waitcnt vmcnt(0)
	ds_write2_b64 v19, v[3:4], v[1:2] offset0:8 offset1:9
	buffer_load_dword v2, v18, s[0:3], 0 offen offset:92
	buffer_load_dword v1, v18, s[0:3], 0 offen offset:88
	buffer_load_dword v4, v18, s[0:3], 0 offen offset:84
	buffer_load_dword v3, v18, s[0:3], 0 offen offset:80
	s_waitcnt vmcnt(0)
	ds_write2_b64 v19, v[3:4], v[1:2] offset0:10 offset1:11
	;; [unrolled: 6-line block ×6, first 2 shown]
	s_cbranch_scc1 .LBB123_279
; %bb.280:
	ds_read2_b64 v[1:4], v125 offset1:1
	s_waitcnt lgkmcnt(0)
	v_cmp_neq_f64_e32 vcc, 0, v[1:2]
	v_cmp_neq_f64_e64 s[6:7], 0, v[3:4]
	s_or_b64 s[6:7], vcc, s[6:7]
	s_and_b64 exec, exec, s[6:7]
	s_cbranch_execz .LBB123_286
; %bb.281:
	v_cmp_ngt_f64_e64 s[6:7], |v[1:2]|, |v[3:4]|
                                        ; implicit-def: $vgpr5_vgpr6
	s_and_saveexec_b64 s[10:11], s[6:7]
	s_xor_b64 s[6:7], exec, s[10:11]
                                        ; implicit-def: $vgpr7_vgpr8
	s_cbranch_execz .LBB123_283
; %bb.282:
	v_div_scale_f64 v[5:6], s[10:11], v[3:4], v[3:4], v[1:2]
	v_rcp_f64_e32 v[7:8], v[5:6]
	v_fma_f64 v[10:11], -v[5:6], v[7:8], 1.0
	v_fma_f64 v[7:8], v[7:8], v[10:11], v[7:8]
	v_div_scale_f64 v[10:11], vcc, v[1:2], v[3:4], v[1:2]
	v_fma_f64 v[12:13], -v[5:6], v[7:8], 1.0
	v_fma_f64 v[7:8], v[7:8], v[12:13], v[7:8]
	v_mul_f64 v[12:13], v[10:11], v[7:8]
	v_fma_f64 v[5:6], -v[5:6], v[12:13], v[10:11]
	v_div_fmas_f64 v[5:6], v[5:6], v[7:8], v[12:13]
	v_div_fixup_f64 v[5:6], v[5:6], v[3:4], v[1:2]
	v_fma_f64 v[1:2], v[1:2], v[5:6], v[3:4]
	v_div_scale_f64 v[3:4], s[10:11], v[1:2], v[1:2], 1.0
	v_div_scale_f64 v[12:13], vcc, 1.0, v[1:2], 1.0
	v_rcp_f64_e32 v[7:8], v[3:4]
	v_fma_f64 v[10:11], -v[3:4], v[7:8], 1.0
	v_fma_f64 v[7:8], v[7:8], v[10:11], v[7:8]
	v_fma_f64 v[10:11], -v[3:4], v[7:8], 1.0
	v_fma_f64 v[7:8], v[7:8], v[10:11], v[7:8]
	v_mul_f64 v[10:11], v[12:13], v[7:8]
	v_fma_f64 v[3:4], -v[3:4], v[10:11], v[12:13]
	v_div_fmas_f64 v[3:4], v[3:4], v[7:8], v[10:11]
	v_div_fixup_f64 v[7:8], v[3:4], v[1:2], 1.0
                                        ; implicit-def: $vgpr1_vgpr2
	v_mul_f64 v[5:6], v[5:6], v[7:8]
	v_xor_b32_e32 v8, 0x80000000, v8
.LBB123_283:
	s_andn2_saveexec_b64 s[6:7], s[6:7]
	s_cbranch_execz .LBB123_285
; %bb.284:
	v_div_scale_f64 v[5:6], s[10:11], v[1:2], v[1:2], v[3:4]
	v_rcp_f64_e32 v[7:8], v[5:6]
	v_fma_f64 v[10:11], -v[5:6], v[7:8], 1.0
	v_fma_f64 v[7:8], v[7:8], v[10:11], v[7:8]
	v_div_scale_f64 v[10:11], vcc, v[3:4], v[1:2], v[3:4]
	v_fma_f64 v[12:13], -v[5:6], v[7:8], 1.0
	v_fma_f64 v[7:8], v[7:8], v[12:13], v[7:8]
	v_mul_f64 v[12:13], v[10:11], v[7:8]
	v_fma_f64 v[5:6], -v[5:6], v[12:13], v[10:11]
	v_div_fmas_f64 v[5:6], v[5:6], v[7:8], v[12:13]
	v_div_fixup_f64 v[7:8], v[5:6], v[1:2], v[3:4]
	v_fma_f64 v[1:2], v[3:4], v[7:8], v[1:2]
	v_div_scale_f64 v[3:4], s[10:11], v[1:2], v[1:2], 1.0
	v_div_scale_f64 v[12:13], vcc, 1.0, v[1:2], 1.0
	v_rcp_f64_e32 v[5:6], v[3:4]
	v_fma_f64 v[10:11], -v[3:4], v[5:6], 1.0
	v_fma_f64 v[5:6], v[5:6], v[10:11], v[5:6]
	v_fma_f64 v[10:11], -v[3:4], v[5:6], 1.0
	v_fma_f64 v[5:6], v[5:6], v[10:11], v[5:6]
	v_mul_f64 v[10:11], v[12:13], v[5:6]
	v_fma_f64 v[3:4], -v[3:4], v[10:11], v[12:13]
	v_div_fmas_f64 v[3:4], v[3:4], v[5:6], v[10:11]
	v_div_fixup_f64 v[5:6], v[3:4], v[1:2], 1.0
	v_mul_f64 v[7:8], v[7:8], -v[5:6]
.LBB123_285:
	s_or_b64 exec, exec, s[6:7]
	ds_write2_b64 v125, v[5:6], v[7:8] offset1:1
.LBB123_286:
	s_or_b64 exec, exec, s[8:9]
	s_waitcnt lgkmcnt(0)
	s_barrier
	ds_read2_b64 v[1:4], v125 offset1:1
	v_cmp_lt_u32_e32 vcc, 21, v0
	s_waitcnt lgkmcnt(0)
	buffer_store_dword v1, off, s[0:3], 0 offset:1776 ; 4-byte Folded Spill
	s_nop 0
	buffer_store_dword v2, off, s[0:3], 0 offset:1780 ; 4-byte Folded Spill
	buffer_store_dword v3, off, s[0:3], 0 offset:1784 ; 4-byte Folded Spill
	;; [unrolled: 1-line block ×3, first 2 shown]
	s_and_saveexec_b64 s[6:7], vcc
	s_cbranch_execz .LBB123_289
; %bb.287:
	buffer_load_dword v1, off, s[0:3], 0 offset:344
	buffer_load_dword v2, off, s[0:3], 0 offset:348
	;; [unrolled: 1-line block ×4, first 2 shown]
	buffer_load_dword v10, off, s[0:3], 0 offset:1776 ; 4-byte Folded Reload
	buffer_load_dword v11, off, s[0:3], 0 offset:1780 ; 4-byte Folded Reload
	;; [unrolled: 1-line block ×4, first 2 shown]
	s_movk_i32 s8, 0x160
	s_waitcnt vmcnt(0)
	v_mul_f64 v[5:6], v[12:13], v[1:2]
	v_mul_f64 v[1:2], v[10:11], v[1:2]
	v_fma_f64 v[5:6], v[10:11], v[3:4], -v[5:6]
	v_fma_f64 v[1:2], v[12:13], v[3:4], v[1:2]
	buffer_store_dword v5, off, s[0:3], 0 offset:336
	buffer_store_dword v6, off, s[0:3], 0 offset:340
	;; [unrolled: 1-line block ×4, first 2 shown]
.LBB123_288:                            ; =>This Inner Loop Header: Depth=1
	buffer_load_dword v7, off, s[0:3], 0 offset:344
	buffer_load_dword v8, off, s[0:3], 0 offset:348
	;; [unrolled: 1-line block ×4, first 2 shown]
	v_mov_b32_e32 v1, s8
	buffer_load_dword v12, v1, s[0:3], 0 offen
	buffer_load_dword v13, v1, s[0:3], 0 offen offset:4
	buffer_load_dword v14, v1, s[0:3], 0 offen offset:8
	;; [unrolled: 1-line block ×3, first 2 shown]
	v_add_u32_e32 v2, s8, v121
	ds_read2_b64 v[3:6], v2 offset1:1
	buffer_load_dword v16, v1, s[0:3], 0 offen offset:16
	buffer_load_dword v17, v1, s[0:3], 0 offen offset:20
	;; [unrolled: 1-line block ×3, first 2 shown]
	s_addk_i32 s8, 0x50
	s_cmpk_lg_i32 s8, 0x3e0
	s_waitcnt vmcnt(9) lgkmcnt(0)
	v_mul_f64 v[19:20], v[5:6], v[7:8]
	v_mul_f64 v[7:8], v[3:4], v[7:8]
	s_waitcnt vmcnt(7)
	v_fma_f64 v[3:4], v[3:4], v[10:11], -v[19:20]
	v_fma_f64 v[5:6], v[5:6], v[10:11], v[7:8]
	s_waitcnt vmcnt(5)
	v_add_f64 v[3:4], v[12:13], -v[3:4]
	s_waitcnt vmcnt(3)
	v_add_f64 v[5:6], v[14:15], -v[5:6]
	buffer_store_dword v4, v1, s[0:3], 0 offen offset:4
	buffer_store_dword v3, v1, s[0:3], 0 offen
	buffer_store_dword v6, v1, s[0:3], 0 offen offset:12
	buffer_store_dword v5, v1, s[0:3], 0 offen offset:8
	buffer_load_dword v8, off, s[0:3], 0 offset:348
	buffer_load_dword v7, off, s[0:3], 0 offset:344
	;; [unrolled: 1-line block ×4, first 2 shown]
	buffer_load_dword v19, v1, s[0:3], 0 offen offset:28
	ds_read2_b64 v[3:6], v2 offset0:2 offset1:3
	buffer_load_dword v12, v1, s[0:3], 0 offen offset:32
	buffer_load_dword v13, v1, s[0:3], 0 offen offset:36
	;; [unrolled: 1-line block ×3, first 2 shown]
	s_waitcnt vmcnt(6) lgkmcnt(0)
	v_mul_f64 v[20:21], v[5:6], v[7:8]
	v_mul_f64 v[7:8], v[3:4], v[7:8]
	s_waitcnt vmcnt(4)
	v_fma_f64 v[3:4], v[3:4], v[10:11], -v[20:21]
	v_fma_f64 v[5:6], v[5:6], v[10:11], v[7:8]
	v_add_f64 v[3:4], v[16:17], -v[3:4]
	s_waitcnt vmcnt(3)
	v_add_f64 v[5:6], v[18:19], -v[5:6]
	buffer_store_dword v4, v1, s[0:3], 0 offen offset:20
	buffer_store_dword v3, v1, s[0:3], 0 offen offset:16
	;; [unrolled: 1-line block ×4, first 2 shown]
	buffer_load_dword v7, off, s[0:3], 0 offset:344
	buffer_load_dword v8, off, s[0:3], 0 offset:348
	;; [unrolled: 1-line block ×4, first 2 shown]
	buffer_load_dword v15, v1, s[0:3], 0 offen offset:44
	ds_read2_b64 v[3:6], v2 offset0:4 offset1:5
	buffer_load_dword v16, v1, s[0:3], 0 offen offset:48
	s_waitcnt vmcnt(4) lgkmcnt(0)
	v_mul_f64 v[17:18], v[5:6], v[7:8]
	v_mul_f64 v[7:8], v[3:4], v[7:8]
	s_waitcnt vmcnt(2)
	v_fma_f64 v[3:4], v[3:4], v[10:11], -v[17:18]
	v_fma_f64 v[5:6], v[5:6], v[10:11], v[7:8]
	v_add_f64 v[3:4], v[12:13], -v[3:4]
	s_waitcnt vmcnt(1)
	v_add_f64 v[5:6], v[14:15], -v[5:6]
	buffer_store_dword v4, v1, s[0:3], 0 offen offset:36
	buffer_store_dword v3, v1, s[0:3], 0 offen offset:32
	;; [unrolled: 1-line block ×4, first 2 shown]
	buffer_load_dword v7, off, s[0:3], 0 offset:344
	buffer_load_dword v8, off, s[0:3], 0 offset:348
	;; [unrolled: 1-line block ×4, first 2 shown]
	buffer_load_dword v17, v1, s[0:3], 0 offen offset:52
	buffer_load_dword v12, v1, s[0:3], 0 offen offset:56
	;; [unrolled: 1-line block ×3, first 2 shown]
	ds_read2_b64 v[3:6], v2 offset0:6 offset1:7
	s_waitcnt vmcnt(5) lgkmcnt(0)
	v_mul_f64 v[14:15], v[5:6], v[7:8]
	v_mul_f64 v[7:8], v[3:4], v[7:8]
	s_waitcnt vmcnt(3)
	v_fma_f64 v[3:4], v[3:4], v[10:11], -v[14:15]
	v_fma_f64 v[5:6], v[5:6], v[10:11], v[7:8]
	s_waitcnt vmcnt(2)
	v_add_f64 v[3:4], v[16:17], -v[3:4]
	s_waitcnt vmcnt(0)
	v_add_f64 v[5:6], v[12:13], -v[5:6]
	buffer_store_dword v4, v1, s[0:3], 0 offen offset:52
	buffer_store_dword v3, v1, s[0:3], 0 offen offset:48
	;; [unrolled: 1-line block ×4, first 2 shown]
	buffer_load_dword v6, off, s[0:3], 0 offset:344
	s_nop 0
	buffer_load_dword v7, off, s[0:3], 0 offset:348
	buffer_load_dword v10, off, s[0:3], 0 offset:336
	;; [unrolled: 1-line block ×3, first 2 shown]
	buffer_load_dword v12, v1, s[0:3], 0 offen offset:64
	buffer_load_dword v13, v1, s[0:3], 0 offen offset:68
	;; [unrolled: 1-line block ×4, first 2 shown]
	ds_read2_b64 v[2:5], v2 offset0:8 offset1:9
	s_waitcnt vmcnt(6) lgkmcnt(0)
	v_mul_f64 v[16:17], v[4:5], v[6:7]
	v_mul_f64 v[6:7], v[2:3], v[6:7]
	s_waitcnt vmcnt(4)
	v_fma_f64 v[2:3], v[2:3], v[10:11], -v[16:17]
	v_fma_f64 v[4:5], v[4:5], v[10:11], v[6:7]
	s_waitcnt vmcnt(2)
	v_add_f64 v[2:3], v[12:13], -v[2:3]
	s_waitcnt vmcnt(0)
	v_add_f64 v[4:5], v[14:15], -v[4:5]
	buffer_store_dword v3, v1, s[0:3], 0 offen offset:68
	buffer_store_dword v2, v1, s[0:3], 0 offen offset:64
	buffer_store_dword v5, v1, s[0:3], 0 offen offset:76
	buffer_store_dword v4, v1, s[0:3], 0 offen offset:72
	s_cbranch_scc1 .LBB123_288
.LBB123_289:
	s_or_b64 exec, exec, s[6:7]
	v_cmp_eq_u32_e32 vcc, 22, v0
	s_waitcnt vmcnt(0)
	s_barrier
	s_and_saveexec_b64 s[8:9], vcc
	s_cbranch_execz .LBB123_298
; %bb.290:
	v_readlane_b32 s6, v126, 2
	v_mov_b32_e32 v4, s6
	buffer_load_dword v1, v4, s[0:3], 0 offen
	buffer_load_dword v2, v4, s[0:3], 0 offen offset:4
	buffer_load_dword v3, v4, s[0:3], 0 offen offset:8
	s_nop 0
	buffer_load_dword v4, v4, s[0:3], 0 offen offset:12
	s_movk_i32 s6, 0x170
	s_waitcnt vmcnt(0)
	ds_write2_b64 v125, v[1:2], v[3:4] offset1:1
.LBB123_291:                            ; =>This Inner Loop Header: Depth=1
	v_mov_b32_e32 v18, s6
	buffer_load_dword v1, v18, s[0:3], 0 offen
	buffer_load_dword v2, v18, s[0:3], 0 offen offset:4
	buffer_load_dword v3, v18, s[0:3], 0 offen offset:8
	;; [unrolled: 1-line block ×15, first 2 shown]
	v_add_u32_e32 v19, s6, v121
	s_addk_i32 s6, 0xd0
	s_cmpk_lg_i32 s6, 0x3e0
	s_waitcnt vmcnt(12)
	ds_write2_b64 v19, v[1:2], v[3:4] offset1:1
	s_waitcnt vmcnt(8)
	ds_write2_b64 v19, v[5:6], v[7:8] offset0:2 offset1:3
	s_waitcnt vmcnt(4)
	ds_write2_b64 v19, v[10:11], v[12:13] offset0:4 offset1:5
	;; [unrolled: 2-line block ×3, first 2 shown]
	buffer_load_dword v2, v18, s[0:3], 0 offen offset:76
	buffer_load_dword v1, v18, s[0:3], 0 offen offset:72
	buffer_load_dword v4, v18, s[0:3], 0 offen offset:68
	buffer_load_dword v3, v18, s[0:3], 0 offen offset:64
	s_waitcnt vmcnt(0)
	ds_write2_b64 v19, v[3:4], v[1:2] offset0:8 offset1:9
	buffer_load_dword v2, v18, s[0:3], 0 offen offset:92
	buffer_load_dword v1, v18, s[0:3], 0 offen offset:88
	buffer_load_dword v4, v18, s[0:3], 0 offen offset:84
	buffer_load_dword v3, v18, s[0:3], 0 offen offset:80
	s_waitcnt vmcnt(0)
	ds_write2_b64 v19, v[3:4], v[1:2] offset0:10 offset1:11
	;; [unrolled: 6-line block ×9, first 2 shown]
	s_cbranch_scc1 .LBB123_291
; %bb.292:
	ds_read2_b64 v[1:4], v125 offset1:1
	s_waitcnt lgkmcnt(0)
	v_cmp_neq_f64_e32 vcc, 0, v[1:2]
	v_cmp_neq_f64_e64 s[6:7], 0, v[3:4]
	s_or_b64 s[6:7], vcc, s[6:7]
	s_and_b64 exec, exec, s[6:7]
	s_cbranch_execz .LBB123_298
; %bb.293:
	v_cmp_ngt_f64_e64 s[6:7], |v[1:2]|, |v[3:4]|
                                        ; implicit-def: $vgpr5_vgpr6
	s_and_saveexec_b64 s[10:11], s[6:7]
	s_xor_b64 s[6:7], exec, s[10:11]
                                        ; implicit-def: $vgpr7_vgpr8
	s_cbranch_execz .LBB123_295
; %bb.294:
	v_div_scale_f64 v[5:6], s[10:11], v[3:4], v[3:4], v[1:2]
	v_rcp_f64_e32 v[7:8], v[5:6]
	v_fma_f64 v[10:11], -v[5:6], v[7:8], 1.0
	v_fma_f64 v[7:8], v[7:8], v[10:11], v[7:8]
	v_div_scale_f64 v[10:11], vcc, v[1:2], v[3:4], v[1:2]
	v_fma_f64 v[12:13], -v[5:6], v[7:8], 1.0
	v_fma_f64 v[7:8], v[7:8], v[12:13], v[7:8]
	v_mul_f64 v[12:13], v[10:11], v[7:8]
	v_fma_f64 v[5:6], -v[5:6], v[12:13], v[10:11]
	v_div_fmas_f64 v[5:6], v[5:6], v[7:8], v[12:13]
	v_div_fixup_f64 v[5:6], v[5:6], v[3:4], v[1:2]
	v_fma_f64 v[1:2], v[1:2], v[5:6], v[3:4]
	v_div_scale_f64 v[3:4], s[10:11], v[1:2], v[1:2], 1.0
	v_div_scale_f64 v[12:13], vcc, 1.0, v[1:2], 1.0
	v_rcp_f64_e32 v[7:8], v[3:4]
	v_fma_f64 v[10:11], -v[3:4], v[7:8], 1.0
	v_fma_f64 v[7:8], v[7:8], v[10:11], v[7:8]
	v_fma_f64 v[10:11], -v[3:4], v[7:8], 1.0
	v_fma_f64 v[7:8], v[7:8], v[10:11], v[7:8]
	v_mul_f64 v[10:11], v[12:13], v[7:8]
	v_fma_f64 v[3:4], -v[3:4], v[10:11], v[12:13]
	v_div_fmas_f64 v[3:4], v[3:4], v[7:8], v[10:11]
	v_div_fixup_f64 v[7:8], v[3:4], v[1:2], 1.0
                                        ; implicit-def: $vgpr1_vgpr2
	v_mul_f64 v[5:6], v[5:6], v[7:8]
	v_xor_b32_e32 v8, 0x80000000, v8
.LBB123_295:
	s_andn2_saveexec_b64 s[6:7], s[6:7]
	s_cbranch_execz .LBB123_297
; %bb.296:
	v_div_scale_f64 v[5:6], s[10:11], v[1:2], v[1:2], v[3:4]
	v_rcp_f64_e32 v[7:8], v[5:6]
	v_fma_f64 v[10:11], -v[5:6], v[7:8], 1.0
	v_fma_f64 v[7:8], v[7:8], v[10:11], v[7:8]
	v_div_scale_f64 v[10:11], vcc, v[3:4], v[1:2], v[3:4]
	v_fma_f64 v[12:13], -v[5:6], v[7:8], 1.0
	v_fma_f64 v[7:8], v[7:8], v[12:13], v[7:8]
	v_mul_f64 v[12:13], v[10:11], v[7:8]
	v_fma_f64 v[5:6], -v[5:6], v[12:13], v[10:11]
	v_div_fmas_f64 v[5:6], v[5:6], v[7:8], v[12:13]
	v_div_fixup_f64 v[7:8], v[5:6], v[1:2], v[3:4]
	v_fma_f64 v[1:2], v[3:4], v[7:8], v[1:2]
	v_div_scale_f64 v[3:4], s[10:11], v[1:2], v[1:2], 1.0
	v_div_scale_f64 v[12:13], vcc, 1.0, v[1:2], 1.0
	v_rcp_f64_e32 v[5:6], v[3:4]
	v_fma_f64 v[10:11], -v[3:4], v[5:6], 1.0
	v_fma_f64 v[5:6], v[5:6], v[10:11], v[5:6]
	v_fma_f64 v[10:11], -v[3:4], v[5:6], 1.0
	v_fma_f64 v[5:6], v[5:6], v[10:11], v[5:6]
	v_mul_f64 v[10:11], v[12:13], v[5:6]
	v_fma_f64 v[3:4], -v[3:4], v[10:11], v[12:13]
	v_div_fmas_f64 v[3:4], v[3:4], v[5:6], v[10:11]
	v_div_fixup_f64 v[5:6], v[3:4], v[1:2], 1.0
	v_mul_f64 v[7:8], v[7:8], -v[5:6]
.LBB123_297:
	s_or_b64 exec, exec, s[6:7]
	ds_write2_b64 v125, v[5:6], v[7:8] offset1:1
.LBB123_298:
	s_or_b64 exec, exec, s[8:9]
	s_waitcnt lgkmcnt(0)
	s_barrier
	ds_read2_b64 v[1:4], v125 offset1:1
	v_cmp_lt_u32_e32 vcc, 22, v0
	s_waitcnt lgkmcnt(0)
	buffer_store_dword v1, off, s[0:3], 0 offset:1792 ; 4-byte Folded Spill
	s_nop 0
	buffer_store_dword v2, off, s[0:3], 0 offset:1796 ; 4-byte Folded Spill
	buffer_store_dword v3, off, s[0:3], 0 offset:1800 ; 4-byte Folded Spill
	;; [unrolled: 1-line block ×3, first 2 shown]
	s_and_saveexec_b64 s[6:7], vcc
	s_cbranch_execz .LBB123_301
; %bb.299:
	buffer_load_dword v1, off, s[0:3], 0 offset:360
	buffer_load_dword v2, off, s[0:3], 0 offset:364
	;; [unrolled: 1-line block ×4, first 2 shown]
	buffer_load_dword v10, off, s[0:3], 0 offset:1792 ; 4-byte Folded Reload
	buffer_load_dword v11, off, s[0:3], 0 offset:1796 ; 4-byte Folded Reload
	;; [unrolled: 1-line block ×4, first 2 shown]
	s_movk_i32 s8, 0x170
	s_waitcnt vmcnt(0)
	v_mul_f64 v[5:6], v[12:13], v[1:2]
	v_mul_f64 v[1:2], v[10:11], v[1:2]
	v_fma_f64 v[5:6], v[10:11], v[3:4], -v[5:6]
	v_fma_f64 v[1:2], v[12:13], v[3:4], v[1:2]
	buffer_store_dword v5, off, s[0:3], 0 offset:352
	buffer_store_dword v6, off, s[0:3], 0 offset:356
	;; [unrolled: 1-line block ×4, first 2 shown]
.LBB123_300:                            ; =>This Inner Loop Header: Depth=1
	buffer_load_dword v5, off, s[0:3], 0 offset:360
	s_nop 0
	buffer_load_dword v6, off, s[0:3], 0 offset:364
	buffer_load_dword v7, off, s[0:3], 0 offset:352
	;; [unrolled: 1-line block ×3, first 2 shown]
	v_mov_b32_e32 v17, s8
	buffer_load_dword v10, v17, s[0:3], 0 offen
	buffer_load_dword v11, v17, s[0:3], 0 offen offset:4
	buffer_load_dword v12, v17, s[0:3], 0 offen offset:8
	;; [unrolled: 1-line block ×3, first 2 shown]
	v_add_u32_e32 v18, s8, v121
	ds_read2_b64 v[1:4], v18 offset1:1
	buffer_load_dword v14, v17, s[0:3], 0 offen offset:16
	s_add_i32 s8, s8, 48
	s_cmpk_lg_i32 s8, 0x3e0
	s_waitcnt vmcnt(7) lgkmcnt(0)
	v_mul_f64 v[15:16], v[3:4], v[5:6]
	v_mul_f64 v[5:6], v[1:2], v[5:6]
	s_waitcnt vmcnt(5)
	v_fma_f64 v[1:2], v[1:2], v[7:8], -v[15:16]
	v_fma_f64 v[3:4], v[3:4], v[7:8], v[5:6]
	s_waitcnt vmcnt(3)
	v_add_f64 v[1:2], v[10:11], -v[1:2]
	s_waitcnt vmcnt(1)
	v_add_f64 v[3:4], v[12:13], -v[3:4]
	buffer_store_dword v2, v17, s[0:3], 0 offen offset:4
	buffer_store_dword v1, v17, s[0:3], 0 offen
	buffer_store_dword v4, v17, s[0:3], 0 offen offset:12
	buffer_store_dword v3, v17, s[0:3], 0 offen offset:8
	buffer_load_dword v6, off, s[0:3], 0 offset:364
	buffer_load_dword v5, off, s[0:3], 0 offset:360
	;; [unrolled: 1-line block ×4, first 2 shown]
	buffer_load_dword v15, v17, s[0:3], 0 offen offset:20
	buffer_load_dword v10, v17, s[0:3], 0 offen offset:24
	;; [unrolled: 1-line block ×3, first 2 shown]
	ds_read2_b64 v[1:4], v18 offset0:2 offset1:3
	s_waitcnt vmcnt(5) lgkmcnt(0)
	v_mul_f64 v[12:13], v[3:4], v[5:6]
	v_mul_f64 v[5:6], v[1:2], v[5:6]
	s_waitcnt vmcnt(3)
	v_fma_f64 v[1:2], v[1:2], v[7:8], -v[12:13]
	v_fma_f64 v[3:4], v[3:4], v[7:8], v[5:6]
	s_waitcnt vmcnt(2)
	v_add_f64 v[1:2], v[14:15], -v[1:2]
	s_waitcnt vmcnt(0)
	v_add_f64 v[3:4], v[10:11], -v[3:4]
	buffer_store_dword v2, v17, s[0:3], 0 offen offset:20
	buffer_store_dword v1, v17, s[0:3], 0 offen offset:16
	;; [unrolled: 1-line block ×4, first 2 shown]
	buffer_load_dword v5, off, s[0:3], 0 offset:360
	buffer_load_dword v6, off, s[0:3], 0 offset:364
	;; [unrolled: 1-line block ×4, first 2 shown]
	buffer_load_dword v10, v17, s[0:3], 0 offen offset:32
	buffer_load_dword v11, v17, s[0:3], 0 offen offset:36
	;; [unrolled: 1-line block ×4, first 2 shown]
	ds_read2_b64 v[1:4], v18 offset0:4 offset1:5
	s_waitcnt vmcnt(6) lgkmcnt(0)
	v_mul_f64 v[14:15], v[3:4], v[5:6]
	v_mul_f64 v[5:6], v[1:2], v[5:6]
	s_waitcnt vmcnt(4)
	v_fma_f64 v[1:2], v[1:2], v[7:8], -v[14:15]
	v_fma_f64 v[3:4], v[3:4], v[7:8], v[5:6]
	s_waitcnt vmcnt(2)
	v_add_f64 v[1:2], v[10:11], -v[1:2]
	s_waitcnt vmcnt(0)
	v_add_f64 v[3:4], v[12:13], -v[3:4]
	buffer_store_dword v2, v17, s[0:3], 0 offen offset:36
	buffer_store_dword v1, v17, s[0:3], 0 offen offset:32
	;; [unrolled: 1-line block ×4, first 2 shown]
	s_cbranch_scc1 .LBB123_300
.LBB123_301:
	s_or_b64 exec, exec, s[6:7]
	v_cmp_eq_u32_e32 vcc, 23, v0
	s_waitcnt vmcnt(0)
	s_barrier
	s_and_saveexec_b64 s[8:9], vcc
	s_cbranch_execz .LBB123_310
; %bb.302:
	v_readlane_b32 s6, v126, 3
	v_mov_b32_e32 v4, s6
	buffer_load_dword v1, v4, s[0:3], 0 offen
	buffer_load_dword v2, v4, s[0:3], 0 offen offset:4
	buffer_load_dword v3, v4, s[0:3], 0 offen offset:8
	s_nop 0
	buffer_load_dword v4, v4, s[0:3], 0 offen offset:12
	s_movk_i32 s6, 0x180
	s_waitcnt vmcnt(0)
	ds_write2_b64 v125, v[1:2], v[3:4] offset1:1
.LBB123_303:                            ; =>This Inner Loop Header: Depth=1
	v_mov_b32_e32 v8, s6
	buffer_load_dword v1, v8, s[0:3], 0 offen
	buffer_load_dword v2, v8, s[0:3], 0 offen offset:4
	buffer_load_dword v3, v8, s[0:3], 0 offen offset:8
	;; [unrolled: 1-line block ×6, first 2 shown]
	s_nop 0
	buffer_load_dword v8, v8, s[0:3], 0 offen offset:28
	v_add_u32_e32 v10, s6, v121
	s_add_i32 s6, s6, 32
	s_cmpk_lg_i32 s6, 0x3e0
	s_waitcnt vmcnt(4)
	ds_write2_b64 v10, v[1:2], v[3:4] offset1:1
	s_waitcnt vmcnt(0)
	ds_write2_b64 v10, v[5:6], v[7:8] offset0:2 offset1:3
	s_cbranch_scc1 .LBB123_303
; %bb.304:
	ds_read2_b64 v[1:4], v125 offset1:1
	s_waitcnt lgkmcnt(0)
	v_cmp_neq_f64_e32 vcc, 0, v[1:2]
	v_cmp_neq_f64_e64 s[6:7], 0, v[3:4]
	s_or_b64 s[6:7], vcc, s[6:7]
	s_and_b64 exec, exec, s[6:7]
	s_cbranch_execz .LBB123_310
; %bb.305:
	v_cmp_ngt_f64_e64 s[6:7], |v[1:2]|, |v[3:4]|
                                        ; implicit-def: $vgpr5_vgpr6
	s_and_saveexec_b64 s[10:11], s[6:7]
	s_xor_b64 s[6:7], exec, s[10:11]
                                        ; implicit-def: $vgpr7_vgpr8
	s_cbranch_execz .LBB123_307
; %bb.306:
	v_div_scale_f64 v[5:6], s[10:11], v[3:4], v[3:4], v[1:2]
	v_rcp_f64_e32 v[7:8], v[5:6]
	v_fma_f64 v[10:11], -v[5:6], v[7:8], 1.0
	v_fma_f64 v[7:8], v[7:8], v[10:11], v[7:8]
	v_div_scale_f64 v[10:11], vcc, v[1:2], v[3:4], v[1:2]
	v_fma_f64 v[12:13], -v[5:6], v[7:8], 1.0
	v_fma_f64 v[7:8], v[7:8], v[12:13], v[7:8]
	v_mul_f64 v[12:13], v[10:11], v[7:8]
	v_fma_f64 v[5:6], -v[5:6], v[12:13], v[10:11]
	v_div_fmas_f64 v[5:6], v[5:6], v[7:8], v[12:13]
	v_div_fixup_f64 v[5:6], v[5:6], v[3:4], v[1:2]
	v_fma_f64 v[1:2], v[1:2], v[5:6], v[3:4]
	v_div_scale_f64 v[3:4], s[10:11], v[1:2], v[1:2], 1.0
	v_div_scale_f64 v[12:13], vcc, 1.0, v[1:2], 1.0
	v_rcp_f64_e32 v[7:8], v[3:4]
	v_fma_f64 v[10:11], -v[3:4], v[7:8], 1.0
	v_fma_f64 v[7:8], v[7:8], v[10:11], v[7:8]
	v_fma_f64 v[10:11], -v[3:4], v[7:8], 1.0
	v_fma_f64 v[7:8], v[7:8], v[10:11], v[7:8]
	v_mul_f64 v[10:11], v[12:13], v[7:8]
	v_fma_f64 v[3:4], -v[3:4], v[10:11], v[12:13]
	v_div_fmas_f64 v[3:4], v[3:4], v[7:8], v[10:11]
	v_div_fixup_f64 v[7:8], v[3:4], v[1:2], 1.0
                                        ; implicit-def: $vgpr1_vgpr2
	v_mul_f64 v[5:6], v[5:6], v[7:8]
	v_xor_b32_e32 v8, 0x80000000, v8
.LBB123_307:
	s_andn2_saveexec_b64 s[6:7], s[6:7]
	s_cbranch_execz .LBB123_309
; %bb.308:
	v_div_scale_f64 v[5:6], s[10:11], v[1:2], v[1:2], v[3:4]
	v_rcp_f64_e32 v[7:8], v[5:6]
	v_fma_f64 v[10:11], -v[5:6], v[7:8], 1.0
	v_fma_f64 v[7:8], v[7:8], v[10:11], v[7:8]
	v_div_scale_f64 v[10:11], vcc, v[3:4], v[1:2], v[3:4]
	v_fma_f64 v[12:13], -v[5:6], v[7:8], 1.0
	v_fma_f64 v[7:8], v[7:8], v[12:13], v[7:8]
	v_mul_f64 v[12:13], v[10:11], v[7:8]
	v_fma_f64 v[5:6], -v[5:6], v[12:13], v[10:11]
	v_div_fmas_f64 v[5:6], v[5:6], v[7:8], v[12:13]
	v_div_fixup_f64 v[7:8], v[5:6], v[1:2], v[3:4]
	v_fma_f64 v[1:2], v[3:4], v[7:8], v[1:2]
	v_div_scale_f64 v[3:4], s[10:11], v[1:2], v[1:2], 1.0
	v_div_scale_f64 v[12:13], vcc, 1.0, v[1:2], 1.0
	v_rcp_f64_e32 v[5:6], v[3:4]
	v_fma_f64 v[10:11], -v[3:4], v[5:6], 1.0
	v_fma_f64 v[5:6], v[5:6], v[10:11], v[5:6]
	v_fma_f64 v[10:11], -v[3:4], v[5:6], 1.0
	v_fma_f64 v[5:6], v[5:6], v[10:11], v[5:6]
	v_mul_f64 v[10:11], v[12:13], v[5:6]
	v_fma_f64 v[3:4], -v[3:4], v[10:11], v[12:13]
	v_div_fmas_f64 v[3:4], v[3:4], v[5:6], v[10:11]
	v_div_fixup_f64 v[5:6], v[3:4], v[1:2], 1.0
	v_mul_f64 v[7:8], v[7:8], -v[5:6]
.LBB123_309:
	s_or_b64 exec, exec, s[6:7]
	ds_write2_b64 v125, v[5:6], v[7:8] offset1:1
.LBB123_310:
	s_or_b64 exec, exec, s[8:9]
	s_waitcnt lgkmcnt(0)
	s_barrier
	ds_read2_b64 v[1:4], v125 offset1:1
	v_cmp_lt_u32_e32 vcc, 23, v0
	s_waitcnt lgkmcnt(0)
	buffer_store_dword v1, off, s[0:3], 0 offset:1808 ; 4-byte Folded Spill
	s_nop 0
	buffer_store_dword v2, off, s[0:3], 0 offset:1812 ; 4-byte Folded Spill
	buffer_store_dword v3, off, s[0:3], 0 offset:1816 ; 4-byte Folded Spill
	;; [unrolled: 1-line block ×3, first 2 shown]
	s_and_saveexec_b64 s[6:7], vcc
	s_cbranch_execz .LBB123_313
; %bb.311:
	buffer_load_dword v1, off, s[0:3], 0 offset:376
	buffer_load_dword v2, off, s[0:3], 0 offset:380
	;; [unrolled: 1-line block ×4, first 2 shown]
	buffer_load_dword v10, off, s[0:3], 0 offset:1808 ; 4-byte Folded Reload
	buffer_load_dword v11, off, s[0:3], 0 offset:1812 ; 4-byte Folded Reload
	;; [unrolled: 1-line block ×4, first 2 shown]
	s_movk_i32 s8, 0x180
	s_waitcnt vmcnt(0)
	v_mul_f64 v[5:6], v[12:13], v[1:2]
	v_mul_f64 v[1:2], v[10:11], v[1:2]
	v_fma_f64 v[5:6], v[10:11], v[3:4], -v[5:6]
	v_fma_f64 v[1:2], v[12:13], v[3:4], v[1:2]
	buffer_store_dword v5, off, s[0:3], 0 offset:368
	buffer_store_dword v6, off, s[0:3], 0 offset:372
	;; [unrolled: 1-line block ×4, first 2 shown]
.LBB123_312:                            ; =>This Inner Loop Header: Depth=1
	v_add_u32_e32 v14, s8, v121
	ds_read2_b64 v[1:4], v14 offset1:1
	buffer_load_dword v5, off, s[0:3], 0 offset:368
	buffer_load_dword v6, off, s[0:3], 0 offset:372
	;; [unrolled: 1-line block ×4, first 2 shown]
	v_mov_b32_e32 v16, s8
	s_add_i32 s8, s8, 32
	s_cmpk_lg_i32 s8, 0x3e0
	s_waitcnt vmcnt(0) lgkmcnt(0)
	v_mul_f64 v[10:11], v[3:4], v[7:8]
	v_fma_f64 v[10:11], v[1:2], v[5:6], -v[10:11]
	v_mul_f64 v[1:2], v[1:2], v[7:8]
	v_fma_f64 v[1:2], v[3:4], v[5:6], v[1:2]
	buffer_load_dword v3, v16, s[0:3], 0 offen
	buffer_load_dword v4, v16, s[0:3], 0 offen offset:4
	buffer_load_dword v5, v16, s[0:3], 0 offen offset:8
	;; [unrolled: 1-line block ×7, first 2 shown]
	s_waitcnt vmcnt(6)
	v_add_f64 v[3:4], v[3:4], -v[10:11]
	s_waitcnt vmcnt(4)
	v_add_f64 v[1:2], v[5:6], -v[1:2]
	buffer_store_dword v4, v16, s[0:3], 0 offen offset:4
	buffer_store_dword v3, v16, s[0:3], 0 offen
	buffer_store_dword v2, v16, s[0:3], 0 offen offset:12
	buffer_store_dword v1, v16, s[0:3], 0 offen offset:8
	ds_read2_b64 v[1:4], v14 offset0:2 offset1:3
	buffer_load_dword v6, off, s[0:3], 0 offset:372
	buffer_load_dword v5, off, s[0:3], 0 offset:368
	;; [unrolled: 1-line block ×4, first 2 shown]
	s_waitcnt vmcnt(0) lgkmcnt(0)
	v_mul_f64 v[14:15], v[3:4], v[10:11]
	v_fma_f64 v[14:15], v[1:2], v[5:6], -v[14:15]
	v_mul_f64 v[1:2], v[1:2], v[10:11]
	v_fma_f64 v[1:2], v[3:4], v[5:6], v[1:2]
	v_add_f64 v[3:4], v[7:8], -v[14:15]
	v_add_f64 v[1:2], v[12:13], -v[1:2]
	buffer_store_dword v4, v16, s[0:3], 0 offen offset:20
	buffer_store_dword v3, v16, s[0:3], 0 offen offset:16
	;; [unrolled: 1-line block ×4, first 2 shown]
	s_cbranch_scc1 .LBB123_312
.LBB123_313:
	s_or_b64 exec, exec, s[6:7]
	v_cmp_eq_u32_e32 vcc, 24, v0
	v_add_u32_e32 v9, 0, v9
	s_waitcnt vmcnt(0)
	s_barrier
	s_and_saveexec_b64 s[8:9], vcc
	s_cbranch_execz .LBB123_324
; %bb.314:
	v_readlane_b32 s6, v126, 4
	v_mov_b32_e32 v4, s6
	buffer_load_dword v1, v4, s[0:3], 0 offen
	buffer_load_dword v2, v4, s[0:3], 0 offen offset:4
	buffer_load_dword v3, v4, s[0:3], 0 offen offset:8
	s_nop 0
	buffer_load_dword v4, v4, s[0:3], 0 offen offset:12
	s_mov_b32 s10, 0
	s_waitcnt vmcnt(0)
	ds_write2_b64 v125, v[1:2], v[3:4] offset1:1
	s_branch .LBB123_316
.LBB123_315:                            ;   in Loop: Header=BB123_316 Depth=1
	s_andn2_b64 vcc, exec, s[6:7]
	s_cbranch_vccz .LBB123_318
.LBB123_316:                            ; =>This Inner Loop Header: Depth=1
	s_add_i32 s11, s31, s10
	v_mov_b32_e32 v8, s11
	buffer_load_dword v2, v8, s[0:3], 0 offen
	buffer_load_dword v3, v8, s[0:3], 0 offen offset:4
	buffer_load_dword v4, v8, s[0:3], 0 offen offset:8
	;; [unrolled: 1-line block ×15, first 2 shown]
	v_add_u32_e32 v1, 0x190, v9
	v_add_u32_e32 v1, s10, v1
	s_mov_b64 s[6:7], -1
	s_cmpk_eq_i32 s10, 0x200
	s_waitcnt vmcnt(12)
	ds_write2_b64 v1, v[2:3], v[4:5] offset1:1
	s_waitcnt vmcnt(8)
	ds_write2_b64 v1, v[6:7], v[10:11] offset0:2 offset1:3
	s_waitcnt vmcnt(4)
	ds_write2_b64 v1, v[12:13], v[14:15] offset0:4 offset1:5
	;; [unrolled: 2-line block ×3, first 2 shown]
	buffer_load_dword v3, v8, s[0:3], 0 offen offset:76
	buffer_load_dword v2, v8, s[0:3], 0 offen offset:72
	buffer_load_dword v5, v8, s[0:3], 0 offen offset:68
	buffer_load_dword v4, v8, s[0:3], 0 offen offset:64
	s_waitcnt vmcnt(0)
	ds_write2_b64 v1, v[4:5], v[2:3] offset0:8 offset1:9
	s_cbranch_scc1 .LBB123_315
; %bb.317:                              ;   in Loop: Header=BB123_316 Depth=1
	v_mov_b32_e32 v8, s11
	buffer_load_dword v2, v8, s[0:3], 0 offen offset:80
	buffer_load_dword v3, v8, s[0:3], 0 offen offset:84
	;; [unrolled: 1-line block ×12, first 2 shown]
	s_addk_i32 s10, 0x80
	s_mov_b64 s[6:7], 0
	s_waitcnt vmcnt(8)
	ds_write2_b64 v1, v[2:3], v[4:5] offset0:10 offset1:11
	s_waitcnt vmcnt(4)
	ds_write2_b64 v1, v[6:7], v[10:11] offset0:12 offset1:13
	;; [unrolled: 2-line block ×3, first 2 shown]
	s_branch .LBB123_315
.LBB123_318:
	ds_read2_b64 v[1:4], v125 offset1:1
	s_waitcnt lgkmcnt(0)
	v_cmp_neq_f64_e32 vcc, 0, v[1:2]
	v_cmp_neq_f64_e64 s[6:7], 0, v[3:4]
	s_or_b64 s[6:7], vcc, s[6:7]
	s_and_b64 exec, exec, s[6:7]
	s_cbranch_execz .LBB123_324
; %bb.319:
	v_cmp_ngt_f64_e64 s[6:7], |v[1:2]|, |v[3:4]|
                                        ; implicit-def: $vgpr5_vgpr6
	s_and_saveexec_b64 s[10:11], s[6:7]
	s_xor_b64 s[6:7], exec, s[10:11]
                                        ; implicit-def: $vgpr7_vgpr8
	s_cbranch_execz .LBB123_321
; %bb.320:
	v_div_scale_f64 v[5:6], s[10:11], v[3:4], v[3:4], v[1:2]
	v_rcp_f64_e32 v[7:8], v[5:6]
	v_fma_f64 v[10:11], -v[5:6], v[7:8], 1.0
	v_fma_f64 v[7:8], v[7:8], v[10:11], v[7:8]
	v_div_scale_f64 v[10:11], vcc, v[1:2], v[3:4], v[1:2]
	v_fma_f64 v[12:13], -v[5:6], v[7:8], 1.0
	v_fma_f64 v[7:8], v[7:8], v[12:13], v[7:8]
	v_mul_f64 v[12:13], v[10:11], v[7:8]
	v_fma_f64 v[5:6], -v[5:6], v[12:13], v[10:11]
	v_div_fmas_f64 v[5:6], v[5:6], v[7:8], v[12:13]
	v_div_fixup_f64 v[5:6], v[5:6], v[3:4], v[1:2]
	v_fma_f64 v[1:2], v[1:2], v[5:6], v[3:4]
	v_div_scale_f64 v[3:4], s[10:11], v[1:2], v[1:2], 1.0
	v_div_scale_f64 v[12:13], vcc, 1.0, v[1:2], 1.0
	v_rcp_f64_e32 v[7:8], v[3:4]
	v_fma_f64 v[10:11], -v[3:4], v[7:8], 1.0
	v_fma_f64 v[7:8], v[7:8], v[10:11], v[7:8]
	v_fma_f64 v[10:11], -v[3:4], v[7:8], 1.0
	v_fma_f64 v[7:8], v[7:8], v[10:11], v[7:8]
	v_mul_f64 v[10:11], v[12:13], v[7:8]
	v_fma_f64 v[3:4], -v[3:4], v[10:11], v[12:13]
	v_div_fmas_f64 v[3:4], v[3:4], v[7:8], v[10:11]
	v_div_fixup_f64 v[7:8], v[3:4], v[1:2], 1.0
                                        ; implicit-def: $vgpr1_vgpr2
	v_mul_f64 v[5:6], v[5:6], v[7:8]
	v_xor_b32_e32 v8, 0x80000000, v8
.LBB123_321:
	s_andn2_saveexec_b64 s[6:7], s[6:7]
	s_cbranch_execz .LBB123_323
; %bb.322:
	v_div_scale_f64 v[5:6], s[10:11], v[1:2], v[1:2], v[3:4]
	v_rcp_f64_e32 v[7:8], v[5:6]
	v_fma_f64 v[10:11], -v[5:6], v[7:8], 1.0
	v_fma_f64 v[7:8], v[7:8], v[10:11], v[7:8]
	v_div_scale_f64 v[10:11], vcc, v[3:4], v[1:2], v[3:4]
	v_fma_f64 v[12:13], -v[5:6], v[7:8], 1.0
	v_fma_f64 v[7:8], v[7:8], v[12:13], v[7:8]
	v_mul_f64 v[12:13], v[10:11], v[7:8]
	v_fma_f64 v[5:6], -v[5:6], v[12:13], v[10:11]
	v_div_fmas_f64 v[5:6], v[5:6], v[7:8], v[12:13]
	v_div_fixup_f64 v[7:8], v[5:6], v[1:2], v[3:4]
	v_fma_f64 v[1:2], v[3:4], v[7:8], v[1:2]
	v_div_scale_f64 v[3:4], s[10:11], v[1:2], v[1:2], 1.0
	v_div_scale_f64 v[12:13], vcc, 1.0, v[1:2], 1.0
	v_rcp_f64_e32 v[5:6], v[3:4]
	v_fma_f64 v[10:11], -v[3:4], v[5:6], 1.0
	v_fma_f64 v[5:6], v[5:6], v[10:11], v[5:6]
	v_fma_f64 v[10:11], -v[3:4], v[5:6], 1.0
	v_fma_f64 v[5:6], v[5:6], v[10:11], v[5:6]
	v_mul_f64 v[10:11], v[12:13], v[5:6]
	v_fma_f64 v[3:4], -v[3:4], v[10:11], v[12:13]
	v_div_fmas_f64 v[3:4], v[3:4], v[5:6], v[10:11]
	v_div_fixup_f64 v[5:6], v[3:4], v[1:2], 1.0
	v_mul_f64 v[7:8], v[7:8], -v[5:6]
.LBB123_323:
	s_or_b64 exec, exec, s[6:7]
	ds_write2_b64 v125, v[5:6], v[7:8] offset1:1
.LBB123_324:
	s_or_b64 exec, exec, s[8:9]
	s_waitcnt lgkmcnt(0)
	s_barrier
	ds_read2_b64 v[18:21], v125 offset1:1
	v_cmp_lt_u32_e32 vcc, 24, v0
	s_and_saveexec_b64 s[6:7], vcc
	s_cbranch_execz .LBB123_329
; %bb.325:
	buffer_load_dword v1, off, s[0:3], 0 offset:392
	buffer_load_dword v2, off, s[0:3], 0 offset:396
	buffer_load_dword v3, off, s[0:3], 0 offset:384
	buffer_load_dword v4, off, s[0:3], 0 offset:388
	s_movk_i32 s10, 0x190
	s_waitcnt vmcnt(2) lgkmcnt(0)
	v_mul_f64 v[5:6], v[20:21], v[1:2]
	v_mul_f64 v[7:8], v[18:19], v[1:2]
	s_waitcnt vmcnt(0)
	v_fma_f64 v[1:2], v[18:19], v[3:4], -v[5:6]
	v_fma_f64 v[3:4], v[20:21], v[3:4], v[7:8]
	buffer_store_dword v1, off, s[0:3], 0 offset:384
	buffer_store_dword v2, off, s[0:3], 0 offset:388
	;; [unrolled: 1-line block ×4, first 2 shown]
	s_branch .LBB123_327
.LBB123_326:                            ;   in Loop: Header=BB123_327 Depth=1
	s_andn2_b64 vcc, exec, s[8:9]
	s_cbranch_vccz .LBB123_329
.LBB123_327:                            ; =>This Inner Loop Header: Depth=1
	v_add_u32_e32 v5, s10, v121
	ds_read2_b64 v[10:13], v5 offset1:1
	v_mov_b32_e32 v8, s10
	s_mov_b32 s11, s10
	s_mov_b64 s[8:9], -1
	s_cmpk_eq_i32 s10, 0x3d0
	s_waitcnt vmcnt(0) lgkmcnt(0)
	v_mul_f64 v[6:7], v[12:13], v[3:4]
	v_mul_f64 v[3:4], v[10:11], v[3:4]
	v_fma_f64 v[6:7], v[10:11], v[1:2], -v[6:7]
	v_fma_f64 v[1:2], v[12:13], v[1:2], v[3:4]
	buffer_load_dword v3, v8, s[0:3], 0 offen
	buffer_load_dword v4, v8, s[0:3], 0 offen offset:4
	buffer_load_dword v10, v8, s[0:3], 0 offen offset:8
	;; [unrolled: 1-line block ×3, first 2 shown]
	s_waitcnt vmcnt(2)
	v_add_f64 v[3:4], v[3:4], -v[6:7]
	s_waitcnt vmcnt(0)
	v_add_f64 v[1:2], v[10:11], -v[1:2]
	buffer_store_dword v3, v8, s[0:3], 0 offen
	buffer_store_dword v4, v8, s[0:3], 0 offen offset:4
	buffer_store_dword v1, v8, s[0:3], 0 offen offset:8
	;; [unrolled: 1-line block ×3, first 2 shown]
                                        ; implicit-def: $vgpr1_vgpr2
                                        ; implicit-def: $vgpr3_vgpr4
	s_cbranch_scc1 .LBB123_326
; %bb.328:                              ;   in Loop: Header=BB123_327 Depth=1
	buffer_load_dword v6, off, s[0:3], 0 offset:392
	buffer_load_dword v7, off, s[0:3], 0 offset:396
	;; [unrolled: 1-line block ×4, first 2 shown]
	v_mov_b32_e32 v8, s11
	buffer_load_dword v12, v8, s[0:3], 0 offen offset:16
	buffer_load_dword v13, v8, s[0:3], 0 offen offset:20
	;; [unrolled: 1-line block ×4, first 2 shown]
	ds_read2_b64 v[1:4], v5 offset0:2 offset1:3
	s_add_i32 s10, s10, 64
	s_mov_b64 s[8:9], 0
	s_waitcnt vmcnt(6) lgkmcnt(0)
	v_mul_f64 v[16:17], v[3:4], v[6:7]
	v_mul_f64 v[6:7], v[1:2], v[6:7]
	s_waitcnt vmcnt(4)
	v_fma_f64 v[1:2], v[1:2], v[10:11], -v[16:17]
	v_fma_f64 v[3:4], v[3:4], v[10:11], v[6:7]
	s_waitcnt vmcnt(2)
	v_add_f64 v[1:2], v[12:13], -v[1:2]
	s_waitcnt vmcnt(0)
	v_add_f64 v[3:4], v[14:15], -v[3:4]
	buffer_store_dword v2, v8, s[0:3], 0 offen offset:20
	buffer_store_dword v1, v8, s[0:3], 0 offen offset:16
	;; [unrolled: 1-line block ×4, first 2 shown]
	buffer_load_dword v7, off, s[0:3], 0 offset:396
	buffer_load_dword v6, off, s[0:3], 0 offset:392
	;; [unrolled: 1-line block ×4, first 2 shown]
	buffer_load_dword v13, v8, s[0:3], 0 offen offset:36
	buffer_load_dword v12, v8, s[0:3], 0 offen offset:32
	;; [unrolled: 1-line block ×4, first 2 shown]
	ds_read2_b64 v[1:4], v5 offset0:4 offset1:5
	s_waitcnt vmcnt(6) lgkmcnt(0)
	v_mul_f64 v[16:17], v[3:4], v[6:7]
	v_mul_f64 v[6:7], v[1:2], v[6:7]
	s_waitcnt vmcnt(4)
	v_fma_f64 v[1:2], v[1:2], v[10:11], -v[16:17]
	v_fma_f64 v[3:4], v[3:4], v[10:11], v[6:7]
	s_waitcnt vmcnt(2)
	v_add_f64 v[1:2], v[12:13], -v[1:2]
	s_waitcnt vmcnt(0)
	v_add_f64 v[3:4], v[14:15], -v[3:4]
	buffer_store_dword v2, v8, s[0:3], 0 offen offset:36
	buffer_store_dword v1, v8, s[0:3], 0 offen offset:32
	;; [unrolled: 1-line block ×4, first 2 shown]
	buffer_load_dword v6, off, s[0:3], 0 offset:392
	buffer_load_dword v7, off, s[0:3], 0 offset:396
	;; [unrolled: 1-line block ×4, first 2 shown]
	buffer_load_dword v13, v8, s[0:3], 0 offen offset:52
	buffer_load_dword v12, v8, s[0:3], 0 offen offset:48
	;; [unrolled: 1-line block ×4, first 2 shown]
	ds_read2_b64 v[1:4], v5 offset0:6 offset1:7
	s_waitcnt vmcnt(6) lgkmcnt(0)
	v_mul_f64 v[16:17], v[3:4], v[6:7]
	v_mul_f64 v[5:6], v[1:2], v[6:7]
	s_waitcnt vmcnt(4)
	v_fma_f64 v[1:2], v[1:2], v[10:11], -v[16:17]
	v_fma_f64 v[3:4], v[3:4], v[10:11], v[5:6]
	s_waitcnt vmcnt(2)
	v_add_f64 v[1:2], v[12:13], -v[1:2]
	s_waitcnt vmcnt(0)
	v_add_f64 v[3:4], v[14:15], -v[3:4]
	buffer_store_dword v2, v8, s[0:3], 0 offen offset:52
	buffer_store_dword v1, v8, s[0:3], 0 offen offset:48
	;; [unrolled: 1-line block ×4, first 2 shown]
	buffer_load_dword v1, off, s[0:3], 0 offset:384
	s_nop 0
	buffer_load_dword v2, off, s[0:3], 0 offset:388
	buffer_load_dword v3, off, s[0:3], 0 offset:392
	;; [unrolled: 1-line block ×3, first 2 shown]
	s_branch .LBB123_326
.LBB123_329:
	s_or_b64 exec, exec, s[6:7]
	v_cmp_eq_u32_e32 vcc, 25, v0
	s_waitcnt vmcnt(0) lgkmcnt(0)
	s_barrier
	s_and_saveexec_b64 s[8:9], vcc
	s_cbranch_execz .LBB123_336
; %bb.330:
	v_mov_b32_e32 v4, s31
	buffer_load_dword v1, v4, s[0:3], 0 offen
	buffer_load_dword v2, v4, s[0:3], 0 offen offset:4
	buffer_load_dword v3, v4, s[0:3], 0 offen offset:8
	s_nop 0
	buffer_load_dword v4, v4, s[0:3], 0 offen offset:12
	v_readlane_b32 s6, v126, 5
	s_waitcnt vmcnt(0)
	ds_write2_b64 v125, v[1:2], v[3:4] offset1:1
	v_mov_b32_e32 v4, s6
	buffer_load_dword v1, v4, s[0:3], 0 offen
	buffer_load_dword v2, v4, s[0:3], 0 offen offset:4
	buffer_load_dword v3, v4, s[0:3], 0 offen offset:8
	s_nop 0
	buffer_load_dword v4, v4, s[0:3], 0 offen offset:12
	v_readlane_b32 s6, v126, 6
	s_waitcnt vmcnt(0)
	ds_write2_b64 v121, v[1:2], v[3:4] offset0:52 offset1:53
	v_mov_b32_e32 v4, s6
	buffer_load_dword v1, v4, s[0:3], 0 offen
	buffer_load_dword v2, v4, s[0:3], 0 offen offset:4
	buffer_load_dword v3, v4, s[0:3], 0 offen offset:8
	s_nop 0
	buffer_load_dword v4, v4, s[0:3], 0 offen offset:12
	v_readlane_b32 s6, v126, 7
	s_waitcnt vmcnt(0)
	ds_write2_b64 v121, v[1:2], v[3:4] offset0:54 offset1:55
	;; [unrolled: 9-line block ×3, first 2 shown]
	v_mov_b32_e32 v4, s76
	buffer_load_dword v1, v4, s[0:3], 0 offen
	buffer_load_dword v2, v4, s[0:3], 0 offen offset:4
	buffer_load_dword v3, v4, s[0:3], 0 offen offset:8
	s_nop 0
	buffer_load_dword v4, v4, s[0:3], 0 offen offset:12
	s_waitcnt vmcnt(0)
	ds_write2_b64 v121, v[1:2], v[3:4] offset0:58 offset1:59
	v_mov_b32_e32 v4, s71
	buffer_load_dword v1, v4, s[0:3], 0 offen
	buffer_load_dword v2, v4, s[0:3], 0 offen offset:4
	buffer_load_dword v3, v4, s[0:3], 0 offen offset:8
	s_nop 0
	buffer_load_dword v4, v4, s[0:3], 0 offen offset:12
	s_waitcnt vmcnt(0)
	ds_write2_b64 v121, v[1:2], v[3:4] offset0:60 offset1:61
	v_mov_b32_e32 v4, s6
	buffer_load_dword v1, v4, s[0:3], 0 offen
	buffer_load_dword v2, v4, s[0:3], 0 offen offset:4
	buffer_load_dword v3, v4, s[0:3], 0 offen offset:8
	s_nop 0
	buffer_load_dword v4, v4, s[0:3], 0 offen offset:12
	v_readlane_b32 s6, v126, 9
	s_waitcnt vmcnt(0)
	ds_write2_b64 v121, v[1:2], v[3:4] offset0:62 offset1:63
	v_mov_b32_e32 v4, s95
	buffer_load_dword v1, v4, s[0:3], 0 offen
	buffer_load_dword v2, v4, s[0:3], 0 offen offset:4
	buffer_load_dword v3, v4, s[0:3], 0 offen offset:8
	s_nop 0
	buffer_load_dword v4, v4, s[0:3], 0 offen offset:12
	s_waitcnt vmcnt(0)
	ds_write2_b64 v121, v[1:2], v[3:4] offset0:64 offset1:65
	v_mov_b32_e32 v4, s6
	buffer_load_dword v1, v4, s[0:3], 0 offen
	buffer_load_dword v2, v4, s[0:3], 0 offen offset:4
	buffer_load_dword v3, v4, s[0:3], 0 offen offset:8
	s_nop 0
	buffer_load_dword v4, v4, s[0:3], 0 offen offset:12
	v_readlane_b32 s6, v126, 10
	s_waitcnt vmcnt(0)
	ds_write2_b64 v121, v[1:2], v[3:4] offset0:66 offset1:67
	v_mov_b32_e32 v4, s6
	buffer_load_dword v1, v4, s[0:3], 0 offen
	buffer_load_dword v2, v4, s[0:3], 0 offen offset:4
	buffer_load_dword v3, v4, s[0:3], 0 offen offset:8
	s_nop 0
	buffer_load_dword v4, v4, s[0:3], 0 offen offset:12
	v_readlane_b32 s6, v126, 11
	s_waitcnt vmcnt(0)
	ds_write2_b64 v121, v[1:2], v[3:4] offset0:68 offset1:69
	v_mov_b32_e32 v4, s40
	buffer_load_dword v1, v4, s[0:3], 0 offen
	buffer_load_dword v2, v4, s[0:3], 0 offen offset:4
	buffer_load_dword v3, v4, s[0:3], 0 offen offset:8
	s_nop 0
	buffer_load_dword v4, v4, s[0:3], 0 offen offset:12
	s_waitcnt vmcnt(0)
	ds_write2_b64 v121, v[1:2], v[3:4] offset0:70 offset1:71
	v_mov_b32_e32 v4, s6
	buffer_load_dword v1, v4, s[0:3], 0 offen
	buffer_load_dword v2, v4, s[0:3], 0 offen offset:4
	buffer_load_dword v3, v4, s[0:3], 0 offen offset:8
	s_nop 0
	buffer_load_dword v4, v4, s[0:3], 0 offen offset:12
	v_readlane_b32 s6, v126, 12
	s_waitcnt vmcnt(0)
	ds_write2_b64 v121, v[1:2], v[3:4] offset0:72 offset1:73
	v_mov_b32_e32 v4, s38
	buffer_load_dword v1, v4, s[0:3], 0 offen
	buffer_load_dword v2, v4, s[0:3], 0 offen offset:4
	buffer_load_dword v3, v4, s[0:3], 0 offen offset:8
	s_nop 0
	buffer_load_dword v4, v4, s[0:3], 0 offen offset:12
	;; [unrolled: 17-line block ×13, first 2 shown]
	s_waitcnt vmcnt(0)
	ds_write2_b64 v121, v[1:2], v[3:4] offset0:118 offset1:119
	v_mov_b32_e32 v4, s42
	buffer_load_dword v1, v4, s[0:3], 0 offen
	buffer_load_dword v2, v4, s[0:3], 0 offen offset:4
	buffer_load_dword v3, v4, s[0:3], 0 offen offset:8
	s_nop 0
	buffer_load_dword v4, v4, s[0:3], 0 offen offset:12
	s_waitcnt vmcnt(0)
	ds_write2_b64 v121, v[1:2], v[3:4] offset0:120 offset1:121
	v_mov_b32_e32 v4, s6
	buffer_load_dword v1, v4, s[0:3], 0 offen
	buffer_load_dword v2, v4, s[0:3], 0 offen offset:4
	buffer_load_dword v3, v4, s[0:3], 0 offen offset:8
	s_nop 0
	buffer_load_dword v4, v4, s[0:3], 0 offen offset:12
	s_waitcnt vmcnt(0)
	ds_write2_b64 v121, v[1:2], v[3:4] offset0:122 offset1:123
	ds_read2_b64 v[1:4], v125 offset1:1
	s_waitcnt lgkmcnt(0)
	v_cmp_neq_f64_e32 vcc, 0, v[1:2]
	v_cmp_neq_f64_e64 s[6:7], 0, v[3:4]
	s_or_b64 s[6:7], vcc, s[6:7]
	s_and_b64 exec, exec, s[6:7]
	s_cbranch_execz .LBB123_336
; %bb.331:
	v_cmp_ngt_f64_e64 s[6:7], |v[1:2]|, |v[3:4]|
                                        ; implicit-def: $vgpr5_vgpr6
	s_and_saveexec_b64 s[10:11], s[6:7]
	s_xor_b64 s[6:7], exec, s[10:11]
                                        ; implicit-def: $vgpr7_vgpr8
	s_cbranch_execz .LBB123_333
; %bb.332:
	v_div_scale_f64 v[5:6], s[10:11], v[3:4], v[3:4], v[1:2]
	v_rcp_f64_e32 v[7:8], v[5:6]
	v_fma_f64 v[10:11], -v[5:6], v[7:8], 1.0
	v_fma_f64 v[7:8], v[7:8], v[10:11], v[7:8]
	v_div_scale_f64 v[10:11], vcc, v[1:2], v[3:4], v[1:2]
	v_fma_f64 v[12:13], -v[5:6], v[7:8], 1.0
	v_fma_f64 v[7:8], v[7:8], v[12:13], v[7:8]
	v_mul_f64 v[12:13], v[10:11], v[7:8]
	v_fma_f64 v[5:6], -v[5:6], v[12:13], v[10:11]
	v_div_fmas_f64 v[5:6], v[5:6], v[7:8], v[12:13]
	v_div_fixup_f64 v[5:6], v[5:6], v[3:4], v[1:2]
	v_fma_f64 v[1:2], v[1:2], v[5:6], v[3:4]
	v_div_scale_f64 v[3:4], s[10:11], v[1:2], v[1:2], 1.0
	v_div_scale_f64 v[12:13], vcc, 1.0, v[1:2], 1.0
	v_rcp_f64_e32 v[7:8], v[3:4]
	v_fma_f64 v[10:11], -v[3:4], v[7:8], 1.0
	v_fma_f64 v[7:8], v[7:8], v[10:11], v[7:8]
	v_fma_f64 v[10:11], -v[3:4], v[7:8], 1.0
	v_fma_f64 v[7:8], v[7:8], v[10:11], v[7:8]
	v_mul_f64 v[10:11], v[12:13], v[7:8]
	v_fma_f64 v[3:4], -v[3:4], v[10:11], v[12:13]
	v_div_fmas_f64 v[3:4], v[3:4], v[7:8], v[10:11]
	v_div_fixup_f64 v[7:8], v[3:4], v[1:2], 1.0
                                        ; implicit-def: $vgpr1_vgpr2
	v_mul_f64 v[5:6], v[5:6], v[7:8]
	v_xor_b32_e32 v8, 0x80000000, v8
.LBB123_333:
	s_andn2_saveexec_b64 s[6:7], s[6:7]
	s_cbranch_execz .LBB123_335
; %bb.334:
	v_div_scale_f64 v[5:6], s[10:11], v[1:2], v[1:2], v[3:4]
	v_rcp_f64_e32 v[7:8], v[5:6]
	v_fma_f64 v[10:11], -v[5:6], v[7:8], 1.0
	v_fma_f64 v[7:8], v[7:8], v[10:11], v[7:8]
	v_div_scale_f64 v[10:11], vcc, v[3:4], v[1:2], v[3:4]
	v_fma_f64 v[12:13], -v[5:6], v[7:8], 1.0
	v_fma_f64 v[7:8], v[7:8], v[12:13], v[7:8]
	v_mul_f64 v[12:13], v[10:11], v[7:8]
	v_fma_f64 v[5:6], -v[5:6], v[12:13], v[10:11]
	v_div_fmas_f64 v[5:6], v[5:6], v[7:8], v[12:13]
	v_div_fixup_f64 v[7:8], v[5:6], v[1:2], v[3:4]
	v_fma_f64 v[1:2], v[3:4], v[7:8], v[1:2]
	v_div_scale_f64 v[3:4], s[10:11], v[1:2], v[1:2], 1.0
	v_div_scale_f64 v[12:13], vcc, 1.0, v[1:2], 1.0
	v_rcp_f64_e32 v[5:6], v[3:4]
	v_fma_f64 v[10:11], -v[3:4], v[5:6], 1.0
	v_fma_f64 v[5:6], v[5:6], v[10:11], v[5:6]
	v_fma_f64 v[10:11], -v[3:4], v[5:6], 1.0
	v_fma_f64 v[5:6], v[5:6], v[10:11], v[5:6]
	v_mul_f64 v[10:11], v[12:13], v[5:6]
	v_fma_f64 v[3:4], -v[3:4], v[10:11], v[12:13]
	v_div_fmas_f64 v[3:4], v[3:4], v[5:6], v[10:11]
	v_div_fixup_f64 v[5:6], v[3:4], v[1:2], 1.0
	v_mul_f64 v[7:8], v[7:8], -v[5:6]
.LBB123_335:
	s_or_b64 exec, exec, s[6:7]
	ds_write2_b64 v125, v[5:6], v[7:8] offset1:1
.LBB123_336:
	s_or_b64 exec, exec, s[8:9]
	buffer_store_dword v18, off, s[0:3], 0 offset:1992 ; 4-byte Folded Spill
	s_nop 0
	buffer_store_dword v19, off, s[0:3], 0 offset:1996 ; 4-byte Folded Spill
	buffer_store_dword v20, off, s[0:3], 0 offset:2000 ; 4-byte Folded Spill
	;; [unrolled: 1-line block ×3, first 2 shown]
	s_waitcnt vmcnt(0) lgkmcnt(0)
	s_barrier
	ds_read2_b64 v[1:4], v125 offset1:1
	v_cmp_lt_u32_e32 vcc, 25, v0
	s_waitcnt lgkmcnt(0)
	buffer_store_dword v1, off, s[0:3], 0 offset:1824 ; 4-byte Folded Spill
	s_nop 0
	buffer_store_dword v2, off, s[0:3], 0 offset:1828 ; 4-byte Folded Spill
	buffer_store_dword v3, off, s[0:3], 0 offset:1832 ; 4-byte Folded Spill
	;; [unrolled: 1-line block ×3, first 2 shown]
	s_and_saveexec_b64 s[6:7], vcc
	s_cbranch_execz .LBB123_339
; %bb.337:
	buffer_load_dword v1, off, s[0:3], 0 offset:408
	buffer_load_dword v2, off, s[0:3], 0 offset:412
	;; [unrolled: 1-line block ×4, first 2 shown]
	buffer_load_dword v10, off, s[0:3], 0 offset:1824 ; 4-byte Folded Reload
	buffer_load_dword v11, off, s[0:3], 0 offset:1828 ; 4-byte Folded Reload
	buffer_load_dword v12, off, s[0:3], 0 offset:1832 ; 4-byte Folded Reload
	buffer_load_dword v13, off, s[0:3], 0 offset:1836 ; 4-byte Folded Reload
	s_movk_i32 s8, 0x1a0
	s_waitcnt vmcnt(0)
	v_mul_f64 v[5:6], v[12:13], v[1:2]
	v_mul_f64 v[1:2], v[10:11], v[1:2]
	v_fma_f64 v[5:6], v[10:11], v[3:4], -v[5:6]
	v_fma_f64 v[1:2], v[12:13], v[3:4], v[1:2]
	buffer_store_dword v5, off, s[0:3], 0 offset:400
	buffer_store_dword v6, off, s[0:3], 0 offset:404
	buffer_store_dword v1, off, s[0:3], 0 offset:408
	buffer_store_dword v2, off, s[0:3], 0 offset:412
.LBB123_338:                            ; =>This Inner Loop Header: Depth=1
	buffer_load_dword v7, off, s[0:3], 0 offset:408
	buffer_load_dword v8, off, s[0:3], 0 offset:412
	;; [unrolled: 1-line block ×4, first 2 shown]
	v_mov_b32_e32 v1, s8
	buffer_load_dword v12, v1, s[0:3], 0 offen
	buffer_load_dword v13, v1, s[0:3], 0 offen offset:4
	buffer_load_dword v14, v1, s[0:3], 0 offen offset:8
	;; [unrolled: 1-line block ×3, first 2 shown]
	v_add_u32_e32 v2, s8, v121
	ds_read2_b64 v[3:6], v2 offset1:1
	buffer_load_dword v16, v1, s[0:3], 0 offen offset:16
	buffer_load_dword v17, v1, s[0:3], 0 offen offset:20
	;; [unrolled: 1-line block ×3, first 2 shown]
	s_addk_i32 s8, 0x60
	s_cmpk_lg_i32 s8, 0x3e0
	s_waitcnt vmcnt(9) lgkmcnt(0)
	v_mul_f64 v[19:20], v[5:6], v[7:8]
	v_mul_f64 v[7:8], v[3:4], v[7:8]
	s_waitcnt vmcnt(7)
	v_fma_f64 v[3:4], v[3:4], v[10:11], -v[19:20]
	v_fma_f64 v[5:6], v[5:6], v[10:11], v[7:8]
	s_waitcnt vmcnt(5)
	v_add_f64 v[3:4], v[12:13], -v[3:4]
	s_waitcnt vmcnt(3)
	v_add_f64 v[5:6], v[14:15], -v[5:6]
	buffer_store_dword v4, v1, s[0:3], 0 offen offset:4
	buffer_store_dword v3, v1, s[0:3], 0 offen
	buffer_store_dword v6, v1, s[0:3], 0 offen offset:12
	buffer_store_dword v5, v1, s[0:3], 0 offen offset:8
	buffer_load_dword v8, off, s[0:3], 0 offset:412
	buffer_load_dword v7, off, s[0:3], 0 offset:408
	;; [unrolled: 1-line block ×4, first 2 shown]
	buffer_load_dword v19, v1, s[0:3], 0 offen offset:28
	ds_read2_b64 v[3:6], v2 offset0:2 offset1:3
	buffer_load_dword v12, v1, s[0:3], 0 offen offset:32
	buffer_load_dword v13, v1, s[0:3], 0 offen offset:36
	;; [unrolled: 1-line block ×3, first 2 shown]
	s_waitcnt vmcnt(6) lgkmcnt(0)
	v_mul_f64 v[20:21], v[5:6], v[7:8]
	v_mul_f64 v[7:8], v[3:4], v[7:8]
	s_waitcnt vmcnt(4)
	v_fma_f64 v[3:4], v[3:4], v[10:11], -v[20:21]
	v_fma_f64 v[5:6], v[5:6], v[10:11], v[7:8]
	v_add_f64 v[3:4], v[16:17], -v[3:4]
	s_waitcnt vmcnt(3)
	v_add_f64 v[5:6], v[18:19], -v[5:6]
	buffer_store_dword v4, v1, s[0:3], 0 offen offset:20
	buffer_store_dword v3, v1, s[0:3], 0 offen offset:16
	;; [unrolled: 1-line block ×4, first 2 shown]
	buffer_load_dword v7, off, s[0:3], 0 offset:408
	buffer_load_dword v8, off, s[0:3], 0 offset:412
	;; [unrolled: 1-line block ×4, first 2 shown]
	buffer_load_dword v15, v1, s[0:3], 0 offen offset:44
	ds_read2_b64 v[3:6], v2 offset0:4 offset1:5
	buffer_load_dword v16, v1, s[0:3], 0 offen offset:48
	buffer_load_dword v17, v1, s[0:3], 0 offen offset:52
	;; [unrolled: 1-line block ×3, first 2 shown]
	s_waitcnt vmcnt(6) lgkmcnt(0)
	v_mul_f64 v[19:20], v[5:6], v[7:8]
	v_mul_f64 v[7:8], v[3:4], v[7:8]
	s_waitcnt vmcnt(4)
	v_fma_f64 v[3:4], v[3:4], v[10:11], -v[19:20]
	v_fma_f64 v[5:6], v[5:6], v[10:11], v[7:8]
	v_add_f64 v[3:4], v[12:13], -v[3:4]
	s_waitcnt vmcnt(3)
	v_add_f64 v[5:6], v[14:15], -v[5:6]
	buffer_store_dword v4, v1, s[0:3], 0 offen offset:36
	buffer_store_dword v3, v1, s[0:3], 0 offen offset:32
	;; [unrolled: 1-line block ×4, first 2 shown]
	buffer_load_dword v7, off, s[0:3], 0 offset:408
	buffer_load_dword v8, off, s[0:3], 0 offset:412
	;; [unrolled: 1-line block ×4, first 2 shown]
	buffer_load_dword v19, v1, s[0:3], 0 offen offset:60
	ds_read2_b64 v[3:6], v2 offset0:6 offset1:7
	buffer_load_dword v12, v1, s[0:3], 0 offen offset:64
	s_waitcnt vmcnt(4) lgkmcnt(0)
	v_mul_f64 v[13:14], v[5:6], v[7:8]
	v_mul_f64 v[7:8], v[3:4], v[7:8]
	s_waitcnt vmcnt(2)
	v_fma_f64 v[3:4], v[3:4], v[10:11], -v[13:14]
	v_fma_f64 v[5:6], v[5:6], v[10:11], v[7:8]
	v_add_f64 v[3:4], v[16:17], -v[3:4]
	s_waitcnt vmcnt(1)
	v_add_f64 v[5:6], v[18:19], -v[5:6]
	buffer_store_dword v4, v1, s[0:3], 0 offen offset:52
	buffer_store_dword v3, v1, s[0:3], 0 offen offset:48
	;; [unrolled: 1-line block ×4, first 2 shown]
	buffer_load_dword v7, off, s[0:3], 0 offset:408
	buffer_load_dword v8, off, s[0:3], 0 offset:412
	;; [unrolled: 1-line block ×4, first 2 shown]
	buffer_load_dword v13, v1, s[0:3], 0 offen offset:68
	buffer_load_dword v14, v1, s[0:3], 0 offen offset:72
	;; [unrolled: 1-line block ×3, first 2 shown]
	ds_read2_b64 v[3:6], v2 offset0:8 offset1:9
	s_waitcnt vmcnt(5) lgkmcnt(0)
	v_mul_f64 v[16:17], v[5:6], v[7:8]
	v_mul_f64 v[7:8], v[3:4], v[7:8]
	s_waitcnt vmcnt(3)
	v_fma_f64 v[3:4], v[3:4], v[10:11], -v[16:17]
	v_fma_f64 v[5:6], v[5:6], v[10:11], v[7:8]
	s_waitcnt vmcnt(2)
	v_add_f64 v[3:4], v[12:13], -v[3:4]
	s_waitcnt vmcnt(0)
	v_add_f64 v[5:6], v[14:15], -v[5:6]
	buffer_store_dword v4, v1, s[0:3], 0 offen offset:68
	buffer_store_dword v3, v1, s[0:3], 0 offen offset:64
	;; [unrolled: 1-line block ×4, first 2 shown]
	buffer_load_dword v6, off, s[0:3], 0 offset:408
	s_nop 0
	buffer_load_dword v7, off, s[0:3], 0 offset:412
	buffer_load_dword v10, off, s[0:3], 0 offset:400
	;; [unrolled: 1-line block ×3, first 2 shown]
	buffer_load_dword v12, v1, s[0:3], 0 offen offset:80
	buffer_load_dword v13, v1, s[0:3], 0 offen offset:84
	;; [unrolled: 1-line block ×4, first 2 shown]
	ds_read2_b64 v[2:5], v2 offset0:10 offset1:11
	s_waitcnt vmcnt(6) lgkmcnt(0)
	v_mul_f64 v[16:17], v[4:5], v[6:7]
	v_mul_f64 v[6:7], v[2:3], v[6:7]
	s_waitcnt vmcnt(4)
	v_fma_f64 v[2:3], v[2:3], v[10:11], -v[16:17]
	v_fma_f64 v[4:5], v[4:5], v[10:11], v[6:7]
	s_waitcnt vmcnt(2)
	v_add_f64 v[2:3], v[12:13], -v[2:3]
	s_waitcnt vmcnt(0)
	v_add_f64 v[4:5], v[14:15], -v[4:5]
	buffer_store_dword v3, v1, s[0:3], 0 offen offset:84
	buffer_store_dword v2, v1, s[0:3], 0 offen offset:80
	;; [unrolled: 1-line block ×4, first 2 shown]
	s_cbranch_scc1 .LBB123_338
.LBB123_339:
	s_or_b64 exec, exec, s[6:7]
	v_cmp_eq_u32_e32 vcc, 26, v0
	s_waitcnt vmcnt(0)
	s_barrier
	s_and_saveexec_b64 s[8:9], vcc
	s_cbranch_execz .LBB123_346
; %bb.340:
	v_readlane_b32 s6, v126, 5
	v_mov_b32_e32 v4, s6
	buffer_load_dword v1, v4, s[0:3], 0 offen
	buffer_load_dword v2, v4, s[0:3], 0 offen offset:4
	buffer_load_dword v3, v4, s[0:3], 0 offen offset:8
	s_nop 0
	buffer_load_dword v4, v4, s[0:3], 0 offen offset:12
	v_readlane_b32 s6, v126, 6
	s_waitcnt vmcnt(0)
	ds_write2_b64 v125, v[1:2], v[3:4] offset1:1
	v_mov_b32_e32 v4, s6
	buffer_load_dword v1, v4, s[0:3], 0 offen
	buffer_load_dword v2, v4, s[0:3], 0 offen offset:4
	buffer_load_dword v3, v4, s[0:3], 0 offen offset:8
	s_nop 0
	buffer_load_dword v4, v4, s[0:3], 0 offen offset:12
	v_readlane_b32 s6, v126, 7
	s_waitcnt vmcnt(0)
	ds_write2_b64 v121, v[1:2], v[3:4] offset0:54 offset1:55
	v_mov_b32_e32 v4, s6
	buffer_load_dword v1, v4, s[0:3], 0 offen
	buffer_load_dword v2, v4, s[0:3], 0 offen offset:4
	buffer_load_dword v3, v4, s[0:3], 0 offen offset:8
	s_nop 0
	buffer_load_dword v4, v4, s[0:3], 0 offen offset:12
	v_readlane_b32 s6, v126, 8
	s_waitcnt vmcnt(0)
	ds_write2_b64 v121, v[1:2], v[3:4] offset0:56 offset1:57
	v_mov_b32_e32 v4, s76
	buffer_load_dword v1, v4, s[0:3], 0 offen
	buffer_load_dword v2, v4, s[0:3], 0 offen offset:4
	buffer_load_dword v3, v4, s[0:3], 0 offen offset:8
	s_nop 0
	buffer_load_dword v4, v4, s[0:3], 0 offen offset:12
	s_waitcnt vmcnt(0)
	ds_write2_b64 v121, v[1:2], v[3:4] offset0:58 offset1:59
	v_mov_b32_e32 v4, s71
	buffer_load_dword v1, v4, s[0:3], 0 offen
	buffer_load_dword v2, v4, s[0:3], 0 offen offset:4
	buffer_load_dword v3, v4, s[0:3], 0 offen offset:8
	s_nop 0
	buffer_load_dword v4, v4, s[0:3], 0 offen offset:12
	s_waitcnt vmcnt(0)
	ds_write2_b64 v121, v[1:2], v[3:4] offset0:60 offset1:61
	v_mov_b32_e32 v4, s6
	buffer_load_dword v1, v4, s[0:3], 0 offen
	buffer_load_dword v2, v4, s[0:3], 0 offen offset:4
	buffer_load_dword v3, v4, s[0:3], 0 offen offset:8
	s_nop 0
	buffer_load_dword v4, v4, s[0:3], 0 offen offset:12
	v_readlane_b32 s6, v126, 9
	s_waitcnt vmcnt(0)
	ds_write2_b64 v121, v[1:2], v[3:4] offset0:62 offset1:63
	v_mov_b32_e32 v4, s95
	buffer_load_dword v1, v4, s[0:3], 0 offen
	buffer_load_dword v2, v4, s[0:3], 0 offen offset:4
	buffer_load_dword v3, v4, s[0:3], 0 offen offset:8
	s_nop 0
	buffer_load_dword v4, v4, s[0:3], 0 offen offset:12
	s_waitcnt vmcnt(0)
	ds_write2_b64 v121, v[1:2], v[3:4] offset0:64 offset1:65
	v_mov_b32_e32 v4, s6
	buffer_load_dword v1, v4, s[0:3], 0 offen
	buffer_load_dword v2, v4, s[0:3], 0 offen offset:4
	buffer_load_dword v3, v4, s[0:3], 0 offen offset:8
	s_nop 0
	buffer_load_dword v4, v4, s[0:3], 0 offen offset:12
	v_readlane_b32 s6, v126, 10
	s_waitcnt vmcnt(0)
	ds_write2_b64 v121, v[1:2], v[3:4] offset0:66 offset1:67
	v_mov_b32_e32 v4, s6
	buffer_load_dword v1, v4, s[0:3], 0 offen
	buffer_load_dword v2, v4, s[0:3], 0 offen offset:4
	buffer_load_dword v3, v4, s[0:3], 0 offen offset:8
	s_nop 0
	buffer_load_dword v4, v4, s[0:3], 0 offen offset:12
	v_readlane_b32 s6, v126, 11
	s_waitcnt vmcnt(0)
	ds_write2_b64 v121, v[1:2], v[3:4] offset0:68 offset1:69
	v_mov_b32_e32 v4, s40
	buffer_load_dword v1, v4, s[0:3], 0 offen
	buffer_load_dword v2, v4, s[0:3], 0 offen offset:4
	buffer_load_dword v3, v4, s[0:3], 0 offen offset:8
	s_nop 0
	buffer_load_dword v4, v4, s[0:3], 0 offen offset:12
	s_waitcnt vmcnt(0)
	ds_write2_b64 v121, v[1:2], v[3:4] offset0:70 offset1:71
	v_mov_b32_e32 v4, s6
	buffer_load_dword v1, v4, s[0:3], 0 offen
	buffer_load_dword v2, v4, s[0:3], 0 offen offset:4
	buffer_load_dword v3, v4, s[0:3], 0 offen offset:8
	s_nop 0
	buffer_load_dword v4, v4, s[0:3], 0 offen offset:12
	v_readlane_b32 s6, v126, 12
	s_waitcnt vmcnt(0)
	ds_write2_b64 v121, v[1:2], v[3:4] offset0:72 offset1:73
	v_mov_b32_e32 v4, s38
	buffer_load_dword v1, v4, s[0:3], 0 offen
	buffer_load_dword v2, v4, s[0:3], 0 offen offset:4
	buffer_load_dword v3, v4, s[0:3], 0 offen offset:8
	s_nop 0
	buffer_load_dword v4, v4, s[0:3], 0 offen offset:12
	;; [unrolled: 17-line block ×13, first 2 shown]
	s_waitcnt vmcnt(0)
	ds_write2_b64 v121, v[1:2], v[3:4] offset0:118 offset1:119
	v_mov_b32_e32 v4, s42
	buffer_load_dword v1, v4, s[0:3], 0 offen
	buffer_load_dword v2, v4, s[0:3], 0 offen offset:4
	buffer_load_dword v3, v4, s[0:3], 0 offen offset:8
	s_nop 0
	buffer_load_dword v4, v4, s[0:3], 0 offen offset:12
	s_waitcnt vmcnt(0)
	ds_write2_b64 v121, v[1:2], v[3:4] offset0:120 offset1:121
	v_mov_b32_e32 v4, s6
	buffer_load_dword v1, v4, s[0:3], 0 offen
	buffer_load_dword v2, v4, s[0:3], 0 offen offset:4
	buffer_load_dword v3, v4, s[0:3], 0 offen offset:8
	s_nop 0
	buffer_load_dword v4, v4, s[0:3], 0 offen offset:12
	s_waitcnt vmcnt(0)
	ds_write2_b64 v121, v[1:2], v[3:4] offset0:122 offset1:123
	ds_read2_b64 v[1:4], v125 offset1:1
	s_waitcnt lgkmcnt(0)
	v_cmp_neq_f64_e32 vcc, 0, v[1:2]
	v_cmp_neq_f64_e64 s[6:7], 0, v[3:4]
	s_or_b64 s[6:7], vcc, s[6:7]
	s_and_b64 exec, exec, s[6:7]
	s_cbranch_execz .LBB123_346
; %bb.341:
	v_cmp_ngt_f64_e64 s[6:7], |v[1:2]|, |v[3:4]|
                                        ; implicit-def: $vgpr5_vgpr6
	s_and_saveexec_b64 s[10:11], s[6:7]
	s_xor_b64 s[6:7], exec, s[10:11]
                                        ; implicit-def: $vgpr7_vgpr8
	s_cbranch_execz .LBB123_343
; %bb.342:
	v_div_scale_f64 v[5:6], s[10:11], v[3:4], v[3:4], v[1:2]
	v_rcp_f64_e32 v[7:8], v[5:6]
	v_fma_f64 v[10:11], -v[5:6], v[7:8], 1.0
	v_fma_f64 v[7:8], v[7:8], v[10:11], v[7:8]
	v_div_scale_f64 v[10:11], vcc, v[1:2], v[3:4], v[1:2]
	v_fma_f64 v[12:13], -v[5:6], v[7:8], 1.0
	v_fma_f64 v[7:8], v[7:8], v[12:13], v[7:8]
	v_mul_f64 v[12:13], v[10:11], v[7:8]
	v_fma_f64 v[5:6], -v[5:6], v[12:13], v[10:11]
	v_div_fmas_f64 v[5:6], v[5:6], v[7:8], v[12:13]
	v_div_fixup_f64 v[5:6], v[5:6], v[3:4], v[1:2]
	v_fma_f64 v[1:2], v[1:2], v[5:6], v[3:4]
	v_div_scale_f64 v[3:4], s[10:11], v[1:2], v[1:2], 1.0
	v_div_scale_f64 v[12:13], vcc, 1.0, v[1:2], 1.0
	v_rcp_f64_e32 v[7:8], v[3:4]
	v_fma_f64 v[10:11], -v[3:4], v[7:8], 1.0
	v_fma_f64 v[7:8], v[7:8], v[10:11], v[7:8]
	v_fma_f64 v[10:11], -v[3:4], v[7:8], 1.0
	v_fma_f64 v[7:8], v[7:8], v[10:11], v[7:8]
	v_mul_f64 v[10:11], v[12:13], v[7:8]
	v_fma_f64 v[3:4], -v[3:4], v[10:11], v[12:13]
	v_div_fmas_f64 v[3:4], v[3:4], v[7:8], v[10:11]
	v_div_fixup_f64 v[7:8], v[3:4], v[1:2], 1.0
                                        ; implicit-def: $vgpr1_vgpr2
	v_mul_f64 v[5:6], v[5:6], v[7:8]
	v_xor_b32_e32 v8, 0x80000000, v8
.LBB123_343:
	s_andn2_saveexec_b64 s[6:7], s[6:7]
	s_cbranch_execz .LBB123_345
; %bb.344:
	v_div_scale_f64 v[5:6], s[10:11], v[1:2], v[1:2], v[3:4]
	v_rcp_f64_e32 v[7:8], v[5:6]
	v_fma_f64 v[10:11], -v[5:6], v[7:8], 1.0
	v_fma_f64 v[7:8], v[7:8], v[10:11], v[7:8]
	v_div_scale_f64 v[10:11], vcc, v[3:4], v[1:2], v[3:4]
	v_fma_f64 v[12:13], -v[5:6], v[7:8], 1.0
	v_fma_f64 v[7:8], v[7:8], v[12:13], v[7:8]
	v_mul_f64 v[12:13], v[10:11], v[7:8]
	v_fma_f64 v[5:6], -v[5:6], v[12:13], v[10:11]
	v_div_fmas_f64 v[5:6], v[5:6], v[7:8], v[12:13]
	v_div_fixup_f64 v[7:8], v[5:6], v[1:2], v[3:4]
	v_fma_f64 v[1:2], v[3:4], v[7:8], v[1:2]
	v_div_scale_f64 v[3:4], s[10:11], v[1:2], v[1:2], 1.0
	v_div_scale_f64 v[12:13], vcc, 1.0, v[1:2], 1.0
	v_rcp_f64_e32 v[5:6], v[3:4]
	v_fma_f64 v[10:11], -v[3:4], v[5:6], 1.0
	v_fma_f64 v[5:6], v[5:6], v[10:11], v[5:6]
	v_fma_f64 v[10:11], -v[3:4], v[5:6], 1.0
	v_fma_f64 v[5:6], v[5:6], v[10:11], v[5:6]
	v_mul_f64 v[10:11], v[12:13], v[5:6]
	v_fma_f64 v[3:4], -v[3:4], v[10:11], v[12:13]
	v_div_fmas_f64 v[3:4], v[3:4], v[5:6], v[10:11]
	v_div_fixup_f64 v[5:6], v[3:4], v[1:2], 1.0
	v_mul_f64 v[7:8], v[7:8], -v[5:6]
.LBB123_345:
	s_or_b64 exec, exec, s[6:7]
	ds_write2_b64 v125, v[5:6], v[7:8] offset1:1
.LBB123_346:
	s_or_b64 exec, exec, s[8:9]
	s_waitcnt lgkmcnt(0)
	s_barrier
	ds_read2_b64 v[1:4], v125 offset1:1
	v_cmp_lt_u32_e32 vcc, 26, v0
	s_waitcnt lgkmcnt(0)
	buffer_store_dword v1, off, s[0:3], 0 offset:1840 ; 4-byte Folded Spill
	s_nop 0
	buffer_store_dword v2, off, s[0:3], 0 offset:1844 ; 4-byte Folded Spill
	buffer_store_dword v3, off, s[0:3], 0 offset:1848 ; 4-byte Folded Spill
	;; [unrolled: 1-line block ×3, first 2 shown]
	s_and_saveexec_b64 s[6:7], vcc
	s_cbranch_execz .LBB123_349
; %bb.347:
	buffer_load_dword v1, off, s[0:3], 0 offset:424
	buffer_load_dword v2, off, s[0:3], 0 offset:428
	;; [unrolled: 1-line block ×4, first 2 shown]
	buffer_load_dword v10, off, s[0:3], 0 offset:1840 ; 4-byte Folded Reload
	buffer_load_dword v11, off, s[0:3], 0 offset:1844 ; 4-byte Folded Reload
	;; [unrolled: 1-line block ×4, first 2 shown]
	s_movk_i32 s8, 0x1b0
	s_waitcnt vmcnt(0)
	v_mul_f64 v[5:6], v[12:13], v[1:2]
	v_mul_f64 v[1:2], v[10:11], v[1:2]
	v_fma_f64 v[5:6], v[10:11], v[3:4], -v[5:6]
	v_fma_f64 v[1:2], v[12:13], v[3:4], v[1:2]
	buffer_store_dword v5, off, s[0:3], 0 offset:416
	buffer_store_dword v6, off, s[0:3], 0 offset:420
	;; [unrolled: 1-line block ×4, first 2 shown]
.LBB123_348:                            ; =>This Inner Loop Header: Depth=1
	buffer_load_dword v7, off, s[0:3], 0 offset:424
	buffer_load_dword v8, off, s[0:3], 0 offset:428
	;; [unrolled: 1-line block ×4, first 2 shown]
	v_mov_b32_e32 v1, s8
	buffer_load_dword v12, v1, s[0:3], 0 offen
	buffer_load_dword v13, v1, s[0:3], 0 offen offset:4
	buffer_load_dword v14, v1, s[0:3], 0 offen offset:8
	;; [unrolled: 1-line block ×3, first 2 shown]
	v_add_u32_e32 v2, s8, v121
	ds_read2_b64 v[3:6], v2 offset1:1
	buffer_load_dword v16, v1, s[0:3], 0 offen offset:16
	buffer_load_dword v17, v1, s[0:3], 0 offen offset:20
	;; [unrolled: 1-line block ×3, first 2 shown]
	s_addk_i32 s8, 0x70
	s_cmpk_lg_i32 s8, 0x3e0
	s_waitcnt vmcnt(9) lgkmcnt(0)
	v_mul_f64 v[19:20], v[5:6], v[7:8]
	v_mul_f64 v[7:8], v[3:4], v[7:8]
	s_waitcnt vmcnt(7)
	v_fma_f64 v[3:4], v[3:4], v[10:11], -v[19:20]
	v_fma_f64 v[5:6], v[5:6], v[10:11], v[7:8]
	s_waitcnt vmcnt(5)
	v_add_f64 v[3:4], v[12:13], -v[3:4]
	s_waitcnt vmcnt(3)
	v_add_f64 v[5:6], v[14:15], -v[5:6]
	buffer_store_dword v4, v1, s[0:3], 0 offen offset:4
	buffer_store_dword v3, v1, s[0:3], 0 offen
	buffer_store_dword v6, v1, s[0:3], 0 offen offset:12
	buffer_store_dword v5, v1, s[0:3], 0 offen offset:8
	buffer_load_dword v8, off, s[0:3], 0 offset:428
	buffer_load_dword v7, off, s[0:3], 0 offset:424
	buffer_load_dword v11, off, s[0:3], 0 offset:420
	buffer_load_dword v10, off, s[0:3], 0 offset:416
	buffer_load_dword v19, v1, s[0:3], 0 offen offset:28
	ds_read2_b64 v[3:6], v2 offset0:2 offset1:3
	buffer_load_dword v12, v1, s[0:3], 0 offen offset:32
	buffer_load_dword v13, v1, s[0:3], 0 offen offset:36
	buffer_load_dword v14, v1, s[0:3], 0 offen offset:40
	s_waitcnt vmcnt(6) lgkmcnt(0)
	v_mul_f64 v[20:21], v[5:6], v[7:8]
	v_mul_f64 v[7:8], v[3:4], v[7:8]
	s_waitcnt vmcnt(4)
	v_fma_f64 v[3:4], v[3:4], v[10:11], -v[20:21]
	v_fma_f64 v[5:6], v[5:6], v[10:11], v[7:8]
	v_add_f64 v[3:4], v[16:17], -v[3:4]
	s_waitcnt vmcnt(3)
	v_add_f64 v[5:6], v[18:19], -v[5:6]
	buffer_store_dword v4, v1, s[0:3], 0 offen offset:20
	buffer_store_dword v3, v1, s[0:3], 0 offen offset:16
	buffer_store_dword v6, v1, s[0:3], 0 offen offset:28
	buffer_store_dword v5, v1, s[0:3], 0 offen offset:24
	buffer_load_dword v7, off, s[0:3], 0 offset:424
	buffer_load_dword v8, off, s[0:3], 0 offset:428
	buffer_load_dword v10, off, s[0:3], 0 offset:416
	buffer_load_dword v11, off, s[0:3], 0 offset:420
	buffer_load_dword v15, v1, s[0:3], 0 offen offset:44
	ds_read2_b64 v[3:6], v2 offset0:4 offset1:5
	buffer_load_dword v16, v1, s[0:3], 0 offen offset:48
	buffer_load_dword v17, v1, s[0:3], 0 offen offset:52
	buffer_load_dword v18, v1, s[0:3], 0 offen offset:56
	s_waitcnt vmcnt(6) lgkmcnt(0)
	v_mul_f64 v[19:20], v[5:6], v[7:8]
	v_mul_f64 v[7:8], v[3:4], v[7:8]
	s_waitcnt vmcnt(4)
	v_fma_f64 v[3:4], v[3:4], v[10:11], -v[19:20]
	v_fma_f64 v[5:6], v[5:6], v[10:11], v[7:8]
	v_add_f64 v[3:4], v[12:13], -v[3:4]
	s_waitcnt vmcnt(3)
	v_add_f64 v[5:6], v[14:15], -v[5:6]
	buffer_store_dword v4, v1, s[0:3], 0 offen offset:36
	buffer_store_dword v3, v1, s[0:3], 0 offen offset:32
	;; [unrolled: 22-line block ×3, first 2 shown]
	buffer_store_dword v6, v1, s[0:3], 0 offen offset:60
	buffer_store_dword v5, v1, s[0:3], 0 offen offset:56
	buffer_load_dword v7, off, s[0:3], 0 offset:424
	buffer_load_dword v8, off, s[0:3], 0 offset:428
	;; [unrolled: 1-line block ×4, first 2 shown]
	buffer_load_dword v15, v1, s[0:3], 0 offen offset:76
	ds_read2_b64 v[3:6], v2 offset0:8 offset1:9
	buffer_load_dword v16, v1, s[0:3], 0 offen offset:80
	s_waitcnt vmcnt(4) lgkmcnt(0)
	v_mul_f64 v[17:18], v[5:6], v[7:8]
	v_mul_f64 v[7:8], v[3:4], v[7:8]
	s_waitcnt vmcnt(2)
	v_fma_f64 v[3:4], v[3:4], v[10:11], -v[17:18]
	v_fma_f64 v[5:6], v[5:6], v[10:11], v[7:8]
	v_add_f64 v[3:4], v[12:13], -v[3:4]
	s_waitcnt vmcnt(1)
	v_add_f64 v[5:6], v[14:15], -v[5:6]
	buffer_store_dword v4, v1, s[0:3], 0 offen offset:68
	buffer_store_dword v3, v1, s[0:3], 0 offen offset:64
	;; [unrolled: 1-line block ×4, first 2 shown]
	buffer_load_dword v7, off, s[0:3], 0 offset:424
	buffer_load_dword v8, off, s[0:3], 0 offset:428
	;; [unrolled: 1-line block ×4, first 2 shown]
	buffer_load_dword v17, v1, s[0:3], 0 offen offset:84
	buffer_load_dword v12, v1, s[0:3], 0 offen offset:88
	;; [unrolled: 1-line block ×3, first 2 shown]
	ds_read2_b64 v[3:6], v2 offset0:10 offset1:11
	s_waitcnt vmcnt(5) lgkmcnt(0)
	v_mul_f64 v[14:15], v[5:6], v[7:8]
	v_mul_f64 v[7:8], v[3:4], v[7:8]
	s_waitcnt vmcnt(3)
	v_fma_f64 v[3:4], v[3:4], v[10:11], -v[14:15]
	v_fma_f64 v[5:6], v[5:6], v[10:11], v[7:8]
	s_waitcnt vmcnt(2)
	v_add_f64 v[3:4], v[16:17], -v[3:4]
	s_waitcnt vmcnt(0)
	v_add_f64 v[5:6], v[12:13], -v[5:6]
	buffer_store_dword v4, v1, s[0:3], 0 offen offset:84
	buffer_store_dword v3, v1, s[0:3], 0 offen offset:80
	;; [unrolled: 1-line block ×4, first 2 shown]
	buffer_load_dword v6, off, s[0:3], 0 offset:424
	s_nop 0
	buffer_load_dword v7, off, s[0:3], 0 offset:428
	buffer_load_dword v10, off, s[0:3], 0 offset:416
	;; [unrolled: 1-line block ×3, first 2 shown]
	buffer_load_dword v12, v1, s[0:3], 0 offen offset:96
	buffer_load_dword v13, v1, s[0:3], 0 offen offset:100
	;; [unrolled: 1-line block ×4, first 2 shown]
	ds_read2_b64 v[2:5], v2 offset0:12 offset1:13
	s_waitcnt vmcnt(6) lgkmcnt(0)
	v_mul_f64 v[16:17], v[4:5], v[6:7]
	v_mul_f64 v[6:7], v[2:3], v[6:7]
	s_waitcnt vmcnt(4)
	v_fma_f64 v[2:3], v[2:3], v[10:11], -v[16:17]
	v_fma_f64 v[4:5], v[4:5], v[10:11], v[6:7]
	s_waitcnt vmcnt(2)
	v_add_f64 v[2:3], v[12:13], -v[2:3]
	s_waitcnt vmcnt(0)
	v_add_f64 v[4:5], v[14:15], -v[4:5]
	buffer_store_dword v3, v1, s[0:3], 0 offen offset:100
	buffer_store_dword v2, v1, s[0:3], 0 offen offset:96
	;; [unrolled: 1-line block ×4, first 2 shown]
	s_cbranch_scc1 .LBB123_348
.LBB123_349:
	s_or_b64 exec, exec, s[6:7]
	v_cmp_eq_u32_e32 vcc, 27, v0
	s_waitcnt vmcnt(0)
	s_barrier
	s_and_saveexec_b64 s[8:9], vcc
	s_cbranch_execz .LBB123_356
; %bb.350:
	v_readlane_b32 s6, v126, 6
	v_mov_b32_e32 v4, s6
	buffer_load_dword v1, v4, s[0:3], 0 offen
	buffer_load_dword v2, v4, s[0:3], 0 offen offset:4
	buffer_load_dword v3, v4, s[0:3], 0 offen offset:8
	s_nop 0
	buffer_load_dword v4, v4, s[0:3], 0 offen offset:12
	v_readlane_b32 s6, v126, 7
	s_waitcnt vmcnt(0)
	ds_write2_b64 v125, v[1:2], v[3:4] offset1:1
	v_mov_b32_e32 v4, s6
	buffer_load_dword v1, v4, s[0:3], 0 offen
	buffer_load_dword v2, v4, s[0:3], 0 offen offset:4
	buffer_load_dword v3, v4, s[0:3], 0 offen offset:8
	s_nop 0
	buffer_load_dword v4, v4, s[0:3], 0 offen offset:12
	v_readlane_b32 s6, v126, 8
	s_waitcnt vmcnt(0)
	ds_write2_b64 v121, v[1:2], v[3:4] offset0:56 offset1:57
	v_mov_b32_e32 v4, s76
	buffer_load_dword v1, v4, s[0:3], 0 offen
	buffer_load_dword v2, v4, s[0:3], 0 offen offset:4
	buffer_load_dword v3, v4, s[0:3], 0 offen offset:8
	s_nop 0
	buffer_load_dword v4, v4, s[0:3], 0 offen offset:12
	s_waitcnt vmcnt(0)
	ds_write2_b64 v121, v[1:2], v[3:4] offset0:58 offset1:59
	v_mov_b32_e32 v4, s71
	buffer_load_dword v1, v4, s[0:3], 0 offen
	buffer_load_dword v2, v4, s[0:3], 0 offen offset:4
	buffer_load_dword v3, v4, s[0:3], 0 offen offset:8
	s_nop 0
	buffer_load_dword v4, v4, s[0:3], 0 offen offset:12
	;; [unrolled: 8-line block ×3, first 2 shown]
	v_readlane_b32 s6, v126, 9
	s_waitcnt vmcnt(0)
	ds_write2_b64 v121, v[1:2], v[3:4] offset0:62 offset1:63
	v_mov_b32_e32 v4, s95
	buffer_load_dword v1, v4, s[0:3], 0 offen
	buffer_load_dword v2, v4, s[0:3], 0 offen offset:4
	buffer_load_dword v3, v4, s[0:3], 0 offen offset:8
	s_nop 0
	buffer_load_dword v4, v4, s[0:3], 0 offen offset:12
	s_waitcnt vmcnt(0)
	ds_write2_b64 v121, v[1:2], v[3:4] offset0:64 offset1:65
	v_mov_b32_e32 v4, s6
	buffer_load_dword v1, v4, s[0:3], 0 offen
	buffer_load_dword v2, v4, s[0:3], 0 offen offset:4
	buffer_load_dword v3, v4, s[0:3], 0 offen offset:8
	s_nop 0
	buffer_load_dword v4, v4, s[0:3], 0 offen offset:12
	v_readlane_b32 s6, v126, 10
	s_waitcnt vmcnt(0)
	ds_write2_b64 v121, v[1:2], v[3:4] offset0:66 offset1:67
	v_mov_b32_e32 v4, s6
	buffer_load_dword v1, v4, s[0:3], 0 offen
	buffer_load_dword v2, v4, s[0:3], 0 offen offset:4
	buffer_load_dword v3, v4, s[0:3], 0 offen offset:8
	s_nop 0
	buffer_load_dword v4, v4, s[0:3], 0 offen offset:12
	v_readlane_b32 s6, v126, 11
	s_waitcnt vmcnt(0)
	ds_write2_b64 v121, v[1:2], v[3:4] offset0:68 offset1:69
	v_mov_b32_e32 v4, s40
	buffer_load_dword v1, v4, s[0:3], 0 offen
	buffer_load_dword v2, v4, s[0:3], 0 offen offset:4
	buffer_load_dword v3, v4, s[0:3], 0 offen offset:8
	s_nop 0
	buffer_load_dword v4, v4, s[0:3], 0 offen offset:12
	s_waitcnt vmcnt(0)
	ds_write2_b64 v121, v[1:2], v[3:4] offset0:70 offset1:71
	v_mov_b32_e32 v4, s6
	buffer_load_dword v1, v4, s[0:3], 0 offen
	buffer_load_dword v2, v4, s[0:3], 0 offen offset:4
	buffer_load_dword v3, v4, s[0:3], 0 offen offset:8
	s_nop 0
	buffer_load_dword v4, v4, s[0:3], 0 offen offset:12
	v_readlane_b32 s6, v126, 12
	s_waitcnt vmcnt(0)
	ds_write2_b64 v121, v[1:2], v[3:4] offset0:72 offset1:73
	v_mov_b32_e32 v4, s38
	buffer_load_dword v1, v4, s[0:3], 0 offen
	buffer_load_dword v2, v4, s[0:3], 0 offen offset:4
	buffer_load_dword v3, v4, s[0:3], 0 offen offset:8
	s_nop 0
	buffer_load_dword v4, v4, s[0:3], 0 offen offset:12
	;; [unrolled: 17-line block ×13, first 2 shown]
	s_waitcnt vmcnt(0)
	ds_write2_b64 v121, v[1:2], v[3:4] offset0:118 offset1:119
	v_mov_b32_e32 v4, s42
	buffer_load_dword v1, v4, s[0:3], 0 offen
	buffer_load_dword v2, v4, s[0:3], 0 offen offset:4
	buffer_load_dword v3, v4, s[0:3], 0 offen offset:8
	s_nop 0
	buffer_load_dword v4, v4, s[0:3], 0 offen offset:12
	s_waitcnt vmcnt(0)
	ds_write2_b64 v121, v[1:2], v[3:4] offset0:120 offset1:121
	v_mov_b32_e32 v4, s6
	buffer_load_dword v1, v4, s[0:3], 0 offen
	buffer_load_dword v2, v4, s[0:3], 0 offen offset:4
	buffer_load_dword v3, v4, s[0:3], 0 offen offset:8
	s_nop 0
	buffer_load_dword v4, v4, s[0:3], 0 offen offset:12
	s_waitcnt vmcnt(0)
	ds_write2_b64 v121, v[1:2], v[3:4] offset0:122 offset1:123
	ds_read2_b64 v[1:4], v125 offset1:1
	s_waitcnt lgkmcnt(0)
	v_cmp_neq_f64_e32 vcc, 0, v[1:2]
	v_cmp_neq_f64_e64 s[6:7], 0, v[3:4]
	s_or_b64 s[6:7], vcc, s[6:7]
	s_and_b64 exec, exec, s[6:7]
	s_cbranch_execz .LBB123_356
; %bb.351:
	v_cmp_ngt_f64_e64 s[6:7], |v[1:2]|, |v[3:4]|
                                        ; implicit-def: $vgpr5_vgpr6
	s_and_saveexec_b64 s[10:11], s[6:7]
	s_xor_b64 s[6:7], exec, s[10:11]
                                        ; implicit-def: $vgpr7_vgpr8
	s_cbranch_execz .LBB123_353
; %bb.352:
	v_div_scale_f64 v[5:6], s[10:11], v[3:4], v[3:4], v[1:2]
	v_rcp_f64_e32 v[7:8], v[5:6]
	v_fma_f64 v[10:11], -v[5:6], v[7:8], 1.0
	v_fma_f64 v[7:8], v[7:8], v[10:11], v[7:8]
	v_div_scale_f64 v[10:11], vcc, v[1:2], v[3:4], v[1:2]
	v_fma_f64 v[12:13], -v[5:6], v[7:8], 1.0
	v_fma_f64 v[7:8], v[7:8], v[12:13], v[7:8]
	v_mul_f64 v[12:13], v[10:11], v[7:8]
	v_fma_f64 v[5:6], -v[5:6], v[12:13], v[10:11]
	v_div_fmas_f64 v[5:6], v[5:6], v[7:8], v[12:13]
	v_div_fixup_f64 v[5:6], v[5:6], v[3:4], v[1:2]
	v_fma_f64 v[1:2], v[1:2], v[5:6], v[3:4]
	v_div_scale_f64 v[3:4], s[10:11], v[1:2], v[1:2], 1.0
	v_div_scale_f64 v[12:13], vcc, 1.0, v[1:2], 1.0
	v_rcp_f64_e32 v[7:8], v[3:4]
	v_fma_f64 v[10:11], -v[3:4], v[7:8], 1.0
	v_fma_f64 v[7:8], v[7:8], v[10:11], v[7:8]
	v_fma_f64 v[10:11], -v[3:4], v[7:8], 1.0
	v_fma_f64 v[7:8], v[7:8], v[10:11], v[7:8]
	v_mul_f64 v[10:11], v[12:13], v[7:8]
	v_fma_f64 v[3:4], -v[3:4], v[10:11], v[12:13]
	v_div_fmas_f64 v[3:4], v[3:4], v[7:8], v[10:11]
	v_div_fixup_f64 v[7:8], v[3:4], v[1:2], 1.0
                                        ; implicit-def: $vgpr1_vgpr2
	v_mul_f64 v[5:6], v[5:6], v[7:8]
	v_xor_b32_e32 v8, 0x80000000, v8
.LBB123_353:
	s_andn2_saveexec_b64 s[6:7], s[6:7]
	s_cbranch_execz .LBB123_355
; %bb.354:
	v_div_scale_f64 v[5:6], s[10:11], v[1:2], v[1:2], v[3:4]
	v_rcp_f64_e32 v[7:8], v[5:6]
	v_fma_f64 v[10:11], -v[5:6], v[7:8], 1.0
	v_fma_f64 v[7:8], v[7:8], v[10:11], v[7:8]
	v_div_scale_f64 v[10:11], vcc, v[3:4], v[1:2], v[3:4]
	v_fma_f64 v[12:13], -v[5:6], v[7:8], 1.0
	v_fma_f64 v[7:8], v[7:8], v[12:13], v[7:8]
	v_mul_f64 v[12:13], v[10:11], v[7:8]
	v_fma_f64 v[5:6], -v[5:6], v[12:13], v[10:11]
	v_div_fmas_f64 v[5:6], v[5:6], v[7:8], v[12:13]
	v_div_fixup_f64 v[7:8], v[5:6], v[1:2], v[3:4]
	v_fma_f64 v[1:2], v[3:4], v[7:8], v[1:2]
	v_div_scale_f64 v[3:4], s[10:11], v[1:2], v[1:2], 1.0
	v_div_scale_f64 v[12:13], vcc, 1.0, v[1:2], 1.0
	v_rcp_f64_e32 v[5:6], v[3:4]
	v_fma_f64 v[10:11], -v[3:4], v[5:6], 1.0
	v_fma_f64 v[5:6], v[5:6], v[10:11], v[5:6]
	v_fma_f64 v[10:11], -v[3:4], v[5:6], 1.0
	v_fma_f64 v[5:6], v[5:6], v[10:11], v[5:6]
	v_mul_f64 v[10:11], v[12:13], v[5:6]
	v_fma_f64 v[3:4], -v[3:4], v[10:11], v[12:13]
	v_div_fmas_f64 v[3:4], v[3:4], v[5:6], v[10:11]
	v_div_fixup_f64 v[5:6], v[3:4], v[1:2], 1.0
	v_mul_f64 v[7:8], v[7:8], -v[5:6]
.LBB123_355:
	s_or_b64 exec, exec, s[6:7]
	ds_write2_b64 v125, v[5:6], v[7:8] offset1:1
.LBB123_356:
	s_or_b64 exec, exec, s[8:9]
	s_waitcnt lgkmcnt(0)
	s_barrier
	ds_read2_b64 v[17:20], v125 offset1:1
	v_cmp_lt_u32_e32 vcc, 27, v0
	s_and_saveexec_b64 s[6:7], vcc
	s_cbranch_execz .LBB123_359
; %bb.357:
	buffer_load_dword v1, off, s[0:3], 0 offset:440
	buffer_load_dword v2, off, s[0:3], 0 offset:444
	;; [unrolled: 1-line block ×4, first 2 shown]
	s_movk_i32 s8, 0x1c0
	s_waitcnt vmcnt(2) lgkmcnt(0)
	v_mul_f64 v[5:6], v[19:20], v[1:2]
	v_mul_f64 v[1:2], v[17:18], v[1:2]
	s_waitcnt vmcnt(0)
	v_fma_f64 v[5:6], v[17:18], v[3:4], -v[5:6]
	v_fma_f64 v[1:2], v[19:20], v[3:4], v[1:2]
	buffer_store_dword v5, off, s[0:3], 0 offset:432
	buffer_store_dword v6, off, s[0:3], 0 offset:436
	;; [unrolled: 1-line block ×4, first 2 shown]
.LBB123_358:                            ; =>This Inner Loop Header: Depth=1
	v_add_u32_e32 v14, s8, v121
	ds_read2_b64 v[1:4], v14 offset1:1
	buffer_load_dword v5, off, s[0:3], 0 offset:432
	buffer_load_dword v6, off, s[0:3], 0 offset:436
	;; [unrolled: 1-line block ×4, first 2 shown]
	v_mov_b32_e32 v16, s8
	s_add_i32 s8, s8, 32
	s_cmpk_lg_i32 s8, 0x3e0
	s_waitcnt vmcnt(0) lgkmcnt(0)
	v_mul_f64 v[10:11], v[3:4], v[7:8]
	v_fma_f64 v[10:11], v[1:2], v[5:6], -v[10:11]
	v_mul_f64 v[1:2], v[1:2], v[7:8]
	v_fma_f64 v[1:2], v[3:4], v[5:6], v[1:2]
	buffer_load_dword v3, v16, s[0:3], 0 offen
	buffer_load_dword v4, v16, s[0:3], 0 offen offset:4
	buffer_load_dword v5, v16, s[0:3], 0 offen offset:8
	;; [unrolled: 1-line block ×7, first 2 shown]
	s_waitcnt vmcnt(6)
	v_add_f64 v[3:4], v[3:4], -v[10:11]
	s_waitcnt vmcnt(4)
	v_add_f64 v[1:2], v[5:6], -v[1:2]
	buffer_store_dword v4, v16, s[0:3], 0 offen offset:4
	buffer_store_dword v3, v16, s[0:3], 0 offen
	buffer_store_dword v2, v16, s[0:3], 0 offen offset:12
	buffer_store_dword v1, v16, s[0:3], 0 offen offset:8
	ds_read2_b64 v[1:4], v14 offset0:2 offset1:3
	buffer_load_dword v6, off, s[0:3], 0 offset:436
	buffer_load_dword v5, off, s[0:3], 0 offset:432
	;; [unrolled: 1-line block ×4, first 2 shown]
	s_waitcnt vmcnt(0) lgkmcnt(0)
	v_mul_f64 v[14:15], v[3:4], v[10:11]
	v_fma_f64 v[14:15], v[1:2], v[5:6], -v[14:15]
	v_mul_f64 v[1:2], v[1:2], v[10:11]
	v_fma_f64 v[1:2], v[3:4], v[5:6], v[1:2]
	v_add_f64 v[3:4], v[7:8], -v[14:15]
	v_add_f64 v[1:2], v[12:13], -v[1:2]
	buffer_store_dword v4, v16, s[0:3], 0 offen offset:20
	buffer_store_dword v3, v16, s[0:3], 0 offen offset:16
	;; [unrolled: 1-line block ×4, first 2 shown]
	s_cbranch_scc1 .LBB123_358
.LBB123_359:
	s_or_b64 exec, exec, s[6:7]
	v_cmp_eq_u32_e32 vcc, 28, v0
	s_waitcnt vmcnt(0) lgkmcnt(0)
	s_barrier
	s_and_saveexec_b64 s[8:9], vcc
	s_cbranch_execz .LBB123_366
; %bb.360:
	v_readlane_b32 s6, v126, 7
	v_mov_b32_e32 v4, s6
	buffer_load_dword v1, v4, s[0:3], 0 offen
	buffer_load_dword v2, v4, s[0:3], 0 offen offset:4
	buffer_load_dword v3, v4, s[0:3], 0 offen offset:8
	s_nop 0
	buffer_load_dword v4, v4, s[0:3], 0 offen offset:12
	v_readlane_b32 s6, v126, 8
	s_waitcnt vmcnt(0)
	ds_write2_b64 v125, v[1:2], v[3:4] offset1:1
	v_mov_b32_e32 v4, s76
	buffer_load_dword v1, v4, s[0:3], 0 offen
	buffer_load_dword v2, v4, s[0:3], 0 offen offset:4
	buffer_load_dword v3, v4, s[0:3], 0 offen offset:8
	s_nop 0
	buffer_load_dword v4, v4, s[0:3], 0 offen offset:12
	s_waitcnt vmcnt(0)
	ds_write2_b64 v121, v[1:2], v[3:4] offset0:58 offset1:59
	v_mov_b32_e32 v4, s71
	buffer_load_dword v1, v4, s[0:3], 0 offen
	buffer_load_dword v2, v4, s[0:3], 0 offen offset:4
	buffer_load_dword v3, v4, s[0:3], 0 offen offset:8
	s_nop 0
	buffer_load_dword v4, v4, s[0:3], 0 offen offset:12
	s_waitcnt vmcnt(0)
	ds_write2_b64 v121, v[1:2], v[3:4] offset0:60 offset1:61
	v_mov_b32_e32 v4, s6
	buffer_load_dword v1, v4, s[0:3], 0 offen
	buffer_load_dword v2, v4, s[0:3], 0 offen offset:4
	buffer_load_dword v3, v4, s[0:3], 0 offen offset:8
	s_nop 0
	buffer_load_dword v4, v4, s[0:3], 0 offen offset:12
	v_readlane_b32 s6, v126, 9
	s_waitcnt vmcnt(0)
	ds_write2_b64 v121, v[1:2], v[3:4] offset0:62 offset1:63
	v_mov_b32_e32 v4, s95
	buffer_load_dword v1, v4, s[0:3], 0 offen
	buffer_load_dword v2, v4, s[0:3], 0 offen offset:4
	buffer_load_dword v3, v4, s[0:3], 0 offen offset:8
	s_nop 0
	buffer_load_dword v4, v4, s[0:3], 0 offen offset:12
	s_waitcnt vmcnt(0)
	ds_write2_b64 v121, v[1:2], v[3:4] offset0:64 offset1:65
	v_mov_b32_e32 v4, s6
	buffer_load_dword v1, v4, s[0:3], 0 offen
	buffer_load_dword v2, v4, s[0:3], 0 offen offset:4
	buffer_load_dword v3, v4, s[0:3], 0 offen offset:8
	s_nop 0
	buffer_load_dword v4, v4, s[0:3], 0 offen offset:12
	v_readlane_b32 s6, v126, 10
	s_waitcnt vmcnt(0)
	ds_write2_b64 v121, v[1:2], v[3:4] offset0:66 offset1:67
	v_mov_b32_e32 v4, s6
	buffer_load_dword v1, v4, s[0:3], 0 offen
	buffer_load_dword v2, v4, s[0:3], 0 offen offset:4
	buffer_load_dword v3, v4, s[0:3], 0 offen offset:8
	s_nop 0
	buffer_load_dword v4, v4, s[0:3], 0 offen offset:12
	v_readlane_b32 s6, v126, 11
	s_waitcnt vmcnt(0)
	ds_write2_b64 v121, v[1:2], v[3:4] offset0:68 offset1:69
	v_mov_b32_e32 v4, s40
	buffer_load_dword v1, v4, s[0:3], 0 offen
	buffer_load_dword v2, v4, s[0:3], 0 offen offset:4
	buffer_load_dword v3, v4, s[0:3], 0 offen offset:8
	s_nop 0
	buffer_load_dword v4, v4, s[0:3], 0 offen offset:12
	s_waitcnt vmcnt(0)
	ds_write2_b64 v121, v[1:2], v[3:4] offset0:70 offset1:71
	v_mov_b32_e32 v4, s6
	buffer_load_dword v1, v4, s[0:3], 0 offen
	buffer_load_dword v2, v4, s[0:3], 0 offen offset:4
	buffer_load_dword v3, v4, s[0:3], 0 offen offset:8
	s_nop 0
	buffer_load_dword v4, v4, s[0:3], 0 offen offset:12
	v_readlane_b32 s6, v126, 12
	s_waitcnt vmcnt(0)
	ds_write2_b64 v121, v[1:2], v[3:4] offset0:72 offset1:73
	v_mov_b32_e32 v4, s38
	buffer_load_dword v1, v4, s[0:3], 0 offen
	buffer_load_dword v2, v4, s[0:3], 0 offen offset:4
	buffer_load_dword v3, v4, s[0:3], 0 offen offset:8
	s_nop 0
	buffer_load_dword v4, v4, s[0:3], 0 offen offset:12
	;; [unrolled: 17-line block ×13, first 2 shown]
	s_waitcnt vmcnt(0)
	ds_write2_b64 v121, v[1:2], v[3:4] offset0:118 offset1:119
	v_mov_b32_e32 v4, s42
	buffer_load_dword v1, v4, s[0:3], 0 offen
	buffer_load_dword v2, v4, s[0:3], 0 offen offset:4
	buffer_load_dword v3, v4, s[0:3], 0 offen offset:8
	s_nop 0
	buffer_load_dword v4, v4, s[0:3], 0 offen offset:12
	s_waitcnt vmcnt(0)
	ds_write2_b64 v121, v[1:2], v[3:4] offset0:120 offset1:121
	v_mov_b32_e32 v4, s6
	buffer_load_dword v1, v4, s[0:3], 0 offen
	buffer_load_dword v2, v4, s[0:3], 0 offen offset:4
	buffer_load_dword v3, v4, s[0:3], 0 offen offset:8
	s_nop 0
	buffer_load_dword v4, v4, s[0:3], 0 offen offset:12
	s_waitcnt vmcnt(0)
	ds_write2_b64 v121, v[1:2], v[3:4] offset0:122 offset1:123
	ds_read2_b64 v[1:4], v125 offset1:1
	s_waitcnt lgkmcnt(0)
	v_cmp_neq_f64_e32 vcc, 0, v[1:2]
	v_cmp_neq_f64_e64 s[6:7], 0, v[3:4]
	s_or_b64 s[6:7], vcc, s[6:7]
	s_and_b64 exec, exec, s[6:7]
	s_cbranch_execz .LBB123_366
; %bb.361:
	v_cmp_ngt_f64_e64 s[6:7], |v[1:2]|, |v[3:4]|
                                        ; implicit-def: $vgpr5_vgpr6
	s_and_saveexec_b64 s[10:11], s[6:7]
	s_xor_b64 s[6:7], exec, s[10:11]
                                        ; implicit-def: $vgpr7_vgpr8
	s_cbranch_execz .LBB123_363
; %bb.362:
	v_div_scale_f64 v[5:6], s[10:11], v[3:4], v[3:4], v[1:2]
	v_rcp_f64_e32 v[7:8], v[5:6]
	v_fma_f64 v[10:11], -v[5:6], v[7:8], 1.0
	v_fma_f64 v[7:8], v[7:8], v[10:11], v[7:8]
	v_div_scale_f64 v[10:11], vcc, v[1:2], v[3:4], v[1:2]
	v_fma_f64 v[12:13], -v[5:6], v[7:8], 1.0
	v_fma_f64 v[7:8], v[7:8], v[12:13], v[7:8]
	v_mul_f64 v[12:13], v[10:11], v[7:8]
	v_fma_f64 v[5:6], -v[5:6], v[12:13], v[10:11]
	v_div_fmas_f64 v[5:6], v[5:6], v[7:8], v[12:13]
	v_div_fixup_f64 v[5:6], v[5:6], v[3:4], v[1:2]
	v_fma_f64 v[1:2], v[1:2], v[5:6], v[3:4]
	v_div_scale_f64 v[3:4], s[10:11], v[1:2], v[1:2], 1.0
	v_div_scale_f64 v[12:13], vcc, 1.0, v[1:2], 1.0
	v_rcp_f64_e32 v[7:8], v[3:4]
	v_fma_f64 v[10:11], -v[3:4], v[7:8], 1.0
	v_fma_f64 v[7:8], v[7:8], v[10:11], v[7:8]
	v_fma_f64 v[10:11], -v[3:4], v[7:8], 1.0
	v_fma_f64 v[7:8], v[7:8], v[10:11], v[7:8]
	v_mul_f64 v[10:11], v[12:13], v[7:8]
	v_fma_f64 v[3:4], -v[3:4], v[10:11], v[12:13]
	v_div_fmas_f64 v[3:4], v[3:4], v[7:8], v[10:11]
	v_div_fixup_f64 v[7:8], v[3:4], v[1:2], 1.0
                                        ; implicit-def: $vgpr1_vgpr2
	v_mul_f64 v[5:6], v[5:6], v[7:8]
	v_xor_b32_e32 v8, 0x80000000, v8
.LBB123_363:
	s_andn2_saveexec_b64 s[6:7], s[6:7]
	s_cbranch_execz .LBB123_365
; %bb.364:
	v_div_scale_f64 v[5:6], s[10:11], v[1:2], v[1:2], v[3:4]
	v_rcp_f64_e32 v[7:8], v[5:6]
	v_fma_f64 v[10:11], -v[5:6], v[7:8], 1.0
	v_fma_f64 v[7:8], v[7:8], v[10:11], v[7:8]
	v_div_scale_f64 v[10:11], vcc, v[3:4], v[1:2], v[3:4]
	v_fma_f64 v[12:13], -v[5:6], v[7:8], 1.0
	v_fma_f64 v[7:8], v[7:8], v[12:13], v[7:8]
	v_mul_f64 v[12:13], v[10:11], v[7:8]
	v_fma_f64 v[5:6], -v[5:6], v[12:13], v[10:11]
	v_div_fmas_f64 v[5:6], v[5:6], v[7:8], v[12:13]
	v_div_fixup_f64 v[7:8], v[5:6], v[1:2], v[3:4]
	v_fma_f64 v[1:2], v[3:4], v[7:8], v[1:2]
	v_div_scale_f64 v[3:4], s[10:11], v[1:2], v[1:2], 1.0
	v_div_scale_f64 v[12:13], vcc, 1.0, v[1:2], 1.0
	v_rcp_f64_e32 v[5:6], v[3:4]
	v_fma_f64 v[10:11], -v[3:4], v[5:6], 1.0
	v_fma_f64 v[5:6], v[5:6], v[10:11], v[5:6]
	v_fma_f64 v[10:11], -v[3:4], v[5:6], 1.0
	v_fma_f64 v[5:6], v[5:6], v[10:11], v[5:6]
	v_mul_f64 v[10:11], v[12:13], v[5:6]
	v_fma_f64 v[3:4], -v[3:4], v[10:11], v[12:13]
	v_div_fmas_f64 v[3:4], v[3:4], v[5:6], v[10:11]
	v_div_fixup_f64 v[5:6], v[3:4], v[1:2], 1.0
	v_mul_f64 v[7:8], v[7:8], -v[5:6]
.LBB123_365:
	s_or_b64 exec, exec, s[6:7]
	ds_write2_b64 v125, v[5:6], v[7:8] offset1:1
.LBB123_366:
	s_or_b64 exec, exec, s[8:9]
	buffer_store_dword v17, off, s[0:3], 0 offset:2008 ; 4-byte Folded Spill
	s_nop 0
	buffer_store_dword v18, off, s[0:3], 0 offset:2012 ; 4-byte Folded Spill
	buffer_store_dword v19, off, s[0:3], 0 offset:2016 ; 4-byte Folded Spill
	buffer_store_dword v20, off, s[0:3], 0 offset:2020 ; 4-byte Folded Spill
	s_waitcnt vmcnt(0) lgkmcnt(0)
	s_barrier
	ds_read2_b64 v[1:4], v125 offset1:1
	v_cmp_lt_u32_e32 vcc, 28, v0
	s_waitcnt lgkmcnt(0)
	buffer_store_dword v1, off, s[0:3], 0 offset:1856 ; 4-byte Folded Spill
	s_nop 0
	buffer_store_dword v2, off, s[0:3], 0 offset:1860 ; 4-byte Folded Spill
	buffer_store_dword v3, off, s[0:3], 0 offset:1864 ; 4-byte Folded Spill
	;; [unrolled: 1-line block ×3, first 2 shown]
	s_and_saveexec_b64 s[6:7], vcc
	s_cbranch_execz .LBB123_369
; %bb.367:
	buffer_load_dword v1, off, s[0:3], 0 offset:456
	buffer_load_dword v2, off, s[0:3], 0 offset:460
	;; [unrolled: 1-line block ×4, first 2 shown]
	buffer_load_dword v10, off, s[0:3], 0 offset:1856 ; 4-byte Folded Reload
	buffer_load_dword v11, off, s[0:3], 0 offset:1860 ; 4-byte Folded Reload
	;; [unrolled: 1-line block ×4, first 2 shown]
	s_movk_i32 s8, 0x1d0
	s_waitcnt vmcnt(0)
	v_mul_f64 v[5:6], v[12:13], v[1:2]
	v_mul_f64 v[1:2], v[10:11], v[1:2]
	v_fma_f64 v[5:6], v[10:11], v[3:4], -v[5:6]
	v_fma_f64 v[1:2], v[12:13], v[3:4], v[1:2]
	buffer_store_dword v5, off, s[0:3], 0 offset:448
	buffer_store_dword v6, off, s[0:3], 0 offset:452
	;; [unrolled: 1-line block ×4, first 2 shown]
.LBB123_368:                            ; =>This Inner Loop Header: Depth=1
	buffer_load_dword v5, off, s[0:3], 0 offset:456
	s_nop 0
	buffer_load_dword v6, off, s[0:3], 0 offset:460
	buffer_load_dword v7, off, s[0:3], 0 offset:448
	;; [unrolled: 1-line block ×3, first 2 shown]
	v_mov_b32_e32 v17, s8
	buffer_load_dword v10, v17, s[0:3], 0 offen
	buffer_load_dword v11, v17, s[0:3], 0 offen offset:4
	buffer_load_dword v12, v17, s[0:3], 0 offen offset:8
	;; [unrolled: 1-line block ×3, first 2 shown]
	v_add_u32_e32 v18, s8, v121
	ds_read2_b64 v[1:4], v18 offset1:1
	buffer_load_dword v14, v17, s[0:3], 0 offen offset:16
	s_add_i32 s8, s8, 48
	s_cmpk_lg_i32 s8, 0x3e0
	s_waitcnt vmcnt(7) lgkmcnt(0)
	v_mul_f64 v[15:16], v[3:4], v[5:6]
	v_mul_f64 v[5:6], v[1:2], v[5:6]
	s_waitcnt vmcnt(5)
	v_fma_f64 v[1:2], v[1:2], v[7:8], -v[15:16]
	v_fma_f64 v[3:4], v[3:4], v[7:8], v[5:6]
	s_waitcnt vmcnt(3)
	v_add_f64 v[1:2], v[10:11], -v[1:2]
	s_waitcnt vmcnt(1)
	v_add_f64 v[3:4], v[12:13], -v[3:4]
	buffer_store_dword v2, v17, s[0:3], 0 offen offset:4
	buffer_store_dword v1, v17, s[0:3], 0 offen
	buffer_store_dword v4, v17, s[0:3], 0 offen offset:12
	buffer_store_dword v3, v17, s[0:3], 0 offen offset:8
	buffer_load_dword v6, off, s[0:3], 0 offset:460
	buffer_load_dword v5, off, s[0:3], 0 offset:456
	;; [unrolled: 1-line block ×4, first 2 shown]
	buffer_load_dword v15, v17, s[0:3], 0 offen offset:20
	buffer_load_dword v10, v17, s[0:3], 0 offen offset:24
	;; [unrolled: 1-line block ×3, first 2 shown]
	ds_read2_b64 v[1:4], v18 offset0:2 offset1:3
	s_waitcnt vmcnt(5) lgkmcnt(0)
	v_mul_f64 v[12:13], v[3:4], v[5:6]
	v_mul_f64 v[5:6], v[1:2], v[5:6]
	s_waitcnt vmcnt(3)
	v_fma_f64 v[1:2], v[1:2], v[7:8], -v[12:13]
	v_fma_f64 v[3:4], v[3:4], v[7:8], v[5:6]
	s_waitcnt vmcnt(2)
	v_add_f64 v[1:2], v[14:15], -v[1:2]
	s_waitcnt vmcnt(0)
	v_add_f64 v[3:4], v[10:11], -v[3:4]
	buffer_store_dword v2, v17, s[0:3], 0 offen offset:20
	buffer_store_dword v1, v17, s[0:3], 0 offen offset:16
	;; [unrolled: 1-line block ×4, first 2 shown]
	buffer_load_dword v5, off, s[0:3], 0 offset:456
	buffer_load_dword v6, off, s[0:3], 0 offset:460
	buffer_load_dword v7, off, s[0:3], 0 offset:448
	buffer_load_dword v8, off, s[0:3], 0 offset:452
	buffer_load_dword v10, v17, s[0:3], 0 offen offset:32
	buffer_load_dword v11, v17, s[0:3], 0 offen offset:36
	;; [unrolled: 1-line block ×4, first 2 shown]
	ds_read2_b64 v[1:4], v18 offset0:4 offset1:5
	s_waitcnt vmcnt(6) lgkmcnt(0)
	v_mul_f64 v[14:15], v[3:4], v[5:6]
	v_mul_f64 v[5:6], v[1:2], v[5:6]
	s_waitcnt vmcnt(4)
	v_fma_f64 v[1:2], v[1:2], v[7:8], -v[14:15]
	v_fma_f64 v[3:4], v[3:4], v[7:8], v[5:6]
	s_waitcnt vmcnt(2)
	v_add_f64 v[1:2], v[10:11], -v[1:2]
	s_waitcnt vmcnt(0)
	v_add_f64 v[3:4], v[12:13], -v[3:4]
	buffer_store_dword v2, v17, s[0:3], 0 offen offset:36
	buffer_store_dword v1, v17, s[0:3], 0 offen offset:32
	;; [unrolled: 1-line block ×4, first 2 shown]
	s_cbranch_scc1 .LBB123_368
.LBB123_369:
	s_or_b64 exec, exec, s[6:7]
	v_cmp_eq_u32_e32 vcc, 29, v0
	s_waitcnt vmcnt(0)
	s_barrier
	s_and_saveexec_b64 s[8:9], vcc
	s_cbranch_execz .LBB123_376
; %bb.370:
	v_mov_b32_e32 v4, s76
	buffer_load_dword v1, v4, s[0:3], 0 offen
	buffer_load_dword v2, v4, s[0:3], 0 offen offset:4
	buffer_load_dword v3, v4, s[0:3], 0 offen offset:8
	s_nop 0
	buffer_load_dword v4, v4, s[0:3], 0 offen offset:12
	v_readlane_b32 s6, v126, 8
	s_waitcnt vmcnt(0)
	ds_write2_b64 v125, v[1:2], v[3:4] offset1:1
	v_mov_b32_e32 v4, s71
	buffer_load_dword v1, v4, s[0:3], 0 offen
	buffer_load_dword v2, v4, s[0:3], 0 offen offset:4
	buffer_load_dword v3, v4, s[0:3], 0 offen offset:8
	s_nop 0
	buffer_load_dword v4, v4, s[0:3], 0 offen offset:12
	s_waitcnt vmcnt(0)
	ds_write2_b64 v121, v[1:2], v[3:4] offset0:60 offset1:61
	v_mov_b32_e32 v4, s6
	buffer_load_dword v1, v4, s[0:3], 0 offen
	buffer_load_dword v2, v4, s[0:3], 0 offen offset:4
	buffer_load_dword v3, v4, s[0:3], 0 offen offset:8
	s_nop 0
	buffer_load_dword v4, v4, s[0:3], 0 offen offset:12
	v_readlane_b32 s6, v126, 9
	s_waitcnt vmcnt(0)
	ds_write2_b64 v121, v[1:2], v[3:4] offset0:62 offset1:63
	v_mov_b32_e32 v4, s95
	buffer_load_dword v1, v4, s[0:3], 0 offen
	buffer_load_dword v2, v4, s[0:3], 0 offen offset:4
	buffer_load_dword v3, v4, s[0:3], 0 offen offset:8
	s_nop 0
	buffer_load_dword v4, v4, s[0:3], 0 offen offset:12
	s_waitcnt vmcnt(0)
	ds_write2_b64 v121, v[1:2], v[3:4] offset0:64 offset1:65
	v_mov_b32_e32 v4, s6
	buffer_load_dword v1, v4, s[0:3], 0 offen
	buffer_load_dword v2, v4, s[0:3], 0 offen offset:4
	buffer_load_dword v3, v4, s[0:3], 0 offen offset:8
	s_nop 0
	buffer_load_dword v4, v4, s[0:3], 0 offen offset:12
	v_readlane_b32 s6, v126, 10
	s_waitcnt vmcnt(0)
	ds_write2_b64 v121, v[1:2], v[3:4] offset0:66 offset1:67
	v_mov_b32_e32 v4, s6
	buffer_load_dword v1, v4, s[0:3], 0 offen
	buffer_load_dword v2, v4, s[0:3], 0 offen offset:4
	buffer_load_dword v3, v4, s[0:3], 0 offen offset:8
	s_nop 0
	buffer_load_dword v4, v4, s[0:3], 0 offen offset:12
	v_readlane_b32 s6, v126, 11
	s_waitcnt vmcnt(0)
	ds_write2_b64 v121, v[1:2], v[3:4] offset0:68 offset1:69
	v_mov_b32_e32 v4, s40
	buffer_load_dword v1, v4, s[0:3], 0 offen
	buffer_load_dword v2, v4, s[0:3], 0 offen offset:4
	buffer_load_dword v3, v4, s[0:3], 0 offen offset:8
	s_nop 0
	buffer_load_dword v4, v4, s[0:3], 0 offen offset:12
	s_waitcnt vmcnt(0)
	ds_write2_b64 v121, v[1:2], v[3:4] offset0:70 offset1:71
	v_mov_b32_e32 v4, s6
	buffer_load_dword v1, v4, s[0:3], 0 offen
	buffer_load_dword v2, v4, s[0:3], 0 offen offset:4
	buffer_load_dword v3, v4, s[0:3], 0 offen offset:8
	s_nop 0
	buffer_load_dword v4, v4, s[0:3], 0 offen offset:12
	v_readlane_b32 s6, v126, 12
	s_waitcnt vmcnt(0)
	ds_write2_b64 v121, v[1:2], v[3:4] offset0:72 offset1:73
	v_mov_b32_e32 v4, s38
	buffer_load_dword v1, v4, s[0:3], 0 offen
	buffer_load_dword v2, v4, s[0:3], 0 offen offset:4
	buffer_load_dword v3, v4, s[0:3], 0 offen offset:8
	s_nop 0
	buffer_load_dword v4, v4, s[0:3], 0 offen offset:12
	;; [unrolled: 17-line block ×13, first 2 shown]
	s_waitcnt vmcnt(0)
	ds_write2_b64 v121, v[1:2], v[3:4] offset0:118 offset1:119
	v_mov_b32_e32 v4, s42
	buffer_load_dword v1, v4, s[0:3], 0 offen
	buffer_load_dword v2, v4, s[0:3], 0 offen offset:4
	buffer_load_dword v3, v4, s[0:3], 0 offen offset:8
	s_nop 0
	buffer_load_dword v4, v4, s[0:3], 0 offen offset:12
	s_waitcnt vmcnt(0)
	ds_write2_b64 v121, v[1:2], v[3:4] offset0:120 offset1:121
	v_mov_b32_e32 v4, s6
	buffer_load_dword v1, v4, s[0:3], 0 offen
	buffer_load_dword v2, v4, s[0:3], 0 offen offset:4
	buffer_load_dword v3, v4, s[0:3], 0 offen offset:8
	s_nop 0
	buffer_load_dword v4, v4, s[0:3], 0 offen offset:12
	s_waitcnt vmcnt(0)
	ds_write2_b64 v121, v[1:2], v[3:4] offset0:122 offset1:123
	ds_read2_b64 v[1:4], v125 offset1:1
	s_waitcnt lgkmcnt(0)
	v_cmp_neq_f64_e32 vcc, 0, v[1:2]
	v_cmp_neq_f64_e64 s[6:7], 0, v[3:4]
	s_or_b64 s[6:7], vcc, s[6:7]
	s_and_b64 exec, exec, s[6:7]
	s_cbranch_execz .LBB123_376
; %bb.371:
	v_cmp_ngt_f64_e64 s[6:7], |v[1:2]|, |v[3:4]|
                                        ; implicit-def: $vgpr5_vgpr6
	s_and_saveexec_b64 s[10:11], s[6:7]
	s_xor_b64 s[6:7], exec, s[10:11]
                                        ; implicit-def: $vgpr7_vgpr8
	s_cbranch_execz .LBB123_373
; %bb.372:
	v_div_scale_f64 v[5:6], s[10:11], v[3:4], v[3:4], v[1:2]
	v_rcp_f64_e32 v[7:8], v[5:6]
	v_fma_f64 v[10:11], -v[5:6], v[7:8], 1.0
	v_fma_f64 v[7:8], v[7:8], v[10:11], v[7:8]
	v_div_scale_f64 v[10:11], vcc, v[1:2], v[3:4], v[1:2]
	v_fma_f64 v[12:13], -v[5:6], v[7:8], 1.0
	v_fma_f64 v[7:8], v[7:8], v[12:13], v[7:8]
	v_mul_f64 v[12:13], v[10:11], v[7:8]
	v_fma_f64 v[5:6], -v[5:6], v[12:13], v[10:11]
	v_div_fmas_f64 v[5:6], v[5:6], v[7:8], v[12:13]
	v_div_fixup_f64 v[5:6], v[5:6], v[3:4], v[1:2]
	v_fma_f64 v[1:2], v[1:2], v[5:6], v[3:4]
	v_div_scale_f64 v[3:4], s[10:11], v[1:2], v[1:2], 1.0
	v_div_scale_f64 v[12:13], vcc, 1.0, v[1:2], 1.0
	v_rcp_f64_e32 v[7:8], v[3:4]
	v_fma_f64 v[10:11], -v[3:4], v[7:8], 1.0
	v_fma_f64 v[7:8], v[7:8], v[10:11], v[7:8]
	v_fma_f64 v[10:11], -v[3:4], v[7:8], 1.0
	v_fma_f64 v[7:8], v[7:8], v[10:11], v[7:8]
	v_mul_f64 v[10:11], v[12:13], v[7:8]
	v_fma_f64 v[3:4], -v[3:4], v[10:11], v[12:13]
	v_div_fmas_f64 v[3:4], v[3:4], v[7:8], v[10:11]
	v_div_fixup_f64 v[7:8], v[3:4], v[1:2], 1.0
                                        ; implicit-def: $vgpr1_vgpr2
	v_mul_f64 v[5:6], v[5:6], v[7:8]
	v_xor_b32_e32 v8, 0x80000000, v8
.LBB123_373:
	s_andn2_saveexec_b64 s[6:7], s[6:7]
	s_cbranch_execz .LBB123_375
; %bb.374:
	v_div_scale_f64 v[5:6], s[10:11], v[1:2], v[1:2], v[3:4]
	v_rcp_f64_e32 v[7:8], v[5:6]
	v_fma_f64 v[10:11], -v[5:6], v[7:8], 1.0
	v_fma_f64 v[7:8], v[7:8], v[10:11], v[7:8]
	v_div_scale_f64 v[10:11], vcc, v[3:4], v[1:2], v[3:4]
	v_fma_f64 v[12:13], -v[5:6], v[7:8], 1.0
	v_fma_f64 v[7:8], v[7:8], v[12:13], v[7:8]
	v_mul_f64 v[12:13], v[10:11], v[7:8]
	v_fma_f64 v[5:6], -v[5:6], v[12:13], v[10:11]
	v_div_fmas_f64 v[5:6], v[5:6], v[7:8], v[12:13]
	v_div_fixup_f64 v[7:8], v[5:6], v[1:2], v[3:4]
	v_fma_f64 v[1:2], v[3:4], v[7:8], v[1:2]
	v_div_scale_f64 v[3:4], s[10:11], v[1:2], v[1:2], 1.0
	v_div_scale_f64 v[12:13], vcc, 1.0, v[1:2], 1.0
	v_rcp_f64_e32 v[5:6], v[3:4]
	v_fma_f64 v[10:11], -v[3:4], v[5:6], 1.0
	v_fma_f64 v[5:6], v[5:6], v[10:11], v[5:6]
	v_fma_f64 v[10:11], -v[3:4], v[5:6], 1.0
	v_fma_f64 v[5:6], v[5:6], v[10:11], v[5:6]
	v_mul_f64 v[10:11], v[12:13], v[5:6]
	v_fma_f64 v[3:4], -v[3:4], v[10:11], v[12:13]
	v_div_fmas_f64 v[3:4], v[3:4], v[5:6], v[10:11]
	v_div_fixup_f64 v[5:6], v[3:4], v[1:2], 1.0
	v_mul_f64 v[7:8], v[7:8], -v[5:6]
.LBB123_375:
	s_or_b64 exec, exec, s[6:7]
	ds_write2_b64 v125, v[5:6], v[7:8] offset1:1
.LBB123_376:
	s_or_b64 exec, exec, s[8:9]
	buffer_store_dword v22, off, s[0:3], 0 offset:1960 ; 4-byte Folded Spill
	s_nop 0
	buffer_store_dword v23, off, s[0:3], 0 offset:1964 ; 4-byte Folded Spill
	buffer_store_dword v24, off, s[0:3], 0 offset:1968 ; 4-byte Folded Spill
	;; [unrolled: 1-line block ×3, first 2 shown]
	s_waitcnt vmcnt(0) lgkmcnt(0)
	s_barrier
	ds_read2_b64 v[1:4], v125 offset1:1
	v_cmp_lt_u32_e32 vcc, 29, v0
	s_waitcnt lgkmcnt(0)
	buffer_store_dword v1, off, s[0:3], 0 offset:1872 ; 4-byte Folded Spill
	s_nop 0
	buffer_store_dword v2, off, s[0:3], 0 offset:1876 ; 4-byte Folded Spill
	buffer_store_dword v3, off, s[0:3], 0 offset:1880 ; 4-byte Folded Spill
	;; [unrolled: 1-line block ×3, first 2 shown]
	s_and_saveexec_b64 s[6:7], vcc
	s_cbranch_execz .LBB123_379
; %bb.377:
	buffer_load_dword v1, off, s[0:3], 0 offset:472
	buffer_load_dword v2, off, s[0:3], 0 offset:476
	;; [unrolled: 1-line block ×4, first 2 shown]
	buffer_load_dword v10, off, s[0:3], 0 offset:1872 ; 4-byte Folded Reload
	buffer_load_dword v11, off, s[0:3], 0 offset:1876 ; 4-byte Folded Reload
	;; [unrolled: 1-line block ×4, first 2 shown]
	s_mov_b32 s8, 0
	s_waitcnt vmcnt(2)
	v_mul_f64 v[7:8], v[10:11], v[1:2]
	s_waitcnt vmcnt(0)
	v_mul_f64 v[5:6], v[12:13], v[1:2]
	v_fma_f64 v[1:2], v[10:11], v[3:4], -v[5:6]
	v_fma_f64 v[3:4], v[12:13], v[3:4], v[7:8]
	buffer_store_dword v1, off, s[0:3], 0 offset:464
	buffer_store_dword v2, off, s[0:3], 0 offset:468
	;; [unrolled: 1-line block ×4, first 2 shown]
.LBB123_378:                            ; =>This Inner Loop Header: Depth=1
	v_add_u32_e32 v5, 0x1e0, v9
	v_add_u32_e32 v26, s8, v5
	ds_read2_b64 v[5:8], v26 offset1:1
	v_mov_b32_e32 v27, s8
	s_add_i32 s8, s8, 64
	s_cmpk_lg_i32 s8, 0x200
	s_waitcnt lgkmcnt(0)
	v_mul_f64 v[10:11], v[7:8], v[3:4]
	v_fma_f64 v[10:11], v[5:6], v[1:2], -v[10:11]
	v_mul_f64 v[5:6], v[5:6], v[3:4]
	v_fma_f64 v[5:6], v[7:8], v[1:2], v[5:6]
	buffer_load_dword v7, v27, s[0:3], 0 offen offset:480
	buffer_load_dword v8, v27, s[0:3], 0 offen offset:484
	;; [unrolled: 1-line block ×16, first 2 shown]
	s_waitcnt vmcnt(14)
	v_add_f64 v[7:8], v[7:8], -v[10:11]
	s_waitcnt vmcnt(12)
	v_add_f64 v[5:6], v[12:13], -v[5:6]
	buffer_store_dword v7, v27, s[0:3], 0 offen offset:480
	buffer_store_dword v8, v27, s[0:3], 0 offen offset:484
	buffer_store_dword v5, v27, s[0:3], 0 offen offset:488
	buffer_store_dword v6, v27, s[0:3], 0 offen offset:492
	ds_read2_b64 v[5:8], v26 offset0:2 offset1:3
	s_waitcnt lgkmcnt(0)
	v_mul_f64 v[10:11], v[7:8], v[3:4]
	v_fma_f64 v[10:11], v[5:6], v[1:2], -v[10:11]
	v_mul_f64 v[5:6], v[5:6], v[3:4]
	v_fma_f64 v[5:6], v[7:8], v[1:2], v[5:6]
	s_waitcnt vmcnt(14)
	v_add_f64 v[7:8], v[14:15], -v[10:11]
	s_waitcnt vmcnt(12)
	v_add_f64 v[5:6], v[16:17], -v[5:6]
	buffer_store_dword v7, v27, s[0:3], 0 offen offset:496
	buffer_store_dword v8, v27, s[0:3], 0 offen offset:500
	buffer_store_dword v5, v27, s[0:3], 0 offen offset:504
	buffer_store_dword v6, v27, s[0:3], 0 offen offset:508
	ds_read2_b64 v[5:8], v26 offset0:4 offset1:5
	s_waitcnt lgkmcnt(0)
	v_mul_f64 v[10:11], v[7:8], v[3:4]
	v_fma_f64 v[10:11], v[5:6], v[1:2], -v[10:11]
	v_mul_f64 v[5:6], v[5:6], v[3:4]
	v_fma_f64 v[5:6], v[7:8], v[1:2], v[5:6]
	s_waitcnt vmcnt(14)
	v_add_f64 v[7:8], v[18:19], -v[10:11]
	s_waitcnt vmcnt(12)
	v_add_f64 v[5:6], v[20:21], -v[5:6]
	buffer_store_dword v7, v27, s[0:3], 0 offen offset:512
	buffer_store_dword v8, v27, s[0:3], 0 offen offset:516
	buffer_store_dword v5, v27, s[0:3], 0 offen offset:520
	buffer_store_dword v6, v27, s[0:3], 0 offen offset:524
	ds_read2_b64 v[5:8], v26 offset0:6 offset1:7
	s_waitcnt lgkmcnt(0)
	v_mul_f64 v[10:11], v[7:8], v[3:4]
	v_fma_f64 v[10:11], v[5:6], v[1:2], -v[10:11]
	v_mul_f64 v[5:6], v[5:6], v[3:4]
	v_fma_f64 v[5:6], v[7:8], v[1:2], v[5:6]
	s_waitcnt vmcnt(14)
	v_add_f64 v[7:8], v[22:23], -v[10:11]
	s_waitcnt vmcnt(12)
	v_add_f64 v[5:6], v[24:25], -v[5:6]
	buffer_store_dword v8, v27, s[0:3], 0 offen offset:532
	buffer_store_dword v7, v27, s[0:3], 0 offen offset:528
	;; [unrolled: 1-line block ×4, first 2 shown]
	s_cbranch_scc1 .LBB123_378
.LBB123_379:
	s_or_b64 exec, exec, s[6:7]
	v_cmp_eq_u32_e32 vcc, 30, v0
	s_waitcnt vmcnt(0)
	s_barrier
	s_and_saveexec_b64 s[8:9], vcc
	s_cbranch_execz .LBB123_386
; %bb.380:
	v_mov_b32_e32 v4, s71
	buffer_load_dword v1, v4, s[0:3], 0 offen
	buffer_load_dword v2, v4, s[0:3], 0 offen offset:4
	buffer_load_dword v3, v4, s[0:3], 0 offen offset:8
	s_nop 0
	buffer_load_dword v4, v4, s[0:3], 0 offen offset:12
	v_readlane_b32 s6, v126, 8
	s_waitcnt vmcnt(0)
	ds_write2_b64 v125, v[1:2], v[3:4] offset1:1
	v_mov_b32_e32 v4, s6
	buffer_load_dword v1, v4, s[0:3], 0 offen
	buffer_load_dword v2, v4, s[0:3], 0 offen offset:4
	buffer_load_dword v3, v4, s[0:3], 0 offen offset:8
	s_nop 0
	buffer_load_dword v4, v4, s[0:3], 0 offen offset:12
	v_readlane_b32 s6, v126, 9
	s_waitcnt vmcnt(0)
	ds_write2_b64 v121, v[1:2], v[3:4] offset0:62 offset1:63
	v_mov_b32_e32 v4, s95
	buffer_load_dword v1, v4, s[0:3], 0 offen
	buffer_load_dword v2, v4, s[0:3], 0 offen offset:4
	buffer_load_dword v3, v4, s[0:3], 0 offen offset:8
	s_nop 0
	buffer_load_dword v4, v4, s[0:3], 0 offen offset:12
	s_waitcnt vmcnt(0)
	ds_write2_b64 v121, v[1:2], v[3:4] offset0:64 offset1:65
	v_mov_b32_e32 v4, s6
	buffer_load_dword v1, v4, s[0:3], 0 offen
	buffer_load_dword v2, v4, s[0:3], 0 offen offset:4
	buffer_load_dword v3, v4, s[0:3], 0 offen offset:8
	s_nop 0
	buffer_load_dword v4, v4, s[0:3], 0 offen offset:12
	v_readlane_b32 s6, v126, 10
	s_waitcnt vmcnt(0)
	ds_write2_b64 v121, v[1:2], v[3:4] offset0:66 offset1:67
	v_mov_b32_e32 v4, s6
	buffer_load_dword v1, v4, s[0:3], 0 offen
	buffer_load_dword v2, v4, s[0:3], 0 offen offset:4
	buffer_load_dword v3, v4, s[0:3], 0 offen offset:8
	s_nop 0
	buffer_load_dword v4, v4, s[0:3], 0 offen offset:12
	v_readlane_b32 s6, v126, 11
	s_waitcnt vmcnt(0)
	ds_write2_b64 v121, v[1:2], v[3:4] offset0:68 offset1:69
	v_mov_b32_e32 v4, s40
	buffer_load_dword v1, v4, s[0:3], 0 offen
	buffer_load_dword v2, v4, s[0:3], 0 offen offset:4
	buffer_load_dword v3, v4, s[0:3], 0 offen offset:8
	s_nop 0
	buffer_load_dword v4, v4, s[0:3], 0 offen offset:12
	s_waitcnt vmcnt(0)
	ds_write2_b64 v121, v[1:2], v[3:4] offset0:70 offset1:71
	v_mov_b32_e32 v4, s6
	buffer_load_dword v1, v4, s[0:3], 0 offen
	buffer_load_dword v2, v4, s[0:3], 0 offen offset:4
	buffer_load_dword v3, v4, s[0:3], 0 offen offset:8
	s_nop 0
	buffer_load_dword v4, v4, s[0:3], 0 offen offset:12
	v_readlane_b32 s6, v126, 12
	s_waitcnt vmcnt(0)
	ds_write2_b64 v121, v[1:2], v[3:4] offset0:72 offset1:73
	v_mov_b32_e32 v4, s38
	buffer_load_dword v1, v4, s[0:3], 0 offen
	buffer_load_dword v2, v4, s[0:3], 0 offen offset:4
	buffer_load_dword v3, v4, s[0:3], 0 offen offset:8
	s_nop 0
	buffer_load_dword v4, v4, s[0:3], 0 offen offset:12
	;; [unrolled: 17-line block ×13, first 2 shown]
	s_waitcnt vmcnt(0)
	ds_write2_b64 v121, v[1:2], v[3:4] offset0:118 offset1:119
	v_mov_b32_e32 v4, s42
	buffer_load_dword v1, v4, s[0:3], 0 offen
	buffer_load_dword v2, v4, s[0:3], 0 offen offset:4
	buffer_load_dword v3, v4, s[0:3], 0 offen offset:8
	s_nop 0
	buffer_load_dword v4, v4, s[0:3], 0 offen offset:12
	s_waitcnt vmcnt(0)
	ds_write2_b64 v121, v[1:2], v[3:4] offset0:120 offset1:121
	v_mov_b32_e32 v4, s6
	buffer_load_dword v1, v4, s[0:3], 0 offen
	buffer_load_dword v2, v4, s[0:3], 0 offen offset:4
	buffer_load_dword v3, v4, s[0:3], 0 offen offset:8
	s_nop 0
	buffer_load_dword v4, v4, s[0:3], 0 offen offset:12
	s_waitcnt vmcnt(0)
	ds_write2_b64 v121, v[1:2], v[3:4] offset0:122 offset1:123
	ds_read2_b64 v[1:4], v125 offset1:1
	s_waitcnt lgkmcnt(0)
	v_cmp_neq_f64_e32 vcc, 0, v[1:2]
	v_cmp_neq_f64_e64 s[6:7], 0, v[3:4]
	s_or_b64 s[6:7], vcc, s[6:7]
	s_and_b64 exec, exec, s[6:7]
	s_cbranch_execz .LBB123_386
; %bb.381:
	v_cmp_ngt_f64_e64 s[6:7], |v[1:2]|, |v[3:4]|
                                        ; implicit-def: $vgpr5_vgpr6
	s_and_saveexec_b64 s[10:11], s[6:7]
	s_xor_b64 s[6:7], exec, s[10:11]
                                        ; implicit-def: $vgpr7_vgpr8
	s_cbranch_execz .LBB123_383
; %bb.382:
	v_div_scale_f64 v[5:6], s[10:11], v[3:4], v[3:4], v[1:2]
	v_rcp_f64_e32 v[7:8], v[5:6]
	v_fma_f64 v[10:11], -v[5:6], v[7:8], 1.0
	v_fma_f64 v[7:8], v[7:8], v[10:11], v[7:8]
	v_div_scale_f64 v[10:11], vcc, v[1:2], v[3:4], v[1:2]
	v_fma_f64 v[12:13], -v[5:6], v[7:8], 1.0
	v_fma_f64 v[7:8], v[7:8], v[12:13], v[7:8]
	v_mul_f64 v[12:13], v[10:11], v[7:8]
	v_fma_f64 v[5:6], -v[5:6], v[12:13], v[10:11]
	v_div_fmas_f64 v[5:6], v[5:6], v[7:8], v[12:13]
	v_div_fixup_f64 v[5:6], v[5:6], v[3:4], v[1:2]
	v_fma_f64 v[1:2], v[1:2], v[5:6], v[3:4]
	v_div_scale_f64 v[3:4], s[10:11], v[1:2], v[1:2], 1.0
	v_div_scale_f64 v[12:13], vcc, 1.0, v[1:2], 1.0
	v_rcp_f64_e32 v[7:8], v[3:4]
	v_fma_f64 v[10:11], -v[3:4], v[7:8], 1.0
	v_fma_f64 v[7:8], v[7:8], v[10:11], v[7:8]
	v_fma_f64 v[10:11], -v[3:4], v[7:8], 1.0
	v_fma_f64 v[7:8], v[7:8], v[10:11], v[7:8]
	v_mul_f64 v[10:11], v[12:13], v[7:8]
	v_fma_f64 v[3:4], -v[3:4], v[10:11], v[12:13]
	v_div_fmas_f64 v[3:4], v[3:4], v[7:8], v[10:11]
	v_div_fixup_f64 v[7:8], v[3:4], v[1:2], 1.0
                                        ; implicit-def: $vgpr1_vgpr2
	v_mul_f64 v[5:6], v[5:6], v[7:8]
	v_xor_b32_e32 v8, 0x80000000, v8
.LBB123_383:
	s_andn2_saveexec_b64 s[6:7], s[6:7]
	s_cbranch_execz .LBB123_385
; %bb.384:
	v_div_scale_f64 v[5:6], s[10:11], v[1:2], v[1:2], v[3:4]
	v_rcp_f64_e32 v[7:8], v[5:6]
	v_fma_f64 v[10:11], -v[5:6], v[7:8], 1.0
	v_fma_f64 v[7:8], v[7:8], v[10:11], v[7:8]
	v_div_scale_f64 v[10:11], vcc, v[3:4], v[1:2], v[3:4]
	v_fma_f64 v[12:13], -v[5:6], v[7:8], 1.0
	v_fma_f64 v[7:8], v[7:8], v[12:13], v[7:8]
	v_mul_f64 v[12:13], v[10:11], v[7:8]
	v_fma_f64 v[5:6], -v[5:6], v[12:13], v[10:11]
	v_div_fmas_f64 v[5:6], v[5:6], v[7:8], v[12:13]
	v_div_fixup_f64 v[7:8], v[5:6], v[1:2], v[3:4]
	v_fma_f64 v[1:2], v[3:4], v[7:8], v[1:2]
	v_div_scale_f64 v[3:4], s[10:11], v[1:2], v[1:2], 1.0
	v_div_scale_f64 v[12:13], vcc, 1.0, v[1:2], 1.0
	v_rcp_f64_e32 v[5:6], v[3:4]
	v_fma_f64 v[10:11], -v[3:4], v[5:6], 1.0
	v_fma_f64 v[5:6], v[5:6], v[10:11], v[5:6]
	v_fma_f64 v[10:11], -v[3:4], v[5:6], 1.0
	v_fma_f64 v[5:6], v[5:6], v[10:11], v[5:6]
	v_mul_f64 v[10:11], v[12:13], v[5:6]
	v_fma_f64 v[3:4], -v[3:4], v[10:11], v[12:13]
	v_div_fmas_f64 v[3:4], v[3:4], v[5:6], v[10:11]
	v_div_fixup_f64 v[5:6], v[3:4], v[1:2], 1.0
	v_mul_f64 v[7:8], v[7:8], -v[5:6]
.LBB123_385:
	s_or_b64 exec, exec, s[6:7]
	ds_write2_b64 v125, v[5:6], v[7:8] offset1:1
.LBB123_386:
	s_or_b64 exec, exec, s[8:9]
	s_waitcnt lgkmcnt(0)
	s_barrier
	ds_read2_b64 v[24:27], v125 offset1:1
	v_cmp_lt_u32_e32 vcc, 30, v0
	s_and_saveexec_b64 s[6:7], vcc
	s_cbranch_execz .LBB123_391
; %bb.387:
	buffer_load_dword v1, off, s[0:3], 0 offset:488
	buffer_load_dword v2, off, s[0:3], 0 offset:492
	;; [unrolled: 1-line block ×4, first 2 shown]
	s_mov_b32 s10, 0
	s_waitcnt vmcnt(2) lgkmcnt(0)
	v_mul_f64 v[5:6], v[26:27], v[1:2]
	v_mul_f64 v[7:8], v[24:25], v[1:2]
	s_waitcnt vmcnt(0)
	v_fma_f64 v[1:2], v[24:25], v[3:4], -v[5:6]
	v_fma_f64 v[3:4], v[26:27], v[3:4], v[7:8]
	buffer_store_dword v1, off, s[0:3], 0 offset:480
	buffer_store_dword v2, off, s[0:3], 0 offset:484
	buffer_store_dword v3, off, s[0:3], 0 offset:488
	buffer_store_dword v4, off, s[0:3], 0 offset:492
	s_branch .LBB123_389
.LBB123_388:                            ;   in Loop: Header=BB123_389 Depth=1
	s_andn2_b64 vcc, exec, s[8:9]
	s_cbranch_vccz .LBB123_391
.LBB123_389:                            ; =>This Inner Loop Header: Depth=1
	v_add_u32_e32 v5, 0x1f0, v9
	v_add_u32_e32 v5, s10, v5
	ds_read2_b64 v[10:13], v5 offset1:1
	v_mov_b32_e32 v8, s10
	s_mov_b32 s11, s10
	s_mov_b64 s[8:9], -1
	s_cmpk_eq_i32 s10, 0x1c0
	s_waitcnt lgkmcnt(0)
	v_mul_f64 v[6:7], v[12:13], v[3:4]
	v_fma_f64 v[6:7], v[10:11], v[1:2], -v[6:7]
	v_mul_f64 v[10:11], v[10:11], v[3:4]
	v_fma_f64 v[10:11], v[12:13], v[1:2], v[10:11]
	buffer_load_dword v12, v8, s[0:3], 0 offen offset:496
	buffer_load_dword v13, v8, s[0:3], 0 offen offset:500
	;; [unrolled: 1-line block ×12, first 2 shown]
	s_waitcnt vmcnt(10)
	v_add_f64 v[6:7], v[12:13], -v[6:7]
	s_waitcnt vmcnt(8)
	v_add_f64 v[10:11], v[14:15], -v[10:11]
	buffer_store_dword v6, v8, s[0:3], 0 offen offset:496
	buffer_store_dword v7, v8, s[0:3], 0 offen offset:500
	;; [unrolled: 1-line block ×4, first 2 shown]
	ds_read2_b64 v[10:13], v5 offset0:2 offset1:3
	s_waitcnt lgkmcnt(0)
	v_mul_f64 v[6:7], v[12:13], v[3:4]
	v_fma_f64 v[6:7], v[10:11], v[1:2], -v[6:7]
	v_mul_f64 v[10:11], v[10:11], v[3:4]
	s_waitcnt vmcnt(10)
	v_add_f64 v[6:7], v[16:17], -v[6:7]
	v_fma_f64 v[10:11], v[12:13], v[1:2], v[10:11]
	s_waitcnt vmcnt(8)
	v_add_f64 v[10:11], v[18:19], -v[10:11]
	buffer_store_dword v6, v8, s[0:3], 0 offen offset:512
	buffer_store_dword v7, v8, s[0:3], 0 offen offset:516
	;; [unrolled: 1-line block ×4, first 2 shown]
	ds_read2_b64 v[10:13], v5 offset0:4 offset1:5
	s_waitcnt lgkmcnt(0)
	v_mul_f64 v[6:7], v[12:13], v[3:4]
	v_fma_f64 v[6:7], v[10:11], v[1:2], -v[6:7]
	v_mul_f64 v[10:11], v[10:11], v[3:4]
	s_waitcnt vmcnt(10)
	v_add_f64 v[6:7], v[20:21], -v[6:7]
	v_fma_f64 v[10:11], v[12:13], v[1:2], v[10:11]
	s_waitcnt vmcnt(8)
	v_add_f64 v[10:11], v[22:23], -v[10:11]
	buffer_store_dword v6, v8, s[0:3], 0 offen offset:528
	buffer_store_dword v7, v8, s[0:3], 0 offen offset:532
	;; [unrolled: 1-line block ×4, first 2 shown]
	s_cbranch_scc1 .LBB123_388
; %bb.390:                              ;   in Loop: Header=BB123_389 Depth=1
	ds_read2_b64 v[5:8], v5 offset0:6 offset1:7
	v_mov_b32_e32 v14, s11
	s_add_i32 s10, s10, 64
	s_mov_b64 s[8:9], 0
	s_waitcnt lgkmcnt(0)
	v_mul_f64 v[10:11], v[7:8], v[3:4]
	v_fma_f64 v[10:11], v[5:6], v[1:2], -v[10:11]
	v_mul_f64 v[5:6], v[5:6], v[3:4]
	v_fma_f64 v[5:6], v[7:8], v[1:2], v[5:6]
	buffer_load_dword v7, v14, s[0:3], 0 offen offset:544
	buffer_load_dword v8, v14, s[0:3], 0 offen offset:548
	;; [unrolled: 1-line block ×4, first 2 shown]
	s_waitcnt vmcnt(2)
	v_add_f64 v[7:8], v[7:8], -v[10:11]
	s_waitcnt vmcnt(0)
	v_add_f64 v[5:6], v[12:13], -v[5:6]
	buffer_store_dword v7, v14, s[0:3], 0 offen offset:544
	buffer_store_dword v8, v14, s[0:3], 0 offen offset:548
	;; [unrolled: 1-line block ×4, first 2 shown]
	s_branch .LBB123_388
.LBB123_391:
	s_or_b64 exec, exec, s[6:7]
	v_cmp_eq_u32_e32 vcc, 31, v0
	s_waitcnt vmcnt(0) lgkmcnt(0)
	s_barrier
	s_and_saveexec_b64 s[8:9], vcc
	s_cbranch_execz .LBB123_398
; %bb.392:
	v_readlane_b32 s6, v126, 8
	v_mov_b32_e32 v4, s6
	buffer_load_dword v1, v4, s[0:3], 0 offen
	buffer_load_dword v2, v4, s[0:3], 0 offen offset:4
	buffer_load_dword v3, v4, s[0:3], 0 offen offset:8
	s_nop 0
	buffer_load_dword v4, v4, s[0:3], 0 offen offset:12
	v_readlane_b32 s6, v126, 9
	s_waitcnt vmcnt(0)
	ds_write2_b64 v125, v[1:2], v[3:4] offset1:1
	v_mov_b32_e32 v4, s95
	buffer_load_dword v1, v4, s[0:3], 0 offen
	buffer_load_dword v2, v4, s[0:3], 0 offen offset:4
	buffer_load_dword v3, v4, s[0:3], 0 offen offset:8
	s_nop 0
	buffer_load_dword v4, v4, s[0:3], 0 offen offset:12
	s_waitcnt vmcnt(0)
	ds_write2_b64 v121, v[1:2], v[3:4] offset0:64 offset1:65
	v_mov_b32_e32 v4, s6
	buffer_load_dword v1, v4, s[0:3], 0 offen
	buffer_load_dword v2, v4, s[0:3], 0 offen offset:4
	buffer_load_dword v3, v4, s[0:3], 0 offen offset:8
	s_nop 0
	buffer_load_dword v4, v4, s[0:3], 0 offen offset:12
	v_readlane_b32 s6, v126, 10
	s_waitcnt vmcnt(0)
	ds_write2_b64 v121, v[1:2], v[3:4] offset0:66 offset1:67
	v_mov_b32_e32 v4, s6
	buffer_load_dword v1, v4, s[0:3], 0 offen
	buffer_load_dword v2, v4, s[0:3], 0 offen offset:4
	buffer_load_dword v3, v4, s[0:3], 0 offen offset:8
	s_nop 0
	buffer_load_dword v4, v4, s[0:3], 0 offen offset:12
	v_readlane_b32 s6, v126, 11
	s_waitcnt vmcnt(0)
	ds_write2_b64 v121, v[1:2], v[3:4] offset0:68 offset1:69
	v_mov_b32_e32 v4, s40
	buffer_load_dword v1, v4, s[0:3], 0 offen
	buffer_load_dword v2, v4, s[0:3], 0 offen offset:4
	buffer_load_dword v3, v4, s[0:3], 0 offen offset:8
	s_nop 0
	buffer_load_dword v4, v4, s[0:3], 0 offen offset:12
	s_waitcnt vmcnt(0)
	ds_write2_b64 v121, v[1:2], v[3:4] offset0:70 offset1:71
	v_mov_b32_e32 v4, s6
	buffer_load_dword v1, v4, s[0:3], 0 offen
	buffer_load_dword v2, v4, s[0:3], 0 offen offset:4
	buffer_load_dword v3, v4, s[0:3], 0 offen offset:8
	s_nop 0
	buffer_load_dword v4, v4, s[0:3], 0 offen offset:12
	v_readlane_b32 s6, v126, 12
	s_waitcnt vmcnt(0)
	ds_write2_b64 v121, v[1:2], v[3:4] offset0:72 offset1:73
	v_mov_b32_e32 v4, s38
	buffer_load_dword v1, v4, s[0:3], 0 offen
	buffer_load_dword v2, v4, s[0:3], 0 offen offset:4
	buffer_load_dword v3, v4, s[0:3], 0 offen offset:8
	s_nop 0
	buffer_load_dword v4, v4, s[0:3], 0 offen offset:12
	;; [unrolled: 17-line block ×13, first 2 shown]
	s_waitcnt vmcnt(0)
	ds_write2_b64 v121, v[1:2], v[3:4] offset0:118 offset1:119
	v_mov_b32_e32 v4, s42
	buffer_load_dword v1, v4, s[0:3], 0 offen
	buffer_load_dword v2, v4, s[0:3], 0 offen offset:4
	buffer_load_dword v3, v4, s[0:3], 0 offen offset:8
	s_nop 0
	buffer_load_dword v4, v4, s[0:3], 0 offen offset:12
	s_waitcnt vmcnt(0)
	ds_write2_b64 v121, v[1:2], v[3:4] offset0:120 offset1:121
	v_mov_b32_e32 v4, s6
	buffer_load_dword v1, v4, s[0:3], 0 offen
	buffer_load_dword v2, v4, s[0:3], 0 offen offset:4
	buffer_load_dword v3, v4, s[0:3], 0 offen offset:8
	s_nop 0
	buffer_load_dword v4, v4, s[0:3], 0 offen offset:12
	s_waitcnt vmcnt(0)
	ds_write2_b64 v121, v[1:2], v[3:4] offset0:122 offset1:123
	ds_read2_b64 v[1:4], v125 offset1:1
	s_waitcnt lgkmcnt(0)
	v_cmp_neq_f64_e32 vcc, 0, v[1:2]
	v_cmp_neq_f64_e64 s[6:7], 0, v[3:4]
	s_or_b64 s[6:7], vcc, s[6:7]
	s_and_b64 exec, exec, s[6:7]
	s_cbranch_execz .LBB123_398
; %bb.393:
	v_cmp_ngt_f64_e64 s[6:7], |v[1:2]|, |v[3:4]|
                                        ; implicit-def: $vgpr5_vgpr6
	s_and_saveexec_b64 s[10:11], s[6:7]
	s_xor_b64 s[6:7], exec, s[10:11]
                                        ; implicit-def: $vgpr7_vgpr8
	s_cbranch_execz .LBB123_395
; %bb.394:
	v_div_scale_f64 v[5:6], s[10:11], v[3:4], v[3:4], v[1:2]
	v_rcp_f64_e32 v[7:8], v[5:6]
	v_fma_f64 v[10:11], -v[5:6], v[7:8], 1.0
	v_fma_f64 v[7:8], v[7:8], v[10:11], v[7:8]
	v_div_scale_f64 v[10:11], vcc, v[1:2], v[3:4], v[1:2]
	v_fma_f64 v[12:13], -v[5:6], v[7:8], 1.0
	v_fma_f64 v[7:8], v[7:8], v[12:13], v[7:8]
	v_mul_f64 v[12:13], v[10:11], v[7:8]
	v_fma_f64 v[5:6], -v[5:6], v[12:13], v[10:11]
	v_div_fmas_f64 v[5:6], v[5:6], v[7:8], v[12:13]
	v_div_fixup_f64 v[5:6], v[5:6], v[3:4], v[1:2]
	v_fma_f64 v[1:2], v[1:2], v[5:6], v[3:4]
	v_div_scale_f64 v[3:4], s[10:11], v[1:2], v[1:2], 1.0
	v_div_scale_f64 v[12:13], vcc, 1.0, v[1:2], 1.0
	v_rcp_f64_e32 v[7:8], v[3:4]
	v_fma_f64 v[10:11], -v[3:4], v[7:8], 1.0
	v_fma_f64 v[7:8], v[7:8], v[10:11], v[7:8]
	v_fma_f64 v[10:11], -v[3:4], v[7:8], 1.0
	v_fma_f64 v[7:8], v[7:8], v[10:11], v[7:8]
	v_mul_f64 v[10:11], v[12:13], v[7:8]
	v_fma_f64 v[3:4], -v[3:4], v[10:11], v[12:13]
	v_div_fmas_f64 v[3:4], v[3:4], v[7:8], v[10:11]
	v_div_fixup_f64 v[7:8], v[3:4], v[1:2], 1.0
                                        ; implicit-def: $vgpr1_vgpr2
	v_mul_f64 v[5:6], v[5:6], v[7:8]
	v_xor_b32_e32 v8, 0x80000000, v8
.LBB123_395:
	s_andn2_saveexec_b64 s[6:7], s[6:7]
	s_cbranch_execz .LBB123_397
; %bb.396:
	v_div_scale_f64 v[5:6], s[10:11], v[1:2], v[1:2], v[3:4]
	v_rcp_f64_e32 v[7:8], v[5:6]
	v_fma_f64 v[10:11], -v[5:6], v[7:8], 1.0
	v_fma_f64 v[7:8], v[7:8], v[10:11], v[7:8]
	v_div_scale_f64 v[10:11], vcc, v[3:4], v[1:2], v[3:4]
	v_fma_f64 v[12:13], -v[5:6], v[7:8], 1.0
	v_fma_f64 v[7:8], v[7:8], v[12:13], v[7:8]
	v_mul_f64 v[12:13], v[10:11], v[7:8]
	v_fma_f64 v[5:6], -v[5:6], v[12:13], v[10:11]
	v_div_fmas_f64 v[5:6], v[5:6], v[7:8], v[12:13]
	v_div_fixup_f64 v[7:8], v[5:6], v[1:2], v[3:4]
	v_fma_f64 v[1:2], v[3:4], v[7:8], v[1:2]
	v_div_scale_f64 v[3:4], s[10:11], v[1:2], v[1:2], 1.0
	v_div_scale_f64 v[12:13], vcc, 1.0, v[1:2], 1.0
	v_rcp_f64_e32 v[5:6], v[3:4]
	v_fma_f64 v[10:11], -v[3:4], v[5:6], 1.0
	v_fma_f64 v[5:6], v[5:6], v[10:11], v[5:6]
	v_fma_f64 v[10:11], -v[3:4], v[5:6], 1.0
	v_fma_f64 v[5:6], v[5:6], v[10:11], v[5:6]
	v_mul_f64 v[10:11], v[12:13], v[5:6]
	v_fma_f64 v[3:4], -v[3:4], v[10:11], v[12:13]
	v_div_fmas_f64 v[3:4], v[3:4], v[5:6], v[10:11]
	v_div_fixup_f64 v[5:6], v[3:4], v[1:2], 1.0
	v_mul_f64 v[7:8], v[7:8], -v[5:6]
.LBB123_397:
	s_or_b64 exec, exec, s[6:7]
	ds_write2_b64 v125, v[5:6], v[7:8] offset1:1
.LBB123_398:
	s_or_b64 exec, exec, s[8:9]
	buffer_store_dword v24, off, s[0:3], 0 offset:2024 ; 4-byte Folded Spill
	s_nop 0
	buffer_store_dword v25, off, s[0:3], 0 offset:2028 ; 4-byte Folded Spill
	buffer_store_dword v26, off, s[0:3], 0 offset:2032 ; 4-byte Folded Spill
	;; [unrolled: 1-line block ×4, first 2 shown]
	s_nop 0
	buffer_store_dword v29, off, s[0:3], 0 offset:1948 ; 4-byte Folded Spill
	buffer_store_dword v30, off, s[0:3], 0 offset:1952 ; 4-byte Folded Spill
	;; [unrolled: 1-line block ×3, first 2 shown]
	s_waitcnt vmcnt(0) lgkmcnt(0)
	s_barrier
	ds_read2_b64 v[1:4], v125 offset1:1
	v_cmp_lt_u32_e32 vcc, 31, v0
	s_waitcnt lgkmcnt(0)
	buffer_store_dword v1, off, s[0:3], 0 offset:1888 ; 4-byte Folded Spill
	s_nop 0
	buffer_store_dword v2, off, s[0:3], 0 offset:1892 ; 4-byte Folded Spill
	buffer_store_dword v3, off, s[0:3], 0 offset:1896 ; 4-byte Folded Spill
	buffer_store_dword v4, off, s[0:3], 0 offset:1900 ; 4-byte Folded Spill
	s_and_saveexec_b64 s[6:7], vcc
	s_cbranch_execz .LBB123_401
; %bb.399:
	buffer_load_dword v1, off, s[0:3], 0 offset:504
	buffer_load_dword v2, off, s[0:3], 0 offset:508
	;; [unrolled: 1-line block ×4, first 2 shown]
	buffer_load_dword v10, off, s[0:3], 0 offset:1888 ; 4-byte Folded Reload
	buffer_load_dword v11, off, s[0:3], 0 offset:1892 ; 4-byte Folded Reload
	;; [unrolled: 1-line block ×4, first 2 shown]
	s_mov_b32 s8, 0
	s_waitcnt vmcnt(0)
	v_mul_f64 v[5:6], v[12:13], v[1:2]
	v_mul_f64 v[1:2], v[10:11], v[1:2]
	v_fma_f64 v[5:6], v[10:11], v[3:4], -v[5:6]
	v_fma_f64 v[7:8], v[12:13], v[3:4], v[1:2]
	v_add_u32_e32 v1, 0x200, v9
	buffer_store_dword v5, off, s[0:3], 0 offset:496
	buffer_store_dword v6, off, s[0:3], 0 offset:500
	;; [unrolled: 1-line block ×4, first 2 shown]
.LBB123_400:                            ; =>This Inner Loop Header: Depth=1
	v_add_u32_e32 v3, s8, v1
	ds_read2_b64 v[9:12], v3 offset1:1
	v_mov_b32_e32 v2, s8
	s_addk_i32 s8, 0x60
	s_cmpk_lg_i32 s8, 0x1e0
	s_waitcnt lgkmcnt(0)
	v_mul_f64 v[13:14], v[11:12], v[7:8]
	v_fma_f64 v[13:14], v[9:10], v[5:6], -v[13:14]
	v_mul_f64 v[9:10], v[9:10], v[7:8]
	v_fma_f64 v[9:10], v[11:12], v[5:6], v[9:10]
	buffer_load_dword v11, v2, s[0:3], 0 offen offset:512
	buffer_load_dword v12, v2, s[0:3], 0 offen offset:516
	;; [unrolled: 1-line block ×16, first 2 shown]
	s_waitcnt vmcnt(14)
	v_add_f64 v[11:12], v[11:12], -v[13:14]
	s_waitcnt vmcnt(12)
	v_add_f64 v[9:10], v[15:16], -v[9:10]
	buffer_store_dword v11, v2, s[0:3], 0 offen offset:512
	buffer_store_dword v12, v2, s[0:3], 0 offen offset:516
	buffer_store_dword v9, v2, s[0:3], 0 offen offset:520
	buffer_store_dword v10, v2, s[0:3], 0 offen offset:524
	ds_read2_b64 v[9:12], v3 offset0:2 offset1:3
	s_waitcnt lgkmcnt(0)
	v_mul_f64 v[13:14], v[11:12], v[7:8]
	v_fma_f64 v[13:14], v[9:10], v[5:6], -v[13:14]
	v_mul_f64 v[9:10], v[9:10], v[7:8]
	v_fma_f64 v[9:10], v[11:12], v[5:6], v[9:10]
	s_waitcnt vmcnt(14)
	v_add_f64 v[11:12], v[17:18], -v[13:14]
	s_waitcnt vmcnt(12)
	v_add_f64 v[9:10], v[19:20], -v[9:10]
	buffer_store_dword v11, v2, s[0:3], 0 offen offset:528
	buffer_store_dword v12, v2, s[0:3], 0 offen offset:532
	buffer_store_dword v9, v2, s[0:3], 0 offen offset:536
	buffer_store_dword v10, v2, s[0:3], 0 offen offset:540
	ds_read2_b64 v[9:12], v3 offset0:4 offset1:5
	s_waitcnt lgkmcnt(0)
	v_mul_f64 v[13:14], v[11:12], v[7:8]
	v_fma_f64 v[13:14], v[9:10], v[5:6], -v[13:14]
	v_mul_f64 v[9:10], v[9:10], v[7:8]
	v_fma_f64 v[9:10], v[11:12], v[5:6], v[9:10]
	;; [unrolled: 14-line block ×4, first 2 shown]
	buffer_load_dword v11, v2, s[0:3], 0 offen offset:576
	buffer_load_dword v12, v2, s[0:3], 0 offen offset:580
	;; [unrolled: 1-line block ×4, first 2 shown]
	s_waitcnt vmcnt(2)
	v_add_f64 v[11:12], v[11:12], -v[13:14]
	s_waitcnt vmcnt(0)
	v_add_f64 v[9:10], v[15:16], -v[9:10]
	buffer_store_dword v12, v2, s[0:3], 0 offen offset:580
	buffer_store_dword v11, v2, s[0:3], 0 offen offset:576
	;; [unrolled: 1-line block ×4, first 2 shown]
	ds_read2_b64 v[9:12], v3 offset0:10 offset1:11
	s_waitcnt lgkmcnt(0)
	v_mul_f64 v[3:4], v[11:12], v[7:8]
	v_fma_f64 v[3:4], v[9:10], v[5:6], -v[3:4]
	v_mul_f64 v[9:10], v[9:10], v[7:8]
	v_fma_f64 v[9:10], v[11:12], v[5:6], v[9:10]
	buffer_load_dword v11, v2, s[0:3], 0 offen offset:592
	buffer_load_dword v12, v2, s[0:3], 0 offen offset:596
	;; [unrolled: 1-line block ×4, first 2 shown]
	s_waitcnt vmcnt(2)
	v_add_f64 v[3:4], v[11:12], -v[3:4]
	s_waitcnt vmcnt(0)
	v_add_f64 v[9:10], v[13:14], -v[9:10]
	buffer_store_dword v4, v2, s[0:3], 0 offen offset:596
	buffer_store_dword v3, v2, s[0:3], 0 offen offset:592
	;; [unrolled: 1-line block ×4, first 2 shown]
	s_cbranch_scc1 .LBB123_400
.LBB123_401:
	s_or_b64 exec, exec, s[6:7]
	v_cmp_eq_u32_e32 vcc, 32, v0
	s_waitcnt vmcnt(0)
	s_barrier
	s_and_saveexec_b64 s[8:9], vcc
	s_cbranch_execz .LBB123_408
; %bb.402:
	v_mov_b32_e32 v4, s95
	buffer_load_dword v1, v4, s[0:3], 0 offen
	buffer_load_dword v2, v4, s[0:3], 0 offen offset:4
	buffer_load_dword v3, v4, s[0:3], 0 offen offset:8
	s_nop 0
	buffer_load_dword v4, v4, s[0:3], 0 offen offset:12
	v_readlane_b32 s6, v126, 9
	s_waitcnt vmcnt(0)
	ds_write2_b64 v125, v[1:2], v[3:4] offset1:1
	v_mov_b32_e32 v4, s6
	buffer_load_dword v1, v4, s[0:3], 0 offen
	buffer_load_dword v2, v4, s[0:3], 0 offen offset:4
	buffer_load_dword v3, v4, s[0:3], 0 offen offset:8
	s_nop 0
	buffer_load_dword v4, v4, s[0:3], 0 offen offset:12
	v_readlane_b32 s6, v126, 10
	s_waitcnt vmcnt(0)
	ds_write2_b64 v121, v[1:2], v[3:4] offset0:66 offset1:67
	v_mov_b32_e32 v4, s6
	buffer_load_dword v1, v4, s[0:3], 0 offen
	buffer_load_dword v2, v4, s[0:3], 0 offen offset:4
	buffer_load_dword v3, v4, s[0:3], 0 offen offset:8
	s_nop 0
	buffer_load_dword v4, v4, s[0:3], 0 offen offset:12
	v_readlane_b32 s6, v126, 11
	s_waitcnt vmcnt(0)
	ds_write2_b64 v121, v[1:2], v[3:4] offset0:68 offset1:69
	v_mov_b32_e32 v4, s40
	buffer_load_dword v1, v4, s[0:3], 0 offen
	buffer_load_dword v2, v4, s[0:3], 0 offen offset:4
	buffer_load_dword v3, v4, s[0:3], 0 offen offset:8
	s_nop 0
	buffer_load_dword v4, v4, s[0:3], 0 offen offset:12
	s_waitcnt vmcnt(0)
	ds_write2_b64 v121, v[1:2], v[3:4] offset0:70 offset1:71
	v_mov_b32_e32 v4, s6
	buffer_load_dword v1, v4, s[0:3], 0 offen
	buffer_load_dword v2, v4, s[0:3], 0 offen offset:4
	buffer_load_dword v3, v4, s[0:3], 0 offen offset:8
	s_nop 0
	buffer_load_dword v4, v4, s[0:3], 0 offen offset:12
	v_readlane_b32 s6, v126, 12
	s_waitcnt vmcnt(0)
	ds_write2_b64 v121, v[1:2], v[3:4] offset0:72 offset1:73
	v_mov_b32_e32 v4, s38
	buffer_load_dword v1, v4, s[0:3], 0 offen
	buffer_load_dword v2, v4, s[0:3], 0 offen offset:4
	buffer_load_dword v3, v4, s[0:3], 0 offen offset:8
	s_nop 0
	buffer_load_dword v4, v4, s[0:3], 0 offen offset:12
	;; [unrolled: 17-line block ×13, first 2 shown]
	s_waitcnt vmcnt(0)
	ds_write2_b64 v121, v[1:2], v[3:4] offset0:118 offset1:119
	v_mov_b32_e32 v4, s42
	buffer_load_dword v1, v4, s[0:3], 0 offen
	buffer_load_dword v2, v4, s[0:3], 0 offen offset:4
	buffer_load_dword v3, v4, s[0:3], 0 offen offset:8
	s_nop 0
	buffer_load_dword v4, v4, s[0:3], 0 offen offset:12
	s_waitcnt vmcnt(0)
	ds_write2_b64 v121, v[1:2], v[3:4] offset0:120 offset1:121
	v_mov_b32_e32 v4, s6
	buffer_load_dword v1, v4, s[0:3], 0 offen
	buffer_load_dword v2, v4, s[0:3], 0 offen offset:4
	buffer_load_dword v3, v4, s[0:3], 0 offen offset:8
	s_nop 0
	buffer_load_dword v4, v4, s[0:3], 0 offen offset:12
	s_waitcnt vmcnt(0)
	ds_write2_b64 v121, v[1:2], v[3:4] offset0:122 offset1:123
	ds_read2_b64 v[5:8], v125 offset1:1
	s_waitcnt lgkmcnt(0)
	v_cmp_neq_f64_e32 vcc, 0, v[5:6]
	v_cmp_neq_f64_e64 s[6:7], 0, v[7:8]
	s_or_b64 s[6:7], vcc, s[6:7]
	s_and_b64 exec, exec, s[6:7]
	s_cbranch_execz .LBB123_408
; %bb.403:
	v_cmp_ngt_f64_e64 s[6:7], |v[5:6]|, |v[7:8]|
                                        ; implicit-def: $vgpr1_vgpr2
	s_and_saveexec_b64 s[10:11], s[6:7]
	s_xor_b64 s[6:7], exec, s[10:11]
                                        ; implicit-def: $vgpr3_vgpr4
	s_cbranch_execz .LBB123_405
; %bb.404:
	v_div_scale_f64 v[1:2], s[10:11], v[7:8], v[7:8], v[5:6]
	v_rcp_f64_e32 v[3:4], v[1:2]
	v_fma_f64 v[9:10], -v[1:2], v[3:4], 1.0
	v_fma_f64 v[3:4], v[3:4], v[9:10], v[3:4]
	v_div_scale_f64 v[9:10], vcc, v[5:6], v[7:8], v[5:6]
	v_fma_f64 v[11:12], -v[1:2], v[3:4], 1.0
	v_fma_f64 v[3:4], v[3:4], v[11:12], v[3:4]
	v_mul_f64 v[11:12], v[9:10], v[3:4]
	v_fma_f64 v[1:2], -v[1:2], v[11:12], v[9:10]
	v_div_fmas_f64 v[1:2], v[1:2], v[3:4], v[11:12]
	v_div_fixup_f64 v[1:2], v[1:2], v[7:8], v[5:6]
	v_fma_f64 v[3:4], v[5:6], v[1:2], v[7:8]
	v_div_scale_f64 v[5:6], s[10:11], v[3:4], v[3:4], 1.0
	v_div_scale_f64 v[11:12], vcc, 1.0, v[3:4], 1.0
	v_rcp_f64_e32 v[7:8], v[5:6]
	v_fma_f64 v[9:10], -v[5:6], v[7:8], 1.0
	v_fma_f64 v[7:8], v[7:8], v[9:10], v[7:8]
	v_fma_f64 v[9:10], -v[5:6], v[7:8], 1.0
	v_fma_f64 v[7:8], v[7:8], v[9:10], v[7:8]
	v_mul_f64 v[9:10], v[11:12], v[7:8]
	v_fma_f64 v[5:6], -v[5:6], v[9:10], v[11:12]
	v_div_fmas_f64 v[5:6], v[5:6], v[7:8], v[9:10]
	v_div_fixup_f64 v[3:4], v[5:6], v[3:4], 1.0
                                        ; implicit-def: $vgpr5_vgpr6
	v_mul_f64 v[1:2], v[1:2], v[3:4]
	v_xor_b32_e32 v4, 0x80000000, v4
.LBB123_405:
	s_andn2_saveexec_b64 s[6:7], s[6:7]
	s_cbranch_execz .LBB123_407
; %bb.406:
	v_div_scale_f64 v[1:2], s[10:11], v[5:6], v[5:6], v[7:8]
	v_rcp_f64_e32 v[3:4], v[1:2]
	v_fma_f64 v[9:10], -v[1:2], v[3:4], 1.0
	v_fma_f64 v[3:4], v[3:4], v[9:10], v[3:4]
	v_div_scale_f64 v[9:10], vcc, v[7:8], v[5:6], v[7:8]
	v_fma_f64 v[11:12], -v[1:2], v[3:4], 1.0
	v_fma_f64 v[3:4], v[3:4], v[11:12], v[3:4]
	v_mul_f64 v[11:12], v[9:10], v[3:4]
	v_fma_f64 v[1:2], -v[1:2], v[11:12], v[9:10]
	v_div_fmas_f64 v[1:2], v[1:2], v[3:4], v[11:12]
	v_div_fixup_f64 v[3:4], v[1:2], v[5:6], v[7:8]
	v_fma_f64 v[1:2], v[7:8], v[3:4], v[5:6]
	v_div_scale_f64 v[5:6], s[10:11], v[1:2], v[1:2], 1.0
	v_div_scale_f64 v[11:12], vcc, 1.0, v[1:2], 1.0
	v_rcp_f64_e32 v[7:8], v[5:6]
	v_fma_f64 v[9:10], -v[5:6], v[7:8], 1.0
	v_fma_f64 v[7:8], v[7:8], v[9:10], v[7:8]
	v_fma_f64 v[9:10], -v[5:6], v[7:8], 1.0
	v_fma_f64 v[7:8], v[7:8], v[9:10], v[7:8]
	v_mul_f64 v[9:10], v[11:12], v[7:8]
	v_fma_f64 v[5:6], -v[5:6], v[9:10], v[11:12]
	v_div_fmas_f64 v[5:6], v[5:6], v[7:8], v[9:10]
	v_div_fixup_f64 v[1:2], v[5:6], v[1:2], 1.0
	v_mul_f64 v[3:4], v[3:4], -v[1:2]
.LBB123_407:
	s_or_b64 exec, exec, s[6:7]
	ds_write2_b64 v125, v[1:2], v[3:4] offset1:1
.LBB123_408:
	s_or_b64 exec, exec, s[8:9]
	s_waitcnt lgkmcnt(0)
	s_barrier
	ds_read2_b64 v[1:4], v125 offset1:1
	v_cmp_lt_u32_e32 vcc, 32, v0
	s_waitcnt lgkmcnt(0)
	buffer_store_dword v1, off, s[0:3], 0 offset:1904 ; 4-byte Folded Spill
	s_nop 0
	buffer_store_dword v2, off, s[0:3], 0 offset:1908 ; 4-byte Folded Spill
	buffer_store_dword v3, off, s[0:3], 0 offset:1912 ; 4-byte Folded Spill
	;; [unrolled: 1-line block ×3, first 2 shown]
	s_and_saveexec_b64 s[6:7], vcc
	s_cbranch_execz .LBB123_410
; %bb.409:
	buffer_load_dword v1, off, s[0:3], 0 offset:512
	buffer_load_dword v2, off, s[0:3], 0 offset:516
	;; [unrolled: 1-line block ×16, first 2 shown]
	buffer_load_dword v5, off, s[0:3], 0 offset:1904 ; 4-byte Folded Reload
	buffer_load_dword v6, off, s[0:3], 0 offset:1908 ; 4-byte Folded Reload
	;; [unrolled: 1-line block ×4, first 2 shown]
	s_waitcnt vmcnt(0)
	v_mul_f64 v[9:10], v[7:8], v[3:4]
	v_mul_f64 v[3:4], v[5:6], v[3:4]
	v_fma_f64 v[9:10], v[5:6], v[1:2], -v[9:10]
	v_fma_f64 v[11:12], v[7:8], v[1:2], v[3:4]
	buffer_store_dword v9, off, s[0:3], 0 offset:512
	buffer_store_dword v10, off, s[0:3], 0 offset:516
	buffer_store_dword v11, off, s[0:3], 0 offset:520
	buffer_store_dword v12, off, s[0:3], 0 offset:524
	ds_read2_b64 v[1:4], v121 offset0:66 offset1:67
	s_waitcnt lgkmcnt(0)
	v_mul_f64 v[25:26], v[3:4], v[11:12]
	v_fma_f64 v[25:26], v[1:2], v[9:10], -v[25:26]
	v_mul_f64 v[1:2], v[1:2], v[11:12]
	v_fma_f64 v[1:2], v[3:4], v[9:10], v[1:2]
	v_add_f64 v[3:4], v[13:14], -v[25:26]
	v_add_f64 v[1:2], v[15:16], -v[1:2]
	buffer_store_dword v3, off, s[0:3], 0 offset:528
	buffer_store_dword v4, off, s[0:3], 0 offset:532
	buffer_store_dword v1, off, s[0:3], 0 offset:536
	buffer_store_dword v2, off, s[0:3], 0 offset:540
	ds_read2_b64 v[1:4], v121 offset0:68 offset1:69
	s_waitcnt lgkmcnt(0)
	v_mul_f64 v[13:14], v[3:4], v[11:12]
	v_fma_f64 v[13:14], v[1:2], v[9:10], -v[13:14]
	v_mul_f64 v[1:2], v[1:2], v[11:12]
	v_fma_f64 v[1:2], v[3:4], v[9:10], v[1:2]
	v_add_f64 v[3:4], v[17:18], -v[13:14]
	v_add_f64 v[1:2], v[19:20], -v[1:2]
	;; [unrolled: 12-line block ×3, first 2 shown]
	buffer_store_dword v4, off, s[0:3], 0 offset:564
	buffer_store_dword v3, off, s[0:3], 0 offset:560
	buffer_store_dword v1, off, s[0:3], 0 offset:568
	buffer_store_dword v2, off, s[0:3], 0 offset:572
	ds_read2_b64 v[1:4], v121 offset0:72 offset1:73
	s_waitcnt lgkmcnt(0)
	v_mul_f64 v[13:14], v[3:4], v[11:12]
	v_fma_f64 v[13:14], v[1:2], v[9:10], -v[13:14]
	v_mul_f64 v[1:2], v[1:2], v[11:12]
	v_fma_f64 v[1:2], v[3:4], v[9:10], v[1:2]
	buffer_load_dword v3, off, s[0:3], 0 offset:576
	buffer_load_dword v4, off, s[0:3], 0 offset:580
	buffer_load_dword v15, off, s[0:3], 0 offset:584
	buffer_load_dword v16, off, s[0:3], 0 offset:588
	s_waitcnt vmcnt(2)
	v_add_f64 v[3:4], v[3:4], -v[13:14]
	s_waitcnt vmcnt(0)
	v_add_f64 v[1:2], v[15:16], -v[1:2]
	buffer_store_dword v4, off, s[0:3], 0 offset:580
	buffer_store_dword v3, off, s[0:3], 0 offset:576
	buffer_store_dword v2, off, s[0:3], 0 offset:588
	buffer_store_dword v1, off, s[0:3], 0 offset:584
	ds_read2_b64 v[1:4], v121 offset0:74 offset1:75
	s_waitcnt lgkmcnt(0)
	v_mul_f64 v[13:14], v[3:4], v[11:12]
	v_fma_f64 v[13:14], v[1:2], v[9:10], -v[13:14]
	v_mul_f64 v[1:2], v[1:2], v[11:12]
	v_fma_f64 v[1:2], v[3:4], v[9:10], v[1:2]
	buffer_load_dword v3, off, s[0:3], 0 offset:592
	buffer_load_dword v4, off, s[0:3], 0 offset:596
	buffer_load_dword v15, off, s[0:3], 0 offset:600
	buffer_load_dword v16, off, s[0:3], 0 offset:604
	s_waitcnt vmcnt(2)
	v_add_f64 v[3:4], v[3:4], -v[13:14]
	s_waitcnt vmcnt(0)
	v_add_f64 v[1:2], v[15:16], -v[1:2]
	buffer_store_dword v4, off, s[0:3], 0 offset:596
	buffer_store_dword v3, off, s[0:3], 0 offset:592
	buffer_store_dword v2, off, s[0:3], 0 offset:604
	buffer_store_dword v1, off, s[0:3], 0 offset:600
	ds_read2_b64 v[1:4], v121 offset0:76 offset1:77
	s_waitcnt lgkmcnt(0)
	v_mul_f64 v[13:14], v[3:4], v[11:12]
	v_fma_f64 v[13:14], v[1:2], v[9:10], -v[13:14]
	v_mul_f64 v[1:2], v[1:2], v[11:12]
	v_fma_f64 v[1:2], v[3:4], v[9:10], v[1:2]
	buffer_load_dword v3, off, s[0:3], 0 offset:608
	buffer_load_dword v4, off, s[0:3], 0 offset:612
	buffer_load_dword v9, off, s[0:3], 0 offset:616
	buffer_load_dword v10, off, s[0:3], 0 offset:620
	s_waitcnt vmcnt(2)
	v_add_f64 v[3:4], v[3:4], -v[13:14]
	s_waitcnt vmcnt(0)
	v_add_f64 v[1:2], v[9:10], -v[1:2]
	buffer_store_dword v4, off, s[0:3], 0 offset:612
	buffer_store_dword v3, off, s[0:3], 0 offset:608
	;; [unrolled: 1-line block ×4, first 2 shown]
	ds_read2_b64 v[1:4], v121 offset0:78 offset1:79
	buffer_load_dword v9, off, s[0:3], 0 offset:512
	buffer_load_dword v10, off, s[0:3], 0 offset:516
	;; [unrolled: 1-line block ×4, first 2 shown]
	s_waitcnt vmcnt(0) lgkmcnt(0)
	v_mul_f64 v[13:14], v[3:4], v[11:12]
	v_fma_f64 v[13:14], v[1:2], v[9:10], -v[13:14]
	v_mul_f64 v[1:2], v[1:2], v[11:12]
	v_fma_f64 v[1:2], v[3:4], v[9:10], v[1:2]
	buffer_load_dword v4, off, s[0:3], 0 offset:628
	buffer_load_dword v3, off, s[0:3], 0 offset:624
	s_waitcnt vmcnt(0)
	v_add_f64 v[3:4], v[3:4], -v[13:14]
	buffer_load_dword v14, off, s[0:3], 0 offset:636
	buffer_load_dword v13, off, s[0:3], 0 offset:632
	s_waitcnt vmcnt(0)
	v_add_f64 v[1:2], v[13:14], -v[1:2]
	buffer_store_dword v4, off, s[0:3], 0 offset:628
	buffer_store_dword v3, off, s[0:3], 0 offset:624
	buffer_store_dword v2, off, s[0:3], 0 offset:636
	buffer_store_dword v1, off, s[0:3], 0 offset:632
	ds_read2_b64 v[1:4], v121 offset0:80 offset1:81
	s_waitcnt lgkmcnt(0)
	v_mul_f64 v[13:14], v[3:4], v[11:12]
	v_fma_f64 v[13:14], v[1:2], v[9:10], -v[13:14]
	v_mul_f64 v[1:2], v[1:2], v[11:12]
	v_fma_f64 v[1:2], v[3:4], v[9:10], v[1:2]
	buffer_load_dword v3, off, s[0:3], 0 offset:640
	buffer_load_dword v4, off, s[0:3], 0 offset:644
	buffer_load_dword v15, off, s[0:3], 0 offset:648
	buffer_load_dword v16, off, s[0:3], 0 offset:652
	s_waitcnt vmcnt(2)
	v_add_f64 v[3:4], v[3:4], -v[13:14]
	s_waitcnt vmcnt(0)
	v_add_f64 v[1:2], v[15:16], -v[1:2]
	buffer_store_dword v4, off, s[0:3], 0 offset:644
	buffer_store_dword v3, off, s[0:3], 0 offset:640
	buffer_store_dword v2, off, s[0:3], 0 offset:652
	buffer_store_dword v1, off, s[0:3], 0 offset:648
	ds_read2_b64 v[1:4], v121 offset0:82 offset1:83
	s_waitcnt lgkmcnt(0)
	v_mul_f64 v[13:14], v[3:4], v[11:12]
	v_fma_f64 v[13:14], v[1:2], v[9:10], -v[13:14]
	v_mul_f64 v[1:2], v[1:2], v[11:12]
	v_fma_f64 v[1:2], v[3:4], v[9:10], v[1:2]
	buffer_load_dword v3, off, s[0:3], 0 offset:656
	buffer_load_dword v4, off, s[0:3], 0 offset:660
	buffer_load_dword v15, off, s[0:3], 0 offset:664
	buffer_load_dword v16, off, s[0:3], 0 offset:668
	s_waitcnt vmcnt(2)
	v_add_f64 v[3:4], v[3:4], -v[13:14]
	;; [unrolled: 18-line block ×5, first 2 shown]
	s_waitcnt vmcnt(0)
	v_add_f64 v[1:2], v[9:10], -v[1:2]
	buffer_store_dword v4, off, s[0:3], 0 offset:708
	buffer_store_dword v3, off, s[0:3], 0 offset:704
	;; [unrolled: 1-line block ×4, first 2 shown]
	ds_read2_b64 v[1:4], v121 offset0:90 offset1:91
	buffer_load_dword v9, off, s[0:3], 0 offset:512
	buffer_load_dword v10, off, s[0:3], 0 offset:516
	;; [unrolled: 1-line block ×4, first 2 shown]
	s_waitcnt vmcnt(0) lgkmcnt(0)
	v_mul_f64 v[13:14], v[3:4], v[11:12]
	v_fma_f64 v[13:14], v[1:2], v[9:10], -v[13:14]
	v_mul_f64 v[1:2], v[1:2], v[11:12]
	v_fma_f64 v[1:2], v[3:4], v[9:10], v[1:2]
	buffer_load_dword v4, off, s[0:3], 0 offset:724
	buffer_load_dword v3, off, s[0:3], 0 offset:720
	s_waitcnt vmcnt(0)
	v_add_f64 v[3:4], v[3:4], -v[13:14]
	buffer_load_dword v14, off, s[0:3], 0 offset:732
	buffer_load_dword v13, off, s[0:3], 0 offset:728
	s_waitcnt vmcnt(0)
	v_add_f64 v[1:2], v[13:14], -v[1:2]
	buffer_store_dword v4, off, s[0:3], 0 offset:724
	buffer_store_dword v3, off, s[0:3], 0 offset:720
	buffer_store_dword v2, off, s[0:3], 0 offset:732
	buffer_store_dword v1, off, s[0:3], 0 offset:728
	ds_read2_b64 v[1:4], v121 offset0:92 offset1:93
	s_waitcnt lgkmcnt(0)
	v_mul_f64 v[13:14], v[3:4], v[11:12]
	v_fma_f64 v[13:14], v[1:2], v[9:10], -v[13:14]
	v_mul_f64 v[1:2], v[1:2], v[11:12]
	v_fma_f64 v[1:2], v[3:4], v[9:10], v[1:2]
	buffer_load_dword v3, off, s[0:3], 0 offset:736
	buffer_load_dword v4, off, s[0:3], 0 offset:740
	buffer_load_dword v15, off, s[0:3], 0 offset:744
	buffer_load_dword v16, off, s[0:3], 0 offset:748
	s_waitcnt vmcnt(2)
	v_add_f64 v[3:4], v[3:4], -v[13:14]
	s_waitcnt vmcnt(0)
	v_add_f64 v[1:2], v[15:16], -v[1:2]
	buffer_store_dword v4, off, s[0:3], 0 offset:740
	buffer_store_dword v3, off, s[0:3], 0 offset:736
	buffer_store_dword v2, off, s[0:3], 0 offset:748
	buffer_store_dword v1, off, s[0:3], 0 offset:744
	ds_read2_b64 v[1:4], v121 offset0:94 offset1:95
	s_waitcnt lgkmcnt(0)
	v_mul_f64 v[13:14], v[3:4], v[11:12]
	v_fma_f64 v[13:14], v[1:2], v[9:10], -v[13:14]
	v_mul_f64 v[1:2], v[1:2], v[11:12]
	v_fma_f64 v[1:2], v[3:4], v[9:10], v[1:2]
	buffer_load_dword v3, off, s[0:3], 0 offset:752
	buffer_load_dword v4, off, s[0:3], 0 offset:756
	buffer_load_dword v15, off, s[0:3], 0 offset:760
	buffer_load_dword v16, off, s[0:3], 0 offset:764
	s_waitcnt vmcnt(2)
	v_add_f64 v[3:4], v[3:4], -v[13:14]
	;; [unrolled: 18-line block ×5, first 2 shown]
	s_waitcnt vmcnt(0)
	v_add_f64 v[1:2], v[9:10], -v[1:2]
	buffer_store_dword v4, off, s[0:3], 0 offset:804
	buffer_store_dword v3, off, s[0:3], 0 offset:800
	;; [unrolled: 1-line block ×4, first 2 shown]
	ds_read2_b64 v[1:4], v121 offset0:102 offset1:103
	buffer_load_dword v9, off, s[0:3], 0 offset:512
	buffer_load_dword v10, off, s[0:3], 0 offset:516
	;; [unrolled: 1-line block ×4, first 2 shown]
	s_waitcnt vmcnt(0) lgkmcnt(0)
	v_mul_f64 v[13:14], v[3:4], v[11:12]
	v_fma_f64 v[13:14], v[1:2], v[9:10], -v[13:14]
	v_mul_f64 v[1:2], v[1:2], v[11:12]
	v_fma_f64 v[1:2], v[3:4], v[9:10], v[1:2]
	buffer_load_dword v4, off, s[0:3], 0 offset:820
	buffer_load_dword v3, off, s[0:3], 0 offset:816
	s_waitcnt vmcnt(0)
	v_add_f64 v[3:4], v[3:4], -v[13:14]
	buffer_load_dword v14, off, s[0:3], 0 offset:828
	buffer_load_dword v13, off, s[0:3], 0 offset:824
	s_waitcnt vmcnt(0)
	v_add_f64 v[1:2], v[13:14], -v[1:2]
	buffer_store_dword v4, off, s[0:3], 0 offset:820
	buffer_store_dword v3, off, s[0:3], 0 offset:816
	buffer_store_dword v2, off, s[0:3], 0 offset:828
	buffer_store_dword v1, off, s[0:3], 0 offset:824
	ds_read2_b64 v[1:4], v121 offset0:104 offset1:105
	s_waitcnt lgkmcnt(0)
	v_mul_f64 v[13:14], v[3:4], v[11:12]
	v_fma_f64 v[13:14], v[1:2], v[9:10], -v[13:14]
	v_mul_f64 v[1:2], v[1:2], v[11:12]
	v_fma_f64 v[1:2], v[3:4], v[9:10], v[1:2]
	buffer_load_dword v3, off, s[0:3], 0 offset:832
	buffer_load_dword v4, off, s[0:3], 0 offset:836
	buffer_load_dword v15, off, s[0:3], 0 offset:840
	buffer_load_dword v16, off, s[0:3], 0 offset:844
	s_waitcnt vmcnt(2)
	v_add_f64 v[3:4], v[3:4], -v[13:14]
	s_waitcnt vmcnt(0)
	v_add_f64 v[1:2], v[15:16], -v[1:2]
	buffer_store_dword v4, off, s[0:3], 0 offset:836
	buffer_store_dword v3, off, s[0:3], 0 offset:832
	buffer_store_dword v2, off, s[0:3], 0 offset:844
	buffer_store_dword v1, off, s[0:3], 0 offset:840
	ds_read2_b64 v[1:4], v121 offset0:106 offset1:107
	s_waitcnt lgkmcnt(0)
	v_mul_f64 v[13:14], v[3:4], v[11:12]
	v_fma_f64 v[13:14], v[1:2], v[9:10], -v[13:14]
	v_mul_f64 v[1:2], v[1:2], v[11:12]
	v_fma_f64 v[1:2], v[3:4], v[9:10], v[1:2]
	buffer_load_dword v3, off, s[0:3], 0 offset:848
	buffer_load_dword v4, off, s[0:3], 0 offset:852
	buffer_load_dword v15, off, s[0:3], 0 offset:856
	buffer_load_dword v16, off, s[0:3], 0 offset:860
	s_waitcnt vmcnt(2)
	v_add_f64 v[3:4], v[3:4], -v[13:14]
	;; [unrolled: 18-line block ×5, first 2 shown]
	s_waitcnt vmcnt(0)
	v_add_f64 v[1:2], v[9:10], -v[1:2]
	buffer_store_dword v4, off, s[0:3], 0 offset:900
	buffer_store_dword v3, off, s[0:3], 0 offset:896
	;; [unrolled: 1-line block ×4, first 2 shown]
	ds_read2_b64 v[9:12], v121 offset0:114 offset1:115
	buffer_load_dword v13, off, s[0:3], 0 offset:512
	buffer_load_dword v14, off, s[0:3], 0 offset:516
	;; [unrolled: 1-line block ×4, first 2 shown]
	s_waitcnt vmcnt(0) lgkmcnt(0)
	v_mul_f64 v[1:2], v[11:12], v[15:16]
	v_fma_f64 v[17:18], v[9:10], v[13:14], -v[1:2]
	v_mul_f64 v[1:2], v[9:10], v[15:16]
	v_fma_f64 v[9:10], v[11:12], v[13:14], v[1:2]
	buffer_load_dword v2, off, s[0:3], 0 offset:916
	buffer_load_dword v1, off, s[0:3], 0 offset:912
	buffer_load_dword v4, off, s[0:3], 0 offset:924
	buffer_load_dword v3, off, s[0:3], 0 offset:920
	s_waitcnt vmcnt(2)
	v_add_f64 v[1:2], v[1:2], -v[17:18]
	s_waitcnt vmcnt(0)
	v_add_f64 v[3:4], v[3:4], -v[9:10]
	buffer_store_dword v2, off, s[0:3], 0 offset:916
	buffer_store_dword v1, off, s[0:3], 0 offset:912
	buffer_store_dword v4, off, s[0:3], 0 offset:924
	buffer_store_dword v3, off, s[0:3], 0 offset:920
	ds_read2_b64 v[1:4], v121 offset0:116 offset1:117
	s_waitcnt lgkmcnt(0)
	v_mul_f64 v[9:10], v[3:4], v[15:16]
	v_fma_f64 v[9:10], v[1:2], v[13:14], -v[9:10]
	v_mul_f64 v[1:2], v[1:2], v[15:16]
	v_fma_f64 v[1:2], v[3:4], v[13:14], v[1:2]
	buffer_load_dword v3, off, s[0:3], 0 offset:928
	buffer_load_dword v4, off, s[0:3], 0 offset:932
	buffer_load_dword v11, off, s[0:3], 0 offset:936
	buffer_load_dword v12, off, s[0:3], 0 offset:940
	s_waitcnt vmcnt(2)
	v_add_f64 v[3:4], v[3:4], -v[9:10]
	s_waitcnt vmcnt(0)
	v_add_f64 v[1:2], v[11:12], -v[1:2]
	buffer_store_dword v4, off, s[0:3], 0 offset:932
	buffer_store_dword v3, off, s[0:3], 0 offset:928
	buffer_store_dword v2, off, s[0:3], 0 offset:940
	buffer_store_dword v1, off, s[0:3], 0 offset:936
	ds_read2_b64 v[1:4], v121 offset0:118 offset1:119
	s_waitcnt lgkmcnt(0)
	;; [unrolled: 18-line block ×4, first 2 shown]
	v_mul_f64 v[9:10], v[3:4], v[15:16]
	v_fma_f64 v[11:12], v[1:2], v[13:14], -v[9:10]
	v_mul_f64 v[1:2], v[1:2], v[15:16]
	v_fma_f64 v[9:10], v[3:4], v[13:14], v[1:2]
	buffer_load_dword v1, off, s[0:3], 0 offset:976
	buffer_load_dword v2, off, s[0:3], 0 offset:980
	;; [unrolled: 1-line block ×4, first 2 shown]
	s_waitcnt vmcnt(2)
	v_add_f64 v[1:2], v[1:2], -v[11:12]
	s_waitcnt vmcnt(0)
	v_add_f64 v[3:4], v[3:4], -v[9:10]
	buffer_store_dword v2, off, s[0:3], 0 offset:980
	buffer_store_dword v1, off, s[0:3], 0 offset:976
	;; [unrolled: 1-line block ×4, first 2 shown]
.LBB123_410:
	s_or_b64 exec, exec, s[6:7]
	v_cmp_eq_u32_e32 vcc, 33, v0
	s_waitcnt vmcnt(0)
	s_barrier
	s_and_saveexec_b64 s[8:9], vcc
	s_cbranch_execz .LBB123_417
; %bb.411:
	v_readlane_b32 s6, v126, 9
	v_mov_b32_e32 v4, s6
	buffer_load_dword v1, v4, s[0:3], 0 offen
	buffer_load_dword v2, v4, s[0:3], 0 offen offset:4
	buffer_load_dword v3, v4, s[0:3], 0 offen offset:8
	s_nop 0
	buffer_load_dword v4, v4, s[0:3], 0 offen offset:12
	v_readlane_b32 s6, v126, 10
	s_waitcnt vmcnt(0)
	ds_write2_b64 v125, v[1:2], v[3:4] offset1:1
	v_mov_b32_e32 v4, s6
	buffer_load_dword v1, v4, s[0:3], 0 offen
	buffer_load_dword v2, v4, s[0:3], 0 offen offset:4
	buffer_load_dword v3, v4, s[0:3], 0 offen offset:8
	s_nop 0
	buffer_load_dword v4, v4, s[0:3], 0 offen offset:12
	v_readlane_b32 s6, v126, 11
	s_waitcnt vmcnt(0)
	ds_write2_b64 v121, v[1:2], v[3:4] offset0:68 offset1:69
	v_mov_b32_e32 v4, s40
	buffer_load_dword v1, v4, s[0:3], 0 offen
	buffer_load_dword v2, v4, s[0:3], 0 offen offset:4
	buffer_load_dword v3, v4, s[0:3], 0 offen offset:8
	s_nop 0
	buffer_load_dword v4, v4, s[0:3], 0 offen offset:12
	s_waitcnt vmcnt(0)
	ds_write2_b64 v121, v[1:2], v[3:4] offset0:70 offset1:71
	v_mov_b32_e32 v4, s6
	buffer_load_dword v1, v4, s[0:3], 0 offen
	buffer_load_dword v2, v4, s[0:3], 0 offen offset:4
	buffer_load_dword v3, v4, s[0:3], 0 offen offset:8
	s_nop 0
	buffer_load_dword v4, v4, s[0:3], 0 offen offset:12
	v_readlane_b32 s6, v126, 12
	s_waitcnt vmcnt(0)
	ds_write2_b64 v121, v[1:2], v[3:4] offset0:72 offset1:73
	v_mov_b32_e32 v4, s38
	buffer_load_dword v1, v4, s[0:3], 0 offen
	buffer_load_dword v2, v4, s[0:3], 0 offen offset:4
	buffer_load_dword v3, v4, s[0:3], 0 offen offset:8
	s_nop 0
	buffer_load_dword v4, v4, s[0:3], 0 offen offset:12
	s_waitcnt vmcnt(0)
	ds_write2_b64 v121, v[1:2], v[3:4] offset0:74 offset1:75
	;; [unrolled: 17-line block ×13, first 2 shown]
	v_mov_b32_e32 v4, s42
	buffer_load_dword v1, v4, s[0:3], 0 offen
	buffer_load_dword v2, v4, s[0:3], 0 offen offset:4
	buffer_load_dword v3, v4, s[0:3], 0 offen offset:8
	s_nop 0
	buffer_load_dword v4, v4, s[0:3], 0 offen offset:12
	s_waitcnt vmcnt(0)
	ds_write2_b64 v121, v[1:2], v[3:4] offset0:120 offset1:121
	v_mov_b32_e32 v4, s6
	buffer_load_dword v1, v4, s[0:3], 0 offen
	buffer_load_dword v2, v4, s[0:3], 0 offen offset:4
	buffer_load_dword v3, v4, s[0:3], 0 offen offset:8
	s_nop 0
	buffer_load_dword v4, v4, s[0:3], 0 offen offset:12
	s_waitcnt vmcnt(0)
	ds_write2_b64 v121, v[1:2], v[3:4] offset0:122 offset1:123
	ds_read2_b64 v[9:12], v125 offset1:1
	s_waitcnt lgkmcnt(0)
	v_cmp_neq_f64_e32 vcc, 0, v[9:10]
	v_cmp_neq_f64_e64 s[6:7], 0, v[11:12]
	s_or_b64 s[6:7], vcc, s[6:7]
	s_and_b64 exec, exec, s[6:7]
	s_cbranch_execz .LBB123_417
; %bb.412:
	v_cmp_ngt_f64_e64 s[6:7], |v[9:10]|, |v[11:12]|
                                        ; implicit-def: $vgpr1_vgpr2
	s_and_saveexec_b64 s[10:11], s[6:7]
	s_xor_b64 s[6:7], exec, s[10:11]
                                        ; implicit-def: $vgpr3_vgpr4
	s_cbranch_execz .LBB123_414
; %bb.413:
	v_div_scale_f64 v[1:2], s[10:11], v[11:12], v[11:12], v[9:10]
	v_rcp_f64_e32 v[3:4], v[1:2]
	v_fma_f64 v[13:14], -v[1:2], v[3:4], 1.0
	v_fma_f64 v[3:4], v[3:4], v[13:14], v[3:4]
	v_div_scale_f64 v[13:14], vcc, v[9:10], v[11:12], v[9:10]
	v_fma_f64 v[15:16], -v[1:2], v[3:4], 1.0
	v_fma_f64 v[3:4], v[3:4], v[15:16], v[3:4]
	v_mul_f64 v[15:16], v[13:14], v[3:4]
	v_fma_f64 v[1:2], -v[1:2], v[15:16], v[13:14]
	v_div_fmas_f64 v[1:2], v[1:2], v[3:4], v[15:16]
	v_div_fixup_f64 v[1:2], v[1:2], v[11:12], v[9:10]
	v_fma_f64 v[3:4], v[9:10], v[1:2], v[11:12]
	v_div_scale_f64 v[9:10], s[10:11], v[3:4], v[3:4], 1.0
	v_div_scale_f64 v[15:16], vcc, 1.0, v[3:4], 1.0
	v_rcp_f64_e32 v[11:12], v[9:10]
	v_fma_f64 v[13:14], -v[9:10], v[11:12], 1.0
	v_fma_f64 v[11:12], v[11:12], v[13:14], v[11:12]
	v_fma_f64 v[13:14], -v[9:10], v[11:12], 1.0
	v_fma_f64 v[11:12], v[11:12], v[13:14], v[11:12]
	v_mul_f64 v[13:14], v[15:16], v[11:12]
	v_fma_f64 v[9:10], -v[9:10], v[13:14], v[15:16]
	v_div_fmas_f64 v[9:10], v[9:10], v[11:12], v[13:14]
	v_div_fixup_f64 v[3:4], v[9:10], v[3:4], 1.0
                                        ; implicit-def: $vgpr9_vgpr10
	v_mul_f64 v[1:2], v[1:2], v[3:4]
	v_xor_b32_e32 v4, 0x80000000, v4
.LBB123_414:
	s_andn2_saveexec_b64 s[6:7], s[6:7]
	s_cbranch_execz .LBB123_416
; %bb.415:
	v_div_scale_f64 v[1:2], s[10:11], v[9:10], v[9:10], v[11:12]
	v_rcp_f64_e32 v[3:4], v[1:2]
	v_fma_f64 v[13:14], -v[1:2], v[3:4], 1.0
	v_fma_f64 v[3:4], v[3:4], v[13:14], v[3:4]
	v_div_scale_f64 v[13:14], vcc, v[11:12], v[9:10], v[11:12]
	v_fma_f64 v[15:16], -v[1:2], v[3:4], 1.0
	v_fma_f64 v[3:4], v[3:4], v[15:16], v[3:4]
	v_mul_f64 v[15:16], v[13:14], v[3:4]
	v_fma_f64 v[1:2], -v[1:2], v[15:16], v[13:14]
	v_div_fmas_f64 v[1:2], v[1:2], v[3:4], v[15:16]
	v_div_fixup_f64 v[3:4], v[1:2], v[9:10], v[11:12]
	v_fma_f64 v[1:2], v[11:12], v[3:4], v[9:10]
	v_div_scale_f64 v[9:10], s[10:11], v[1:2], v[1:2], 1.0
	v_div_scale_f64 v[15:16], vcc, 1.0, v[1:2], 1.0
	v_rcp_f64_e32 v[11:12], v[9:10]
	v_fma_f64 v[13:14], -v[9:10], v[11:12], 1.0
	v_fma_f64 v[11:12], v[11:12], v[13:14], v[11:12]
	v_fma_f64 v[13:14], -v[9:10], v[11:12], 1.0
	v_fma_f64 v[11:12], v[11:12], v[13:14], v[11:12]
	v_mul_f64 v[13:14], v[15:16], v[11:12]
	v_fma_f64 v[9:10], -v[9:10], v[13:14], v[15:16]
	v_div_fmas_f64 v[9:10], v[9:10], v[11:12], v[13:14]
	v_div_fixup_f64 v[1:2], v[9:10], v[1:2], 1.0
	v_mul_f64 v[3:4], v[3:4], -v[1:2]
.LBB123_416:
	s_or_b64 exec, exec, s[6:7]
	ds_write2_b64 v125, v[1:2], v[3:4] offset1:1
.LBB123_417:
	s_or_b64 exec, exec, s[8:9]
	s_waitcnt lgkmcnt(0)
	s_barrier
	ds_read2_b64 v[1:4], v125 offset1:1
	v_cmp_lt_u32_e32 vcc, 33, v0
	s_waitcnt lgkmcnt(0)
	buffer_store_dword v1, off, s[0:3], 0 offset:1920 ; 4-byte Folded Spill
	s_nop 0
	buffer_store_dword v2, off, s[0:3], 0 offset:1924 ; 4-byte Folded Spill
	buffer_store_dword v3, off, s[0:3], 0 offset:1928 ; 4-byte Folded Spill
	;; [unrolled: 1-line block ×3, first 2 shown]
	s_and_saveexec_b64 s[6:7], vcc
	s_cbranch_execz .LBB123_419
; %bb.418:
	buffer_load_dword v1, off, s[0:3], 0 offset:528
	buffer_load_dword v2, off, s[0:3], 0 offset:532
	;; [unrolled: 1-line block ×16, first 2 shown]
	buffer_load_dword v5, off, s[0:3], 0 offset:1920 ; 4-byte Folded Reload
	buffer_load_dword v6, off, s[0:3], 0 offset:1924 ; 4-byte Folded Reload
	;; [unrolled: 1-line block ×4, first 2 shown]
	s_waitcnt vmcnt(0)
	v_mul_f64 v[13:14], v[7:8], v[3:4]
	v_mul_f64 v[3:4], v[5:6], v[3:4]
	v_fma_f64 v[13:14], v[5:6], v[1:2], -v[13:14]
	v_fma_f64 v[15:16], v[7:8], v[1:2], v[3:4]
	buffer_store_dword v13, off, s[0:3], 0 offset:528
	buffer_store_dword v14, off, s[0:3], 0 offset:532
	buffer_store_dword v15, off, s[0:3], 0 offset:536
	buffer_store_dword v16, off, s[0:3], 0 offset:540
	ds_read2_b64 v[1:4], v121 offset0:68 offset1:69
	s_waitcnt lgkmcnt(0)
	v_mul_f64 v[29:30], v[3:4], v[15:16]
	v_fma_f64 v[29:30], v[1:2], v[13:14], -v[29:30]
	v_mul_f64 v[1:2], v[1:2], v[15:16]
	v_fma_f64 v[1:2], v[3:4], v[13:14], v[1:2]
	v_add_f64 v[3:4], v[17:18], -v[29:30]
	v_add_f64 v[1:2], v[19:20], -v[1:2]
	buffer_store_dword v3, off, s[0:3], 0 offset:544
	buffer_store_dword v4, off, s[0:3], 0 offset:548
	buffer_store_dword v1, off, s[0:3], 0 offset:552
	buffer_store_dword v2, off, s[0:3], 0 offset:556
	ds_read2_b64 v[1:4], v121 offset0:70 offset1:71
	s_waitcnt lgkmcnt(0)
	v_mul_f64 v[17:18], v[3:4], v[15:16]
	v_fma_f64 v[17:18], v[1:2], v[13:14], -v[17:18]
	v_mul_f64 v[1:2], v[1:2], v[15:16]
	v_fma_f64 v[1:2], v[3:4], v[13:14], v[1:2]
	v_add_f64 v[3:4], v[21:22], -v[17:18]
	v_add_f64 v[1:2], v[23:24], -v[1:2]
	;; [unrolled: 12-line block ×3, first 2 shown]
	buffer_store_dword v4, off, s[0:3], 0 offset:580
	buffer_store_dword v3, off, s[0:3], 0 offset:576
	buffer_store_dword v1, off, s[0:3], 0 offset:584
	buffer_store_dword v2, off, s[0:3], 0 offset:588
	ds_read2_b64 v[1:4], v121 offset0:74 offset1:75
	s_waitcnt lgkmcnt(0)
	v_mul_f64 v[17:18], v[3:4], v[15:16]
	v_fma_f64 v[17:18], v[1:2], v[13:14], -v[17:18]
	v_mul_f64 v[1:2], v[1:2], v[15:16]
	v_fma_f64 v[1:2], v[3:4], v[13:14], v[1:2]
	buffer_load_dword v3, off, s[0:3], 0 offset:592
	buffer_load_dword v4, off, s[0:3], 0 offset:596
	buffer_load_dword v19, off, s[0:3], 0 offset:600
	buffer_load_dword v20, off, s[0:3], 0 offset:604
	s_waitcnt vmcnt(2)
	v_add_f64 v[3:4], v[3:4], -v[17:18]
	s_waitcnt vmcnt(0)
	v_add_f64 v[1:2], v[19:20], -v[1:2]
	buffer_store_dword v4, off, s[0:3], 0 offset:596
	buffer_store_dword v3, off, s[0:3], 0 offset:592
	buffer_store_dword v2, off, s[0:3], 0 offset:604
	buffer_store_dword v1, off, s[0:3], 0 offset:600
	ds_read2_b64 v[1:4], v121 offset0:76 offset1:77
	s_waitcnt lgkmcnt(0)
	v_mul_f64 v[17:18], v[3:4], v[15:16]
	v_fma_f64 v[17:18], v[1:2], v[13:14], -v[17:18]
	v_mul_f64 v[1:2], v[1:2], v[15:16]
	v_fma_f64 v[1:2], v[3:4], v[13:14], v[1:2]
	buffer_load_dword v3, off, s[0:3], 0 offset:608
	buffer_load_dword v4, off, s[0:3], 0 offset:612
	buffer_load_dword v19, off, s[0:3], 0 offset:616
	buffer_load_dword v20, off, s[0:3], 0 offset:620
	s_waitcnt vmcnt(2)
	v_add_f64 v[3:4], v[3:4], -v[17:18]
	s_waitcnt vmcnt(0)
	v_add_f64 v[1:2], v[19:20], -v[1:2]
	;; [unrolled: 18-line block ×3, first 2 shown]
	buffer_store_dword v4, off, s[0:3], 0 offset:628
	buffer_store_dword v3, off, s[0:3], 0 offset:624
	;; [unrolled: 1-line block ×4, first 2 shown]
	ds_read2_b64 v[1:4], v121 offset0:80 offset1:81
	buffer_load_dword v13, off, s[0:3], 0 offset:528
	buffer_load_dword v14, off, s[0:3], 0 offset:532
	;; [unrolled: 1-line block ×4, first 2 shown]
	s_waitcnt vmcnt(0) lgkmcnt(0)
	v_mul_f64 v[17:18], v[3:4], v[15:16]
	v_fma_f64 v[17:18], v[1:2], v[13:14], -v[17:18]
	v_mul_f64 v[1:2], v[1:2], v[15:16]
	v_fma_f64 v[1:2], v[3:4], v[13:14], v[1:2]
	buffer_load_dword v4, off, s[0:3], 0 offset:644
	buffer_load_dword v3, off, s[0:3], 0 offset:640
	s_waitcnt vmcnt(0)
	v_add_f64 v[3:4], v[3:4], -v[17:18]
	buffer_load_dword v18, off, s[0:3], 0 offset:652
	buffer_load_dword v17, off, s[0:3], 0 offset:648
	s_waitcnt vmcnt(0)
	v_add_f64 v[1:2], v[17:18], -v[1:2]
	buffer_store_dword v4, off, s[0:3], 0 offset:644
	buffer_store_dword v3, off, s[0:3], 0 offset:640
	buffer_store_dword v2, off, s[0:3], 0 offset:652
	buffer_store_dword v1, off, s[0:3], 0 offset:648
	ds_read2_b64 v[1:4], v121 offset0:82 offset1:83
	s_waitcnt lgkmcnt(0)
	v_mul_f64 v[17:18], v[3:4], v[15:16]
	v_fma_f64 v[17:18], v[1:2], v[13:14], -v[17:18]
	v_mul_f64 v[1:2], v[1:2], v[15:16]
	v_fma_f64 v[1:2], v[3:4], v[13:14], v[1:2]
	buffer_load_dword v3, off, s[0:3], 0 offset:656
	buffer_load_dword v4, off, s[0:3], 0 offset:660
	buffer_load_dword v19, off, s[0:3], 0 offset:664
	buffer_load_dword v20, off, s[0:3], 0 offset:668
	s_waitcnt vmcnt(2)
	v_add_f64 v[3:4], v[3:4], -v[17:18]
	s_waitcnt vmcnt(0)
	v_add_f64 v[1:2], v[19:20], -v[1:2]
	buffer_store_dword v4, off, s[0:3], 0 offset:660
	buffer_store_dword v3, off, s[0:3], 0 offset:656
	buffer_store_dword v2, off, s[0:3], 0 offset:668
	buffer_store_dword v1, off, s[0:3], 0 offset:664
	ds_read2_b64 v[1:4], v121 offset0:84 offset1:85
	s_waitcnt lgkmcnt(0)
	v_mul_f64 v[17:18], v[3:4], v[15:16]
	v_fma_f64 v[17:18], v[1:2], v[13:14], -v[17:18]
	v_mul_f64 v[1:2], v[1:2], v[15:16]
	v_fma_f64 v[1:2], v[3:4], v[13:14], v[1:2]
	buffer_load_dword v3, off, s[0:3], 0 offset:672
	buffer_load_dword v4, off, s[0:3], 0 offset:676
	buffer_load_dword v19, off, s[0:3], 0 offset:680
	buffer_load_dword v20, off, s[0:3], 0 offset:684
	s_waitcnt vmcnt(2)
	v_add_f64 v[3:4], v[3:4], -v[17:18]
	;; [unrolled: 18-line block ×5, first 2 shown]
	s_waitcnt vmcnt(0)
	v_add_f64 v[1:2], v[13:14], -v[1:2]
	buffer_store_dword v4, off, s[0:3], 0 offset:724
	buffer_store_dword v3, off, s[0:3], 0 offset:720
	;; [unrolled: 1-line block ×4, first 2 shown]
	ds_read2_b64 v[1:4], v121 offset0:92 offset1:93
	buffer_load_dword v13, off, s[0:3], 0 offset:528
	buffer_load_dword v14, off, s[0:3], 0 offset:532
	;; [unrolled: 1-line block ×4, first 2 shown]
	s_waitcnt vmcnt(0) lgkmcnt(0)
	v_mul_f64 v[17:18], v[3:4], v[15:16]
	v_fma_f64 v[17:18], v[1:2], v[13:14], -v[17:18]
	v_mul_f64 v[1:2], v[1:2], v[15:16]
	v_fma_f64 v[1:2], v[3:4], v[13:14], v[1:2]
	buffer_load_dword v4, off, s[0:3], 0 offset:740
	buffer_load_dword v3, off, s[0:3], 0 offset:736
	s_waitcnt vmcnt(0)
	v_add_f64 v[3:4], v[3:4], -v[17:18]
	buffer_load_dword v18, off, s[0:3], 0 offset:748
	buffer_load_dword v17, off, s[0:3], 0 offset:744
	s_waitcnt vmcnt(0)
	v_add_f64 v[1:2], v[17:18], -v[1:2]
	buffer_store_dword v4, off, s[0:3], 0 offset:740
	buffer_store_dword v3, off, s[0:3], 0 offset:736
	buffer_store_dword v2, off, s[0:3], 0 offset:748
	buffer_store_dword v1, off, s[0:3], 0 offset:744
	ds_read2_b64 v[1:4], v121 offset0:94 offset1:95
	s_waitcnt lgkmcnt(0)
	v_mul_f64 v[17:18], v[3:4], v[15:16]
	v_fma_f64 v[17:18], v[1:2], v[13:14], -v[17:18]
	v_mul_f64 v[1:2], v[1:2], v[15:16]
	v_fma_f64 v[1:2], v[3:4], v[13:14], v[1:2]
	buffer_load_dword v3, off, s[0:3], 0 offset:752
	buffer_load_dword v4, off, s[0:3], 0 offset:756
	buffer_load_dword v19, off, s[0:3], 0 offset:760
	buffer_load_dword v20, off, s[0:3], 0 offset:764
	s_waitcnt vmcnt(2)
	v_add_f64 v[3:4], v[3:4], -v[17:18]
	s_waitcnt vmcnt(0)
	v_add_f64 v[1:2], v[19:20], -v[1:2]
	buffer_store_dword v4, off, s[0:3], 0 offset:756
	buffer_store_dword v3, off, s[0:3], 0 offset:752
	buffer_store_dword v2, off, s[0:3], 0 offset:764
	buffer_store_dword v1, off, s[0:3], 0 offset:760
	ds_read2_b64 v[1:4], v121 offset0:96 offset1:97
	s_waitcnt lgkmcnt(0)
	v_mul_f64 v[17:18], v[3:4], v[15:16]
	v_fma_f64 v[17:18], v[1:2], v[13:14], -v[17:18]
	v_mul_f64 v[1:2], v[1:2], v[15:16]
	v_fma_f64 v[1:2], v[3:4], v[13:14], v[1:2]
	buffer_load_dword v3, off, s[0:3], 0 offset:768
	buffer_load_dword v4, off, s[0:3], 0 offset:772
	buffer_load_dword v19, off, s[0:3], 0 offset:776
	buffer_load_dword v20, off, s[0:3], 0 offset:780
	s_waitcnt vmcnt(2)
	v_add_f64 v[3:4], v[3:4], -v[17:18]
	;; [unrolled: 18-line block ×5, first 2 shown]
	s_waitcnt vmcnt(0)
	v_add_f64 v[1:2], v[13:14], -v[1:2]
	buffer_store_dword v4, off, s[0:3], 0 offset:820
	buffer_store_dword v3, off, s[0:3], 0 offset:816
	;; [unrolled: 1-line block ×4, first 2 shown]
	ds_read2_b64 v[1:4], v121 offset0:104 offset1:105
	buffer_load_dword v13, off, s[0:3], 0 offset:528
	buffer_load_dword v14, off, s[0:3], 0 offset:532
	;; [unrolled: 1-line block ×4, first 2 shown]
	s_waitcnt vmcnt(0) lgkmcnt(0)
	v_mul_f64 v[17:18], v[3:4], v[15:16]
	v_fma_f64 v[17:18], v[1:2], v[13:14], -v[17:18]
	v_mul_f64 v[1:2], v[1:2], v[15:16]
	v_fma_f64 v[1:2], v[3:4], v[13:14], v[1:2]
	buffer_load_dword v4, off, s[0:3], 0 offset:836
	buffer_load_dword v3, off, s[0:3], 0 offset:832
	s_waitcnt vmcnt(0)
	v_add_f64 v[3:4], v[3:4], -v[17:18]
	buffer_load_dword v18, off, s[0:3], 0 offset:844
	buffer_load_dword v17, off, s[0:3], 0 offset:840
	s_waitcnt vmcnt(0)
	v_add_f64 v[1:2], v[17:18], -v[1:2]
	buffer_store_dword v4, off, s[0:3], 0 offset:836
	buffer_store_dword v3, off, s[0:3], 0 offset:832
	buffer_store_dword v2, off, s[0:3], 0 offset:844
	buffer_store_dword v1, off, s[0:3], 0 offset:840
	ds_read2_b64 v[1:4], v121 offset0:106 offset1:107
	s_waitcnt lgkmcnt(0)
	v_mul_f64 v[17:18], v[3:4], v[15:16]
	v_fma_f64 v[17:18], v[1:2], v[13:14], -v[17:18]
	v_mul_f64 v[1:2], v[1:2], v[15:16]
	v_fma_f64 v[1:2], v[3:4], v[13:14], v[1:2]
	buffer_load_dword v3, off, s[0:3], 0 offset:848
	buffer_load_dword v4, off, s[0:3], 0 offset:852
	buffer_load_dword v19, off, s[0:3], 0 offset:856
	buffer_load_dword v20, off, s[0:3], 0 offset:860
	s_waitcnt vmcnt(2)
	v_add_f64 v[3:4], v[3:4], -v[17:18]
	s_waitcnt vmcnt(0)
	v_add_f64 v[1:2], v[19:20], -v[1:2]
	buffer_store_dword v4, off, s[0:3], 0 offset:852
	buffer_store_dword v3, off, s[0:3], 0 offset:848
	buffer_store_dword v2, off, s[0:3], 0 offset:860
	buffer_store_dword v1, off, s[0:3], 0 offset:856
	ds_read2_b64 v[1:4], v121 offset0:108 offset1:109
	s_waitcnt lgkmcnt(0)
	v_mul_f64 v[17:18], v[3:4], v[15:16]
	v_fma_f64 v[17:18], v[1:2], v[13:14], -v[17:18]
	v_mul_f64 v[1:2], v[1:2], v[15:16]
	v_fma_f64 v[1:2], v[3:4], v[13:14], v[1:2]
	buffer_load_dword v3, off, s[0:3], 0 offset:864
	buffer_load_dword v4, off, s[0:3], 0 offset:868
	buffer_load_dword v19, off, s[0:3], 0 offset:872
	buffer_load_dword v20, off, s[0:3], 0 offset:876
	s_waitcnt vmcnt(2)
	v_add_f64 v[3:4], v[3:4], -v[17:18]
	;; [unrolled: 18-line block ×5, first 2 shown]
	s_waitcnt vmcnt(0)
	v_add_f64 v[1:2], v[13:14], -v[1:2]
	buffer_store_dword v4, off, s[0:3], 0 offset:916
	buffer_store_dword v3, off, s[0:3], 0 offset:912
	;; [unrolled: 1-line block ×4, first 2 shown]
	ds_read2_b64 v[13:16], v121 offset0:116 offset1:117
	buffer_load_dword v17, off, s[0:3], 0 offset:528
	buffer_load_dword v18, off, s[0:3], 0 offset:532
	;; [unrolled: 1-line block ×4, first 2 shown]
	s_waitcnt vmcnt(0) lgkmcnt(0)
	v_mul_f64 v[1:2], v[15:16], v[19:20]
	v_fma_f64 v[21:22], v[13:14], v[17:18], -v[1:2]
	v_mul_f64 v[1:2], v[13:14], v[19:20]
	v_fma_f64 v[13:14], v[15:16], v[17:18], v[1:2]
	buffer_load_dword v2, off, s[0:3], 0 offset:932
	buffer_load_dword v1, off, s[0:3], 0 offset:928
	buffer_load_dword v4, off, s[0:3], 0 offset:940
	buffer_load_dword v3, off, s[0:3], 0 offset:936
	s_waitcnt vmcnt(2)
	v_add_f64 v[1:2], v[1:2], -v[21:22]
	s_waitcnt vmcnt(0)
	v_add_f64 v[3:4], v[3:4], -v[13:14]
	buffer_store_dword v2, off, s[0:3], 0 offset:932
	buffer_store_dword v1, off, s[0:3], 0 offset:928
	buffer_store_dword v4, off, s[0:3], 0 offset:940
	buffer_store_dword v3, off, s[0:3], 0 offset:936
	ds_read2_b64 v[1:4], v121 offset0:118 offset1:119
	s_waitcnt lgkmcnt(0)
	v_mul_f64 v[13:14], v[3:4], v[19:20]
	v_fma_f64 v[13:14], v[1:2], v[17:18], -v[13:14]
	v_mul_f64 v[1:2], v[1:2], v[19:20]
	v_fma_f64 v[1:2], v[3:4], v[17:18], v[1:2]
	buffer_load_dword v3, off, s[0:3], 0 offset:944
	buffer_load_dword v4, off, s[0:3], 0 offset:948
	buffer_load_dword v15, off, s[0:3], 0 offset:952
	buffer_load_dword v16, off, s[0:3], 0 offset:956
	s_waitcnt vmcnt(2)
	v_add_f64 v[3:4], v[3:4], -v[13:14]
	s_waitcnt vmcnt(0)
	v_add_f64 v[1:2], v[15:16], -v[1:2]
	buffer_store_dword v4, off, s[0:3], 0 offset:948
	buffer_store_dword v3, off, s[0:3], 0 offset:944
	buffer_store_dword v2, off, s[0:3], 0 offset:956
	buffer_store_dword v1, off, s[0:3], 0 offset:952
	ds_read2_b64 v[1:4], v121 offset0:120 offset1:121
	s_waitcnt lgkmcnt(0)
	;; [unrolled: 18-line block ×3, first 2 shown]
	v_mul_f64 v[13:14], v[3:4], v[19:20]
	v_fma_f64 v[15:16], v[1:2], v[17:18], -v[13:14]
	v_mul_f64 v[1:2], v[1:2], v[19:20]
	v_fma_f64 v[13:14], v[3:4], v[17:18], v[1:2]
	buffer_load_dword v1, off, s[0:3], 0 offset:976
	buffer_load_dword v2, off, s[0:3], 0 offset:980
	;; [unrolled: 1-line block ×4, first 2 shown]
	s_waitcnt vmcnt(2)
	v_add_f64 v[1:2], v[1:2], -v[15:16]
	s_waitcnt vmcnt(0)
	v_add_f64 v[3:4], v[3:4], -v[13:14]
	buffer_store_dword v2, off, s[0:3], 0 offset:980
	buffer_store_dword v1, off, s[0:3], 0 offset:976
	buffer_store_dword v4, off, s[0:3], 0 offset:988
	buffer_store_dword v3, off, s[0:3], 0 offset:984
.LBB123_419:
	s_or_b64 exec, exec, s[6:7]
	v_cmp_eq_u32_e32 vcc, 34, v0
	s_waitcnt vmcnt(0)
	s_barrier
	s_and_saveexec_b64 s[8:9], vcc
	s_cbranch_execz .LBB123_426
; %bb.420:
	v_readlane_b32 s6, v126, 10
	v_mov_b32_e32 v4, s6
	buffer_load_dword v1, v4, s[0:3], 0 offen
	buffer_load_dword v2, v4, s[0:3], 0 offen offset:4
	buffer_load_dword v3, v4, s[0:3], 0 offen offset:8
	s_nop 0
	buffer_load_dword v4, v4, s[0:3], 0 offen offset:12
	v_readlane_b32 s6, v126, 11
	s_waitcnt vmcnt(0)
	ds_write2_b64 v125, v[1:2], v[3:4] offset1:1
	v_mov_b32_e32 v4, s40
	buffer_load_dword v1, v4, s[0:3], 0 offen
	buffer_load_dword v2, v4, s[0:3], 0 offen offset:4
	buffer_load_dword v3, v4, s[0:3], 0 offen offset:8
	s_nop 0
	buffer_load_dword v4, v4, s[0:3], 0 offen offset:12
	s_waitcnt vmcnt(0)
	ds_write2_b64 v121, v[1:2], v[3:4] offset0:70 offset1:71
	v_mov_b32_e32 v4, s6
	buffer_load_dword v1, v4, s[0:3], 0 offen
	buffer_load_dword v2, v4, s[0:3], 0 offen offset:4
	buffer_load_dword v3, v4, s[0:3], 0 offen offset:8
	s_nop 0
	buffer_load_dword v4, v4, s[0:3], 0 offen offset:12
	v_readlane_b32 s6, v126, 12
	s_waitcnt vmcnt(0)
	ds_write2_b64 v121, v[1:2], v[3:4] offset0:72 offset1:73
	v_mov_b32_e32 v4, s38
	buffer_load_dword v1, v4, s[0:3], 0 offen
	buffer_load_dword v2, v4, s[0:3], 0 offen offset:4
	buffer_load_dword v3, v4, s[0:3], 0 offen offset:8
	s_nop 0
	buffer_load_dword v4, v4, s[0:3], 0 offen offset:12
	s_waitcnt vmcnt(0)
	ds_write2_b64 v121, v[1:2], v[3:4] offset0:74 offset1:75
	v_mov_b32_e32 v4, s6
	buffer_load_dword v1, v4, s[0:3], 0 offen
	buffer_load_dword v2, v4, s[0:3], 0 offen offset:4
	buffer_load_dword v3, v4, s[0:3], 0 offen offset:8
	s_nop 0
	buffer_load_dword v4, v4, s[0:3], 0 offen offset:12
	v_readlane_b32 s6, v126, 13
	s_waitcnt vmcnt(0)
	ds_write2_b64 v121, v[1:2], v[3:4] offset0:76 offset1:77
	;; [unrolled: 17-line block ×12, first 2 shown]
	v_mov_b32_e32 v4, s14
	buffer_load_dword v1, v4, s[0:3], 0 offen
	buffer_load_dword v2, v4, s[0:3], 0 offen offset:4
	buffer_load_dword v3, v4, s[0:3], 0 offen offset:8
	s_nop 0
	buffer_load_dword v4, v4, s[0:3], 0 offen offset:12
	s_waitcnt vmcnt(0)
	ds_write2_b64 v121, v[1:2], v[3:4] offset0:118 offset1:119
	v_mov_b32_e32 v4, s42
	buffer_load_dword v1, v4, s[0:3], 0 offen
	buffer_load_dword v2, v4, s[0:3], 0 offen offset:4
	buffer_load_dword v3, v4, s[0:3], 0 offen offset:8
	s_nop 0
	buffer_load_dword v4, v4, s[0:3], 0 offen offset:12
	s_waitcnt vmcnt(0)
	ds_write2_b64 v121, v[1:2], v[3:4] offset0:120 offset1:121
	;; [unrolled: 8-line block ×3, first 2 shown]
	ds_read2_b64 v[13:16], v125 offset1:1
	s_waitcnt lgkmcnt(0)
	v_cmp_neq_f64_e32 vcc, 0, v[13:14]
	v_cmp_neq_f64_e64 s[6:7], 0, v[15:16]
	s_or_b64 s[6:7], vcc, s[6:7]
	s_and_b64 exec, exec, s[6:7]
	s_cbranch_execz .LBB123_426
; %bb.421:
	v_cmp_ngt_f64_e64 s[6:7], |v[13:14]|, |v[15:16]|
                                        ; implicit-def: $vgpr1_vgpr2
	s_and_saveexec_b64 s[10:11], s[6:7]
	s_xor_b64 s[6:7], exec, s[10:11]
                                        ; implicit-def: $vgpr3_vgpr4
	s_cbranch_execz .LBB123_423
; %bb.422:
	v_div_scale_f64 v[1:2], s[10:11], v[15:16], v[15:16], v[13:14]
	v_rcp_f64_e32 v[3:4], v[1:2]
	v_fma_f64 v[17:18], -v[1:2], v[3:4], 1.0
	v_fma_f64 v[3:4], v[3:4], v[17:18], v[3:4]
	v_div_scale_f64 v[17:18], vcc, v[13:14], v[15:16], v[13:14]
	v_fma_f64 v[19:20], -v[1:2], v[3:4], 1.0
	v_fma_f64 v[3:4], v[3:4], v[19:20], v[3:4]
	v_mul_f64 v[19:20], v[17:18], v[3:4]
	v_fma_f64 v[1:2], -v[1:2], v[19:20], v[17:18]
	v_div_fmas_f64 v[1:2], v[1:2], v[3:4], v[19:20]
	v_div_fixup_f64 v[1:2], v[1:2], v[15:16], v[13:14]
	v_fma_f64 v[3:4], v[13:14], v[1:2], v[15:16]
	v_div_scale_f64 v[13:14], s[10:11], v[3:4], v[3:4], 1.0
	v_div_scale_f64 v[19:20], vcc, 1.0, v[3:4], 1.0
	v_rcp_f64_e32 v[15:16], v[13:14]
	v_fma_f64 v[17:18], -v[13:14], v[15:16], 1.0
	v_fma_f64 v[15:16], v[15:16], v[17:18], v[15:16]
	v_fma_f64 v[17:18], -v[13:14], v[15:16], 1.0
	v_fma_f64 v[15:16], v[15:16], v[17:18], v[15:16]
	v_mul_f64 v[17:18], v[19:20], v[15:16]
	v_fma_f64 v[13:14], -v[13:14], v[17:18], v[19:20]
	v_div_fmas_f64 v[13:14], v[13:14], v[15:16], v[17:18]
	v_div_fixup_f64 v[3:4], v[13:14], v[3:4], 1.0
                                        ; implicit-def: $vgpr13_vgpr14
	v_mul_f64 v[1:2], v[1:2], v[3:4]
	v_xor_b32_e32 v4, 0x80000000, v4
.LBB123_423:
	s_andn2_saveexec_b64 s[6:7], s[6:7]
	s_cbranch_execz .LBB123_425
; %bb.424:
	v_div_scale_f64 v[1:2], s[10:11], v[13:14], v[13:14], v[15:16]
	v_rcp_f64_e32 v[3:4], v[1:2]
	v_fma_f64 v[17:18], -v[1:2], v[3:4], 1.0
	v_fma_f64 v[3:4], v[3:4], v[17:18], v[3:4]
	v_div_scale_f64 v[17:18], vcc, v[15:16], v[13:14], v[15:16]
	v_fma_f64 v[19:20], -v[1:2], v[3:4], 1.0
	v_fma_f64 v[3:4], v[3:4], v[19:20], v[3:4]
	v_mul_f64 v[19:20], v[17:18], v[3:4]
	v_fma_f64 v[1:2], -v[1:2], v[19:20], v[17:18]
	v_div_fmas_f64 v[1:2], v[1:2], v[3:4], v[19:20]
	v_div_fixup_f64 v[3:4], v[1:2], v[13:14], v[15:16]
	v_fma_f64 v[1:2], v[15:16], v[3:4], v[13:14]
	v_div_scale_f64 v[13:14], s[10:11], v[1:2], v[1:2], 1.0
	v_div_scale_f64 v[19:20], vcc, 1.0, v[1:2], 1.0
	v_rcp_f64_e32 v[15:16], v[13:14]
	v_fma_f64 v[17:18], -v[13:14], v[15:16], 1.0
	v_fma_f64 v[15:16], v[15:16], v[17:18], v[15:16]
	v_fma_f64 v[17:18], -v[13:14], v[15:16], 1.0
	v_fma_f64 v[15:16], v[15:16], v[17:18], v[15:16]
	v_mul_f64 v[17:18], v[19:20], v[15:16]
	v_fma_f64 v[13:14], -v[13:14], v[17:18], v[19:20]
	v_div_fmas_f64 v[13:14], v[13:14], v[15:16], v[17:18]
	v_div_fixup_f64 v[1:2], v[13:14], v[1:2], 1.0
	v_mul_f64 v[3:4], v[3:4], -v[1:2]
.LBB123_425:
	s_or_b64 exec, exec, s[6:7]
	ds_write2_b64 v125, v[1:2], v[3:4] offset1:1
.LBB123_426:
	s_or_b64 exec, exec, s[8:9]
	s_waitcnt lgkmcnt(0)
	s_barrier
	ds_read2_b64 v[13:16], v125 offset1:1
	v_cmp_lt_u32_e32 vcc, 34, v0
	s_and_saveexec_b64 s[6:7], vcc
	s_cbranch_execz .LBB123_428
; %bb.427:
	buffer_load_dword v1, off, s[0:3], 0 offset:544
	buffer_load_dword v2, off, s[0:3], 0 offset:548
	;; [unrolled: 1-line block ×16, first 2 shown]
	s_waitcnt vmcnt(12) lgkmcnt(0)
	v_mul_f64 v[17:18], v[15:16], v[3:4]
	v_mul_f64 v[3:4], v[13:14], v[3:4]
	v_fma_f64 v[17:18], v[13:14], v[1:2], -v[17:18]
	v_fma_f64 v[19:20], v[15:16], v[1:2], v[3:4]
	buffer_store_dword v17, off, s[0:3], 0 offset:544
	buffer_store_dword v18, off, s[0:3], 0 offset:548
	buffer_store_dword v19, off, s[0:3], 0 offset:552
	buffer_store_dword v20, off, s[0:3], 0 offset:556
	ds_read2_b64 v[1:4], v121 offset0:70 offset1:71
	s_waitcnt lgkmcnt(0)
	v_mul_f64 v[33:34], v[3:4], v[19:20]
	v_fma_f64 v[33:34], v[1:2], v[17:18], -v[33:34]
	v_mul_f64 v[1:2], v[1:2], v[19:20]
	v_fma_f64 v[1:2], v[3:4], v[17:18], v[1:2]
	s_waitcnt vmcnt(14)
	v_add_f64 v[3:4], v[21:22], -v[33:34]
	s_waitcnt vmcnt(12)
	v_add_f64 v[1:2], v[23:24], -v[1:2]
	buffer_store_dword v3, off, s[0:3], 0 offset:560
	buffer_store_dword v4, off, s[0:3], 0 offset:564
	buffer_store_dword v1, off, s[0:3], 0 offset:568
	buffer_store_dword v2, off, s[0:3], 0 offset:572
	ds_read2_b64 v[1:4], v121 offset0:72 offset1:73
	s_waitcnt lgkmcnt(0)
	v_mul_f64 v[21:22], v[3:4], v[19:20]
	v_fma_f64 v[21:22], v[1:2], v[17:18], -v[21:22]
	v_mul_f64 v[1:2], v[1:2], v[19:20]
	v_fma_f64 v[1:2], v[3:4], v[17:18], v[1:2]
	s_waitcnt vmcnt(14)
	v_add_f64 v[3:4], v[25:26], -v[21:22]
	s_waitcnt vmcnt(12)
	v_add_f64 v[1:2], v[27:28], -v[1:2]
	;; [unrolled: 14-line block ×3, first 2 shown]
	buffer_store_dword v4, off, s[0:3], 0 offset:596
	buffer_store_dword v3, off, s[0:3], 0 offset:592
	buffer_store_dword v1, off, s[0:3], 0 offset:600
	buffer_store_dword v2, off, s[0:3], 0 offset:604
	ds_read2_b64 v[1:4], v121 offset0:76 offset1:77
	s_waitcnt lgkmcnt(0)
	v_mul_f64 v[21:22], v[3:4], v[19:20]
	v_fma_f64 v[21:22], v[1:2], v[17:18], -v[21:22]
	v_mul_f64 v[1:2], v[1:2], v[19:20]
	v_fma_f64 v[1:2], v[3:4], v[17:18], v[1:2]
	buffer_load_dword v3, off, s[0:3], 0 offset:608
	buffer_load_dword v4, off, s[0:3], 0 offset:612
	buffer_load_dword v23, off, s[0:3], 0 offset:616
	buffer_load_dword v24, off, s[0:3], 0 offset:620
	s_waitcnt vmcnt(2)
	v_add_f64 v[3:4], v[3:4], -v[21:22]
	s_waitcnt vmcnt(0)
	v_add_f64 v[1:2], v[23:24], -v[1:2]
	buffer_store_dword v4, off, s[0:3], 0 offset:612
	buffer_store_dword v3, off, s[0:3], 0 offset:608
	buffer_store_dword v2, off, s[0:3], 0 offset:620
	buffer_store_dword v1, off, s[0:3], 0 offset:616
	ds_read2_b64 v[1:4], v121 offset0:78 offset1:79
	s_waitcnt lgkmcnt(0)
	v_mul_f64 v[21:22], v[3:4], v[19:20]
	v_fma_f64 v[21:22], v[1:2], v[17:18], -v[21:22]
	v_mul_f64 v[1:2], v[1:2], v[19:20]
	v_fma_f64 v[1:2], v[3:4], v[17:18], v[1:2]
	buffer_load_dword v3, off, s[0:3], 0 offset:624
	buffer_load_dword v4, off, s[0:3], 0 offset:628
	buffer_load_dword v23, off, s[0:3], 0 offset:632
	buffer_load_dword v24, off, s[0:3], 0 offset:636
	s_waitcnt vmcnt(2)
	v_add_f64 v[3:4], v[3:4], -v[21:22]
	s_waitcnt vmcnt(0)
	v_add_f64 v[1:2], v[23:24], -v[1:2]
	;; [unrolled: 18-line block ×3, first 2 shown]
	buffer_store_dword v4, off, s[0:3], 0 offset:644
	buffer_store_dword v3, off, s[0:3], 0 offset:640
	;; [unrolled: 1-line block ×4, first 2 shown]
	ds_read2_b64 v[1:4], v121 offset0:82 offset1:83
	buffer_load_dword v17, off, s[0:3], 0 offset:544
	buffer_load_dword v18, off, s[0:3], 0 offset:548
	;; [unrolled: 1-line block ×4, first 2 shown]
	s_waitcnt vmcnt(0) lgkmcnt(0)
	v_mul_f64 v[21:22], v[3:4], v[19:20]
	v_fma_f64 v[21:22], v[1:2], v[17:18], -v[21:22]
	v_mul_f64 v[1:2], v[1:2], v[19:20]
	v_fma_f64 v[1:2], v[3:4], v[17:18], v[1:2]
	buffer_load_dword v4, off, s[0:3], 0 offset:660
	buffer_load_dword v3, off, s[0:3], 0 offset:656
	s_waitcnt vmcnt(0)
	v_add_f64 v[3:4], v[3:4], -v[21:22]
	buffer_load_dword v22, off, s[0:3], 0 offset:668
	buffer_load_dword v21, off, s[0:3], 0 offset:664
	s_waitcnt vmcnt(0)
	v_add_f64 v[1:2], v[21:22], -v[1:2]
	buffer_store_dword v4, off, s[0:3], 0 offset:660
	buffer_store_dword v3, off, s[0:3], 0 offset:656
	buffer_store_dword v2, off, s[0:3], 0 offset:668
	buffer_store_dword v1, off, s[0:3], 0 offset:664
	ds_read2_b64 v[1:4], v121 offset0:84 offset1:85
	s_waitcnt lgkmcnt(0)
	v_mul_f64 v[21:22], v[3:4], v[19:20]
	v_fma_f64 v[21:22], v[1:2], v[17:18], -v[21:22]
	v_mul_f64 v[1:2], v[1:2], v[19:20]
	v_fma_f64 v[1:2], v[3:4], v[17:18], v[1:2]
	buffer_load_dword v3, off, s[0:3], 0 offset:672
	buffer_load_dword v4, off, s[0:3], 0 offset:676
	buffer_load_dword v23, off, s[0:3], 0 offset:680
	buffer_load_dword v24, off, s[0:3], 0 offset:684
	s_waitcnt vmcnt(2)
	v_add_f64 v[3:4], v[3:4], -v[21:22]
	s_waitcnt vmcnt(0)
	v_add_f64 v[1:2], v[23:24], -v[1:2]
	buffer_store_dword v4, off, s[0:3], 0 offset:676
	buffer_store_dword v3, off, s[0:3], 0 offset:672
	buffer_store_dword v2, off, s[0:3], 0 offset:684
	buffer_store_dword v1, off, s[0:3], 0 offset:680
	ds_read2_b64 v[1:4], v121 offset0:86 offset1:87
	s_waitcnt lgkmcnt(0)
	v_mul_f64 v[21:22], v[3:4], v[19:20]
	v_fma_f64 v[21:22], v[1:2], v[17:18], -v[21:22]
	v_mul_f64 v[1:2], v[1:2], v[19:20]
	v_fma_f64 v[1:2], v[3:4], v[17:18], v[1:2]
	buffer_load_dword v3, off, s[0:3], 0 offset:688
	buffer_load_dword v4, off, s[0:3], 0 offset:692
	buffer_load_dword v23, off, s[0:3], 0 offset:696
	buffer_load_dword v24, off, s[0:3], 0 offset:700
	s_waitcnt vmcnt(2)
	v_add_f64 v[3:4], v[3:4], -v[21:22]
	;; [unrolled: 18-line block ×5, first 2 shown]
	s_waitcnt vmcnt(0)
	v_add_f64 v[1:2], v[17:18], -v[1:2]
	buffer_store_dword v4, off, s[0:3], 0 offset:740
	buffer_store_dword v3, off, s[0:3], 0 offset:736
	;; [unrolled: 1-line block ×4, first 2 shown]
	ds_read2_b64 v[1:4], v121 offset0:94 offset1:95
	buffer_load_dword v17, off, s[0:3], 0 offset:544
	buffer_load_dword v18, off, s[0:3], 0 offset:548
	;; [unrolled: 1-line block ×4, first 2 shown]
	s_waitcnt vmcnt(0) lgkmcnt(0)
	v_mul_f64 v[21:22], v[3:4], v[19:20]
	v_fma_f64 v[21:22], v[1:2], v[17:18], -v[21:22]
	v_mul_f64 v[1:2], v[1:2], v[19:20]
	v_fma_f64 v[1:2], v[3:4], v[17:18], v[1:2]
	buffer_load_dword v4, off, s[0:3], 0 offset:756
	buffer_load_dword v3, off, s[0:3], 0 offset:752
	s_waitcnt vmcnt(0)
	v_add_f64 v[3:4], v[3:4], -v[21:22]
	buffer_load_dword v22, off, s[0:3], 0 offset:764
	buffer_load_dword v21, off, s[0:3], 0 offset:760
	s_waitcnt vmcnt(0)
	v_add_f64 v[1:2], v[21:22], -v[1:2]
	buffer_store_dword v4, off, s[0:3], 0 offset:756
	buffer_store_dword v3, off, s[0:3], 0 offset:752
	buffer_store_dword v2, off, s[0:3], 0 offset:764
	buffer_store_dword v1, off, s[0:3], 0 offset:760
	ds_read2_b64 v[1:4], v121 offset0:96 offset1:97
	s_waitcnt lgkmcnt(0)
	v_mul_f64 v[21:22], v[3:4], v[19:20]
	v_fma_f64 v[21:22], v[1:2], v[17:18], -v[21:22]
	v_mul_f64 v[1:2], v[1:2], v[19:20]
	v_fma_f64 v[1:2], v[3:4], v[17:18], v[1:2]
	buffer_load_dword v3, off, s[0:3], 0 offset:768
	buffer_load_dword v4, off, s[0:3], 0 offset:772
	buffer_load_dword v23, off, s[0:3], 0 offset:776
	buffer_load_dword v24, off, s[0:3], 0 offset:780
	s_waitcnt vmcnt(2)
	v_add_f64 v[3:4], v[3:4], -v[21:22]
	s_waitcnt vmcnt(0)
	v_add_f64 v[1:2], v[23:24], -v[1:2]
	buffer_store_dword v4, off, s[0:3], 0 offset:772
	buffer_store_dword v3, off, s[0:3], 0 offset:768
	buffer_store_dword v2, off, s[0:3], 0 offset:780
	buffer_store_dword v1, off, s[0:3], 0 offset:776
	ds_read2_b64 v[1:4], v121 offset0:98 offset1:99
	s_waitcnt lgkmcnt(0)
	v_mul_f64 v[21:22], v[3:4], v[19:20]
	v_fma_f64 v[21:22], v[1:2], v[17:18], -v[21:22]
	v_mul_f64 v[1:2], v[1:2], v[19:20]
	v_fma_f64 v[1:2], v[3:4], v[17:18], v[1:2]
	buffer_load_dword v3, off, s[0:3], 0 offset:784
	buffer_load_dword v4, off, s[0:3], 0 offset:788
	buffer_load_dword v23, off, s[0:3], 0 offset:792
	buffer_load_dword v24, off, s[0:3], 0 offset:796
	s_waitcnt vmcnt(2)
	v_add_f64 v[3:4], v[3:4], -v[21:22]
	;; [unrolled: 18-line block ×5, first 2 shown]
	s_waitcnt vmcnt(0)
	v_add_f64 v[1:2], v[17:18], -v[1:2]
	buffer_store_dword v4, off, s[0:3], 0 offset:836
	buffer_store_dword v3, off, s[0:3], 0 offset:832
	;; [unrolled: 1-line block ×4, first 2 shown]
	ds_read2_b64 v[1:4], v121 offset0:106 offset1:107
	buffer_load_dword v17, off, s[0:3], 0 offset:544
	buffer_load_dword v18, off, s[0:3], 0 offset:548
	;; [unrolled: 1-line block ×4, first 2 shown]
	s_waitcnt vmcnt(0) lgkmcnt(0)
	v_mul_f64 v[21:22], v[3:4], v[19:20]
	v_fma_f64 v[21:22], v[1:2], v[17:18], -v[21:22]
	v_mul_f64 v[1:2], v[1:2], v[19:20]
	v_fma_f64 v[1:2], v[3:4], v[17:18], v[1:2]
	buffer_load_dword v4, off, s[0:3], 0 offset:852
	buffer_load_dword v3, off, s[0:3], 0 offset:848
	s_waitcnt vmcnt(0)
	v_add_f64 v[3:4], v[3:4], -v[21:22]
	buffer_load_dword v22, off, s[0:3], 0 offset:860
	buffer_load_dword v21, off, s[0:3], 0 offset:856
	s_waitcnt vmcnt(0)
	v_add_f64 v[1:2], v[21:22], -v[1:2]
	buffer_store_dword v4, off, s[0:3], 0 offset:852
	buffer_store_dword v3, off, s[0:3], 0 offset:848
	buffer_store_dword v2, off, s[0:3], 0 offset:860
	buffer_store_dword v1, off, s[0:3], 0 offset:856
	ds_read2_b64 v[1:4], v121 offset0:108 offset1:109
	s_waitcnt lgkmcnt(0)
	v_mul_f64 v[21:22], v[3:4], v[19:20]
	v_fma_f64 v[21:22], v[1:2], v[17:18], -v[21:22]
	v_mul_f64 v[1:2], v[1:2], v[19:20]
	v_fma_f64 v[1:2], v[3:4], v[17:18], v[1:2]
	buffer_load_dword v3, off, s[0:3], 0 offset:864
	buffer_load_dword v4, off, s[0:3], 0 offset:868
	buffer_load_dword v23, off, s[0:3], 0 offset:872
	buffer_load_dword v24, off, s[0:3], 0 offset:876
	s_waitcnt vmcnt(2)
	v_add_f64 v[3:4], v[3:4], -v[21:22]
	s_waitcnt vmcnt(0)
	v_add_f64 v[1:2], v[23:24], -v[1:2]
	buffer_store_dword v4, off, s[0:3], 0 offset:868
	buffer_store_dword v3, off, s[0:3], 0 offset:864
	buffer_store_dword v2, off, s[0:3], 0 offset:876
	buffer_store_dword v1, off, s[0:3], 0 offset:872
	ds_read2_b64 v[1:4], v121 offset0:110 offset1:111
	s_waitcnt lgkmcnt(0)
	v_mul_f64 v[21:22], v[3:4], v[19:20]
	v_fma_f64 v[21:22], v[1:2], v[17:18], -v[21:22]
	v_mul_f64 v[1:2], v[1:2], v[19:20]
	v_fma_f64 v[1:2], v[3:4], v[17:18], v[1:2]
	buffer_load_dword v3, off, s[0:3], 0 offset:880
	buffer_load_dword v4, off, s[0:3], 0 offset:884
	buffer_load_dword v23, off, s[0:3], 0 offset:888
	buffer_load_dword v24, off, s[0:3], 0 offset:892
	s_waitcnt vmcnt(2)
	v_add_f64 v[3:4], v[3:4], -v[21:22]
	s_waitcnt vmcnt(0)
	v_add_f64 v[1:2], v[23:24], -v[1:2]
	buffer_store_dword v4, off, s[0:3], 0 offset:884
	buffer_store_dword v3, off, s[0:3], 0 offset:880
	buffer_store_dword v2, off, s[0:3], 0 offset:892
	buffer_store_dword v1, off, s[0:3], 0 offset:888
	ds_read2_b64 v[1:4], v121 offset0:112 offset1:113
	s_waitcnt lgkmcnt(0)
	v_mul_f64 v[21:22], v[3:4], v[19:20]
	v_fma_f64 v[21:22], v[1:2], v[17:18], -v[21:22]
	v_mul_f64 v[1:2], v[1:2], v[19:20]
	v_fma_f64 v[1:2], v[3:4], v[17:18], v[1:2]
	buffer_load_dword v3, off, s[0:3], 0 offset:896
	buffer_load_dword v4, off, s[0:3], 0 offset:900
	buffer_load_dword v23, off, s[0:3], 0 offset:904
	buffer_load_dword v24, off, s[0:3], 0 offset:908
	s_waitcnt vmcnt(2)
	v_add_f64 v[3:4], v[3:4], -v[21:22]
	s_waitcnt vmcnt(0)
	v_add_f64 v[1:2], v[23:24], -v[1:2]
	buffer_store_dword v4, off, s[0:3], 0 offset:900
	buffer_store_dword v3, off, s[0:3], 0 offset:896
	buffer_store_dword v2, off, s[0:3], 0 offset:908
	buffer_store_dword v1, off, s[0:3], 0 offset:904
	ds_read2_b64 v[1:4], v121 offset0:114 offset1:115
	s_waitcnt lgkmcnt(0)
	v_mul_f64 v[21:22], v[3:4], v[19:20]
	v_fma_f64 v[21:22], v[1:2], v[17:18], -v[21:22]
	v_mul_f64 v[1:2], v[1:2], v[19:20]
	v_fma_f64 v[1:2], v[3:4], v[17:18], v[1:2]
	buffer_load_dword v3, off, s[0:3], 0 offset:912
	buffer_load_dword v4, off, s[0:3], 0 offset:916
	buffer_load_dword v23, off, s[0:3], 0 offset:920
	buffer_load_dword v24, off, s[0:3], 0 offset:924
	s_waitcnt vmcnt(2)
	v_add_f64 v[3:4], v[3:4], -v[21:22]
	s_waitcnt vmcnt(0)
	v_add_f64 v[1:2], v[23:24], -v[1:2]
	buffer_store_dword v4, off, s[0:3], 0 offset:916
	buffer_store_dword v3, off, s[0:3], 0 offset:912
	buffer_store_dword v2, off, s[0:3], 0 offset:924
	buffer_store_dword v1, off, s[0:3], 0 offset:920
	ds_read2_b64 v[1:4], v121 offset0:116 offset1:117
	s_waitcnt lgkmcnt(0)
	v_mul_f64 v[21:22], v[3:4], v[19:20]
	v_fma_f64 v[21:22], v[1:2], v[17:18], -v[21:22]
	v_mul_f64 v[1:2], v[1:2], v[19:20]
	v_fma_f64 v[1:2], v[3:4], v[17:18], v[1:2]
	buffer_load_dword v3, off, s[0:3], 0 offset:928
	buffer_load_dword v4, off, s[0:3], 0 offset:932
	buffer_load_dword v17, off, s[0:3], 0 offset:936
	buffer_load_dword v18, off, s[0:3], 0 offset:940
	s_waitcnt vmcnt(2)
	v_add_f64 v[3:4], v[3:4], -v[21:22]
	s_waitcnt vmcnt(0)
	v_add_f64 v[1:2], v[17:18], -v[1:2]
	buffer_store_dword v4, off, s[0:3], 0 offset:932
	buffer_store_dword v3, off, s[0:3], 0 offset:928
	buffer_store_dword v2, off, s[0:3], 0 offset:940
	buffer_store_dword v1, off, s[0:3], 0 offset:936
	ds_read2_b64 v[17:20], v121 offset0:118 offset1:119
	buffer_load_dword v21, off, s[0:3], 0 offset:544
	buffer_load_dword v22, off, s[0:3], 0 offset:548
	;; [unrolled: 1-line block ×4, first 2 shown]
	s_waitcnt vmcnt(0) lgkmcnt(0)
	v_mul_f64 v[1:2], v[19:20], v[23:24]
	v_fma_f64 v[25:26], v[17:18], v[21:22], -v[1:2]
	v_mul_f64 v[1:2], v[17:18], v[23:24]
	v_fma_f64 v[17:18], v[19:20], v[21:22], v[1:2]
	buffer_load_dword v2, off, s[0:3], 0 offset:948
	buffer_load_dword v1, off, s[0:3], 0 offset:944
	;; [unrolled: 1-line block ×4, first 2 shown]
	s_waitcnt vmcnt(2)
	v_add_f64 v[1:2], v[1:2], -v[25:26]
	s_waitcnt vmcnt(0)
	v_add_f64 v[3:4], v[3:4], -v[17:18]
	buffer_store_dword v2, off, s[0:3], 0 offset:948
	buffer_store_dword v1, off, s[0:3], 0 offset:944
	;; [unrolled: 1-line block ×4, first 2 shown]
	ds_read2_b64 v[1:4], v121 offset0:120 offset1:121
	s_waitcnt lgkmcnt(0)
	v_mul_f64 v[17:18], v[3:4], v[23:24]
	v_fma_f64 v[17:18], v[1:2], v[21:22], -v[17:18]
	v_mul_f64 v[1:2], v[1:2], v[23:24]
	v_fma_f64 v[1:2], v[3:4], v[21:22], v[1:2]
	buffer_load_dword v3, off, s[0:3], 0 offset:960
	buffer_load_dword v4, off, s[0:3], 0 offset:964
	;; [unrolled: 1-line block ×4, first 2 shown]
	s_waitcnt vmcnt(2)
	v_add_f64 v[3:4], v[3:4], -v[17:18]
	s_waitcnt vmcnt(0)
	v_add_f64 v[1:2], v[19:20], -v[1:2]
	buffer_store_dword v4, off, s[0:3], 0 offset:964
	buffer_store_dword v3, off, s[0:3], 0 offset:960
	;; [unrolled: 1-line block ×4, first 2 shown]
	ds_read2_b64 v[1:4], v121 offset0:122 offset1:123
	s_waitcnt lgkmcnt(0)
	v_mul_f64 v[17:18], v[3:4], v[23:24]
	v_fma_f64 v[19:20], v[1:2], v[21:22], -v[17:18]
	v_mul_f64 v[1:2], v[1:2], v[23:24]
	v_fma_f64 v[17:18], v[3:4], v[21:22], v[1:2]
	buffer_load_dword v1, off, s[0:3], 0 offset:976
	buffer_load_dword v2, off, s[0:3], 0 offset:980
	;; [unrolled: 1-line block ×4, first 2 shown]
	s_waitcnt vmcnt(2)
	v_add_f64 v[1:2], v[1:2], -v[19:20]
	s_waitcnt vmcnt(0)
	v_add_f64 v[3:4], v[3:4], -v[17:18]
	buffer_store_dword v2, off, s[0:3], 0 offset:980
	buffer_store_dword v1, off, s[0:3], 0 offset:976
	;; [unrolled: 1-line block ×4, first 2 shown]
.LBB123_428:
	s_or_b64 exec, exec, s[6:7]
	v_cmp_eq_u32_e32 vcc, 35, v0
	s_waitcnt vmcnt(0) lgkmcnt(0)
	s_barrier
	s_and_saveexec_b64 s[8:9], vcc
	s_cbranch_execz .LBB123_435
; %bb.429:
	v_mov_b32_e32 v4, s40
	buffer_load_dword v1, v4, s[0:3], 0 offen
	buffer_load_dword v2, v4, s[0:3], 0 offen offset:4
	buffer_load_dword v3, v4, s[0:3], 0 offen offset:8
	s_nop 0
	buffer_load_dword v4, v4, s[0:3], 0 offen offset:12
	v_readlane_b32 s6, v126, 11
	s_waitcnt vmcnt(0)
	ds_write2_b64 v125, v[1:2], v[3:4] offset1:1
	v_mov_b32_e32 v4, s6
	buffer_load_dword v1, v4, s[0:3], 0 offen
	buffer_load_dword v2, v4, s[0:3], 0 offen offset:4
	buffer_load_dword v3, v4, s[0:3], 0 offen offset:8
	s_nop 0
	buffer_load_dword v4, v4, s[0:3], 0 offen offset:12
	v_readlane_b32 s6, v126, 12
	s_waitcnt vmcnt(0)
	ds_write2_b64 v121, v[1:2], v[3:4] offset0:72 offset1:73
	v_mov_b32_e32 v4, s38
	buffer_load_dword v1, v4, s[0:3], 0 offen
	buffer_load_dword v2, v4, s[0:3], 0 offen offset:4
	buffer_load_dword v3, v4, s[0:3], 0 offen offset:8
	s_nop 0
	buffer_load_dword v4, v4, s[0:3], 0 offen offset:12
	s_waitcnt vmcnt(0)
	ds_write2_b64 v121, v[1:2], v[3:4] offset0:74 offset1:75
	v_mov_b32_e32 v4, s6
	buffer_load_dword v1, v4, s[0:3], 0 offen
	buffer_load_dword v2, v4, s[0:3], 0 offen offset:4
	buffer_load_dword v3, v4, s[0:3], 0 offen offset:8
	s_nop 0
	buffer_load_dword v4, v4, s[0:3], 0 offen offset:12
	v_readlane_b32 s6, v126, 13
	s_waitcnt vmcnt(0)
	ds_write2_b64 v121, v[1:2], v[3:4] offset0:76 offset1:77
	v_mov_b32_e32 v4, s36
	buffer_load_dword v1, v4, s[0:3], 0 offen
	buffer_load_dword v2, v4, s[0:3], 0 offen offset:4
	buffer_load_dword v3, v4, s[0:3], 0 offen offset:8
	s_nop 0
	buffer_load_dword v4, v4, s[0:3], 0 offen offset:12
	s_waitcnt vmcnt(0)
	ds_write2_b64 v121, v[1:2], v[3:4] offset0:78 offset1:79
	;; [unrolled: 17-line block ×12, first 2 shown]
	v_mov_b32_e32 v4, s42
	buffer_load_dword v1, v4, s[0:3], 0 offen
	buffer_load_dword v2, v4, s[0:3], 0 offen offset:4
	buffer_load_dword v3, v4, s[0:3], 0 offen offset:8
	s_nop 0
	buffer_load_dword v4, v4, s[0:3], 0 offen offset:12
	s_waitcnt vmcnt(0)
	ds_write2_b64 v121, v[1:2], v[3:4] offset0:120 offset1:121
	v_mov_b32_e32 v4, s6
	buffer_load_dword v1, v4, s[0:3], 0 offen
	buffer_load_dword v2, v4, s[0:3], 0 offen offset:4
	buffer_load_dword v3, v4, s[0:3], 0 offen offset:8
	s_nop 0
	buffer_load_dword v4, v4, s[0:3], 0 offen offset:12
	s_waitcnt vmcnt(0)
	ds_write2_b64 v121, v[1:2], v[3:4] offset0:122 offset1:123
	ds_read2_b64 v[17:20], v125 offset1:1
	s_waitcnt lgkmcnt(0)
	v_cmp_neq_f64_e32 vcc, 0, v[17:18]
	v_cmp_neq_f64_e64 s[6:7], 0, v[19:20]
	s_or_b64 s[6:7], vcc, s[6:7]
	s_and_b64 exec, exec, s[6:7]
	s_cbranch_execz .LBB123_435
; %bb.430:
	v_cmp_ngt_f64_e64 s[6:7], |v[17:18]|, |v[19:20]|
                                        ; implicit-def: $vgpr1_vgpr2
	s_and_saveexec_b64 s[10:11], s[6:7]
	s_xor_b64 s[6:7], exec, s[10:11]
                                        ; implicit-def: $vgpr3_vgpr4
	s_cbranch_execz .LBB123_432
; %bb.431:
	v_div_scale_f64 v[1:2], s[10:11], v[19:20], v[19:20], v[17:18]
	v_rcp_f64_e32 v[3:4], v[1:2]
	v_fma_f64 v[21:22], -v[1:2], v[3:4], 1.0
	v_fma_f64 v[3:4], v[3:4], v[21:22], v[3:4]
	v_div_scale_f64 v[21:22], vcc, v[17:18], v[19:20], v[17:18]
	v_fma_f64 v[23:24], -v[1:2], v[3:4], 1.0
	v_fma_f64 v[3:4], v[3:4], v[23:24], v[3:4]
	v_mul_f64 v[23:24], v[21:22], v[3:4]
	v_fma_f64 v[1:2], -v[1:2], v[23:24], v[21:22]
	v_div_fmas_f64 v[1:2], v[1:2], v[3:4], v[23:24]
	v_div_fixup_f64 v[1:2], v[1:2], v[19:20], v[17:18]
	v_fma_f64 v[3:4], v[17:18], v[1:2], v[19:20]
	v_div_scale_f64 v[17:18], s[10:11], v[3:4], v[3:4], 1.0
	v_div_scale_f64 v[23:24], vcc, 1.0, v[3:4], 1.0
	v_rcp_f64_e32 v[19:20], v[17:18]
	v_fma_f64 v[21:22], -v[17:18], v[19:20], 1.0
	v_fma_f64 v[19:20], v[19:20], v[21:22], v[19:20]
	v_fma_f64 v[21:22], -v[17:18], v[19:20], 1.0
	v_fma_f64 v[19:20], v[19:20], v[21:22], v[19:20]
	v_mul_f64 v[21:22], v[23:24], v[19:20]
	v_fma_f64 v[17:18], -v[17:18], v[21:22], v[23:24]
	v_div_fmas_f64 v[17:18], v[17:18], v[19:20], v[21:22]
	v_div_fixup_f64 v[3:4], v[17:18], v[3:4], 1.0
                                        ; implicit-def: $vgpr17_vgpr18
	v_mul_f64 v[1:2], v[1:2], v[3:4]
	v_xor_b32_e32 v4, 0x80000000, v4
.LBB123_432:
	s_andn2_saveexec_b64 s[6:7], s[6:7]
	s_cbranch_execz .LBB123_434
; %bb.433:
	v_div_scale_f64 v[1:2], s[10:11], v[17:18], v[17:18], v[19:20]
	v_rcp_f64_e32 v[3:4], v[1:2]
	v_fma_f64 v[21:22], -v[1:2], v[3:4], 1.0
	v_fma_f64 v[3:4], v[3:4], v[21:22], v[3:4]
	v_div_scale_f64 v[21:22], vcc, v[19:20], v[17:18], v[19:20]
	v_fma_f64 v[23:24], -v[1:2], v[3:4], 1.0
	v_fma_f64 v[3:4], v[3:4], v[23:24], v[3:4]
	v_mul_f64 v[23:24], v[21:22], v[3:4]
	v_fma_f64 v[1:2], -v[1:2], v[23:24], v[21:22]
	v_div_fmas_f64 v[1:2], v[1:2], v[3:4], v[23:24]
	v_div_fixup_f64 v[3:4], v[1:2], v[17:18], v[19:20]
	v_fma_f64 v[1:2], v[19:20], v[3:4], v[17:18]
	v_div_scale_f64 v[17:18], s[10:11], v[1:2], v[1:2], 1.0
	v_div_scale_f64 v[23:24], vcc, 1.0, v[1:2], 1.0
	v_rcp_f64_e32 v[19:20], v[17:18]
	v_fma_f64 v[21:22], -v[17:18], v[19:20], 1.0
	v_fma_f64 v[19:20], v[19:20], v[21:22], v[19:20]
	v_fma_f64 v[21:22], -v[17:18], v[19:20], 1.0
	v_fma_f64 v[19:20], v[19:20], v[21:22], v[19:20]
	v_mul_f64 v[21:22], v[23:24], v[19:20]
	v_fma_f64 v[17:18], -v[17:18], v[21:22], v[23:24]
	v_div_fmas_f64 v[17:18], v[17:18], v[19:20], v[21:22]
	v_div_fixup_f64 v[1:2], v[17:18], v[1:2], 1.0
	v_mul_f64 v[3:4], v[3:4], -v[1:2]
.LBB123_434:
	s_or_b64 exec, exec, s[6:7]
	ds_write2_b64 v125, v[1:2], v[3:4] offset1:1
.LBB123_435:
	s_or_b64 exec, exec, s[8:9]
	s_waitcnt lgkmcnt(0)
	s_barrier
	ds_read2_b64 v[17:20], v125 offset1:1
	v_cmp_lt_u32_e32 vcc, 35, v0
	s_and_saveexec_b64 s[6:7], vcc
	s_cbranch_execz .LBB123_437
; %bb.436:
	buffer_load_dword v1, off, s[0:3], 0 offset:560
	buffer_load_dword v2, off, s[0:3], 0 offset:564
	;; [unrolled: 1-line block ×16, first 2 shown]
	s_waitcnt vmcnt(12) lgkmcnt(0)
	v_mul_f64 v[21:22], v[19:20], v[3:4]
	v_mul_f64 v[3:4], v[17:18], v[3:4]
	v_fma_f64 v[21:22], v[17:18], v[1:2], -v[21:22]
	v_fma_f64 v[23:24], v[19:20], v[1:2], v[3:4]
	buffer_store_dword v21, off, s[0:3], 0 offset:560
	buffer_store_dword v22, off, s[0:3], 0 offset:564
	buffer_store_dword v23, off, s[0:3], 0 offset:568
	buffer_store_dword v24, off, s[0:3], 0 offset:572
	ds_read2_b64 v[1:4], v121 offset0:72 offset1:73
	s_waitcnt lgkmcnt(0)
	v_mul_f64 v[37:38], v[3:4], v[23:24]
	v_fma_f64 v[37:38], v[1:2], v[21:22], -v[37:38]
	v_mul_f64 v[1:2], v[1:2], v[23:24]
	v_fma_f64 v[1:2], v[3:4], v[21:22], v[1:2]
	s_waitcnt vmcnt(14)
	v_add_f64 v[3:4], v[25:26], -v[37:38]
	s_waitcnt vmcnt(12)
	v_add_f64 v[1:2], v[27:28], -v[1:2]
	buffer_store_dword v3, off, s[0:3], 0 offset:576
	buffer_store_dword v4, off, s[0:3], 0 offset:580
	buffer_store_dword v1, off, s[0:3], 0 offset:584
	buffer_store_dword v2, off, s[0:3], 0 offset:588
	ds_read2_b64 v[1:4], v121 offset0:74 offset1:75
	s_waitcnt lgkmcnt(0)
	v_mul_f64 v[25:26], v[3:4], v[23:24]
	v_fma_f64 v[25:26], v[1:2], v[21:22], -v[25:26]
	v_mul_f64 v[1:2], v[1:2], v[23:24]
	v_fma_f64 v[1:2], v[3:4], v[21:22], v[1:2]
	s_waitcnt vmcnt(14)
	v_add_f64 v[3:4], v[29:30], -v[25:26]
	s_waitcnt vmcnt(12)
	v_add_f64 v[1:2], v[31:32], -v[1:2]
	;; [unrolled: 14-line block ×3, first 2 shown]
	buffer_store_dword v4, off, s[0:3], 0 offset:612
	buffer_store_dword v3, off, s[0:3], 0 offset:608
	buffer_store_dword v1, off, s[0:3], 0 offset:616
	buffer_store_dword v2, off, s[0:3], 0 offset:620
	ds_read2_b64 v[1:4], v121 offset0:78 offset1:79
	s_waitcnt lgkmcnt(0)
	v_mul_f64 v[25:26], v[3:4], v[23:24]
	v_fma_f64 v[25:26], v[1:2], v[21:22], -v[25:26]
	v_mul_f64 v[1:2], v[1:2], v[23:24]
	v_fma_f64 v[1:2], v[3:4], v[21:22], v[1:2]
	buffer_load_dword v3, off, s[0:3], 0 offset:624
	buffer_load_dword v4, off, s[0:3], 0 offset:628
	buffer_load_dword v27, off, s[0:3], 0 offset:632
	buffer_load_dword v28, off, s[0:3], 0 offset:636
	s_waitcnt vmcnt(2)
	v_add_f64 v[3:4], v[3:4], -v[25:26]
	s_waitcnt vmcnt(0)
	v_add_f64 v[1:2], v[27:28], -v[1:2]
	buffer_store_dword v4, off, s[0:3], 0 offset:628
	buffer_store_dword v3, off, s[0:3], 0 offset:624
	buffer_store_dword v2, off, s[0:3], 0 offset:636
	buffer_store_dword v1, off, s[0:3], 0 offset:632
	ds_read2_b64 v[1:4], v121 offset0:80 offset1:81
	s_waitcnt lgkmcnt(0)
	v_mul_f64 v[25:26], v[3:4], v[23:24]
	v_fma_f64 v[25:26], v[1:2], v[21:22], -v[25:26]
	v_mul_f64 v[1:2], v[1:2], v[23:24]
	v_fma_f64 v[1:2], v[3:4], v[21:22], v[1:2]
	buffer_load_dword v3, off, s[0:3], 0 offset:640
	buffer_load_dword v4, off, s[0:3], 0 offset:644
	buffer_load_dword v27, off, s[0:3], 0 offset:648
	buffer_load_dword v28, off, s[0:3], 0 offset:652
	s_waitcnt vmcnt(2)
	v_add_f64 v[3:4], v[3:4], -v[25:26]
	s_waitcnt vmcnt(0)
	v_add_f64 v[1:2], v[27:28], -v[1:2]
	;; [unrolled: 18-line block ×3, first 2 shown]
	buffer_store_dword v4, off, s[0:3], 0 offset:660
	buffer_store_dword v3, off, s[0:3], 0 offset:656
	;; [unrolled: 1-line block ×4, first 2 shown]
	ds_read2_b64 v[1:4], v121 offset0:84 offset1:85
	buffer_load_dword v21, off, s[0:3], 0 offset:560
	buffer_load_dword v22, off, s[0:3], 0 offset:564
	;; [unrolled: 1-line block ×4, first 2 shown]
	s_waitcnt vmcnt(0) lgkmcnt(0)
	v_mul_f64 v[25:26], v[3:4], v[23:24]
	v_fma_f64 v[25:26], v[1:2], v[21:22], -v[25:26]
	v_mul_f64 v[1:2], v[1:2], v[23:24]
	v_fma_f64 v[1:2], v[3:4], v[21:22], v[1:2]
	buffer_load_dword v4, off, s[0:3], 0 offset:676
	buffer_load_dword v3, off, s[0:3], 0 offset:672
	s_waitcnt vmcnt(0)
	v_add_f64 v[3:4], v[3:4], -v[25:26]
	buffer_load_dword v26, off, s[0:3], 0 offset:684
	buffer_load_dword v25, off, s[0:3], 0 offset:680
	s_waitcnt vmcnt(0)
	v_add_f64 v[1:2], v[25:26], -v[1:2]
	buffer_store_dword v4, off, s[0:3], 0 offset:676
	buffer_store_dword v3, off, s[0:3], 0 offset:672
	buffer_store_dword v2, off, s[0:3], 0 offset:684
	buffer_store_dword v1, off, s[0:3], 0 offset:680
	ds_read2_b64 v[1:4], v121 offset0:86 offset1:87
	s_waitcnt lgkmcnt(0)
	v_mul_f64 v[25:26], v[3:4], v[23:24]
	v_fma_f64 v[25:26], v[1:2], v[21:22], -v[25:26]
	v_mul_f64 v[1:2], v[1:2], v[23:24]
	v_fma_f64 v[1:2], v[3:4], v[21:22], v[1:2]
	buffer_load_dword v3, off, s[0:3], 0 offset:688
	buffer_load_dword v4, off, s[0:3], 0 offset:692
	buffer_load_dword v27, off, s[0:3], 0 offset:696
	buffer_load_dword v28, off, s[0:3], 0 offset:700
	s_waitcnt vmcnt(2)
	v_add_f64 v[3:4], v[3:4], -v[25:26]
	s_waitcnt vmcnt(0)
	v_add_f64 v[1:2], v[27:28], -v[1:2]
	buffer_store_dword v4, off, s[0:3], 0 offset:692
	buffer_store_dword v3, off, s[0:3], 0 offset:688
	buffer_store_dword v2, off, s[0:3], 0 offset:700
	buffer_store_dword v1, off, s[0:3], 0 offset:696
	ds_read2_b64 v[1:4], v121 offset0:88 offset1:89
	s_waitcnt lgkmcnt(0)
	v_mul_f64 v[25:26], v[3:4], v[23:24]
	v_fma_f64 v[25:26], v[1:2], v[21:22], -v[25:26]
	v_mul_f64 v[1:2], v[1:2], v[23:24]
	v_fma_f64 v[1:2], v[3:4], v[21:22], v[1:2]
	buffer_load_dword v3, off, s[0:3], 0 offset:704
	buffer_load_dword v4, off, s[0:3], 0 offset:708
	buffer_load_dword v27, off, s[0:3], 0 offset:712
	buffer_load_dword v28, off, s[0:3], 0 offset:716
	s_waitcnt vmcnt(2)
	v_add_f64 v[3:4], v[3:4], -v[25:26]
	;; [unrolled: 18-line block ×5, first 2 shown]
	s_waitcnt vmcnt(0)
	v_add_f64 v[1:2], v[21:22], -v[1:2]
	buffer_store_dword v4, off, s[0:3], 0 offset:756
	buffer_store_dword v3, off, s[0:3], 0 offset:752
	;; [unrolled: 1-line block ×4, first 2 shown]
	ds_read2_b64 v[1:4], v121 offset0:96 offset1:97
	buffer_load_dword v21, off, s[0:3], 0 offset:560
	buffer_load_dword v22, off, s[0:3], 0 offset:564
	;; [unrolled: 1-line block ×4, first 2 shown]
	s_waitcnt vmcnt(0) lgkmcnt(0)
	v_mul_f64 v[25:26], v[3:4], v[23:24]
	v_fma_f64 v[25:26], v[1:2], v[21:22], -v[25:26]
	v_mul_f64 v[1:2], v[1:2], v[23:24]
	v_fma_f64 v[1:2], v[3:4], v[21:22], v[1:2]
	buffer_load_dword v4, off, s[0:3], 0 offset:772
	buffer_load_dword v3, off, s[0:3], 0 offset:768
	s_waitcnt vmcnt(0)
	v_add_f64 v[3:4], v[3:4], -v[25:26]
	buffer_load_dword v26, off, s[0:3], 0 offset:780
	buffer_load_dword v25, off, s[0:3], 0 offset:776
	s_waitcnt vmcnt(0)
	v_add_f64 v[1:2], v[25:26], -v[1:2]
	buffer_store_dword v4, off, s[0:3], 0 offset:772
	buffer_store_dword v3, off, s[0:3], 0 offset:768
	buffer_store_dword v2, off, s[0:3], 0 offset:780
	buffer_store_dword v1, off, s[0:3], 0 offset:776
	ds_read2_b64 v[1:4], v121 offset0:98 offset1:99
	s_waitcnt lgkmcnt(0)
	v_mul_f64 v[25:26], v[3:4], v[23:24]
	v_fma_f64 v[25:26], v[1:2], v[21:22], -v[25:26]
	v_mul_f64 v[1:2], v[1:2], v[23:24]
	v_fma_f64 v[1:2], v[3:4], v[21:22], v[1:2]
	buffer_load_dword v3, off, s[0:3], 0 offset:784
	buffer_load_dword v4, off, s[0:3], 0 offset:788
	buffer_load_dword v27, off, s[0:3], 0 offset:792
	buffer_load_dword v28, off, s[0:3], 0 offset:796
	s_waitcnt vmcnt(2)
	v_add_f64 v[3:4], v[3:4], -v[25:26]
	s_waitcnt vmcnt(0)
	v_add_f64 v[1:2], v[27:28], -v[1:2]
	buffer_store_dword v4, off, s[0:3], 0 offset:788
	buffer_store_dword v3, off, s[0:3], 0 offset:784
	buffer_store_dword v2, off, s[0:3], 0 offset:796
	buffer_store_dword v1, off, s[0:3], 0 offset:792
	ds_read2_b64 v[1:4], v121 offset0:100 offset1:101
	s_waitcnt lgkmcnt(0)
	v_mul_f64 v[25:26], v[3:4], v[23:24]
	v_fma_f64 v[25:26], v[1:2], v[21:22], -v[25:26]
	v_mul_f64 v[1:2], v[1:2], v[23:24]
	v_fma_f64 v[1:2], v[3:4], v[21:22], v[1:2]
	buffer_load_dword v3, off, s[0:3], 0 offset:800
	buffer_load_dword v4, off, s[0:3], 0 offset:804
	buffer_load_dword v27, off, s[0:3], 0 offset:808
	buffer_load_dword v28, off, s[0:3], 0 offset:812
	s_waitcnt vmcnt(2)
	v_add_f64 v[3:4], v[3:4], -v[25:26]
	s_waitcnt vmcnt(0)
	v_add_f64 v[1:2], v[27:28], -v[1:2]
	buffer_store_dword v4, off, s[0:3], 0 offset:804
	buffer_store_dword v3, off, s[0:3], 0 offset:800
	buffer_store_dword v2, off, s[0:3], 0 offset:812
	buffer_store_dword v1, off, s[0:3], 0 offset:808
	ds_read2_b64 v[1:4], v121 offset0:102 offset1:103
	s_waitcnt lgkmcnt(0)
	v_mul_f64 v[25:26], v[3:4], v[23:24]
	v_fma_f64 v[25:26], v[1:2], v[21:22], -v[25:26]
	v_mul_f64 v[1:2], v[1:2], v[23:24]
	v_fma_f64 v[1:2], v[3:4], v[21:22], v[1:2]
	buffer_load_dword v3, off, s[0:3], 0 offset:816
	buffer_load_dword v4, off, s[0:3], 0 offset:820
	buffer_load_dword v27, off, s[0:3], 0 offset:824
	buffer_load_dword v28, off, s[0:3], 0 offset:828
	s_waitcnt vmcnt(2)
	v_add_f64 v[3:4], v[3:4], -v[25:26]
	s_waitcnt vmcnt(0)
	v_add_f64 v[1:2], v[27:28], -v[1:2]
	buffer_store_dword v4, off, s[0:3], 0 offset:820
	buffer_store_dword v3, off, s[0:3], 0 offset:816
	buffer_store_dword v2, off, s[0:3], 0 offset:828
	buffer_store_dword v1, off, s[0:3], 0 offset:824
	ds_read2_b64 v[1:4], v121 offset0:104 offset1:105
	s_waitcnt lgkmcnt(0)
	v_mul_f64 v[25:26], v[3:4], v[23:24]
	v_fma_f64 v[25:26], v[1:2], v[21:22], -v[25:26]
	v_mul_f64 v[1:2], v[1:2], v[23:24]
	v_fma_f64 v[1:2], v[3:4], v[21:22], v[1:2]
	buffer_load_dword v3, off, s[0:3], 0 offset:832
	buffer_load_dword v4, off, s[0:3], 0 offset:836
	buffer_load_dword v27, off, s[0:3], 0 offset:840
	buffer_load_dword v28, off, s[0:3], 0 offset:844
	s_waitcnt vmcnt(2)
	v_add_f64 v[3:4], v[3:4], -v[25:26]
	s_waitcnt vmcnt(0)
	v_add_f64 v[1:2], v[27:28], -v[1:2]
	buffer_store_dword v4, off, s[0:3], 0 offset:836
	buffer_store_dword v3, off, s[0:3], 0 offset:832
	buffer_store_dword v2, off, s[0:3], 0 offset:844
	buffer_store_dword v1, off, s[0:3], 0 offset:840
	ds_read2_b64 v[1:4], v121 offset0:106 offset1:107
	s_waitcnt lgkmcnt(0)
	v_mul_f64 v[25:26], v[3:4], v[23:24]
	v_fma_f64 v[25:26], v[1:2], v[21:22], -v[25:26]
	v_mul_f64 v[1:2], v[1:2], v[23:24]
	v_fma_f64 v[1:2], v[3:4], v[21:22], v[1:2]
	buffer_load_dword v3, off, s[0:3], 0 offset:848
	buffer_load_dword v4, off, s[0:3], 0 offset:852
	buffer_load_dword v21, off, s[0:3], 0 offset:856
	buffer_load_dword v22, off, s[0:3], 0 offset:860
	s_waitcnt vmcnt(2)
	v_add_f64 v[3:4], v[3:4], -v[25:26]
	s_waitcnt vmcnt(0)
	v_add_f64 v[1:2], v[21:22], -v[1:2]
	buffer_store_dword v4, off, s[0:3], 0 offset:852
	buffer_store_dword v3, off, s[0:3], 0 offset:848
	;; [unrolled: 1-line block ×4, first 2 shown]
	ds_read2_b64 v[1:4], v121 offset0:108 offset1:109
	buffer_load_dword v21, off, s[0:3], 0 offset:560
	buffer_load_dword v22, off, s[0:3], 0 offset:564
	;; [unrolled: 1-line block ×4, first 2 shown]
	s_waitcnt vmcnt(0) lgkmcnt(0)
	v_mul_f64 v[25:26], v[3:4], v[23:24]
	v_fma_f64 v[25:26], v[1:2], v[21:22], -v[25:26]
	v_mul_f64 v[1:2], v[1:2], v[23:24]
	v_fma_f64 v[1:2], v[3:4], v[21:22], v[1:2]
	buffer_load_dword v4, off, s[0:3], 0 offset:868
	buffer_load_dword v3, off, s[0:3], 0 offset:864
	s_waitcnt vmcnt(0)
	v_add_f64 v[3:4], v[3:4], -v[25:26]
	buffer_load_dword v26, off, s[0:3], 0 offset:876
	buffer_load_dword v25, off, s[0:3], 0 offset:872
	s_waitcnt vmcnt(0)
	v_add_f64 v[1:2], v[25:26], -v[1:2]
	buffer_store_dword v4, off, s[0:3], 0 offset:868
	buffer_store_dword v3, off, s[0:3], 0 offset:864
	buffer_store_dword v2, off, s[0:3], 0 offset:876
	buffer_store_dword v1, off, s[0:3], 0 offset:872
	ds_read2_b64 v[1:4], v121 offset0:110 offset1:111
	s_waitcnt lgkmcnt(0)
	v_mul_f64 v[25:26], v[3:4], v[23:24]
	v_fma_f64 v[25:26], v[1:2], v[21:22], -v[25:26]
	v_mul_f64 v[1:2], v[1:2], v[23:24]
	v_fma_f64 v[1:2], v[3:4], v[21:22], v[1:2]
	buffer_load_dword v3, off, s[0:3], 0 offset:880
	buffer_load_dword v4, off, s[0:3], 0 offset:884
	buffer_load_dword v27, off, s[0:3], 0 offset:888
	buffer_load_dword v28, off, s[0:3], 0 offset:892
	s_waitcnt vmcnt(2)
	v_add_f64 v[3:4], v[3:4], -v[25:26]
	s_waitcnt vmcnt(0)
	v_add_f64 v[1:2], v[27:28], -v[1:2]
	buffer_store_dword v4, off, s[0:3], 0 offset:884
	buffer_store_dword v3, off, s[0:3], 0 offset:880
	buffer_store_dword v2, off, s[0:3], 0 offset:892
	buffer_store_dword v1, off, s[0:3], 0 offset:888
	ds_read2_b64 v[1:4], v121 offset0:112 offset1:113
	s_waitcnt lgkmcnt(0)
	v_mul_f64 v[25:26], v[3:4], v[23:24]
	v_fma_f64 v[25:26], v[1:2], v[21:22], -v[25:26]
	v_mul_f64 v[1:2], v[1:2], v[23:24]
	v_fma_f64 v[1:2], v[3:4], v[21:22], v[1:2]
	buffer_load_dword v3, off, s[0:3], 0 offset:896
	buffer_load_dword v4, off, s[0:3], 0 offset:900
	buffer_load_dword v27, off, s[0:3], 0 offset:904
	buffer_load_dword v28, off, s[0:3], 0 offset:908
	s_waitcnt vmcnt(2)
	v_add_f64 v[3:4], v[3:4], -v[25:26]
	;; [unrolled: 18-line block ×5, first 2 shown]
	s_waitcnt vmcnt(0)
	v_add_f64 v[1:2], v[21:22], -v[1:2]
	buffer_store_dword v4, off, s[0:3], 0 offset:948
	buffer_store_dword v3, off, s[0:3], 0 offset:944
	;; [unrolled: 1-line block ×4, first 2 shown]
	ds_read2_b64 v[21:24], v121 offset0:120 offset1:121
	buffer_load_dword v25, off, s[0:3], 0 offset:560
	buffer_load_dword v26, off, s[0:3], 0 offset:564
	;; [unrolled: 1-line block ×4, first 2 shown]
	s_waitcnt vmcnt(0) lgkmcnt(0)
	v_mul_f64 v[1:2], v[23:24], v[27:28]
	v_fma_f64 v[29:30], v[21:22], v[25:26], -v[1:2]
	v_mul_f64 v[1:2], v[21:22], v[27:28]
	v_fma_f64 v[21:22], v[23:24], v[25:26], v[1:2]
	buffer_load_dword v2, off, s[0:3], 0 offset:964
	buffer_load_dword v1, off, s[0:3], 0 offset:960
	;; [unrolled: 1-line block ×4, first 2 shown]
	s_waitcnt vmcnt(2)
	v_add_f64 v[1:2], v[1:2], -v[29:30]
	s_waitcnt vmcnt(0)
	v_add_f64 v[3:4], v[3:4], -v[21:22]
	buffer_store_dword v2, off, s[0:3], 0 offset:964
	buffer_store_dword v1, off, s[0:3], 0 offset:960
	;; [unrolled: 1-line block ×4, first 2 shown]
	ds_read2_b64 v[1:4], v121 offset0:122 offset1:123
	s_waitcnt lgkmcnt(0)
	v_mul_f64 v[21:22], v[3:4], v[27:28]
	v_fma_f64 v[23:24], v[1:2], v[25:26], -v[21:22]
	v_mul_f64 v[1:2], v[1:2], v[27:28]
	v_fma_f64 v[21:22], v[3:4], v[25:26], v[1:2]
	buffer_load_dword v1, off, s[0:3], 0 offset:976
	buffer_load_dword v2, off, s[0:3], 0 offset:980
	buffer_load_dword v3, off, s[0:3], 0 offset:984
	buffer_load_dword v4, off, s[0:3], 0 offset:988
	s_waitcnt vmcnt(2)
	v_add_f64 v[1:2], v[1:2], -v[23:24]
	s_waitcnt vmcnt(0)
	v_add_f64 v[3:4], v[3:4], -v[21:22]
	buffer_store_dword v2, off, s[0:3], 0 offset:980
	buffer_store_dword v1, off, s[0:3], 0 offset:976
	;; [unrolled: 1-line block ×4, first 2 shown]
.LBB123_437:
	s_or_b64 exec, exec, s[6:7]
	v_cmp_eq_u32_e32 vcc, 36, v0
	s_waitcnt vmcnt(0) lgkmcnt(0)
	s_barrier
	s_and_saveexec_b64 s[8:9], vcc
	s_cbranch_execz .LBB123_444
; %bb.438:
	v_readlane_b32 s6, v126, 11
	v_mov_b32_e32 v4, s6
	buffer_load_dword v1, v4, s[0:3], 0 offen
	buffer_load_dword v2, v4, s[0:3], 0 offen offset:4
	buffer_load_dword v3, v4, s[0:3], 0 offen offset:8
	s_nop 0
	buffer_load_dword v4, v4, s[0:3], 0 offen offset:12
	v_readlane_b32 s6, v126, 12
	s_waitcnt vmcnt(0)
	ds_write2_b64 v125, v[1:2], v[3:4] offset1:1
	v_mov_b32_e32 v4, s38
	buffer_load_dword v1, v4, s[0:3], 0 offen
	buffer_load_dword v2, v4, s[0:3], 0 offen offset:4
	buffer_load_dword v3, v4, s[0:3], 0 offen offset:8
	s_nop 0
	buffer_load_dword v4, v4, s[0:3], 0 offen offset:12
	s_waitcnt vmcnt(0)
	ds_write2_b64 v121, v[1:2], v[3:4] offset0:74 offset1:75
	v_mov_b32_e32 v4, s6
	buffer_load_dword v1, v4, s[0:3], 0 offen
	buffer_load_dword v2, v4, s[0:3], 0 offen offset:4
	buffer_load_dword v3, v4, s[0:3], 0 offen offset:8
	s_nop 0
	buffer_load_dword v4, v4, s[0:3], 0 offen offset:12
	v_readlane_b32 s6, v126, 13
	s_waitcnt vmcnt(0)
	ds_write2_b64 v121, v[1:2], v[3:4] offset0:76 offset1:77
	v_mov_b32_e32 v4, s36
	buffer_load_dword v1, v4, s[0:3], 0 offen
	buffer_load_dword v2, v4, s[0:3], 0 offen offset:4
	buffer_load_dword v3, v4, s[0:3], 0 offen offset:8
	s_nop 0
	buffer_load_dword v4, v4, s[0:3], 0 offen offset:12
	s_waitcnt vmcnt(0)
	ds_write2_b64 v121, v[1:2], v[3:4] offset0:78 offset1:79
	v_mov_b32_e32 v4, s6
	buffer_load_dword v1, v4, s[0:3], 0 offen
	buffer_load_dword v2, v4, s[0:3], 0 offen offset:4
	buffer_load_dword v3, v4, s[0:3], 0 offen offset:8
	s_nop 0
	buffer_load_dword v4, v4, s[0:3], 0 offen offset:12
	v_readlane_b32 s6, v126, 14
	s_waitcnt vmcnt(0)
	ds_write2_b64 v121, v[1:2], v[3:4] offset0:80 offset1:81
	;; [unrolled: 17-line block ×11, first 2 shown]
	v_mov_b32_e32 v4, s14
	buffer_load_dword v1, v4, s[0:3], 0 offen
	buffer_load_dword v2, v4, s[0:3], 0 offen offset:4
	buffer_load_dword v3, v4, s[0:3], 0 offen offset:8
	s_nop 0
	buffer_load_dword v4, v4, s[0:3], 0 offen offset:12
	s_waitcnt vmcnt(0)
	ds_write2_b64 v121, v[1:2], v[3:4] offset0:118 offset1:119
	v_mov_b32_e32 v4, s42
	buffer_load_dword v1, v4, s[0:3], 0 offen
	buffer_load_dword v2, v4, s[0:3], 0 offen offset:4
	buffer_load_dword v3, v4, s[0:3], 0 offen offset:8
	s_nop 0
	buffer_load_dword v4, v4, s[0:3], 0 offen offset:12
	s_waitcnt vmcnt(0)
	ds_write2_b64 v121, v[1:2], v[3:4] offset0:120 offset1:121
	;; [unrolled: 8-line block ×3, first 2 shown]
	ds_read2_b64 v[21:24], v125 offset1:1
	s_waitcnt lgkmcnt(0)
	v_cmp_neq_f64_e32 vcc, 0, v[21:22]
	v_cmp_neq_f64_e64 s[6:7], 0, v[23:24]
	s_or_b64 s[6:7], vcc, s[6:7]
	s_and_b64 exec, exec, s[6:7]
	s_cbranch_execz .LBB123_444
; %bb.439:
	v_cmp_ngt_f64_e64 s[6:7], |v[21:22]|, |v[23:24]|
                                        ; implicit-def: $vgpr1_vgpr2
	s_and_saveexec_b64 s[10:11], s[6:7]
	s_xor_b64 s[6:7], exec, s[10:11]
                                        ; implicit-def: $vgpr3_vgpr4
	s_cbranch_execz .LBB123_441
; %bb.440:
	v_div_scale_f64 v[1:2], s[10:11], v[23:24], v[23:24], v[21:22]
	v_rcp_f64_e32 v[3:4], v[1:2]
	v_fma_f64 v[25:26], -v[1:2], v[3:4], 1.0
	v_fma_f64 v[3:4], v[3:4], v[25:26], v[3:4]
	v_div_scale_f64 v[25:26], vcc, v[21:22], v[23:24], v[21:22]
	v_fma_f64 v[27:28], -v[1:2], v[3:4], 1.0
	v_fma_f64 v[3:4], v[3:4], v[27:28], v[3:4]
	v_mul_f64 v[27:28], v[25:26], v[3:4]
	v_fma_f64 v[1:2], -v[1:2], v[27:28], v[25:26]
	v_div_fmas_f64 v[1:2], v[1:2], v[3:4], v[27:28]
	v_div_fixup_f64 v[1:2], v[1:2], v[23:24], v[21:22]
	v_fma_f64 v[3:4], v[21:22], v[1:2], v[23:24]
	v_div_scale_f64 v[21:22], s[10:11], v[3:4], v[3:4], 1.0
	v_div_scale_f64 v[27:28], vcc, 1.0, v[3:4], 1.0
	v_rcp_f64_e32 v[23:24], v[21:22]
	v_fma_f64 v[25:26], -v[21:22], v[23:24], 1.0
	v_fma_f64 v[23:24], v[23:24], v[25:26], v[23:24]
	v_fma_f64 v[25:26], -v[21:22], v[23:24], 1.0
	v_fma_f64 v[23:24], v[23:24], v[25:26], v[23:24]
	v_mul_f64 v[25:26], v[27:28], v[23:24]
	v_fma_f64 v[21:22], -v[21:22], v[25:26], v[27:28]
	v_div_fmas_f64 v[21:22], v[21:22], v[23:24], v[25:26]
	v_div_fixup_f64 v[3:4], v[21:22], v[3:4], 1.0
                                        ; implicit-def: $vgpr21_vgpr22
	v_mul_f64 v[1:2], v[1:2], v[3:4]
	v_xor_b32_e32 v4, 0x80000000, v4
.LBB123_441:
	s_andn2_saveexec_b64 s[6:7], s[6:7]
	s_cbranch_execz .LBB123_443
; %bb.442:
	v_div_scale_f64 v[1:2], s[10:11], v[21:22], v[21:22], v[23:24]
	v_rcp_f64_e32 v[3:4], v[1:2]
	v_fma_f64 v[25:26], -v[1:2], v[3:4], 1.0
	v_fma_f64 v[3:4], v[3:4], v[25:26], v[3:4]
	v_div_scale_f64 v[25:26], vcc, v[23:24], v[21:22], v[23:24]
	v_fma_f64 v[27:28], -v[1:2], v[3:4], 1.0
	v_fma_f64 v[3:4], v[3:4], v[27:28], v[3:4]
	v_mul_f64 v[27:28], v[25:26], v[3:4]
	v_fma_f64 v[1:2], -v[1:2], v[27:28], v[25:26]
	v_div_fmas_f64 v[1:2], v[1:2], v[3:4], v[27:28]
	v_div_fixup_f64 v[3:4], v[1:2], v[21:22], v[23:24]
	v_fma_f64 v[1:2], v[23:24], v[3:4], v[21:22]
	v_div_scale_f64 v[21:22], s[10:11], v[1:2], v[1:2], 1.0
	v_div_scale_f64 v[27:28], vcc, 1.0, v[1:2], 1.0
	v_rcp_f64_e32 v[23:24], v[21:22]
	v_fma_f64 v[25:26], -v[21:22], v[23:24], 1.0
	v_fma_f64 v[23:24], v[23:24], v[25:26], v[23:24]
	v_fma_f64 v[25:26], -v[21:22], v[23:24], 1.0
	v_fma_f64 v[23:24], v[23:24], v[25:26], v[23:24]
	v_mul_f64 v[25:26], v[27:28], v[23:24]
	v_fma_f64 v[21:22], -v[21:22], v[25:26], v[27:28]
	v_div_fmas_f64 v[21:22], v[21:22], v[23:24], v[25:26]
	v_div_fixup_f64 v[1:2], v[21:22], v[1:2], 1.0
	v_mul_f64 v[3:4], v[3:4], -v[1:2]
.LBB123_443:
	s_or_b64 exec, exec, s[6:7]
	ds_write2_b64 v125, v[1:2], v[3:4] offset1:1
.LBB123_444:
	s_or_b64 exec, exec, s[8:9]
	s_waitcnt lgkmcnt(0)
	s_barrier
	ds_read2_b64 v[21:24], v125 offset1:1
	v_cmp_lt_u32_e32 vcc, 36, v0
	s_and_saveexec_b64 s[6:7], vcc
	s_cbranch_execz .LBB123_446
; %bb.445:
	buffer_load_dword v1, off, s[0:3], 0 offset:576
	buffer_load_dword v2, off, s[0:3], 0 offset:580
	;; [unrolled: 1-line block ×16, first 2 shown]
	s_waitcnt vmcnt(12) lgkmcnt(0)
	v_mul_f64 v[25:26], v[23:24], v[3:4]
	v_mul_f64 v[3:4], v[21:22], v[3:4]
	v_fma_f64 v[25:26], v[21:22], v[1:2], -v[25:26]
	v_fma_f64 v[27:28], v[23:24], v[1:2], v[3:4]
	buffer_store_dword v25, off, s[0:3], 0 offset:576
	buffer_store_dword v26, off, s[0:3], 0 offset:580
	buffer_store_dword v27, off, s[0:3], 0 offset:584
	buffer_store_dword v28, off, s[0:3], 0 offset:588
	ds_read2_b64 v[1:4], v121 offset0:74 offset1:75
	s_waitcnt lgkmcnt(0)
	v_mul_f64 v[41:42], v[3:4], v[27:28]
	v_fma_f64 v[41:42], v[1:2], v[25:26], -v[41:42]
	v_mul_f64 v[1:2], v[1:2], v[27:28]
	v_fma_f64 v[1:2], v[3:4], v[25:26], v[1:2]
	s_waitcnt vmcnt(14)
	v_add_f64 v[3:4], v[29:30], -v[41:42]
	s_waitcnt vmcnt(12)
	v_add_f64 v[1:2], v[31:32], -v[1:2]
	buffer_store_dword v3, off, s[0:3], 0 offset:592
	buffer_store_dword v4, off, s[0:3], 0 offset:596
	buffer_store_dword v1, off, s[0:3], 0 offset:600
	buffer_store_dword v2, off, s[0:3], 0 offset:604
	ds_read2_b64 v[1:4], v121 offset0:76 offset1:77
	s_waitcnt lgkmcnt(0)
	v_mul_f64 v[29:30], v[3:4], v[27:28]
	v_fma_f64 v[29:30], v[1:2], v[25:26], -v[29:30]
	v_mul_f64 v[1:2], v[1:2], v[27:28]
	v_fma_f64 v[1:2], v[3:4], v[25:26], v[1:2]
	s_waitcnt vmcnt(14)
	v_add_f64 v[3:4], v[33:34], -v[29:30]
	s_waitcnt vmcnt(12)
	v_add_f64 v[1:2], v[35:36], -v[1:2]
	;; [unrolled: 14-line block ×3, first 2 shown]
	buffer_store_dword v4, off, s[0:3], 0 offset:628
	buffer_store_dword v3, off, s[0:3], 0 offset:624
	buffer_store_dword v1, off, s[0:3], 0 offset:632
	buffer_store_dword v2, off, s[0:3], 0 offset:636
	ds_read2_b64 v[1:4], v121 offset0:80 offset1:81
	s_waitcnt lgkmcnt(0)
	v_mul_f64 v[29:30], v[3:4], v[27:28]
	v_fma_f64 v[29:30], v[1:2], v[25:26], -v[29:30]
	v_mul_f64 v[1:2], v[1:2], v[27:28]
	v_fma_f64 v[1:2], v[3:4], v[25:26], v[1:2]
	buffer_load_dword v3, off, s[0:3], 0 offset:640
	buffer_load_dword v4, off, s[0:3], 0 offset:644
	buffer_load_dword v31, off, s[0:3], 0 offset:648
	buffer_load_dword v32, off, s[0:3], 0 offset:652
	s_waitcnt vmcnt(2)
	v_add_f64 v[3:4], v[3:4], -v[29:30]
	s_waitcnt vmcnt(0)
	v_add_f64 v[1:2], v[31:32], -v[1:2]
	buffer_store_dword v4, off, s[0:3], 0 offset:644
	buffer_store_dword v3, off, s[0:3], 0 offset:640
	buffer_store_dword v2, off, s[0:3], 0 offset:652
	buffer_store_dword v1, off, s[0:3], 0 offset:648
	ds_read2_b64 v[1:4], v121 offset0:82 offset1:83
	s_waitcnt lgkmcnt(0)
	v_mul_f64 v[29:30], v[3:4], v[27:28]
	v_fma_f64 v[29:30], v[1:2], v[25:26], -v[29:30]
	v_mul_f64 v[1:2], v[1:2], v[27:28]
	v_fma_f64 v[1:2], v[3:4], v[25:26], v[1:2]
	buffer_load_dword v3, off, s[0:3], 0 offset:656
	buffer_load_dword v4, off, s[0:3], 0 offset:660
	buffer_load_dword v31, off, s[0:3], 0 offset:664
	buffer_load_dword v32, off, s[0:3], 0 offset:668
	s_waitcnt vmcnt(2)
	v_add_f64 v[3:4], v[3:4], -v[29:30]
	s_waitcnt vmcnt(0)
	v_add_f64 v[1:2], v[31:32], -v[1:2]
	;; [unrolled: 18-line block ×3, first 2 shown]
	buffer_store_dword v4, off, s[0:3], 0 offset:676
	buffer_store_dword v3, off, s[0:3], 0 offset:672
	;; [unrolled: 1-line block ×4, first 2 shown]
	ds_read2_b64 v[1:4], v121 offset0:86 offset1:87
	buffer_load_dword v25, off, s[0:3], 0 offset:576
	buffer_load_dword v26, off, s[0:3], 0 offset:580
	;; [unrolled: 1-line block ×4, first 2 shown]
	s_waitcnt vmcnt(0) lgkmcnt(0)
	v_mul_f64 v[29:30], v[3:4], v[27:28]
	v_fma_f64 v[29:30], v[1:2], v[25:26], -v[29:30]
	v_mul_f64 v[1:2], v[1:2], v[27:28]
	v_fma_f64 v[1:2], v[3:4], v[25:26], v[1:2]
	buffer_load_dword v4, off, s[0:3], 0 offset:692
	buffer_load_dword v3, off, s[0:3], 0 offset:688
	s_waitcnt vmcnt(0)
	v_add_f64 v[3:4], v[3:4], -v[29:30]
	buffer_load_dword v30, off, s[0:3], 0 offset:700
	buffer_load_dword v29, off, s[0:3], 0 offset:696
	s_waitcnt vmcnt(0)
	v_add_f64 v[1:2], v[29:30], -v[1:2]
	buffer_store_dword v4, off, s[0:3], 0 offset:692
	buffer_store_dword v3, off, s[0:3], 0 offset:688
	buffer_store_dword v2, off, s[0:3], 0 offset:700
	buffer_store_dword v1, off, s[0:3], 0 offset:696
	ds_read2_b64 v[1:4], v121 offset0:88 offset1:89
	s_waitcnt lgkmcnt(0)
	v_mul_f64 v[29:30], v[3:4], v[27:28]
	v_fma_f64 v[29:30], v[1:2], v[25:26], -v[29:30]
	v_mul_f64 v[1:2], v[1:2], v[27:28]
	v_fma_f64 v[1:2], v[3:4], v[25:26], v[1:2]
	buffer_load_dword v3, off, s[0:3], 0 offset:704
	buffer_load_dword v4, off, s[0:3], 0 offset:708
	buffer_load_dword v31, off, s[0:3], 0 offset:712
	buffer_load_dword v32, off, s[0:3], 0 offset:716
	s_waitcnt vmcnt(2)
	v_add_f64 v[3:4], v[3:4], -v[29:30]
	s_waitcnt vmcnt(0)
	v_add_f64 v[1:2], v[31:32], -v[1:2]
	buffer_store_dword v4, off, s[0:3], 0 offset:708
	buffer_store_dword v3, off, s[0:3], 0 offset:704
	buffer_store_dword v2, off, s[0:3], 0 offset:716
	buffer_store_dword v1, off, s[0:3], 0 offset:712
	ds_read2_b64 v[1:4], v121 offset0:90 offset1:91
	s_waitcnt lgkmcnt(0)
	v_mul_f64 v[29:30], v[3:4], v[27:28]
	v_fma_f64 v[29:30], v[1:2], v[25:26], -v[29:30]
	v_mul_f64 v[1:2], v[1:2], v[27:28]
	v_fma_f64 v[1:2], v[3:4], v[25:26], v[1:2]
	buffer_load_dword v3, off, s[0:3], 0 offset:720
	buffer_load_dword v4, off, s[0:3], 0 offset:724
	buffer_load_dword v31, off, s[0:3], 0 offset:728
	buffer_load_dword v32, off, s[0:3], 0 offset:732
	s_waitcnt vmcnt(2)
	v_add_f64 v[3:4], v[3:4], -v[29:30]
	;; [unrolled: 18-line block ×5, first 2 shown]
	s_waitcnt vmcnt(0)
	v_add_f64 v[1:2], v[25:26], -v[1:2]
	buffer_store_dword v4, off, s[0:3], 0 offset:772
	buffer_store_dword v3, off, s[0:3], 0 offset:768
	;; [unrolled: 1-line block ×4, first 2 shown]
	ds_read2_b64 v[1:4], v121 offset0:98 offset1:99
	buffer_load_dword v25, off, s[0:3], 0 offset:576
	buffer_load_dword v26, off, s[0:3], 0 offset:580
	;; [unrolled: 1-line block ×4, first 2 shown]
	s_waitcnt vmcnt(0) lgkmcnt(0)
	v_mul_f64 v[29:30], v[3:4], v[27:28]
	v_fma_f64 v[29:30], v[1:2], v[25:26], -v[29:30]
	v_mul_f64 v[1:2], v[1:2], v[27:28]
	v_fma_f64 v[1:2], v[3:4], v[25:26], v[1:2]
	buffer_load_dword v4, off, s[0:3], 0 offset:788
	buffer_load_dword v3, off, s[0:3], 0 offset:784
	s_waitcnt vmcnt(0)
	v_add_f64 v[3:4], v[3:4], -v[29:30]
	buffer_load_dword v30, off, s[0:3], 0 offset:796
	buffer_load_dword v29, off, s[0:3], 0 offset:792
	s_waitcnt vmcnt(0)
	v_add_f64 v[1:2], v[29:30], -v[1:2]
	buffer_store_dword v4, off, s[0:3], 0 offset:788
	buffer_store_dword v3, off, s[0:3], 0 offset:784
	buffer_store_dword v2, off, s[0:3], 0 offset:796
	buffer_store_dword v1, off, s[0:3], 0 offset:792
	ds_read2_b64 v[1:4], v121 offset0:100 offset1:101
	s_waitcnt lgkmcnt(0)
	v_mul_f64 v[29:30], v[3:4], v[27:28]
	v_fma_f64 v[29:30], v[1:2], v[25:26], -v[29:30]
	v_mul_f64 v[1:2], v[1:2], v[27:28]
	v_fma_f64 v[1:2], v[3:4], v[25:26], v[1:2]
	buffer_load_dword v3, off, s[0:3], 0 offset:800
	buffer_load_dword v4, off, s[0:3], 0 offset:804
	buffer_load_dword v31, off, s[0:3], 0 offset:808
	buffer_load_dword v32, off, s[0:3], 0 offset:812
	s_waitcnt vmcnt(2)
	v_add_f64 v[3:4], v[3:4], -v[29:30]
	s_waitcnt vmcnt(0)
	v_add_f64 v[1:2], v[31:32], -v[1:2]
	buffer_store_dword v4, off, s[0:3], 0 offset:804
	buffer_store_dword v3, off, s[0:3], 0 offset:800
	buffer_store_dword v2, off, s[0:3], 0 offset:812
	buffer_store_dword v1, off, s[0:3], 0 offset:808
	ds_read2_b64 v[1:4], v121 offset0:102 offset1:103
	s_waitcnt lgkmcnt(0)
	v_mul_f64 v[29:30], v[3:4], v[27:28]
	v_fma_f64 v[29:30], v[1:2], v[25:26], -v[29:30]
	v_mul_f64 v[1:2], v[1:2], v[27:28]
	v_fma_f64 v[1:2], v[3:4], v[25:26], v[1:2]
	buffer_load_dword v3, off, s[0:3], 0 offset:816
	buffer_load_dword v4, off, s[0:3], 0 offset:820
	buffer_load_dword v31, off, s[0:3], 0 offset:824
	buffer_load_dword v32, off, s[0:3], 0 offset:828
	s_waitcnt vmcnt(2)
	v_add_f64 v[3:4], v[3:4], -v[29:30]
	;; [unrolled: 18-line block ×5, first 2 shown]
	s_waitcnt vmcnt(0)
	v_add_f64 v[1:2], v[25:26], -v[1:2]
	buffer_store_dword v4, off, s[0:3], 0 offset:868
	buffer_store_dword v3, off, s[0:3], 0 offset:864
	;; [unrolled: 1-line block ×4, first 2 shown]
	ds_read2_b64 v[1:4], v121 offset0:110 offset1:111
	buffer_load_dword v25, off, s[0:3], 0 offset:576
	buffer_load_dword v26, off, s[0:3], 0 offset:580
	;; [unrolled: 1-line block ×4, first 2 shown]
	s_waitcnt vmcnt(0) lgkmcnt(0)
	v_mul_f64 v[29:30], v[3:4], v[27:28]
	v_fma_f64 v[29:30], v[1:2], v[25:26], -v[29:30]
	v_mul_f64 v[1:2], v[1:2], v[27:28]
	v_fma_f64 v[1:2], v[3:4], v[25:26], v[1:2]
	buffer_load_dword v4, off, s[0:3], 0 offset:884
	buffer_load_dword v3, off, s[0:3], 0 offset:880
	s_waitcnt vmcnt(0)
	v_add_f64 v[3:4], v[3:4], -v[29:30]
	buffer_load_dword v30, off, s[0:3], 0 offset:892
	buffer_load_dword v29, off, s[0:3], 0 offset:888
	s_waitcnt vmcnt(0)
	v_add_f64 v[1:2], v[29:30], -v[1:2]
	buffer_store_dword v4, off, s[0:3], 0 offset:884
	buffer_store_dword v3, off, s[0:3], 0 offset:880
	buffer_store_dword v2, off, s[0:3], 0 offset:892
	buffer_store_dword v1, off, s[0:3], 0 offset:888
	ds_read2_b64 v[1:4], v121 offset0:112 offset1:113
	s_waitcnt lgkmcnt(0)
	v_mul_f64 v[29:30], v[3:4], v[27:28]
	v_fma_f64 v[29:30], v[1:2], v[25:26], -v[29:30]
	v_mul_f64 v[1:2], v[1:2], v[27:28]
	v_fma_f64 v[1:2], v[3:4], v[25:26], v[1:2]
	buffer_load_dword v3, off, s[0:3], 0 offset:896
	buffer_load_dword v4, off, s[0:3], 0 offset:900
	buffer_load_dword v31, off, s[0:3], 0 offset:904
	buffer_load_dword v32, off, s[0:3], 0 offset:908
	s_waitcnt vmcnt(2)
	v_add_f64 v[3:4], v[3:4], -v[29:30]
	s_waitcnt vmcnt(0)
	v_add_f64 v[1:2], v[31:32], -v[1:2]
	buffer_store_dword v4, off, s[0:3], 0 offset:900
	buffer_store_dword v3, off, s[0:3], 0 offset:896
	buffer_store_dword v2, off, s[0:3], 0 offset:908
	buffer_store_dword v1, off, s[0:3], 0 offset:904
	ds_read2_b64 v[1:4], v121 offset0:114 offset1:115
	s_waitcnt lgkmcnt(0)
	v_mul_f64 v[29:30], v[3:4], v[27:28]
	v_fma_f64 v[29:30], v[1:2], v[25:26], -v[29:30]
	v_mul_f64 v[1:2], v[1:2], v[27:28]
	v_fma_f64 v[1:2], v[3:4], v[25:26], v[1:2]
	buffer_load_dword v3, off, s[0:3], 0 offset:912
	buffer_load_dword v4, off, s[0:3], 0 offset:916
	buffer_load_dword v31, off, s[0:3], 0 offset:920
	buffer_load_dword v32, off, s[0:3], 0 offset:924
	s_waitcnt vmcnt(2)
	v_add_f64 v[3:4], v[3:4], -v[29:30]
	s_waitcnt vmcnt(0)
	v_add_f64 v[1:2], v[31:32], -v[1:2]
	buffer_store_dword v4, off, s[0:3], 0 offset:916
	buffer_store_dword v3, off, s[0:3], 0 offset:912
	buffer_store_dword v2, off, s[0:3], 0 offset:924
	buffer_store_dword v1, off, s[0:3], 0 offset:920
	ds_read2_b64 v[1:4], v121 offset0:116 offset1:117
	s_waitcnt lgkmcnt(0)
	v_mul_f64 v[29:30], v[3:4], v[27:28]
	v_fma_f64 v[29:30], v[1:2], v[25:26], -v[29:30]
	v_mul_f64 v[1:2], v[1:2], v[27:28]
	v_fma_f64 v[1:2], v[3:4], v[25:26], v[1:2]
	buffer_load_dword v3, off, s[0:3], 0 offset:928
	buffer_load_dword v4, off, s[0:3], 0 offset:932
	buffer_load_dword v31, off, s[0:3], 0 offset:936
	buffer_load_dword v32, off, s[0:3], 0 offset:940
	s_waitcnt vmcnt(2)
	v_add_f64 v[3:4], v[3:4], -v[29:30]
	s_waitcnt vmcnt(0)
	v_add_f64 v[1:2], v[31:32], -v[1:2]
	buffer_store_dword v4, off, s[0:3], 0 offset:932
	buffer_store_dword v3, off, s[0:3], 0 offset:928
	buffer_store_dword v2, off, s[0:3], 0 offset:940
	buffer_store_dword v1, off, s[0:3], 0 offset:936
	ds_read2_b64 v[1:4], v121 offset0:118 offset1:119
	s_waitcnt lgkmcnt(0)
	v_mul_f64 v[29:30], v[3:4], v[27:28]
	v_fma_f64 v[29:30], v[1:2], v[25:26], -v[29:30]
	v_mul_f64 v[1:2], v[1:2], v[27:28]
	v_fma_f64 v[1:2], v[3:4], v[25:26], v[1:2]
	buffer_load_dword v3, off, s[0:3], 0 offset:944
	buffer_load_dword v4, off, s[0:3], 0 offset:948
	buffer_load_dword v31, off, s[0:3], 0 offset:952
	buffer_load_dword v32, off, s[0:3], 0 offset:956
	s_waitcnt vmcnt(2)
	v_add_f64 v[3:4], v[3:4], -v[29:30]
	s_waitcnt vmcnt(0)
	v_add_f64 v[1:2], v[31:32], -v[1:2]
	buffer_store_dword v4, off, s[0:3], 0 offset:948
	buffer_store_dword v3, off, s[0:3], 0 offset:944
	buffer_store_dword v2, off, s[0:3], 0 offset:956
	buffer_store_dword v1, off, s[0:3], 0 offset:952
	ds_read2_b64 v[1:4], v121 offset0:120 offset1:121
	s_waitcnt lgkmcnt(0)
	v_mul_f64 v[29:30], v[3:4], v[27:28]
	v_fma_f64 v[29:30], v[1:2], v[25:26], -v[29:30]
	v_mul_f64 v[1:2], v[1:2], v[27:28]
	v_fma_f64 v[1:2], v[3:4], v[25:26], v[1:2]
	buffer_load_dword v3, off, s[0:3], 0 offset:960
	buffer_load_dword v4, off, s[0:3], 0 offset:964
	buffer_load_dword v25, off, s[0:3], 0 offset:968
	buffer_load_dword v26, off, s[0:3], 0 offset:972
	s_waitcnt vmcnt(2)
	v_add_f64 v[3:4], v[3:4], -v[29:30]
	s_waitcnt vmcnt(0)
	v_add_f64 v[1:2], v[25:26], -v[1:2]
	buffer_store_dword v4, off, s[0:3], 0 offset:964
	buffer_store_dword v3, off, s[0:3], 0 offset:960
	;; [unrolled: 1-line block ×4, first 2 shown]
	ds_read2_b64 v[25:28], v121 offset0:122 offset1:123
	buffer_load_dword v29, off, s[0:3], 0 offset:576
	buffer_load_dword v30, off, s[0:3], 0 offset:580
	buffer_load_dword v1, off, s[0:3], 0 offset:584
	buffer_load_dword v2, off, s[0:3], 0 offset:588
	s_waitcnt vmcnt(0) lgkmcnt(0)
	v_mul_f64 v[3:4], v[27:28], v[1:2]
	v_mul_f64 v[1:2], v[25:26], v[1:2]
	v_fma_f64 v[31:32], v[25:26], v[29:30], -v[3:4]
	v_fma_f64 v[25:26], v[27:28], v[29:30], v[1:2]
	buffer_load_dword v2, off, s[0:3], 0 offset:980
	buffer_load_dword v1, off, s[0:3], 0 offset:976
	s_waitcnt vmcnt(0)
	v_add_f64 v[27:28], v[1:2], -v[31:32]
	buffer_load_dword v2, off, s[0:3], 0 offset:988
	buffer_load_dword v1, off, s[0:3], 0 offset:984
	s_waitcnt vmcnt(0)
	v_add_f64 v[1:2], v[1:2], -v[25:26]
	buffer_store_dword v28, off, s[0:3], 0 offset:980
	buffer_store_dword v27, off, s[0:3], 0 offset:976
	;; [unrolled: 1-line block ×4, first 2 shown]
.LBB123_446:
	s_or_b64 exec, exec, s[6:7]
	v_cmp_eq_u32_e32 vcc, 37, v0
	s_waitcnt vmcnt(0) lgkmcnt(0)
	s_barrier
	s_and_saveexec_b64 s[8:9], vcc
	s_cbranch_execz .LBB123_453
; %bb.447:
	v_mov_b32_e32 v4, s38
	buffer_load_dword v1, v4, s[0:3], 0 offen
	buffer_load_dword v2, v4, s[0:3], 0 offen offset:4
	buffer_load_dword v3, v4, s[0:3], 0 offen offset:8
	s_nop 0
	buffer_load_dword v4, v4, s[0:3], 0 offen offset:12
	v_readlane_b32 s6, v126, 12
	s_waitcnt vmcnt(0)
	ds_write2_b64 v125, v[1:2], v[3:4] offset1:1
	v_mov_b32_e32 v4, s6
	buffer_load_dword v1, v4, s[0:3], 0 offen
	buffer_load_dword v2, v4, s[0:3], 0 offen offset:4
	buffer_load_dword v3, v4, s[0:3], 0 offen offset:8
	s_nop 0
	buffer_load_dword v4, v4, s[0:3], 0 offen offset:12
	v_readlane_b32 s6, v126, 13
	s_waitcnt vmcnt(0)
	ds_write2_b64 v121, v[1:2], v[3:4] offset0:76 offset1:77
	v_mov_b32_e32 v4, s36
	buffer_load_dword v1, v4, s[0:3], 0 offen
	buffer_load_dword v2, v4, s[0:3], 0 offen offset:4
	buffer_load_dword v3, v4, s[0:3], 0 offen offset:8
	s_nop 0
	buffer_load_dword v4, v4, s[0:3], 0 offen offset:12
	s_waitcnt vmcnt(0)
	ds_write2_b64 v121, v[1:2], v[3:4] offset0:78 offset1:79
	v_mov_b32_e32 v4, s6
	buffer_load_dword v1, v4, s[0:3], 0 offen
	buffer_load_dword v2, v4, s[0:3], 0 offen offset:4
	buffer_load_dword v3, v4, s[0:3], 0 offen offset:8
	s_nop 0
	buffer_load_dword v4, v4, s[0:3], 0 offen offset:12
	v_readlane_b32 s6, v126, 14
	s_waitcnt vmcnt(0)
	ds_write2_b64 v121, v[1:2], v[3:4] offset0:80 offset1:81
	v_mov_b32_e32 v4, s34
	buffer_load_dword v1, v4, s[0:3], 0 offen
	buffer_load_dword v2, v4, s[0:3], 0 offen offset:4
	buffer_load_dword v3, v4, s[0:3], 0 offen offset:8
	s_nop 0
	buffer_load_dword v4, v4, s[0:3], 0 offen offset:12
	s_waitcnt vmcnt(0)
	ds_write2_b64 v121, v[1:2], v[3:4] offset0:82 offset1:83
	;; [unrolled: 17-line block ×11, first 2 shown]
	v_mov_b32_e32 v4, s42
	buffer_load_dword v1, v4, s[0:3], 0 offen
	buffer_load_dword v2, v4, s[0:3], 0 offen offset:4
	buffer_load_dword v3, v4, s[0:3], 0 offen offset:8
	s_nop 0
	buffer_load_dword v4, v4, s[0:3], 0 offen offset:12
	s_waitcnt vmcnt(0)
	ds_write2_b64 v121, v[1:2], v[3:4] offset0:120 offset1:121
	v_mov_b32_e32 v4, s6
	buffer_load_dword v1, v4, s[0:3], 0 offen
	buffer_load_dword v2, v4, s[0:3], 0 offen offset:4
	buffer_load_dword v3, v4, s[0:3], 0 offen offset:8
	s_nop 0
	buffer_load_dword v4, v4, s[0:3], 0 offen offset:12
	s_waitcnt vmcnt(0)
	ds_write2_b64 v121, v[1:2], v[3:4] offset0:122 offset1:123
	ds_read2_b64 v[25:28], v125 offset1:1
	s_waitcnt lgkmcnt(0)
	v_cmp_neq_f64_e32 vcc, 0, v[25:26]
	v_cmp_neq_f64_e64 s[6:7], 0, v[27:28]
	s_or_b64 s[6:7], vcc, s[6:7]
	s_and_b64 exec, exec, s[6:7]
	s_cbranch_execz .LBB123_453
; %bb.448:
	v_cmp_ngt_f64_e64 s[6:7], |v[25:26]|, |v[27:28]|
                                        ; implicit-def: $vgpr1_vgpr2
	s_and_saveexec_b64 s[10:11], s[6:7]
	s_xor_b64 s[6:7], exec, s[10:11]
                                        ; implicit-def: $vgpr3_vgpr4
	s_cbranch_execz .LBB123_450
; %bb.449:
	v_div_scale_f64 v[1:2], s[10:11], v[27:28], v[27:28], v[25:26]
	v_rcp_f64_e32 v[3:4], v[1:2]
	v_fma_f64 v[29:30], -v[1:2], v[3:4], 1.0
	v_fma_f64 v[3:4], v[3:4], v[29:30], v[3:4]
	v_div_scale_f64 v[29:30], vcc, v[25:26], v[27:28], v[25:26]
	v_fma_f64 v[31:32], -v[1:2], v[3:4], 1.0
	v_fma_f64 v[3:4], v[3:4], v[31:32], v[3:4]
	v_mul_f64 v[31:32], v[29:30], v[3:4]
	v_fma_f64 v[1:2], -v[1:2], v[31:32], v[29:30]
	v_div_fmas_f64 v[1:2], v[1:2], v[3:4], v[31:32]
	v_div_fixup_f64 v[1:2], v[1:2], v[27:28], v[25:26]
	v_fma_f64 v[3:4], v[25:26], v[1:2], v[27:28]
	v_div_scale_f64 v[25:26], s[10:11], v[3:4], v[3:4], 1.0
	v_div_scale_f64 v[31:32], vcc, 1.0, v[3:4], 1.0
	v_rcp_f64_e32 v[27:28], v[25:26]
	v_fma_f64 v[29:30], -v[25:26], v[27:28], 1.0
	v_fma_f64 v[27:28], v[27:28], v[29:30], v[27:28]
	v_fma_f64 v[29:30], -v[25:26], v[27:28], 1.0
	v_fma_f64 v[27:28], v[27:28], v[29:30], v[27:28]
	v_mul_f64 v[29:30], v[31:32], v[27:28]
	v_fma_f64 v[25:26], -v[25:26], v[29:30], v[31:32]
	v_div_fmas_f64 v[25:26], v[25:26], v[27:28], v[29:30]
	v_div_fixup_f64 v[3:4], v[25:26], v[3:4], 1.0
                                        ; implicit-def: $vgpr25_vgpr26
	v_mul_f64 v[1:2], v[1:2], v[3:4]
	v_xor_b32_e32 v4, 0x80000000, v4
.LBB123_450:
	s_andn2_saveexec_b64 s[6:7], s[6:7]
	s_cbranch_execz .LBB123_452
; %bb.451:
	v_div_scale_f64 v[1:2], s[10:11], v[25:26], v[25:26], v[27:28]
	v_rcp_f64_e32 v[3:4], v[1:2]
	v_fma_f64 v[29:30], -v[1:2], v[3:4], 1.0
	v_fma_f64 v[3:4], v[3:4], v[29:30], v[3:4]
	v_div_scale_f64 v[29:30], vcc, v[27:28], v[25:26], v[27:28]
	v_fma_f64 v[31:32], -v[1:2], v[3:4], 1.0
	v_fma_f64 v[3:4], v[3:4], v[31:32], v[3:4]
	v_mul_f64 v[31:32], v[29:30], v[3:4]
	v_fma_f64 v[1:2], -v[1:2], v[31:32], v[29:30]
	v_div_fmas_f64 v[1:2], v[1:2], v[3:4], v[31:32]
	v_div_fixup_f64 v[3:4], v[1:2], v[25:26], v[27:28]
	v_fma_f64 v[1:2], v[27:28], v[3:4], v[25:26]
	v_div_scale_f64 v[25:26], s[10:11], v[1:2], v[1:2], 1.0
	v_div_scale_f64 v[31:32], vcc, 1.0, v[1:2], 1.0
	v_rcp_f64_e32 v[27:28], v[25:26]
	v_fma_f64 v[29:30], -v[25:26], v[27:28], 1.0
	v_fma_f64 v[27:28], v[27:28], v[29:30], v[27:28]
	v_fma_f64 v[29:30], -v[25:26], v[27:28], 1.0
	v_fma_f64 v[27:28], v[27:28], v[29:30], v[27:28]
	v_mul_f64 v[29:30], v[31:32], v[27:28]
	v_fma_f64 v[25:26], -v[25:26], v[29:30], v[31:32]
	v_div_fmas_f64 v[25:26], v[25:26], v[27:28], v[29:30]
	v_div_fixup_f64 v[1:2], v[25:26], v[1:2], 1.0
	v_mul_f64 v[3:4], v[3:4], -v[1:2]
.LBB123_452:
	s_or_b64 exec, exec, s[6:7]
	ds_write2_b64 v125, v[1:2], v[3:4] offset1:1
.LBB123_453:
	s_or_b64 exec, exec, s[8:9]
	s_waitcnt lgkmcnt(0)
	s_barrier
	ds_read2_b64 v[25:28], v125 offset1:1
	v_cmp_lt_u32_e32 vcc, 37, v0
	s_and_saveexec_b64 s[6:7], vcc
	s_cbranch_execz .LBB123_455
; %bb.454:
	buffer_load_dword v1, off, s[0:3], 0 offset:592
	buffer_load_dword v2, off, s[0:3], 0 offset:596
	;; [unrolled: 1-line block ×16, first 2 shown]
	s_waitcnt vmcnt(12) lgkmcnt(0)
	v_mul_f64 v[29:30], v[27:28], v[3:4]
	v_mul_f64 v[3:4], v[25:26], v[3:4]
	v_fma_f64 v[29:30], v[25:26], v[1:2], -v[29:30]
	v_fma_f64 v[31:32], v[27:28], v[1:2], v[3:4]
	buffer_store_dword v29, off, s[0:3], 0 offset:592
	buffer_store_dword v30, off, s[0:3], 0 offset:596
	buffer_store_dword v31, off, s[0:3], 0 offset:600
	buffer_store_dword v32, off, s[0:3], 0 offset:604
	ds_read2_b64 v[1:4], v121 offset0:76 offset1:77
	s_waitcnt lgkmcnt(0)
	v_mul_f64 v[45:46], v[3:4], v[31:32]
	v_fma_f64 v[45:46], v[1:2], v[29:30], -v[45:46]
	v_mul_f64 v[1:2], v[1:2], v[31:32]
	v_fma_f64 v[1:2], v[3:4], v[29:30], v[1:2]
	s_waitcnt vmcnt(14)
	v_add_f64 v[3:4], v[33:34], -v[45:46]
	s_waitcnt vmcnt(12)
	v_add_f64 v[1:2], v[35:36], -v[1:2]
	buffer_store_dword v3, off, s[0:3], 0 offset:608
	buffer_store_dword v4, off, s[0:3], 0 offset:612
	buffer_store_dword v1, off, s[0:3], 0 offset:616
	buffer_store_dword v2, off, s[0:3], 0 offset:620
	ds_read2_b64 v[1:4], v121 offset0:78 offset1:79
	s_waitcnt lgkmcnt(0)
	v_mul_f64 v[33:34], v[3:4], v[31:32]
	v_fma_f64 v[33:34], v[1:2], v[29:30], -v[33:34]
	v_mul_f64 v[1:2], v[1:2], v[31:32]
	v_fma_f64 v[1:2], v[3:4], v[29:30], v[1:2]
	s_waitcnt vmcnt(14)
	v_add_f64 v[3:4], v[37:38], -v[33:34]
	s_waitcnt vmcnt(12)
	v_add_f64 v[1:2], v[39:40], -v[1:2]
	;; [unrolled: 14-line block ×3, first 2 shown]
	buffer_store_dword v4, off, s[0:3], 0 offset:644
	buffer_store_dword v3, off, s[0:3], 0 offset:640
	buffer_store_dword v1, off, s[0:3], 0 offset:648
	buffer_store_dword v2, off, s[0:3], 0 offset:652
	ds_read2_b64 v[1:4], v121 offset0:82 offset1:83
	s_waitcnt lgkmcnt(0)
	v_mul_f64 v[33:34], v[3:4], v[31:32]
	v_fma_f64 v[33:34], v[1:2], v[29:30], -v[33:34]
	v_mul_f64 v[1:2], v[1:2], v[31:32]
	v_fma_f64 v[1:2], v[3:4], v[29:30], v[1:2]
	buffer_load_dword v3, off, s[0:3], 0 offset:656
	buffer_load_dword v4, off, s[0:3], 0 offset:660
	buffer_load_dword v35, off, s[0:3], 0 offset:664
	buffer_load_dword v36, off, s[0:3], 0 offset:668
	s_waitcnt vmcnt(2)
	v_add_f64 v[3:4], v[3:4], -v[33:34]
	s_waitcnt vmcnt(0)
	v_add_f64 v[1:2], v[35:36], -v[1:2]
	buffer_store_dword v4, off, s[0:3], 0 offset:660
	buffer_store_dword v3, off, s[0:3], 0 offset:656
	buffer_store_dword v2, off, s[0:3], 0 offset:668
	buffer_store_dword v1, off, s[0:3], 0 offset:664
	ds_read2_b64 v[1:4], v121 offset0:84 offset1:85
	s_waitcnt lgkmcnt(0)
	v_mul_f64 v[33:34], v[3:4], v[31:32]
	v_fma_f64 v[33:34], v[1:2], v[29:30], -v[33:34]
	v_mul_f64 v[1:2], v[1:2], v[31:32]
	v_fma_f64 v[1:2], v[3:4], v[29:30], v[1:2]
	buffer_load_dword v3, off, s[0:3], 0 offset:672
	buffer_load_dword v4, off, s[0:3], 0 offset:676
	buffer_load_dword v35, off, s[0:3], 0 offset:680
	buffer_load_dword v36, off, s[0:3], 0 offset:684
	s_waitcnt vmcnt(2)
	v_add_f64 v[3:4], v[3:4], -v[33:34]
	s_waitcnt vmcnt(0)
	v_add_f64 v[1:2], v[35:36], -v[1:2]
	;; [unrolled: 18-line block ×3, first 2 shown]
	buffer_store_dword v4, off, s[0:3], 0 offset:692
	buffer_store_dword v3, off, s[0:3], 0 offset:688
	;; [unrolled: 1-line block ×4, first 2 shown]
	ds_read2_b64 v[1:4], v121 offset0:88 offset1:89
	buffer_load_dword v29, off, s[0:3], 0 offset:592
	buffer_load_dword v30, off, s[0:3], 0 offset:596
	;; [unrolled: 1-line block ×4, first 2 shown]
	s_waitcnt vmcnt(0) lgkmcnt(0)
	v_mul_f64 v[33:34], v[3:4], v[31:32]
	v_fma_f64 v[33:34], v[1:2], v[29:30], -v[33:34]
	v_mul_f64 v[1:2], v[1:2], v[31:32]
	v_fma_f64 v[1:2], v[3:4], v[29:30], v[1:2]
	buffer_load_dword v4, off, s[0:3], 0 offset:708
	buffer_load_dword v3, off, s[0:3], 0 offset:704
	s_waitcnt vmcnt(0)
	v_add_f64 v[3:4], v[3:4], -v[33:34]
	buffer_load_dword v34, off, s[0:3], 0 offset:716
	buffer_load_dword v33, off, s[0:3], 0 offset:712
	s_waitcnt vmcnt(0)
	v_add_f64 v[1:2], v[33:34], -v[1:2]
	buffer_store_dword v4, off, s[0:3], 0 offset:708
	buffer_store_dword v3, off, s[0:3], 0 offset:704
	buffer_store_dword v2, off, s[0:3], 0 offset:716
	buffer_store_dword v1, off, s[0:3], 0 offset:712
	ds_read2_b64 v[1:4], v121 offset0:90 offset1:91
	s_waitcnt lgkmcnt(0)
	v_mul_f64 v[33:34], v[3:4], v[31:32]
	v_fma_f64 v[33:34], v[1:2], v[29:30], -v[33:34]
	v_mul_f64 v[1:2], v[1:2], v[31:32]
	v_fma_f64 v[1:2], v[3:4], v[29:30], v[1:2]
	buffer_load_dword v3, off, s[0:3], 0 offset:720
	buffer_load_dword v4, off, s[0:3], 0 offset:724
	buffer_load_dword v35, off, s[0:3], 0 offset:728
	buffer_load_dword v36, off, s[0:3], 0 offset:732
	s_waitcnt vmcnt(2)
	v_add_f64 v[3:4], v[3:4], -v[33:34]
	s_waitcnt vmcnt(0)
	v_add_f64 v[1:2], v[35:36], -v[1:2]
	buffer_store_dword v4, off, s[0:3], 0 offset:724
	buffer_store_dword v3, off, s[0:3], 0 offset:720
	buffer_store_dword v2, off, s[0:3], 0 offset:732
	buffer_store_dword v1, off, s[0:3], 0 offset:728
	ds_read2_b64 v[1:4], v121 offset0:92 offset1:93
	s_waitcnt lgkmcnt(0)
	v_mul_f64 v[33:34], v[3:4], v[31:32]
	v_fma_f64 v[33:34], v[1:2], v[29:30], -v[33:34]
	v_mul_f64 v[1:2], v[1:2], v[31:32]
	v_fma_f64 v[1:2], v[3:4], v[29:30], v[1:2]
	buffer_load_dword v3, off, s[0:3], 0 offset:736
	buffer_load_dword v4, off, s[0:3], 0 offset:740
	buffer_load_dword v35, off, s[0:3], 0 offset:744
	buffer_load_dword v36, off, s[0:3], 0 offset:748
	s_waitcnt vmcnt(2)
	v_add_f64 v[3:4], v[3:4], -v[33:34]
	;; [unrolled: 18-line block ×5, first 2 shown]
	s_waitcnt vmcnt(0)
	v_add_f64 v[1:2], v[29:30], -v[1:2]
	buffer_store_dword v4, off, s[0:3], 0 offset:788
	buffer_store_dword v3, off, s[0:3], 0 offset:784
	;; [unrolled: 1-line block ×4, first 2 shown]
	ds_read2_b64 v[1:4], v121 offset0:100 offset1:101
	buffer_load_dword v29, off, s[0:3], 0 offset:592
	buffer_load_dword v30, off, s[0:3], 0 offset:596
	;; [unrolled: 1-line block ×4, first 2 shown]
	s_waitcnt vmcnt(0) lgkmcnt(0)
	v_mul_f64 v[33:34], v[3:4], v[31:32]
	v_fma_f64 v[33:34], v[1:2], v[29:30], -v[33:34]
	v_mul_f64 v[1:2], v[1:2], v[31:32]
	v_fma_f64 v[1:2], v[3:4], v[29:30], v[1:2]
	buffer_load_dword v4, off, s[0:3], 0 offset:804
	buffer_load_dword v3, off, s[0:3], 0 offset:800
	s_waitcnt vmcnt(0)
	v_add_f64 v[3:4], v[3:4], -v[33:34]
	buffer_load_dword v34, off, s[0:3], 0 offset:812
	buffer_load_dword v33, off, s[0:3], 0 offset:808
	s_waitcnt vmcnt(0)
	v_add_f64 v[1:2], v[33:34], -v[1:2]
	buffer_store_dword v4, off, s[0:3], 0 offset:804
	buffer_store_dword v3, off, s[0:3], 0 offset:800
	buffer_store_dword v2, off, s[0:3], 0 offset:812
	buffer_store_dword v1, off, s[0:3], 0 offset:808
	ds_read2_b64 v[1:4], v121 offset0:102 offset1:103
	s_waitcnt lgkmcnt(0)
	v_mul_f64 v[33:34], v[3:4], v[31:32]
	v_fma_f64 v[33:34], v[1:2], v[29:30], -v[33:34]
	v_mul_f64 v[1:2], v[1:2], v[31:32]
	v_fma_f64 v[1:2], v[3:4], v[29:30], v[1:2]
	buffer_load_dword v3, off, s[0:3], 0 offset:816
	buffer_load_dword v4, off, s[0:3], 0 offset:820
	buffer_load_dword v35, off, s[0:3], 0 offset:824
	buffer_load_dword v36, off, s[0:3], 0 offset:828
	s_waitcnt vmcnt(2)
	v_add_f64 v[3:4], v[3:4], -v[33:34]
	s_waitcnt vmcnt(0)
	v_add_f64 v[1:2], v[35:36], -v[1:2]
	buffer_store_dword v4, off, s[0:3], 0 offset:820
	buffer_store_dword v3, off, s[0:3], 0 offset:816
	buffer_store_dword v2, off, s[0:3], 0 offset:828
	buffer_store_dword v1, off, s[0:3], 0 offset:824
	ds_read2_b64 v[1:4], v121 offset0:104 offset1:105
	s_waitcnt lgkmcnt(0)
	v_mul_f64 v[33:34], v[3:4], v[31:32]
	v_fma_f64 v[33:34], v[1:2], v[29:30], -v[33:34]
	v_mul_f64 v[1:2], v[1:2], v[31:32]
	v_fma_f64 v[1:2], v[3:4], v[29:30], v[1:2]
	buffer_load_dword v3, off, s[0:3], 0 offset:832
	buffer_load_dword v4, off, s[0:3], 0 offset:836
	buffer_load_dword v35, off, s[0:3], 0 offset:840
	buffer_load_dword v36, off, s[0:3], 0 offset:844
	s_waitcnt vmcnt(2)
	v_add_f64 v[3:4], v[3:4], -v[33:34]
	;; [unrolled: 18-line block ×5, first 2 shown]
	s_waitcnt vmcnt(0)
	v_add_f64 v[1:2], v[29:30], -v[1:2]
	buffer_store_dword v4, off, s[0:3], 0 offset:884
	buffer_store_dword v3, off, s[0:3], 0 offset:880
	;; [unrolled: 1-line block ×4, first 2 shown]
	ds_read2_b64 v[29:32], v121 offset0:112 offset1:113
	buffer_load_dword v33, off, s[0:3], 0 offset:592
	buffer_load_dword v34, off, s[0:3], 0 offset:596
	;; [unrolled: 1-line block ×4, first 2 shown]
	s_waitcnt vmcnt(0) lgkmcnt(0)
	v_mul_f64 v[1:2], v[31:32], v[35:36]
	v_fma_f64 v[37:38], v[29:30], v[33:34], -v[1:2]
	v_mul_f64 v[1:2], v[29:30], v[35:36]
	v_fma_f64 v[29:30], v[31:32], v[33:34], v[1:2]
	buffer_load_dword v2, off, s[0:3], 0 offset:900
	buffer_load_dword v1, off, s[0:3], 0 offset:896
	buffer_load_dword v4, off, s[0:3], 0 offset:908
	buffer_load_dword v3, off, s[0:3], 0 offset:904
	s_waitcnt vmcnt(2)
	v_add_f64 v[1:2], v[1:2], -v[37:38]
	s_waitcnt vmcnt(0)
	v_add_f64 v[3:4], v[3:4], -v[29:30]
	buffer_store_dword v2, off, s[0:3], 0 offset:900
	buffer_store_dword v1, off, s[0:3], 0 offset:896
	buffer_store_dword v4, off, s[0:3], 0 offset:908
	buffer_store_dword v3, off, s[0:3], 0 offset:904
	ds_read2_b64 v[1:4], v121 offset0:114 offset1:115
	s_waitcnt lgkmcnt(0)
	v_mul_f64 v[29:30], v[3:4], v[35:36]
	v_fma_f64 v[29:30], v[1:2], v[33:34], -v[29:30]
	v_mul_f64 v[1:2], v[1:2], v[35:36]
	v_fma_f64 v[1:2], v[3:4], v[33:34], v[1:2]
	buffer_load_dword v3, off, s[0:3], 0 offset:912
	buffer_load_dword v4, off, s[0:3], 0 offset:916
	buffer_load_dword v31, off, s[0:3], 0 offset:920
	buffer_load_dword v32, off, s[0:3], 0 offset:924
	s_waitcnt vmcnt(2)
	v_add_f64 v[3:4], v[3:4], -v[29:30]
	s_waitcnt vmcnt(0)
	v_add_f64 v[1:2], v[31:32], -v[1:2]
	buffer_store_dword v4, off, s[0:3], 0 offset:916
	buffer_store_dword v3, off, s[0:3], 0 offset:912
	buffer_store_dword v2, off, s[0:3], 0 offset:924
	buffer_store_dword v1, off, s[0:3], 0 offset:920
	ds_read2_b64 v[1:4], v121 offset0:116 offset1:117
	s_waitcnt lgkmcnt(0)
	;; [unrolled: 18-line block ×5, first 2 shown]
	v_mul_f64 v[29:30], v[3:4], v[35:36]
	v_fma_f64 v[31:32], v[1:2], v[33:34], -v[29:30]
	v_mul_f64 v[1:2], v[1:2], v[35:36]
	v_fma_f64 v[29:30], v[3:4], v[33:34], v[1:2]
	buffer_load_dword v1, off, s[0:3], 0 offset:976
	buffer_load_dword v2, off, s[0:3], 0 offset:980
	;; [unrolled: 1-line block ×4, first 2 shown]
	s_waitcnt vmcnt(2)
	v_add_f64 v[1:2], v[1:2], -v[31:32]
	s_waitcnt vmcnt(0)
	v_add_f64 v[3:4], v[3:4], -v[29:30]
	buffer_store_dword v2, off, s[0:3], 0 offset:980
	buffer_store_dword v1, off, s[0:3], 0 offset:976
	buffer_store_dword v4, off, s[0:3], 0 offset:988
	buffer_store_dword v3, off, s[0:3], 0 offset:984
.LBB123_455:
	s_or_b64 exec, exec, s[6:7]
	v_cmp_eq_u32_e32 vcc, 38, v0
	s_waitcnt vmcnt(0) lgkmcnt(0)
	s_barrier
	s_and_saveexec_b64 s[8:9], vcc
	s_cbranch_execz .LBB123_462
; %bb.456:
	v_readlane_b32 s6, v126, 12
	v_mov_b32_e32 v4, s6
	buffer_load_dword v1, v4, s[0:3], 0 offen
	buffer_load_dword v2, v4, s[0:3], 0 offen offset:4
	buffer_load_dword v3, v4, s[0:3], 0 offen offset:8
	s_nop 0
	buffer_load_dword v4, v4, s[0:3], 0 offen offset:12
	v_readlane_b32 s6, v126, 13
	s_waitcnt vmcnt(0)
	ds_write2_b64 v125, v[1:2], v[3:4] offset1:1
	v_mov_b32_e32 v4, s36
	buffer_load_dword v1, v4, s[0:3], 0 offen
	buffer_load_dword v2, v4, s[0:3], 0 offen offset:4
	buffer_load_dword v3, v4, s[0:3], 0 offen offset:8
	s_nop 0
	buffer_load_dword v4, v4, s[0:3], 0 offen offset:12
	s_waitcnt vmcnt(0)
	ds_write2_b64 v121, v[1:2], v[3:4] offset0:78 offset1:79
	v_mov_b32_e32 v4, s6
	buffer_load_dword v1, v4, s[0:3], 0 offen
	buffer_load_dword v2, v4, s[0:3], 0 offen offset:4
	buffer_load_dword v3, v4, s[0:3], 0 offen offset:8
	s_nop 0
	buffer_load_dword v4, v4, s[0:3], 0 offen offset:12
	v_readlane_b32 s6, v126, 14
	s_waitcnt vmcnt(0)
	ds_write2_b64 v121, v[1:2], v[3:4] offset0:80 offset1:81
	v_mov_b32_e32 v4, s34
	buffer_load_dword v1, v4, s[0:3], 0 offen
	buffer_load_dword v2, v4, s[0:3], 0 offen offset:4
	buffer_load_dword v3, v4, s[0:3], 0 offen offset:8
	s_nop 0
	buffer_load_dword v4, v4, s[0:3], 0 offen offset:12
	s_waitcnt vmcnt(0)
	ds_write2_b64 v121, v[1:2], v[3:4] offset0:82 offset1:83
	v_mov_b32_e32 v4, s6
	buffer_load_dword v1, v4, s[0:3], 0 offen
	buffer_load_dword v2, v4, s[0:3], 0 offen offset:4
	buffer_load_dword v3, v4, s[0:3], 0 offen offset:8
	s_nop 0
	buffer_load_dword v4, v4, s[0:3], 0 offen offset:12
	v_readlane_b32 s6, v126, 15
	s_waitcnt vmcnt(0)
	ds_write2_b64 v121, v[1:2], v[3:4] offset0:84 offset1:85
	;; [unrolled: 17-line block ×10, first 2 shown]
	v_mov_b32_e32 v4, s14
	buffer_load_dword v1, v4, s[0:3], 0 offen
	buffer_load_dword v2, v4, s[0:3], 0 offen offset:4
	buffer_load_dword v3, v4, s[0:3], 0 offen offset:8
	s_nop 0
	buffer_load_dword v4, v4, s[0:3], 0 offen offset:12
	s_waitcnt vmcnt(0)
	ds_write2_b64 v121, v[1:2], v[3:4] offset0:118 offset1:119
	v_mov_b32_e32 v4, s42
	buffer_load_dword v1, v4, s[0:3], 0 offen
	buffer_load_dword v2, v4, s[0:3], 0 offen offset:4
	buffer_load_dword v3, v4, s[0:3], 0 offen offset:8
	s_nop 0
	buffer_load_dword v4, v4, s[0:3], 0 offen offset:12
	s_waitcnt vmcnt(0)
	ds_write2_b64 v121, v[1:2], v[3:4] offset0:120 offset1:121
	;; [unrolled: 8-line block ×3, first 2 shown]
	ds_read2_b64 v[29:32], v125 offset1:1
	s_waitcnt lgkmcnt(0)
	v_cmp_neq_f64_e32 vcc, 0, v[29:30]
	v_cmp_neq_f64_e64 s[6:7], 0, v[31:32]
	s_or_b64 s[6:7], vcc, s[6:7]
	s_and_b64 exec, exec, s[6:7]
	s_cbranch_execz .LBB123_462
; %bb.457:
	v_cmp_ngt_f64_e64 s[6:7], |v[29:30]|, |v[31:32]|
                                        ; implicit-def: $vgpr1_vgpr2
	s_and_saveexec_b64 s[10:11], s[6:7]
	s_xor_b64 s[6:7], exec, s[10:11]
                                        ; implicit-def: $vgpr3_vgpr4
	s_cbranch_execz .LBB123_459
; %bb.458:
	v_div_scale_f64 v[1:2], s[10:11], v[31:32], v[31:32], v[29:30]
	v_rcp_f64_e32 v[3:4], v[1:2]
	v_fma_f64 v[33:34], -v[1:2], v[3:4], 1.0
	v_fma_f64 v[3:4], v[3:4], v[33:34], v[3:4]
	v_div_scale_f64 v[33:34], vcc, v[29:30], v[31:32], v[29:30]
	v_fma_f64 v[35:36], -v[1:2], v[3:4], 1.0
	v_fma_f64 v[3:4], v[3:4], v[35:36], v[3:4]
	v_mul_f64 v[35:36], v[33:34], v[3:4]
	v_fma_f64 v[1:2], -v[1:2], v[35:36], v[33:34]
	v_div_fmas_f64 v[1:2], v[1:2], v[3:4], v[35:36]
	v_div_fixup_f64 v[1:2], v[1:2], v[31:32], v[29:30]
	v_fma_f64 v[3:4], v[29:30], v[1:2], v[31:32]
	v_div_scale_f64 v[29:30], s[10:11], v[3:4], v[3:4], 1.0
	v_div_scale_f64 v[35:36], vcc, 1.0, v[3:4], 1.0
	v_rcp_f64_e32 v[31:32], v[29:30]
	v_fma_f64 v[33:34], -v[29:30], v[31:32], 1.0
	v_fma_f64 v[31:32], v[31:32], v[33:34], v[31:32]
	v_fma_f64 v[33:34], -v[29:30], v[31:32], 1.0
	v_fma_f64 v[31:32], v[31:32], v[33:34], v[31:32]
	v_mul_f64 v[33:34], v[35:36], v[31:32]
	v_fma_f64 v[29:30], -v[29:30], v[33:34], v[35:36]
	v_div_fmas_f64 v[29:30], v[29:30], v[31:32], v[33:34]
	v_div_fixup_f64 v[3:4], v[29:30], v[3:4], 1.0
                                        ; implicit-def: $vgpr29_vgpr30
	v_mul_f64 v[1:2], v[1:2], v[3:4]
	v_xor_b32_e32 v4, 0x80000000, v4
.LBB123_459:
	s_andn2_saveexec_b64 s[6:7], s[6:7]
	s_cbranch_execz .LBB123_461
; %bb.460:
	v_div_scale_f64 v[1:2], s[10:11], v[29:30], v[29:30], v[31:32]
	v_rcp_f64_e32 v[3:4], v[1:2]
	v_fma_f64 v[33:34], -v[1:2], v[3:4], 1.0
	v_fma_f64 v[3:4], v[3:4], v[33:34], v[3:4]
	v_div_scale_f64 v[33:34], vcc, v[31:32], v[29:30], v[31:32]
	v_fma_f64 v[35:36], -v[1:2], v[3:4], 1.0
	v_fma_f64 v[3:4], v[3:4], v[35:36], v[3:4]
	v_mul_f64 v[35:36], v[33:34], v[3:4]
	v_fma_f64 v[1:2], -v[1:2], v[35:36], v[33:34]
	v_div_fmas_f64 v[1:2], v[1:2], v[3:4], v[35:36]
	v_div_fixup_f64 v[3:4], v[1:2], v[29:30], v[31:32]
	v_fma_f64 v[1:2], v[31:32], v[3:4], v[29:30]
	v_div_scale_f64 v[29:30], s[10:11], v[1:2], v[1:2], 1.0
	v_div_scale_f64 v[35:36], vcc, 1.0, v[1:2], 1.0
	v_rcp_f64_e32 v[31:32], v[29:30]
	v_fma_f64 v[33:34], -v[29:30], v[31:32], 1.0
	v_fma_f64 v[31:32], v[31:32], v[33:34], v[31:32]
	v_fma_f64 v[33:34], -v[29:30], v[31:32], 1.0
	v_fma_f64 v[31:32], v[31:32], v[33:34], v[31:32]
	v_mul_f64 v[33:34], v[35:36], v[31:32]
	v_fma_f64 v[29:30], -v[29:30], v[33:34], v[35:36]
	v_div_fmas_f64 v[29:30], v[29:30], v[31:32], v[33:34]
	v_div_fixup_f64 v[1:2], v[29:30], v[1:2], 1.0
	v_mul_f64 v[3:4], v[3:4], -v[1:2]
.LBB123_461:
	s_or_b64 exec, exec, s[6:7]
	ds_write2_b64 v125, v[1:2], v[3:4] offset1:1
.LBB123_462:
	s_or_b64 exec, exec, s[8:9]
	s_waitcnt lgkmcnt(0)
	s_barrier
	ds_read2_b64 v[29:32], v125 offset1:1
	v_cmp_lt_u32_e32 vcc, 38, v0
	s_and_saveexec_b64 s[6:7], vcc
	s_cbranch_execz .LBB123_464
; %bb.463:
	buffer_load_dword v1, off, s[0:3], 0 offset:608
	buffer_load_dword v2, off, s[0:3], 0 offset:612
	buffer_load_dword v3, off, s[0:3], 0 offset:616
	buffer_load_dword v4, off, s[0:3], 0 offset:620
	buffer_load_dword v37, off, s[0:3], 0 offset:624
	buffer_load_dword v38, off, s[0:3], 0 offset:628
	buffer_load_dword v39, off, s[0:3], 0 offset:632
	buffer_load_dword v40, off, s[0:3], 0 offset:636
	buffer_load_dword v41, off, s[0:3], 0 offset:640
	buffer_load_dword v42, off, s[0:3], 0 offset:644
	buffer_load_dword v43, off, s[0:3], 0 offset:648
	buffer_load_dword v44, off, s[0:3], 0 offset:652
	buffer_load_dword v45, off, s[0:3], 0 offset:656
	buffer_load_dword v46, off, s[0:3], 0 offset:660
	buffer_load_dword v47, off, s[0:3], 0 offset:664
	buffer_load_dword v48, off, s[0:3], 0 offset:668
	s_waitcnt vmcnt(12) lgkmcnt(0)
	v_mul_f64 v[33:34], v[31:32], v[3:4]
	v_mul_f64 v[3:4], v[29:30], v[3:4]
	v_fma_f64 v[33:34], v[29:30], v[1:2], -v[33:34]
	v_fma_f64 v[35:36], v[31:32], v[1:2], v[3:4]
	buffer_store_dword v33, off, s[0:3], 0 offset:608
	buffer_store_dword v34, off, s[0:3], 0 offset:612
	buffer_store_dword v35, off, s[0:3], 0 offset:616
	buffer_store_dword v36, off, s[0:3], 0 offset:620
	ds_read2_b64 v[1:4], v121 offset0:78 offset1:79
	s_waitcnt lgkmcnt(0)
	v_mul_f64 v[49:50], v[3:4], v[35:36]
	v_fma_f64 v[49:50], v[1:2], v[33:34], -v[49:50]
	v_mul_f64 v[1:2], v[1:2], v[35:36]
	v_fma_f64 v[1:2], v[3:4], v[33:34], v[1:2]
	s_waitcnt vmcnt(14)
	v_add_f64 v[3:4], v[37:38], -v[49:50]
	s_waitcnt vmcnt(12)
	v_add_f64 v[1:2], v[39:40], -v[1:2]
	buffer_store_dword v3, off, s[0:3], 0 offset:624
	buffer_store_dword v4, off, s[0:3], 0 offset:628
	buffer_store_dword v1, off, s[0:3], 0 offset:632
	buffer_store_dword v2, off, s[0:3], 0 offset:636
	ds_read2_b64 v[1:4], v121 offset0:80 offset1:81
	s_waitcnt lgkmcnt(0)
	v_mul_f64 v[37:38], v[3:4], v[35:36]
	v_fma_f64 v[37:38], v[1:2], v[33:34], -v[37:38]
	v_mul_f64 v[1:2], v[1:2], v[35:36]
	v_fma_f64 v[1:2], v[3:4], v[33:34], v[1:2]
	s_waitcnt vmcnt(14)
	v_add_f64 v[3:4], v[41:42], -v[37:38]
	s_waitcnt vmcnt(12)
	v_add_f64 v[1:2], v[43:44], -v[1:2]
	;; [unrolled: 14-line block ×3, first 2 shown]
	buffer_store_dword v4, off, s[0:3], 0 offset:660
	buffer_store_dword v3, off, s[0:3], 0 offset:656
	buffer_store_dword v1, off, s[0:3], 0 offset:664
	buffer_store_dword v2, off, s[0:3], 0 offset:668
	ds_read2_b64 v[1:4], v121 offset0:84 offset1:85
	s_waitcnt lgkmcnt(0)
	v_mul_f64 v[37:38], v[3:4], v[35:36]
	v_fma_f64 v[37:38], v[1:2], v[33:34], -v[37:38]
	v_mul_f64 v[1:2], v[1:2], v[35:36]
	v_fma_f64 v[1:2], v[3:4], v[33:34], v[1:2]
	buffer_load_dword v3, off, s[0:3], 0 offset:672
	buffer_load_dword v4, off, s[0:3], 0 offset:676
	buffer_load_dword v39, off, s[0:3], 0 offset:680
	buffer_load_dword v40, off, s[0:3], 0 offset:684
	s_waitcnt vmcnt(2)
	v_add_f64 v[3:4], v[3:4], -v[37:38]
	s_waitcnt vmcnt(0)
	v_add_f64 v[1:2], v[39:40], -v[1:2]
	buffer_store_dword v4, off, s[0:3], 0 offset:676
	buffer_store_dword v3, off, s[0:3], 0 offset:672
	buffer_store_dword v2, off, s[0:3], 0 offset:684
	buffer_store_dword v1, off, s[0:3], 0 offset:680
	ds_read2_b64 v[1:4], v121 offset0:86 offset1:87
	s_waitcnt lgkmcnt(0)
	v_mul_f64 v[37:38], v[3:4], v[35:36]
	v_fma_f64 v[37:38], v[1:2], v[33:34], -v[37:38]
	v_mul_f64 v[1:2], v[1:2], v[35:36]
	v_fma_f64 v[1:2], v[3:4], v[33:34], v[1:2]
	buffer_load_dword v3, off, s[0:3], 0 offset:688
	buffer_load_dword v4, off, s[0:3], 0 offset:692
	buffer_load_dword v39, off, s[0:3], 0 offset:696
	buffer_load_dword v40, off, s[0:3], 0 offset:700
	s_waitcnt vmcnt(2)
	v_add_f64 v[3:4], v[3:4], -v[37:38]
	s_waitcnt vmcnt(0)
	v_add_f64 v[1:2], v[39:40], -v[1:2]
	;; [unrolled: 18-line block ×3, first 2 shown]
	buffer_store_dword v4, off, s[0:3], 0 offset:708
	buffer_store_dword v3, off, s[0:3], 0 offset:704
	buffer_store_dword v2, off, s[0:3], 0 offset:716
	buffer_store_dword v1, off, s[0:3], 0 offset:712
	ds_read2_b64 v[1:4], v121 offset0:90 offset1:91
	buffer_load_dword v33, off, s[0:3], 0 offset:608
	buffer_load_dword v34, off, s[0:3], 0 offset:612
	;; [unrolled: 1-line block ×4, first 2 shown]
	s_waitcnt vmcnt(0) lgkmcnt(0)
	v_mul_f64 v[37:38], v[3:4], v[35:36]
	v_fma_f64 v[37:38], v[1:2], v[33:34], -v[37:38]
	v_mul_f64 v[1:2], v[1:2], v[35:36]
	v_fma_f64 v[1:2], v[3:4], v[33:34], v[1:2]
	buffer_load_dword v4, off, s[0:3], 0 offset:724
	buffer_load_dword v3, off, s[0:3], 0 offset:720
	s_waitcnt vmcnt(0)
	v_add_f64 v[3:4], v[3:4], -v[37:38]
	buffer_load_dword v38, off, s[0:3], 0 offset:732
	buffer_load_dword v37, off, s[0:3], 0 offset:728
	s_waitcnt vmcnt(0)
	v_add_f64 v[1:2], v[37:38], -v[1:2]
	buffer_store_dword v4, off, s[0:3], 0 offset:724
	buffer_store_dword v3, off, s[0:3], 0 offset:720
	buffer_store_dword v2, off, s[0:3], 0 offset:732
	buffer_store_dword v1, off, s[0:3], 0 offset:728
	ds_read2_b64 v[1:4], v121 offset0:92 offset1:93
	s_waitcnt lgkmcnt(0)
	v_mul_f64 v[37:38], v[3:4], v[35:36]
	v_fma_f64 v[37:38], v[1:2], v[33:34], -v[37:38]
	v_mul_f64 v[1:2], v[1:2], v[35:36]
	v_fma_f64 v[1:2], v[3:4], v[33:34], v[1:2]
	buffer_load_dword v3, off, s[0:3], 0 offset:736
	buffer_load_dword v4, off, s[0:3], 0 offset:740
	buffer_load_dword v39, off, s[0:3], 0 offset:744
	buffer_load_dword v40, off, s[0:3], 0 offset:748
	s_waitcnt vmcnt(2)
	v_add_f64 v[3:4], v[3:4], -v[37:38]
	s_waitcnt vmcnt(0)
	v_add_f64 v[1:2], v[39:40], -v[1:2]
	buffer_store_dword v4, off, s[0:3], 0 offset:740
	buffer_store_dword v3, off, s[0:3], 0 offset:736
	buffer_store_dword v2, off, s[0:3], 0 offset:748
	buffer_store_dword v1, off, s[0:3], 0 offset:744
	ds_read2_b64 v[1:4], v121 offset0:94 offset1:95
	s_waitcnt lgkmcnt(0)
	v_mul_f64 v[37:38], v[3:4], v[35:36]
	v_fma_f64 v[37:38], v[1:2], v[33:34], -v[37:38]
	v_mul_f64 v[1:2], v[1:2], v[35:36]
	v_fma_f64 v[1:2], v[3:4], v[33:34], v[1:2]
	buffer_load_dword v3, off, s[0:3], 0 offset:752
	buffer_load_dword v4, off, s[0:3], 0 offset:756
	buffer_load_dword v39, off, s[0:3], 0 offset:760
	buffer_load_dword v40, off, s[0:3], 0 offset:764
	s_waitcnt vmcnt(2)
	v_add_f64 v[3:4], v[3:4], -v[37:38]
	;; [unrolled: 18-line block ×5, first 2 shown]
	s_waitcnt vmcnt(0)
	v_add_f64 v[1:2], v[33:34], -v[1:2]
	buffer_store_dword v4, off, s[0:3], 0 offset:804
	buffer_store_dword v3, off, s[0:3], 0 offset:800
	;; [unrolled: 1-line block ×4, first 2 shown]
	ds_read2_b64 v[1:4], v121 offset0:102 offset1:103
	buffer_load_dword v33, off, s[0:3], 0 offset:608
	buffer_load_dword v34, off, s[0:3], 0 offset:612
	;; [unrolled: 1-line block ×4, first 2 shown]
	s_waitcnt vmcnt(0) lgkmcnt(0)
	v_mul_f64 v[37:38], v[3:4], v[35:36]
	v_fma_f64 v[37:38], v[1:2], v[33:34], -v[37:38]
	v_mul_f64 v[1:2], v[1:2], v[35:36]
	v_fma_f64 v[1:2], v[3:4], v[33:34], v[1:2]
	buffer_load_dword v4, off, s[0:3], 0 offset:820
	buffer_load_dword v3, off, s[0:3], 0 offset:816
	s_waitcnt vmcnt(0)
	v_add_f64 v[3:4], v[3:4], -v[37:38]
	buffer_load_dword v38, off, s[0:3], 0 offset:828
	buffer_load_dword v37, off, s[0:3], 0 offset:824
	s_waitcnt vmcnt(0)
	v_add_f64 v[1:2], v[37:38], -v[1:2]
	buffer_store_dword v4, off, s[0:3], 0 offset:820
	buffer_store_dword v3, off, s[0:3], 0 offset:816
	buffer_store_dword v2, off, s[0:3], 0 offset:828
	buffer_store_dword v1, off, s[0:3], 0 offset:824
	ds_read2_b64 v[1:4], v121 offset0:104 offset1:105
	s_waitcnt lgkmcnt(0)
	v_mul_f64 v[37:38], v[3:4], v[35:36]
	v_fma_f64 v[37:38], v[1:2], v[33:34], -v[37:38]
	v_mul_f64 v[1:2], v[1:2], v[35:36]
	v_fma_f64 v[1:2], v[3:4], v[33:34], v[1:2]
	buffer_load_dword v3, off, s[0:3], 0 offset:832
	buffer_load_dword v4, off, s[0:3], 0 offset:836
	buffer_load_dword v39, off, s[0:3], 0 offset:840
	buffer_load_dword v40, off, s[0:3], 0 offset:844
	s_waitcnt vmcnt(2)
	v_add_f64 v[3:4], v[3:4], -v[37:38]
	s_waitcnt vmcnt(0)
	v_add_f64 v[1:2], v[39:40], -v[1:2]
	buffer_store_dword v4, off, s[0:3], 0 offset:836
	buffer_store_dword v3, off, s[0:3], 0 offset:832
	buffer_store_dword v2, off, s[0:3], 0 offset:844
	buffer_store_dword v1, off, s[0:3], 0 offset:840
	ds_read2_b64 v[1:4], v121 offset0:106 offset1:107
	s_waitcnt lgkmcnt(0)
	v_mul_f64 v[37:38], v[3:4], v[35:36]
	v_fma_f64 v[37:38], v[1:2], v[33:34], -v[37:38]
	v_mul_f64 v[1:2], v[1:2], v[35:36]
	v_fma_f64 v[1:2], v[3:4], v[33:34], v[1:2]
	buffer_load_dword v3, off, s[0:3], 0 offset:848
	buffer_load_dword v4, off, s[0:3], 0 offset:852
	buffer_load_dword v39, off, s[0:3], 0 offset:856
	buffer_load_dword v40, off, s[0:3], 0 offset:860
	s_waitcnt vmcnt(2)
	v_add_f64 v[3:4], v[3:4], -v[37:38]
	;; [unrolled: 18-line block ×5, first 2 shown]
	s_waitcnt vmcnt(0)
	v_add_f64 v[1:2], v[33:34], -v[1:2]
	buffer_store_dword v4, off, s[0:3], 0 offset:900
	buffer_store_dword v3, off, s[0:3], 0 offset:896
	;; [unrolled: 1-line block ×4, first 2 shown]
	ds_read2_b64 v[33:36], v121 offset0:114 offset1:115
	buffer_load_dword v37, off, s[0:3], 0 offset:608
	buffer_load_dword v38, off, s[0:3], 0 offset:612
	;; [unrolled: 1-line block ×4, first 2 shown]
	s_waitcnt vmcnt(0) lgkmcnt(0)
	v_mul_f64 v[1:2], v[35:36], v[39:40]
	v_fma_f64 v[41:42], v[33:34], v[37:38], -v[1:2]
	v_mul_f64 v[1:2], v[33:34], v[39:40]
	v_fma_f64 v[33:34], v[35:36], v[37:38], v[1:2]
	buffer_load_dword v2, off, s[0:3], 0 offset:916
	buffer_load_dword v1, off, s[0:3], 0 offset:912
	buffer_load_dword v4, off, s[0:3], 0 offset:924
	buffer_load_dword v3, off, s[0:3], 0 offset:920
	s_waitcnt vmcnt(2)
	v_add_f64 v[1:2], v[1:2], -v[41:42]
	s_waitcnt vmcnt(0)
	v_add_f64 v[3:4], v[3:4], -v[33:34]
	buffer_store_dword v2, off, s[0:3], 0 offset:916
	buffer_store_dword v1, off, s[0:3], 0 offset:912
	buffer_store_dword v4, off, s[0:3], 0 offset:924
	buffer_store_dword v3, off, s[0:3], 0 offset:920
	ds_read2_b64 v[1:4], v121 offset0:116 offset1:117
	s_waitcnt lgkmcnt(0)
	v_mul_f64 v[33:34], v[3:4], v[39:40]
	v_fma_f64 v[33:34], v[1:2], v[37:38], -v[33:34]
	v_mul_f64 v[1:2], v[1:2], v[39:40]
	v_fma_f64 v[1:2], v[3:4], v[37:38], v[1:2]
	buffer_load_dword v3, off, s[0:3], 0 offset:928
	buffer_load_dword v4, off, s[0:3], 0 offset:932
	buffer_load_dword v35, off, s[0:3], 0 offset:936
	buffer_load_dword v36, off, s[0:3], 0 offset:940
	s_waitcnt vmcnt(2)
	v_add_f64 v[3:4], v[3:4], -v[33:34]
	s_waitcnt vmcnt(0)
	v_add_f64 v[1:2], v[35:36], -v[1:2]
	buffer_store_dword v4, off, s[0:3], 0 offset:932
	buffer_store_dword v3, off, s[0:3], 0 offset:928
	buffer_store_dword v2, off, s[0:3], 0 offset:940
	buffer_store_dword v1, off, s[0:3], 0 offset:936
	ds_read2_b64 v[1:4], v121 offset0:118 offset1:119
	s_waitcnt lgkmcnt(0)
	;; [unrolled: 18-line block ×4, first 2 shown]
	v_mul_f64 v[33:34], v[3:4], v[39:40]
	v_fma_f64 v[35:36], v[1:2], v[37:38], -v[33:34]
	v_mul_f64 v[1:2], v[1:2], v[39:40]
	v_fma_f64 v[33:34], v[3:4], v[37:38], v[1:2]
	buffer_load_dword v1, off, s[0:3], 0 offset:976
	buffer_load_dword v2, off, s[0:3], 0 offset:980
	;; [unrolled: 1-line block ×4, first 2 shown]
	s_waitcnt vmcnt(2)
	v_add_f64 v[1:2], v[1:2], -v[35:36]
	s_waitcnt vmcnt(0)
	v_add_f64 v[3:4], v[3:4], -v[33:34]
	buffer_store_dword v2, off, s[0:3], 0 offset:980
	buffer_store_dword v1, off, s[0:3], 0 offset:976
	;; [unrolled: 1-line block ×4, first 2 shown]
.LBB123_464:
	s_or_b64 exec, exec, s[6:7]
	v_cmp_eq_u32_e32 vcc, 39, v0
	s_waitcnt vmcnt(0) lgkmcnt(0)
	s_barrier
	s_and_saveexec_b64 s[8:9], vcc
	s_cbranch_execz .LBB123_471
; %bb.465:
	v_mov_b32_e32 v4, s36
	buffer_load_dword v1, v4, s[0:3], 0 offen
	buffer_load_dword v2, v4, s[0:3], 0 offen offset:4
	buffer_load_dword v3, v4, s[0:3], 0 offen offset:8
	s_nop 0
	buffer_load_dword v4, v4, s[0:3], 0 offen offset:12
	v_readlane_b32 s6, v126, 13
	s_waitcnt vmcnt(0)
	ds_write2_b64 v125, v[1:2], v[3:4] offset1:1
	v_mov_b32_e32 v4, s6
	buffer_load_dword v1, v4, s[0:3], 0 offen
	buffer_load_dword v2, v4, s[0:3], 0 offen offset:4
	buffer_load_dword v3, v4, s[0:3], 0 offen offset:8
	s_nop 0
	buffer_load_dword v4, v4, s[0:3], 0 offen offset:12
	v_readlane_b32 s6, v126, 14
	s_waitcnt vmcnt(0)
	ds_write2_b64 v121, v[1:2], v[3:4] offset0:80 offset1:81
	v_mov_b32_e32 v4, s34
	buffer_load_dword v1, v4, s[0:3], 0 offen
	buffer_load_dword v2, v4, s[0:3], 0 offen offset:4
	buffer_load_dword v3, v4, s[0:3], 0 offen offset:8
	s_nop 0
	buffer_load_dword v4, v4, s[0:3], 0 offen offset:12
	s_waitcnt vmcnt(0)
	ds_write2_b64 v121, v[1:2], v[3:4] offset0:82 offset1:83
	v_mov_b32_e32 v4, s6
	buffer_load_dword v1, v4, s[0:3], 0 offen
	buffer_load_dword v2, v4, s[0:3], 0 offen offset:4
	buffer_load_dword v3, v4, s[0:3], 0 offen offset:8
	s_nop 0
	buffer_load_dword v4, v4, s[0:3], 0 offen offset:12
	v_readlane_b32 s6, v126, 15
	s_waitcnt vmcnt(0)
	ds_write2_b64 v121, v[1:2], v[3:4] offset0:84 offset1:85
	v_mov_b32_e32 v4, s30
	buffer_load_dword v1, v4, s[0:3], 0 offen
	buffer_load_dword v2, v4, s[0:3], 0 offen offset:4
	buffer_load_dword v3, v4, s[0:3], 0 offen offset:8
	s_nop 0
	buffer_load_dword v4, v4, s[0:3], 0 offen offset:12
	s_waitcnt vmcnt(0)
	ds_write2_b64 v121, v[1:2], v[3:4] offset0:86 offset1:87
	;; [unrolled: 17-line block ×10, first 2 shown]
	v_mov_b32_e32 v4, s42
	buffer_load_dword v1, v4, s[0:3], 0 offen
	buffer_load_dword v2, v4, s[0:3], 0 offen offset:4
	buffer_load_dword v3, v4, s[0:3], 0 offen offset:8
	s_nop 0
	buffer_load_dword v4, v4, s[0:3], 0 offen offset:12
	s_waitcnt vmcnt(0)
	ds_write2_b64 v121, v[1:2], v[3:4] offset0:120 offset1:121
	v_mov_b32_e32 v4, s6
	buffer_load_dword v1, v4, s[0:3], 0 offen
	buffer_load_dword v2, v4, s[0:3], 0 offen offset:4
	buffer_load_dword v3, v4, s[0:3], 0 offen offset:8
	s_nop 0
	buffer_load_dword v4, v4, s[0:3], 0 offen offset:12
	s_waitcnt vmcnt(0)
	ds_write2_b64 v121, v[1:2], v[3:4] offset0:122 offset1:123
	ds_read2_b64 v[33:36], v125 offset1:1
	s_waitcnt lgkmcnt(0)
	v_cmp_neq_f64_e32 vcc, 0, v[33:34]
	v_cmp_neq_f64_e64 s[6:7], 0, v[35:36]
	s_or_b64 s[6:7], vcc, s[6:7]
	s_and_b64 exec, exec, s[6:7]
	s_cbranch_execz .LBB123_471
; %bb.466:
	v_cmp_ngt_f64_e64 s[6:7], |v[33:34]|, |v[35:36]|
                                        ; implicit-def: $vgpr1_vgpr2
	s_and_saveexec_b64 s[10:11], s[6:7]
	s_xor_b64 s[6:7], exec, s[10:11]
                                        ; implicit-def: $vgpr3_vgpr4
	s_cbranch_execz .LBB123_468
; %bb.467:
	v_div_scale_f64 v[1:2], s[10:11], v[35:36], v[35:36], v[33:34]
	v_rcp_f64_e32 v[3:4], v[1:2]
	v_fma_f64 v[37:38], -v[1:2], v[3:4], 1.0
	v_fma_f64 v[3:4], v[3:4], v[37:38], v[3:4]
	v_div_scale_f64 v[37:38], vcc, v[33:34], v[35:36], v[33:34]
	v_fma_f64 v[39:40], -v[1:2], v[3:4], 1.0
	v_fma_f64 v[3:4], v[3:4], v[39:40], v[3:4]
	v_mul_f64 v[39:40], v[37:38], v[3:4]
	v_fma_f64 v[1:2], -v[1:2], v[39:40], v[37:38]
	v_div_fmas_f64 v[1:2], v[1:2], v[3:4], v[39:40]
	v_div_fixup_f64 v[1:2], v[1:2], v[35:36], v[33:34]
	v_fma_f64 v[3:4], v[33:34], v[1:2], v[35:36]
	v_div_scale_f64 v[33:34], s[10:11], v[3:4], v[3:4], 1.0
	v_div_scale_f64 v[39:40], vcc, 1.0, v[3:4], 1.0
	v_rcp_f64_e32 v[35:36], v[33:34]
	v_fma_f64 v[37:38], -v[33:34], v[35:36], 1.0
	v_fma_f64 v[35:36], v[35:36], v[37:38], v[35:36]
	v_fma_f64 v[37:38], -v[33:34], v[35:36], 1.0
	v_fma_f64 v[35:36], v[35:36], v[37:38], v[35:36]
	v_mul_f64 v[37:38], v[39:40], v[35:36]
	v_fma_f64 v[33:34], -v[33:34], v[37:38], v[39:40]
	v_div_fmas_f64 v[33:34], v[33:34], v[35:36], v[37:38]
	v_div_fixup_f64 v[3:4], v[33:34], v[3:4], 1.0
                                        ; implicit-def: $vgpr33_vgpr34
	v_mul_f64 v[1:2], v[1:2], v[3:4]
	v_xor_b32_e32 v4, 0x80000000, v4
.LBB123_468:
	s_andn2_saveexec_b64 s[6:7], s[6:7]
	s_cbranch_execz .LBB123_470
; %bb.469:
	v_div_scale_f64 v[1:2], s[10:11], v[33:34], v[33:34], v[35:36]
	v_rcp_f64_e32 v[3:4], v[1:2]
	v_fma_f64 v[37:38], -v[1:2], v[3:4], 1.0
	v_fma_f64 v[3:4], v[3:4], v[37:38], v[3:4]
	v_div_scale_f64 v[37:38], vcc, v[35:36], v[33:34], v[35:36]
	v_fma_f64 v[39:40], -v[1:2], v[3:4], 1.0
	v_fma_f64 v[3:4], v[3:4], v[39:40], v[3:4]
	v_mul_f64 v[39:40], v[37:38], v[3:4]
	v_fma_f64 v[1:2], -v[1:2], v[39:40], v[37:38]
	v_div_fmas_f64 v[1:2], v[1:2], v[3:4], v[39:40]
	v_div_fixup_f64 v[3:4], v[1:2], v[33:34], v[35:36]
	v_fma_f64 v[1:2], v[35:36], v[3:4], v[33:34]
	v_div_scale_f64 v[33:34], s[10:11], v[1:2], v[1:2], 1.0
	v_div_scale_f64 v[39:40], vcc, 1.0, v[1:2], 1.0
	v_rcp_f64_e32 v[35:36], v[33:34]
	v_fma_f64 v[37:38], -v[33:34], v[35:36], 1.0
	v_fma_f64 v[35:36], v[35:36], v[37:38], v[35:36]
	v_fma_f64 v[37:38], -v[33:34], v[35:36], 1.0
	v_fma_f64 v[35:36], v[35:36], v[37:38], v[35:36]
	v_mul_f64 v[37:38], v[39:40], v[35:36]
	v_fma_f64 v[33:34], -v[33:34], v[37:38], v[39:40]
	v_div_fmas_f64 v[33:34], v[33:34], v[35:36], v[37:38]
	v_div_fixup_f64 v[1:2], v[33:34], v[1:2], 1.0
	v_mul_f64 v[3:4], v[3:4], -v[1:2]
.LBB123_470:
	s_or_b64 exec, exec, s[6:7]
	ds_write2_b64 v125, v[1:2], v[3:4] offset1:1
.LBB123_471:
	s_or_b64 exec, exec, s[8:9]
	s_waitcnt lgkmcnt(0)
	s_barrier
	ds_read2_b64 v[33:36], v125 offset1:1
	v_cmp_lt_u32_e32 vcc, 39, v0
	s_and_saveexec_b64 s[6:7], vcc
	s_cbranch_execz .LBB123_473
; %bb.472:
	buffer_load_dword v1, off, s[0:3], 0 offset:624
	buffer_load_dword v2, off, s[0:3], 0 offset:628
	;; [unrolled: 1-line block ×16, first 2 shown]
	s_waitcnt vmcnt(12) lgkmcnt(0)
	v_mul_f64 v[37:38], v[35:36], v[3:4]
	v_mul_f64 v[3:4], v[33:34], v[3:4]
	v_fma_f64 v[37:38], v[33:34], v[1:2], -v[37:38]
	v_fma_f64 v[39:40], v[35:36], v[1:2], v[3:4]
	buffer_store_dword v37, off, s[0:3], 0 offset:624
	buffer_store_dword v38, off, s[0:3], 0 offset:628
	buffer_store_dword v39, off, s[0:3], 0 offset:632
	buffer_store_dword v40, off, s[0:3], 0 offset:636
	ds_read2_b64 v[1:4], v121 offset0:80 offset1:81
	s_waitcnt lgkmcnt(0)
	v_mul_f64 v[53:54], v[3:4], v[39:40]
	v_fma_f64 v[53:54], v[1:2], v[37:38], -v[53:54]
	v_mul_f64 v[1:2], v[1:2], v[39:40]
	v_fma_f64 v[1:2], v[3:4], v[37:38], v[1:2]
	s_waitcnt vmcnt(14)
	v_add_f64 v[3:4], v[41:42], -v[53:54]
	s_waitcnt vmcnt(12)
	v_add_f64 v[1:2], v[43:44], -v[1:2]
	buffer_store_dword v3, off, s[0:3], 0 offset:640
	buffer_store_dword v4, off, s[0:3], 0 offset:644
	buffer_store_dword v1, off, s[0:3], 0 offset:648
	buffer_store_dword v2, off, s[0:3], 0 offset:652
	ds_read2_b64 v[1:4], v121 offset0:82 offset1:83
	s_waitcnt lgkmcnt(0)
	v_mul_f64 v[41:42], v[3:4], v[39:40]
	v_fma_f64 v[41:42], v[1:2], v[37:38], -v[41:42]
	v_mul_f64 v[1:2], v[1:2], v[39:40]
	v_fma_f64 v[1:2], v[3:4], v[37:38], v[1:2]
	s_waitcnt vmcnt(14)
	v_add_f64 v[3:4], v[45:46], -v[41:42]
	s_waitcnt vmcnt(12)
	v_add_f64 v[1:2], v[47:48], -v[1:2]
	;; [unrolled: 14-line block ×3, first 2 shown]
	buffer_store_dword v4, off, s[0:3], 0 offset:676
	buffer_store_dword v3, off, s[0:3], 0 offset:672
	buffer_store_dword v1, off, s[0:3], 0 offset:680
	buffer_store_dword v2, off, s[0:3], 0 offset:684
	ds_read2_b64 v[1:4], v121 offset0:86 offset1:87
	s_waitcnt lgkmcnt(0)
	v_mul_f64 v[41:42], v[3:4], v[39:40]
	v_fma_f64 v[41:42], v[1:2], v[37:38], -v[41:42]
	v_mul_f64 v[1:2], v[1:2], v[39:40]
	v_fma_f64 v[1:2], v[3:4], v[37:38], v[1:2]
	buffer_load_dword v3, off, s[0:3], 0 offset:688
	buffer_load_dword v4, off, s[0:3], 0 offset:692
	buffer_load_dword v43, off, s[0:3], 0 offset:696
	buffer_load_dword v44, off, s[0:3], 0 offset:700
	s_waitcnt vmcnt(2)
	v_add_f64 v[3:4], v[3:4], -v[41:42]
	s_waitcnt vmcnt(0)
	v_add_f64 v[1:2], v[43:44], -v[1:2]
	buffer_store_dword v4, off, s[0:3], 0 offset:692
	buffer_store_dword v3, off, s[0:3], 0 offset:688
	buffer_store_dword v2, off, s[0:3], 0 offset:700
	buffer_store_dword v1, off, s[0:3], 0 offset:696
	ds_read2_b64 v[1:4], v121 offset0:88 offset1:89
	s_waitcnt lgkmcnt(0)
	v_mul_f64 v[41:42], v[3:4], v[39:40]
	v_fma_f64 v[41:42], v[1:2], v[37:38], -v[41:42]
	v_mul_f64 v[1:2], v[1:2], v[39:40]
	v_fma_f64 v[1:2], v[3:4], v[37:38], v[1:2]
	buffer_load_dword v3, off, s[0:3], 0 offset:704
	buffer_load_dword v4, off, s[0:3], 0 offset:708
	buffer_load_dword v43, off, s[0:3], 0 offset:712
	buffer_load_dword v44, off, s[0:3], 0 offset:716
	s_waitcnt vmcnt(2)
	v_add_f64 v[3:4], v[3:4], -v[41:42]
	s_waitcnt vmcnt(0)
	v_add_f64 v[1:2], v[43:44], -v[1:2]
	buffer_store_dword v4, off, s[0:3], 0 offset:708
	buffer_store_dword v3, off, s[0:3], 0 offset:704
	buffer_store_dword v2, off, s[0:3], 0 offset:716
	buffer_store_dword v1, off, s[0:3], 0 offset:712
	ds_read2_b64 v[1:4], v121 offset0:90 offset1:91
	s_waitcnt lgkmcnt(0)
	v_mul_f64 v[41:42], v[3:4], v[39:40]
	v_fma_f64 v[41:42], v[1:2], v[37:38], -v[41:42]
	v_mul_f64 v[1:2], v[1:2], v[39:40]
	v_fma_f64 v[1:2], v[3:4], v[37:38], v[1:2]
	buffer_load_dword v3, off, s[0:3], 0 offset:720
	buffer_load_dword v4, off, s[0:3], 0 offset:724
	buffer_load_dword v37, off, s[0:3], 0 offset:728
	buffer_load_dword v38, off, s[0:3], 0 offset:732
	s_waitcnt vmcnt(2)
	v_add_f64 v[3:4], v[3:4], -v[41:42]
	s_waitcnt vmcnt(0)
	v_add_f64 v[1:2], v[37:38], -v[1:2]
	buffer_store_dword v4, off, s[0:3], 0 offset:724
	buffer_store_dword v3, off, s[0:3], 0 offset:720
	;; [unrolled: 1-line block ×4, first 2 shown]
	ds_read2_b64 v[1:4], v121 offset0:92 offset1:93
	buffer_load_dword v37, off, s[0:3], 0 offset:624
	buffer_load_dword v38, off, s[0:3], 0 offset:628
	;; [unrolled: 1-line block ×4, first 2 shown]
	s_waitcnt vmcnt(0) lgkmcnt(0)
	v_mul_f64 v[41:42], v[3:4], v[39:40]
	v_fma_f64 v[41:42], v[1:2], v[37:38], -v[41:42]
	v_mul_f64 v[1:2], v[1:2], v[39:40]
	v_fma_f64 v[1:2], v[3:4], v[37:38], v[1:2]
	buffer_load_dword v4, off, s[0:3], 0 offset:740
	buffer_load_dword v3, off, s[0:3], 0 offset:736
	s_waitcnt vmcnt(0)
	v_add_f64 v[3:4], v[3:4], -v[41:42]
	buffer_load_dword v42, off, s[0:3], 0 offset:748
	buffer_load_dword v41, off, s[0:3], 0 offset:744
	s_waitcnt vmcnt(0)
	v_add_f64 v[1:2], v[41:42], -v[1:2]
	buffer_store_dword v4, off, s[0:3], 0 offset:740
	buffer_store_dword v3, off, s[0:3], 0 offset:736
	buffer_store_dword v2, off, s[0:3], 0 offset:748
	buffer_store_dword v1, off, s[0:3], 0 offset:744
	ds_read2_b64 v[1:4], v121 offset0:94 offset1:95
	s_waitcnt lgkmcnt(0)
	v_mul_f64 v[41:42], v[3:4], v[39:40]
	v_fma_f64 v[41:42], v[1:2], v[37:38], -v[41:42]
	v_mul_f64 v[1:2], v[1:2], v[39:40]
	v_fma_f64 v[1:2], v[3:4], v[37:38], v[1:2]
	buffer_load_dword v3, off, s[0:3], 0 offset:752
	buffer_load_dword v4, off, s[0:3], 0 offset:756
	buffer_load_dword v43, off, s[0:3], 0 offset:760
	buffer_load_dword v44, off, s[0:3], 0 offset:764
	s_waitcnt vmcnt(2)
	v_add_f64 v[3:4], v[3:4], -v[41:42]
	s_waitcnt vmcnt(0)
	v_add_f64 v[1:2], v[43:44], -v[1:2]
	buffer_store_dword v4, off, s[0:3], 0 offset:756
	buffer_store_dword v3, off, s[0:3], 0 offset:752
	buffer_store_dword v2, off, s[0:3], 0 offset:764
	buffer_store_dword v1, off, s[0:3], 0 offset:760
	ds_read2_b64 v[1:4], v121 offset0:96 offset1:97
	s_waitcnt lgkmcnt(0)
	v_mul_f64 v[41:42], v[3:4], v[39:40]
	v_fma_f64 v[41:42], v[1:2], v[37:38], -v[41:42]
	v_mul_f64 v[1:2], v[1:2], v[39:40]
	v_fma_f64 v[1:2], v[3:4], v[37:38], v[1:2]
	buffer_load_dword v3, off, s[0:3], 0 offset:768
	buffer_load_dword v4, off, s[0:3], 0 offset:772
	buffer_load_dword v43, off, s[0:3], 0 offset:776
	buffer_load_dword v44, off, s[0:3], 0 offset:780
	s_waitcnt vmcnt(2)
	v_add_f64 v[3:4], v[3:4], -v[41:42]
	;; [unrolled: 18-line block ×5, first 2 shown]
	s_waitcnt vmcnt(0)
	v_add_f64 v[1:2], v[37:38], -v[1:2]
	buffer_store_dword v4, off, s[0:3], 0 offset:820
	buffer_store_dword v3, off, s[0:3], 0 offset:816
	;; [unrolled: 1-line block ×4, first 2 shown]
	ds_read2_b64 v[1:4], v121 offset0:104 offset1:105
	buffer_load_dword v37, off, s[0:3], 0 offset:624
	buffer_load_dword v38, off, s[0:3], 0 offset:628
	;; [unrolled: 1-line block ×4, first 2 shown]
	s_waitcnt vmcnt(0) lgkmcnt(0)
	v_mul_f64 v[41:42], v[3:4], v[39:40]
	v_fma_f64 v[41:42], v[1:2], v[37:38], -v[41:42]
	v_mul_f64 v[1:2], v[1:2], v[39:40]
	v_fma_f64 v[1:2], v[3:4], v[37:38], v[1:2]
	buffer_load_dword v4, off, s[0:3], 0 offset:836
	buffer_load_dword v3, off, s[0:3], 0 offset:832
	s_waitcnt vmcnt(0)
	v_add_f64 v[3:4], v[3:4], -v[41:42]
	buffer_load_dword v42, off, s[0:3], 0 offset:844
	buffer_load_dword v41, off, s[0:3], 0 offset:840
	s_waitcnt vmcnt(0)
	v_add_f64 v[1:2], v[41:42], -v[1:2]
	buffer_store_dword v4, off, s[0:3], 0 offset:836
	buffer_store_dword v3, off, s[0:3], 0 offset:832
	buffer_store_dword v2, off, s[0:3], 0 offset:844
	buffer_store_dword v1, off, s[0:3], 0 offset:840
	ds_read2_b64 v[1:4], v121 offset0:106 offset1:107
	s_waitcnt lgkmcnt(0)
	v_mul_f64 v[41:42], v[3:4], v[39:40]
	v_fma_f64 v[41:42], v[1:2], v[37:38], -v[41:42]
	v_mul_f64 v[1:2], v[1:2], v[39:40]
	v_fma_f64 v[1:2], v[3:4], v[37:38], v[1:2]
	buffer_load_dword v3, off, s[0:3], 0 offset:848
	buffer_load_dword v4, off, s[0:3], 0 offset:852
	buffer_load_dword v43, off, s[0:3], 0 offset:856
	buffer_load_dword v44, off, s[0:3], 0 offset:860
	s_waitcnt vmcnt(2)
	v_add_f64 v[3:4], v[3:4], -v[41:42]
	s_waitcnt vmcnt(0)
	v_add_f64 v[1:2], v[43:44], -v[1:2]
	buffer_store_dword v4, off, s[0:3], 0 offset:852
	buffer_store_dword v3, off, s[0:3], 0 offset:848
	buffer_store_dword v2, off, s[0:3], 0 offset:860
	buffer_store_dword v1, off, s[0:3], 0 offset:856
	ds_read2_b64 v[1:4], v121 offset0:108 offset1:109
	s_waitcnt lgkmcnt(0)
	v_mul_f64 v[41:42], v[3:4], v[39:40]
	v_fma_f64 v[41:42], v[1:2], v[37:38], -v[41:42]
	v_mul_f64 v[1:2], v[1:2], v[39:40]
	v_fma_f64 v[1:2], v[3:4], v[37:38], v[1:2]
	buffer_load_dword v3, off, s[0:3], 0 offset:864
	buffer_load_dword v4, off, s[0:3], 0 offset:868
	buffer_load_dword v43, off, s[0:3], 0 offset:872
	buffer_load_dword v44, off, s[0:3], 0 offset:876
	s_waitcnt vmcnt(2)
	v_add_f64 v[3:4], v[3:4], -v[41:42]
	;; [unrolled: 18-line block ×5, first 2 shown]
	s_waitcnt vmcnt(0)
	v_add_f64 v[1:2], v[37:38], -v[1:2]
	buffer_store_dword v4, off, s[0:3], 0 offset:916
	buffer_store_dword v3, off, s[0:3], 0 offset:912
	;; [unrolled: 1-line block ×4, first 2 shown]
	ds_read2_b64 v[37:40], v121 offset0:116 offset1:117
	buffer_load_dword v41, off, s[0:3], 0 offset:624
	buffer_load_dword v42, off, s[0:3], 0 offset:628
	;; [unrolled: 1-line block ×4, first 2 shown]
	s_waitcnt vmcnt(0) lgkmcnt(0)
	v_mul_f64 v[1:2], v[39:40], v[43:44]
	v_fma_f64 v[45:46], v[37:38], v[41:42], -v[1:2]
	v_mul_f64 v[1:2], v[37:38], v[43:44]
	v_fma_f64 v[37:38], v[39:40], v[41:42], v[1:2]
	buffer_load_dword v2, off, s[0:3], 0 offset:932
	buffer_load_dword v1, off, s[0:3], 0 offset:928
	buffer_load_dword v4, off, s[0:3], 0 offset:940
	buffer_load_dword v3, off, s[0:3], 0 offset:936
	s_waitcnt vmcnt(2)
	v_add_f64 v[1:2], v[1:2], -v[45:46]
	s_waitcnt vmcnt(0)
	v_add_f64 v[3:4], v[3:4], -v[37:38]
	buffer_store_dword v2, off, s[0:3], 0 offset:932
	buffer_store_dword v1, off, s[0:3], 0 offset:928
	buffer_store_dword v4, off, s[0:3], 0 offset:940
	buffer_store_dword v3, off, s[0:3], 0 offset:936
	ds_read2_b64 v[1:4], v121 offset0:118 offset1:119
	s_waitcnt lgkmcnt(0)
	v_mul_f64 v[37:38], v[3:4], v[43:44]
	v_fma_f64 v[37:38], v[1:2], v[41:42], -v[37:38]
	v_mul_f64 v[1:2], v[1:2], v[43:44]
	v_fma_f64 v[1:2], v[3:4], v[41:42], v[1:2]
	buffer_load_dword v3, off, s[0:3], 0 offset:944
	buffer_load_dword v4, off, s[0:3], 0 offset:948
	buffer_load_dword v39, off, s[0:3], 0 offset:952
	buffer_load_dword v40, off, s[0:3], 0 offset:956
	s_waitcnt vmcnt(2)
	v_add_f64 v[3:4], v[3:4], -v[37:38]
	s_waitcnt vmcnt(0)
	v_add_f64 v[1:2], v[39:40], -v[1:2]
	buffer_store_dword v4, off, s[0:3], 0 offset:948
	buffer_store_dword v3, off, s[0:3], 0 offset:944
	buffer_store_dword v2, off, s[0:3], 0 offset:956
	buffer_store_dword v1, off, s[0:3], 0 offset:952
	ds_read2_b64 v[1:4], v121 offset0:120 offset1:121
	s_waitcnt lgkmcnt(0)
	;; [unrolled: 18-line block ×3, first 2 shown]
	v_mul_f64 v[37:38], v[3:4], v[43:44]
	v_fma_f64 v[39:40], v[1:2], v[41:42], -v[37:38]
	v_mul_f64 v[1:2], v[1:2], v[43:44]
	v_fma_f64 v[37:38], v[3:4], v[41:42], v[1:2]
	buffer_load_dword v1, off, s[0:3], 0 offset:976
	buffer_load_dword v2, off, s[0:3], 0 offset:980
	;; [unrolled: 1-line block ×4, first 2 shown]
	s_waitcnt vmcnt(2)
	v_add_f64 v[1:2], v[1:2], -v[39:40]
	s_waitcnt vmcnt(0)
	v_add_f64 v[3:4], v[3:4], -v[37:38]
	buffer_store_dword v2, off, s[0:3], 0 offset:980
	buffer_store_dword v1, off, s[0:3], 0 offset:976
	;; [unrolled: 1-line block ×4, first 2 shown]
.LBB123_473:
	s_or_b64 exec, exec, s[6:7]
	v_cmp_eq_u32_e32 vcc, 40, v0
	s_waitcnt vmcnt(0) lgkmcnt(0)
	s_barrier
	s_and_saveexec_b64 s[8:9], vcc
	s_cbranch_execz .LBB123_480
; %bb.474:
	v_readlane_b32 s6, v126, 13
	v_mov_b32_e32 v4, s6
	buffer_load_dword v1, v4, s[0:3], 0 offen
	buffer_load_dword v2, v4, s[0:3], 0 offen offset:4
	buffer_load_dword v3, v4, s[0:3], 0 offen offset:8
	s_nop 0
	buffer_load_dword v4, v4, s[0:3], 0 offen offset:12
	v_readlane_b32 s6, v126, 14
	s_waitcnt vmcnt(0)
	ds_write2_b64 v125, v[1:2], v[3:4] offset1:1
	v_mov_b32_e32 v4, s34
	buffer_load_dword v1, v4, s[0:3], 0 offen
	buffer_load_dword v2, v4, s[0:3], 0 offen offset:4
	buffer_load_dword v3, v4, s[0:3], 0 offen offset:8
	s_nop 0
	buffer_load_dword v4, v4, s[0:3], 0 offen offset:12
	s_waitcnt vmcnt(0)
	ds_write2_b64 v121, v[1:2], v[3:4] offset0:82 offset1:83
	v_mov_b32_e32 v4, s6
	buffer_load_dword v1, v4, s[0:3], 0 offen
	buffer_load_dword v2, v4, s[0:3], 0 offen offset:4
	buffer_load_dword v3, v4, s[0:3], 0 offen offset:8
	s_nop 0
	buffer_load_dword v4, v4, s[0:3], 0 offen offset:12
	v_readlane_b32 s6, v126, 15
	s_waitcnt vmcnt(0)
	ds_write2_b64 v121, v[1:2], v[3:4] offset0:84 offset1:85
	v_mov_b32_e32 v4, s30
	buffer_load_dword v1, v4, s[0:3], 0 offen
	buffer_load_dword v2, v4, s[0:3], 0 offen offset:4
	buffer_load_dword v3, v4, s[0:3], 0 offen offset:8
	s_nop 0
	buffer_load_dword v4, v4, s[0:3], 0 offen offset:12
	s_waitcnt vmcnt(0)
	ds_write2_b64 v121, v[1:2], v[3:4] offset0:86 offset1:87
	v_mov_b32_e32 v4, s6
	buffer_load_dword v1, v4, s[0:3], 0 offen
	buffer_load_dword v2, v4, s[0:3], 0 offen offset:4
	buffer_load_dword v3, v4, s[0:3], 0 offen offset:8
	s_nop 0
	buffer_load_dword v4, v4, s[0:3], 0 offen offset:12
	v_readlane_b32 s6, v126, 16
	s_waitcnt vmcnt(0)
	ds_write2_b64 v121, v[1:2], v[3:4] offset0:88 offset1:89
	;; [unrolled: 17-line block ×9, first 2 shown]
	v_mov_b32_e32 v4, s14
	buffer_load_dword v1, v4, s[0:3], 0 offen
	buffer_load_dword v2, v4, s[0:3], 0 offen offset:4
	buffer_load_dword v3, v4, s[0:3], 0 offen offset:8
	s_nop 0
	buffer_load_dword v4, v4, s[0:3], 0 offen offset:12
	s_waitcnt vmcnt(0)
	ds_write2_b64 v121, v[1:2], v[3:4] offset0:118 offset1:119
	v_mov_b32_e32 v4, s42
	buffer_load_dword v1, v4, s[0:3], 0 offen
	buffer_load_dword v2, v4, s[0:3], 0 offen offset:4
	buffer_load_dword v3, v4, s[0:3], 0 offen offset:8
	s_nop 0
	buffer_load_dword v4, v4, s[0:3], 0 offen offset:12
	s_waitcnt vmcnt(0)
	ds_write2_b64 v121, v[1:2], v[3:4] offset0:120 offset1:121
	;; [unrolled: 8-line block ×3, first 2 shown]
	ds_read2_b64 v[37:40], v125 offset1:1
	s_waitcnt lgkmcnt(0)
	v_cmp_neq_f64_e32 vcc, 0, v[37:38]
	v_cmp_neq_f64_e64 s[6:7], 0, v[39:40]
	s_or_b64 s[6:7], vcc, s[6:7]
	s_and_b64 exec, exec, s[6:7]
	s_cbranch_execz .LBB123_480
; %bb.475:
	v_cmp_ngt_f64_e64 s[6:7], |v[37:38]|, |v[39:40]|
                                        ; implicit-def: $vgpr1_vgpr2
	s_and_saveexec_b64 s[10:11], s[6:7]
	s_xor_b64 s[6:7], exec, s[10:11]
                                        ; implicit-def: $vgpr3_vgpr4
	s_cbranch_execz .LBB123_477
; %bb.476:
	v_div_scale_f64 v[1:2], s[10:11], v[39:40], v[39:40], v[37:38]
	v_rcp_f64_e32 v[3:4], v[1:2]
	v_fma_f64 v[41:42], -v[1:2], v[3:4], 1.0
	v_fma_f64 v[3:4], v[3:4], v[41:42], v[3:4]
	v_div_scale_f64 v[41:42], vcc, v[37:38], v[39:40], v[37:38]
	v_fma_f64 v[43:44], -v[1:2], v[3:4], 1.0
	v_fma_f64 v[3:4], v[3:4], v[43:44], v[3:4]
	v_mul_f64 v[43:44], v[41:42], v[3:4]
	v_fma_f64 v[1:2], -v[1:2], v[43:44], v[41:42]
	v_div_fmas_f64 v[1:2], v[1:2], v[3:4], v[43:44]
	v_div_fixup_f64 v[1:2], v[1:2], v[39:40], v[37:38]
	v_fma_f64 v[3:4], v[37:38], v[1:2], v[39:40]
	v_div_scale_f64 v[37:38], s[10:11], v[3:4], v[3:4], 1.0
	v_div_scale_f64 v[43:44], vcc, 1.0, v[3:4], 1.0
	v_rcp_f64_e32 v[39:40], v[37:38]
	v_fma_f64 v[41:42], -v[37:38], v[39:40], 1.0
	v_fma_f64 v[39:40], v[39:40], v[41:42], v[39:40]
	v_fma_f64 v[41:42], -v[37:38], v[39:40], 1.0
	v_fma_f64 v[39:40], v[39:40], v[41:42], v[39:40]
	v_mul_f64 v[41:42], v[43:44], v[39:40]
	v_fma_f64 v[37:38], -v[37:38], v[41:42], v[43:44]
	v_div_fmas_f64 v[37:38], v[37:38], v[39:40], v[41:42]
	v_div_fixup_f64 v[3:4], v[37:38], v[3:4], 1.0
                                        ; implicit-def: $vgpr37_vgpr38
	v_mul_f64 v[1:2], v[1:2], v[3:4]
	v_xor_b32_e32 v4, 0x80000000, v4
.LBB123_477:
	s_andn2_saveexec_b64 s[6:7], s[6:7]
	s_cbranch_execz .LBB123_479
; %bb.478:
	v_div_scale_f64 v[1:2], s[10:11], v[37:38], v[37:38], v[39:40]
	v_rcp_f64_e32 v[3:4], v[1:2]
	v_fma_f64 v[41:42], -v[1:2], v[3:4], 1.0
	v_fma_f64 v[3:4], v[3:4], v[41:42], v[3:4]
	v_div_scale_f64 v[41:42], vcc, v[39:40], v[37:38], v[39:40]
	v_fma_f64 v[43:44], -v[1:2], v[3:4], 1.0
	v_fma_f64 v[3:4], v[3:4], v[43:44], v[3:4]
	v_mul_f64 v[43:44], v[41:42], v[3:4]
	v_fma_f64 v[1:2], -v[1:2], v[43:44], v[41:42]
	v_div_fmas_f64 v[1:2], v[1:2], v[3:4], v[43:44]
	v_div_fixup_f64 v[3:4], v[1:2], v[37:38], v[39:40]
	v_fma_f64 v[1:2], v[39:40], v[3:4], v[37:38]
	v_div_scale_f64 v[37:38], s[10:11], v[1:2], v[1:2], 1.0
	v_div_scale_f64 v[43:44], vcc, 1.0, v[1:2], 1.0
	v_rcp_f64_e32 v[39:40], v[37:38]
	v_fma_f64 v[41:42], -v[37:38], v[39:40], 1.0
	v_fma_f64 v[39:40], v[39:40], v[41:42], v[39:40]
	v_fma_f64 v[41:42], -v[37:38], v[39:40], 1.0
	v_fma_f64 v[39:40], v[39:40], v[41:42], v[39:40]
	v_mul_f64 v[41:42], v[43:44], v[39:40]
	v_fma_f64 v[37:38], -v[37:38], v[41:42], v[43:44]
	v_div_fmas_f64 v[37:38], v[37:38], v[39:40], v[41:42]
	v_div_fixup_f64 v[1:2], v[37:38], v[1:2], 1.0
	v_mul_f64 v[3:4], v[3:4], -v[1:2]
.LBB123_479:
	s_or_b64 exec, exec, s[6:7]
	ds_write2_b64 v125, v[1:2], v[3:4] offset1:1
.LBB123_480:
	s_or_b64 exec, exec, s[8:9]
	s_waitcnt lgkmcnt(0)
	s_barrier
	ds_read2_b64 v[37:40], v125 offset1:1
	v_cmp_lt_u32_e32 vcc, 40, v0
	s_and_saveexec_b64 s[6:7], vcc
	s_cbranch_execz .LBB123_482
; %bb.481:
	buffer_load_dword v1, off, s[0:3], 0 offset:640
	buffer_load_dword v2, off, s[0:3], 0 offset:644
	;; [unrolled: 1-line block ×16, first 2 shown]
	s_waitcnt vmcnt(12) lgkmcnt(0)
	v_mul_f64 v[41:42], v[39:40], v[3:4]
	v_mul_f64 v[3:4], v[37:38], v[3:4]
	v_fma_f64 v[41:42], v[37:38], v[1:2], -v[41:42]
	v_fma_f64 v[43:44], v[39:40], v[1:2], v[3:4]
	buffer_store_dword v41, off, s[0:3], 0 offset:640
	buffer_store_dword v42, off, s[0:3], 0 offset:644
	buffer_store_dword v43, off, s[0:3], 0 offset:648
	buffer_store_dword v44, off, s[0:3], 0 offset:652
	ds_read2_b64 v[1:4], v121 offset0:82 offset1:83
	s_waitcnt lgkmcnt(0)
	v_mul_f64 v[57:58], v[3:4], v[43:44]
	v_fma_f64 v[57:58], v[1:2], v[41:42], -v[57:58]
	v_mul_f64 v[1:2], v[1:2], v[43:44]
	v_fma_f64 v[1:2], v[3:4], v[41:42], v[1:2]
	s_waitcnt vmcnt(14)
	v_add_f64 v[3:4], v[45:46], -v[57:58]
	s_waitcnt vmcnt(12)
	v_add_f64 v[1:2], v[47:48], -v[1:2]
	buffer_store_dword v3, off, s[0:3], 0 offset:656
	buffer_store_dword v4, off, s[0:3], 0 offset:660
	buffer_store_dword v1, off, s[0:3], 0 offset:664
	buffer_store_dword v2, off, s[0:3], 0 offset:668
	ds_read2_b64 v[1:4], v121 offset0:84 offset1:85
	s_waitcnt lgkmcnt(0)
	v_mul_f64 v[45:46], v[3:4], v[43:44]
	v_fma_f64 v[45:46], v[1:2], v[41:42], -v[45:46]
	v_mul_f64 v[1:2], v[1:2], v[43:44]
	v_fma_f64 v[1:2], v[3:4], v[41:42], v[1:2]
	s_waitcnt vmcnt(14)
	v_add_f64 v[3:4], v[49:50], -v[45:46]
	s_waitcnt vmcnt(12)
	v_add_f64 v[1:2], v[51:52], -v[1:2]
	;; [unrolled: 14-line block ×3, first 2 shown]
	buffer_store_dword v4, off, s[0:3], 0 offset:692
	buffer_store_dword v3, off, s[0:3], 0 offset:688
	buffer_store_dword v1, off, s[0:3], 0 offset:696
	buffer_store_dword v2, off, s[0:3], 0 offset:700
	ds_read2_b64 v[1:4], v121 offset0:88 offset1:89
	s_waitcnt lgkmcnt(0)
	v_mul_f64 v[45:46], v[3:4], v[43:44]
	v_fma_f64 v[45:46], v[1:2], v[41:42], -v[45:46]
	v_mul_f64 v[1:2], v[1:2], v[43:44]
	v_fma_f64 v[1:2], v[3:4], v[41:42], v[1:2]
	buffer_load_dword v3, off, s[0:3], 0 offset:704
	buffer_load_dword v4, off, s[0:3], 0 offset:708
	buffer_load_dword v47, off, s[0:3], 0 offset:712
	buffer_load_dword v48, off, s[0:3], 0 offset:716
	s_waitcnt vmcnt(2)
	v_add_f64 v[3:4], v[3:4], -v[45:46]
	s_waitcnt vmcnt(0)
	v_add_f64 v[1:2], v[47:48], -v[1:2]
	buffer_store_dword v4, off, s[0:3], 0 offset:708
	buffer_store_dword v3, off, s[0:3], 0 offset:704
	buffer_store_dword v2, off, s[0:3], 0 offset:716
	buffer_store_dword v1, off, s[0:3], 0 offset:712
	ds_read2_b64 v[1:4], v121 offset0:90 offset1:91
	s_waitcnt lgkmcnt(0)
	v_mul_f64 v[45:46], v[3:4], v[43:44]
	v_fma_f64 v[45:46], v[1:2], v[41:42], -v[45:46]
	v_mul_f64 v[1:2], v[1:2], v[43:44]
	v_fma_f64 v[1:2], v[3:4], v[41:42], v[1:2]
	buffer_load_dword v3, off, s[0:3], 0 offset:720
	buffer_load_dword v4, off, s[0:3], 0 offset:724
	buffer_load_dword v47, off, s[0:3], 0 offset:728
	buffer_load_dword v48, off, s[0:3], 0 offset:732
	s_waitcnt vmcnt(2)
	v_add_f64 v[3:4], v[3:4], -v[45:46]
	s_waitcnt vmcnt(0)
	v_add_f64 v[1:2], v[47:48], -v[1:2]
	;; [unrolled: 18-line block ×3, first 2 shown]
	buffer_store_dword v4, off, s[0:3], 0 offset:740
	buffer_store_dword v3, off, s[0:3], 0 offset:736
	;; [unrolled: 1-line block ×4, first 2 shown]
	ds_read2_b64 v[1:4], v121 offset0:94 offset1:95
	buffer_load_dword v41, off, s[0:3], 0 offset:640
	buffer_load_dword v42, off, s[0:3], 0 offset:644
	;; [unrolled: 1-line block ×4, first 2 shown]
	s_waitcnt vmcnt(0) lgkmcnt(0)
	v_mul_f64 v[45:46], v[3:4], v[43:44]
	v_fma_f64 v[45:46], v[1:2], v[41:42], -v[45:46]
	v_mul_f64 v[1:2], v[1:2], v[43:44]
	v_fma_f64 v[1:2], v[3:4], v[41:42], v[1:2]
	buffer_load_dword v4, off, s[0:3], 0 offset:756
	buffer_load_dword v3, off, s[0:3], 0 offset:752
	s_waitcnt vmcnt(0)
	v_add_f64 v[3:4], v[3:4], -v[45:46]
	buffer_load_dword v46, off, s[0:3], 0 offset:764
	buffer_load_dword v45, off, s[0:3], 0 offset:760
	s_waitcnt vmcnt(0)
	v_add_f64 v[1:2], v[45:46], -v[1:2]
	buffer_store_dword v4, off, s[0:3], 0 offset:756
	buffer_store_dword v3, off, s[0:3], 0 offset:752
	buffer_store_dword v2, off, s[0:3], 0 offset:764
	buffer_store_dword v1, off, s[0:3], 0 offset:760
	ds_read2_b64 v[1:4], v121 offset0:96 offset1:97
	s_waitcnt lgkmcnt(0)
	v_mul_f64 v[45:46], v[3:4], v[43:44]
	v_fma_f64 v[45:46], v[1:2], v[41:42], -v[45:46]
	v_mul_f64 v[1:2], v[1:2], v[43:44]
	v_fma_f64 v[1:2], v[3:4], v[41:42], v[1:2]
	buffer_load_dword v3, off, s[0:3], 0 offset:768
	buffer_load_dword v4, off, s[0:3], 0 offset:772
	buffer_load_dword v47, off, s[0:3], 0 offset:776
	buffer_load_dword v48, off, s[0:3], 0 offset:780
	s_waitcnt vmcnt(2)
	v_add_f64 v[3:4], v[3:4], -v[45:46]
	s_waitcnt vmcnt(0)
	v_add_f64 v[1:2], v[47:48], -v[1:2]
	buffer_store_dword v4, off, s[0:3], 0 offset:772
	buffer_store_dword v3, off, s[0:3], 0 offset:768
	buffer_store_dword v2, off, s[0:3], 0 offset:780
	buffer_store_dword v1, off, s[0:3], 0 offset:776
	ds_read2_b64 v[1:4], v121 offset0:98 offset1:99
	s_waitcnt lgkmcnt(0)
	v_mul_f64 v[45:46], v[3:4], v[43:44]
	v_fma_f64 v[45:46], v[1:2], v[41:42], -v[45:46]
	v_mul_f64 v[1:2], v[1:2], v[43:44]
	v_fma_f64 v[1:2], v[3:4], v[41:42], v[1:2]
	buffer_load_dword v3, off, s[0:3], 0 offset:784
	buffer_load_dword v4, off, s[0:3], 0 offset:788
	buffer_load_dword v47, off, s[0:3], 0 offset:792
	buffer_load_dword v48, off, s[0:3], 0 offset:796
	s_waitcnt vmcnt(2)
	v_add_f64 v[3:4], v[3:4], -v[45:46]
	;; [unrolled: 18-line block ×5, first 2 shown]
	s_waitcnt vmcnt(0)
	v_add_f64 v[1:2], v[41:42], -v[1:2]
	buffer_store_dword v4, off, s[0:3], 0 offset:836
	buffer_store_dword v3, off, s[0:3], 0 offset:832
	;; [unrolled: 1-line block ×4, first 2 shown]
	ds_read2_b64 v[1:4], v121 offset0:106 offset1:107
	buffer_load_dword v41, off, s[0:3], 0 offset:640
	buffer_load_dword v42, off, s[0:3], 0 offset:644
	;; [unrolled: 1-line block ×4, first 2 shown]
	s_waitcnt vmcnt(0) lgkmcnt(0)
	v_mul_f64 v[45:46], v[3:4], v[43:44]
	v_fma_f64 v[45:46], v[1:2], v[41:42], -v[45:46]
	v_mul_f64 v[1:2], v[1:2], v[43:44]
	v_fma_f64 v[1:2], v[3:4], v[41:42], v[1:2]
	buffer_load_dword v4, off, s[0:3], 0 offset:852
	buffer_load_dword v3, off, s[0:3], 0 offset:848
	s_waitcnt vmcnt(0)
	v_add_f64 v[3:4], v[3:4], -v[45:46]
	buffer_load_dword v46, off, s[0:3], 0 offset:860
	buffer_load_dword v45, off, s[0:3], 0 offset:856
	s_waitcnt vmcnt(0)
	v_add_f64 v[1:2], v[45:46], -v[1:2]
	buffer_store_dword v4, off, s[0:3], 0 offset:852
	buffer_store_dword v3, off, s[0:3], 0 offset:848
	buffer_store_dword v2, off, s[0:3], 0 offset:860
	buffer_store_dword v1, off, s[0:3], 0 offset:856
	ds_read2_b64 v[1:4], v121 offset0:108 offset1:109
	s_waitcnt lgkmcnt(0)
	v_mul_f64 v[45:46], v[3:4], v[43:44]
	v_fma_f64 v[45:46], v[1:2], v[41:42], -v[45:46]
	v_mul_f64 v[1:2], v[1:2], v[43:44]
	v_fma_f64 v[1:2], v[3:4], v[41:42], v[1:2]
	buffer_load_dword v3, off, s[0:3], 0 offset:864
	buffer_load_dword v4, off, s[0:3], 0 offset:868
	buffer_load_dword v47, off, s[0:3], 0 offset:872
	buffer_load_dword v48, off, s[0:3], 0 offset:876
	s_waitcnt vmcnt(2)
	v_add_f64 v[3:4], v[3:4], -v[45:46]
	s_waitcnt vmcnt(0)
	v_add_f64 v[1:2], v[47:48], -v[1:2]
	buffer_store_dword v4, off, s[0:3], 0 offset:868
	buffer_store_dword v3, off, s[0:3], 0 offset:864
	buffer_store_dword v2, off, s[0:3], 0 offset:876
	buffer_store_dword v1, off, s[0:3], 0 offset:872
	ds_read2_b64 v[1:4], v121 offset0:110 offset1:111
	s_waitcnt lgkmcnt(0)
	v_mul_f64 v[45:46], v[3:4], v[43:44]
	v_fma_f64 v[45:46], v[1:2], v[41:42], -v[45:46]
	v_mul_f64 v[1:2], v[1:2], v[43:44]
	v_fma_f64 v[1:2], v[3:4], v[41:42], v[1:2]
	buffer_load_dword v3, off, s[0:3], 0 offset:880
	buffer_load_dword v4, off, s[0:3], 0 offset:884
	buffer_load_dword v47, off, s[0:3], 0 offset:888
	buffer_load_dword v48, off, s[0:3], 0 offset:892
	s_waitcnt vmcnt(2)
	v_add_f64 v[3:4], v[3:4], -v[45:46]
	;; [unrolled: 18-line block ×5, first 2 shown]
	s_waitcnt vmcnt(0)
	v_add_f64 v[1:2], v[41:42], -v[1:2]
	buffer_store_dword v4, off, s[0:3], 0 offset:932
	buffer_store_dword v3, off, s[0:3], 0 offset:928
	;; [unrolled: 1-line block ×4, first 2 shown]
	ds_read2_b64 v[41:44], v121 offset0:118 offset1:119
	buffer_load_dword v45, off, s[0:3], 0 offset:640
	buffer_load_dword v46, off, s[0:3], 0 offset:644
	;; [unrolled: 1-line block ×4, first 2 shown]
	s_waitcnt vmcnt(0) lgkmcnt(0)
	v_mul_f64 v[1:2], v[43:44], v[47:48]
	v_fma_f64 v[49:50], v[41:42], v[45:46], -v[1:2]
	v_mul_f64 v[1:2], v[41:42], v[47:48]
	v_fma_f64 v[41:42], v[43:44], v[45:46], v[1:2]
	buffer_load_dword v2, off, s[0:3], 0 offset:948
	buffer_load_dword v1, off, s[0:3], 0 offset:944
	;; [unrolled: 1-line block ×4, first 2 shown]
	s_waitcnt vmcnt(2)
	v_add_f64 v[1:2], v[1:2], -v[49:50]
	s_waitcnt vmcnt(0)
	v_add_f64 v[3:4], v[3:4], -v[41:42]
	buffer_store_dword v2, off, s[0:3], 0 offset:948
	buffer_store_dword v1, off, s[0:3], 0 offset:944
	;; [unrolled: 1-line block ×4, first 2 shown]
	ds_read2_b64 v[1:4], v121 offset0:120 offset1:121
	s_waitcnt lgkmcnt(0)
	v_mul_f64 v[41:42], v[3:4], v[47:48]
	v_fma_f64 v[41:42], v[1:2], v[45:46], -v[41:42]
	v_mul_f64 v[1:2], v[1:2], v[47:48]
	v_fma_f64 v[1:2], v[3:4], v[45:46], v[1:2]
	buffer_load_dword v3, off, s[0:3], 0 offset:960
	buffer_load_dword v4, off, s[0:3], 0 offset:964
	;; [unrolled: 1-line block ×4, first 2 shown]
	s_waitcnt vmcnt(2)
	v_add_f64 v[3:4], v[3:4], -v[41:42]
	s_waitcnt vmcnt(0)
	v_add_f64 v[1:2], v[43:44], -v[1:2]
	buffer_store_dword v4, off, s[0:3], 0 offset:964
	buffer_store_dword v3, off, s[0:3], 0 offset:960
	;; [unrolled: 1-line block ×4, first 2 shown]
	ds_read2_b64 v[1:4], v121 offset0:122 offset1:123
	s_waitcnt lgkmcnt(0)
	v_mul_f64 v[41:42], v[3:4], v[47:48]
	v_fma_f64 v[43:44], v[1:2], v[45:46], -v[41:42]
	v_mul_f64 v[1:2], v[1:2], v[47:48]
	v_fma_f64 v[41:42], v[3:4], v[45:46], v[1:2]
	buffer_load_dword v1, off, s[0:3], 0 offset:976
	buffer_load_dword v2, off, s[0:3], 0 offset:980
	;; [unrolled: 1-line block ×4, first 2 shown]
	s_waitcnt vmcnt(2)
	v_add_f64 v[1:2], v[1:2], -v[43:44]
	s_waitcnt vmcnt(0)
	v_add_f64 v[3:4], v[3:4], -v[41:42]
	buffer_store_dword v2, off, s[0:3], 0 offset:980
	buffer_store_dword v1, off, s[0:3], 0 offset:976
	;; [unrolled: 1-line block ×4, first 2 shown]
.LBB123_482:
	s_or_b64 exec, exec, s[6:7]
	v_cmp_eq_u32_e32 vcc, 41, v0
	s_waitcnt vmcnt(0) lgkmcnt(0)
	s_barrier
	s_and_saveexec_b64 s[8:9], vcc
	s_cbranch_execz .LBB123_489
; %bb.483:
	v_mov_b32_e32 v4, s34
	buffer_load_dword v1, v4, s[0:3], 0 offen
	buffer_load_dword v2, v4, s[0:3], 0 offen offset:4
	buffer_load_dword v3, v4, s[0:3], 0 offen offset:8
	s_nop 0
	buffer_load_dword v4, v4, s[0:3], 0 offen offset:12
	v_readlane_b32 s6, v126, 14
	s_waitcnt vmcnt(0)
	ds_write2_b64 v125, v[1:2], v[3:4] offset1:1
	v_mov_b32_e32 v4, s6
	buffer_load_dword v1, v4, s[0:3], 0 offen
	buffer_load_dword v2, v4, s[0:3], 0 offen offset:4
	buffer_load_dword v3, v4, s[0:3], 0 offen offset:8
	s_nop 0
	buffer_load_dword v4, v4, s[0:3], 0 offen offset:12
	v_readlane_b32 s6, v126, 15
	s_waitcnt vmcnt(0)
	ds_write2_b64 v121, v[1:2], v[3:4] offset0:84 offset1:85
	v_mov_b32_e32 v4, s30
	buffer_load_dword v1, v4, s[0:3], 0 offen
	buffer_load_dword v2, v4, s[0:3], 0 offen offset:4
	buffer_load_dword v3, v4, s[0:3], 0 offen offset:8
	s_nop 0
	buffer_load_dword v4, v4, s[0:3], 0 offen offset:12
	s_waitcnt vmcnt(0)
	ds_write2_b64 v121, v[1:2], v[3:4] offset0:86 offset1:87
	v_mov_b32_e32 v4, s6
	buffer_load_dword v1, v4, s[0:3], 0 offen
	buffer_load_dword v2, v4, s[0:3], 0 offen offset:4
	buffer_load_dword v3, v4, s[0:3], 0 offen offset:8
	s_nop 0
	buffer_load_dword v4, v4, s[0:3], 0 offen offset:12
	v_readlane_b32 s6, v126, 16
	s_waitcnt vmcnt(0)
	ds_write2_b64 v121, v[1:2], v[3:4] offset0:88 offset1:89
	v_mov_b32_e32 v4, s28
	buffer_load_dword v1, v4, s[0:3], 0 offen
	buffer_load_dword v2, v4, s[0:3], 0 offen offset:4
	buffer_load_dword v3, v4, s[0:3], 0 offen offset:8
	s_nop 0
	buffer_load_dword v4, v4, s[0:3], 0 offen offset:12
	s_waitcnt vmcnt(0)
	ds_write2_b64 v121, v[1:2], v[3:4] offset0:90 offset1:91
	;; [unrolled: 17-line block ×9, first 2 shown]
	v_mov_b32_e32 v4, s42
	buffer_load_dword v1, v4, s[0:3], 0 offen
	buffer_load_dword v2, v4, s[0:3], 0 offen offset:4
	buffer_load_dword v3, v4, s[0:3], 0 offen offset:8
	s_nop 0
	buffer_load_dword v4, v4, s[0:3], 0 offen offset:12
	s_waitcnt vmcnt(0)
	ds_write2_b64 v121, v[1:2], v[3:4] offset0:120 offset1:121
	v_mov_b32_e32 v4, s6
	buffer_load_dword v1, v4, s[0:3], 0 offen
	buffer_load_dword v2, v4, s[0:3], 0 offen offset:4
	buffer_load_dword v3, v4, s[0:3], 0 offen offset:8
	s_nop 0
	buffer_load_dword v4, v4, s[0:3], 0 offen offset:12
	s_waitcnt vmcnt(0)
	ds_write2_b64 v121, v[1:2], v[3:4] offset0:122 offset1:123
	ds_read2_b64 v[41:44], v125 offset1:1
	s_waitcnt lgkmcnt(0)
	v_cmp_neq_f64_e32 vcc, 0, v[41:42]
	v_cmp_neq_f64_e64 s[6:7], 0, v[43:44]
	s_or_b64 s[6:7], vcc, s[6:7]
	s_and_b64 exec, exec, s[6:7]
	s_cbranch_execz .LBB123_489
; %bb.484:
	v_cmp_ngt_f64_e64 s[6:7], |v[41:42]|, |v[43:44]|
                                        ; implicit-def: $vgpr1_vgpr2
	s_and_saveexec_b64 s[10:11], s[6:7]
	s_xor_b64 s[6:7], exec, s[10:11]
                                        ; implicit-def: $vgpr3_vgpr4
	s_cbranch_execz .LBB123_486
; %bb.485:
	v_div_scale_f64 v[1:2], s[10:11], v[43:44], v[43:44], v[41:42]
	v_rcp_f64_e32 v[3:4], v[1:2]
	v_fma_f64 v[45:46], -v[1:2], v[3:4], 1.0
	v_fma_f64 v[3:4], v[3:4], v[45:46], v[3:4]
	v_div_scale_f64 v[45:46], vcc, v[41:42], v[43:44], v[41:42]
	v_fma_f64 v[47:48], -v[1:2], v[3:4], 1.0
	v_fma_f64 v[3:4], v[3:4], v[47:48], v[3:4]
	v_mul_f64 v[47:48], v[45:46], v[3:4]
	v_fma_f64 v[1:2], -v[1:2], v[47:48], v[45:46]
	v_div_fmas_f64 v[1:2], v[1:2], v[3:4], v[47:48]
	v_div_fixup_f64 v[1:2], v[1:2], v[43:44], v[41:42]
	v_fma_f64 v[3:4], v[41:42], v[1:2], v[43:44]
	v_div_scale_f64 v[41:42], s[10:11], v[3:4], v[3:4], 1.0
	v_div_scale_f64 v[47:48], vcc, 1.0, v[3:4], 1.0
	v_rcp_f64_e32 v[43:44], v[41:42]
	v_fma_f64 v[45:46], -v[41:42], v[43:44], 1.0
	v_fma_f64 v[43:44], v[43:44], v[45:46], v[43:44]
	v_fma_f64 v[45:46], -v[41:42], v[43:44], 1.0
	v_fma_f64 v[43:44], v[43:44], v[45:46], v[43:44]
	v_mul_f64 v[45:46], v[47:48], v[43:44]
	v_fma_f64 v[41:42], -v[41:42], v[45:46], v[47:48]
	v_div_fmas_f64 v[41:42], v[41:42], v[43:44], v[45:46]
	v_div_fixup_f64 v[3:4], v[41:42], v[3:4], 1.0
                                        ; implicit-def: $vgpr41_vgpr42
	v_mul_f64 v[1:2], v[1:2], v[3:4]
	v_xor_b32_e32 v4, 0x80000000, v4
.LBB123_486:
	s_andn2_saveexec_b64 s[6:7], s[6:7]
	s_cbranch_execz .LBB123_488
; %bb.487:
	v_div_scale_f64 v[1:2], s[10:11], v[41:42], v[41:42], v[43:44]
	v_rcp_f64_e32 v[3:4], v[1:2]
	v_fma_f64 v[45:46], -v[1:2], v[3:4], 1.0
	v_fma_f64 v[3:4], v[3:4], v[45:46], v[3:4]
	v_div_scale_f64 v[45:46], vcc, v[43:44], v[41:42], v[43:44]
	v_fma_f64 v[47:48], -v[1:2], v[3:4], 1.0
	v_fma_f64 v[3:4], v[3:4], v[47:48], v[3:4]
	v_mul_f64 v[47:48], v[45:46], v[3:4]
	v_fma_f64 v[1:2], -v[1:2], v[47:48], v[45:46]
	v_div_fmas_f64 v[1:2], v[1:2], v[3:4], v[47:48]
	v_div_fixup_f64 v[3:4], v[1:2], v[41:42], v[43:44]
	v_fma_f64 v[1:2], v[43:44], v[3:4], v[41:42]
	v_div_scale_f64 v[41:42], s[10:11], v[1:2], v[1:2], 1.0
	v_div_scale_f64 v[47:48], vcc, 1.0, v[1:2], 1.0
	v_rcp_f64_e32 v[43:44], v[41:42]
	v_fma_f64 v[45:46], -v[41:42], v[43:44], 1.0
	v_fma_f64 v[43:44], v[43:44], v[45:46], v[43:44]
	v_fma_f64 v[45:46], -v[41:42], v[43:44], 1.0
	v_fma_f64 v[43:44], v[43:44], v[45:46], v[43:44]
	v_mul_f64 v[45:46], v[47:48], v[43:44]
	v_fma_f64 v[41:42], -v[41:42], v[45:46], v[47:48]
	v_div_fmas_f64 v[41:42], v[41:42], v[43:44], v[45:46]
	v_div_fixup_f64 v[1:2], v[41:42], v[1:2], 1.0
	v_mul_f64 v[3:4], v[3:4], -v[1:2]
.LBB123_488:
	s_or_b64 exec, exec, s[6:7]
	ds_write2_b64 v125, v[1:2], v[3:4] offset1:1
.LBB123_489:
	s_or_b64 exec, exec, s[8:9]
	s_waitcnt lgkmcnt(0)
	s_barrier
	ds_read2_b64 v[41:44], v125 offset1:1
	v_cmp_lt_u32_e32 vcc, 41, v0
	s_and_saveexec_b64 s[6:7], vcc
	s_cbranch_execz .LBB123_491
; %bb.490:
	buffer_load_dword v1, off, s[0:3], 0 offset:656
	buffer_load_dword v2, off, s[0:3], 0 offset:660
	;; [unrolled: 1-line block ×16, first 2 shown]
	s_waitcnt vmcnt(12) lgkmcnt(0)
	v_mul_f64 v[45:46], v[43:44], v[3:4]
	v_mul_f64 v[3:4], v[41:42], v[3:4]
	v_fma_f64 v[45:46], v[41:42], v[1:2], -v[45:46]
	v_fma_f64 v[47:48], v[43:44], v[1:2], v[3:4]
	buffer_store_dword v45, off, s[0:3], 0 offset:656
	buffer_store_dword v46, off, s[0:3], 0 offset:660
	buffer_store_dword v47, off, s[0:3], 0 offset:664
	buffer_store_dword v48, off, s[0:3], 0 offset:668
	ds_read2_b64 v[1:4], v121 offset0:84 offset1:85
	s_waitcnt lgkmcnt(0)
	v_mul_f64 v[61:62], v[3:4], v[47:48]
	v_fma_f64 v[61:62], v[1:2], v[45:46], -v[61:62]
	v_mul_f64 v[1:2], v[1:2], v[47:48]
	v_fma_f64 v[1:2], v[3:4], v[45:46], v[1:2]
	s_waitcnt vmcnt(14)
	v_add_f64 v[3:4], v[49:50], -v[61:62]
	s_waitcnt vmcnt(12)
	v_add_f64 v[1:2], v[51:52], -v[1:2]
	buffer_store_dword v3, off, s[0:3], 0 offset:672
	buffer_store_dword v4, off, s[0:3], 0 offset:676
	buffer_store_dword v1, off, s[0:3], 0 offset:680
	buffer_store_dword v2, off, s[0:3], 0 offset:684
	ds_read2_b64 v[1:4], v121 offset0:86 offset1:87
	s_waitcnt lgkmcnt(0)
	v_mul_f64 v[49:50], v[3:4], v[47:48]
	v_fma_f64 v[49:50], v[1:2], v[45:46], -v[49:50]
	v_mul_f64 v[1:2], v[1:2], v[47:48]
	v_fma_f64 v[1:2], v[3:4], v[45:46], v[1:2]
	s_waitcnt vmcnt(14)
	v_add_f64 v[3:4], v[53:54], -v[49:50]
	s_waitcnt vmcnt(12)
	v_add_f64 v[1:2], v[55:56], -v[1:2]
	;; [unrolled: 14-line block ×3, first 2 shown]
	buffer_store_dword v4, off, s[0:3], 0 offset:708
	buffer_store_dword v3, off, s[0:3], 0 offset:704
	buffer_store_dword v1, off, s[0:3], 0 offset:712
	buffer_store_dword v2, off, s[0:3], 0 offset:716
	ds_read2_b64 v[1:4], v121 offset0:90 offset1:91
	s_waitcnt lgkmcnt(0)
	v_mul_f64 v[49:50], v[3:4], v[47:48]
	v_fma_f64 v[49:50], v[1:2], v[45:46], -v[49:50]
	v_mul_f64 v[1:2], v[1:2], v[47:48]
	v_fma_f64 v[1:2], v[3:4], v[45:46], v[1:2]
	buffer_load_dword v3, off, s[0:3], 0 offset:720
	buffer_load_dword v4, off, s[0:3], 0 offset:724
	buffer_load_dword v51, off, s[0:3], 0 offset:728
	buffer_load_dword v52, off, s[0:3], 0 offset:732
	s_waitcnt vmcnt(2)
	v_add_f64 v[3:4], v[3:4], -v[49:50]
	s_waitcnt vmcnt(0)
	v_add_f64 v[1:2], v[51:52], -v[1:2]
	buffer_store_dword v4, off, s[0:3], 0 offset:724
	buffer_store_dword v3, off, s[0:3], 0 offset:720
	buffer_store_dword v2, off, s[0:3], 0 offset:732
	buffer_store_dword v1, off, s[0:3], 0 offset:728
	ds_read2_b64 v[1:4], v121 offset0:92 offset1:93
	s_waitcnt lgkmcnt(0)
	v_mul_f64 v[49:50], v[3:4], v[47:48]
	v_fma_f64 v[49:50], v[1:2], v[45:46], -v[49:50]
	v_mul_f64 v[1:2], v[1:2], v[47:48]
	v_fma_f64 v[1:2], v[3:4], v[45:46], v[1:2]
	buffer_load_dword v3, off, s[0:3], 0 offset:736
	buffer_load_dword v4, off, s[0:3], 0 offset:740
	buffer_load_dword v51, off, s[0:3], 0 offset:744
	buffer_load_dword v52, off, s[0:3], 0 offset:748
	s_waitcnt vmcnt(2)
	v_add_f64 v[3:4], v[3:4], -v[49:50]
	s_waitcnt vmcnt(0)
	v_add_f64 v[1:2], v[51:52], -v[1:2]
	;; [unrolled: 18-line block ×3, first 2 shown]
	buffer_store_dword v4, off, s[0:3], 0 offset:756
	buffer_store_dword v3, off, s[0:3], 0 offset:752
	;; [unrolled: 1-line block ×4, first 2 shown]
	ds_read2_b64 v[1:4], v121 offset0:96 offset1:97
	buffer_load_dword v45, off, s[0:3], 0 offset:656
	buffer_load_dword v46, off, s[0:3], 0 offset:660
	;; [unrolled: 1-line block ×4, first 2 shown]
	s_waitcnt vmcnt(0) lgkmcnt(0)
	v_mul_f64 v[49:50], v[3:4], v[47:48]
	v_fma_f64 v[49:50], v[1:2], v[45:46], -v[49:50]
	v_mul_f64 v[1:2], v[1:2], v[47:48]
	v_fma_f64 v[1:2], v[3:4], v[45:46], v[1:2]
	buffer_load_dword v4, off, s[0:3], 0 offset:772
	buffer_load_dword v3, off, s[0:3], 0 offset:768
	s_waitcnt vmcnt(0)
	v_add_f64 v[3:4], v[3:4], -v[49:50]
	buffer_load_dword v50, off, s[0:3], 0 offset:780
	buffer_load_dword v49, off, s[0:3], 0 offset:776
	s_waitcnt vmcnt(0)
	v_add_f64 v[1:2], v[49:50], -v[1:2]
	buffer_store_dword v4, off, s[0:3], 0 offset:772
	buffer_store_dword v3, off, s[0:3], 0 offset:768
	buffer_store_dword v2, off, s[0:3], 0 offset:780
	buffer_store_dword v1, off, s[0:3], 0 offset:776
	ds_read2_b64 v[1:4], v121 offset0:98 offset1:99
	s_waitcnt lgkmcnt(0)
	v_mul_f64 v[49:50], v[3:4], v[47:48]
	v_fma_f64 v[49:50], v[1:2], v[45:46], -v[49:50]
	v_mul_f64 v[1:2], v[1:2], v[47:48]
	v_fma_f64 v[1:2], v[3:4], v[45:46], v[1:2]
	buffer_load_dword v3, off, s[0:3], 0 offset:784
	buffer_load_dword v4, off, s[0:3], 0 offset:788
	buffer_load_dword v51, off, s[0:3], 0 offset:792
	buffer_load_dword v52, off, s[0:3], 0 offset:796
	s_waitcnt vmcnt(2)
	v_add_f64 v[3:4], v[3:4], -v[49:50]
	s_waitcnt vmcnt(0)
	v_add_f64 v[1:2], v[51:52], -v[1:2]
	buffer_store_dword v4, off, s[0:3], 0 offset:788
	buffer_store_dword v3, off, s[0:3], 0 offset:784
	buffer_store_dword v2, off, s[0:3], 0 offset:796
	buffer_store_dword v1, off, s[0:3], 0 offset:792
	ds_read2_b64 v[1:4], v121 offset0:100 offset1:101
	s_waitcnt lgkmcnt(0)
	v_mul_f64 v[49:50], v[3:4], v[47:48]
	v_fma_f64 v[49:50], v[1:2], v[45:46], -v[49:50]
	v_mul_f64 v[1:2], v[1:2], v[47:48]
	v_fma_f64 v[1:2], v[3:4], v[45:46], v[1:2]
	buffer_load_dword v3, off, s[0:3], 0 offset:800
	buffer_load_dword v4, off, s[0:3], 0 offset:804
	buffer_load_dword v51, off, s[0:3], 0 offset:808
	buffer_load_dword v52, off, s[0:3], 0 offset:812
	s_waitcnt vmcnt(2)
	v_add_f64 v[3:4], v[3:4], -v[49:50]
	;; [unrolled: 18-line block ×5, first 2 shown]
	s_waitcnt vmcnt(0)
	v_add_f64 v[1:2], v[45:46], -v[1:2]
	buffer_store_dword v4, off, s[0:3], 0 offset:852
	buffer_store_dword v3, off, s[0:3], 0 offset:848
	;; [unrolled: 1-line block ×4, first 2 shown]
	ds_read2_b64 v[1:4], v121 offset0:108 offset1:109
	buffer_load_dword v45, off, s[0:3], 0 offset:656
	buffer_load_dword v46, off, s[0:3], 0 offset:660
	;; [unrolled: 1-line block ×4, first 2 shown]
	s_waitcnt vmcnt(0) lgkmcnt(0)
	v_mul_f64 v[49:50], v[3:4], v[47:48]
	v_fma_f64 v[49:50], v[1:2], v[45:46], -v[49:50]
	v_mul_f64 v[1:2], v[1:2], v[47:48]
	v_fma_f64 v[1:2], v[3:4], v[45:46], v[1:2]
	buffer_load_dword v4, off, s[0:3], 0 offset:868
	buffer_load_dword v3, off, s[0:3], 0 offset:864
	s_waitcnt vmcnt(0)
	v_add_f64 v[3:4], v[3:4], -v[49:50]
	buffer_load_dword v50, off, s[0:3], 0 offset:876
	buffer_load_dword v49, off, s[0:3], 0 offset:872
	s_waitcnt vmcnt(0)
	v_add_f64 v[1:2], v[49:50], -v[1:2]
	buffer_store_dword v4, off, s[0:3], 0 offset:868
	buffer_store_dword v3, off, s[0:3], 0 offset:864
	buffer_store_dword v2, off, s[0:3], 0 offset:876
	buffer_store_dword v1, off, s[0:3], 0 offset:872
	ds_read2_b64 v[1:4], v121 offset0:110 offset1:111
	s_waitcnt lgkmcnt(0)
	v_mul_f64 v[49:50], v[3:4], v[47:48]
	v_fma_f64 v[49:50], v[1:2], v[45:46], -v[49:50]
	v_mul_f64 v[1:2], v[1:2], v[47:48]
	v_fma_f64 v[1:2], v[3:4], v[45:46], v[1:2]
	buffer_load_dword v3, off, s[0:3], 0 offset:880
	buffer_load_dword v4, off, s[0:3], 0 offset:884
	buffer_load_dword v51, off, s[0:3], 0 offset:888
	buffer_load_dword v52, off, s[0:3], 0 offset:892
	s_waitcnt vmcnt(2)
	v_add_f64 v[3:4], v[3:4], -v[49:50]
	s_waitcnt vmcnt(0)
	v_add_f64 v[1:2], v[51:52], -v[1:2]
	buffer_store_dword v4, off, s[0:3], 0 offset:884
	buffer_store_dword v3, off, s[0:3], 0 offset:880
	buffer_store_dword v2, off, s[0:3], 0 offset:892
	buffer_store_dword v1, off, s[0:3], 0 offset:888
	ds_read2_b64 v[1:4], v121 offset0:112 offset1:113
	s_waitcnt lgkmcnt(0)
	v_mul_f64 v[49:50], v[3:4], v[47:48]
	v_fma_f64 v[49:50], v[1:2], v[45:46], -v[49:50]
	v_mul_f64 v[1:2], v[1:2], v[47:48]
	v_fma_f64 v[1:2], v[3:4], v[45:46], v[1:2]
	buffer_load_dword v3, off, s[0:3], 0 offset:896
	buffer_load_dword v4, off, s[0:3], 0 offset:900
	buffer_load_dword v51, off, s[0:3], 0 offset:904
	buffer_load_dword v52, off, s[0:3], 0 offset:908
	s_waitcnt vmcnt(2)
	v_add_f64 v[3:4], v[3:4], -v[49:50]
	;; [unrolled: 18-line block ×5, first 2 shown]
	s_waitcnt vmcnt(0)
	v_add_f64 v[1:2], v[45:46], -v[1:2]
	buffer_store_dword v4, off, s[0:3], 0 offset:948
	buffer_store_dword v3, off, s[0:3], 0 offset:944
	;; [unrolled: 1-line block ×4, first 2 shown]
	ds_read2_b64 v[1:4], v121 offset0:120 offset1:121
	buffer_load_dword v45, off, s[0:3], 0 offset:656
	buffer_load_dword v46, off, s[0:3], 0 offset:660
	;; [unrolled: 1-line block ×4, first 2 shown]
	s_waitcnt vmcnt(0) lgkmcnt(0)
	v_mul_f64 v[49:50], v[3:4], v[47:48]
	v_fma_f64 v[51:52], v[1:2], v[45:46], -v[49:50]
	v_mul_f64 v[1:2], v[1:2], v[47:48]
	v_fma_f64 v[49:50], v[3:4], v[45:46], v[1:2]
	buffer_load_dword v2, off, s[0:3], 0 offset:964
	buffer_load_dword v1, off, s[0:3], 0 offset:960
	;; [unrolled: 1-line block ×4, first 2 shown]
	s_waitcnt vmcnt(2)
	v_add_f64 v[1:2], v[1:2], -v[51:52]
	s_waitcnt vmcnt(0)
	v_add_f64 v[3:4], v[3:4], -v[49:50]
	buffer_store_dword v2, off, s[0:3], 0 offset:964
	buffer_store_dword v1, off, s[0:3], 0 offset:960
	;; [unrolled: 1-line block ×4, first 2 shown]
	ds_read2_b64 v[1:4], v121 offset0:122 offset1:123
	s_waitcnt lgkmcnt(0)
	v_mul_f64 v[49:50], v[3:4], v[47:48]
	v_fma_f64 v[49:50], v[1:2], v[45:46], -v[49:50]
	v_mul_f64 v[1:2], v[1:2], v[47:48]
	buffer_load_dword v51, off, s[0:3], 0 offset:976
	buffer_load_dword v52, off, s[0:3], 0 offset:980
	;; [unrolled: 1-line block ×4, first 2 shown]
	v_fma_f64 v[45:46], v[3:4], v[45:46], v[1:2]
	s_waitcnt vmcnt(2)
	v_add_f64 v[1:2], v[51:52], -v[49:50]
	s_waitcnt vmcnt(0)
	v_add_f64 v[3:4], v[47:48], -v[45:46]
	buffer_store_dword v2, off, s[0:3], 0 offset:980
	buffer_store_dword v1, off, s[0:3], 0 offset:976
	buffer_store_dword v4, off, s[0:3], 0 offset:988
	buffer_store_dword v3, off, s[0:3], 0 offset:984
.LBB123_491:
	s_or_b64 exec, exec, s[6:7]
	v_cmp_eq_u32_e32 vcc, 42, v0
	s_waitcnt vmcnt(0) lgkmcnt(0)
	s_barrier
	s_and_saveexec_b64 s[8:9], vcc
	s_cbranch_execz .LBB123_498
; %bb.492:
	v_readlane_b32 s6, v126, 14
	v_mov_b32_e32 v4, s6
	buffer_load_dword v1, v4, s[0:3], 0 offen
	buffer_load_dword v2, v4, s[0:3], 0 offen offset:4
	buffer_load_dword v3, v4, s[0:3], 0 offen offset:8
	s_nop 0
	buffer_load_dword v4, v4, s[0:3], 0 offen offset:12
	v_readlane_b32 s6, v126, 15
	s_waitcnt vmcnt(0)
	ds_write2_b64 v125, v[1:2], v[3:4] offset1:1
	v_mov_b32_e32 v4, s30
	buffer_load_dword v1, v4, s[0:3], 0 offen
	buffer_load_dword v2, v4, s[0:3], 0 offen offset:4
	buffer_load_dword v3, v4, s[0:3], 0 offen offset:8
	s_nop 0
	buffer_load_dword v4, v4, s[0:3], 0 offen offset:12
	s_waitcnt vmcnt(0)
	ds_write2_b64 v121, v[1:2], v[3:4] offset0:86 offset1:87
	v_mov_b32_e32 v4, s6
	buffer_load_dword v1, v4, s[0:3], 0 offen
	buffer_load_dword v2, v4, s[0:3], 0 offen offset:4
	buffer_load_dword v3, v4, s[0:3], 0 offen offset:8
	s_nop 0
	buffer_load_dword v4, v4, s[0:3], 0 offen offset:12
	v_readlane_b32 s6, v126, 16
	s_waitcnt vmcnt(0)
	ds_write2_b64 v121, v[1:2], v[3:4] offset0:88 offset1:89
	v_mov_b32_e32 v4, s28
	buffer_load_dword v1, v4, s[0:3], 0 offen
	buffer_load_dword v2, v4, s[0:3], 0 offen offset:4
	buffer_load_dword v3, v4, s[0:3], 0 offen offset:8
	s_nop 0
	buffer_load_dword v4, v4, s[0:3], 0 offen offset:12
	s_waitcnt vmcnt(0)
	ds_write2_b64 v121, v[1:2], v[3:4] offset0:90 offset1:91
	v_mov_b32_e32 v4, s6
	buffer_load_dword v1, v4, s[0:3], 0 offen
	buffer_load_dword v2, v4, s[0:3], 0 offen offset:4
	buffer_load_dword v3, v4, s[0:3], 0 offen offset:8
	s_nop 0
	buffer_load_dword v4, v4, s[0:3], 0 offen offset:12
	v_readlane_b32 s6, v126, 17
	s_waitcnt vmcnt(0)
	ds_write2_b64 v121, v[1:2], v[3:4] offset0:92 offset1:93
	;; [unrolled: 17-line block ×8, first 2 shown]
	v_mov_b32_e32 v4, s14
	buffer_load_dword v1, v4, s[0:3], 0 offen
	buffer_load_dword v2, v4, s[0:3], 0 offen offset:4
	buffer_load_dword v3, v4, s[0:3], 0 offen offset:8
	s_nop 0
	buffer_load_dword v4, v4, s[0:3], 0 offen offset:12
	s_waitcnt vmcnt(0)
	ds_write2_b64 v121, v[1:2], v[3:4] offset0:118 offset1:119
	v_mov_b32_e32 v4, s42
	buffer_load_dword v1, v4, s[0:3], 0 offen
	buffer_load_dword v2, v4, s[0:3], 0 offen offset:4
	buffer_load_dword v3, v4, s[0:3], 0 offen offset:8
	s_nop 0
	buffer_load_dword v4, v4, s[0:3], 0 offen offset:12
	s_waitcnt vmcnt(0)
	ds_write2_b64 v121, v[1:2], v[3:4] offset0:120 offset1:121
	v_mov_b32_e32 v4, s6
	buffer_load_dword v1, v4, s[0:3], 0 offen
	buffer_load_dword v2, v4, s[0:3], 0 offen offset:4
	buffer_load_dword v3, v4, s[0:3], 0 offen offset:8
	s_nop 0
	buffer_load_dword v4, v4, s[0:3], 0 offen offset:12
	s_waitcnt vmcnt(0)
	ds_write2_b64 v121, v[1:2], v[3:4] offset0:122 offset1:123
	ds_read2_b64 v[45:48], v125 offset1:1
	s_waitcnt lgkmcnt(0)
	v_cmp_neq_f64_e32 vcc, 0, v[45:46]
	v_cmp_neq_f64_e64 s[6:7], 0, v[47:48]
	s_or_b64 s[6:7], vcc, s[6:7]
	s_and_b64 exec, exec, s[6:7]
	s_cbranch_execz .LBB123_498
; %bb.493:
	v_cmp_ngt_f64_e64 s[6:7], |v[45:46]|, |v[47:48]|
                                        ; implicit-def: $vgpr1_vgpr2
	s_and_saveexec_b64 s[10:11], s[6:7]
	s_xor_b64 s[6:7], exec, s[10:11]
                                        ; implicit-def: $vgpr3_vgpr4
	s_cbranch_execz .LBB123_495
; %bb.494:
	v_div_scale_f64 v[1:2], s[10:11], v[47:48], v[47:48], v[45:46]
	v_rcp_f64_e32 v[3:4], v[1:2]
	v_fma_f64 v[49:50], -v[1:2], v[3:4], 1.0
	v_fma_f64 v[3:4], v[3:4], v[49:50], v[3:4]
	v_div_scale_f64 v[49:50], vcc, v[45:46], v[47:48], v[45:46]
	v_fma_f64 v[51:52], -v[1:2], v[3:4], 1.0
	v_fma_f64 v[3:4], v[3:4], v[51:52], v[3:4]
	v_mul_f64 v[51:52], v[49:50], v[3:4]
	v_fma_f64 v[1:2], -v[1:2], v[51:52], v[49:50]
	v_div_fmas_f64 v[1:2], v[1:2], v[3:4], v[51:52]
	v_div_fixup_f64 v[1:2], v[1:2], v[47:48], v[45:46]
	v_fma_f64 v[3:4], v[45:46], v[1:2], v[47:48]
	v_div_scale_f64 v[45:46], s[10:11], v[3:4], v[3:4], 1.0
	v_div_scale_f64 v[51:52], vcc, 1.0, v[3:4], 1.0
	v_rcp_f64_e32 v[47:48], v[45:46]
	v_fma_f64 v[49:50], -v[45:46], v[47:48], 1.0
	v_fma_f64 v[47:48], v[47:48], v[49:50], v[47:48]
	v_fma_f64 v[49:50], -v[45:46], v[47:48], 1.0
	v_fma_f64 v[47:48], v[47:48], v[49:50], v[47:48]
	v_mul_f64 v[49:50], v[51:52], v[47:48]
	v_fma_f64 v[45:46], -v[45:46], v[49:50], v[51:52]
	v_div_fmas_f64 v[45:46], v[45:46], v[47:48], v[49:50]
	v_div_fixup_f64 v[3:4], v[45:46], v[3:4], 1.0
                                        ; implicit-def: $vgpr45_vgpr46
	v_mul_f64 v[1:2], v[1:2], v[3:4]
	v_xor_b32_e32 v4, 0x80000000, v4
.LBB123_495:
	s_andn2_saveexec_b64 s[6:7], s[6:7]
	s_cbranch_execz .LBB123_497
; %bb.496:
	v_div_scale_f64 v[1:2], s[10:11], v[45:46], v[45:46], v[47:48]
	v_rcp_f64_e32 v[3:4], v[1:2]
	v_fma_f64 v[49:50], -v[1:2], v[3:4], 1.0
	v_fma_f64 v[3:4], v[3:4], v[49:50], v[3:4]
	v_div_scale_f64 v[49:50], vcc, v[47:48], v[45:46], v[47:48]
	v_fma_f64 v[51:52], -v[1:2], v[3:4], 1.0
	v_fma_f64 v[3:4], v[3:4], v[51:52], v[3:4]
	v_mul_f64 v[51:52], v[49:50], v[3:4]
	v_fma_f64 v[1:2], -v[1:2], v[51:52], v[49:50]
	v_div_fmas_f64 v[1:2], v[1:2], v[3:4], v[51:52]
	v_div_fixup_f64 v[3:4], v[1:2], v[45:46], v[47:48]
	v_fma_f64 v[1:2], v[47:48], v[3:4], v[45:46]
	v_div_scale_f64 v[45:46], s[10:11], v[1:2], v[1:2], 1.0
	v_div_scale_f64 v[51:52], vcc, 1.0, v[1:2], 1.0
	v_rcp_f64_e32 v[47:48], v[45:46]
	v_fma_f64 v[49:50], -v[45:46], v[47:48], 1.0
	v_fma_f64 v[47:48], v[47:48], v[49:50], v[47:48]
	v_fma_f64 v[49:50], -v[45:46], v[47:48], 1.0
	v_fma_f64 v[47:48], v[47:48], v[49:50], v[47:48]
	v_mul_f64 v[49:50], v[51:52], v[47:48]
	v_fma_f64 v[45:46], -v[45:46], v[49:50], v[51:52]
	v_div_fmas_f64 v[45:46], v[45:46], v[47:48], v[49:50]
	v_div_fixup_f64 v[1:2], v[45:46], v[1:2], 1.0
	v_mul_f64 v[3:4], v[3:4], -v[1:2]
.LBB123_497:
	s_or_b64 exec, exec, s[6:7]
	ds_write2_b64 v125, v[1:2], v[3:4] offset1:1
.LBB123_498:
	s_or_b64 exec, exec, s[8:9]
	s_waitcnt lgkmcnt(0)
	s_barrier
	ds_read2_b64 v[45:48], v125 offset1:1
	v_cmp_lt_u32_e32 vcc, 42, v0
	s_and_saveexec_b64 s[6:7], vcc
	s_cbranch_execz .LBB123_500
; %bb.499:
	buffer_load_dword v1, off, s[0:3], 0 offset:672
	buffer_load_dword v2, off, s[0:3], 0 offset:676
	buffer_load_dword v3, off, s[0:3], 0 offset:680
	buffer_load_dword v4, off, s[0:3], 0 offset:684
	buffer_load_dword v53, off, s[0:3], 0 offset:688
	buffer_load_dword v54, off, s[0:3], 0 offset:692
	buffer_load_dword v55, off, s[0:3], 0 offset:696
	buffer_load_dword v56, off, s[0:3], 0 offset:700
	buffer_load_dword v57, off, s[0:3], 0 offset:704
	buffer_load_dword v58, off, s[0:3], 0 offset:708
	buffer_load_dword v59, off, s[0:3], 0 offset:712
	buffer_load_dword v60, off, s[0:3], 0 offset:716
	buffer_load_dword v61, off, s[0:3], 0 offset:720
	buffer_load_dword v62, off, s[0:3], 0 offset:724
	buffer_load_dword v63, off, s[0:3], 0 offset:728
	buffer_load_dword v64, off, s[0:3], 0 offset:732
	s_waitcnt vmcnt(12) lgkmcnt(0)
	v_mul_f64 v[49:50], v[47:48], v[3:4]
	v_mul_f64 v[3:4], v[45:46], v[3:4]
	v_fma_f64 v[49:50], v[45:46], v[1:2], -v[49:50]
	v_fma_f64 v[51:52], v[47:48], v[1:2], v[3:4]
	buffer_store_dword v49, off, s[0:3], 0 offset:672
	buffer_store_dword v50, off, s[0:3], 0 offset:676
	buffer_store_dword v51, off, s[0:3], 0 offset:680
	buffer_store_dword v52, off, s[0:3], 0 offset:684
	ds_read2_b64 v[1:4], v121 offset0:86 offset1:87
	s_waitcnt lgkmcnt(0)
	v_mul_f64 v[65:66], v[3:4], v[51:52]
	v_fma_f64 v[65:66], v[1:2], v[49:50], -v[65:66]
	v_mul_f64 v[1:2], v[1:2], v[51:52]
	v_fma_f64 v[1:2], v[3:4], v[49:50], v[1:2]
	s_waitcnt vmcnt(14)
	v_add_f64 v[3:4], v[53:54], -v[65:66]
	s_waitcnt vmcnt(12)
	v_add_f64 v[1:2], v[55:56], -v[1:2]
	buffer_store_dword v3, off, s[0:3], 0 offset:688
	buffer_store_dword v4, off, s[0:3], 0 offset:692
	buffer_store_dword v1, off, s[0:3], 0 offset:696
	buffer_store_dword v2, off, s[0:3], 0 offset:700
	ds_read2_b64 v[1:4], v121 offset0:88 offset1:89
	s_waitcnt lgkmcnt(0)
	v_mul_f64 v[53:54], v[3:4], v[51:52]
	v_fma_f64 v[53:54], v[1:2], v[49:50], -v[53:54]
	v_mul_f64 v[1:2], v[1:2], v[51:52]
	v_fma_f64 v[1:2], v[3:4], v[49:50], v[1:2]
	s_waitcnt vmcnt(14)
	v_add_f64 v[3:4], v[57:58], -v[53:54]
	s_waitcnt vmcnt(12)
	v_add_f64 v[1:2], v[59:60], -v[1:2]
	;; [unrolled: 14-line block ×3, first 2 shown]
	buffer_store_dword v4, off, s[0:3], 0 offset:724
	buffer_store_dword v3, off, s[0:3], 0 offset:720
	buffer_store_dword v1, off, s[0:3], 0 offset:728
	buffer_store_dword v2, off, s[0:3], 0 offset:732
	ds_read2_b64 v[1:4], v121 offset0:92 offset1:93
	s_waitcnt lgkmcnt(0)
	v_mul_f64 v[53:54], v[3:4], v[51:52]
	v_fma_f64 v[53:54], v[1:2], v[49:50], -v[53:54]
	v_mul_f64 v[1:2], v[1:2], v[51:52]
	v_fma_f64 v[1:2], v[3:4], v[49:50], v[1:2]
	buffer_load_dword v3, off, s[0:3], 0 offset:736
	buffer_load_dword v4, off, s[0:3], 0 offset:740
	buffer_load_dword v55, off, s[0:3], 0 offset:744
	buffer_load_dword v56, off, s[0:3], 0 offset:748
	s_waitcnt vmcnt(2)
	v_add_f64 v[3:4], v[3:4], -v[53:54]
	s_waitcnt vmcnt(0)
	v_add_f64 v[1:2], v[55:56], -v[1:2]
	buffer_store_dword v4, off, s[0:3], 0 offset:740
	buffer_store_dword v3, off, s[0:3], 0 offset:736
	buffer_store_dword v2, off, s[0:3], 0 offset:748
	buffer_store_dword v1, off, s[0:3], 0 offset:744
	ds_read2_b64 v[1:4], v121 offset0:94 offset1:95
	s_waitcnt lgkmcnt(0)
	v_mul_f64 v[53:54], v[3:4], v[51:52]
	v_fma_f64 v[53:54], v[1:2], v[49:50], -v[53:54]
	v_mul_f64 v[1:2], v[1:2], v[51:52]
	v_fma_f64 v[1:2], v[3:4], v[49:50], v[1:2]
	buffer_load_dword v3, off, s[0:3], 0 offset:752
	buffer_load_dword v4, off, s[0:3], 0 offset:756
	buffer_load_dword v55, off, s[0:3], 0 offset:760
	buffer_load_dword v56, off, s[0:3], 0 offset:764
	s_waitcnt vmcnt(2)
	v_add_f64 v[3:4], v[3:4], -v[53:54]
	s_waitcnt vmcnt(0)
	v_add_f64 v[1:2], v[55:56], -v[1:2]
	;; [unrolled: 18-line block ×3, first 2 shown]
	buffer_store_dword v4, off, s[0:3], 0 offset:772
	buffer_store_dword v3, off, s[0:3], 0 offset:768
	;; [unrolled: 1-line block ×4, first 2 shown]
	ds_read2_b64 v[1:4], v121 offset0:98 offset1:99
	buffer_load_dword v49, off, s[0:3], 0 offset:672
	buffer_load_dword v50, off, s[0:3], 0 offset:676
	;; [unrolled: 1-line block ×4, first 2 shown]
	s_waitcnt vmcnt(0) lgkmcnt(0)
	v_mul_f64 v[53:54], v[3:4], v[51:52]
	v_fma_f64 v[53:54], v[1:2], v[49:50], -v[53:54]
	v_mul_f64 v[1:2], v[1:2], v[51:52]
	v_fma_f64 v[1:2], v[3:4], v[49:50], v[1:2]
	buffer_load_dword v4, off, s[0:3], 0 offset:788
	buffer_load_dword v3, off, s[0:3], 0 offset:784
	s_waitcnt vmcnt(0)
	v_add_f64 v[3:4], v[3:4], -v[53:54]
	buffer_load_dword v54, off, s[0:3], 0 offset:796
	buffer_load_dword v53, off, s[0:3], 0 offset:792
	s_waitcnt vmcnt(0)
	v_add_f64 v[1:2], v[53:54], -v[1:2]
	buffer_store_dword v4, off, s[0:3], 0 offset:788
	buffer_store_dword v3, off, s[0:3], 0 offset:784
	buffer_store_dword v2, off, s[0:3], 0 offset:796
	buffer_store_dword v1, off, s[0:3], 0 offset:792
	ds_read2_b64 v[1:4], v121 offset0:100 offset1:101
	s_waitcnt lgkmcnt(0)
	v_mul_f64 v[53:54], v[3:4], v[51:52]
	v_fma_f64 v[53:54], v[1:2], v[49:50], -v[53:54]
	v_mul_f64 v[1:2], v[1:2], v[51:52]
	v_fma_f64 v[1:2], v[3:4], v[49:50], v[1:2]
	buffer_load_dword v3, off, s[0:3], 0 offset:800
	buffer_load_dword v4, off, s[0:3], 0 offset:804
	buffer_load_dword v55, off, s[0:3], 0 offset:808
	buffer_load_dword v56, off, s[0:3], 0 offset:812
	s_waitcnt vmcnt(2)
	v_add_f64 v[3:4], v[3:4], -v[53:54]
	s_waitcnt vmcnt(0)
	v_add_f64 v[1:2], v[55:56], -v[1:2]
	buffer_store_dword v4, off, s[0:3], 0 offset:804
	buffer_store_dword v3, off, s[0:3], 0 offset:800
	buffer_store_dword v2, off, s[0:3], 0 offset:812
	buffer_store_dword v1, off, s[0:3], 0 offset:808
	ds_read2_b64 v[1:4], v121 offset0:102 offset1:103
	s_waitcnt lgkmcnt(0)
	v_mul_f64 v[53:54], v[3:4], v[51:52]
	v_fma_f64 v[53:54], v[1:2], v[49:50], -v[53:54]
	v_mul_f64 v[1:2], v[1:2], v[51:52]
	v_fma_f64 v[1:2], v[3:4], v[49:50], v[1:2]
	buffer_load_dword v3, off, s[0:3], 0 offset:816
	buffer_load_dword v4, off, s[0:3], 0 offset:820
	buffer_load_dword v55, off, s[0:3], 0 offset:824
	buffer_load_dword v56, off, s[0:3], 0 offset:828
	s_waitcnt vmcnt(2)
	v_add_f64 v[3:4], v[3:4], -v[53:54]
	;; [unrolled: 18-line block ×5, first 2 shown]
	s_waitcnt vmcnt(0)
	v_add_f64 v[1:2], v[49:50], -v[1:2]
	buffer_store_dword v4, off, s[0:3], 0 offset:868
	buffer_store_dword v3, off, s[0:3], 0 offset:864
	;; [unrolled: 1-line block ×4, first 2 shown]
	ds_read2_b64 v[1:4], v121 offset0:110 offset1:111
	buffer_load_dword v49, off, s[0:3], 0 offset:672
	buffer_load_dword v50, off, s[0:3], 0 offset:676
	;; [unrolled: 1-line block ×4, first 2 shown]
	s_waitcnt vmcnt(0) lgkmcnt(0)
	v_mul_f64 v[53:54], v[3:4], v[51:52]
	v_fma_f64 v[53:54], v[1:2], v[49:50], -v[53:54]
	v_mul_f64 v[1:2], v[1:2], v[51:52]
	v_fma_f64 v[1:2], v[3:4], v[49:50], v[1:2]
	buffer_load_dword v4, off, s[0:3], 0 offset:884
	buffer_load_dword v3, off, s[0:3], 0 offset:880
	s_waitcnt vmcnt(0)
	v_add_f64 v[3:4], v[3:4], -v[53:54]
	buffer_load_dword v54, off, s[0:3], 0 offset:892
	buffer_load_dword v53, off, s[0:3], 0 offset:888
	s_waitcnt vmcnt(0)
	v_add_f64 v[1:2], v[53:54], -v[1:2]
	buffer_store_dword v4, off, s[0:3], 0 offset:884
	buffer_store_dword v3, off, s[0:3], 0 offset:880
	buffer_store_dword v2, off, s[0:3], 0 offset:892
	buffer_store_dword v1, off, s[0:3], 0 offset:888
	ds_read2_b64 v[1:4], v121 offset0:112 offset1:113
	s_waitcnt lgkmcnt(0)
	v_mul_f64 v[53:54], v[3:4], v[51:52]
	v_fma_f64 v[53:54], v[1:2], v[49:50], -v[53:54]
	v_mul_f64 v[1:2], v[1:2], v[51:52]
	v_fma_f64 v[1:2], v[3:4], v[49:50], v[1:2]
	buffer_load_dword v3, off, s[0:3], 0 offset:896
	buffer_load_dword v4, off, s[0:3], 0 offset:900
	buffer_load_dword v55, off, s[0:3], 0 offset:904
	buffer_load_dword v56, off, s[0:3], 0 offset:908
	s_waitcnt vmcnt(2)
	v_add_f64 v[3:4], v[3:4], -v[53:54]
	s_waitcnt vmcnt(0)
	v_add_f64 v[1:2], v[55:56], -v[1:2]
	buffer_store_dword v4, off, s[0:3], 0 offset:900
	buffer_store_dword v3, off, s[0:3], 0 offset:896
	buffer_store_dword v2, off, s[0:3], 0 offset:908
	buffer_store_dword v1, off, s[0:3], 0 offset:904
	ds_read2_b64 v[1:4], v121 offset0:114 offset1:115
	s_waitcnt lgkmcnt(0)
	v_mul_f64 v[53:54], v[3:4], v[51:52]
	v_fma_f64 v[53:54], v[1:2], v[49:50], -v[53:54]
	v_mul_f64 v[1:2], v[1:2], v[51:52]
	v_fma_f64 v[1:2], v[3:4], v[49:50], v[1:2]
	buffer_load_dword v3, off, s[0:3], 0 offset:912
	buffer_load_dword v4, off, s[0:3], 0 offset:916
	buffer_load_dword v55, off, s[0:3], 0 offset:920
	buffer_load_dword v56, off, s[0:3], 0 offset:924
	s_waitcnt vmcnt(2)
	v_add_f64 v[3:4], v[3:4], -v[53:54]
	;; [unrolled: 18-line block ×5, first 2 shown]
	s_waitcnt vmcnt(0)
	v_add_f64 v[1:2], v[49:50], -v[1:2]
	buffer_store_dword v4, off, s[0:3], 0 offset:964
	buffer_store_dword v3, off, s[0:3], 0 offset:960
	;; [unrolled: 1-line block ×4, first 2 shown]
	ds_read2_b64 v[1:4], v121 offset0:122 offset1:123
	buffer_load_dword v49, off, s[0:3], 0 offset:672
	buffer_load_dword v50, off, s[0:3], 0 offset:676
	;; [unrolled: 1-line block ×4, first 2 shown]
	s_waitcnt vmcnt(0) lgkmcnt(0)
	v_mul_f64 v[51:52], v[3:4], v[53:54]
	v_fma_f64 v[51:52], v[1:2], v[49:50], -v[51:52]
	v_mul_f64 v[1:2], v[1:2], v[53:54]
	v_fma_f64 v[49:50], v[3:4], v[49:50], v[1:2]
	buffer_load_dword v2, off, s[0:3], 0 offset:980
	buffer_load_dword v1, off, s[0:3], 0 offset:976
	s_waitcnt vmcnt(0)
	v_add_f64 v[51:52], v[1:2], -v[51:52]
	buffer_load_dword v2, off, s[0:3], 0 offset:988
	buffer_load_dword v1, off, s[0:3], 0 offset:984
	s_waitcnt vmcnt(0)
	v_add_f64 v[1:2], v[1:2], -v[49:50]
	buffer_store_dword v52, off, s[0:3], 0 offset:980
	buffer_store_dword v51, off, s[0:3], 0 offset:976
	;; [unrolled: 1-line block ×4, first 2 shown]
.LBB123_500:
	s_or_b64 exec, exec, s[6:7]
	v_cmp_eq_u32_e32 vcc, 43, v0
	s_waitcnt vmcnt(0) lgkmcnt(0)
	s_barrier
	s_and_saveexec_b64 s[8:9], vcc
	s_cbranch_execz .LBB123_507
; %bb.501:
	v_mov_b32_e32 v4, s30
	buffer_load_dword v1, v4, s[0:3], 0 offen
	buffer_load_dword v2, v4, s[0:3], 0 offen offset:4
	buffer_load_dword v3, v4, s[0:3], 0 offen offset:8
	s_nop 0
	buffer_load_dword v4, v4, s[0:3], 0 offen offset:12
	v_readlane_b32 s6, v126, 15
	s_waitcnt vmcnt(0)
	ds_write2_b64 v125, v[1:2], v[3:4] offset1:1
	v_mov_b32_e32 v4, s6
	buffer_load_dword v1, v4, s[0:3], 0 offen
	buffer_load_dword v2, v4, s[0:3], 0 offen offset:4
	buffer_load_dword v3, v4, s[0:3], 0 offen offset:8
	s_nop 0
	buffer_load_dword v4, v4, s[0:3], 0 offen offset:12
	v_readlane_b32 s6, v126, 16
	s_waitcnt vmcnt(0)
	ds_write2_b64 v121, v[1:2], v[3:4] offset0:88 offset1:89
	v_mov_b32_e32 v4, s28
	buffer_load_dword v1, v4, s[0:3], 0 offen
	buffer_load_dword v2, v4, s[0:3], 0 offen offset:4
	buffer_load_dword v3, v4, s[0:3], 0 offen offset:8
	s_nop 0
	buffer_load_dword v4, v4, s[0:3], 0 offen offset:12
	s_waitcnt vmcnt(0)
	ds_write2_b64 v121, v[1:2], v[3:4] offset0:90 offset1:91
	v_mov_b32_e32 v4, s6
	buffer_load_dword v1, v4, s[0:3], 0 offen
	buffer_load_dword v2, v4, s[0:3], 0 offen offset:4
	buffer_load_dword v3, v4, s[0:3], 0 offen offset:8
	s_nop 0
	buffer_load_dword v4, v4, s[0:3], 0 offen offset:12
	v_readlane_b32 s6, v126, 17
	s_waitcnt vmcnt(0)
	ds_write2_b64 v121, v[1:2], v[3:4] offset0:92 offset1:93
	v_mov_b32_e32 v4, s26
	buffer_load_dword v1, v4, s[0:3], 0 offen
	buffer_load_dword v2, v4, s[0:3], 0 offen offset:4
	buffer_load_dword v3, v4, s[0:3], 0 offen offset:8
	s_nop 0
	buffer_load_dword v4, v4, s[0:3], 0 offen offset:12
	s_waitcnt vmcnt(0)
	ds_write2_b64 v121, v[1:2], v[3:4] offset0:94 offset1:95
	;; [unrolled: 17-line block ×8, first 2 shown]
	v_mov_b32_e32 v4, s42
	buffer_load_dword v1, v4, s[0:3], 0 offen
	buffer_load_dword v2, v4, s[0:3], 0 offen offset:4
	buffer_load_dword v3, v4, s[0:3], 0 offen offset:8
	s_nop 0
	buffer_load_dword v4, v4, s[0:3], 0 offen offset:12
	s_waitcnt vmcnt(0)
	ds_write2_b64 v121, v[1:2], v[3:4] offset0:120 offset1:121
	v_mov_b32_e32 v4, s6
	buffer_load_dword v1, v4, s[0:3], 0 offen
	buffer_load_dword v2, v4, s[0:3], 0 offen offset:4
	buffer_load_dword v3, v4, s[0:3], 0 offen offset:8
	s_nop 0
	buffer_load_dword v4, v4, s[0:3], 0 offen offset:12
	s_waitcnt vmcnt(0)
	ds_write2_b64 v121, v[1:2], v[3:4] offset0:122 offset1:123
	ds_read2_b64 v[49:52], v125 offset1:1
	s_waitcnt lgkmcnt(0)
	v_cmp_neq_f64_e32 vcc, 0, v[49:50]
	v_cmp_neq_f64_e64 s[6:7], 0, v[51:52]
	s_or_b64 s[6:7], vcc, s[6:7]
	s_and_b64 exec, exec, s[6:7]
	s_cbranch_execz .LBB123_507
; %bb.502:
	v_cmp_ngt_f64_e64 s[6:7], |v[49:50]|, |v[51:52]|
                                        ; implicit-def: $vgpr1_vgpr2
	s_and_saveexec_b64 s[10:11], s[6:7]
	s_xor_b64 s[6:7], exec, s[10:11]
                                        ; implicit-def: $vgpr3_vgpr4
	s_cbranch_execz .LBB123_504
; %bb.503:
	v_div_scale_f64 v[1:2], s[10:11], v[51:52], v[51:52], v[49:50]
	v_rcp_f64_e32 v[3:4], v[1:2]
	v_fma_f64 v[53:54], -v[1:2], v[3:4], 1.0
	v_fma_f64 v[3:4], v[3:4], v[53:54], v[3:4]
	v_div_scale_f64 v[53:54], vcc, v[49:50], v[51:52], v[49:50]
	v_fma_f64 v[55:56], -v[1:2], v[3:4], 1.0
	v_fma_f64 v[3:4], v[3:4], v[55:56], v[3:4]
	v_mul_f64 v[55:56], v[53:54], v[3:4]
	v_fma_f64 v[1:2], -v[1:2], v[55:56], v[53:54]
	v_div_fmas_f64 v[1:2], v[1:2], v[3:4], v[55:56]
	v_div_fixup_f64 v[1:2], v[1:2], v[51:52], v[49:50]
	v_fma_f64 v[3:4], v[49:50], v[1:2], v[51:52]
	v_div_scale_f64 v[49:50], s[10:11], v[3:4], v[3:4], 1.0
	v_div_scale_f64 v[55:56], vcc, 1.0, v[3:4], 1.0
	v_rcp_f64_e32 v[51:52], v[49:50]
	v_fma_f64 v[53:54], -v[49:50], v[51:52], 1.0
	v_fma_f64 v[51:52], v[51:52], v[53:54], v[51:52]
	v_fma_f64 v[53:54], -v[49:50], v[51:52], 1.0
	v_fma_f64 v[51:52], v[51:52], v[53:54], v[51:52]
	v_mul_f64 v[53:54], v[55:56], v[51:52]
	v_fma_f64 v[49:50], -v[49:50], v[53:54], v[55:56]
	v_div_fmas_f64 v[49:50], v[49:50], v[51:52], v[53:54]
	v_div_fixup_f64 v[3:4], v[49:50], v[3:4], 1.0
                                        ; implicit-def: $vgpr49_vgpr50
	v_mul_f64 v[1:2], v[1:2], v[3:4]
	v_xor_b32_e32 v4, 0x80000000, v4
.LBB123_504:
	s_andn2_saveexec_b64 s[6:7], s[6:7]
	s_cbranch_execz .LBB123_506
; %bb.505:
	v_div_scale_f64 v[1:2], s[10:11], v[49:50], v[49:50], v[51:52]
	v_rcp_f64_e32 v[3:4], v[1:2]
	v_fma_f64 v[53:54], -v[1:2], v[3:4], 1.0
	v_fma_f64 v[3:4], v[3:4], v[53:54], v[3:4]
	v_div_scale_f64 v[53:54], vcc, v[51:52], v[49:50], v[51:52]
	v_fma_f64 v[55:56], -v[1:2], v[3:4], 1.0
	v_fma_f64 v[3:4], v[3:4], v[55:56], v[3:4]
	v_mul_f64 v[55:56], v[53:54], v[3:4]
	v_fma_f64 v[1:2], -v[1:2], v[55:56], v[53:54]
	v_div_fmas_f64 v[1:2], v[1:2], v[3:4], v[55:56]
	v_div_fixup_f64 v[3:4], v[1:2], v[49:50], v[51:52]
	v_fma_f64 v[1:2], v[51:52], v[3:4], v[49:50]
	v_div_scale_f64 v[49:50], s[10:11], v[1:2], v[1:2], 1.0
	v_div_scale_f64 v[55:56], vcc, 1.0, v[1:2], 1.0
	v_rcp_f64_e32 v[51:52], v[49:50]
	v_fma_f64 v[53:54], -v[49:50], v[51:52], 1.0
	v_fma_f64 v[51:52], v[51:52], v[53:54], v[51:52]
	v_fma_f64 v[53:54], -v[49:50], v[51:52], 1.0
	v_fma_f64 v[51:52], v[51:52], v[53:54], v[51:52]
	v_mul_f64 v[53:54], v[55:56], v[51:52]
	v_fma_f64 v[49:50], -v[49:50], v[53:54], v[55:56]
	v_div_fmas_f64 v[49:50], v[49:50], v[51:52], v[53:54]
	v_div_fixup_f64 v[1:2], v[49:50], v[1:2], 1.0
	v_mul_f64 v[3:4], v[3:4], -v[1:2]
.LBB123_506:
	s_or_b64 exec, exec, s[6:7]
	ds_write2_b64 v125, v[1:2], v[3:4] offset1:1
.LBB123_507:
	s_or_b64 exec, exec, s[8:9]
	s_waitcnt lgkmcnt(0)
	s_barrier
	ds_read2_b64 v[49:52], v125 offset1:1
	v_cmp_lt_u32_e32 vcc, 43, v0
	s_and_saveexec_b64 s[6:7], vcc
	s_cbranch_execz .LBB123_509
; %bb.508:
	buffer_load_dword v1, off, s[0:3], 0 offset:688
	buffer_load_dword v2, off, s[0:3], 0 offset:692
	;; [unrolled: 1-line block ×16, first 2 shown]
	s_waitcnt vmcnt(12) lgkmcnt(0)
	v_mul_f64 v[53:54], v[51:52], v[3:4]
	v_mul_f64 v[3:4], v[49:50], v[3:4]
	v_fma_f64 v[53:54], v[49:50], v[1:2], -v[53:54]
	v_fma_f64 v[55:56], v[51:52], v[1:2], v[3:4]
	buffer_store_dword v53, off, s[0:3], 0 offset:688
	buffer_store_dword v54, off, s[0:3], 0 offset:692
	buffer_store_dword v55, off, s[0:3], 0 offset:696
	buffer_store_dword v56, off, s[0:3], 0 offset:700
	ds_read2_b64 v[1:4], v121 offset0:88 offset1:89
	s_waitcnt lgkmcnt(0)
	v_mul_f64 v[69:70], v[3:4], v[55:56]
	v_fma_f64 v[69:70], v[1:2], v[53:54], -v[69:70]
	v_mul_f64 v[1:2], v[1:2], v[55:56]
	v_fma_f64 v[1:2], v[3:4], v[53:54], v[1:2]
	s_waitcnt vmcnt(14)
	v_add_f64 v[3:4], v[57:58], -v[69:70]
	s_waitcnt vmcnt(12)
	v_add_f64 v[1:2], v[59:60], -v[1:2]
	buffer_store_dword v3, off, s[0:3], 0 offset:704
	buffer_store_dword v4, off, s[0:3], 0 offset:708
	buffer_store_dword v1, off, s[0:3], 0 offset:712
	buffer_store_dword v2, off, s[0:3], 0 offset:716
	ds_read2_b64 v[1:4], v121 offset0:90 offset1:91
	s_waitcnt lgkmcnt(0)
	v_mul_f64 v[57:58], v[3:4], v[55:56]
	v_fma_f64 v[57:58], v[1:2], v[53:54], -v[57:58]
	v_mul_f64 v[1:2], v[1:2], v[55:56]
	v_fma_f64 v[1:2], v[3:4], v[53:54], v[1:2]
	s_waitcnt vmcnt(14)
	v_add_f64 v[3:4], v[61:62], -v[57:58]
	s_waitcnt vmcnt(12)
	v_add_f64 v[1:2], v[63:64], -v[1:2]
	;; [unrolled: 14-line block ×3, first 2 shown]
	buffer_store_dword v4, off, s[0:3], 0 offset:740
	buffer_store_dword v3, off, s[0:3], 0 offset:736
	buffer_store_dword v1, off, s[0:3], 0 offset:744
	buffer_store_dword v2, off, s[0:3], 0 offset:748
	ds_read2_b64 v[1:4], v121 offset0:94 offset1:95
	s_waitcnt lgkmcnt(0)
	v_mul_f64 v[57:58], v[3:4], v[55:56]
	v_fma_f64 v[57:58], v[1:2], v[53:54], -v[57:58]
	v_mul_f64 v[1:2], v[1:2], v[55:56]
	v_fma_f64 v[1:2], v[3:4], v[53:54], v[1:2]
	buffer_load_dword v3, off, s[0:3], 0 offset:752
	buffer_load_dword v4, off, s[0:3], 0 offset:756
	buffer_load_dword v59, off, s[0:3], 0 offset:760
	buffer_load_dword v60, off, s[0:3], 0 offset:764
	s_waitcnt vmcnt(2)
	v_add_f64 v[3:4], v[3:4], -v[57:58]
	s_waitcnt vmcnt(0)
	v_add_f64 v[1:2], v[59:60], -v[1:2]
	buffer_store_dword v4, off, s[0:3], 0 offset:756
	buffer_store_dword v3, off, s[0:3], 0 offset:752
	buffer_store_dword v2, off, s[0:3], 0 offset:764
	buffer_store_dword v1, off, s[0:3], 0 offset:760
	ds_read2_b64 v[1:4], v121 offset0:96 offset1:97
	s_waitcnt lgkmcnt(0)
	v_mul_f64 v[57:58], v[3:4], v[55:56]
	v_fma_f64 v[57:58], v[1:2], v[53:54], -v[57:58]
	v_mul_f64 v[1:2], v[1:2], v[55:56]
	v_fma_f64 v[1:2], v[3:4], v[53:54], v[1:2]
	buffer_load_dword v3, off, s[0:3], 0 offset:768
	buffer_load_dword v4, off, s[0:3], 0 offset:772
	buffer_load_dword v59, off, s[0:3], 0 offset:776
	buffer_load_dword v60, off, s[0:3], 0 offset:780
	s_waitcnt vmcnt(2)
	v_add_f64 v[3:4], v[3:4], -v[57:58]
	s_waitcnt vmcnt(0)
	v_add_f64 v[1:2], v[59:60], -v[1:2]
	;; [unrolled: 18-line block ×3, first 2 shown]
	buffer_store_dword v4, off, s[0:3], 0 offset:788
	buffer_store_dword v3, off, s[0:3], 0 offset:784
	;; [unrolled: 1-line block ×4, first 2 shown]
	ds_read2_b64 v[1:4], v121 offset0:100 offset1:101
	buffer_load_dword v53, off, s[0:3], 0 offset:688
	buffer_load_dword v54, off, s[0:3], 0 offset:692
	;; [unrolled: 1-line block ×4, first 2 shown]
	s_waitcnt vmcnt(0) lgkmcnt(0)
	v_mul_f64 v[57:58], v[3:4], v[55:56]
	v_fma_f64 v[57:58], v[1:2], v[53:54], -v[57:58]
	v_mul_f64 v[1:2], v[1:2], v[55:56]
	v_fma_f64 v[1:2], v[3:4], v[53:54], v[1:2]
	buffer_load_dword v4, off, s[0:3], 0 offset:804
	buffer_load_dword v3, off, s[0:3], 0 offset:800
	s_waitcnt vmcnt(0)
	v_add_f64 v[3:4], v[3:4], -v[57:58]
	buffer_load_dword v58, off, s[0:3], 0 offset:812
	buffer_load_dword v57, off, s[0:3], 0 offset:808
	s_waitcnt vmcnt(0)
	v_add_f64 v[1:2], v[57:58], -v[1:2]
	buffer_store_dword v4, off, s[0:3], 0 offset:804
	buffer_store_dword v3, off, s[0:3], 0 offset:800
	buffer_store_dword v2, off, s[0:3], 0 offset:812
	buffer_store_dword v1, off, s[0:3], 0 offset:808
	ds_read2_b64 v[1:4], v121 offset0:102 offset1:103
	s_waitcnt lgkmcnt(0)
	v_mul_f64 v[57:58], v[3:4], v[55:56]
	v_fma_f64 v[57:58], v[1:2], v[53:54], -v[57:58]
	v_mul_f64 v[1:2], v[1:2], v[55:56]
	v_fma_f64 v[1:2], v[3:4], v[53:54], v[1:2]
	buffer_load_dword v3, off, s[0:3], 0 offset:816
	buffer_load_dword v4, off, s[0:3], 0 offset:820
	buffer_load_dword v59, off, s[0:3], 0 offset:824
	buffer_load_dword v60, off, s[0:3], 0 offset:828
	s_waitcnt vmcnt(2)
	v_add_f64 v[3:4], v[3:4], -v[57:58]
	s_waitcnt vmcnt(0)
	v_add_f64 v[1:2], v[59:60], -v[1:2]
	buffer_store_dword v4, off, s[0:3], 0 offset:820
	buffer_store_dword v3, off, s[0:3], 0 offset:816
	buffer_store_dword v2, off, s[0:3], 0 offset:828
	buffer_store_dword v1, off, s[0:3], 0 offset:824
	ds_read2_b64 v[1:4], v121 offset0:104 offset1:105
	s_waitcnt lgkmcnt(0)
	v_mul_f64 v[57:58], v[3:4], v[55:56]
	v_fma_f64 v[57:58], v[1:2], v[53:54], -v[57:58]
	v_mul_f64 v[1:2], v[1:2], v[55:56]
	v_fma_f64 v[1:2], v[3:4], v[53:54], v[1:2]
	buffer_load_dword v3, off, s[0:3], 0 offset:832
	buffer_load_dword v4, off, s[0:3], 0 offset:836
	buffer_load_dword v59, off, s[0:3], 0 offset:840
	buffer_load_dword v60, off, s[0:3], 0 offset:844
	s_waitcnt vmcnt(2)
	v_add_f64 v[3:4], v[3:4], -v[57:58]
	;; [unrolled: 18-line block ×5, first 2 shown]
	s_waitcnt vmcnt(0)
	v_add_f64 v[1:2], v[53:54], -v[1:2]
	buffer_store_dword v4, off, s[0:3], 0 offset:884
	buffer_store_dword v3, off, s[0:3], 0 offset:880
	;; [unrolled: 1-line block ×4, first 2 shown]
	ds_read2_b64 v[1:4], v121 offset0:112 offset1:113
	buffer_load_dword v53, off, s[0:3], 0 offset:688
	buffer_load_dword v54, off, s[0:3], 0 offset:692
	;; [unrolled: 1-line block ×4, first 2 shown]
	s_waitcnt vmcnt(0) lgkmcnt(0)
	v_mul_f64 v[55:56], v[3:4], v[57:58]
	v_fma_f64 v[55:56], v[1:2], v[53:54], -v[55:56]
	v_mul_f64 v[1:2], v[1:2], v[57:58]
	v_fma_f64 v[1:2], v[3:4], v[53:54], v[1:2]
	buffer_load_dword v4, off, s[0:3], 0 offset:900
	buffer_load_dword v3, off, s[0:3], 0 offset:896
	s_waitcnt vmcnt(0)
	v_add_f64 v[3:4], v[3:4], -v[55:56]
	buffer_load_dword v56, off, s[0:3], 0 offset:908
	buffer_load_dword v55, off, s[0:3], 0 offset:904
	s_waitcnt vmcnt(0)
	v_add_f64 v[1:2], v[55:56], -v[1:2]
	buffer_store_dword v4, off, s[0:3], 0 offset:900
	buffer_store_dword v3, off, s[0:3], 0 offset:896
	buffer_store_dword v2, off, s[0:3], 0 offset:908
	buffer_store_dword v1, off, s[0:3], 0 offset:904
	ds_read2_b64 v[1:4], v121 offset0:114 offset1:115
	s_waitcnt lgkmcnt(0)
	v_mul_f64 v[55:56], v[3:4], v[57:58]
	v_fma_f64 v[55:56], v[1:2], v[53:54], -v[55:56]
	v_mul_f64 v[1:2], v[1:2], v[57:58]
	v_fma_f64 v[1:2], v[3:4], v[53:54], v[1:2]
	buffer_load_dword v3, off, s[0:3], 0 offset:912
	buffer_load_dword v4, off, s[0:3], 0 offset:916
	buffer_load_dword v59, off, s[0:3], 0 offset:920
	buffer_load_dword v60, off, s[0:3], 0 offset:924
	s_waitcnt vmcnt(2)
	v_add_f64 v[3:4], v[3:4], -v[55:56]
	s_waitcnt vmcnt(0)
	v_add_f64 v[1:2], v[59:60], -v[1:2]
	buffer_store_dword v4, off, s[0:3], 0 offset:916
	buffer_store_dword v3, off, s[0:3], 0 offset:912
	buffer_store_dword v2, off, s[0:3], 0 offset:924
	buffer_store_dword v1, off, s[0:3], 0 offset:920
	ds_read2_b64 v[1:4], v121 offset0:116 offset1:117
	s_waitcnt lgkmcnt(0)
	v_mul_f64 v[55:56], v[3:4], v[57:58]
	v_fma_f64 v[55:56], v[1:2], v[53:54], -v[55:56]
	v_mul_f64 v[1:2], v[1:2], v[57:58]
	v_fma_f64 v[1:2], v[3:4], v[53:54], v[1:2]
	buffer_load_dword v3, off, s[0:3], 0 offset:928
	buffer_load_dword v4, off, s[0:3], 0 offset:932
	buffer_load_dword v59, off, s[0:3], 0 offset:936
	buffer_load_dword v60, off, s[0:3], 0 offset:940
	s_waitcnt vmcnt(2)
	v_add_f64 v[3:4], v[3:4], -v[55:56]
	;; [unrolled: 18-line block ×4, first 2 shown]
	s_waitcnt vmcnt(0)
	v_add_f64 v[1:2], v[59:60], -v[1:2]
	buffer_store_dword v4, off, s[0:3], 0 offset:964
	buffer_store_dword v3, off, s[0:3], 0 offset:960
	;; [unrolled: 1-line block ×4, first 2 shown]
	ds_read2_b64 v[1:4], v121 offset0:122 offset1:123
	s_waitcnt lgkmcnt(0)
	v_mul_f64 v[55:56], v[3:4], v[57:58]
	v_fma_f64 v[55:56], v[1:2], v[53:54], -v[55:56]
	v_mul_f64 v[1:2], v[1:2], v[57:58]
	buffer_load_dword v59, off, s[0:3], 0 offset:976
	buffer_load_dword v60, off, s[0:3], 0 offset:980
	;; [unrolled: 1-line block ×4, first 2 shown]
	v_fma_f64 v[53:54], v[3:4], v[53:54], v[1:2]
	s_waitcnt vmcnt(2)
	v_add_f64 v[1:2], v[59:60], -v[55:56]
	s_waitcnt vmcnt(0)
	v_add_f64 v[3:4], v[57:58], -v[53:54]
	buffer_store_dword v2, off, s[0:3], 0 offset:980
	buffer_store_dword v1, off, s[0:3], 0 offset:976
	;; [unrolled: 1-line block ×4, first 2 shown]
.LBB123_509:
	s_or_b64 exec, exec, s[6:7]
	v_cmp_eq_u32_e32 vcc, 44, v0
	s_waitcnt vmcnt(0) lgkmcnt(0)
	s_barrier
	s_and_saveexec_b64 s[8:9], vcc
	s_cbranch_execz .LBB123_516
; %bb.510:
	v_readlane_b32 s6, v126, 15
	v_mov_b32_e32 v4, s6
	buffer_load_dword v1, v4, s[0:3], 0 offen
	buffer_load_dword v2, v4, s[0:3], 0 offen offset:4
	buffer_load_dword v3, v4, s[0:3], 0 offen offset:8
	s_nop 0
	buffer_load_dword v4, v4, s[0:3], 0 offen offset:12
	v_readlane_b32 s6, v126, 16
	s_waitcnt vmcnt(0)
	ds_write2_b64 v125, v[1:2], v[3:4] offset1:1
	v_mov_b32_e32 v4, s28
	buffer_load_dword v1, v4, s[0:3], 0 offen
	buffer_load_dword v2, v4, s[0:3], 0 offen offset:4
	buffer_load_dword v3, v4, s[0:3], 0 offen offset:8
	s_nop 0
	buffer_load_dword v4, v4, s[0:3], 0 offen offset:12
	s_waitcnt vmcnt(0)
	ds_write2_b64 v121, v[1:2], v[3:4] offset0:90 offset1:91
	v_mov_b32_e32 v4, s6
	buffer_load_dword v1, v4, s[0:3], 0 offen
	buffer_load_dword v2, v4, s[0:3], 0 offen offset:4
	buffer_load_dword v3, v4, s[0:3], 0 offen offset:8
	s_nop 0
	buffer_load_dword v4, v4, s[0:3], 0 offen offset:12
	v_readlane_b32 s6, v126, 17
	s_waitcnt vmcnt(0)
	ds_write2_b64 v121, v[1:2], v[3:4] offset0:92 offset1:93
	v_mov_b32_e32 v4, s26
	buffer_load_dword v1, v4, s[0:3], 0 offen
	buffer_load_dword v2, v4, s[0:3], 0 offen offset:4
	buffer_load_dword v3, v4, s[0:3], 0 offen offset:8
	s_nop 0
	buffer_load_dword v4, v4, s[0:3], 0 offen offset:12
	s_waitcnt vmcnt(0)
	ds_write2_b64 v121, v[1:2], v[3:4] offset0:94 offset1:95
	v_mov_b32_e32 v4, s6
	buffer_load_dword v1, v4, s[0:3], 0 offen
	buffer_load_dword v2, v4, s[0:3], 0 offen offset:4
	buffer_load_dword v3, v4, s[0:3], 0 offen offset:8
	s_nop 0
	buffer_load_dword v4, v4, s[0:3], 0 offen offset:12
	v_readlane_b32 s6, v126, 18
	s_waitcnt vmcnt(0)
	ds_write2_b64 v121, v[1:2], v[3:4] offset0:96 offset1:97
	;; [unrolled: 17-line block ×7, first 2 shown]
	v_mov_b32_e32 v4, s14
	buffer_load_dword v1, v4, s[0:3], 0 offen
	buffer_load_dword v2, v4, s[0:3], 0 offen offset:4
	buffer_load_dword v3, v4, s[0:3], 0 offen offset:8
	s_nop 0
	buffer_load_dword v4, v4, s[0:3], 0 offen offset:12
	s_waitcnt vmcnt(0)
	ds_write2_b64 v121, v[1:2], v[3:4] offset0:118 offset1:119
	v_mov_b32_e32 v4, s42
	buffer_load_dword v1, v4, s[0:3], 0 offen
	buffer_load_dword v2, v4, s[0:3], 0 offen offset:4
	buffer_load_dword v3, v4, s[0:3], 0 offen offset:8
	s_nop 0
	buffer_load_dword v4, v4, s[0:3], 0 offen offset:12
	s_waitcnt vmcnt(0)
	ds_write2_b64 v121, v[1:2], v[3:4] offset0:120 offset1:121
	;; [unrolled: 8-line block ×3, first 2 shown]
	ds_read2_b64 v[53:56], v125 offset1:1
	s_waitcnt lgkmcnt(0)
	v_cmp_neq_f64_e32 vcc, 0, v[53:54]
	v_cmp_neq_f64_e64 s[6:7], 0, v[55:56]
	s_or_b64 s[6:7], vcc, s[6:7]
	s_and_b64 exec, exec, s[6:7]
	s_cbranch_execz .LBB123_516
; %bb.511:
	v_cmp_ngt_f64_e64 s[6:7], |v[53:54]|, |v[55:56]|
                                        ; implicit-def: $vgpr1_vgpr2
	s_and_saveexec_b64 s[10:11], s[6:7]
	s_xor_b64 s[6:7], exec, s[10:11]
                                        ; implicit-def: $vgpr3_vgpr4
	s_cbranch_execz .LBB123_513
; %bb.512:
	v_div_scale_f64 v[1:2], s[10:11], v[55:56], v[55:56], v[53:54]
	v_rcp_f64_e32 v[3:4], v[1:2]
	v_fma_f64 v[57:58], -v[1:2], v[3:4], 1.0
	v_fma_f64 v[3:4], v[3:4], v[57:58], v[3:4]
	v_div_scale_f64 v[57:58], vcc, v[53:54], v[55:56], v[53:54]
	v_fma_f64 v[59:60], -v[1:2], v[3:4], 1.0
	v_fma_f64 v[3:4], v[3:4], v[59:60], v[3:4]
	v_mul_f64 v[59:60], v[57:58], v[3:4]
	v_fma_f64 v[1:2], -v[1:2], v[59:60], v[57:58]
	v_div_fmas_f64 v[1:2], v[1:2], v[3:4], v[59:60]
	v_div_fixup_f64 v[1:2], v[1:2], v[55:56], v[53:54]
	v_fma_f64 v[3:4], v[53:54], v[1:2], v[55:56]
	v_div_scale_f64 v[53:54], s[10:11], v[3:4], v[3:4], 1.0
	v_div_scale_f64 v[59:60], vcc, 1.0, v[3:4], 1.0
	v_rcp_f64_e32 v[55:56], v[53:54]
	v_fma_f64 v[57:58], -v[53:54], v[55:56], 1.0
	v_fma_f64 v[55:56], v[55:56], v[57:58], v[55:56]
	v_fma_f64 v[57:58], -v[53:54], v[55:56], 1.0
	v_fma_f64 v[55:56], v[55:56], v[57:58], v[55:56]
	v_mul_f64 v[57:58], v[59:60], v[55:56]
	v_fma_f64 v[53:54], -v[53:54], v[57:58], v[59:60]
	v_div_fmas_f64 v[53:54], v[53:54], v[55:56], v[57:58]
	v_div_fixup_f64 v[3:4], v[53:54], v[3:4], 1.0
                                        ; implicit-def: $vgpr53_vgpr54
	v_mul_f64 v[1:2], v[1:2], v[3:4]
	v_xor_b32_e32 v4, 0x80000000, v4
.LBB123_513:
	s_andn2_saveexec_b64 s[6:7], s[6:7]
	s_cbranch_execz .LBB123_515
; %bb.514:
	v_div_scale_f64 v[1:2], s[10:11], v[53:54], v[53:54], v[55:56]
	v_rcp_f64_e32 v[3:4], v[1:2]
	v_fma_f64 v[57:58], -v[1:2], v[3:4], 1.0
	v_fma_f64 v[3:4], v[3:4], v[57:58], v[3:4]
	v_div_scale_f64 v[57:58], vcc, v[55:56], v[53:54], v[55:56]
	v_fma_f64 v[59:60], -v[1:2], v[3:4], 1.0
	v_fma_f64 v[3:4], v[3:4], v[59:60], v[3:4]
	v_mul_f64 v[59:60], v[57:58], v[3:4]
	v_fma_f64 v[1:2], -v[1:2], v[59:60], v[57:58]
	v_div_fmas_f64 v[1:2], v[1:2], v[3:4], v[59:60]
	v_div_fixup_f64 v[3:4], v[1:2], v[53:54], v[55:56]
	v_fma_f64 v[1:2], v[55:56], v[3:4], v[53:54]
	v_div_scale_f64 v[53:54], s[10:11], v[1:2], v[1:2], 1.0
	v_div_scale_f64 v[59:60], vcc, 1.0, v[1:2], 1.0
	v_rcp_f64_e32 v[55:56], v[53:54]
	v_fma_f64 v[57:58], -v[53:54], v[55:56], 1.0
	v_fma_f64 v[55:56], v[55:56], v[57:58], v[55:56]
	v_fma_f64 v[57:58], -v[53:54], v[55:56], 1.0
	v_fma_f64 v[55:56], v[55:56], v[57:58], v[55:56]
	v_mul_f64 v[57:58], v[59:60], v[55:56]
	v_fma_f64 v[53:54], -v[53:54], v[57:58], v[59:60]
	v_div_fmas_f64 v[53:54], v[53:54], v[55:56], v[57:58]
	v_div_fixup_f64 v[1:2], v[53:54], v[1:2], 1.0
	v_mul_f64 v[3:4], v[3:4], -v[1:2]
.LBB123_515:
	s_or_b64 exec, exec, s[6:7]
	ds_write2_b64 v125, v[1:2], v[3:4] offset1:1
.LBB123_516:
	s_or_b64 exec, exec, s[8:9]
	s_waitcnt lgkmcnt(0)
	s_barrier
	ds_read2_b64 v[53:56], v125 offset1:1
	v_cmp_lt_u32_e32 vcc, 44, v0
	s_and_saveexec_b64 s[6:7], vcc
	s_cbranch_execz .LBB123_518
; %bb.517:
	buffer_load_dword v1, off, s[0:3], 0 offset:704
	buffer_load_dword v2, off, s[0:3], 0 offset:708
	;; [unrolled: 1-line block ×16, first 2 shown]
	s_waitcnt vmcnt(12) lgkmcnt(0)
	v_mul_f64 v[57:58], v[55:56], v[3:4]
	v_mul_f64 v[3:4], v[53:54], v[3:4]
	v_fma_f64 v[57:58], v[53:54], v[1:2], -v[57:58]
	v_fma_f64 v[59:60], v[55:56], v[1:2], v[3:4]
	buffer_store_dword v57, off, s[0:3], 0 offset:704
	buffer_store_dword v58, off, s[0:3], 0 offset:708
	buffer_store_dword v59, off, s[0:3], 0 offset:712
	buffer_store_dword v60, off, s[0:3], 0 offset:716
	ds_read2_b64 v[1:4], v121 offset0:90 offset1:91
	s_waitcnt lgkmcnt(0)
	v_mul_f64 v[73:74], v[3:4], v[59:60]
	v_fma_f64 v[73:74], v[1:2], v[57:58], -v[73:74]
	v_mul_f64 v[1:2], v[1:2], v[59:60]
	v_fma_f64 v[1:2], v[3:4], v[57:58], v[1:2]
	s_waitcnt vmcnt(14)
	v_add_f64 v[3:4], v[61:62], -v[73:74]
	s_waitcnt vmcnt(12)
	v_add_f64 v[1:2], v[63:64], -v[1:2]
	buffer_store_dword v3, off, s[0:3], 0 offset:720
	buffer_store_dword v4, off, s[0:3], 0 offset:724
	buffer_store_dword v1, off, s[0:3], 0 offset:728
	buffer_store_dword v2, off, s[0:3], 0 offset:732
	ds_read2_b64 v[1:4], v121 offset0:92 offset1:93
	s_waitcnt lgkmcnt(0)
	v_mul_f64 v[61:62], v[3:4], v[59:60]
	v_fma_f64 v[61:62], v[1:2], v[57:58], -v[61:62]
	v_mul_f64 v[1:2], v[1:2], v[59:60]
	v_fma_f64 v[1:2], v[3:4], v[57:58], v[1:2]
	s_waitcnt vmcnt(14)
	v_add_f64 v[3:4], v[65:66], -v[61:62]
	s_waitcnt vmcnt(12)
	v_add_f64 v[1:2], v[67:68], -v[1:2]
	;; [unrolled: 14-line block ×3, first 2 shown]
	buffer_store_dword v4, off, s[0:3], 0 offset:756
	buffer_store_dword v3, off, s[0:3], 0 offset:752
	buffer_store_dword v1, off, s[0:3], 0 offset:760
	buffer_store_dword v2, off, s[0:3], 0 offset:764
	ds_read2_b64 v[1:4], v121 offset0:96 offset1:97
	s_waitcnt lgkmcnt(0)
	v_mul_f64 v[61:62], v[3:4], v[59:60]
	v_fma_f64 v[61:62], v[1:2], v[57:58], -v[61:62]
	v_mul_f64 v[1:2], v[1:2], v[59:60]
	v_fma_f64 v[1:2], v[3:4], v[57:58], v[1:2]
	buffer_load_dword v3, off, s[0:3], 0 offset:768
	buffer_load_dword v4, off, s[0:3], 0 offset:772
	buffer_load_dword v63, off, s[0:3], 0 offset:776
	buffer_load_dword v64, off, s[0:3], 0 offset:780
	s_waitcnt vmcnt(2)
	v_add_f64 v[3:4], v[3:4], -v[61:62]
	s_waitcnt vmcnt(0)
	v_add_f64 v[1:2], v[63:64], -v[1:2]
	buffer_store_dword v4, off, s[0:3], 0 offset:772
	buffer_store_dword v3, off, s[0:3], 0 offset:768
	buffer_store_dword v2, off, s[0:3], 0 offset:780
	buffer_store_dword v1, off, s[0:3], 0 offset:776
	ds_read2_b64 v[1:4], v121 offset0:98 offset1:99
	s_waitcnt lgkmcnt(0)
	v_mul_f64 v[61:62], v[3:4], v[59:60]
	v_fma_f64 v[61:62], v[1:2], v[57:58], -v[61:62]
	v_mul_f64 v[1:2], v[1:2], v[59:60]
	v_fma_f64 v[1:2], v[3:4], v[57:58], v[1:2]
	buffer_load_dword v3, off, s[0:3], 0 offset:784
	buffer_load_dword v4, off, s[0:3], 0 offset:788
	buffer_load_dword v63, off, s[0:3], 0 offset:792
	buffer_load_dword v64, off, s[0:3], 0 offset:796
	s_waitcnt vmcnt(2)
	v_add_f64 v[3:4], v[3:4], -v[61:62]
	s_waitcnt vmcnt(0)
	v_add_f64 v[1:2], v[63:64], -v[1:2]
	;; [unrolled: 18-line block ×3, first 2 shown]
	buffer_store_dword v4, off, s[0:3], 0 offset:804
	buffer_store_dword v3, off, s[0:3], 0 offset:800
	;; [unrolled: 1-line block ×4, first 2 shown]
	ds_read2_b64 v[1:4], v121 offset0:102 offset1:103
	buffer_load_dword v57, off, s[0:3], 0 offset:704
	buffer_load_dword v58, off, s[0:3], 0 offset:708
	;; [unrolled: 1-line block ×4, first 2 shown]
	s_waitcnt vmcnt(0) lgkmcnt(0)
	v_mul_f64 v[61:62], v[3:4], v[59:60]
	v_fma_f64 v[61:62], v[1:2], v[57:58], -v[61:62]
	v_mul_f64 v[1:2], v[1:2], v[59:60]
	v_fma_f64 v[1:2], v[3:4], v[57:58], v[1:2]
	buffer_load_dword v4, off, s[0:3], 0 offset:820
	buffer_load_dword v3, off, s[0:3], 0 offset:816
	s_waitcnt vmcnt(0)
	v_add_f64 v[3:4], v[3:4], -v[61:62]
	buffer_load_dword v62, off, s[0:3], 0 offset:828
	buffer_load_dword v61, off, s[0:3], 0 offset:824
	s_waitcnt vmcnt(0)
	v_add_f64 v[1:2], v[61:62], -v[1:2]
	buffer_store_dword v4, off, s[0:3], 0 offset:820
	buffer_store_dword v3, off, s[0:3], 0 offset:816
	buffer_store_dword v2, off, s[0:3], 0 offset:828
	buffer_store_dword v1, off, s[0:3], 0 offset:824
	ds_read2_b64 v[1:4], v121 offset0:104 offset1:105
	s_waitcnt lgkmcnt(0)
	v_mul_f64 v[61:62], v[3:4], v[59:60]
	v_fma_f64 v[61:62], v[1:2], v[57:58], -v[61:62]
	v_mul_f64 v[1:2], v[1:2], v[59:60]
	v_fma_f64 v[1:2], v[3:4], v[57:58], v[1:2]
	buffer_load_dword v3, off, s[0:3], 0 offset:832
	buffer_load_dword v4, off, s[0:3], 0 offset:836
	buffer_load_dword v63, off, s[0:3], 0 offset:840
	buffer_load_dword v64, off, s[0:3], 0 offset:844
	s_waitcnt vmcnt(2)
	v_add_f64 v[3:4], v[3:4], -v[61:62]
	s_waitcnt vmcnt(0)
	v_add_f64 v[1:2], v[63:64], -v[1:2]
	buffer_store_dword v4, off, s[0:3], 0 offset:836
	buffer_store_dword v3, off, s[0:3], 0 offset:832
	buffer_store_dword v2, off, s[0:3], 0 offset:844
	buffer_store_dword v1, off, s[0:3], 0 offset:840
	ds_read2_b64 v[1:4], v121 offset0:106 offset1:107
	s_waitcnt lgkmcnt(0)
	v_mul_f64 v[61:62], v[3:4], v[59:60]
	v_fma_f64 v[61:62], v[1:2], v[57:58], -v[61:62]
	v_mul_f64 v[1:2], v[1:2], v[59:60]
	v_fma_f64 v[1:2], v[3:4], v[57:58], v[1:2]
	buffer_load_dword v3, off, s[0:3], 0 offset:848
	buffer_load_dword v4, off, s[0:3], 0 offset:852
	buffer_load_dword v63, off, s[0:3], 0 offset:856
	buffer_load_dword v64, off, s[0:3], 0 offset:860
	s_waitcnt vmcnt(2)
	v_add_f64 v[3:4], v[3:4], -v[61:62]
	;; [unrolled: 18-line block ×5, first 2 shown]
	s_waitcnt vmcnt(0)
	v_add_f64 v[1:2], v[57:58], -v[1:2]
	buffer_store_dword v4, off, s[0:3], 0 offset:900
	buffer_store_dword v3, off, s[0:3], 0 offset:896
	;; [unrolled: 1-line block ×4, first 2 shown]
	ds_read2_b64 v[1:4], v121 offset0:114 offset1:115
	buffer_load_dword v57, off, s[0:3], 0 offset:704
	buffer_load_dword v58, off, s[0:3], 0 offset:708
	;; [unrolled: 1-line block ×4, first 2 shown]
	s_waitcnt vmcnt(0) lgkmcnt(0)
	v_mul_f64 v[59:60], v[3:4], v[61:62]
	v_fma_f64 v[59:60], v[1:2], v[57:58], -v[59:60]
	v_mul_f64 v[1:2], v[1:2], v[61:62]
	v_fma_f64 v[1:2], v[3:4], v[57:58], v[1:2]
	buffer_load_dword v4, off, s[0:3], 0 offset:916
	buffer_load_dword v3, off, s[0:3], 0 offset:912
	s_waitcnt vmcnt(0)
	v_add_f64 v[3:4], v[3:4], -v[59:60]
	buffer_load_dword v60, off, s[0:3], 0 offset:924
	buffer_load_dword v59, off, s[0:3], 0 offset:920
	s_waitcnt vmcnt(0)
	v_add_f64 v[1:2], v[59:60], -v[1:2]
	buffer_store_dword v4, off, s[0:3], 0 offset:916
	buffer_store_dword v3, off, s[0:3], 0 offset:912
	buffer_store_dword v2, off, s[0:3], 0 offset:924
	buffer_store_dword v1, off, s[0:3], 0 offset:920
	ds_read2_b64 v[1:4], v121 offset0:116 offset1:117
	s_waitcnt lgkmcnt(0)
	v_mul_f64 v[59:60], v[3:4], v[61:62]
	v_fma_f64 v[59:60], v[1:2], v[57:58], -v[59:60]
	v_mul_f64 v[1:2], v[1:2], v[61:62]
	v_fma_f64 v[1:2], v[3:4], v[57:58], v[1:2]
	buffer_load_dword v3, off, s[0:3], 0 offset:928
	buffer_load_dword v4, off, s[0:3], 0 offset:932
	buffer_load_dword v63, off, s[0:3], 0 offset:936
	buffer_load_dword v64, off, s[0:3], 0 offset:940
	s_waitcnt vmcnt(2)
	v_add_f64 v[3:4], v[3:4], -v[59:60]
	s_waitcnt vmcnt(0)
	v_add_f64 v[1:2], v[63:64], -v[1:2]
	buffer_store_dword v4, off, s[0:3], 0 offset:932
	buffer_store_dword v3, off, s[0:3], 0 offset:928
	buffer_store_dword v2, off, s[0:3], 0 offset:940
	buffer_store_dword v1, off, s[0:3], 0 offset:936
	ds_read2_b64 v[1:4], v121 offset0:118 offset1:119
	s_waitcnt lgkmcnt(0)
	v_mul_f64 v[59:60], v[3:4], v[61:62]
	v_fma_f64 v[59:60], v[1:2], v[57:58], -v[59:60]
	v_mul_f64 v[1:2], v[1:2], v[61:62]
	v_fma_f64 v[1:2], v[3:4], v[57:58], v[1:2]
	buffer_load_dword v3, off, s[0:3], 0 offset:944
	buffer_load_dword v4, off, s[0:3], 0 offset:948
	buffer_load_dword v63, off, s[0:3], 0 offset:952
	buffer_load_dword v64, off, s[0:3], 0 offset:956
	s_waitcnt vmcnt(2)
	v_add_f64 v[3:4], v[3:4], -v[59:60]
	;; [unrolled: 18-line block ×3, first 2 shown]
	s_waitcnt vmcnt(0)
	v_add_f64 v[1:2], v[63:64], -v[1:2]
	buffer_store_dword v4, off, s[0:3], 0 offset:964
	buffer_store_dword v3, off, s[0:3], 0 offset:960
	;; [unrolled: 1-line block ×4, first 2 shown]
	ds_read2_b64 v[1:4], v121 offset0:122 offset1:123
	s_waitcnt lgkmcnt(0)
	v_mul_f64 v[59:60], v[3:4], v[61:62]
	v_fma_f64 v[59:60], v[1:2], v[57:58], -v[59:60]
	v_mul_f64 v[1:2], v[1:2], v[61:62]
	buffer_load_dword v63, off, s[0:3], 0 offset:976
	buffer_load_dword v64, off, s[0:3], 0 offset:980
	;; [unrolled: 1-line block ×4, first 2 shown]
	v_fma_f64 v[57:58], v[3:4], v[57:58], v[1:2]
	s_waitcnt vmcnt(2)
	v_add_f64 v[1:2], v[63:64], -v[59:60]
	s_waitcnt vmcnt(0)
	v_add_f64 v[3:4], v[61:62], -v[57:58]
	buffer_store_dword v2, off, s[0:3], 0 offset:980
	buffer_store_dword v1, off, s[0:3], 0 offset:976
	;; [unrolled: 1-line block ×4, first 2 shown]
.LBB123_518:
	s_or_b64 exec, exec, s[6:7]
	v_cmp_eq_u32_e32 vcc, 45, v0
	s_waitcnt vmcnt(0) lgkmcnt(0)
	s_barrier
	s_and_saveexec_b64 s[8:9], vcc
	s_cbranch_execz .LBB123_525
; %bb.519:
	v_mov_b32_e32 v4, s28
	buffer_load_dword v1, v4, s[0:3], 0 offen
	buffer_load_dword v2, v4, s[0:3], 0 offen offset:4
	buffer_load_dword v3, v4, s[0:3], 0 offen offset:8
	s_nop 0
	buffer_load_dword v4, v4, s[0:3], 0 offen offset:12
	v_readlane_b32 s6, v126, 16
	s_waitcnt vmcnt(0)
	ds_write2_b64 v125, v[1:2], v[3:4] offset1:1
	v_mov_b32_e32 v4, s6
	buffer_load_dword v1, v4, s[0:3], 0 offen
	buffer_load_dword v2, v4, s[0:3], 0 offen offset:4
	buffer_load_dword v3, v4, s[0:3], 0 offen offset:8
	s_nop 0
	buffer_load_dword v4, v4, s[0:3], 0 offen offset:12
	v_readlane_b32 s6, v126, 17
	s_waitcnt vmcnt(0)
	ds_write2_b64 v121, v[1:2], v[3:4] offset0:92 offset1:93
	v_mov_b32_e32 v4, s26
	buffer_load_dword v1, v4, s[0:3], 0 offen
	buffer_load_dword v2, v4, s[0:3], 0 offen offset:4
	buffer_load_dword v3, v4, s[0:3], 0 offen offset:8
	s_nop 0
	buffer_load_dword v4, v4, s[0:3], 0 offen offset:12
	s_waitcnt vmcnt(0)
	ds_write2_b64 v121, v[1:2], v[3:4] offset0:94 offset1:95
	v_mov_b32_e32 v4, s6
	buffer_load_dword v1, v4, s[0:3], 0 offen
	buffer_load_dword v2, v4, s[0:3], 0 offen offset:4
	buffer_load_dword v3, v4, s[0:3], 0 offen offset:8
	s_nop 0
	buffer_load_dword v4, v4, s[0:3], 0 offen offset:12
	v_readlane_b32 s6, v126, 18
	s_waitcnt vmcnt(0)
	ds_write2_b64 v121, v[1:2], v[3:4] offset0:96 offset1:97
	v_mov_b32_e32 v4, s24
	buffer_load_dword v1, v4, s[0:3], 0 offen
	buffer_load_dword v2, v4, s[0:3], 0 offen offset:4
	buffer_load_dword v3, v4, s[0:3], 0 offen offset:8
	s_nop 0
	buffer_load_dword v4, v4, s[0:3], 0 offen offset:12
	s_waitcnt vmcnt(0)
	ds_write2_b64 v121, v[1:2], v[3:4] offset0:98 offset1:99
	;; [unrolled: 17-line block ×7, first 2 shown]
	v_mov_b32_e32 v4, s42
	buffer_load_dword v1, v4, s[0:3], 0 offen
	buffer_load_dword v2, v4, s[0:3], 0 offen offset:4
	buffer_load_dword v3, v4, s[0:3], 0 offen offset:8
	s_nop 0
	buffer_load_dword v4, v4, s[0:3], 0 offen offset:12
	s_waitcnt vmcnt(0)
	ds_write2_b64 v121, v[1:2], v[3:4] offset0:120 offset1:121
	v_mov_b32_e32 v4, s6
	buffer_load_dword v1, v4, s[0:3], 0 offen
	buffer_load_dword v2, v4, s[0:3], 0 offen offset:4
	buffer_load_dword v3, v4, s[0:3], 0 offen offset:8
	s_nop 0
	buffer_load_dword v4, v4, s[0:3], 0 offen offset:12
	s_waitcnt vmcnt(0)
	ds_write2_b64 v121, v[1:2], v[3:4] offset0:122 offset1:123
	ds_read2_b64 v[57:60], v125 offset1:1
	s_waitcnt lgkmcnt(0)
	v_cmp_neq_f64_e32 vcc, 0, v[57:58]
	v_cmp_neq_f64_e64 s[6:7], 0, v[59:60]
	s_or_b64 s[6:7], vcc, s[6:7]
	s_and_b64 exec, exec, s[6:7]
	s_cbranch_execz .LBB123_525
; %bb.520:
	v_cmp_ngt_f64_e64 s[6:7], |v[57:58]|, |v[59:60]|
                                        ; implicit-def: $vgpr1_vgpr2
	s_and_saveexec_b64 s[10:11], s[6:7]
	s_xor_b64 s[6:7], exec, s[10:11]
                                        ; implicit-def: $vgpr3_vgpr4
	s_cbranch_execz .LBB123_522
; %bb.521:
	v_div_scale_f64 v[1:2], s[10:11], v[59:60], v[59:60], v[57:58]
	v_rcp_f64_e32 v[3:4], v[1:2]
	v_fma_f64 v[61:62], -v[1:2], v[3:4], 1.0
	v_fma_f64 v[3:4], v[3:4], v[61:62], v[3:4]
	v_div_scale_f64 v[61:62], vcc, v[57:58], v[59:60], v[57:58]
	v_fma_f64 v[63:64], -v[1:2], v[3:4], 1.0
	v_fma_f64 v[3:4], v[3:4], v[63:64], v[3:4]
	v_mul_f64 v[63:64], v[61:62], v[3:4]
	v_fma_f64 v[1:2], -v[1:2], v[63:64], v[61:62]
	v_div_fmas_f64 v[1:2], v[1:2], v[3:4], v[63:64]
	v_div_fixup_f64 v[1:2], v[1:2], v[59:60], v[57:58]
	v_fma_f64 v[3:4], v[57:58], v[1:2], v[59:60]
	v_div_scale_f64 v[57:58], s[10:11], v[3:4], v[3:4], 1.0
	v_div_scale_f64 v[63:64], vcc, 1.0, v[3:4], 1.0
	v_rcp_f64_e32 v[59:60], v[57:58]
	v_fma_f64 v[61:62], -v[57:58], v[59:60], 1.0
	v_fma_f64 v[59:60], v[59:60], v[61:62], v[59:60]
	v_fma_f64 v[61:62], -v[57:58], v[59:60], 1.0
	v_fma_f64 v[59:60], v[59:60], v[61:62], v[59:60]
	v_mul_f64 v[61:62], v[63:64], v[59:60]
	v_fma_f64 v[57:58], -v[57:58], v[61:62], v[63:64]
	v_div_fmas_f64 v[57:58], v[57:58], v[59:60], v[61:62]
	v_div_fixup_f64 v[3:4], v[57:58], v[3:4], 1.0
                                        ; implicit-def: $vgpr57_vgpr58
	v_mul_f64 v[1:2], v[1:2], v[3:4]
	v_xor_b32_e32 v4, 0x80000000, v4
.LBB123_522:
	s_andn2_saveexec_b64 s[6:7], s[6:7]
	s_cbranch_execz .LBB123_524
; %bb.523:
	v_div_scale_f64 v[1:2], s[10:11], v[57:58], v[57:58], v[59:60]
	v_rcp_f64_e32 v[3:4], v[1:2]
	v_fma_f64 v[61:62], -v[1:2], v[3:4], 1.0
	v_fma_f64 v[3:4], v[3:4], v[61:62], v[3:4]
	v_div_scale_f64 v[61:62], vcc, v[59:60], v[57:58], v[59:60]
	v_fma_f64 v[63:64], -v[1:2], v[3:4], 1.0
	v_fma_f64 v[3:4], v[3:4], v[63:64], v[3:4]
	v_mul_f64 v[63:64], v[61:62], v[3:4]
	v_fma_f64 v[1:2], -v[1:2], v[63:64], v[61:62]
	v_div_fmas_f64 v[1:2], v[1:2], v[3:4], v[63:64]
	v_div_fixup_f64 v[3:4], v[1:2], v[57:58], v[59:60]
	v_fma_f64 v[1:2], v[59:60], v[3:4], v[57:58]
	v_div_scale_f64 v[57:58], s[10:11], v[1:2], v[1:2], 1.0
	v_div_scale_f64 v[63:64], vcc, 1.0, v[1:2], 1.0
	v_rcp_f64_e32 v[59:60], v[57:58]
	v_fma_f64 v[61:62], -v[57:58], v[59:60], 1.0
	v_fma_f64 v[59:60], v[59:60], v[61:62], v[59:60]
	v_fma_f64 v[61:62], -v[57:58], v[59:60], 1.0
	v_fma_f64 v[59:60], v[59:60], v[61:62], v[59:60]
	v_mul_f64 v[61:62], v[63:64], v[59:60]
	v_fma_f64 v[57:58], -v[57:58], v[61:62], v[63:64]
	v_div_fmas_f64 v[57:58], v[57:58], v[59:60], v[61:62]
	v_div_fixup_f64 v[1:2], v[57:58], v[1:2], 1.0
	v_mul_f64 v[3:4], v[3:4], -v[1:2]
.LBB123_524:
	s_or_b64 exec, exec, s[6:7]
	ds_write2_b64 v125, v[1:2], v[3:4] offset1:1
.LBB123_525:
	s_or_b64 exec, exec, s[8:9]
	s_waitcnt lgkmcnt(0)
	s_barrier
	ds_read2_b64 v[57:60], v125 offset1:1
	v_cmp_lt_u32_e32 vcc, 45, v0
	s_and_saveexec_b64 s[6:7], vcc
	s_cbranch_execz .LBB123_527
; %bb.526:
	buffer_load_dword v1, off, s[0:3], 0 offset:720
	buffer_load_dword v2, off, s[0:3], 0 offset:724
	;; [unrolled: 1-line block ×16, first 2 shown]
	s_waitcnt vmcnt(12) lgkmcnt(0)
	v_mul_f64 v[61:62], v[59:60], v[3:4]
	v_mul_f64 v[3:4], v[57:58], v[3:4]
	v_fma_f64 v[61:62], v[57:58], v[1:2], -v[61:62]
	v_fma_f64 v[63:64], v[59:60], v[1:2], v[3:4]
	buffer_store_dword v61, off, s[0:3], 0 offset:720
	buffer_store_dword v62, off, s[0:3], 0 offset:724
	buffer_store_dword v63, off, s[0:3], 0 offset:728
	buffer_store_dword v64, off, s[0:3], 0 offset:732
	ds_read2_b64 v[1:4], v121 offset0:92 offset1:93
	s_waitcnt lgkmcnt(0)
	v_mul_f64 v[77:78], v[3:4], v[63:64]
	v_fma_f64 v[77:78], v[1:2], v[61:62], -v[77:78]
	v_mul_f64 v[1:2], v[1:2], v[63:64]
	v_fma_f64 v[1:2], v[3:4], v[61:62], v[1:2]
	s_waitcnt vmcnt(14)
	v_add_f64 v[3:4], v[65:66], -v[77:78]
	s_waitcnt vmcnt(12)
	v_add_f64 v[1:2], v[67:68], -v[1:2]
	buffer_store_dword v3, off, s[0:3], 0 offset:736
	buffer_store_dword v4, off, s[0:3], 0 offset:740
	buffer_store_dword v1, off, s[0:3], 0 offset:744
	buffer_store_dword v2, off, s[0:3], 0 offset:748
	ds_read2_b64 v[1:4], v121 offset0:94 offset1:95
	s_waitcnt lgkmcnt(0)
	v_mul_f64 v[65:66], v[3:4], v[63:64]
	v_fma_f64 v[65:66], v[1:2], v[61:62], -v[65:66]
	v_mul_f64 v[1:2], v[1:2], v[63:64]
	v_fma_f64 v[1:2], v[3:4], v[61:62], v[1:2]
	s_waitcnt vmcnt(14)
	v_add_f64 v[3:4], v[69:70], -v[65:66]
	s_waitcnt vmcnt(12)
	v_add_f64 v[1:2], v[71:72], -v[1:2]
	;; [unrolled: 14-line block ×3, first 2 shown]
	buffer_store_dword v4, off, s[0:3], 0 offset:772
	buffer_store_dword v3, off, s[0:3], 0 offset:768
	buffer_store_dword v1, off, s[0:3], 0 offset:776
	buffer_store_dword v2, off, s[0:3], 0 offset:780
	ds_read2_b64 v[1:4], v121 offset0:98 offset1:99
	s_waitcnt lgkmcnt(0)
	v_mul_f64 v[65:66], v[3:4], v[63:64]
	v_fma_f64 v[65:66], v[1:2], v[61:62], -v[65:66]
	v_mul_f64 v[1:2], v[1:2], v[63:64]
	v_fma_f64 v[1:2], v[3:4], v[61:62], v[1:2]
	buffer_load_dword v3, off, s[0:3], 0 offset:784
	buffer_load_dword v4, off, s[0:3], 0 offset:788
	buffer_load_dword v67, off, s[0:3], 0 offset:792
	buffer_load_dword v68, off, s[0:3], 0 offset:796
	s_waitcnt vmcnt(2)
	v_add_f64 v[3:4], v[3:4], -v[65:66]
	s_waitcnt vmcnt(0)
	v_add_f64 v[1:2], v[67:68], -v[1:2]
	buffer_store_dword v4, off, s[0:3], 0 offset:788
	buffer_store_dword v3, off, s[0:3], 0 offset:784
	buffer_store_dword v2, off, s[0:3], 0 offset:796
	buffer_store_dword v1, off, s[0:3], 0 offset:792
	ds_read2_b64 v[1:4], v121 offset0:100 offset1:101
	s_waitcnt lgkmcnt(0)
	v_mul_f64 v[65:66], v[3:4], v[63:64]
	v_fma_f64 v[65:66], v[1:2], v[61:62], -v[65:66]
	v_mul_f64 v[1:2], v[1:2], v[63:64]
	v_fma_f64 v[1:2], v[3:4], v[61:62], v[1:2]
	buffer_load_dword v3, off, s[0:3], 0 offset:800
	buffer_load_dword v4, off, s[0:3], 0 offset:804
	buffer_load_dword v67, off, s[0:3], 0 offset:808
	buffer_load_dword v68, off, s[0:3], 0 offset:812
	s_waitcnt vmcnt(2)
	v_add_f64 v[3:4], v[3:4], -v[65:66]
	s_waitcnt vmcnt(0)
	v_add_f64 v[1:2], v[67:68], -v[1:2]
	;; [unrolled: 18-line block ×3, first 2 shown]
	buffer_store_dword v4, off, s[0:3], 0 offset:820
	buffer_store_dword v3, off, s[0:3], 0 offset:816
	;; [unrolled: 1-line block ×4, first 2 shown]
	ds_read2_b64 v[1:4], v121 offset0:104 offset1:105
	buffer_load_dword v61, off, s[0:3], 0 offset:720
	buffer_load_dword v62, off, s[0:3], 0 offset:724
	;; [unrolled: 1-line block ×4, first 2 shown]
	s_waitcnt vmcnt(0) lgkmcnt(0)
	v_mul_f64 v[65:66], v[3:4], v[63:64]
	v_fma_f64 v[65:66], v[1:2], v[61:62], -v[65:66]
	v_mul_f64 v[1:2], v[1:2], v[63:64]
	v_fma_f64 v[1:2], v[3:4], v[61:62], v[1:2]
	buffer_load_dword v4, off, s[0:3], 0 offset:836
	buffer_load_dword v3, off, s[0:3], 0 offset:832
	s_waitcnt vmcnt(0)
	v_add_f64 v[3:4], v[3:4], -v[65:66]
	buffer_load_dword v66, off, s[0:3], 0 offset:844
	buffer_load_dword v65, off, s[0:3], 0 offset:840
	s_waitcnt vmcnt(0)
	v_add_f64 v[1:2], v[65:66], -v[1:2]
	buffer_store_dword v4, off, s[0:3], 0 offset:836
	buffer_store_dword v3, off, s[0:3], 0 offset:832
	buffer_store_dword v2, off, s[0:3], 0 offset:844
	buffer_store_dword v1, off, s[0:3], 0 offset:840
	ds_read2_b64 v[1:4], v121 offset0:106 offset1:107
	s_waitcnt lgkmcnt(0)
	v_mul_f64 v[65:66], v[3:4], v[63:64]
	v_fma_f64 v[65:66], v[1:2], v[61:62], -v[65:66]
	v_mul_f64 v[1:2], v[1:2], v[63:64]
	v_fma_f64 v[1:2], v[3:4], v[61:62], v[1:2]
	buffer_load_dword v3, off, s[0:3], 0 offset:848
	buffer_load_dword v4, off, s[0:3], 0 offset:852
	buffer_load_dword v67, off, s[0:3], 0 offset:856
	buffer_load_dword v68, off, s[0:3], 0 offset:860
	s_waitcnt vmcnt(2)
	v_add_f64 v[3:4], v[3:4], -v[65:66]
	s_waitcnt vmcnt(0)
	v_add_f64 v[1:2], v[67:68], -v[1:2]
	buffer_store_dword v4, off, s[0:3], 0 offset:852
	buffer_store_dword v3, off, s[0:3], 0 offset:848
	buffer_store_dword v2, off, s[0:3], 0 offset:860
	buffer_store_dword v1, off, s[0:3], 0 offset:856
	ds_read2_b64 v[1:4], v121 offset0:108 offset1:109
	s_waitcnt lgkmcnt(0)
	v_mul_f64 v[65:66], v[3:4], v[63:64]
	v_fma_f64 v[65:66], v[1:2], v[61:62], -v[65:66]
	v_mul_f64 v[1:2], v[1:2], v[63:64]
	v_fma_f64 v[1:2], v[3:4], v[61:62], v[1:2]
	buffer_load_dword v3, off, s[0:3], 0 offset:864
	buffer_load_dword v4, off, s[0:3], 0 offset:868
	buffer_load_dword v67, off, s[0:3], 0 offset:872
	buffer_load_dword v68, off, s[0:3], 0 offset:876
	s_waitcnt vmcnt(2)
	v_add_f64 v[3:4], v[3:4], -v[65:66]
	;; [unrolled: 18-line block ×5, first 2 shown]
	s_waitcnt vmcnt(0)
	v_add_f64 v[1:2], v[61:62], -v[1:2]
	buffer_store_dword v4, off, s[0:3], 0 offset:916
	buffer_store_dword v3, off, s[0:3], 0 offset:912
	;; [unrolled: 1-line block ×4, first 2 shown]
	ds_read2_b64 v[1:4], v121 offset0:116 offset1:117
	buffer_load_dword v61, off, s[0:3], 0 offset:720
	buffer_load_dword v62, off, s[0:3], 0 offset:724
	;; [unrolled: 1-line block ×4, first 2 shown]
	s_waitcnt vmcnt(0) lgkmcnt(0)
	v_mul_f64 v[63:64], v[3:4], v[65:66]
	v_fma_f64 v[63:64], v[1:2], v[61:62], -v[63:64]
	v_mul_f64 v[1:2], v[1:2], v[65:66]
	v_fma_f64 v[1:2], v[3:4], v[61:62], v[1:2]
	buffer_load_dword v4, off, s[0:3], 0 offset:932
	buffer_load_dword v3, off, s[0:3], 0 offset:928
	s_waitcnt vmcnt(0)
	v_add_f64 v[3:4], v[3:4], -v[63:64]
	buffer_load_dword v64, off, s[0:3], 0 offset:940
	buffer_load_dword v63, off, s[0:3], 0 offset:936
	s_waitcnt vmcnt(0)
	v_add_f64 v[1:2], v[63:64], -v[1:2]
	buffer_store_dword v4, off, s[0:3], 0 offset:932
	buffer_store_dword v3, off, s[0:3], 0 offset:928
	;; [unrolled: 1-line block ×4, first 2 shown]
	ds_read2_b64 v[1:4], v121 offset0:118 offset1:119
	s_waitcnt lgkmcnt(0)
	v_mul_f64 v[63:64], v[3:4], v[65:66]
	v_fma_f64 v[63:64], v[1:2], v[61:62], -v[63:64]
	v_mul_f64 v[1:2], v[1:2], v[65:66]
	v_fma_f64 v[1:2], v[3:4], v[61:62], v[1:2]
	buffer_load_dword v3, off, s[0:3], 0 offset:944
	buffer_load_dword v4, off, s[0:3], 0 offset:948
	;; [unrolled: 1-line block ×4, first 2 shown]
	s_waitcnt vmcnt(2)
	v_add_f64 v[3:4], v[3:4], -v[63:64]
	s_waitcnt vmcnt(0)
	v_add_f64 v[1:2], v[67:68], -v[1:2]
	buffer_store_dword v4, off, s[0:3], 0 offset:948
	buffer_store_dword v3, off, s[0:3], 0 offset:944
	;; [unrolled: 1-line block ×4, first 2 shown]
	ds_read2_b64 v[1:4], v121 offset0:120 offset1:121
	s_waitcnt lgkmcnt(0)
	v_mul_f64 v[63:64], v[3:4], v[65:66]
	v_fma_f64 v[63:64], v[1:2], v[61:62], -v[63:64]
	v_mul_f64 v[1:2], v[1:2], v[65:66]
	v_fma_f64 v[1:2], v[3:4], v[61:62], v[1:2]
	buffer_load_dword v3, off, s[0:3], 0 offset:960
	buffer_load_dword v4, off, s[0:3], 0 offset:964
	;; [unrolled: 1-line block ×4, first 2 shown]
	s_waitcnt vmcnt(2)
	v_add_f64 v[3:4], v[3:4], -v[63:64]
	s_waitcnt vmcnt(0)
	v_add_f64 v[1:2], v[67:68], -v[1:2]
	buffer_store_dword v4, off, s[0:3], 0 offset:964
	buffer_store_dword v3, off, s[0:3], 0 offset:960
	;; [unrolled: 1-line block ×4, first 2 shown]
	ds_read2_b64 v[1:4], v121 offset0:122 offset1:123
	s_waitcnt lgkmcnt(0)
	v_mul_f64 v[63:64], v[3:4], v[65:66]
	v_fma_f64 v[63:64], v[1:2], v[61:62], -v[63:64]
	v_mul_f64 v[1:2], v[1:2], v[65:66]
	buffer_load_dword v67, off, s[0:3], 0 offset:976
	buffer_load_dword v68, off, s[0:3], 0 offset:980
	;; [unrolled: 1-line block ×4, first 2 shown]
	v_fma_f64 v[61:62], v[3:4], v[61:62], v[1:2]
	s_waitcnt vmcnt(2)
	v_add_f64 v[1:2], v[67:68], -v[63:64]
	s_waitcnt vmcnt(0)
	v_add_f64 v[3:4], v[65:66], -v[61:62]
	buffer_store_dword v2, off, s[0:3], 0 offset:980
	buffer_store_dword v1, off, s[0:3], 0 offset:976
	;; [unrolled: 1-line block ×4, first 2 shown]
.LBB123_527:
	s_or_b64 exec, exec, s[6:7]
	v_cmp_eq_u32_e32 vcc, 46, v0
	s_waitcnt vmcnt(0) lgkmcnt(0)
	s_barrier
	s_and_saveexec_b64 s[8:9], vcc
	s_cbranch_execz .LBB123_534
; %bb.528:
	v_readlane_b32 s6, v126, 16
	v_mov_b32_e32 v4, s6
	buffer_load_dword v1, v4, s[0:3], 0 offen
	buffer_load_dword v2, v4, s[0:3], 0 offen offset:4
	buffer_load_dword v3, v4, s[0:3], 0 offen offset:8
	s_nop 0
	buffer_load_dword v4, v4, s[0:3], 0 offen offset:12
	v_readlane_b32 s6, v126, 17
	s_waitcnt vmcnt(0)
	ds_write2_b64 v125, v[1:2], v[3:4] offset1:1
	v_mov_b32_e32 v4, s26
	buffer_load_dword v1, v4, s[0:3], 0 offen
	buffer_load_dword v2, v4, s[0:3], 0 offen offset:4
	buffer_load_dword v3, v4, s[0:3], 0 offen offset:8
	s_nop 0
	buffer_load_dword v4, v4, s[0:3], 0 offen offset:12
	s_waitcnt vmcnt(0)
	ds_write2_b64 v121, v[1:2], v[3:4] offset0:94 offset1:95
	v_mov_b32_e32 v4, s6
	buffer_load_dword v1, v4, s[0:3], 0 offen
	buffer_load_dword v2, v4, s[0:3], 0 offen offset:4
	buffer_load_dword v3, v4, s[0:3], 0 offen offset:8
	s_nop 0
	buffer_load_dword v4, v4, s[0:3], 0 offen offset:12
	v_readlane_b32 s6, v126, 18
	s_waitcnt vmcnt(0)
	ds_write2_b64 v121, v[1:2], v[3:4] offset0:96 offset1:97
	v_mov_b32_e32 v4, s24
	buffer_load_dword v1, v4, s[0:3], 0 offen
	buffer_load_dword v2, v4, s[0:3], 0 offen offset:4
	buffer_load_dword v3, v4, s[0:3], 0 offen offset:8
	s_nop 0
	buffer_load_dword v4, v4, s[0:3], 0 offen offset:12
	s_waitcnt vmcnt(0)
	ds_write2_b64 v121, v[1:2], v[3:4] offset0:98 offset1:99
	v_mov_b32_e32 v4, s6
	buffer_load_dword v1, v4, s[0:3], 0 offen
	buffer_load_dword v2, v4, s[0:3], 0 offen offset:4
	buffer_load_dword v3, v4, s[0:3], 0 offen offset:8
	s_nop 0
	buffer_load_dword v4, v4, s[0:3], 0 offen offset:12
	v_readlane_b32 s6, v126, 19
	s_waitcnt vmcnt(0)
	ds_write2_b64 v121, v[1:2], v[3:4] offset0:100 offset1:101
	;; [unrolled: 17-line block ×6, first 2 shown]
	v_mov_b32_e32 v4, s14
	buffer_load_dword v1, v4, s[0:3], 0 offen
	buffer_load_dword v2, v4, s[0:3], 0 offen offset:4
	buffer_load_dword v3, v4, s[0:3], 0 offen offset:8
	s_nop 0
	buffer_load_dword v4, v4, s[0:3], 0 offen offset:12
	s_waitcnt vmcnt(0)
	ds_write2_b64 v121, v[1:2], v[3:4] offset0:118 offset1:119
	v_mov_b32_e32 v4, s42
	buffer_load_dword v1, v4, s[0:3], 0 offen
	buffer_load_dword v2, v4, s[0:3], 0 offen offset:4
	buffer_load_dword v3, v4, s[0:3], 0 offen offset:8
	s_nop 0
	buffer_load_dword v4, v4, s[0:3], 0 offen offset:12
	s_waitcnt vmcnt(0)
	ds_write2_b64 v121, v[1:2], v[3:4] offset0:120 offset1:121
	;; [unrolled: 8-line block ×3, first 2 shown]
	ds_read2_b64 v[61:64], v125 offset1:1
	s_waitcnt lgkmcnt(0)
	v_cmp_neq_f64_e32 vcc, 0, v[61:62]
	v_cmp_neq_f64_e64 s[6:7], 0, v[63:64]
	s_or_b64 s[6:7], vcc, s[6:7]
	s_and_b64 exec, exec, s[6:7]
	s_cbranch_execz .LBB123_534
; %bb.529:
	v_cmp_ngt_f64_e64 s[6:7], |v[61:62]|, |v[63:64]|
                                        ; implicit-def: $vgpr1_vgpr2
	s_and_saveexec_b64 s[10:11], s[6:7]
	s_xor_b64 s[6:7], exec, s[10:11]
                                        ; implicit-def: $vgpr3_vgpr4
	s_cbranch_execz .LBB123_531
; %bb.530:
	v_div_scale_f64 v[1:2], s[10:11], v[63:64], v[63:64], v[61:62]
	v_rcp_f64_e32 v[3:4], v[1:2]
	v_fma_f64 v[65:66], -v[1:2], v[3:4], 1.0
	v_fma_f64 v[3:4], v[3:4], v[65:66], v[3:4]
	v_div_scale_f64 v[65:66], vcc, v[61:62], v[63:64], v[61:62]
	v_fma_f64 v[67:68], -v[1:2], v[3:4], 1.0
	v_fma_f64 v[3:4], v[3:4], v[67:68], v[3:4]
	v_mul_f64 v[67:68], v[65:66], v[3:4]
	v_fma_f64 v[1:2], -v[1:2], v[67:68], v[65:66]
	v_div_fmas_f64 v[1:2], v[1:2], v[3:4], v[67:68]
	v_div_fixup_f64 v[1:2], v[1:2], v[63:64], v[61:62]
	v_fma_f64 v[3:4], v[61:62], v[1:2], v[63:64]
	v_div_scale_f64 v[61:62], s[10:11], v[3:4], v[3:4], 1.0
	v_div_scale_f64 v[67:68], vcc, 1.0, v[3:4], 1.0
	v_rcp_f64_e32 v[63:64], v[61:62]
	v_fma_f64 v[65:66], -v[61:62], v[63:64], 1.0
	v_fma_f64 v[63:64], v[63:64], v[65:66], v[63:64]
	v_fma_f64 v[65:66], -v[61:62], v[63:64], 1.0
	v_fma_f64 v[63:64], v[63:64], v[65:66], v[63:64]
	v_mul_f64 v[65:66], v[67:68], v[63:64]
	v_fma_f64 v[61:62], -v[61:62], v[65:66], v[67:68]
	v_div_fmas_f64 v[61:62], v[61:62], v[63:64], v[65:66]
	v_div_fixup_f64 v[3:4], v[61:62], v[3:4], 1.0
                                        ; implicit-def: $vgpr61_vgpr62
	v_mul_f64 v[1:2], v[1:2], v[3:4]
	v_xor_b32_e32 v4, 0x80000000, v4
.LBB123_531:
	s_andn2_saveexec_b64 s[6:7], s[6:7]
	s_cbranch_execz .LBB123_533
; %bb.532:
	v_div_scale_f64 v[1:2], s[10:11], v[61:62], v[61:62], v[63:64]
	v_rcp_f64_e32 v[3:4], v[1:2]
	v_fma_f64 v[65:66], -v[1:2], v[3:4], 1.0
	v_fma_f64 v[3:4], v[3:4], v[65:66], v[3:4]
	v_div_scale_f64 v[65:66], vcc, v[63:64], v[61:62], v[63:64]
	v_fma_f64 v[67:68], -v[1:2], v[3:4], 1.0
	v_fma_f64 v[3:4], v[3:4], v[67:68], v[3:4]
	v_mul_f64 v[67:68], v[65:66], v[3:4]
	v_fma_f64 v[1:2], -v[1:2], v[67:68], v[65:66]
	v_div_fmas_f64 v[1:2], v[1:2], v[3:4], v[67:68]
	v_div_fixup_f64 v[3:4], v[1:2], v[61:62], v[63:64]
	v_fma_f64 v[1:2], v[63:64], v[3:4], v[61:62]
	v_div_scale_f64 v[61:62], s[10:11], v[1:2], v[1:2], 1.0
	v_div_scale_f64 v[67:68], vcc, 1.0, v[1:2], 1.0
	v_rcp_f64_e32 v[63:64], v[61:62]
	v_fma_f64 v[65:66], -v[61:62], v[63:64], 1.0
	v_fma_f64 v[63:64], v[63:64], v[65:66], v[63:64]
	v_fma_f64 v[65:66], -v[61:62], v[63:64], 1.0
	v_fma_f64 v[63:64], v[63:64], v[65:66], v[63:64]
	v_mul_f64 v[65:66], v[67:68], v[63:64]
	v_fma_f64 v[61:62], -v[61:62], v[65:66], v[67:68]
	v_div_fmas_f64 v[61:62], v[61:62], v[63:64], v[65:66]
	v_div_fixup_f64 v[1:2], v[61:62], v[1:2], 1.0
	v_mul_f64 v[3:4], v[3:4], -v[1:2]
.LBB123_533:
	s_or_b64 exec, exec, s[6:7]
	ds_write2_b64 v125, v[1:2], v[3:4] offset1:1
.LBB123_534:
	s_or_b64 exec, exec, s[8:9]
	s_waitcnt lgkmcnt(0)
	s_barrier
	ds_read2_b64 v[61:64], v125 offset1:1
	v_cmp_lt_u32_e32 vcc, 46, v0
	s_and_saveexec_b64 s[6:7], vcc
	s_cbranch_execz .LBB123_536
; %bb.535:
	buffer_load_dword v1, off, s[0:3], 0 offset:736
	buffer_load_dword v2, off, s[0:3], 0 offset:740
	;; [unrolled: 1-line block ×16, first 2 shown]
	s_waitcnt vmcnt(12) lgkmcnt(0)
	v_mul_f64 v[65:66], v[63:64], v[3:4]
	v_mul_f64 v[3:4], v[61:62], v[3:4]
	v_fma_f64 v[65:66], v[61:62], v[1:2], -v[65:66]
	v_fma_f64 v[67:68], v[63:64], v[1:2], v[3:4]
	buffer_store_dword v65, off, s[0:3], 0 offset:736
	buffer_store_dword v66, off, s[0:3], 0 offset:740
	buffer_store_dword v67, off, s[0:3], 0 offset:744
	buffer_store_dword v68, off, s[0:3], 0 offset:748
	ds_read2_b64 v[1:4], v121 offset0:94 offset1:95
	s_waitcnt lgkmcnt(0)
	v_mul_f64 v[81:82], v[3:4], v[67:68]
	v_fma_f64 v[81:82], v[1:2], v[65:66], -v[81:82]
	v_mul_f64 v[1:2], v[1:2], v[67:68]
	v_fma_f64 v[1:2], v[3:4], v[65:66], v[1:2]
	s_waitcnt vmcnt(14)
	v_add_f64 v[3:4], v[69:70], -v[81:82]
	s_waitcnt vmcnt(12)
	v_add_f64 v[1:2], v[71:72], -v[1:2]
	buffer_store_dword v3, off, s[0:3], 0 offset:752
	buffer_store_dword v4, off, s[0:3], 0 offset:756
	buffer_store_dword v1, off, s[0:3], 0 offset:760
	buffer_store_dword v2, off, s[0:3], 0 offset:764
	ds_read2_b64 v[1:4], v121 offset0:96 offset1:97
	s_waitcnt lgkmcnt(0)
	v_mul_f64 v[69:70], v[3:4], v[67:68]
	v_fma_f64 v[69:70], v[1:2], v[65:66], -v[69:70]
	v_mul_f64 v[1:2], v[1:2], v[67:68]
	v_fma_f64 v[1:2], v[3:4], v[65:66], v[1:2]
	s_waitcnt vmcnt(14)
	v_add_f64 v[3:4], v[73:74], -v[69:70]
	s_waitcnt vmcnt(12)
	v_add_f64 v[1:2], v[75:76], -v[1:2]
	;; [unrolled: 14-line block ×3, first 2 shown]
	buffer_store_dword v4, off, s[0:3], 0 offset:788
	buffer_store_dword v3, off, s[0:3], 0 offset:784
	buffer_store_dword v1, off, s[0:3], 0 offset:792
	buffer_store_dword v2, off, s[0:3], 0 offset:796
	ds_read2_b64 v[1:4], v121 offset0:100 offset1:101
	s_waitcnt lgkmcnt(0)
	v_mul_f64 v[69:70], v[3:4], v[67:68]
	v_fma_f64 v[69:70], v[1:2], v[65:66], -v[69:70]
	v_mul_f64 v[1:2], v[1:2], v[67:68]
	v_fma_f64 v[1:2], v[3:4], v[65:66], v[1:2]
	buffer_load_dword v3, off, s[0:3], 0 offset:800
	buffer_load_dword v4, off, s[0:3], 0 offset:804
	buffer_load_dword v71, off, s[0:3], 0 offset:808
	buffer_load_dword v72, off, s[0:3], 0 offset:812
	s_waitcnt vmcnt(2)
	v_add_f64 v[3:4], v[3:4], -v[69:70]
	s_waitcnt vmcnt(0)
	v_add_f64 v[1:2], v[71:72], -v[1:2]
	buffer_store_dword v4, off, s[0:3], 0 offset:804
	buffer_store_dword v3, off, s[0:3], 0 offset:800
	buffer_store_dword v2, off, s[0:3], 0 offset:812
	buffer_store_dword v1, off, s[0:3], 0 offset:808
	ds_read2_b64 v[1:4], v121 offset0:102 offset1:103
	s_waitcnt lgkmcnt(0)
	v_mul_f64 v[69:70], v[3:4], v[67:68]
	v_fma_f64 v[69:70], v[1:2], v[65:66], -v[69:70]
	v_mul_f64 v[1:2], v[1:2], v[67:68]
	v_fma_f64 v[1:2], v[3:4], v[65:66], v[1:2]
	buffer_load_dword v3, off, s[0:3], 0 offset:816
	buffer_load_dword v4, off, s[0:3], 0 offset:820
	buffer_load_dword v71, off, s[0:3], 0 offset:824
	buffer_load_dword v72, off, s[0:3], 0 offset:828
	s_waitcnt vmcnt(2)
	v_add_f64 v[3:4], v[3:4], -v[69:70]
	s_waitcnt vmcnt(0)
	v_add_f64 v[1:2], v[71:72], -v[1:2]
	buffer_store_dword v4, off, s[0:3], 0 offset:820
	buffer_store_dword v3, off, s[0:3], 0 offset:816
	buffer_store_dword v2, off, s[0:3], 0 offset:828
	buffer_store_dword v1, off, s[0:3], 0 offset:824
	ds_read2_b64 v[1:4], v121 offset0:104 offset1:105
	s_waitcnt lgkmcnt(0)
	v_mul_f64 v[69:70], v[3:4], v[67:68]
	v_fma_f64 v[69:70], v[1:2], v[65:66], -v[69:70]
	v_mul_f64 v[1:2], v[1:2], v[67:68]
	v_fma_f64 v[1:2], v[3:4], v[65:66], v[1:2]
	buffer_load_dword v3, off, s[0:3], 0 offset:832
	buffer_load_dword v4, off, s[0:3], 0 offset:836
	buffer_load_dword v65, off, s[0:3], 0 offset:840
	buffer_load_dword v66, off, s[0:3], 0 offset:844
	s_waitcnt vmcnt(2)
	v_add_f64 v[3:4], v[3:4], -v[69:70]
	s_waitcnt vmcnt(0)
	v_add_f64 v[1:2], v[65:66], -v[1:2]
	buffer_store_dword v4, off, s[0:3], 0 offset:836
	buffer_store_dword v3, off, s[0:3], 0 offset:832
	;; [unrolled: 1-line block ×4, first 2 shown]
	ds_read2_b64 v[1:4], v121 offset0:106 offset1:107
	buffer_load_dword v65, off, s[0:3], 0 offset:736
	buffer_load_dword v66, off, s[0:3], 0 offset:740
	;; [unrolled: 1-line block ×4, first 2 shown]
	s_waitcnt vmcnt(0) lgkmcnt(0)
	v_mul_f64 v[69:70], v[3:4], v[67:68]
	v_fma_f64 v[69:70], v[1:2], v[65:66], -v[69:70]
	v_mul_f64 v[1:2], v[1:2], v[67:68]
	v_fma_f64 v[1:2], v[3:4], v[65:66], v[1:2]
	buffer_load_dword v4, off, s[0:3], 0 offset:852
	buffer_load_dword v3, off, s[0:3], 0 offset:848
	s_waitcnt vmcnt(0)
	v_add_f64 v[3:4], v[3:4], -v[69:70]
	buffer_load_dword v70, off, s[0:3], 0 offset:860
	buffer_load_dword v69, off, s[0:3], 0 offset:856
	s_waitcnt vmcnt(0)
	v_add_f64 v[1:2], v[69:70], -v[1:2]
	buffer_store_dword v4, off, s[0:3], 0 offset:852
	buffer_store_dword v3, off, s[0:3], 0 offset:848
	buffer_store_dword v2, off, s[0:3], 0 offset:860
	buffer_store_dword v1, off, s[0:3], 0 offset:856
	ds_read2_b64 v[1:4], v121 offset0:108 offset1:109
	s_waitcnt lgkmcnt(0)
	v_mul_f64 v[69:70], v[3:4], v[67:68]
	v_fma_f64 v[69:70], v[1:2], v[65:66], -v[69:70]
	v_mul_f64 v[1:2], v[1:2], v[67:68]
	v_fma_f64 v[1:2], v[3:4], v[65:66], v[1:2]
	buffer_load_dword v3, off, s[0:3], 0 offset:864
	buffer_load_dword v4, off, s[0:3], 0 offset:868
	buffer_load_dword v71, off, s[0:3], 0 offset:872
	buffer_load_dword v72, off, s[0:3], 0 offset:876
	s_waitcnt vmcnt(2)
	v_add_f64 v[3:4], v[3:4], -v[69:70]
	s_waitcnt vmcnt(0)
	v_add_f64 v[1:2], v[71:72], -v[1:2]
	buffer_store_dword v4, off, s[0:3], 0 offset:868
	buffer_store_dword v3, off, s[0:3], 0 offset:864
	buffer_store_dword v2, off, s[0:3], 0 offset:876
	buffer_store_dword v1, off, s[0:3], 0 offset:872
	ds_read2_b64 v[1:4], v121 offset0:110 offset1:111
	s_waitcnt lgkmcnt(0)
	v_mul_f64 v[69:70], v[3:4], v[67:68]
	v_fma_f64 v[69:70], v[1:2], v[65:66], -v[69:70]
	v_mul_f64 v[1:2], v[1:2], v[67:68]
	v_fma_f64 v[1:2], v[3:4], v[65:66], v[1:2]
	buffer_load_dword v3, off, s[0:3], 0 offset:880
	buffer_load_dword v4, off, s[0:3], 0 offset:884
	buffer_load_dword v71, off, s[0:3], 0 offset:888
	buffer_load_dword v72, off, s[0:3], 0 offset:892
	s_waitcnt vmcnt(2)
	v_add_f64 v[3:4], v[3:4], -v[69:70]
	;; [unrolled: 18-line block ×5, first 2 shown]
	s_waitcnt vmcnt(0)
	v_add_f64 v[1:2], v[65:66], -v[1:2]
	buffer_store_dword v4, off, s[0:3], 0 offset:932
	buffer_store_dword v3, off, s[0:3], 0 offset:928
	;; [unrolled: 1-line block ×4, first 2 shown]
	ds_read2_b64 v[1:4], v121 offset0:118 offset1:119
	buffer_load_dword v65, off, s[0:3], 0 offset:736
	buffer_load_dword v66, off, s[0:3], 0 offset:740
	;; [unrolled: 1-line block ×4, first 2 shown]
	s_waitcnt vmcnt(0) lgkmcnt(0)
	v_mul_f64 v[67:68], v[3:4], v[69:70]
	v_fma_f64 v[67:68], v[1:2], v[65:66], -v[67:68]
	v_mul_f64 v[1:2], v[1:2], v[69:70]
	v_fma_f64 v[1:2], v[3:4], v[65:66], v[1:2]
	buffer_load_dword v4, off, s[0:3], 0 offset:948
	buffer_load_dword v3, off, s[0:3], 0 offset:944
	s_waitcnt vmcnt(0)
	v_add_f64 v[3:4], v[3:4], -v[67:68]
	buffer_load_dword v68, off, s[0:3], 0 offset:956
	buffer_load_dword v67, off, s[0:3], 0 offset:952
	s_waitcnt vmcnt(0)
	v_add_f64 v[1:2], v[67:68], -v[1:2]
	buffer_store_dword v4, off, s[0:3], 0 offset:948
	buffer_store_dword v3, off, s[0:3], 0 offset:944
	;; [unrolled: 1-line block ×4, first 2 shown]
	ds_read2_b64 v[1:4], v121 offset0:120 offset1:121
	s_waitcnt lgkmcnt(0)
	v_mul_f64 v[67:68], v[3:4], v[69:70]
	v_fma_f64 v[67:68], v[1:2], v[65:66], -v[67:68]
	v_mul_f64 v[1:2], v[1:2], v[69:70]
	v_fma_f64 v[1:2], v[3:4], v[65:66], v[1:2]
	buffer_load_dword v3, off, s[0:3], 0 offset:960
	buffer_load_dword v4, off, s[0:3], 0 offset:964
	;; [unrolled: 1-line block ×4, first 2 shown]
	s_waitcnt vmcnt(2)
	v_add_f64 v[3:4], v[3:4], -v[67:68]
	s_waitcnt vmcnt(0)
	v_add_f64 v[1:2], v[71:72], -v[1:2]
	buffer_store_dword v4, off, s[0:3], 0 offset:964
	buffer_store_dword v3, off, s[0:3], 0 offset:960
	;; [unrolled: 1-line block ×4, first 2 shown]
	ds_read2_b64 v[1:4], v121 offset0:122 offset1:123
	s_waitcnt lgkmcnt(0)
	v_mul_f64 v[67:68], v[3:4], v[69:70]
	v_fma_f64 v[67:68], v[1:2], v[65:66], -v[67:68]
	v_mul_f64 v[1:2], v[1:2], v[69:70]
	buffer_load_dword v71, off, s[0:3], 0 offset:976
	buffer_load_dword v72, off, s[0:3], 0 offset:980
	;; [unrolled: 1-line block ×4, first 2 shown]
	v_fma_f64 v[65:66], v[3:4], v[65:66], v[1:2]
	s_waitcnt vmcnt(2)
	v_add_f64 v[1:2], v[71:72], -v[67:68]
	s_waitcnt vmcnt(0)
	v_add_f64 v[3:4], v[69:70], -v[65:66]
	buffer_store_dword v2, off, s[0:3], 0 offset:980
	buffer_store_dword v1, off, s[0:3], 0 offset:976
	;; [unrolled: 1-line block ×4, first 2 shown]
.LBB123_536:
	s_or_b64 exec, exec, s[6:7]
	v_cmp_eq_u32_e32 vcc, 47, v0
	s_waitcnt vmcnt(0) lgkmcnt(0)
	s_barrier
	s_and_saveexec_b64 s[8:9], vcc
	s_cbranch_execz .LBB123_543
; %bb.537:
	v_mov_b32_e32 v4, s26
	buffer_load_dword v1, v4, s[0:3], 0 offen
	buffer_load_dword v2, v4, s[0:3], 0 offen offset:4
	buffer_load_dword v3, v4, s[0:3], 0 offen offset:8
	s_nop 0
	buffer_load_dword v4, v4, s[0:3], 0 offen offset:12
	v_readlane_b32 s6, v126, 17
	s_waitcnt vmcnt(0)
	ds_write2_b64 v125, v[1:2], v[3:4] offset1:1
	v_mov_b32_e32 v4, s6
	buffer_load_dword v1, v4, s[0:3], 0 offen
	buffer_load_dword v2, v4, s[0:3], 0 offen offset:4
	buffer_load_dword v3, v4, s[0:3], 0 offen offset:8
	s_nop 0
	buffer_load_dword v4, v4, s[0:3], 0 offen offset:12
	v_readlane_b32 s6, v126, 18
	s_waitcnt vmcnt(0)
	ds_write2_b64 v121, v[1:2], v[3:4] offset0:96 offset1:97
	v_mov_b32_e32 v4, s24
	buffer_load_dword v1, v4, s[0:3], 0 offen
	buffer_load_dword v2, v4, s[0:3], 0 offen offset:4
	buffer_load_dword v3, v4, s[0:3], 0 offen offset:8
	s_nop 0
	buffer_load_dword v4, v4, s[0:3], 0 offen offset:12
	s_waitcnt vmcnt(0)
	ds_write2_b64 v121, v[1:2], v[3:4] offset0:98 offset1:99
	v_mov_b32_e32 v4, s6
	buffer_load_dword v1, v4, s[0:3], 0 offen
	buffer_load_dword v2, v4, s[0:3], 0 offen offset:4
	buffer_load_dword v3, v4, s[0:3], 0 offen offset:8
	s_nop 0
	buffer_load_dword v4, v4, s[0:3], 0 offen offset:12
	v_readlane_b32 s6, v126, 19
	s_waitcnt vmcnt(0)
	ds_write2_b64 v121, v[1:2], v[3:4] offset0:100 offset1:101
	v_mov_b32_e32 v4, s22
	buffer_load_dword v1, v4, s[0:3], 0 offen
	buffer_load_dword v2, v4, s[0:3], 0 offen offset:4
	buffer_load_dword v3, v4, s[0:3], 0 offen offset:8
	s_nop 0
	buffer_load_dword v4, v4, s[0:3], 0 offen offset:12
	s_waitcnt vmcnt(0)
	ds_write2_b64 v121, v[1:2], v[3:4] offset0:102 offset1:103
	;; [unrolled: 17-line block ×6, first 2 shown]
	v_mov_b32_e32 v4, s42
	buffer_load_dword v1, v4, s[0:3], 0 offen
	buffer_load_dword v2, v4, s[0:3], 0 offen offset:4
	buffer_load_dword v3, v4, s[0:3], 0 offen offset:8
	s_nop 0
	buffer_load_dword v4, v4, s[0:3], 0 offen offset:12
	s_waitcnt vmcnt(0)
	ds_write2_b64 v121, v[1:2], v[3:4] offset0:120 offset1:121
	v_mov_b32_e32 v4, s6
	buffer_load_dword v1, v4, s[0:3], 0 offen
	buffer_load_dword v2, v4, s[0:3], 0 offen offset:4
	buffer_load_dword v3, v4, s[0:3], 0 offen offset:8
	s_nop 0
	buffer_load_dword v4, v4, s[0:3], 0 offen offset:12
	s_waitcnt vmcnt(0)
	ds_write2_b64 v121, v[1:2], v[3:4] offset0:122 offset1:123
	ds_read2_b64 v[65:68], v125 offset1:1
	s_waitcnt lgkmcnt(0)
	v_cmp_neq_f64_e32 vcc, 0, v[65:66]
	v_cmp_neq_f64_e64 s[6:7], 0, v[67:68]
	s_or_b64 s[6:7], vcc, s[6:7]
	s_and_b64 exec, exec, s[6:7]
	s_cbranch_execz .LBB123_543
; %bb.538:
	v_cmp_ngt_f64_e64 s[6:7], |v[65:66]|, |v[67:68]|
                                        ; implicit-def: $vgpr1_vgpr2
	s_and_saveexec_b64 s[10:11], s[6:7]
	s_xor_b64 s[6:7], exec, s[10:11]
                                        ; implicit-def: $vgpr3_vgpr4
	s_cbranch_execz .LBB123_540
; %bb.539:
	v_div_scale_f64 v[1:2], s[10:11], v[67:68], v[67:68], v[65:66]
	v_rcp_f64_e32 v[3:4], v[1:2]
	v_fma_f64 v[69:70], -v[1:2], v[3:4], 1.0
	v_fma_f64 v[3:4], v[3:4], v[69:70], v[3:4]
	v_div_scale_f64 v[69:70], vcc, v[65:66], v[67:68], v[65:66]
	v_fma_f64 v[71:72], -v[1:2], v[3:4], 1.0
	v_fma_f64 v[3:4], v[3:4], v[71:72], v[3:4]
	v_mul_f64 v[71:72], v[69:70], v[3:4]
	v_fma_f64 v[1:2], -v[1:2], v[71:72], v[69:70]
	v_div_fmas_f64 v[1:2], v[1:2], v[3:4], v[71:72]
	v_div_fixup_f64 v[1:2], v[1:2], v[67:68], v[65:66]
	v_fma_f64 v[3:4], v[65:66], v[1:2], v[67:68]
	v_div_scale_f64 v[65:66], s[10:11], v[3:4], v[3:4], 1.0
	v_div_scale_f64 v[71:72], vcc, 1.0, v[3:4], 1.0
	v_rcp_f64_e32 v[67:68], v[65:66]
	v_fma_f64 v[69:70], -v[65:66], v[67:68], 1.0
	v_fma_f64 v[67:68], v[67:68], v[69:70], v[67:68]
	v_fma_f64 v[69:70], -v[65:66], v[67:68], 1.0
	v_fma_f64 v[67:68], v[67:68], v[69:70], v[67:68]
	v_mul_f64 v[69:70], v[71:72], v[67:68]
	v_fma_f64 v[65:66], -v[65:66], v[69:70], v[71:72]
	v_div_fmas_f64 v[65:66], v[65:66], v[67:68], v[69:70]
	v_div_fixup_f64 v[3:4], v[65:66], v[3:4], 1.0
                                        ; implicit-def: $vgpr65_vgpr66
	v_mul_f64 v[1:2], v[1:2], v[3:4]
	v_xor_b32_e32 v4, 0x80000000, v4
.LBB123_540:
	s_andn2_saveexec_b64 s[6:7], s[6:7]
	s_cbranch_execz .LBB123_542
; %bb.541:
	v_div_scale_f64 v[1:2], s[10:11], v[65:66], v[65:66], v[67:68]
	v_rcp_f64_e32 v[3:4], v[1:2]
	v_fma_f64 v[69:70], -v[1:2], v[3:4], 1.0
	v_fma_f64 v[3:4], v[3:4], v[69:70], v[3:4]
	v_div_scale_f64 v[69:70], vcc, v[67:68], v[65:66], v[67:68]
	v_fma_f64 v[71:72], -v[1:2], v[3:4], 1.0
	v_fma_f64 v[3:4], v[3:4], v[71:72], v[3:4]
	v_mul_f64 v[71:72], v[69:70], v[3:4]
	v_fma_f64 v[1:2], -v[1:2], v[71:72], v[69:70]
	v_div_fmas_f64 v[1:2], v[1:2], v[3:4], v[71:72]
	v_div_fixup_f64 v[3:4], v[1:2], v[65:66], v[67:68]
	v_fma_f64 v[1:2], v[67:68], v[3:4], v[65:66]
	v_div_scale_f64 v[65:66], s[10:11], v[1:2], v[1:2], 1.0
	v_div_scale_f64 v[71:72], vcc, 1.0, v[1:2], 1.0
	v_rcp_f64_e32 v[67:68], v[65:66]
	v_fma_f64 v[69:70], -v[65:66], v[67:68], 1.0
	v_fma_f64 v[67:68], v[67:68], v[69:70], v[67:68]
	v_fma_f64 v[69:70], -v[65:66], v[67:68], 1.0
	v_fma_f64 v[67:68], v[67:68], v[69:70], v[67:68]
	v_mul_f64 v[69:70], v[71:72], v[67:68]
	v_fma_f64 v[65:66], -v[65:66], v[69:70], v[71:72]
	v_div_fmas_f64 v[65:66], v[65:66], v[67:68], v[69:70]
	v_div_fixup_f64 v[1:2], v[65:66], v[1:2], 1.0
	v_mul_f64 v[3:4], v[3:4], -v[1:2]
.LBB123_542:
	s_or_b64 exec, exec, s[6:7]
	ds_write2_b64 v125, v[1:2], v[3:4] offset1:1
.LBB123_543:
	s_or_b64 exec, exec, s[8:9]
	s_waitcnt lgkmcnt(0)
	s_barrier
	ds_read2_b64 v[65:68], v125 offset1:1
	v_cmp_lt_u32_e32 vcc, 47, v0
	s_and_saveexec_b64 s[6:7], vcc
	s_cbranch_execz .LBB123_545
; %bb.544:
	buffer_load_dword v1, off, s[0:3], 0 offset:752
	buffer_load_dword v2, off, s[0:3], 0 offset:756
	;; [unrolled: 1-line block ×16, first 2 shown]
	s_waitcnt vmcnt(12) lgkmcnt(0)
	v_mul_f64 v[69:70], v[67:68], v[3:4]
	v_mul_f64 v[3:4], v[65:66], v[3:4]
	v_fma_f64 v[69:70], v[65:66], v[1:2], -v[69:70]
	v_fma_f64 v[71:72], v[67:68], v[1:2], v[3:4]
	buffer_store_dword v69, off, s[0:3], 0 offset:752
	buffer_store_dword v70, off, s[0:3], 0 offset:756
	buffer_store_dword v71, off, s[0:3], 0 offset:760
	buffer_store_dword v72, off, s[0:3], 0 offset:764
	ds_read2_b64 v[1:4], v121 offset0:96 offset1:97
	s_waitcnt lgkmcnt(0)
	v_mul_f64 v[85:86], v[3:4], v[71:72]
	v_fma_f64 v[85:86], v[1:2], v[69:70], -v[85:86]
	v_mul_f64 v[1:2], v[1:2], v[71:72]
	v_fma_f64 v[1:2], v[3:4], v[69:70], v[1:2]
	s_waitcnt vmcnt(14)
	v_add_f64 v[3:4], v[73:74], -v[85:86]
	s_waitcnt vmcnt(12)
	v_add_f64 v[1:2], v[75:76], -v[1:2]
	buffer_store_dword v3, off, s[0:3], 0 offset:768
	buffer_store_dword v4, off, s[0:3], 0 offset:772
	buffer_store_dword v1, off, s[0:3], 0 offset:776
	buffer_store_dword v2, off, s[0:3], 0 offset:780
	ds_read2_b64 v[1:4], v121 offset0:98 offset1:99
	s_waitcnt lgkmcnt(0)
	v_mul_f64 v[73:74], v[3:4], v[71:72]
	v_fma_f64 v[73:74], v[1:2], v[69:70], -v[73:74]
	v_mul_f64 v[1:2], v[1:2], v[71:72]
	v_fma_f64 v[1:2], v[3:4], v[69:70], v[1:2]
	s_waitcnt vmcnt(14)
	v_add_f64 v[3:4], v[77:78], -v[73:74]
	s_waitcnt vmcnt(12)
	v_add_f64 v[1:2], v[79:80], -v[1:2]
	;; [unrolled: 14-line block ×3, first 2 shown]
	buffer_store_dword v4, off, s[0:3], 0 offset:804
	buffer_store_dword v3, off, s[0:3], 0 offset:800
	buffer_store_dword v1, off, s[0:3], 0 offset:808
	buffer_store_dword v2, off, s[0:3], 0 offset:812
	ds_read2_b64 v[1:4], v121 offset0:102 offset1:103
	s_waitcnt lgkmcnt(0)
	v_mul_f64 v[73:74], v[3:4], v[71:72]
	v_fma_f64 v[73:74], v[1:2], v[69:70], -v[73:74]
	v_mul_f64 v[1:2], v[1:2], v[71:72]
	v_fma_f64 v[1:2], v[3:4], v[69:70], v[1:2]
	buffer_load_dword v3, off, s[0:3], 0 offset:816
	buffer_load_dword v4, off, s[0:3], 0 offset:820
	buffer_load_dword v75, off, s[0:3], 0 offset:824
	buffer_load_dword v76, off, s[0:3], 0 offset:828
	s_waitcnt vmcnt(2)
	v_add_f64 v[3:4], v[3:4], -v[73:74]
	s_waitcnt vmcnt(0)
	v_add_f64 v[1:2], v[75:76], -v[1:2]
	buffer_store_dword v4, off, s[0:3], 0 offset:820
	buffer_store_dword v3, off, s[0:3], 0 offset:816
	buffer_store_dword v2, off, s[0:3], 0 offset:828
	buffer_store_dword v1, off, s[0:3], 0 offset:824
	ds_read2_b64 v[1:4], v121 offset0:104 offset1:105
	s_waitcnt lgkmcnt(0)
	v_mul_f64 v[73:74], v[3:4], v[71:72]
	v_fma_f64 v[73:74], v[1:2], v[69:70], -v[73:74]
	v_mul_f64 v[1:2], v[1:2], v[71:72]
	v_fma_f64 v[1:2], v[3:4], v[69:70], v[1:2]
	buffer_load_dword v3, off, s[0:3], 0 offset:832
	buffer_load_dword v4, off, s[0:3], 0 offset:836
	buffer_load_dword v75, off, s[0:3], 0 offset:840
	buffer_load_dword v76, off, s[0:3], 0 offset:844
	s_waitcnt vmcnt(2)
	v_add_f64 v[3:4], v[3:4], -v[73:74]
	s_waitcnt vmcnt(0)
	v_add_f64 v[1:2], v[75:76], -v[1:2]
	;; [unrolled: 18-line block ×3, first 2 shown]
	buffer_store_dword v4, off, s[0:3], 0 offset:852
	buffer_store_dword v3, off, s[0:3], 0 offset:848
	;; [unrolled: 1-line block ×4, first 2 shown]
	ds_read2_b64 v[1:4], v121 offset0:108 offset1:109
	buffer_load_dword v69, off, s[0:3], 0 offset:752
	buffer_load_dword v70, off, s[0:3], 0 offset:756
	;; [unrolled: 1-line block ×4, first 2 shown]
	s_waitcnt vmcnt(0) lgkmcnt(0)
	v_mul_f64 v[73:74], v[3:4], v[71:72]
	v_fma_f64 v[73:74], v[1:2], v[69:70], -v[73:74]
	v_mul_f64 v[1:2], v[1:2], v[71:72]
	v_fma_f64 v[1:2], v[3:4], v[69:70], v[1:2]
	buffer_load_dword v4, off, s[0:3], 0 offset:868
	buffer_load_dword v3, off, s[0:3], 0 offset:864
	s_waitcnt vmcnt(0)
	v_add_f64 v[3:4], v[3:4], -v[73:74]
	buffer_load_dword v74, off, s[0:3], 0 offset:876
	buffer_load_dword v73, off, s[0:3], 0 offset:872
	s_waitcnt vmcnt(0)
	v_add_f64 v[1:2], v[73:74], -v[1:2]
	buffer_store_dword v4, off, s[0:3], 0 offset:868
	buffer_store_dword v3, off, s[0:3], 0 offset:864
	buffer_store_dword v2, off, s[0:3], 0 offset:876
	buffer_store_dword v1, off, s[0:3], 0 offset:872
	ds_read2_b64 v[1:4], v121 offset0:110 offset1:111
	s_waitcnt lgkmcnt(0)
	v_mul_f64 v[73:74], v[3:4], v[71:72]
	v_fma_f64 v[73:74], v[1:2], v[69:70], -v[73:74]
	v_mul_f64 v[1:2], v[1:2], v[71:72]
	v_fma_f64 v[1:2], v[3:4], v[69:70], v[1:2]
	buffer_load_dword v3, off, s[0:3], 0 offset:880
	buffer_load_dword v4, off, s[0:3], 0 offset:884
	buffer_load_dword v75, off, s[0:3], 0 offset:888
	buffer_load_dword v76, off, s[0:3], 0 offset:892
	s_waitcnt vmcnt(2)
	v_add_f64 v[3:4], v[3:4], -v[73:74]
	s_waitcnt vmcnt(0)
	v_add_f64 v[1:2], v[75:76], -v[1:2]
	buffer_store_dword v4, off, s[0:3], 0 offset:884
	buffer_store_dword v3, off, s[0:3], 0 offset:880
	buffer_store_dword v2, off, s[0:3], 0 offset:892
	buffer_store_dword v1, off, s[0:3], 0 offset:888
	ds_read2_b64 v[1:4], v121 offset0:112 offset1:113
	s_waitcnt lgkmcnt(0)
	v_mul_f64 v[73:74], v[3:4], v[71:72]
	v_fma_f64 v[73:74], v[1:2], v[69:70], -v[73:74]
	v_mul_f64 v[1:2], v[1:2], v[71:72]
	v_fma_f64 v[1:2], v[3:4], v[69:70], v[1:2]
	buffer_load_dword v3, off, s[0:3], 0 offset:896
	buffer_load_dword v4, off, s[0:3], 0 offset:900
	buffer_load_dword v75, off, s[0:3], 0 offset:904
	buffer_load_dword v76, off, s[0:3], 0 offset:908
	s_waitcnt vmcnt(2)
	v_add_f64 v[3:4], v[3:4], -v[73:74]
	;; [unrolled: 18-line block ×5, first 2 shown]
	s_waitcnt vmcnt(0)
	v_add_f64 v[1:2], v[69:70], -v[1:2]
	buffer_store_dword v4, off, s[0:3], 0 offset:948
	buffer_store_dword v3, off, s[0:3], 0 offset:944
	;; [unrolled: 1-line block ×4, first 2 shown]
	ds_read2_b64 v[1:4], v121 offset0:120 offset1:121
	buffer_load_dword v69, off, s[0:3], 0 offset:752
	buffer_load_dword v70, off, s[0:3], 0 offset:756
	;; [unrolled: 1-line block ×4, first 2 shown]
	s_waitcnt vmcnt(0) lgkmcnt(0)
	v_mul_f64 v[71:72], v[3:4], v[73:74]
	v_fma_f64 v[71:72], v[1:2], v[69:70], -v[71:72]
	v_mul_f64 v[1:2], v[1:2], v[73:74]
	v_fma_f64 v[1:2], v[3:4], v[69:70], v[1:2]
	buffer_load_dword v4, off, s[0:3], 0 offset:964
	buffer_load_dword v3, off, s[0:3], 0 offset:960
	s_waitcnt vmcnt(0)
	v_add_f64 v[3:4], v[3:4], -v[71:72]
	buffer_load_dword v72, off, s[0:3], 0 offset:972
	buffer_load_dword v71, off, s[0:3], 0 offset:968
	s_waitcnt vmcnt(0)
	v_add_f64 v[1:2], v[71:72], -v[1:2]
	buffer_store_dword v4, off, s[0:3], 0 offset:964
	buffer_store_dword v3, off, s[0:3], 0 offset:960
	buffer_store_dword v2, off, s[0:3], 0 offset:972
	buffer_store_dword v1, off, s[0:3], 0 offset:968
	ds_read2_b64 v[1:4], v121 offset0:122 offset1:123
	s_waitcnt lgkmcnt(0)
	v_mul_f64 v[71:72], v[3:4], v[73:74]
	v_fma_f64 v[71:72], v[1:2], v[69:70], -v[71:72]
	v_mul_f64 v[1:2], v[1:2], v[73:74]
	buffer_load_dword v75, off, s[0:3], 0 offset:976
	buffer_load_dword v76, off, s[0:3], 0 offset:980
	;; [unrolled: 1-line block ×4, first 2 shown]
	v_fma_f64 v[69:70], v[3:4], v[69:70], v[1:2]
	s_waitcnt vmcnt(2)
	v_add_f64 v[1:2], v[75:76], -v[71:72]
	s_waitcnt vmcnt(0)
	v_add_f64 v[3:4], v[73:74], -v[69:70]
	buffer_store_dword v2, off, s[0:3], 0 offset:980
	buffer_store_dword v1, off, s[0:3], 0 offset:976
	;; [unrolled: 1-line block ×4, first 2 shown]
.LBB123_545:
	s_or_b64 exec, exec, s[6:7]
	v_cmp_eq_u32_e32 vcc, 48, v0
	s_waitcnt vmcnt(0) lgkmcnt(0)
	s_barrier
	s_and_saveexec_b64 s[8:9], vcc
	s_cbranch_execz .LBB123_552
; %bb.546:
	v_readlane_b32 s6, v126, 17
	v_mov_b32_e32 v4, s6
	buffer_load_dword v1, v4, s[0:3], 0 offen
	buffer_load_dword v2, v4, s[0:3], 0 offen offset:4
	buffer_load_dword v3, v4, s[0:3], 0 offen offset:8
	s_nop 0
	buffer_load_dword v4, v4, s[0:3], 0 offen offset:12
	v_readlane_b32 s6, v126, 18
	s_waitcnt vmcnt(0)
	ds_write2_b64 v125, v[1:2], v[3:4] offset1:1
	v_mov_b32_e32 v4, s24
	buffer_load_dword v1, v4, s[0:3], 0 offen
	buffer_load_dword v2, v4, s[0:3], 0 offen offset:4
	buffer_load_dword v3, v4, s[0:3], 0 offen offset:8
	s_nop 0
	buffer_load_dword v4, v4, s[0:3], 0 offen offset:12
	s_waitcnt vmcnt(0)
	ds_write2_b64 v121, v[1:2], v[3:4] offset0:98 offset1:99
	v_mov_b32_e32 v4, s6
	buffer_load_dword v1, v4, s[0:3], 0 offen
	buffer_load_dword v2, v4, s[0:3], 0 offen offset:4
	buffer_load_dword v3, v4, s[0:3], 0 offen offset:8
	s_nop 0
	buffer_load_dword v4, v4, s[0:3], 0 offen offset:12
	v_readlane_b32 s6, v126, 19
	s_waitcnt vmcnt(0)
	ds_write2_b64 v121, v[1:2], v[3:4] offset0:100 offset1:101
	v_mov_b32_e32 v4, s22
	buffer_load_dword v1, v4, s[0:3], 0 offen
	buffer_load_dword v2, v4, s[0:3], 0 offen offset:4
	buffer_load_dword v3, v4, s[0:3], 0 offen offset:8
	s_nop 0
	buffer_load_dword v4, v4, s[0:3], 0 offen offset:12
	s_waitcnt vmcnt(0)
	ds_write2_b64 v121, v[1:2], v[3:4] offset0:102 offset1:103
	v_mov_b32_e32 v4, s6
	buffer_load_dword v1, v4, s[0:3], 0 offen
	buffer_load_dword v2, v4, s[0:3], 0 offen offset:4
	buffer_load_dword v3, v4, s[0:3], 0 offen offset:8
	s_nop 0
	buffer_load_dword v4, v4, s[0:3], 0 offen offset:12
	v_readlane_b32 s6, v126, 20
	s_waitcnt vmcnt(0)
	ds_write2_b64 v121, v[1:2], v[3:4] offset0:104 offset1:105
	;; [unrolled: 17-line block ×5, first 2 shown]
	v_mov_b32_e32 v4, s14
	buffer_load_dword v1, v4, s[0:3], 0 offen
	buffer_load_dword v2, v4, s[0:3], 0 offen offset:4
	buffer_load_dword v3, v4, s[0:3], 0 offen offset:8
	s_nop 0
	buffer_load_dword v4, v4, s[0:3], 0 offen offset:12
	s_waitcnt vmcnt(0)
	ds_write2_b64 v121, v[1:2], v[3:4] offset0:118 offset1:119
	v_mov_b32_e32 v4, s42
	buffer_load_dword v1, v4, s[0:3], 0 offen
	buffer_load_dword v2, v4, s[0:3], 0 offen offset:4
	buffer_load_dword v3, v4, s[0:3], 0 offen offset:8
	s_nop 0
	buffer_load_dword v4, v4, s[0:3], 0 offen offset:12
	s_waitcnt vmcnt(0)
	ds_write2_b64 v121, v[1:2], v[3:4] offset0:120 offset1:121
	;; [unrolled: 8-line block ×3, first 2 shown]
	ds_read2_b64 v[69:72], v125 offset1:1
	s_waitcnt lgkmcnt(0)
	v_cmp_neq_f64_e32 vcc, 0, v[69:70]
	v_cmp_neq_f64_e64 s[6:7], 0, v[71:72]
	s_or_b64 s[6:7], vcc, s[6:7]
	s_and_b64 exec, exec, s[6:7]
	s_cbranch_execz .LBB123_552
; %bb.547:
	v_cmp_ngt_f64_e64 s[6:7], |v[69:70]|, |v[71:72]|
                                        ; implicit-def: $vgpr1_vgpr2
	s_and_saveexec_b64 s[10:11], s[6:7]
	s_xor_b64 s[6:7], exec, s[10:11]
                                        ; implicit-def: $vgpr3_vgpr4
	s_cbranch_execz .LBB123_549
; %bb.548:
	v_div_scale_f64 v[1:2], s[10:11], v[71:72], v[71:72], v[69:70]
	v_rcp_f64_e32 v[3:4], v[1:2]
	v_fma_f64 v[73:74], -v[1:2], v[3:4], 1.0
	v_fma_f64 v[3:4], v[3:4], v[73:74], v[3:4]
	v_div_scale_f64 v[73:74], vcc, v[69:70], v[71:72], v[69:70]
	v_fma_f64 v[75:76], -v[1:2], v[3:4], 1.0
	v_fma_f64 v[3:4], v[3:4], v[75:76], v[3:4]
	v_mul_f64 v[75:76], v[73:74], v[3:4]
	v_fma_f64 v[1:2], -v[1:2], v[75:76], v[73:74]
	v_div_fmas_f64 v[1:2], v[1:2], v[3:4], v[75:76]
	v_div_fixup_f64 v[1:2], v[1:2], v[71:72], v[69:70]
	v_fma_f64 v[3:4], v[69:70], v[1:2], v[71:72]
	v_div_scale_f64 v[69:70], s[10:11], v[3:4], v[3:4], 1.0
	v_div_scale_f64 v[75:76], vcc, 1.0, v[3:4], 1.0
	v_rcp_f64_e32 v[71:72], v[69:70]
	v_fma_f64 v[73:74], -v[69:70], v[71:72], 1.0
	v_fma_f64 v[71:72], v[71:72], v[73:74], v[71:72]
	v_fma_f64 v[73:74], -v[69:70], v[71:72], 1.0
	v_fma_f64 v[71:72], v[71:72], v[73:74], v[71:72]
	v_mul_f64 v[73:74], v[75:76], v[71:72]
	v_fma_f64 v[69:70], -v[69:70], v[73:74], v[75:76]
	v_div_fmas_f64 v[69:70], v[69:70], v[71:72], v[73:74]
	v_div_fixup_f64 v[3:4], v[69:70], v[3:4], 1.0
                                        ; implicit-def: $vgpr69_vgpr70
	v_mul_f64 v[1:2], v[1:2], v[3:4]
	v_xor_b32_e32 v4, 0x80000000, v4
.LBB123_549:
	s_andn2_saveexec_b64 s[6:7], s[6:7]
	s_cbranch_execz .LBB123_551
; %bb.550:
	v_div_scale_f64 v[1:2], s[10:11], v[69:70], v[69:70], v[71:72]
	v_rcp_f64_e32 v[3:4], v[1:2]
	v_fma_f64 v[73:74], -v[1:2], v[3:4], 1.0
	v_fma_f64 v[3:4], v[3:4], v[73:74], v[3:4]
	v_div_scale_f64 v[73:74], vcc, v[71:72], v[69:70], v[71:72]
	v_fma_f64 v[75:76], -v[1:2], v[3:4], 1.0
	v_fma_f64 v[3:4], v[3:4], v[75:76], v[3:4]
	v_mul_f64 v[75:76], v[73:74], v[3:4]
	v_fma_f64 v[1:2], -v[1:2], v[75:76], v[73:74]
	v_div_fmas_f64 v[1:2], v[1:2], v[3:4], v[75:76]
	v_div_fixup_f64 v[3:4], v[1:2], v[69:70], v[71:72]
	v_fma_f64 v[1:2], v[71:72], v[3:4], v[69:70]
	v_div_scale_f64 v[69:70], s[10:11], v[1:2], v[1:2], 1.0
	v_div_scale_f64 v[75:76], vcc, 1.0, v[1:2], 1.0
	v_rcp_f64_e32 v[71:72], v[69:70]
	v_fma_f64 v[73:74], -v[69:70], v[71:72], 1.0
	v_fma_f64 v[71:72], v[71:72], v[73:74], v[71:72]
	v_fma_f64 v[73:74], -v[69:70], v[71:72], 1.0
	v_fma_f64 v[71:72], v[71:72], v[73:74], v[71:72]
	v_mul_f64 v[73:74], v[75:76], v[71:72]
	v_fma_f64 v[69:70], -v[69:70], v[73:74], v[75:76]
	v_div_fmas_f64 v[69:70], v[69:70], v[71:72], v[73:74]
	v_div_fixup_f64 v[1:2], v[69:70], v[1:2], 1.0
	v_mul_f64 v[3:4], v[3:4], -v[1:2]
.LBB123_551:
	s_or_b64 exec, exec, s[6:7]
	ds_write2_b64 v125, v[1:2], v[3:4] offset1:1
.LBB123_552:
	s_or_b64 exec, exec, s[8:9]
	s_waitcnt lgkmcnt(0)
	s_barrier
	ds_read2_b64 v[69:72], v125 offset1:1
	v_cmp_lt_u32_e32 vcc, 48, v0
	s_and_saveexec_b64 s[6:7], vcc
	s_cbranch_execz .LBB123_554
; %bb.553:
	buffer_load_dword v1, off, s[0:3], 0 offset:768
	buffer_load_dword v2, off, s[0:3], 0 offset:772
	;; [unrolled: 1-line block ×16, first 2 shown]
	s_waitcnt vmcnt(12) lgkmcnt(0)
	v_mul_f64 v[73:74], v[71:72], v[3:4]
	v_mul_f64 v[3:4], v[69:70], v[3:4]
	v_fma_f64 v[73:74], v[69:70], v[1:2], -v[73:74]
	v_fma_f64 v[75:76], v[71:72], v[1:2], v[3:4]
	buffer_store_dword v73, off, s[0:3], 0 offset:768
	buffer_store_dword v74, off, s[0:3], 0 offset:772
	buffer_store_dword v75, off, s[0:3], 0 offset:776
	buffer_store_dword v76, off, s[0:3], 0 offset:780
	ds_read2_b64 v[1:4], v121 offset0:98 offset1:99
	s_waitcnt lgkmcnt(0)
	v_mul_f64 v[89:90], v[3:4], v[75:76]
	v_fma_f64 v[89:90], v[1:2], v[73:74], -v[89:90]
	v_mul_f64 v[1:2], v[1:2], v[75:76]
	v_fma_f64 v[1:2], v[3:4], v[73:74], v[1:2]
	s_waitcnt vmcnt(14)
	v_add_f64 v[3:4], v[77:78], -v[89:90]
	s_waitcnt vmcnt(12)
	v_add_f64 v[1:2], v[79:80], -v[1:2]
	buffer_store_dword v3, off, s[0:3], 0 offset:784
	buffer_store_dword v4, off, s[0:3], 0 offset:788
	buffer_store_dword v1, off, s[0:3], 0 offset:792
	buffer_store_dword v2, off, s[0:3], 0 offset:796
	ds_read2_b64 v[1:4], v121 offset0:100 offset1:101
	s_waitcnt lgkmcnt(0)
	v_mul_f64 v[77:78], v[3:4], v[75:76]
	v_fma_f64 v[77:78], v[1:2], v[73:74], -v[77:78]
	v_mul_f64 v[1:2], v[1:2], v[75:76]
	v_fma_f64 v[1:2], v[3:4], v[73:74], v[1:2]
	s_waitcnt vmcnt(14)
	v_add_f64 v[3:4], v[81:82], -v[77:78]
	s_waitcnt vmcnt(12)
	v_add_f64 v[1:2], v[83:84], -v[1:2]
	;; [unrolled: 14-line block ×3, first 2 shown]
	buffer_store_dword v4, off, s[0:3], 0 offset:820
	buffer_store_dword v3, off, s[0:3], 0 offset:816
	buffer_store_dword v1, off, s[0:3], 0 offset:824
	buffer_store_dword v2, off, s[0:3], 0 offset:828
	ds_read2_b64 v[1:4], v121 offset0:104 offset1:105
	s_waitcnt lgkmcnt(0)
	v_mul_f64 v[77:78], v[3:4], v[75:76]
	v_fma_f64 v[77:78], v[1:2], v[73:74], -v[77:78]
	v_mul_f64 v[1:2], v[1:2], v[75:76]
	v_fma_f64 v[1:2], v[3:4], v[73:74], v[1:2]
	buffer_load_dword v3, off, s[0:3], 0 offset:832
	buffer_load_dword v4, off, s[0:3], 0 offset:836
	buffer_load_dword v79, off, s[0:3], 0 offset:840
	buffer_load_dword v80, off, s[0:3], 0 offset:844
	s_waitcnt vmcnt(2)
	v_add_f64 v[3:4], v[3:4], -v[77:78]
	s_waitcnt vmcnt(0)
	v_add_f64 v[1:2], v[79:80], -v[1:2]
	buffer_store_dword v4, off, s[0:3], 0 offset:836
	buffer_store_dword v3, off, s[0:3], 0 offset:832
	buffer_store_dword v2, off, s[0:3], 0 offset:844
	buffer_store_dword v1, off, s[0:3], 0 offset:840
	ds_read2_b64 v[1:4], v121 offset0:106 offset1:107
	s_waitcnt lgkmcnt(0)
	v_mul_f64 v[77:78], v[3:4], v[75:76]
	v_fma_f64 v[77:78], v[1:2], v[73:74], -v[77:78]
	v_mul_f64 v[1:2], v[1:2], v[75:76]
	v_fma_f64 v[1:2], v[3:4], v[73:74], v[1:2]
	buffer_load_dword v3, off, s[0:3], 0 offset:848
	buffer_load_dword v4, off, s[0:3], 0 offset:852
	buffer_load_dword v79, off, s[0:3], 0 offset:856
	buffer_load_dword v80, off, s[0:3], 0 offset:860
	s_waitcnt vmcnt(2)
	v_add_f64 v[3:4], v[3:4], -v[77:78]
	s_waitcnt vmcnt(0)
	v_add_f64 v[1:2], v[79:80], -v[1:2]
	buffer_store_dword v4, off, s[0:3], 0 offset:852
	buffer_store_dword v3, off, s[0:3], 0 offset:848
	buffer_store_dword v2, off, s[0:3], 0 offset:860
	buffer_store_dword v1, off, s[0:3], 0 offset:856
	ds_read2_b64 v[1:4], v121 offset0:108 offset1:109
	s_waitcnt lgkmcnt(0)
	v_mul_f64 v[77:78], v[3:4], v[75:76]
	v_fma_f64 v[77:78], v[1:2], v[73:74], -v[77:78]
	v_mul_f64 v[1:2], v[1:2], v[75:76]
	v_fma_f64 v[1:2], v[3:4], v[73:74], v[1:2]
	buffer_load_dword v3, off, s[0:3], 0 offset:864
	buffer_load_dword v4, off, s[0:3], 0 offset:868
	buffer_load_dword v73, off, s[0:3], 0 offset:872
	buffer_load_dword v74, off, s[0:3], 0 offset:876
	s_waitcnt vmcnt(2)
	v_add_f64 v[3:4], v[3:4], -v[77:78]
	s_waitcnt vmcnt(0)
	v_add_f64 v[1:2], v[73:74], -v[1:2]
	buffer_store_dword v4, off, s[0:3], 0 offset:868
	buffer_store_dword v3, off, s[0:3], 0 offset:864
	;; [unrolled: 1-line block ×4, first 2 shown]
	ds_read2_b64 v[1:4], v121 offset0:110 offset1:111
	buffer_load_dword v73, off, s[0:3], 0 offset:768
	buffer_load_dword v74, off, s[0:3], 0 offset:772
	;; [unrolled: 1-line block ×4, first 2 shown]
	s_waitcnt vmcnt(0) lgkmcnt(0)
	v_mul_f64 v[77:78], v[3:4], v[75:76]
	v_fma_f64 v[77:78], v[1:2], v[73:74], -v[77:78]
	v_mul_f64 v[1:2], v[1:2], v[75:76]
	v_fma_f64 v[1:2], v[3:4], v[73:74], v[1:2]
	buffer_load_dword v4, off, s[0:3], 0 offset:884
	buffer_load_dword v3, off, s[0:3], 0 offset:880
	s_waitcnt vmcnt(0)
	v_add_f64 v[3:4], v[3:4], -v[77:78]
	buffer_load_dword v78, off, s[0:3], 0 offset:892
	buffer_load_dword v77, off, s[0:3], 0 offset:888
	s_waitcnt vmcnt(0)
	v_add_f64 v[1:2], v[77:78], -v[1:2]
	buffer_store_dword v4, off, s[0:3], 0 offset:884
	buffer_store_dword v3, off, s[0:3], 0 offset:880
	buffer_store_dword v2, off, s[0:3], 0 offset:892
	buffer_store_dword v1, off, s[0:3], 0 offset:888
	ds_read2_b64 v[1:4], v121 offset0:112 offset1:113
	s_waitcnt lgkmcnt(0)
	v_mul_f64 v[77:78], v[3:4], v[75:76]
	v_fma_f64 v[77:78], v[1:2], v[73:74], -v[77:78]
	v_mul_f64 v[1:2], v[1:2], v[75:76]
	v_fma_f64 v[1:2], v[3:4], v[73:74], v[1:2]
	buffer_load_dword v3, off, s[0:3], 0 offset:896
	buffer_load_dword v4, off, s[0:3], 0 offset:900
	buffer_load_dword v79, off, s[0:3], 0 offset:904
	buffer_load_dword v80, off, s[0:3], 0 offset:908
	s_waitcnt vmcnt(2)
	v_add_f64 v[3:4], v[3:4], -v[77:78]
	s_waitcnt vmcnt(0)
	v_add_f64 v[1:2], v[79:80], -v[1:2]
	buffer_store_dword v4, off, s[0:3], 0 offset:900
	buffer_store_dword v3, off, s[0:3], 0 offset:896
	buffer_store_dword v2, off, s[0:3], 0 offset:908
	buffer_store_dword v1, off, s[0:3], 0 offset:904
	ds_read2_b64 v[1:4], v121 offset0:114 offset1:115
	s_waitcnt lgkmcnt(0)
	v_mul_f64 v[77:78], v[3:4], v[75:76]
	v_fma_f64 v[77:78], v[1:2], v[73:74], -v[77:78]
	v_mul_f64 v[1:2], v[1:2], v[75:76]
	v_fma_f64 v[1:2], v[3:4], v[73:74], v[1:2]
	buffer_load_dword v3, off, s[0:3], 0 offset:912
	buffer_load_dword v4, off, s[0:3], 0 offset:916
	buffer_load_dword v79, off, s[0:3], 0 offset:920
	buffer_load_dword v80, off, s[0:3], 0 offset:924
	s_waitcnt vmcnt(2)
	v_add_f64 v[3:4], v[3:4], -v[77:78]
	;; [unrolled: 18-line block ×5, first 2 shown]
	s_waitcnt vmcnt(0)
	v_add_f64 v[1:2], v[73:74], -v[1:2]
	buffer_store_dword v4, off, s[0:3], 0 offset:964
	buffer_store_dword v3, off, s[0:3], 0 offset:960
	;; [unrolled: 1-line block ×4, first 2 shown]
	ds_read2_b64 v[1:4], v121 offset0:122 offset1:123
	buffer_load_dword v73, off, s[0:3], 0 offset:768
	buffer_load_dword v74, off, s[0:3], 0 offset:772
	;; [unrolled: 1-line block ×4, first 2 shown]
	s_waitcnt vmcnt(0) lgkmcnt(0)
	v_mul_f64 v[77:78], v[3:4], v[75:76]
	v_fma_f64 v[77:78], v[1:2], v[73:74], -v[77:78]
	v_mul_f64 v[1:2], v[1:2], v[75:76]
	v_fma_f64 v[73:74], v[3:4], v[73:74], v[1:2]
	buffer_load_dword v2, off, s[0:3], 0 offset:980
	buffer_load_dword v1, off, s[0:3], 0 offset:976
	s_waitcnt vmcnt(0)
	v_add_f64 v[75:76], v[1:2], -v[77:78]
	buffer_load_dword v78, off, s[0:3], 0 offset:988
	buffer_load_dword v77, off, s[0:3], 0 offset:984
	s_waitcnt vmcnt(0)
	v_add_f64 v[1:2], v[77:78], -v[73:74]
	buffer_store_dword v76, off, s[0:3], 0 offset:980
	buffer_store_dword v75, off, s[0:3], 0 offset:976
	buffer_store_dword v2, off, s[0:3], 0 offset:988
	buffer_store_dword v1, off, s[0:3], 0 offset:984
.LBB123_554:
	s_or_b64 exec, exec, s[6:7]
	v_cmp_eq_u32_e32 vcc, 49, v0
	s_waitcnt vmcnt(0) lgkmcnt(0)
	s_barrier
	s_and_saveexec_b64 s[8:9], vcc
	s_cbranch_execz .LBB123_561
; %bb.555:
	v_mov_b32_e32 v4, s24
	buffer_load_dword v1, v4, s[0:3], 0 offen
	buffer_load_dword v2, v4, s[0:3], 0 offen offset:4
	buffer_load_dword v3, v4, s[0:3], 0 offen offset:8
	s_nop 0
	buffer_load_dword v4, v4, s[0:3], 0 offen offset:12
	v_readlane_b32 s6, v126, 18
	s_waitcnt vmcnt(0)
	ds_write2_b64 v125, v[1:2], v[3:4] offset1:1
	v_mov_b32_e32 v4, s6
	buffer_load_dword v1, v4, s[0:3], 0 offen
	buffer_load_dword v2, v4, s[0:3], 0 offen offset:4
	buffer_load_dword v3, v4, s[0:3], 0 offen offset:8
	s_nop 0
	buffer_load_dword v4, v4, s[0:3], 0 offen offset:12
	v_readlane_b32 s6, v126, 19
	s_waitcnt vmcnt(0)
	ds_write2_b64 v121, v[1:2], v[3:4] offset0:100 offset1:101
	v_mov_b32_e32 v4, s22
	buffer_load_dword v1, v4, s[0:3], 0 offen
	buffer_load_dword v2, v4, s[0:3], 0 offen offset:4
	buffer_load_dword v3, v4, s[0:3], 0 offen offset:8
	s_nop 0
	buffer_load_dword v4, v4, s[0:3], 0 offen offset:12
	s_waitcnt vmcnt(0)
	ds_write2_b64 v121, v[1:2], v[3:4] offset0:102 offset1:103
	v_mov_b32_e32 v4, s6
	buffer_load_dword v1, v4, s[0:3], 0 offen
	buffer_load_dword v2, v4, s[0:3], 0 offen offset:4
	buffer_load_dword v3, v4, s[0:3], 0 offen offset:8
	s_nop 0
	buffer_load_dword v4, v4, s[0:3], 0 offen offset:12
	v_readlane_b32 s6, v126, 20
	s_waitcnt vmcnt(0)
	ds_write2_b64 v121, v[1:2], v[3:4] offset0:104 offset1:105
	v_mov_b32_e32 v4, s20
	buffer_load_dword v1, v4, s[0:3], 0 offen
	buffer_load_dword v2, v4, s[0:3], 0 offen offset:4
	buffer_load_dword v3, v4, s[0:3], 0 offen offset:8
	s_nop 0
	buffer_load_dword v4, v4, s[0:3], 0 offen offset:12
	s_waitcnt vmcnt(0)
	ds_write2_b64 v121, v[1:2], v[3:4] offset0:106 offset1:107
	v_mov_b32_e32 v4, s6
	buffer_load_dword v1, v4, s[0:3], 0 offen
	buffer_load_dword v2, v4, s[0:3], 0 offen offset:4
	buffer_load_dword v3, v4, s[0:3], 0 offen offset:8
	s_nop 0
	buffer_load_dword v4, v4, s[0:3], 0 offen offset:12
	v_readlane_b32 s6, v126, 21
	s_waitcnt vmcnt(0)
	ds_write2_b64 v121, v[1:2], v[3:4] offset0:108 offset1:109
	v_mov_b32_e32 v4, s18
	buffer_load_dword v1, v4, s[0:3], 0 offen
	buffer_load_dword v2, v4, s[0:3], 0 offen offset:4
	buffer_load_dword v3, v4, s[0:3], 0 offen offset:8
	s_nop 0
	buffer_load_dword v4, v4, s[0:3], 0 offen offset:12
	s_waitcnt vmcnt(0)
	ds_write2_b64 v121, v[1:2], v[3:4] offset0:110 offset1:111
	v_mov_b32_e32 v4, s6
	buffer_load_dword v1, v4, s[0:3], 0 offen
	buffer_load_dword v2, v4, s[0:3], 0 offen offset:4
	buffer_load_dword v3, v4, s[0:3], 0 offen offset:8
	s_nop 0
	buffer_load_dword v4, v4, s[0:3], 0 offen offset:12
	v_readlane_b32 s6, v126, 22
	s_waitcnt vmcnt(0)
	ds_write2_b64 v121, v[1:2], v[3:4] offset0:112 offset1:113
	v_mov_b32_e32 v4, s16
	buffer_load_dword v1, v4, s[0:3], 0 offen
	buffer_load_dword v2, v4, s[0:3], 0 offen offset:4
	buffer_load_dword v3, v4, s[0:3], 0 offen offset:8
	s_nop 0
	buffer_load_dword v4, v4, s[0:3], 0 offen offset:12
	s_waitcnt vmcnt(0)
	ds_write2_b64 v121, v[1:2], v[3:4] offset0:114 offset1:115
	v_mov_b32_e32 v4, s6
	buffer_load_dword v1, v4, s[0:3], 0 offen
	buffer_load_dword v2, v4, s[0:3], 0 offen offset:4
	buffer_load_dword v3, v4, s[0:3], 0 offen offset:8
	s_nop 0
	buffer_load_dword v4, v4, s[0:3], 0 offen offset:12
	v_readlane_b32 s6, v126, 23
	s_waitcnt vmcnt(0)
	ds_write2_b64 v121, v[1:2], v[3:4] offset0:116 offset1:117
	v_mov_b32_e32 v4, s14
	buffer_load_dword v1, v4, s[0:3], 0 offen
	buffer_load_dword v2, v4, s[0:3], 0 offen offset:4
	buffer_load_dword v3, v4, s[0:3], 0 offen offset:8
	s_nop 0
	buffer_load_dword v4, v4, s[0:3], 0 offen offset:12
	s_waitcnt vmcnt(0)
	ds_write2_b64 v121, v[1:2], v[3:4] offset0:118 offset1:119
	v_mov_b32_e32 v4, s42
	buffer_load_dword v1, v4, s[0:3], 0 offen
	buffer_load_dword v2, v4, s[0:3], 0 offen offset:4
	buffer_load_dword v3, v4, s[0:3], 0 offen offset:8
	s_nop 0
	buffer_load_dword v4, v4, s[0:3], 0 offen offset:12
	s_waitcnt vmcnt(0)
	ds_write2_b64 v121, v[1:2], v[3:4] offset0:120 offset1:121
	v_mov_b32_e32 v4, s6
	buffer_load_dword v1, v4, s[0:3], 0 offen
	buffer_load_dword v2, v4, s[0:3], 0 offen offset:4
	buffer_load_dword v3, v4, s[0:3], 0 offen offset:8
	s_nop 0
	buffer_load_dword v4, v4, s[0:3], 0 offen offset:12
	s_waitcnt vmcnt(0)
	ds_write2_b64 v121, v[1:2], v[3:4] offset0:122 offset1:123
	ds_read2_b64 v[73:76], v125 offset1:1
	s_waitcnt lgkmcnt(0)
	v_cmp_neq_f64_e32 vcc, 0, v[73:74]
	v_cmp_neq_f64_e64 s[6:7], 0, v[75:76]
	s_or_b64 s[6:7], vcc, s[6:7]
	s_and_b64 exec, exec, s[6:7]
	s_cbranch_execz .LBB123_561
; %bb.556:
	v_cmp_ngt_f64_e64 s[6:7], |v[73:74]|, |v[75:76]|
                                        ; implicit-def: $vgpr1_vgpr2
	s_and_saveexec_b64 s[10:11], s[6:7]
	s_xor_b64 s[6:7], exec, s[10:11]
                                        ; implicit-def: $vgpr3_vgpr4
	s_cbranch_execz .LBB123_558
; %bb.557:
	v_div_scale_f64 v[1:2], s[10:11], v[75:76], v[75:76], v[73:74]
	v_rcp_f64_e32 v[3:4], v[1:2]
	v_fma_f64 v[77:78], -v[1:2], v[3:4], 1.0
	v_fma_f64 v[3:4], v[3:4], v[77:78], v[3:4]
	v_div_scale_f64 v[77:78], vcc, v[73:74], v[75:76], v[73:74]
	v_fma_f64 v[79:80], -v[1:2], v[3:4], 1.0
	v_fma_f64 v[3:4], v[3:4], v[79:80], v[3:4]
	v_mul_f64 v[79:80], v[77:78], v[3:4]
	v_fma_f64 v[1:2], -v[1:2], v[79:80], v[77:78]
	v_div_fmas_f64 v[1:2], v[1:2], v[3:4], v[79:80]
	v_div_fixup_f64 v[1:2], v[1:2], v[75:76], v[73:74]
	v_fma_f64 v[3:4], v[73:74], v[1:2], v[75:76]
	v_div_scale_f64 v[73:74], s[10:11], v[3:4], v[3:4], 1.0
	v_div_scale_f64 v[79:80], vcc, 1.0, v[3:4], 1.0
	v_rcp_f64_e32 v[75:76], v[73:74]
	v_fma_f64 v[77:78], -v[73:74], v[75:76], 1.0
	v_fma_f64 v[75:76], v[75:76], v[77:78], v[75:76]
	v_fma_f64 v[77:78], -v[73:74], v[75:76], 1.0
	v_fma_f64 v[75:76], v[75:76], v[77:78], v[75:76]
	v_mul_f64 v[77:78], v[79:80], v[75:76]
	v_fma_f64 v[73:74], -v[73:74], v[77:78], v[79:80]
	v_div_fmas_f64 v[73:74], v[73:74], v[75:76], v[77:78]
	v_div_fixup_f64 v[3:4], v[73:74], v[3:4], 1.0
                                        ; implicit-def: $vgpr73_vgpr74
	v_mul_f64 v[1:2], v[1:2], v[3:4]
	v_xor_b32_e32 v4, 0x80000000, v4
.LBB123_558:
	s_andn2_saveexec_b64 s[6:7], s[6:7]
	s_cbranch_execz .LBB123_560
; %bb.559:
	v_div_scale_f64 v[1:2], s[10:11], v[73:74], v[73:74], v[75:76]
	v_rcp_f64_e32 v[3:4], v[1:2]
	v_fma_f64 v[77:78], -v[1:2], v[3:4], 1.0
	v_fma_f64 v[3:4], v[3:4], v[77:78], v[3:4]
	v_div_scale_f64 v[77:78], vcc, v[75:76], v[73:74], v[75:76]
	v_fma_f64 v[79:80], -v[1:2], v[3:4], 1.0
	v_fma_f64 v[3:4], v[3:4], v[79:80], v[3:4]
	v_mul_f64 v[79:80], v[77:78], v[3:4]
	v_fma_f64 v[1:2], -v[1:2], v[79:80], v[77:78]
	v_div_fmas_f64 v[1:2], v[1:2], v[3:4], v[79:80]
	v_div_fixup_f64 v[3:4], v[1:2], v[73:74], v[75:76]
	v_fma_f64 v[1:2], v[75:76], v[3:4], v[73:74]
	v_div_scale_f64 v[73:74], s[10:11], v[1:2], v[1:2], 1.0
	v_div_scale_f64 v[79:80], vcc, 1.0, v[1:2], 1.0
	v_rcp_f64_e32 v[75:76], v[73:74]
	v_fma_f64 v[77:78], -v[73:74], v[75:76], 1.0
	v_fma_f64 v[75:76], v[75:76], v[77:78], v[75:76]
	v_fma_f64 v[77:78], -v[73:74], v[75:76], 1.0
	v_fma_f64 v[75:76], v[75:76], v[77:78], v[75:76]
	v_mul_f64 v[77:78], v[79:80], v[75:76]
	v_fma_f64 v[73:74], -v[73:74], v[77:78], v[79:80]
	v_div_fmas_f64 v[73:74], v[73:74], v[75:76], v[77:78]
	v_div_fixup_f64 v[1:2], v[73:74], v[1:2], 1.0
	v_mul_f64 v[3:4], v[3:4], -v[1:2]
.LBB123_560:
	s_or_b64 exec, exec, s[6:7]
	ds_write2_b64 v125, v[1:2], v[3:4] offset1:1
.LBB123_561:
	s_or_b64 exec, exec, s[8:9]
	s_waitcnt lgkmcnt(0)
	s_barrier
	ds_read2_b64 v[73:76], v125 offset1:1
	v_cmp_lt_u32_e32 vcc, 49, v0
	s_and_saveexec_b64 s[6:7], vcc
	s_cbranch_execz .LBB123_563
; %bb.562:
	buffer_load_dword v1, off, s[0:3], 0 offset:784
	buffer_load_dword v2, off, s[0:3], 0 offset:788
	;; [unrolled: 1-line block ×16, first 2 shown]
	s_waitcnt vmcnt(12) lgkmcnt(0)
	v_mul_f64 v[77:78], v[75:76], v[3:4]
	v_mul_f64 v[3:4], v[73:74], v[3:4]
	v_fma_f64 v[77:78], v[73:74], v[1:2], -v[77:78]
	v_fma_f64 v[79:80], v[75:76], v[1:2], v[3:4]
	buffer_store_dword v77, off, s[0:3], 0 offset:784
	buffer_store_dword v78, off, s[0:3], 0 offset:788
	buffer_store_dword v79, off, s[0:3], 0 offset:792
	buffer_store_dword v80, off, s[0:3], 0 offset:796
	ds_read2_b64 v[1:4], v121 offset0:100 offset1:101
	s_waitcnt lgkmcnt(0)
	v_mul_f64 v[93:94], v[3:4], v[79:80]
	v_fma_f64 v[93:94], v[1:2], v[77:78], -v[93:94]
	v_mul_f64 v[1:2], v[1:2], v[79:80]
	v_fma_f64 v[1:2], v[3:4], v[77:78], v[1:2]
	s_waitcnt vmcnt(14)
	v_add_f64 v[3:4], v[81:82], -v[93:94]
	s_waitcnt vmcnt(12)
	v_add_f64 v[1:2], v[83:84], -v[1:2]
	buffer_store_dword v3, off, s[0:3], 0 offset:800
	buffer_store_dword v4, off, s[0:3], 0 offset:804
	buffer_store_dword v1, off, s[0:3], 0 offset:808
	buffer_store_dword v2, off, s[0:3], 0 offset:812
	ds_read2_b64 v[1:4], v121 offset0:102 offset1:103
	s_waitcnt lgkmcnt(0)
	v_mul_f64 v[81:82], v[3:4], v[79:80]
	v_fma_f64 v[81:82], v[1:2], v[77:78], -v[81:82]
	v_mul_f64 v[1:2], v[1:2], v[79:80]
	v_fma_f64 v[1:2], v[3:4], v[77:78], v[1:2]
	s_waitcnt vmcnt(14)
	v_add_f64 v[3:4], v[85:86], -v[81:82]
	s_waitcnt vmcnt(12)
	v_add_f64 v[1:2], v[87:88], -v[1:2]
	;; [unrolled: 14-line block ×3, first 2 shown]
	buffer_store_dword v4, off, s[0:3], 0 offset:836
	buffer_store_dword v3, off, s[0:3], 0 offset:832
	buffer_store_dword v1, off, s[0:3], 0 offset:840
	buffer_store_dword v2, off, s[0:3], 0 offset:844
	ds_read2_b64 v[1:4], v121 offset0:106 offset1:107
	s_waitcnt lgkmcnt(0)
	v_mul_f64 v[81:82], v[3:4], v[79:80]
	v_fma_f64 v[81:82], v[1:2], v[77:78], -v[81:82]
	v_mul_f64 v[1:2], v[1:2], v[79:80]
	v_fma_f64 v[1:2], v[3:4], v[77:78], v[1:2]
	buffer_load_dword v3, off, s[0:3], 0 offset:848
	buffer_load_dword v4, off, s[0:3], 0 offset:852
	buffer_load_dword v83, off, s[0:3], 0 offset:856
	buffer_load_dword v84, off, s[0:3], 0 offset:860
	s_waitcnt vmcnt(2)
	v_add_f64 v[3:4], v[3:4], -v[81:82]
	s_waitcnt vmcnt(0)
	v_add_f64 v[1:2], v[83:84], -v[1:2]
	buffer_store_dword v4, off, s[0:3], 0 offset:852
	buffer_store_dword v3, off, s[0:3], 0 offset:848
	buffer_store_dword v2, off, s[0:3], 0 offset:860
	buffer_store_dword v1, off, s[0:3], 0 offset:856
	ds_read2_b64 v[1:4], v121 offset0:108 offset1:109
	s_waitcnt lgkmcnt(0)
	v_mul_f64 v[81:82], v[3:4], v[79:80]
	v_fma_f64 v[81:82], v[1:2], v[77:78], -v[81:82]
	v_mul_f64 v[1:2], v[1:2], v[79:80]
	v_fma_f64 v[1:2], v[3:4], v[77:78], v[1:2]
	buffer_load_dword v3, off, s[0:3], 0 offset:864
	buffer_load_dword v4, off, s[0:3], 0 offset:868
	buffer_load_dword v83, off, s[0:3], 0 offset:872
	buffer_load_dword v84, off, s[0:3], 0 offset:876
	s_waitcnt vmcnt(2)
	v_add_f64 v[3:4], v[3:4], -v[81:82]
	s_waitcnt vmcnt(0)
	v_add_f64 v[1:2], v[83:84], -v[1:2]
	buffer_store_dword v4, off, s[0:3], 0 offset:868
	buffer_store_dword v3, off, s[0:3], 0 offset:864
	buffer_store_dword v2, off, s[0:3], 0 offset:876
	buffer_store_dword v1, off, s[0:3], 0 offset:872
	ds_read2_b64 v[1:4], v121 offset0:110 offset1:111
	s_waitcnt lgkmcnt(0)
	v_mul_f64 v[81:82], v[3:4], v[79:80]
	v_fma_f64 v[81:82], v[1:2], v[77:78], -v[81:82]
	v_mul_f64 v[1:2], v[1:2], v[79:80]
	v_fma_f64 v[1:2], v[3:4], v[77:78], v[1:2]
	buffer_load_dword v3, off, s[0:3], 0 offset:880
	buffer_load_dword v4, off, s[0:3], 0 offset:884
	buffer_load_dword v77, off, s[0:3], 0 offset:888
	buffer_load_dword v78, off, s[0:3], 0 offset:892
	s_waitcnt vmcnt(2)
	v_add_f64 v[3:4], v[3:4], -v[81:82]
	s_waitcnt vmcnt(0)
	v_add_f64 v[1:2], v[77:78], -v[1:2]
	buffer_store_dword v4, off, s[0:3], 0 offset:884
	buffer_store_dword v3, off, s[0:3], 0 offset:880
	;; [unrolled: 1-line block ×4, first 2 shown]
	ds_read2_b64 v[1:4], v121 offset0:112 offset1:113
	buffer_load_dword v77, off, s[0:3], 0 offset:784
	buffer_load_dword v78, off, s[0:3], 0 offset:788
	;; [unrolled: 1-line block ×4, first 2 shown]
	s_waitcnt vmcnt(0) lgkmcnt(0)
	v_mul_f64 v[81:82], v[3:4], v[79:80]
	v_fma_f64 v[81:82], v[1:2], v[77:78], -v[81:82]
	v_mul_f64 v[1:2], v[1:2], v[79:80]
	v_fma_f64 v[1:2], v[3:4], v[77:78], v[1:2]
	buffer_load_dword v4, off, s[0:3], 0 offset:900
	buffer_load_dword v3, off, s[0:3], 0 offset:896
	s_waitcnt vmcnt(0)
	v_add_f64 v[3:4], v[3:4], -v[81:82]
	buffer_load_dword v82, off, s[0:3], 0 offset:908
	buffer_load_dword v81, off, s[0:3], 0 offset:904
	s_waitcnt vmcnt(0)
	v_add_f64 v[1:2], v[81:82], -v[1:2]
	buffer_store_dword v4, off, s[0:3], 0 offset:900
	buffer_store_dword v3, off, s[0:3], 0 offset:896
	buffer_store_dword v2, off, s[0:3], 0 offset:908
	buffer_store_dword v1, off, s[0:3], 0 offset:904
	ds_read2_b64 v[1:4], v121 offset0:114 offset1:115
	s_waitcnt lgkmcnt(0)
	v_mul_f64 v[81:82], v[3:4], v[79:80]
	v_fma_f64 v[81:82], v[1:2], v[77:78], -v[81:82]
	v_mul_f64 v[1:2], v[1:2], v[79:80]
	v_fma_f64 v[1:2], v[3:4], v[77:78], v[1:2]
	buffer_load_dword v3, off, s[0:3], 0 offset:912
	buffer_load_dword v4, off, s[0:3], 0 offset:916
	buffer_load_dword v83, off, s[0:3], 0 offset:920
	buffer_load_dword v84, off, s[0:3], 0 offset:924
	s_waitcnt vmcnt(2)
	v_add_f64 v[3:4], v[3:4], -v[81:82]
	s_waitcnt vmcnt(0)
	v_add_f64 v[1:2], v[83:84], -v[1:2]
	buffer_store_dword v4, off, s[0:3], 0 offset:916
	buffer_store_dword v3, off, s[0:3], 0 offset:912
	buffer_store_dword v2, off, s[0:3], 0 offset:924
	buffer_store_dword v1, off, s[0:3], 0 offset:920
	ds_read2_b64 v[1:4], v121 offset0:116 offset1:117
	s_waitcnt lgkmcnt(0)
	v_mul_f64 v[81:82], v[3:4], v[79:80]
	v_fma_f64 v[81:82], v[1:2], v[77:78], -v[81:82]
	v_mul_f64 v[1:2], v[1:2], v[79:80]
	v_fma_f64 v[1:2], v[3:4], v[77:78], v[1:2]
	buffer_load_dword v3, off, s[0:3], 0 offset:928
	buffer_load_dword v4, off, s[0:3], 0 offset:932
	buffer_load_dword v83, off, s[0:3], 0 offset:936
	buffer_load_dword v84, off, s[0:3], 0 offset:940
	s_waitcnt vmcnt(2)
	v_add_f64 v[3:4], v[3:4], -v[81:82]
	;; [unrolled: 18-line block ×4, first 2 shown]
	s_waitcnt vmcnt(0)
	v_add_f64 v[1:2], v[83:84], -v[1:2]
	buffer_store_dword v4, off, s[0:3], 0 offset:964
	buffer_store_dword v3, off, s[0:3], 0 offset:960
	;; [unrolled: 1-line block ×4, first 2 shown]
	ds_read2_b64 v[1:4], v121 offset0:122 offset1:123
	s_waitcnt lgkmcnt(0)
	v_mul_f64 v[81:82], v[3:4], v[79:80]
	v_fma_f64 v[81:82], v[1:2], v[77:78], -v[81:82]
	v_mul_f64 v[1:2], v[1:2], v[79:80]
	buffer_load_dword v83, off, s[0:3], 0 offset:976
	buffer_load_dword v84, off, s[0:3], 0 offset:980
	;; [unrolled: 1-line block ×4, first 2 shown]
	v_fma_f64 v[77:78], v[3:4], v[77:78], v[1:2]
	s_waitcnt vmcnt(2)
	v_add_f64 v[1:2], v[83:84], -v[81:82]
	s_waitcnt vmcnt(0)
	v_add_f64 v[3:4], v[79:80], -v[77:78]
	buffer_store_dword v2, off, s[0:3], 0 offset:980
	buffer_store_dword v1, off, s[0:3], 0 offset:976
	;; [unrolled: 1-line block ×4, first 2 shown]
.LBB123_563:
	s_or_b64 exec, exec, s[6:7]
	v_cmp_eq_u32_e32 vcc, 50, v0
	s_waitcnt vmcnt(0) lgkmcnt(0)
	s_barrier
	s_and_saveexec_b64 s[8:9], vcc
	s_cbranch_execz .LBB123_570
; %bb.564:
	v_readlane_b32 s6, v126, 18
	v_mov_b32_e32 v4, s6
	buffer_load_dword v1, v4, s[0:3], 0 offen
	buffer_load_dword v2, v4, s[0:3], 0 offen offset:4
	buffer_load_dword v3, v4, s[0:3], 0 offen offset:8
	s_nop 0
	buffer_load_dword v4, v4, s[0:3], 0 offen offset:12
	v_readlane_b32 s6, v126, 19
	s_waitcnt vmcnt(0)
	ds_write2_b64 v125, v[1:2], v[3:4] offset1:1
	v_mov_b32_e32 v4, s22
	buffer_load_dword v1, v4, s[0:3], 0 offen
	buffer_load_dword v2, v4, s[0:3], 0 offen offset:4
	buffer_load_dword v3, v4, s[0:3], 0 offen offset:8
	s_nop 0
	buffer_load_dword v4, v4, s[0:3], 0 offen offset:12
	s_waitcnt vmcnt(0)
	ds_write2_b64 v121, v[1:2], v[3:4] offset0:102 offset1:103
	v_mov_b32_e32 v4, s6
	buffer_load_dword v1, v4, s[0:3], 0 offen
	buffer_load_dword v2, v4, s[0:3], 0 offen offset:4
	buffer_load_dword v3, v4, s[0:3], 0 offen offset:8
	s_nop 0
	buffer_load_dword v4, v4, s[0:3], 0 offen offset:12
	v_readlane_b32 s6, v126, 20
	s_waitcnt vmcnt(0)
	ds_write2_b64 v121, v[1:2], v[3:4] offset0:104 offset1:105
	v_mov_b32_e32 v4, s20
	buffer_load_dword v1, v4, s[0:3], 0 offen
	buffer_load_dword v2, v4, s[0:3], 0 offen offset:4
	buffer_load_dword v3, v4, s[0:3], 0 offen offset:8
	s_nop 0
	buffer_load_dword v4, v4, s[0:3], 0 offen offset:12
	s_waitcnt vmcnt(0)
	ds_write2_b64 v121, v[1:2], v[3:4] offset0:106 offset1:107
	v_mov_b32_e32 v4, s6
	buffer_load_dword v1, v4, s[0:3], 0 offen
	buffer_load_dword v2, v4, s[0:3], 0 offen offset:4
	buffer_load_dword v3, v4, s[0:3], 0 offen offset:8
	s_nop 0
	buffer_load_dword v4, v4, s[0:3], 0 offen offset:12
	v_readlane_b32 s6, v126, 21
	s_waitcnt vmcnt(0)
	ds_write2_b64 v121, v[1:2], v[3:4] offset0:108 offset1:109
	;; [unrolled: 17-line block ×4, first 2 shown]
	v_mov_b32_e32 v4, s14
	buffer_load_dword v1, v4, s[0:3], 0 offen
	buffer_load_dword v2, v4, s[0:3], 0 offen offset:4
	buffer_load_dword v3, v4, s[0:3], 0 offen offset:8
	s_nop 0
	buffer_load_dword v4, v4, s[0:3], 0 offen offset:12
	s_waitcnt vmcnt(0)
	ds_write2_b64 v121, v[1:2], v[3:4] offset0:118 offset1:119
	v_mov_b32_e32 v4, s42
	buffer_load_dword v1, v4, s[0:3], 0 offen
	buffer_load_dword v2, v4, s[0:3], 0 offen offset:4
	buffer_load_dword v3, v4, s[0:3], 0 offen offset:8
	s_nop 0
	buffer_load_dword v4, v4, s[0:3], 0 offen offset:12
	s_waitcnt vmcnt(0)
	ds_write2_b64 v121, v[1:2], v[3:4] offset0:120 offset1:121
	v_mov_b32_e32 v4, s6
	buffer_load_dword v1, v4, s[0:3], 0 offen
	buffer_load_dword v2, v4, s[0:3], 0 offen offset:4
	buffer_load_dword v3, v4, s[0:3], 0 offen offset:8
	s_nop 0
	buffer_load_dword v4, v4, s[0:3], 0 offen offset:12
	s_waitcnt vmcnt(0)
	ds_write2_b64 v121, v[1:2], v[3:4] offset0:122 offset1:123
	ds_read2_b64 v[77:80], v125 offset1:1
	s_waitcnt lgkmcnt(0)
	v_cmp_neq_f64_e32 vcc, 0, v[77:78]
	v_cmp_neq_f64_e64 s[6:7], 0, v[79:80]
	s_or_b64 s[6:7], vcc, s[6:7]
	s_and_b64 exec, exec, s[6:7]
	s_cbranch_execz .LBB123_570
; %bb.565:
	v_cmp_ngt_f64_e64 s[6:7], |v[77:78]|, |v[79:80]|
                                        ; implicit-def: $vgpr1_vgpr2
	s_and_saveexec_b64 s[10:11], s[6:7]
	s_xor_b64 s[6:7], exec, s[10:11]
                                        ; implicit-def: $vgpr3_vgpr4
	s_cbranch_execz .LBB123_567
; %bb.566:
	v_div_scale_f64 v[1:2], s[10:11], v[79:80], v[79:80], v[77:78]
	v_rcp_f64_e32 v[3:4], v[1:2]
	v_fma_f64 v[81:82], -v[1:2], v[3:4], 1.0
	v_fma_f64 v[3:4], v[3:4], v[81:82], v[3:4]
	v_div_scale_f64 v[81:82], vcc, v[77:78], v[79:80], v[77:78]
	v_fma_f64 v[83:84], -v[1:2], v[3:4], 1.0
	v_fma_f64 v[3:4], v[3:4], v[83:84], v[3:4]
	v_mul_f64 v[83:84], v[81:82], v[3:4]
	v_fma_f64 v[1:2], -v[1:2], v[83:84], v[81:82]
	v_div_fmas_f64 v[1:2], v[1:2], v[3:4], v[83:84]
	v_div_fixup_f64 v[1:2], v[1:2], v[79:80], v[77:78]
	v_fma_f64 v[3:4], v[77:78], v[1:2], v[79:80]
	v_div_scale_f64 v[77:78], s[10:11], v[3:4], v[3:4], 1.0
	v_div_scale_f64 v[83:84], vcc, 1.0, v[3:4], 1.0
	v_rcp_f64_e32 v[79:80], v[77:78]
	v_fma_f64 v[81:82], -v[77:78], v[79:80], 1.0
	v_fma_f64 v[79:80], v[79:80], v[81:82], v[79:80]
	v_fma_f64 v[81:82], -v[77:78], v[79:80], 1.0
	v_fma_f64 v[79:80], v[79:80], v[81:82], v[79:80]
	v_mul_f64 v[81:82], v[83:84], v[79:80]
	v_fma_f64 v[77:78], -v[77:78], v[81:82], v[83:84]
	v_div_fmas_f64 v[77:78], v[77:78], v[79:80], v[81:82]
	v_div_fixup_f64 v[3:4], v[77:78], v[3:4], 1.0
                                        ; implicit-def: $vgpr77_vgpr78
	v_mul_f64 v[1:2], v[1:2], v[3:4]
	v_xor_b32_e32 v4, 0x80000000, v4
.LBB123_567:
	s_andn2_saveexec_b64 s[6:7], s[6:7]
	s_cbranch_execz .LBB123_569
; %bb.568:
	v_div_scale_f64 v[1:2], s[10:11], v[77:78], v[77:78], v[79:80]
	v_rcp_f64_e32 v[3:4], v[1:2]
	v_fma_f64 v[81:82], -v[1:2], v[3:4], 1.0
	v_fma_f64 v[3:4], v[3:4], v[81:82], v[3:4]
	v_div_scale_f64 v[81:82], vcc, v[79:80], v[77:78], v[79:80]
	v_fma_f64 v[83:84], -v[1:2], v[3:4], 1.0
	v_fma_f64 v[3:4], v[3:4], v[83:84], v[3:4]
	v_mul_f64 v[83:84], v[81:82], v[3:4]
	v_fma_f64 v[1:2], -v[1:2], v[83:84], v[81:82]
	v_div_fmas_f64 v[1:2], v[1:2], v[3:4], v[83:84]
	v_div_fixup_f64 v[3:4], v[1:2], v[77:78], v[79:80]
	v_fma_f64 v[1:2], v[79:80], v[3:4], v[77:78]
	v_div_scale_f64 v[77:78], s[10:11], v[1:2], v[1:2], 1.0
	v_div_scale_f64 v[83:84], vcc, 1.0, v[1:2], 1.0
	v_rcp_f64_e32 v[79:80], v[77:78]
	v_fma_f64 v[81:82], -v[77:78], v[79:80], 1.0
	v_fma_f64 v[79:80], v[79:80], v[81:82], v[79:80]
	v_fma_f64 v[81:82], -v[77:78], v[79:80], 1.0
	v_fma_f64 v[79:80], v[79:80], v[81:82], v[79:80]
	v_mul_f64 v[81:82], v[83:84], v[79:80]
	v_fma_f64 v[77:78], -v[77:78], v[81:82], v[83:84]
	v_div_fmas_f64 v[77:78], v[77:78], v[79:80], v[81:82]
	v_div_fixup_f64 v[1:2], v[77:78], v[1:2], 1.0
	v_mul_f64 v[3:4], v[3:4], -v[1:2]
.LBB123_569:
	s_or_b64 exec, exec, s[6:7]
	ds_write2_b64 v125, v[1:2], v[3:4] offset1:1
.LBB123_570:
	s_or_b64 exec, exec, s[8:9]
	s_waitcnt lgkmcnt(0)
	s_barrier
	ds_read2_b64 v[77:80], v125 offset1:1
	v_cmp_lt_u32_e32 vcc, 50, v0
	s_and_saveexec_b64 s[6:7], vcc
	s_cbranch_execz .LBB123_572
; %bb.571:
	buffer_load_dword v1, off, s[0:3], 0 offset:800
	buffer_load_dword v2, off, s[0:3], 0 offset:804
	;; [unrolled: 1-line block ×16, first 2 shown]
	s_waitcnt vmcnt(12) lgkmcnt(0)
	v_mul_f64 v[81:82], v[79:80], v[3:4]
	v_mul_f64 v[3:4], v[77:78], v[3:4]
	v_fma_f64 v[81:82], v[77:78], v[1:2], -v[81:82]
	v_fma_f64 v[83:84], v[79:80], v[1:2], v[3:4]
	buffer_store_dword v81, off, s[0:3], 0 offset:800
	buffer_store_dword v82, off, s[0:3], 0 offset:804
	buffer_store_dword v83, off, s[0:3], 0 offset:808
	buffer_store_dword v84, off, s[0:3], 0 offset:812
	ds_read2_b64 v[1:4], v121 offset0:102 offset1:103
	s_waitcnt lgkmcnt(0)
	v_mul_f64 v[97:98], v[3:4], v[83:84]
	v_fma_f64 v[97:98], v[1:2], v[81:82], -v[97:98]
	v_mul_f64 v[1:2], v[1:2], v[83:84]
	v_fma_f64 v[1:2], v[3:4], v[81:82], v[1:2]
	s_waitcnt vmcnt(14)
	v_add_f64 v[3:4], v[85:86], -v[97:98]
	s_waitcnt vmcnt(12)
	v_add_f64 v[1:2], v[87:88], -v[1:2]
	buffer_store_dword v3, off, s[0:3], 0 offset:816
	buffer_store_dword v4, off, s[0:3], 0 offset:820
	buffer_store_dword v1, off, s[0:3], 0 offset:824
	buffer_store_dword v2, off, s[0:3], 0 offset:828
	ds_read2_b64 v[1:4], v121 offset0:104 offset1:105
	s_waitcnt lgkmcnt(0)
	v_mul_f64 v[85:86], v[3:4], v[83:84]
	v_fma_f64 v[85:86], v[1:2], v[81:82], -v[85:86]
	v_mul_f64 v[1:2], v[1:2], v[83:84]
	v_fma_f64 v[1:2], v[3:4], v[81:82], v[1:2]
	s_waitcnt vmcnt(14)
	v_add_f64 v[3:4], v[89:90], -v[85:86]
	s_waitcnt vmcnt(12)
	v_add_f64 v[1:2], v[91:92], -v[1:2]
	;; [unrolled: 14-line block ×3, first 2 shown]
	buffer_store_dword v4, off, s[0:3], 0 offset:852
	buffer_store_dword v3, off, s[0:3], 0 offset:848
	buffer_store_dword v1, off, s[0:3], 0 offset:856
	buffer_store_dword v2, off, s[0:3], 0 offset:860
	ds_read2_b64 v[1:4], v121 offset0:108 offset1:109
	s_waitcnt lgkmcnt(0)
	v_mul_f64 v[85:86], v[3:4], v[83:84]
	v_fma_f64 v[85:86], v[1:2], v[81:82], -v[85:86]
	v_mul_f64 v[1:2], v[1:2], v[83:84]
	v_fma_f64 v[1:2], v[3:4], v[81:82], v[1:2]
	buffer_load_dword v3, off, s[0:3], 0 offset:864
	buffer_load_dword v4, off, s[0:3], 0 offset:868
	buffer_load_dword v87, off, s[0:3], 0 offset:872
	buffer_load_dword v88, off, s[0:3], 0 offset:876
	s_waitcnt vmcnt(2)
	v_add_f64 v[3:4], v[3:4], -v[85:86]
	s_waitcnt vmcnt(0)
	v_add_f64 v[1:2], v[87:88], -v[1:2]
	buffer_store_dword v4, off, s[0:3], 0 offset:868
	buffer_store_dword v3, off, s[0:3], 0 offset:864
	buffer_store_dword v2, off, s[0:3], 0 offset:876
	buffer_store_dword v1, off, s[0:3], 0 offset:872
	ds_read2_b64 v[1:4], v121 offset0:110 offset1:111
	s_waitcnt lgkmcnt(0)
	v_mul_f64 v[85:86], v[3:4], v[83:84]
	v_fma_f64 v[85:86], v[1:2], v[81:82], -v[85:86]
	v_mul_f64 v[1:2], v[1:2], v[83:84]
	v_fma_f64 v[1:2], v[3:4], v[81:82], v[1:2]
	buffer_load_dword v3, off, s[0:3], 0 offset:880
	buffer_load_dword v4, off, s[0:3], 0 offset:884
	buffer_load_dword v87, off, s[0:3], 0 offset:888
	buffer_load_dword v88, off, s[0:3], 0 offset:892
	s_waitcnt vmcnt(2)
	v_add_f64 v[3:4], v[3:4], -v[85:86]
	s_waitcnt vmcnt(0)
	v_add_f64 v[1:2], v[87:88], -v[1:2]
	buffer_store_dword v4, off, s[0:3], 0 offset:884
	buffer_store_dword v3, off, s[0:3], 0 offset:880
	buffer_store_dword v2, off, s[0:3], 0 offset:892
	buffer_store_dword v1, off, s[0:3], 0 offset:888
	ds_read2_b64 v[1:4], v121 offset0:112 offset1:113
	s_waitcnt lgkmcnt(0)
	v_mul_f64 v[85:86], v[3:4], v[83:84]
	v_fma_f64 v[85:86], v[1:2], v[81:82], -v[85:86]
	v_mul_f64 v[1:2], v[1:2], v[83:84]
	v_fma_f64 v[1:2], v[3:4], v[81:82], v[1:2]
	buffer_load_dword v3, off, s[0:3], 0 offset:896
	buffer_load_dword v4, off, s[0:3], 0 offset:900
	buffer_load_dword v81, off, s[0:3], 0 offset:904
	buffer_load_dword v82, off, s[0:3], 0 offset:908
	s_waitcnt vmcnt(2)
	v_add_f64 v[3:4], v[3:4], -v[85:86]
	s_waitcnt vmcnt(0)
	v_add_f64 v[1:2], v[81:82], -v[1:2]
	buffer_store_dword v4, off, s[0:3], 0 offset:900
	buffer_store_dword v3, off, s[0:3], 0 offset:896
	;; [unrolled: 1-line block ×4, first 2 shown]
	ds_read2_b64 v[1:4], v121 offset0:114 offset1:115
	buffer_load_dword v81, off, s[0:3], 0 offset:800
	buffer_load_dword v82, off, s[0:3], 0 offset:804
	;; [unrolled: 1-line block ×4, first 2 shown]
	s_waitcnt vmcnt(0) lgkmcnt(0)
	v_mul_f64 v[83:84], v[3:4], v[85:86]
	v_fma_f64 v[83:84], v[1:2], v[81:82], -v[83:84]
	v_mul_f64 v[1:2], v[1:2], v[85:86]
	v_fma_f64 v[1:2], v[3:4], v[81:82], v[1:2]
	buffer_load_dword v4, off, s[0:3], 0 offset:916
	buffer_load_dword v3, off, s[0:3], 0 offset:912
	s_waitcnt vmcnt(0)
	v_add_f64 v[3:4], v[3:4], -v[83:84]
	buffer_load_dword v84, off, s[0:3], 0 offset:924
	buffer_load_dword v83, off, s[0:3], 0 offset:920
	s_waitcnt vmcnt(0)
	v_add_f64 v[1:2], v[83:84], -v[1:2]
	buffer_store_dword v4, off, s[0:3], 0 offset:916
	buffer_store_dword v3, off, s[0:3], 0 offset:912
	buffer_store_dword v2, off, s[0:3], 0 offset:924
	buffer_store_dword v1, off, s[0:3], 0 offset:920
	ds_read2_b64 v[1:4], v121 offset0:116 offset1:117
	s_waitcnt lgkmcnt(0)
	v_mul_f64 v[83:84], v[3:4], v[85:86]
	v_fma_f64 v[83:84], v[1:2], v[81:82], -v[83:84]
	v_mul_f64 v[1:2], v[1:2], v[85:86]
	v_fma_f64 v[1:2], v[3:4], v[81:82], v[1:2]
	buffer_load_dword v3, off, s[0:3], 0 offset:928
	buffer_load_dword v4, off, s[0:3], 0 offset:932
	buffer_load_dword v87, off, s[0:3], 0 offset:936
	buffer_load_dword v88, off, s[0:3], 0 offset:940
	s_waitcnt vmcnt(2)
	v_add_f64 v[3:4], v[3:4], -v[83:84]
	s_waitcnt vmcnt(0)
	v_add_f64 v[1:2], v[87:88], -v[1:2]
	buffer_store_dword v4, off, s[0:3], 0 offset:932
	buffer_store_dword v3, off, s[0:3], 0 offset:928
	buffer_store_dword v2, off, s[0:3], 0 offset:940
	buffer_store_dword v1, off, s[0:3], 0 offset:936
	ds_read2_b64 v[1:4], v121 offset0:118 offset1:119
	s_waitcnt lgkmcnt(0)
	v_mul_f64 v[83:84], v[3:4], v[85:86]
	v_fma_f64 v[83:84], v[1:2], v[81:82], -v[83:84]
	v_mul_f64 v[1:2], v[1:2], v[85:86]
	v_fma_f64 v[1:2], v[3:4], v[81:82], v[1:2]
	buffer_load_dword v3, off, s[0:3], 0 offset:944
	buffer_load_dword v4, off, s[0:3], 0 offset:948
	buffer_load_dword v87, off, s[0:3], 0 offset:952
	buffer_load_dword v88, off, s[0:3], 0 offset:956
	s_waitcnt vmcnt(2)
	v_add_f64 v[3:4], v[3:4], -v[83:84]
	;; [unrolled: 18-line block ×3, first 2 shown]
	s_waitcnt vmcnt(0)
	v_add_f64 v[1:2], v[87:88], -v[1:2]
	buffer_store_dword v4, off, s[0:3], 0 offset:964
	buffer_store_dword v3, off, s[0:3], 0 offset:960
	;; [unrolled: 1-line block ×4, first 2 shown]
	ds_read2_b64 v[1:4], v121 offset0:122 offset1:123
	s_waitcnt lgkmcnt(0)
	v_mul_f64 v[83:84], v[3:4], v[85:86]
	v_fma_f64 v[83:84], v[1:2], v[81:82], -v[83:84]
	v_mul_f64 v[1:2], v[1:2], v[85:86]
	buffer_load_dword v87, off, s[0:3], 0 offset:976
	buffer_load_dword v88, off, s[0:3], 0 offset:980
	;; [unrolled: 1-line block ×4, first 2 shown]
	v_fma_f64 v[81:82], v[3:4], v[81:82], v[1:2]
	s_waitcnt vmcnt(2)
	v_add_f64 v[1:2], v[87:88], -v[83:84]
	s_waitcnt vmcnt(0)
	v_add_f64 v[3:4], v[85:86], -v[81:82]
	buffer_store_dword v2, off, s[0:3], 0 offset:980
	buffer_store_dword v1, off, s[0:3], 0 offset:976
	;; [unrolled: 1-line block ×4, first 2 shown]
.LBB123_572:
	s_or_b64 exec, exec, s[6:7]
	v_cmp_eq_u32_e32 vcc, 51, v0
	s_waitcnt vmcnt(0) lgkmcnt(0)
	s_barrier
	s_and_saveexec_b64 s[8:9], vcc
	s_cbranch_execz .LBB123_579
; %bb.573:
	v_mov_b32_e32 v4, s22
	buffer_load_dword v1, v4, s[0:3], 0 offen
	buffer_load_dword v2, v4, s[0:3], 0 offen offset:4
	buffer_load_dword v3, v4, s[0:3], 0 offen offset:8
	s_nop 0
	buffer_load_dword v4, v4, s[0:3], 0 offen offset:12
	v_readlane_b32 s6, v126, 19
	s_waitcnt vmcnt(0)
	ds_write2_b64 v125, v[1:2], v[3:4] offset1:1
	v_mov_b32_e32 v4, s6
	buffer_load_dword v1, v4, s[0:3], 0 offen
	buffer_load_dword v2, v4, s[0:3], 0 offen offset:4
	buffer_load_dword v3, v4, s[0:3], 0 offen offset:8
	s_nop 0
	buffer_load_dword v4, v4, s[0:3], 0 offen offset:12
	v_readlane_b32 s6, v126, 20
	s_waitcnt vmcnt(0)
	ds_write2_b64 v121, v[1:2], v[3:4] offset0:104 offset1:105
	v_mov_b32_e32 v4, s20
	buffer_load_dword v1, v4, s[0:3], 0 offen
	buffer_load_dword v2, v4, s[0:3], 0 offen offset:4
	buffer_load_dword v3, v4, s[0:3], 0 offen offset:8
	s_nop 0
	buffer_load_dword v4, v4, s[0:3], 0 offen offset:12
	s_waitcnt vmcnt(0)
	ds_write2_b64 v121, v[1:2], v[3:4] offset0:106 offset1:107
	v_mov_b32_e32 v4, s6
	buffer_load_dword v1, v4, s[0:3], 0 offen
	buffer_load_dword v2, v4, s[0:3], 0 offen offset:4
	buffer_load_dword v3, v4, s[0:3], 0 offen offset:8
	s_nop 0
	buffer_load_dword v4, v4, s[0:3], 0 offen offset:12
	v_readlane_b32 s6, v126, 21
	s_waitcnt vmcnt(0)
	ds_write2_b64 v121, v[1:2], v[3:4] offset0:108 offset1:109
	v_mov_b32_e32 v4, s18
	buffer_load_dword v1, v4, s[0:3], 0 offen
	buffer_load_dword v2, v4, s[0:3], 0 offen offset:4
	buffer_load_dword v3, v4, s[0:3], 0 offen offset:8
	s_nop 0
	buffer_load_dword v4, v4, s[0:3], 0 offen offset:12
	s_waitcnt vmcnt(0)
	ds_write2_b64 v121, v[1:2], v[3:4] offset0:110 offset1:111
	;; [unrolled: 17-line block ×4, first 2 shown]
	v_mov_b32_e32 v4, s42
	buffer_load_dword v1, v4, s[0:3], 0 offen
	buffer_load_dword v2, v4, s[0:3], 0 offen offset:4
	buffer_load_dword v3, v4, s[0:3], 0 offen offset:8
	s_nop 0
	buffer_load_dword v4, v4, s[0:3], 0 offen offset:12
	s_waitcnt vmcnt(0)
	ds_write2_b64 v121, v[1:2], v[3:4] offset0:120 offset1:121
	v_mov_b32_e32 v4, s6
	buffer_load_dword v1, v4, s[0:3], 0 offen
	buffer_load_dword v2, v4, s[0:3], 0 offen offset:4
	buffer_load_dword v3, v4, s[0:3], 0 offen offset:8
	s_nop 0
	buffer_load_dword v4, v4, s[0:3], 0 offen offset:12
	s_waitcnt vmcnt(0)
	ds_write2_b64 v121, v[1:2], v[3:4] offset0:122 offset1:123
	ds_read2_b64 v[81:84], v125 offset1:1
	s_waitcnt lgkmcnt(0)
	v_cmp_neq_f64_e32 vcc, 0, v[81:82]
	v_cmp_neq_f64_e64 s[6:7], 0, v[83:84]
	s_or_b64 s[6:7], vcc, s[6:7]
	s_and_b64 exec, exec, s[6:7]
	s_cbranch_execz .LBB123_579
; %bb.574:
	v_cmp_ngt_f64_e64 s[6:7], |v[81:82]|, |v[83:84]|
                                        ; implicit-def: $vgpr1_vgpr2
	s_and_saveexec_b64 s[10:11], s[6:7]
	s_xor_b64 s[6:7], exec, s[10:11]
                                        ; implicit-def: $vgpr3_vgpr4
	s_cbranch_execz .LBB123_576
; %bb.575:
	v_div_scale_f64 v[1:2], s[10:11], v[83:84], v[83:84], v[81:82]
	v_rcp_f64_e32 v[3:4], v[1:2]
	v_fma_f64 v[85:86], -v[1:2], v[3:4], 1.0
	v_fma_f64 v[3:4], v[3:4], v[85:86], v[3:4]
	v_div_scale_f64 v[85:86], vcc, v[81:82], v[83:84], v[81:82]
	v_fma_f64 v[87:88], -v[1:2], v[3:4], 1.0
	v_fma_f64 v[3:4], v[3:4], v[87:88], v[3:4]
	v_mul_f64 v[87:88], v[85:86], v[3:4]
	v_fma_f64 v[1:2], -v[1:2], v[87:88], v[85:86]
	v_div_fmas_f64 v[1:2], v[1:2], v[3:4], v[87:88]
	v_div_fixup_f64 v[1:2], v[1:2], v[83:84], v[81:82]
	v_fma_f64 v[3:4], v[81:82], v[1:2], v[83:84]
	v_div_scale_f64 v[81:82], s[10:11], v[3:4], v[3:4], 1.0
	v_div_scale_f64 v[87:88], vcc, 1.0, v[3:4], 1.0
	v_rcp_f64_e32 v[83:84], v[81:82]
	v_fma_f64 v[85:86], -v[81:82], v[83:84], 1.0
	v_fma_f64 v[83:84], v[83:84], v[85:86], v[83:84]
	v_fma_f64 v[85:86], -v[81:82], v[83:84], 1.0
	v_fma_f64 v[83:84], v[83:84], v[85:86], v[83:84]
	v_mul_f64 v[85:86], v[87:88], v[83:84]
	v_fma_f64 v[81:82], -v[81:82], v[85:86], v[87:88]
	v_div_fmas_f64 v[81:82], v[81:82], v[83:84], v[85:86]
	v_div_fixup_f64 v[3:4], v[81:82], v[3:4], 1.0
                                        ; implicit-def: $vgpr81_vgpr82
	v_mul_f64 v[1:2], v[1:2], v[3:4]
	v_xor_b32_e32 v4, 0x80000000, v4
.LBB123_576:
	s_andn2_saveexec_b64 s[6:7], s[6:7]
	s_cbranch_execz .LBB123_578
; %bb.577:
	v_div_scale_f64 v[1:2], s[10:11], v[81:82], v[81:82], v[83:84]
	v_rcp_f64_e32 v[3:4], v[1:2]
	v_fma_f64 v[85:86], -v[1:2], v[3:4], 1.0
	v_fma_f64 v[3:4], v[3:4], v[85:86], v[3:4]
	v_div_scale_f64 v[85:86], vcc, v[83:84], v[81:82], v[83:84]
	v_fma_f64 v[87:88], -v[1:2], v[3:4], 1.0
	v_fma_f64 v[3:4], v[3:4], v[87:88], v[3:4]
	v_mul_f64 v[87:88], v[85:86], v[3:4]
	v_fma_f64 v[1:2], -v[1:2], v[87:88], v[85:86]
	v_div_fmas_f64 v[1:2], v[1:2], v[3:4], v[87:88]
	v_div_fixup_f64 v[3:4], v[1:2], v[81:82], v[83:84]
	v_fma_f64 v[1:2], v[83:84], v[3:4], v[81:82]
	v_div_scale_f64 v[81:82], s[10:11], v[1:2], v[1:2], 1.0
	v_div_scale_f64 v[87:88], vcc, 1.0, v[1:2], 1.0
	v_rcp_f64_e32 v[83:84], v[81:82]
	v_fma_f64 v[85:86], -v[81:82], v[83:84], 1.0
	v_fma_f64 v[83:84], v[83:84], v[85:86], v[83:84]
	v_fma_f64 v[85:86], -v[81:82], v[83:84], 1.0
	v_fma_f64 v[83:84], v[83:84], v[85:86], v[83:84]
	v_mul_f64 v[85:86], v[87:88], v[83:84]
	v_fma_f64 v[81:82], -v[81:82], v[85:86], v[87:88]
	v_div_fmas_f64 v[81:82], v[81:82], v[83:84], v[85:86]
	v_div_fixup_f64 v[1:2], v[81:82], v[1:2], 1.0
	v_mul_f64 v[3:4], v[3:4], -v[1:2]
.LBB123_578:
	s_or_b64 exec, exec, s[6:7]
	ds_write2_b64 v125, v[1:2], v[3:4] offset1:1
.LBB123_579:
	s_or_b64 exec, exec, s[8:9]
	s_waitcnt lgkmcnt(0)
	s_barrier
	ds_read2_b64 v[81:84], v125 offset1:1
	v_cmp_lt_u32_e32 vcc, 51, v0
	s_and_saveexec_b64 s[6:7], vcc
	s_cbranch_execz .LBB123_581
; %bb.580:
	buffer_load_dword v1, off, s[0:3], 0 offset:816
	buffer_load_dword v2, off, s[0:3], 0 offset:820
	;; [unrolled: 1-line block ×16, first 2 shown]
	s_waitcnt vmcnt(12) lgkmcnt(0)
	v_mul_f64 v[85:86], v[83:84], v[3:4]
	v_mul_f64 v[3:4], v[81:82], v[3:4]
	v_fma_f64 v[85:86], v[81:82], v[1:2], -v[85:86]
	v_fma_f64 v[87:88], v[83:84], v[1:2], v[3:4]
	buffer_store_dword v85, off, s[0:3], 0 offset:816
	buffer_store_dword v86, off, s[0:3], 0 offset:820
	buffer_store_dword v87, off, s[0:3], 0 offset:824
	buffer_store_dword v88, off, s[0:3], 0 offset:828
	ds_read2_b64 v[1:4], v121 offset0:104 offset1:105
	s_waitcnt lgkmcnt(0)
	v_mul_f64 v[101:102], v[3:4], v[87:88]
	v_fma_f64 v[101:102], v[1:2], v[85:86], -v[101:102]
	v_mul_f64 v[1:2], v[1:2], v[87:88]
	v_fma_f64 v[1:2], v[3:4], v[85:86], v[1:2]
	s_waitcnt vmcnt(14)
	v_add_f64 v[3:4], v[89:90], -v[101:102]
	s_waitcnt vmcnt(12)
	v_add_f64 v[1:2], v[91:92], -v[1:2]
	buffer_store_dword v3, off, s[0:3], 0 offset:832
	buffer_store_dword v4, off, s[0:3], 0 offset:836
	buffer_store_dword v1, off, s[0:3], 0 offset:840
	buffer_store_dword v2, off, s[0:3], 0 offset:844
	ds_read2_b64 v[1:4], v121 offset0:106 offset1:107
	s_waitcnt lgkmcnt(0)
	v_mul_f64 v[89:90], v[3:4], v[87:88]
	v_fma_f64 v[89:90], v[1:2], v[85:86], -v[89:90]
	v_mul_f64 v[1:2], v[1:2], v[87:88]
	v_fma_f64 v[1:2], v[3:4], v[85:86], v[1:2]
	s_waitcnt vmcnt(14)
	v_add_f64 v[3:4], v[93:94], -v[89:90]
	s_waitcnt vmcnt(12)
	v_add_f64 v[1:2], v[95:96], -v[1:2]
	;; [unrolled: 14-line block ×3, first 2 shown]
	buffer_store_dword v4, off, s[0:3], 0 offset:868
	buffer_store_dword v3, off, s[0:3], 0 offset:864
	buffer_store_dword v1, off, s[0:3], 0 offset:872
	buffer_store_dword v2, off, s[0:3], 0 offset:876
	ds_read2_b64 v[1:4], v121 offset0:110 offset1:111
	s_waitcnt lgkmcnt(0)
	v_mul_f64 v[89:90], v[3:4], v[87:88]
	v_fma_f64 v[89:90], v[1:2], v[85:86], -v[89:90]
	v_mul_f64 v[1:2], v[1:2], v[87:88]
	v_fma_f64 v[1:2], v[3:4], v[85:86], v[1:2]
	buffer_load_dword v3, off, s[0:3], 0 offset:880
	buffer_load_dword v4, off, s[0:3], 0 offset:884
	buffer_load_dword v91, off, s[0:3], 0 offset:888
	buffer_load_dword v92, off, s[0:3], 0 offset:892
	s_waitcnt vmcnt(2)
	v_add_f64 v[3:4], v[3:4], -v[89:90]
	s_waitcnt vmcnt(0)
	v_add_f64 v[1:2], v[91:92], -v[1:2]
	buffer_store_dword v4, off, s[0:3], 0 offset:884
	buffer_store_dword v3, off, s[0:3], 0 offset:880
	buffer_store_dword v2, off, s[0:3], 0 offset:892
	buffer_store_dword v1, off, s[0:3], 0 offset:888
	ds_read2_b64 v[1:4], v121 offset0:112 offset1:113
	s_waitcnt lgkmcnt(0)
	v_mul_f64 v[89:90], v[3:4], v[87:88]
	v_fma_f64 v[89:90], v[1:2], v[85:86], -v[89:90]
	v_mul_f64 v[1:2], v[1:2], v[87:88]
	v_fma_f64 v[1:2], v[3:4], v[85:86], v[1:2]
	buffer_load_dword v3, off, s[0:3], 0 offset:896
	buffer_load_dword v4, off, s[0:3], 0 offset:900
	buffer_load_dword v91, off, s[0:3], 0 offset:904
	buffer_load_dword v92, off, s[0:3], 0 offset:908
	s_waitcnt vmcnt(2)
	v_add_f64 v[3:4], v[3:4], -v[89:90]
	s_waitcnt vmcnt(0)
	v_add_f64 v[1:2], v[91:92], -v[1:2]
	;; [unrolled: 18-line block ×3, first 2 shown]
	buffer_store_dword v4, off, s[0:3], 0 offset:916
	buffer_store_dword v3, off, s[0:3], 0 offset:912
	;; [unrolled: 1-line block ×4, first 2 shown]
	ds_read2_b64 v[1:4], v121 offset0:116 offset1:117
	buffer_load_dword v85, off, s[0:3], 0 offset:816
	buffer_load_dword v86, off, s[0:3], 0 offset:820
	;; [unrolled: 1-line block ×4, first 2 shown]
	s_waitcnt vmcnt(0) lgkmcnt(0)
	v_mul_f64 v[87:88], v[3:4], v[89:90]
	v_fma_f64 v[87:88], v[1:2], v[85:86], -v[87:88]
	v_mul_f64 v[1:2], v[1:2], v[89:90]
	v_fma_f64 v[1:2], v[3:4], v[85:86], v[1:2]
	buffer_load_dword v4, off, s[0:3], 0 offset:932
	buffer_load_dword v3, off, s[0:3], 0 offset:928
	s_waitcnt vmcnt(0)
	v_add_f64 v[3:4], v[3:4], -v[87:88]
	buffer_load_dword v88, off, s[0:3], 0 offset:940
	buffer_load_dword v87, off, s[0:3], 0 offset:936
	s_waitcnt vmcnt(0)
	v_add_f64 v[1:2], v[87:88], -v[1:2]
	buffer_store_dword v4, off, s[0:3], 0 offset:932
	buffer_store_dword v3, off, s[0:3], 0 offset:928
	;; [unrolled: 1-line block ×4, first 2 shown]
	ds_read2_b64 v[1:4], v121 offset0:118 offset1:119
	s_waitcnt lgkmcnt(0)
	v_mul_f64 v[87:88], v[3:4], v[89:90]
	v_fma_f64 v[87:88], v[1:2], v[85:86], -v[87:88]
	v_mul_f64 v[1:2], v[1:2], v[89:90]
	v_fma_f64 v[1:2], v[3:4], v[85:86], v[1:2]
	buffer_load_dword v3, off, s[0:3], 0 offset:944
	buffer_load_dword v4, off, s[0:3], 0 offset:948
	;; [unrolled: 1-line block ×4, first 2 shown]
	s_waitcnt vmcnt(2)
	v_add_f64 v[3:4], v[3:4], -v[87:88]
	s_waitcnt vmcnt(0)
	v_add_f64 v[1:2], v[91:92], -v[1:2]
	buffer_store_dword v4, off, s[0:3], 0 offset:948
	buffer_store_dword v3, off, s[0:3], 0 offset:944
	;; [unrolled: 1-line block ×4, first 2 shown]
	ds_read2_b64 v[1:4], v121 offset0:120 offset1:121
	s_waitcnt lgkmcnt(0)
	v_mul_f64 v[87:88], v[3:4], v[89:90]
	v_fma_f64 v[87:88], v[1:2], v[85:86], -v[87:88]
	v_mul_f64 v[1:2], v[1:2], v[89:90]
	v_fma_f64 v[1:2], v[3:4], v[85:86], v[1:2]
	buffer_load_dword v3, off, s[0:3], 0 offset:960
	buffer_load_dword v4, off, s[0:3], 0 offset:964
	;; [unrolled: 1-line block ×4, first 2 shown]
	s_waitcnt vmcnt(2)
	v_add_f64 v[3:4], v[3:4], -v[87:88]
	s_waitcnt vmcnt(0)
	v_add_f64 v[1:2], v[91:92], -v[1:2]
	buffer_store_dword v4, off, s[0:3], 0 offset:964
	buffer_store_dword v3, off, s[0:3], 0 offset:960
	;; [unrolled: 1-line block ×4, first 2 shown]
	ds_read2_b64 v[1:4], v121 offset0:122 offset1:123
	s_waitcnt lgkmcnt(0)
	v_mul_f64 v[87:88], v[3:4], v[89:90]
	v_fma_f64 v[87:88], v[1:2], v[85:86], -v[87:88]
	v_mul_f64 v[1:2], v[1:2], v[89:90]
	buffer_load_dword v91, off, s[0:3], 0 offset:976
	buffer_load_dword v92, off, s[0:3], 0 offset:980
	buffer_load_dword v89, off, s[0:3], 0 offset:984
	buffer_load_dword v90, off, s[0:3], 0 offset:988
	v_fma_f64 v[85:86], v[3:4], v[85:86], v[1:2]
	s_waitcnt vmcnt(2)
	v_add_f64 v[1:2], v[91:92], -v[87:88]
	s_waitcnt vmcnt(0)
	v_add_f64 v[3:4], v[89:90], -v[85:86]
	buffer_store_dword v2, off, s[0:3], 0 offset:980
	buffer_store_dword v1, off, s[0:3], 0 offset:976
	;; [unrolled: 1-line block ×4, first 2 shown]
.LBB123_581:
	s_or_b64 exec, exec, s[6:7]
	v_cmp_eq_u32_e32 vcc, 52, v0
	s_waitcnt vmcnt(0) lgkmcnt(0)
	s_barrier
	s_and_saveexec_b64 s[8:9], vcc
	s_cbranch_execz .LBB123_588
; %bb.582:
	v_readlane_b32 s6, v126, 19
	v_mov_b32_e32 v4, s6
	buffer_load_dword v1, v4, s[0:3], 0 offen
	buffer_load_dword v2, v4, s[0:3], 0 offen offset:4
	buffer_load_dword v3, v4, s[0:3], 0 offen offset:8
	s_nop 0
	buffer_load_dword v4, v4, s[0:3], 0 offen offset:12
	v_readlane_b32 s6, v126, 20
	s_waitcnt vmcnt(0)
	ds_write2_b64 v125, v[1:2], v[3:4] offset1:1
	v_mov_b32_e32 v4, s20
	buffer_load_dword v1, v4, s[0:3], 0 offen
	buffer_load_dword v2, v4, s[0:3], 0 offen offset:4
	buffer_load_dword v3, v4, s[0:3], 0 offen offset:8
	s_nop 0
	buffer_load_dword v4, v4, s[0:3], 0 offen offset:12
	s_waitcnt vmcnt(0)
	ds_write2_b64 v121, v[1:2], v[3:4] offset0:106 offset1:107
	v_mov_b32_e32 v4, s6
	buffer_load_dword v1, v4, s[0:3], 0 offen
	buffer_load_dword v2, v4, s[0:3], 0 offen offset:4
	buffer_load_dword v3, v4, s[0:3], 0 offen offset:8
	s_nop 0
	buffer_load_dword v4, v4, s[0:3], 0 offen offset:12
	v_readlane_b32 s6, v126, 21
	s_waitcnt vmcnt(0)
	ds_write2_b64 v121, v[1:2], v[3:4] offset0:108 offset1:109
	v_mov_b32_e32 v4, s18
	buffer_load_dword v1, v4, s[0:3], 0 offen
	buffer_load_dword v2, v4, s[0:3], 0 offen offset:4
	buffer_load_dword v3, v4, s[0:3], 0 offen offset:8
	s_nop 0
	buffer_load_dword v4, v4, s[0:3], 0 offen offset:12
	s_waitcnt vmcnt(0)
	ds_write2_b64 v121, v[1:2], v[3:4] offset0:110 offset1:111
	v_mov_b32_e32 v4, s6
	buffer_load_dword v1, v4, s[0:3], 0 offen
	buffer_load_dword v2, v4, s[0:3], 0 offen offset:4
	buffer_load_dword v3, v4, s[0:3], 0 offen offset:8
	s_nop 0
	buffer_load_dword v4, v4, s[0:3], 0 offen offset:12
	v_readlane_b32 s6, v126, 22
	s_waitcnt vmcnt(0)
	ds_write2_b64 v121, v[1:2], v[3:4] offset0:112 offset1:113
	;; [unrolled: 17-line block ×3, first 2 shown]
	v_mov_b32_e32 v4, s14
	buffer_load_dword v1, v4, s[0:3], 0 offen
	buffer_load_dword v2, v4, s[0:3], 0 offen offset:4
	buffer_load_dword v3, v4, s[0:3], 0 offen offset:8
	s_nop 0
	buffer_load_dword v4, v4, s[0:3], 0 offen offset:12
	s_waitcnt vmcnt(0)
	ds_write2_b64 v121, v[1:2], v[3:4] offset0:118 offset1:119
	v_mov_b32_e32 v4, s42
	buffer_load_dword v1, v4, s[0:3], 0 offen
	buffer_load_dword v2, v4, s[0:3], 0 offen offset:4
	buffer_load_dword v3, v4, s[0:3], 0 offen offset:8
	s_nop 0
	buffer_load_dword v4, v4, s[0:3], 0 offen offset:12
	s_waitcnt vmcnt(0)
	ds_write2_b64 v121, v[1:2], v[3:4] offset0:120 offset1:121
	;; [unrolled: 8-line block ×3, first 2 shown]
	ds_read2_b64 v[85:88], v125 offset1:1
	s_waitcnt lgkmcnt(0)
	v_cmp_neq_f64_e32 vcc, 0, v[85:86]
	v_cmp_neq_f64_e64 s[6:7], 0, v[87:88]
	s_or_b64 s[6:7], vcc, s[6:7]
	s_and_b64 exec, exec, s[6:7]
	s_cbranch_execz .LBB123_588
; %bb.583:
	v_cmp_ngt_f64_e64 s[6:7], |v[85:86]|, |v[87:88]|
                                        ; implicit-def: $vgpr1_vgpr2
	s_and_saveexec_b64 s[10:11], s[6:7]
	s_xor_b64 s[6:7], exec, s[10:11]
                                        ; implicit-def: $vgpr3_vgpr4
	s_cbranch_execz .LBB123_585
; %bb.584:
	v_div_scale_f64 v[1:2], s[10:11], v[87:88], v[87:88], v[85:86]
	v_rcp_f64_e32 v[3:4], v[1:2]
	v_fma_f64 v[89:90], -v[1:2], v[3:4], 1.0
	v_fma_f64 v[3:4], v[3:4], v[89:90], v[3:4]
	v_div_scale_f64 v[89:90], vcc, v[85:86], v[87:88], v[85:86]
	v_fma_f64 v[91:92], -v[1:2], v[3:4], 1.0
	v_fma_f64 v[3:4], v[3:4], v[91:92], v[3:4]
	v_mul_f64 v[91:92], v[89:90], v[3:4]
	v_fma_f64 v[1:2], -v[1:2], v[91:92], v[89:90]
	v_div_fmas_f64 v[1:2], v[1:2], v[3:4], v[91:92]
	v_div_fixup_f64 v[1:2], v[1:2], v[87:88], v[85:86]
	v_fma_f64 v[3:4], v[85:86], v[1:2], v[87:88]
	v_div_scale_f64 v[85:86], s[10:11], v[3:4], v[3:4], 1.0
	v_div_scale_f64 v[91:92], vcc, 1.0, v[3:4], 1.0
	v_rcp_f64_e32 v[87:88], v[85:86]
	v_fma_f64 v[89:90], -v[85:86], v[87:88], 1.0
	v_fma_f64 v[87:88], v[87:88], v[89:90], v[87:88]
	v_fma_f64 v[89:90], -v[85:86], v[87:88], 1.0
	v_fma_f64 v[87:88], v[87:88], v[89:90], v[87:88]
	v_mul_f64 v[89:90], v[91:92], v[87:88]
	v_fma_f64 v[85:86], -v[85:86], v[89:90], v[91:92]
	v_div_fmas_f64 v[85:86], v[85:86], v[87:88], v[89:90]
	v_div_fixup_f64 v[3:4], v[85:86], v[3:4], 1.0
                                        ; implicit-def: $vgpr85_vgpr86
	v_mul_f64 v[1:2], v[1:2], v[3:4]
	v_xor_b32_e32 v4, 0x80000000, v4
.LBB123_585:
	s_andn2_saveexec_b64 s[6:7], s[6:7]
	s_cbranch_execz .LBB123_587
; %bb.586:
	v_div_scale_f64 v[1:2], s[10:11], v[85:86], v[85:86], v[87:88]
	v_rcp_f64_e32 v[3:4], v[1:2]
	v_fma_f64 v[89:90], -v[1:2], v[3:4], 1.0
	v_fma_f64 v[3:4], v[3:4], v[89:90], v[3:4]
	v_div_scale_f64 v[89:90], vcc, v[87:88], v[85:86], v[87:88]
	v_fma_f64 v[91:92], -v[1:2], v[3:4], 1.0
	v_fma_f64 v[3:4], v[3:4], v[91:92], v[3:4]
	v_mul_f64 v[91:92], v[89:90], v[3:4]
	v_fma_f64 v[1:2], -v[1:2], v[91:92], v[89:90]
	v_div_fmas_f64 v[1:2], v[1:2], v[3:4], v[91:92]
	v_div_fixup_f64 v[3:4], v[1:2], v[85:86], v[87:88]
	v_fma_f64 v[1:2], v[87:88], v[3:4], v[85:86]
	v_div_scale_f64 v[85:86], s[10:11], v[1:2], v[1:2], 1.0
	v_div_scale_f64 v[91:92], vcc, 1.0, v[1:2], 1.0
	v_rcp_f64_e32 v[87:88], v[85:86]
	v_fma_f64 v[89:90], -v[85:86], v[87:88], 1.0
	v_fma_f64 v[87:88], v[87:88], v[89:90], v[87:88]
	v_fma_f64 v[89:90], -v[85:86], v[87:88], 1.0
	v_fma_f64 v[87:88], v[87:88], v[89:90], v[87:88]
	v_mul_f64 v[89:90], v[91:92], v[87:88]
	v_fma_f64 v[85:86], -v[85:86], v[89:90], v[91:92]
	v_div_fmas_f64 v[85:86], v[85:86], v[87:88], v[89:90]
	v_div_fixup_f64 v[1:2], v[85:86], v[1:2], 1.0
	v_mul_f64 v[3:4], v[3:4], -v[1:2]
.LBB123_587:
	s_or_b64 exec, exec, s[6:7]
	ds_write2_b64 v125, v[1:2], v[3:4] offset1:1
.LBB123_588:
	s_or_b64 exec, exec, s[8:9]
	s_waitcnt lgkmcnt(0)
	s_barrier
	ds_read2_b64 v[85:88], v125 offset1:1
	v_cmp_lt_u32_e32 vcc, 52, v0
	s_and_saveexec_b64 s[6:7], vcc
	s_cbranch_execz .LBB123_590
; %bb.589:
	buffer_load_dword v1, off, s[0:3], 0 offset:832
	buffer_load_dword v2, off, s[0:3], 0 offset:836
	;; [unrolled: 1-line block ×16, first 2 shown]
	s_waitcnt vmcnt(12) lgkmcnt(0)
	v_mul_f64 v[89:90], v[87:88], v[3:4]
	v_mul_f64 v[3:4], v[85:86], v[3:4]
	v_fma_f64 v[89:90], v[85:86], v[1:2], -v[89:90]
	v_fma_f64 v[91:92], v[87:88], v[1:2], v[3:4]
	buffer_store_dword v89, off, s[0:3], 0 offset:832
	buffer_store_dword v90, off, s[0:3], 0 offset:836
	buffer_store_dword v91, off, s[0:3], 0 offset:840
	buffer_store_dword v92, off, s[0:3], 0 offset:844
	ds_read2_b64 v[1:4], v121 offset0:106 offset1:107
	s_waitcnt lgkmcnt(0)
	v_mul_f64 v[105:106], v[3:4], v[91:92]
	v_fma_f64 v[105:106], v[1:2], v[89:90], -v[105:106]
	v_mul_f64 v[1:2], v[1:2], v[91:92]
	v_fma_f64 v[1:2], v[3:4], v[89:90], v[1:2]
	s_waitcnt vmcnt(14)
	v_add_f64 v[3:4], v[93:94], -v[105:106]
	s_waitcnt vmcnt(12)
	v_add_f64 v[1:2], v[95:96], -v[1:2]
	buffer_store_dword v3, off, s[0:3], 0 offset:848
	buffer_store_dword v4, off, s[0:3], 0 offset:852
	buffer_store_dword v1, off, s[0:3], 0 offset:856
	buffer_store_dword v2, off, s[0:3], 0 offset:860
	ds_read2_b64 v[1:4], v121 offset0:108 offset1:109
	s_waitcnt lgkmcnt(0)
	v_mul_f64 v[93:94], v[3:4], v[91:92]
	v_fma_f64 v[93:94], v[1:2], v[89:90], -v[93:94]
	v_mul_f64 v[1:2], v[1:2], v[91:92]
	v_fma_f64 v[1:2], v[3:4], v[89:90], v[1:2]
	s_waitcnt vmcnt(14)
	v_add_f64 v[3:4], v[97:98], -v[93:94]
	s_waitcnt vmcnt(12)
	v_add_f64 v[1:2], v[99:100], -v[1:2]
	;; [unrolled: 14-line block ×3, first 2 shown]
	buffer_store_dword v4, off, s[0:3], 0 offset:884
	buffer_store_dword v3, off, s[0:3], 0 offset:880
	buffer_store_dword v1, off, s[0:3], 0 offset:888
	buffer_store_dword v2, off, s[0:3], 0 offset:892
	ds_read2_b64 v[1:4], v121 offset0:112 offset1:113
	s_waitcnt lgkmcnt(0)
	v_mul_f64 v[93:94], v[3:4], v[91:92]
	v_fma_f64 v[93:94], v[1:2], v[89:90], -v[93:94]
	v_mul_f64 v[1:2], v[1:2], v[91:92]
	v_fma_f64 v[1:2], v[3:4], v[89:90], v[1:2]
	buffer_load_dword v3, off, s[0:3], 0 offset:896
	buffer_load_dword v4, off, s[0:3], 0 offset:900
	buffer_load_dword v95, off, s[0:3], 0 offset:904
	buffer_load_dword v96, off, s[0:3], 0 offset:908
	s_waitcnt vmcnt(2)
	v_add_f64 v[3:4], v[3:4], -v[93:94]
	s_waitcnt vmcnt(0)
	v_add_f64 v[1:2], v[95:96], -v[1:2]
	buffer_store_dword v4, off, s[0:3], 0 offset:900
	buffer_store_dword v3, off, s[0:3], 0 offset:896
	buffer_store_dword v2, off, s[0:3], 0 offset:908
	buffer_store_dword v1, off, s[0:3], 0 offset:904
	ds_read2_b64 v[1:4], v121 offset0:114 offset1:115
	s_waitcnt lgkmcnt(0)
	v_mul_f64 v[93:94], v[3:4], v[91:92]
	v_fma_f64 v[93:94], v[1:2], v[89:90], -v[93:94]
	v_mul_f64 v[1:2], v[1:2], v[91:92]
	v_fma_f64 v[1:2], v[3:4], v[89:90], v[1:2]
	buffer_load_dword v3, off, s[0:3], 0 offset:912
	buffer_load_dword v4, off, s[0:3], 0 offset:916
	buffer_load_dword v95, off, s[0:3], 0 offset:920
	buffer_load_dword v96, off, s[0:3], 0 offset:924
	s_waitcnt vmcnt(2)
	v_add_f64 v[3:4], v[3:4], -v[93:94]
	s_waitcnt vmcnt(0)
	v_add_f64 v[1:2], v[95:96], -v[1:2]
	;; [unrolled: 18-line block ×3, first 2 shown]
	buffer_store_dword v4, off, s[0:3], 0 offset:932
	buffer_store_dword v3, off, s[0:3], 0 offset:928
	buffer_store_dword v2, off, s[0:3], 0 offset:940
	buffer_store_dword v1, off, s[0:3], 0 offset:936
	ds_read2_b64 v[1:4], v121 offset0:118 offset1:119
	buffer_load_dword v89, off, s[0:3], 0 offset:832
	buffer_load_dword v90, off, s[0:3], 0 offset:836
	;; [unrolled: 1-line block ×4, first 2 shown]
	s_waitcnt vmcnt(0) lgkmcnt(0)
	v_mul_f64 v[91:92], v[3:4], v[93:94]
	v_fma_f64 v[91:92], v[1:2], v[89:90], -v[91:92]
	v_mul_f64 v[1:2], v[1:2], v[93:94]
	v_fma_f64 v[1:2], v[3:4], v[89:90], v[1:2]
	buffer_load_dword v4, off, s[0:3], 0 offset:948
	buffer_load_dword v3, off, s[0:3], 0 offset:944
	s_waitcnt vmcnt(0)
	v_add_f64 v[3:4], v[3:4], -v[91:92]
	buffer_load_dword v92, off, s[0:3], 0 offset:956
	buffer_load_dword v91, off, s[0:3], 0 offset:952
	s_waitcnt vmcnt(0)
	v_add_f64 v[1:2], v[91:92], -v[1:2]
	buffer_store_dword v4, off, s[0:3], 0 offset:948
	buffer_store_dword v3, off, s[0:3], 0 offset:944
	buffer_store_dword v2, off, s[0:3], 0 offset:956
	buffer_store_dword v1, off, s[0:3], 0 offset:952
	ds_read2_b64 v[1:4], v121 offset0:120 offset1:121
	s_waitcnt lgkmcnt(0)
	v_mul_f64 v[91:92], v[3:4], v[93:94]
	v_fma_f64 v[91:92], v[1:2], v[89:90], -v[91:92]
	v_mul_f64 v[1:2], v[1:2], v[93:94]
	v_fma_f64 v[1:2], v[3:4], v[89:90], v[1:2]
	buffer_load_dword v3, off, s[0:3], 0 offset:960
	buffer_load_dword v4, off, s[0:3], 0 offset:964
	;; [unrolled: 1-line block ×4, first 2 shown]
	s_waitcnt vmcnt(2)
	v_add_f64 v[3:4], v[3:4], -v[91:92]
	s_waitcnt vmcnt(0)
	v_add_f64 v[1:2], v[95:96], -v[1:2]
	buffer_store_dword v4, off, s[0:3], 0 offset:964
	buffer_store_dword v3, off, s[0:3], 0 offset:960
	;; [unrolled: 1-line block ×4, first 2 shown]
	ds_read2_b64 v[1:4], v121 offset0:122 offset1:123
	s_waitcnt lgkmcnt(0)
	v_mul_f64 v[91:92], v[3:4], v[93:94]
	v_fma_f64 v[91:92], v[1:2], v[89:90], -v[91:92]
	v_mul_f64 v[1:2], v[1:2], v[93:94]
	v_fma_f64 v[89:90], v[3:4], v[89:90], v[1:2]
	buffer_load_dword v1, off, s[0:3], 0 offset:976
	buffer_load_dword v2, off, s[0:3], 0 offset:980
	;; [unrolled: 1-line block ×4, first 2 shown]
	s_waitcnt vmcnt(2)
	v_add_f64 v[1:2], v[1:2], -v[91:92]
	s_waitcnt vmcnt(0)
	v_add_f64 v[3:4], v[3:4], -v[89:90]
	buffer_store_dword v2, off, s[0:3], 0 offset:980
	buffer_store_dword v1, off, s[0:3], 0 offset:976
	;; [unrolled: 1-line block ×4, first 2 shown]
.LBB123_590:
	s_or_b64 exec, exec, s[6:7]
	v_cmp_eq_u32_e32 vcc, 53, v0
	s_waitcnt vmcnt(0) lgkmcnt(0)
	s_barrier
	s_and_saveexec_b64 s[8:9], vcc
	s_cbranch_execz .LBB123_597
; %bb.591:
	v_mov_b32_e32 v4, s20
	buffer_load_dword v1, v4, s[0:3], 0 offen
	buffer_load_dword v2, v4, s[0:3], 0 offen offset:4
	buffer_load_dword v3, v4, s[0:3], 0 offen offset:8
	s_nop 0
	buffer_load_dword v4, v4, s[0:3], 0 offen offset:12
	v_readlane_b32 s6, v126, 20
	s_waitcnt vmcnt(0)
	ds_write2_b64 v125, v[1:2], v[3:4] offset1:1
	v_mov_b32_e32 v4, s6
	buffer_load_dword v1, v4, s[0:3], 0 offen
	buffer_load_dword v2, v4, s[0:3], 0 offen offset:4
	buffer_load_dword v3, v4, s[0:3], 0 offen offset:8
	s_nop 0
	buffer_load_dword v4, v4, s[0:3], 0 offen offset:12
	v_readlane_b32 s6, v126, 21
	s_waitcnt vmcnt(0)
	ds_write2_b64 v121, v[1:2], v[3:4] offset0:108 offset1:109
	v_mov_b32_e32 v4, s18
	buffer_load_dword v1, v4, s[0:3], 0 offen
	buffer_load_dword v2, v4, s[0:3], 0 offen offset:4
	buffer_load_dword v3, v4, s[0:3], 0 offen offset:8
	s_nop 0
	buffer_load_dword v4, v4, s[0:3], 0 offen offset:12
	s_waitcnt vmcnt(0)
	ds_write2_b64 v121, v[1:2], v[3:4] offset0:110 offset1:111
	v_mov_b32_e32 v4, s6
	buffer_load_dword v1, v4, s[0:3], 0 offen
	buffer_load_dword v2, v4, s[0:3], 0 offen offset:4
	buffer_load_dword v3, v4, s[0:3], 0 offen offset:8
	s_nop 0
	buffer_load_dword v4, v4, s[0:3], 0 offen offset:12
	v_readlane_b32 s6, v126, 22
	s_waitcnt vmcnt(0)
	ds_write2_b64 v121, v[1:2], v[3:4] offset0:112 offset1:113
	v_mov_b32_e32 v4, s16
	buffer_load_dword v1, v4, s[0:3], 0 offen
	buffer_load_dword v2, v4, s[0:3], 0 offen offset:4
	buffer_load_dword v3, v4, s[0:3], 0 offen offset:8
	s_nop 0
	buffer_load_dword v4, v4, s[0:3], 0 offen offset:12
	s_waitcnt vmcnt(0)
	ds_write2_b64 v121, v[1:2], v[3:4] offset0:114 offset1:115
	;; [unrolled: 17-line block ×3, first 2 shown]
	v_mov_b32_e32 v4, s42
	buffer_load_dword v1, v4, s[0:3], 0 offen
	buffer_load_dword v2, v4, s[0:3], 0 offen offset:4
	buffer_load_dword v3, v4, s[0:3], 0 offen offset:8
	s_nop 0
	buffer_load_dword v4, v4, s[0:3], 0 offen offset:12
	s_waitcnt vmcnt(0)
	ds_write2_b64 v121, v[1:2], v[3:4] offset0:120 offset1:121
	v_mov_b32_e32 v4, s6
	buffer_load_dword v1, v4, s[0:3], 0 offen
	buffer_load_dword v2, v4, s[0:3], 0 offen offset:4
	buffer_load_dword v3, v4, s[0:3], 0 offen offset:8
	s_nop 0
	buffer_load_dword v4, v4, s[0:3], 0 offen offset:12
	s_waitcnt vmcnt(0)
	ds_write2_b64 v121, v[1:2], v[3:4] offset0:122 offset1:123
	ds_read2_b64 v[89:92], v125 offset1:1
	s_waitcnt lgkmcnt(0)
	v_cmp_neq_f64_e32 vcc, 0, v[89:90]
	v_cmp_neq_f64_e64 s[6:7], 0, v[91:92]
	s_or_b64 s[6:7], vcc, s[6:7]
	s_and_b64 exec, exec, s[6:7]
	s_cbranch_execz .LBB123_597
; %bb.592:
	v_cmp_ngt_f64_e64 s[6:7], |v[89:90]|, |v[91:92]|
                                        ; implicit-def: $vgpr1_vgpr2
	s_and_saveexec_b64 s[10:11], s[6:7]
	s_xor_b64 s[6:7], exec, s[10:11]
                                        ; implicit-def: $vgpr3_vgpr4
	s_cbranch_execz .LBB123_594
; %bb.593:
	v_div_scale_f64 v[1:2], s[10:11], v[91:92], v[91:92], v[89:90]
	v_rcp_f64_e32 v[3:4], v[1:2]
	v_fma_f64 v[93:94], -v[1:2], v[3:4], 1.0
	v_fma_f64 v[3:4], v[3:4], v[93:94], v[3:4]
	v_div_scale_f64 v[93:94], vcc, v[89:90], v[91:92], v[89:90]
	v_fma_f64 v[95:96], -v[1:2], v[3:4], 1.0
	v_fma_f64 v[3:4], v[3:4], v[95:96], v[3:4]
	v_mul_f64 v[95:96], v[93:94], v[3:4]
	v_fma_f64 v[1:2], -v[1:2], v[95:96], v[93:94]
	v_div_fmas_f64 v[1:2], v[1:2], v[3:4], v[95:96]
	v_div_fixup_f64 v[1:2], v[1:2], v[91:92], v[89:90]
	v_fma_f64 v[3:4], v[89:90], v[1:2], v[91:92]
	v_div_scale_f64 v[89:90], s[10:11], v[3:4], v[3:4], 1.0
	v_div_scale_f64 v[95:96], vcc, 1.0, v[3:4], 1.0
	v_rcp_f64_e32 v[91:92], v[89:90]
	v_fma_f64 v[93:94], -v[89:90], v[91:92], 1.0
	v_fma_f64 v[91:92], v[91:92], v[93:94], v[91:92]
	v_fma_f64 v[93:94], -v[89:90], v[91:92], 1.0
	v_fma_f64 v[91:92], v[91:92], v[93:94], v[91:92]
	v_mul_f64 v[93:94], v[95:96], v[91:92]
	v_fma_f64 v[89:90], -v[89:90], v[93:94], v[95:96]
	v_div_fmas_f64 v[89:90], v[89:90], v[91:92], v[93:94]
	v_div_fixup_f64 v[3:4], v[89:90], v[3:4], 1.0
                                        ; implicit-def: $vgpr89_vgpr90
	v_mul_f64 v[1:2], v[1:2], v[3:4]
	v_xor_b32_e32 v4, 0x80000000, v4
.LBB123_594:
	s_andn2_saveexec_b64 s[6:7], s[6:7]
	s_cbranch_execz .LBB123_596
; %bb.595:
	v_div_scale_f64 v[1:2], s[10:11], v[89:90], v[89:90], v[91:92]
	v_rcp_f64_e32 v[3:4], v[1:2]
	v_fma_f64 v[93:94], -v[1:2], v[3:4], 1.0
	v_fma_f64 v[3:4], v[3:4], v[93:94], v[3:4]
	v_div_scale_f64 v[93:94], vcc, v[91:92], v[89:90], v[91:92]
	v_fma_f64 v[95:96], -v[1:2], v[3:4], 1.0
	v_fma_f64 v[3:4], v[3:4], v[95:96], v[3:4]
	v_mul_f64 v[95:96], v[93:94], v[3:4]
	v_fma_f64 v[1:2], -v[1:2], v[95:96], v[93:94]
	v_div_fmas_f64 v[1:2], v[1:2], v[3:4], v[95:96]
	v_div_fixup_f64 v[3:4], v[1:2], v[89:90], v[91:92]
	v_fma_f64 v[1:2], v[91:92], v[3:4], v[89:90]
	v_div_scale_f64 v[89:90], s[10:11], v[1:2], v[1:2], 1.0
	v_div_scale_f64 v[95:96], vcc, 1.0, v[1:2], 1.0
	v_rcp_f64_e32 v[91:92], v[89:90]
	v_fma_f64 v[93:94], -v[89:90], v[91:92], 1.0
	v_fma_f64 v[91:92], v[91:92], v[93:94], v[91:92]
	v_fma_f64 v[93:94], -v[89:90], v[91:92], 1.0
	v_fma_f64 v[91:92], v[91:92], v[93:94], v[91:92]
	v_mul_f64 v[93:94], v[95:96], v[91:92]
	v_fma_f64 v[89:90], -v[89:90], v[93:94], v[95:96]
	v_div_fmas_f64 v[89:90], v[89:90], v[91:92], v[93:94]
	v_div_fixup_f64 v[1:2], v[89:90], v[1:2], 1.0
	v_mul_f64 v[3:4], v[3:4], -v[1:2]
.LBB123_596:
	s_or_b64 exec, exec, s[6:7]
	ds_write2_b64 v125, v[1:2], v[3:4] offset1:1
.LBB123_597:
	s_or_b64 exec, exec, s[8:9]
	s_waitcnt lgkmcnt(0)
	s_barrier
	ds_read2_b64 v[89:92], v125 offset1:1
	v_cmp_lt_u32_e32 vcc, 53, v0
	s_and_saveexec_b64 s[6:7], vcc
	s_cbranch_execz .LBB123_599
; %bb.598:
	buffer_load_dword v1, off, s[0:3], 0 offset:848
	buffer_load_dword v2, off, s[0:3], 0 offset:852
	;; [unrolled: 1-line block ×16, first 2 shown]
	s_waitcnt vmcnt(12) lgkmcnt(0)
	v_mul_f64 v[93:94], v[91:92], v[3:4]
	v_mul_f64 v[3:4], v[89:90], v[3:4]
	v_fma_f64 v[93:94], v[89:90], v[1:2], -v[93:94]
	v_fma_f64 v[95:96], v[91:92], v[1:2], v[3:4]
	buffer_store_dword v93, off, s[0:3], 0 offset:848
	buffer_store_dword v94, off, s[0:3], 0 offset:852
	buffer_store_dword v95, off, s[0:3], 0 offset:856
	buffer_store_dword v96, off, s[0:3], 0 offset:860
	ds_read2_b64 v[1:4], v121 offset0:108 offset1:109
	s_waitcnt lgkmcnt(0)
	v_mul_f64 v[109:110], v[3:4], v[95:96]
	v_fma_f64 v[109:110], v[1:2], v[93:94], -v[109:110]
	v_mul_f64 v[1:2], v[1:2], v[95:96]
	v_fma_f64 v[1:2], v[3:4], v[93:94], v[1:2]
	s_waitcnt vmcnt(14)
	v_add_f64 v[3:4], v[97:98], -v[109:110]
	s_waitcnt vmcnt(12)
	v_add_f64 v[1:2], v[99:100], -v[1:2]
	buffer_store_dword v3, off, s[0:3], 0 offset:864
	buffer_store_dword v4, off, s[0:3], 0 offset:868
	buffer_store_dword v1, off, s[0:3], 0 offset:872
	buffer_store_dword v2, off, s[0:3], 0 offset:876
	ds_read2_b64 v[1:4], v121 offset0:110 offset1:111
	s_waitcnt lgkmcnt(0)
	v_mul_f64 v[97:98], v[3:4], v[95:96]
	v_fma_f64 v[97:98], v[1:2], v[93:94], -v[97:98]
	v_mul_f64 v[1:2], v[1:2], v[95:96]
	v_fma_f64 v[1:2], v[3:4], v[93:94], v[1:2]
	s_waitcnt vmcnt(14)
	v_add_f64 v[3:4], v[101:102], -v[97:98]
	s_waitcnt vmcnt(12)
	v_add_f64 v[1:2], v[103:104], -v[1:2]
	;; [unrolled: 14-line block ×3, first 2 shown]
	buffer_store_dword v4, off, s[0:3], 0 offset:900
	buffer_store_dword v3, off, s[0:3], 0 offset:896
	buffer_store_dword v1, off, s[0:3], 0 offset:904
	buffer_store_dword v2, off, s[0:3], 0 offset:908
	ds_read2_b64 v[1:4], v121 offset0:114 offset1:115
	s_waitcnt lgkmcnt(0)
	v_mul_f64 v[97:98], v[3:4], v[95:96]
	v_fma_f64 v[97:98], v[1:2], v[93:94], -v[97:98]
	v_mul_f64 v[1:2], v[1:2], v[95:96]
	v_fma_f64 v[1:2], v[3:4], v[93:94], v[1:2]
	buffer_load_dword v3, off, s[0:3], 0 offset:912
	buffer_load_dword v4, off, s[0:3], 0 offset:916
	buffer_load_dword v99, off, s[0:3], 0 offset:920
	buffer_load_dword v100, off, s[0:3], 0 offset:924
	s_waitcnt vmcnt(2)
	v_add_f64 v[3:4], v[3:4], -v[97:98]
	s_waitcnt vmcnt(0)
	v_add_f64 v[1:2], v[99:100], -v[1:2]
	buffer_store_dword v4, off, s[0:3], 0 offset:916
	buffer_store_dword v3, off, s[0:3], 0 offset:912
	buffer_store_dword v2, off, s[0:3], 0 offset:924
	buffer_store_dword v1, off, s[0:3], 0 offset:920
	ds_read2_b64 v[1:4], v121 offset0:116 offset1:117
	s_waitcnt lgkmcnt(0)
	v_mul_f64 v[97:98], v[3:4], v[95:96]
	v_fma_f64 v[97:98], v[1:2], v[93:94], -v[97:98]
	v_mul_f64 v[1:2], v[1:2], v[95:96]
	v_fma_f64 v[1:2], v[3:4], v[93:94], v[1:2]
	buffer_load_dword v3, off, s[0:3], 0 offset:928
	buffer_load_dword v4, off, s[0:3], 0 offset:932
	buffer_load_dword v99, off, s[0:3], 0 offset:936
	buffer_load_dword v100, off, s[0:3], 0 offset:940
	s_waitcnt vmcnt(2)
	v_add_f64 v[3:4], v[3:4], -v[97:98]
	s_waitcnt vmcnt(0)
	v_add_f64 v[1:2], v[99:100], -v[1:2]
	;; [unrolled: 18-line block ×3, first 2 shown]
	buffer_store_dword v4, off, s[0:3], 0 offset:948
	buffer_store_dword v3, off, s[0:3], 0 offset:944
	;; [unrolled: 1-line block ×4, first 2 shown]
	ds_read2_b64 v[1:4], v121 offset0:120 offset1:121
	buffer_load_dword v93, off, s[0:3], 0 offset:848
	buffer_load_dword v94, off, s[0:3], 0 offset:852
	;; [unrolled: 1-line block ×4, first 2 shown]
	s_waitcnt vmcnt(0) lgkmcnt(0)
	v_mul_f64 v[95:96], v[3:4], v[97:98]
	v_fma_f64 v[95:96], v[1:2], v[93:94], -v[95:96]
	v_mul_f64 v[1:2], v[1:2], v[97:98]
	v_fma_f64 v[1:2], v[3:4], v[93:94], v[1:2]
	buffer_load_dword v4, off, s[0:3], 0 offset:964
	buffer_load_dword v3, off, s[0:3], 0 offset:960
	s_waitcnt vmcnt(0)
	v_add_f64 v[3:4], v[3:4], -v[95:96]
	buffer_load_dword v96, off, s[0:3], 0 offset:972
	buffer_load_dword v95, off, s[0:3], 0 offset:968
	s_waitcnt vmcnt(0)
	v_add_f64 v[1:2], v[95:96], -v[1:2]
	buffer_store_dword v4, off, s[0:3], 0 offset:964
	buffer_store_dword v3, off, s[0:3], 0 offset:960
	;; [unrolled: 1-line block ×4, first 2 shown]
	ds_read2_b64 v[1:4], v121 offset0:122 offset1:123
	s_waitcnt lgkmcnt(0)
	v_mul_f64 v[95:96], v[3:4], v[97:98]
	v_fma_f64 v[95:96], v[1:2], v[93:94], -v[95:96]
	v_mul_f64 v[1:2], v[1:2], v[97:98]
	v_fma_f64 v[93:94], v[3:4], v[93:94], v[1:2]
	buffer_load_dword v1, off, s[0:3], 0 offset:976
	buffer_load_dword v2, off, s[0:3], 0 offset:980
	;; [unrolled: 1-line block ×4, first 2 shown]
	s_waitcnt vmcnt(2)
	v_add_f64 v[1:2], v[1:2], -v[95:96]
	s_waitcnt vmcnt(0)
	v_add_f64 v[3:4], v[3:4], -v[93:94]
	buffer_store_dword v2, off, s[0:3], 0 offset:980
	buffer_store_dword v1, off, s[0:3], 0 offset:976
	;; [unrolled: 1-line block ×4, first 2 shown]
.LBB123_599:
	s_or_b64 exec, exec, s[6:7]
	v_cmp_eq_u32_e32 vcc, 54, v0
	s_waitcnt vmcnt(0) lgkmcnt(0)
	s_barrier
	s_and_saveexec_b64 s[8:9], vcc
	s_cbranch_execz .LBB123_606
; %bb.600:
	v_readlane_b32 s6, v126, 20
	v_mov_b32_e32 v4, s6
	buffer_load_dword v1, v4, s[0:3], 0 offen
	buffer_load_dword v2, v4, s[0:3], 0 offen offset:4
	buffer_load_dword v3, v4, s[0:3], 0 offen offset:8
	s_nop 0
	buffer_load_dword v4, v4, s[0:3], 0 offen offset:12
	v_readlane_b32 s6, v126, 21
	s_waitcnt vmcnt(0)
	ds_write2_b64 v125, v[1:2], v[3:4] offset1:1
	v_mov_b32_e32 v4, s18
	buffer_load_dword v1, v4, s[0:3], 0 offen
	buffer_load_dword v2, v4, s[0:3], 0 offen offset:4
	buffer_load_dword v3, v4, s[0:3], 0 offen offset:8
	s_nop 0
	buffer_load_dword v4, v4, s[0:3], 0 offen offset:12
	s_waitcnt vmcnt(0)
	ds_write2_b64 v121, v[1:2], v[3:4] offset0:110 offset1:111
	v_mov_b32_e32 v4, s6
	buffer_load_dword v1, v4, s[0:3], 0 offen
	buffer_load_dword v2, v4, s[0:3], 0 offen offset:4
	buffer_load_dword v3, v4, s[0:3], 0 offen offset:8
	s_nop 0
	buffer_load_dword v4, v4, s[0:3], 0 offen offset:12
	v_readlane_b32 s6, v126, 22
	s_waitcnt vmcnt(0)
	ds_write2_b64 v121, v[1:2], v[3:4] offset0:112 offset1:113
	v_mov_b32_e32 v4, s16
	buffer_load_dword v1, v4, s[0:3], 0 offen
	buffer_load_dword v2, v4, s[0:3], 0 offen offset:4
	buffer_load_dword v3, v4, s[0:3], 0 offen offset:8
	s_nop 0
	buffer_load_dword v4, v4, s[0:3], 0 offen offset:12
	s_waitcnt vmcnt(0)
	ds_write2_b64 v121, v[1:2], v[3:4] offset0:114 offset1:115
	v_mov_b32_e32 v4, s6
	buffer_load_dword v1, v4, s[0:3], 0 offen
	buffer_load_dword v2, v4, s[0:3], 0 offen offset:4
	buffer_load_dword v3, v4, s[0:3], 0 offen offset:8
	s_nop 0
	buffer_load_dword v4, v4, s[0:3], 0 offen offset:12
	v_readlane_b32 s6, v126, 23
	s_waitcnt vmcnt(0)
	ds_write2_b64 v121, v[1:2], v[3:4] offset0:116 offset1:117
	v_mov_b32_e32 v4, s14
	buffer_load_dword v1, v4, s[0:3], 0 offen
	buffer_load_dword v2, v4, s[0:3], 0 offen offset:4
	buffer_load_dword v3, v4, s[0:3], 0 offen offset:8
	s_nop 0
	buffer_load_dword v4, v4, s[0:3], 0 offen offset:12
	s_waitcnt vmcnt(0)
	ds_write2_b64 v121, v[1:2], v[3:4] offset0:118 offset1:119
	v_mov_b32_e32 v4, s42
	buffer_load_dword v1, v4, s[0:3], 0 offen
	buffer_load_dword v2, v4, s[0:3], 0 offen offset:4
	buffer_load_dword v3, v4, s[0:3], 0 offen offset:8
	s_nop 0
	buffer_load_dword v4, v4, s[0:3], 0 offen offset:12
	;; [unrolled: 8-line block ×3, first 2 shown]
	s_waitcnt vmcnt(0)
	ds_write2_b64 v121, v[1:2], v[3:4] offset0:122 offset1:123
	ds_read2_b64 v[93:96], v125 offset1:1
	s_waitcnt lgkmcnt(0)
	v_cmp_neq_f64_e32 vcc, 0, v[93:94]
	v_cmp_neq_f64_e64 s[6:7], 0, v[95:96]
	s_or_b64 s[6:7], vcc, s[6:7]
	s_and_b64 exec, exec, s[6:7]
	s_cbranch_execz .LBB123_606
; %bb.601:
	v_cmp_ngt_f64_e64 s[6:7], |v[93:94]|, |v[95:96]|
                                        ; implicit-def: $vgpr1_vgpr2
	s_and_saveexec_b64 s[10:11], s[6:7]
	s_xor_b64 s[6:7], exec, s[10:11]
                                        ; implicit-def: $vgpr3_vgpr4
	s_cbranch_execz .LBB123_603
; %bb.602:
	v_div_scale_f64 v[1:2], s[10:11], v[95:96], v[95:96], v[93:94]
	v_rcp_f64_e32 v[3:4], v[1:2]
	v_fma_f64 v[97:98], -v[1:2], v[3:4], 1.0
	v_fma_f64 v[3:4], v[3:4], v[97:98], v[3:4]
	v_div_scale_f64 v[97:98], vcc, v[93:94], v[95:96], v[93:94]
	v_fma_f64 v[99:100], -v[1:2], v[3:4], 1.0
	v_fma_f64 v[3:4], v[3:4], v[99:100], v[3:4]
	v_mul_f64 v[99:100], v[97:98], v[3:4]
	v_fma_f64 v[1:2], -v[1:2], v[99:100], v[97:98]
	v_div_fmas_f64 v[1:2], v[1:2], v[3:4], v[99:100]
	v_div_fixup_f64 v[1:2], v[1:2], v[95:96], v[93:94]
	v_fma_f64 v[3:4], v[93:94], v[1:2], v[95:96]
	v_div_scale_f64 v[93:94], s[10:11], v[3:4], v[3:4], 1.0
	v_div_scale_f64 v[99:100], vcc, 1.0, v[3:4], 1.0
	v_rcp_f64_e32 v[95:96], v[93:94]
	v_fma_f64 v[97:98], -v[93:94], v[95:96], 1.0
	v_fma_f64 v[95:96], v[95:96], v[97:98], v[95:96]
	v_fma_f64 v[97:98], -v[93:94], v[95:96], 1.0
	v_fma_f64 v[95:96], v[95:96], v[97:98], v[95:96]
	v_mul_f64 v[97:98], v[99:100], v[95:96]
	v_fma_f64 v[93:94], -v[93:94], v[97:98], v[99:100]
	v_div_fmas_f64 v[93:94], v[93:94], v[95:96], v[97:98]
	v_div_fixup_f64 v[3:4], v[93:94], v[3:4], 1.0
                                        ; implicit-def: $vgpr93_vgpr94
	v_mul_f64 v[1:2], v[1:2], v[3:4]
	v_xor_b32_e32 v4, 0x80000000, v4
.LBB123_603:
	s_andn2_saveexec_b64 s[6:7], s[6:7]
	s_cbranch_execz .LBB123_605
; %bb.604:
	v_div_scale_f64 v[1:2], s[10:11], v[93:94], v[93:94], v[95:96]
	v_rcp_f64_e32 v[3:4], v[1:2]
	v_fma_f64 v[97:98], -v[1:2], v[3:4], 1.0
	v_fma_f64 v[3:4], v[3:4], v[97:98], v[3:4]
	v_div_scale_f64 v[97:98], vcc, v[95:96], v[93:94], v[95:96]
	v_fma_f64 v[99:100], -v[1:2], v[3:4], 1.0
	v_fma_f64 v[3:4], v[3:4], v[99:100], v[3:4]
	v_mul_f64 v[99:100], v[97:98], v[3:4]
	v_fma_f64 v[1:2], -v[1:2], v[99:100], v[97:98]
	v_div_fmas_f64 v[1:2], v[1:2], v[3:4], v[99:100]
	v_div_fixup_f64 v[3:4], v[1:2], v[93:94], v[95:96]
	v_fma_f64 v[1:2], v[95:96], v[3:4], v[93:94]
	v_div_scale_f64 v[93:94], s[10:11], v[1:2], v[1:2], 1.0
	v_div_scale_f64 v[99:100], vcc, 1.0, v[1:2], 1.0
	v_rcp_f64_e32 v[95:96], v[93:94]
	v_fma_f64 v[97:98], -v[93:94], v[95:96], 1.0
	v_fma_f64 v[95:96], v[95:96], v[97:98], v[95:96]
	v_fma_f64 v[97:98], -v[93:94], v[95:96], 1.0
	v_fma_f64 v[95:96], v[95:96], v[97:98], v[95:96]
	v_mul_f64 v[97:98], v[99:100], v[95:96]
	v_fma_f64 v[93:94], -v[93:94], v[97:98], v[99:100]
	v_div_fmas_f64 v[93:94], v[93:94], v[95:96], v[97:98]
	v_div_fixup_f64 v[1:2], v[93:94], v[1:2], 1.0
	v_mul_f64 v[3:4], v[3:4], -v[1:2]
.LBB123_605:
	s_or_b64 exec, exec, s[6:7]
	ds_write2_b64 v125, v[1:2], v[3:4] offset1:1
.LBB123_606:
	s_or_b64 exec, exec, s[8:9]
	s_waitcnt lgkmcnt(0)
	s_barrier
	ds_read2_b64 v[93:96], v125 offset1:1
	v_cmp_lt_u32_e32 vcc, 54, v0
	s_and_saveexec_b64 s[6:7], vcc
	s_cbranch_execz .LBB123_608
; %bb.607:
	buffer_load_dword v1, off, s[0:3], 0 offset:864
	buffer_load_dword v2, off, s[0:3], 0 offset:868
	;; [unrolled: 1-line block ×16, first 2 shown]
	s_waitcnt vmcnt(12) lgkmcnt(0)
	v_mul_f64 v[97:98], v[95:96], v[3:4]
	v_mul_f64 v[3:4], v[93:94], v[3:4]
	v_fma_f64 v[97:98], v[93:94], v[1:2], -v[97:98]
	v_fma_f64 v[99:100], v[95:96], v[1:2], v[3:4]
	buffer_store_dword v97, off, s[0:3], 0 offset:864
	buffer_store_dword v98, off, s[0:3], 0 offset:868
	buffer_store_dword v99, off, s[0:3], 0 offset:872
	buffer_store_dword v100, off, s[0:3], 0 offset:876
	ds_read2_b64 v[1:4], v121 offset0:110 offset1:111
	s_waitcnt lgkmcnt(0)
	v_mul_f64 v[113:114], v[3:4], v[99:100]
	v_fma_f64 v[113:114], v[1:2], v[97:98], -v[113:114]
	v_mul_f64 v[1:2], v[1:2], v[99:100]
	v_fma_f64 v[1:2], v[3:4], v[97:98], v[1:2]
	s_waitcnt vmcnt(14)
	v_add_f64 v[3:4], v[101:102], -v[113:114]
	s_waitcnt vmcnt(12)
	v_add_f64 v[1:2], v[103:104], -v[1:2]
	buffer_store_dword v3, off, s[0:3], 0 offset:880
	buffer_store_dword v4, off, s[0:3], 0 offset:884
	buffer_store_dword v1, off, s[0:3], 0 offset:888
	buffer_store_dword v2, off, s[0:3], 0 offset:892
	ds_read2_b64 v[1:4], v121 offset0:112 offset1:113
	s_waitcnt lgkmcnt(0)
	v_mul_f64 v[101:102], v[3:4], v[99:100]
	v_fma_f64 v[101:102], v[1:2], v[97:98], -v[101:102]
	v_mul_f64 v[1:2], v[1:2], v[99:100]
	v_fma_f64 v[1:2], v[3:4], v[97:98], v[1:2]
	s_waitcnt vmcnt(14)
	v_add_f64 v[3:4], v[105:106], -v[101:102]
	s_waitcnt vmcnt(12)
	v_add_f64 v[1:2], v[107:108], -v[1:2]
	;; [unrolled: 14-line block ×3, first 2 shown]
	buffer_store_dword v4, off, s[0:3], 0 offset:916
	buffer_store_dword v3, off, s[0:3], 0 offset:912
	buffer_store_dword v1, off, s[0:3], 0 offset:920
	buffer_store_dword v2, off, s[0:3], 0 offset:924
	ds_read2_b64 v[1:4], v121 offset0:116 offset1:117
	s_waitcnt lgkmcnt(0)
	v_mul_f64 v[101:102], v[3:4], v[99:100]
	v_fma_f64 v[101:102], v[1:2], v[97:98], -v[101:102]
	v_mul_f64 v[1:2], v[1:2], v[99:100]
	v_fma_f64 v[1:2], v[3:4], v[97:98], v[1:2]
	buffer_load_dword v3, off, s[0:3], 0 offset:928
	buffer_load_dword v4, off, s[0:3], 0 offset:932
	buffer_load_dword v103, off, s[0:3], 0 offset:936
	buffer_load_dword v104, off, s[0:3], 0 offset:940
	s_waitcnt vmcnt(2)
	v_add_f64 v[3:4], v[3:4], -v[101:102]
	s_waitcnt vmcnt(0)
	v_add_f64 v[1:2], v[103:104], -v[1:2]
	buffer_store_dword v4, off, s[0:3], 0 offset:932
	buffer_store_dword v3, off, s[0:3], 0 offset:928
	buffer_store_dword v2, off, s[0:3], 0 offset:940
	buffer_store_dword v1, off, s[0:3], 0 offset:936
	ds_read2_b64 v[1:4], v121 offset0:118 offset1:119
	s_waitcnt lgkmcnt(0)
	v_mul_f64 v[101:102], v[3:4], v[99:100]
	v_fma_f64 v[101:102], v[1:2], v[97:98], -v[101:102]
	v_mul_f64 v[1:2], v[1:2], v[99:100]
	v_fma_f64 v[1:2], v[3:4], v[97:98], v[1:2]
	buffer_load_dword v3, off, s[0:3], 0 offset:944
	buffer_load_dword v4, off, s[0:3], 0 offset:948
	buffer_load_dword v103, off, s[0:3], 0 offset:952
	buffer_load_dword v104, off, s[0:3], 0 offset:956
	s_waitcnt vmcnt(2)
	v_add_f64 v[3:4], v[3:4], -v[101:102]
	s_waitcnt vmcnt(0)
	v_add_f64 v[1:2], v[103:104], -v[1:2]
	;; [unrolled: 18-line block ×3, first 2 shown]
	buffer_store_dword v4, off, s[0:3], 0 offset:964
	buffer_store_dword v3, off, s[0:3], 0 offset:960
	;; [unrolled: 1-line block ×4, first 2 shown]
	ds_read2_b64 v[1:4], v121 offset0:122 offset1:123
	buffer_load_dword v97, off, s[0:3], 0 offset:864
	buffer_load_dword v98, off, s[0:3], 0 offset:868
	;; [unrolled: 1-line block ×4, first 2 shown]
	s_waitcnt vmcnt(0) lgkmcnt(0)
	v_mul_f64 v[101:102], v[3:4], v[99:100]
	v_fma_f64 v[101:102], v[1:2], v[97:98], -v[101:102]
	v_mul_f64 v[1:2], v[1:2], v[99:100]
	v_fma_f64 v[1:2], v[3:4], v[97:98], v[1:2]
	buffer_load_dword v4, off, s[0:3], 0 offset:980
	buffer_load_dword v3, off, s[0:3], 0 offset:976
	;; [unrolled: 1-line block ×4, first 2 shown]
	s_waitcnt vmcnt(2)
	v_add_f64 v[3:4], v[3:4], -v[101:102]
	s_waitcnt vmcnt(0)
	v_add_f64 v[1:2], v[97:98], -v[1:2]
	buffer_store_dword v4, off, s[0:3], 0 offset:980
	buffer_store_dword v3, off, s[0:3], 0 offset:976
	;; [unrolled: 1-line block ×4, first 2 shown]
.LBB123_608:
	s_or_b64 exec, exec, s[6:7]
	v_cmp_eq_u32_e32 vcc, 55, v0
	s_waitcnt vmcnt(0) lgkmcnt(0)
	s_barrier
	s_and_saveexec_b64 s[8:9], vcc
	s_cbranch_execz .LBB123_615
; %bb.609:
	v_mov_b32_e32 v4, s18
	buffer_load_dword v1, v4, s[0:3], 0 offen
	buffer_load_dword v2, v4, s[0:3], 0 offen offset:4
	buffer_load_dword v3, v4, s[0:3], 0 offen offset:8
	s_nop 0
	buffer_load_dword v4, v4, s[0:3], 0 offen offset:12
	v_readlane_b32 s6, v126, 21
	s_waitcnt vmcnt(0)
	ds_write2_b64 v125, v[1:2], v[3:4] offset1:1
	v_mov_b32_e32 v4, s6
	buffer_load_dword v1, v4, s[0:3], 0 offen
	buffer_load_dword v2, v4, s[0:3], 0 offen offset:4
	buffer_load_dword v3, v4, s[0:3], 0 offen offset:8
	s_nop 0
	buffer_load_dword v4, v4, s[0:3], 0 offen offset:12
	v_readlane_b32 s6, v126, 22
	s_waitcnt vmcnt(0)
	ds_write2_b64 v121, v[1:2], v[3:4] offset0:112 offset1:113
	v_mov_b32_e32 v4, s16
	buffer_load_dword v1, v4, s[0:3], 0 offen
	buffer_load_dword v2, v4, s[0:3], 0 offen offset:4
	buffer_load_dword v3, v4, s[0:3], 0 offen offset:8
	s_nop 0
	buffer_load_dword v4, v4, s[0:3], 0 offen offset:12
	s_waitcnt vmcnt(0)
	ds_write2_b64 v121, v[1:2], v[3:4] offset0:114 offset1:115
	v_mov_b32_e32 v4, s6
	buffer_load_dword v1, v4, s[0:3], 0 offen
	buffer_load_dword v2, v4, s[0:3], 0 offen offset:4
	buffer_load_dword v3, v4, s[0:3], 0 offen offset:8
	s_nop 0
	buffer_load_dword v4, v4, s[0:3], 0 offen offset:12
	v_readlane_b32 s6, v126, 23
	s_waitcnt vmcnt(0)
	ds_write2_b64 v121, v[1:2], v[3:4] offset0:116 offset1:117
	v_mov_b32_e32 v4, s14
	buffer_load_dword v1, v4, s[0:3], 0 offen
	buffer_load_dword v2, v4, s[0:3], 0 offen offset:4
	buffer_load_dword v3, v4, s[0:3], 0 offen offset:8
	s_nop 0
	buffer_load_dword v4, v4, s[0:3], 0 offen offset:12
	s_waitcnt vmcnt(0)
	ds_write2_b64 v121, v[1:2], v[3:4] offset0:118 offset1:119
	v_mov_b32_e32 v4, s42
	buffer_load_dword v1, v4, s[0:3], 0 offen
	buffer_load_dword v2, v4, s[0:3], 0 offen offset:4
	buffer_load_dword v3, v4, s[0:3], 0 offen offset:8
	s_nop 0
	buffer_load_dword v4, v4, s[0:3], 0 offen offset:12
	s_waitcnt vmcnt(0)
	ds_write2_b64 v121, v[1:2], v[3:4] offset0:120 offset1:121
	v_mov_b32_e32 v4, s6
	buffer_load_dword v1, v4, s[0:3], 0 offen
	buffer_load_dword v2, v4, s[0:3], 0 offen offset:4
	buffer_load_dword v3, v4, s[0:3], 0 offen offset:8
	s_nop 0
	buffer_load_dword v4, v4, s[0:3], 0 offen offset:12
	s_waitcnt vmcnt(0)
	ds_write2_b64 v121, v[1:2], v[3:4] offset0:122 offset1:123
	ds_read2_b64 v[97:100], v125 offset1:1
	s_waitcnt lgkmcnt(0)
	v_cmp_neq_f64_e32 vcc, 0, v[97:98]
	v_cmp_neq_f64_e64 s[6:7], 0, v[99:100]
	s_or_b64 s[6:7], vcc, s[6:7]
	s_and_b64 exec, exec, s[6:7]
	s_cbranch_execz .LBB123_615
; %bb.610:
	v_cmp_ngt_f64_e64 s[6:7], |v[97:98]|, |v[99:100]|
                                        ; implicit-def: $vgpr1_vgpr2
	s_and_saveexec_b64 s[10:11], s[6:7]
	s_xor_b64 s[6:7], exec, s[10:11]
                                        ; implicit-def: $vgpr3_vgpr4
	s_cbranch_execz .LBB123_612
; %bb.611:
	v_div_scale_f64 v[1:2], s[10:11], v[99:100], v[99:100], v[97:98]
	v_rcp_f64_e32 v[3:4], v[1:2]
	v_fma_f64 v[101:102], -v[1:2], v[3:4], 1.0
	v_fma_f64 v[3:4], v[3:4], v[101:102], v[3:4]
	v_div_scale_f64 v[101:102], vcc, v[97:98], v[99:100], v[97:98]
	v_fma_f64 v[103:104], -v[1:2], v[3:4], 1.0
	v_fma_f64 v[3:4], v[3:4], v[103:104], v[3:4]
	v_mul_f64 v[103:104], v[101:102], v[3:4]
	v_fma_f64 v[1:2], -v[1:2], v[103:104], v[101:102]
	v_div_fmas_f64 v[1:2], v[1:2], v[3:4], v[103:104]
	v_div_fixup_f64 v[1:2], v[1:2], v[99:100], v[97:98]
	v_fma_f64 v[3:4], v[97:98], v[1:2], v[99:100]
	v_div_scale_f64 v[97:98], s[10:11], v[3:4], v[3:4], 1.0
	v_div_scale_f64 v[103:104], vcc, 1.0, v[3:4], 1.0
	v_rcp_f64_e32 v[99:100], v[97:98]
	v_fma_f64 v[101:102], -v[97:98], v[99:100], 1.0
	v_fma_f64 v[99:100], v[99:100], v[101:102], v[99:100]
	v_fma_f64 v[101:102], -v[97:98], v[99:100], 1.0
	v_fma_f64 v[99:100], v[99:100], v[101:102], v[99:100]
	v_mul_f64 v[101:102], v[103:104], v[99:100]
	v_fma_f64 v[97:98], -v[97:98], v[101:102], v[103:104]
	v_div_fmas_f64 v[97:98], v[97:98], v[99:100], v[101:102]
	v_div_fixup_f64 v[3:4], v[97:98], v[3:4], 1.0
                                        ; implicit-def: $vgpr97_vgpr98
	v_mul_f64 v[1:2], v[1:2], v[3:4]
	v_xor_b32_e32 v4, 0x80000000, v4
.LBB123_612:
	s_andn2_saveexec_b64 s[6:7], s[6:7]
	s_cbranch_execz .LBB123_614
; %bb.613:
	v_div_scale_f64 v[1:2], s[10:11], v[97:98], v[97:98], v[99:100]
	v_rcp_f64_e32 v[3:4], v[1:2]
	v_fma_f64 v[101:102], -v[1:2], v[3:4], 1.0
	v_fma_f64 v[3:4], v[3:4], v[101:102], v[3:4]
	v_div_scale_f64 v[101:102], vcc, v[99:100], v[97:98], v[99:100]
	v_fma_f64 v[103:104], -v[1:2], v[3:4], 1.0
	v_fma_f64 v[3:4], v[3:4], v[103:104], v[3:4]
	v_mul_f64 v[103:104], v[101:102], v[3:4]
	v_fma_f64 v[1:2], -v[1:2], v[103:104], v[101:102]
	v_div_fmas_f64 v[1:2], v[1:2], v[3:4], v[103:104]
	v_div_fixup_f64 v[3:4], v[1:2], v[97:98], v[99:100]
	v_fma_f64 v[1:2], v[99:100], v[3:4], v[97:98]
	v_div_scale_f64 v[97:98], s[10:11], v[1:2], v[1:2], 1.0
	v_div_scale_f64 v[103:104], vcc, 1.0, v[1:2], 1.0
	v_rcp_f64_e32 v[99:100], v[97:98]
	v_fma_f64 v[101:102], -v[97:98], v[99:100], 1.0
	v_fma_f64 v[99:100], v[99:100], v[101:102], v[99:100]
	v_fma_f64 v[101:102], -v[97:98], v[99:100], 1.0
	v_fma_f64 v[99:100], v[99:100], v[101:102], v[99:100]
	v_mul_f64 v[101:102], v[103:104], v[99:100]
	v_fma_f64 v[97:98], -v[97:98], v[101:102], v[103:104]
	v_div_fmas_f64 v[97:98], v[97:98], v[99:100], v[101:102]
	v_div_fixup_f64 v[1:2], v[97:98], v[1:2], 1.0
	v_mul_f64 v[3:4], v[3:4], -v[1:2]
.LBB123_614:
	s_or_b64 exec, exec, s[6:7]
	ds_write2_b64 v125, v[1:2], v[3:4] offset1:1
.LBB123_615:
	s_or_b64 exec, exec, s[8:9]
	s_waitcnt lgkmcnt(0)
	s_barrier
	ds_read2_b64 v[97:100], v125 offset1:1
	v_cmp_lt_u32_e32 vcc, 55, v0
	s_and_saveexec_b64 s[6:7], vcc
	s_cbranch_execz .LBB123_617
; %bb.616:
	buffer_load_dword v1, off, s[0:3], 0 offset:880
	buffer_load_dword v2, off, s[0:3], 0 offset:884
	buffer_load_dword v3, off, s[0:3], 0 offset:888
	buffer_load_dword v4, off, s[0:3], 0 offset:892
	buffer_load_dword v105, off, s[0:3], 0 offset:896
	buffer_load_dword v106, off, s[0:3], 0 offset:900
	buffer_load_dword v107, off, s[0:3], 0 offset:904
	buffer_load_dword v108, off, s[0:3], 0 offset:908
	buffer_load_dword v109, off, s[0:3], 0 offset:912
	buffer_load_dword v110, off, s[0:3], 0 offset:916
	buffer_load_dword v111, off, s[0:3], 0 offset:920
	buffer_load_dword v112, off, s[0:3], 0 offset:924
	buffer_load_dword v113, off, s[0:3], 0 offset:928
	buffer_load_dword v114, off, s[0:3], 0 offset:932
	buffer_load_dword v115, off, s[0:3], 0 offset:936
	buffer_load_dword v116, off, s[0:3], 0 offset:940
	s_waitcnt vmcnt(12) lgkmcnt(0)
	v_mul_f64 v[101:102], v[99:100], v[3:4]
	v_mul_f64 v[3:4], v[97:98], v[3:4]
	v_fma_f64 v[101:102], v[97:98], v[1:2], -v[101:102]
	v_fma_f64 v[103:104], v[99:100], v[1:2], v[3:4]
	buffer_store_dword v101, off, s[0:3], 0 offset:880
	buffer_store_dword v102, off, s[0:3], 0 offset:884
	buffer_store_dword v103, off, s[0:3], 0 offset:888
	buffer_store_dword v104, off, s[0:3], 0 offset:892
	ds_read2_b64 v[1:4], v121 offset0:112 offset1:113
	s_waitcnt lgkmcnt(0)
	v_mul_f64 v[117:118], v[3:4], v[103:104]
	v_fma_f64 v[117:118], v[1:2], v[101:102], -v[117:118]
	v_mul_f64 v[1:2], v[1:2], v[103:104]
	v_fma_f64 v[1:2], v[3:4], v[101:102], v[1:2]
	s_waitcnt vmcnt(14)
	v_add_f64 v[3:4], v[105:106], -v[117:118]
	s_waitcnt vmcnt(12)
	v_add_f64 v[1:2], v[107:108], -v[1:2]
	buffer_store_dword v3, off, s[0:3], 0 offset:896
	buffer_store_dword v4, off, s[0:3], 0 offset:900
	buffer_store_dword v1, off, s[0:3], 0 offset:904
	buffer_store_dword v2, off, s[0:3], 0 offset:908
	ds_read2_b64 v[1:4], v121 offset0:114 offset1:115
	s_waitcnt lgkmcnt(0)
	v_mul_f64 v[105:106], v[3:4], v[103:104]
	v_fma_f64 v[105:106], v[1:2], v[101:102], -v[105:106]
	v_mul_f64 v[1:2], v[1:2], v[103:104]
	v_fma_f64 v[1:2], v[3:4], v[101:102], v[1:2]
	s_waitcnt vmcnt(14)
	v_add_f64 v[3:4], v[109:110], -v[105:106]
	s_waitcnt vmcnt(12)
	v_add_f64 v[1:2], v[111:112], -v[1:2]
	;; [unrolled: 14-line block ×3, first 2 shown]
	buffer_store_dword v4, off, s[0:3], 0 offset:932
	buffer_store_dword v3, off, s[0:3], 0 offset:928
	buffer_store_dword v1, off, s[0:3], 0 offset:936
	buffer_store_dword v2, off, s[0:3], 0 offset:940
	ds_read2_b64 v[1:4], v121 offset0:118 offset1:119
	s_waitcnt lgkmcnt(0)
	v_mul_f64 v[105:106], v[3:4], v[103:104]
	v_fma_f64 v[105:106], v[1:2], v[101:102], -v[105:106]
	v_mul_f64 v[1:2], v[1:2], v[103:104]
	v_fma_f64 v[1:2], v[3:4], v[101:102], v[1:2]
	buffer_load_dword v3, off, s[0:3], 0 offset:944
	buffer_load_dword v4, off, s[0:3], 0 offset:948
	buffer_load_dword v107, off, s[0:3], 0 offset:952
	buffer_load_dword v108, off, s[0:3], 0 offset:956
	s_waitcnt vmcnt(2)
	v_add_f64 v[3:4], v[3:4], -v[105:106]
	s_waitcnt vmcnt(0)
	v_add_f64 v[1:2], v[107:108], -v[1:2]
	buffer_store_dword v4, off, s[0:3], 0 offset:948
	buffer_store_dword v3, off, s[0:3], 0 offset:944
	buffer_store_dword v2, off, s[0:3], 0 offset:956
	buffer_store_dword v1, off, s[0:3], 0 offset:952
	ds_read2_b64 v[1:4], v121 offset0:120 offset1:121
	s_waitcnt lgkmcnt(0)
	v_mul_f64 v[105:106], v[3:4], v[103:104]
	v_fma_f64 v[105:106], v[1:2], v[101:102], -v[105:106]
	v_mul_f64 v[1:2], v[1:2], v[103:104]
	v_fma_f64 v[1:2], v[3:4], v[101:102], v[1:2]
	buffer_load_dword v3, off, s[0:3], 0 offset:960
	buffer_load_dword v4, off, s[0:3], 0 offset:964
	buffer_load_dword v107, off, s[0:3], 0 offset:968
	buffer_load_dword v108, off, s[0:3], 0 offset:972
	s_waitcnt vmcnt(2)
	v_add_f64 v[3:4], v[3:4], -v[105:106]
	s_waitcnt vmcnt(0)
	v_add_f64 v[1:2], v[107:108], -v[1:2]
	;; [unrolled: 18-line block ×3, first 2 shown]
	buffer_store_dword v4, off, s[0:3], 0 offset:980
	buffer_store_dword v3, off, s[0:3], 0 offset:976
	;; [unrolled: 1-line block ×4, first 2 shown]
.LBB123_617:
	s_or_b64 exec, exec, s[6:7]
	v_cmp_eq_u32_e32 vcc, 56, v0
	s_waitcnt vmcnt(0) lgkmcnt(0)
	s_barrier
	s_and_saveexec_b64 s[8:9], vcc
	s_cbranch_execz .LBB123_624
; %bb.618:
	v_readlane_b32 s6, v126, 21
	v_mov_b32_e32 v4, s6
	buffer_load_dword v1, v4, s[0:3], 0 offen
	buffer_load_dword v2, v4, s[0:3], 0 offen offset:4
	buffer_load_dword v3, v4, s[0:3], 0 offen offset:8
	s_nop 0
	buffer_load_dword v4, v4, s[0:3], 0 offen offset:12
	v_readlane_b32 s6, v126, 22
	s_waitcnt vmcnt(0)
	ds_write2_b64 v125, v[1:2], v[3:4] offset1:1
	v_mov_b32_e32 v4, s16
	buffer_load_dword v1, v4, s[0:3], 0 offen
	buffer_load_dword v2, v4, s[0:3], 0 offen offset:4
	buffer_load_dword v3, v4, s[0:3], 0 offen offset:8
	s_nop 0
	buffer_load_dword v4, v4, s[0:3], 0 offen offset:12
	s_waitcnt vmcnt(0)
	ds_write2_b64 v121, v[1:2], v[3:4] offset0:114 offset1:115
	v_mov_b32_e32 v4, s6
	buffer_load_dword v1, v4, s[0:3], 0 offen
	buffer_load_dword v2, v4, s[0:3], 0 offen offset:4
	buffer_load_dword v3, v4, s[0:3], 0 offen offset:8
	s_nop 0
	buffer_load_dword v4, v4, s[0:3], 0 offen offset:12
	v_readlane_b32 s6, v126, 23
	s_waitcnt vmcnt(0)
	ds_write2_b64 v121, v[1:2], v[3:4] offset0:116 offset1:117
	v_mov_b32_e32 v4, s14
	buffer_load_dword v1, v4, s[0:3], 0 offen
	buffer_load_dword v2, v4, s[0:3], 0 offen offset:4
	buffer_load_dword v3, v4, s[0:3], 0 offen offset:8
	s_nop 0
	buffer_load_dword v4, v4, s[0:3], 0 offen offset:12
	s_waitcnt vmcnt(0)
	ds_write2_b64 v121, v[1:2], v[3:4] offset0:118 offset1:119
	v_mov_b32_e32 v4, s42
	buffer_load_dword v1, v4, s[0:3], 0 offen
	buffer_load_dword v2, v4, s[0:3], 0 offen offset:4
	buffer_load_dword v3, v4, s[0:3], 0 offen offset:8
	s_nop 0
	buffer_load_dword v4, v4, s[0:3], 0 offen offset:12
	;; [unrolled: 8-line block ×3, first 2 shown]
	s_waitcnt vmcnt(0)
	ds_write2_b64 v121, v[1:2], v[3:4] offset0:122 offset1:123
	ds_read2_b64 v[101:104], v125 offset1:1
	s_waitcnt lgkmcnt(0)
	v_cmp_neq_f64_e32 vcc, 0, v[101:102]
	v_cmp_neq_f64_e64 s[6:7], 0, v[103:104]
	s_or_b64 s[6:7], vcc, s[6:7]
	s_and_b64 exec, exec, s[6:7]
	s_cbranch_execz .LBB123_624
; %bb.619:
	v_cmp_ngt_f64_e64 s[6:7], |v[101:102]|, |v[103:104]|
                                        ; implicit-def: $vgpr1_vgpr2
	s_and_saveexec_b64 s[10:11], s[6:7]
	s_xor_b64 s[6:7], exec, s[10:11]
                                        ; implicit-def: $vgpr3_vgpr4
	s_cbranch_execz .LBB123_621
; %bb.620:
	v_div_scale_f64 v[1:2], s[10:11], v[103:104], v[103:104], v[101:102]
	v_rcp_f64_e32 v[3:4], v[1:2]
	v_fma_f64 v[105:106], -v[1:2], v[3:4], 1.0
	v_fma_f64 v[3:4], v[3:4], v[105:106], v[3:4]
	v_div_scale_f64 v[105:106], vcc, v[101:102], v[103:104], v[101:102]
	v_fma_f64 v[107:108], -v[1:2], v[3:4], 1.0
	v_fma_f64 v[3:4], v[3:4], v[107:108], v[3:4]
	v_mul_f64 v[107:108], v[105:106], v[3:4]
	v_fma_f64 v[1:2], -v[1:2], v[107:108], v[105:106]
	v_div_fmas_f64 v[1:2], v[1:2], v[3:4], v[107:108]
	v_div_fixup_f64 v[1:2], v[1:2], v[103:104], v[101:102]
	v_fma_f64 v[3:4], v[101:102], v[1:2], v[103:104]
	v_div_scale_f64 v[101:102], s[10:11], v[3:4], v[3:4], 1.0
	v_div_scale_f64 v[107:108], vcc, 1.0, v[3:4], 1.0
	v_rcp_f64_e32 v[103:104], v[101:102]
	v_fma_f64 v[105:106], -v[101:102], v[103:104], 1.0
	v_fma_f64 v[103:104], v[103:104], v[105:106], v[103:104]
	v_fma_f64 v[105:106], -v[101:102], v[103:104], 1.0
	v_fma_f64 v[103:104], v[103:104], v[105:106], v[103:104]
	v_mul_f64 v[105:106], v[107:108], v[103:104]
	v_fma_f64 v[101:102], -v[101:102], v[105:106], v[107:108]
	v_div_fmas_f64 v[101:102], v[101:102], v[103:104], v[105:106]
	v_div_fixup_f64 v[3:4], v[101:102], v[3:4], 1.0
                                        ; implicit-def: $vgpr101_vgpr102
	v_mul_f64 v[1:2], v[1:2], v[3:4]
	v_xor_b32_e32 v4, 0x80000000, v4
.LBB123_621:
	s_andn2_saveexec_b64 s[6:7], s[6:7]
	s_cbranch_execz .LBB123_623
; %bb.622:
	v_div_scale_f64 v[1:2], s[10:11], v[101:102], v[101:102], v[103:104]
	v_rcp_f64_e32 v[3:4], v[1:2]
	v_fma_f64 v[105:106], -v[1:2], v[3:4], 1.0
	v_fma_f64 v[3:4], v[3:4], v[105:106], v[3:4]
	v_div_scale_f64 v[105:106], vcc, v[103:104], v[101:102], v[103:104]
	v_fma_f64 v[107:108], -v[1:2], v[3:4], 1.0
	v_fma_f64 v[3:4], v[3:4], v[107:108], v[3:4]
	v_mul_f64 v[107:108], v[105:106], v[3:4]
	v_fma_f64 v[1:2], -v[1:2], v[107:108], v[105:106]
	v_div_fmas_f64 v[1:2], v[1:2], v[3:4], v[107:108]
	v_div_fixup_f64 v[3:4], v[1:2], v[101:102], v[103:104]
	v_fma_f64 v[1:2], v[103:104], v[3:4], v[101:102]
	v_div_scale_f64 v[101:102], s[10:11], v[1:2], v[1:2], 1.0
	v_div_scale_f64 v[107:108], vcc, 1.0, v[1:2], 1.0
	v_rcp_f64_e32 v[103:104], v[101:102]
	v_fma_f64 v[105:106], -v[101:102], v[103:104], 1.0
	v_fma_f64 v[103:104], v[103:104], v[105:106], v[103:104]
	v_fma_f64 v[105:106], -v[101:102], v[103:104], 1.0
	v_fma_f64 v[103:104], v[103:104], v[105:106], v[103:104]
	v_mul_f64 v[105:106], v[107:108], v[103:104]
	v_fma_f64 v[101:102], -v[101:102], v[105:106], v[107:108]
	v_div_fmas_f64 v[101:102], v[101:102], v[103:104], v[105:106]
	v_div_fixup_f64 v[1:2], v[101:102], v[1:2], 1.0
	v_mul_f64 v[3:4], v[3:4], -v[1:2]
.LBB123_623:
	s_or_b64 exec, exec, s[6:7]
	ds_write2_b64 v125, v[1:2], v[3:4] offset1:1
.LBB123_624:
	s_or_b64 exec, exec, s[8:9]
	s_waitcnt lgkmcnt(0)
	s_barrier
	ds_read2_b64 v[101:104], v125 offset1:1
	v_cmp_lt_u32_e32 vcc, 56, v0
	s_and_saveexec_b64 s[6:7], vcc
	s_cbranch_execz .LBB123_626
; %bb.625:
	buffer_load_dword v1, off, s[0:3], 0 offset:896
	buffer_load_dword v2, off, s[0:3], 0 offset:900
	;; [unrolled: 1-line block ×16, first 2 shown]
	s_waitcnt vmcnt(12) lgkmcnt(0)
	v_mul_f64 v[117:118], v[103:104], v[3:4]
	v_mul_f64 v[3:4], v[101:102], v[3:4]
	v_fma_f64 v[117:118], v[101:102], v[1:2], -v[117:118]
	v_fma_f64 v[119:120], v[103:104], v[1:2], v[3:4]
	buffer_store_dword v117, off, s[0:3], 0 offset:896
	buffer_store_dword v118, off, s[0:3], 0 offset:900
	buffer_store_dword v119, off, s[0:3], 0 offset:904
	buffer_store_dword v120, off, s[0:3], 0 offset:908
	ds_read2_b64 v[1:4], v121 offset0:114 offset1:115
	s_waitcnt lgkmcnt(0)
	v_mul_f64 v[122:123], v[3:4], v[119:120]
	v_fma_f64 v[122:123], v[1:2], v[117:118], -v[122:123]
	v_mul_f64 v[1:2], v[1:2], v[119:120]
	v_fma_f64 v[1:2], v[3:4], v[117:118], v[1:2]
	s_waitcnt vmcnt(14)
	v_add_f64 v[3:4], v[105:106], -v[122:123]
	s_waitcnt vmcnt(12)
	v_add_f64 v[1:2], v[107:108], -v[1:2]
	buffer_store_dword v3, off, s[0:3], 0 offset:912
	buffer_store_dword v4, off, s[0:3], 0 offset:916
	buffer_store_dword v1, off, s[0:3], 0 offset:920
	buffer_store_dword v2, off, s[0:3], 0 offset:924
	ds_read2_b64 v[1:4], v121 offset0:116 offset1:117
	s_waitcnt lgkmcnt(0)
	v_mul_f64 v[105:106], v[3:4], v[119:120]
	v_fma_f64 v[105:106], v[1:2], v[117:118], -v[105:106]
	v_mul_f64 v[1:2], v[1:2], v[119:120]
	v_fma_f64 v[1:2], v[3:4], v[117:118], v[1:2]
	s_waitcnt vmcnt(14)
	v_add_f64 v[3:4], v[109:110], -v[105:106]
	s_waitcnt vmcnt(12)
	v_add_f64 v[1:2], v[111:112], -v[1:2]
	;; [unrolled: 14-line block ×3, first 2 shown]
	buffer_store_dword v4, off, s[0:3], 0 offset:948
	buffer_store_dword v3, off, s[0:3], 0 offset:944
	;; [unrolled: 1-line block ×4, first 2 shown]
	ds_read2_b64 v[1:4], v121 offset0:120 offset1:121
	s_waitcnt lgkmcnt(0)
	v_mul_f64 v[105:106], v[3:4], v[119:120]
	v_fma_f64 v[105:106], v[1:2], v[117:118], -v[105:106]
	v_mul_f64 v[1:2], v[1:2], v[119:120]
	v_fma_f64 v[1:2], v[3:4], v[117:118], v[1:2]
	buffer_load_dword v3, off, s[0:3], 0 offset:960
	buffer_load_dword v4, off, s[0:3], 0 offset:964
	;; [unrolled: 1-line block ×4, first 2 shown]
	s_waitcnt vmcnt(2)
	v_add_f64 v[3:4], v[3:4], -v[105:106]
	s_waitcnt vmcnt(0)
	v_add_f64 v[1:2], v[107:108], -v[1:2]
	buffer_store_dword v4, off, s[0:3], 0 offset:964
	buffer_store_dword v3, off, s[0:3], 0 offset:960
	;; [unrolled: 1-line block ×4, first 2 shown]
	ds_read2_b64 v[1:4], v121 offset0:122 offset1:123
	s_waitcnt lgkmcnt(0)
	v_mul_f64 v[105:106], v[3:4], v[119:120]
	v_fma_f64 v[105:106], v[1:2], v[117:118], -v[105:106]
	v_mul_f64 v[1:2], v[1:2], v[119:120]
	v_fma_f64 v[1:2], v[3:4], v[117:118], v[1:2]
	buffer_load_dword v3, off, s[0:3], 0 offset:976
	buffer_load_dword v4, off, s[0:3], 0 offset:980
	;; [unrolled: 1-line block ×4, first 2 shown]
	s_waitcnt vmcnt(2)
	v_add_f64 v[3:4], v[3:4], -v[105:106]
	s_waitcnt vmcnt(0)
	v_add_f64 v[1:2], v[107:108], -v[1:2]
	buffer_store_dword v4, off, s[0:3], 0 offset:980
	buffer_store_dword v3, off, s[0:3], 0 offset:976
	;; [unrolled: 1-line block ×4, first 2 shown]
.LBB123_626:
	s_or_b64 exec, exec, s[6:7]
	v_cmp_eq_u32_e32 vcc, 57, v0
	s_waitcnt vmcnt(0) lgkmcnt(0)
	s_barrier
	s_and_saveexec_b64 s[8:9], vcc
	s_cbranch_execz .LBB123_633
; %bb.627:
	v_mov_b32_e32 v4, s16
	buffer_load_dword v1, v4, s[0:3], 0 offen
	buffer_load_dword v2, v4, s[0:3], 0 offen offset:4
	buffer_load_dword v3, v4, s[0:3], 0 offen offset:8
	s_nop 0
	buffer_load_dword v4, v4, s[0:3], 0 offen offset:12
	v_readlane_b32 s6, v126, 22
	s_waitcnt vmcnt(0)
	ds_write2_b64 v125, v[1:2], v[3:4] offset1:1
	v_mov_b32_e32 v4, s6
	buffer_load_dword v1, v4, s[0:3], 0 offen
	buffer_load_dword v2, v4, s[0:3], 0 offen offset:4
	buffer_load_dword v3, v4, s[0:3], 0 offen offset:8
	s_nop 0
	buffer_load_dword v4, v4, s[0:3], 0 offen offset:12
	v_readlane_b32 s6, v126, 23
	s_waitcnt vmcnt(0)
	ds_write2_b64 v121, v[1:2], v[3:4] offset0:116 offset1:117
	v_mov_b32_e32 v4, s14
	buffer_load_dword v1, v4, s[0:3], 0 offen
	buffer_load_dword v2, v4, s[0:3], 0 offen offset:4
	buffer_load_dword v3, v4, s[0:3], 0 offen offset:8
	s_nop 0
	buffer_load_dword v4, v4, s[0:3], 0 offen offset:12
	s_waitcnt vmcnt(0)
	ds_write2_b64 v121, v[1:2], v[3:4] offset0:118 offset1:119
	v_mov_b32_e32 v4, s42
	buffer_load_dword v1, v4, s[0:3], 0 offen
	buffer_load_dword v2, v4, s[0:3], 0 offen offset:4
	buffer_load_dword v3, v4, s[0:3], 0 offen offset:8
	s_nop 0
	buffer_load_dword v4, v4, s[0:3], 0 offen offset:12
	;; [unrolled: 8-line block ×3, first 2 shown]
	s_waitcnt vmcnt(0)
	ds_write2_b64 v121, v[1:2], v[3:4] offset0:122 offset1:123
	ds_read2_b64 v[105:108], v125 offset1:1
	s_waitcnt lgkmcnt(0)
	v_cmp_neq_f64_e32 vcc, 0, v[105:106]
	v_cmp_neq_f64_e64 s[6:7], 0, v[107:108]
	s_or_b64 s[6:7], vcc, s[6:7]
	s_and_b64 exec, exec, s[6:7]
	s_cbranch_execz .LBB123_633
; %bb.628:
	v_cmp_ngt_f64_e64 s[6:7], |v[105:106]|, |v[107:108]|
                                        ; implicit-def: $vgpr1_vgpr2
	s_and_saveexec_b64 s[10:11], s[6:7]
	s_xor_b64 s[6:7], exec, s[10:11]
                                        ; implicit-def: $vgpr3_vgpr4
	s_cbranch_execz .LBB123_630
; %bb.629:
	v_div_scale_f64 v[1:2], s[10:11], v[107:108], v[107:108], v[105:106]
	v_rcp_f64_e32 v[3:4], v[1:2]
	v_fma_f64 v[109:110], -v[1:2], v[3:4], 1.0
	v_fma_f64 v[3:4], v[3:4], v[109:110], v[3:4]
	v_div_scale_f64 v[109:110], vcc, v[105:106], v[107:108], v[105:106]
	v_fma_f64 v[111:112], -v[1:2], v[3:4], 1.0
	v_fma_f64 v[3:4], v[3:4], v[111:112], v[3:4]
	v_mul_f64 v[111:112], v[109:110], v[3:4]
	v_fma_f64 v[1:2], -v[1:2], v[111:112], v[109:110]
	v_div_fmas_f64 v[1:2], v[1:2], v[3:4], v[111:112]
	v_div_fixup_f64 v[1:2], v[1:2], v[107:108], v[105:106]
	v_fma_f64 v[3:4], v[105:106], v[1:2], v[107:108]
	v_div_scale_f64 v[105:106], s[10:11], v[3:4], v[3:4], 1.0
	v_div_scale_f64 v[111:112], vcc, 1.0, v[3:4], 1.0
	v_rcp_f64_e32 v[107:108], v[105:106]
	v_fma_f64 v[109:110], -v[105:106], v[107:108], 1.0
	v_fma_f64 v[107:108], v[107:108], v[109:110], v[107:108]
	v_fma_f64 v[109:110], -v[105:106], v[107:108], 1.0
	v_fma_f64 v[107:108], v[107:108], v[109:110], v[107:108]
	v_mul_f64 v[109:110], v[111:112], v[107:108]
	v_fma_f64 v[105:106], -v[105:106], v[109:110], v[111:112]
	v_div_fmas_f64 v[105:106], v[105:106], v[107:108], v[109:110]
	v_div_fixup_f64 v[3:4], v[105:106], v[3:4], 1.0
                                        ; implicit-def: $vgpr105_vgpr106
	v_mul_f64 v[1:2], v[1:2], v[3:4]
	v_xor_b32_e32 v4, 0x80000000, v4
.LBB123_630:
	s_andn2_saveexec_b64 s[6:7], s[6:7]
	s_cbranch_execz .LBB123_632
; %bb.631:
	v_div_scale_f64 v[1:2], s[10:11], v[105:106], v[105:106], v[107:108]
	v_rcp_f64_e32 v[3:4], v[1:2]
	v_fma_f64 v[109:110], -v[1:2], v[3:4], 1.0
	v_fma_f64 v[3:4], v[3:4], v[109:110], v[3:4]
	v_div_scale_f64 v[109:110], vcc, v[107:108], v[105:106], v[107:108]
	v_fma_f64 v[111:112], -v[1:2], v[3:4], 1.0
	v_fma_f64 v[3:4], v[3:4], v[111:112], v[3:4]
	v_mul_f64 v[111:112], v[109:110], v[3:4]
	v_fma_f64 v[1:2], -v[1:2], v[111:112], v[109:110]
	v_div_fmas_f64 v[1:2], v[1:2], v[3:4], v[111:112]
	v_div_fixup_f64 v[3:4], v[1:2], v[105:106], v[107:108]
	v_fma_f64 v[1:2], v[107:108], v[3:4], v[105:106]
	v_div_scale_f64 v[105:106], s[10:11], v[1:2], v[1:2], 1.0
	v_div_scale_f64 v[111:112], vcc, 1.0, v[1:2], 1.0
	v_rcp_f64_e32 v[107:108], v[105:106]
	v_fma_f64 v[109:110], -v[105:106], v[107:108], 1.0
	v_fma_f64 v[107:108], v[107:108], v[109:110], v[107:108]
	v_fma_f64 v[109:110], -v[105:106], v[107:108], 1.0
	v_fma_f64 v[107:108], v[107:108], v[109:110], v[107:108]
	v_mul_f64 v[109:110], v[111:112], v[107:108]
	v_fma_f64 v[105:106], -v[105:106], v[109:110], v[111:112]
	v_div_fmas_f64 v[105:106], v[105:106], v[107:108], v[109:110]
	v_div_fixup_f64 v[1:2], v[105:106], v[1:2], 1.0
	v_mul_f64 v[3:4], v[3:4], -v[1:2]
.LBB123_632:
	s_or_b64 exec, exec, s[6:7]
	ds_write2_b64 v125, v[1:2], v[3:4] offset1:1
.LBB123_633:
	s_or_b64 exec, exec, s[8:9]
	s_waitcnt lgkmcnt(0)
	s_barrier
	ds_read2_b64 v[105:108], v125 offset1:1
	v_cmp_lt_u32_e32 vcc, 57, v0
	s_and_saveexec_b64 s[6:7], vcc
	s_cbranch_execz .LBB123_635
; %bb.634:
	buffer_load_dword v1, off, s[0:3], 0 offset:912
	buffer_load_dword v2, off, s[0:3], 0 offset:916
	;; [unrolled: 1-line block ×16, first 2 shown]
	s_waitcnt vmcnt(12) lgkmcnt(0)
	v_mul_f64 v[122:123], v[107:108], v[3:4]
	v_mul_f64 v[3:4], v[105:106], v[3:4]
	v_fma_f64 v[122:123], v[105:106], v[1:2], -v[122:123]
	v_fma_f64 v[5:6], v[107:108], v[1:2], v[3:4]
	buffer_store_dword v122, off, s[0:3], 0 offset:912
	buffer_store_dword v123, off, s[0:3], 0 offset:916
	buffer_store_dword v5, off, s[0:3], 0 offset:920
	buffer_store_dword v6, off, s[0:3], 0 offset:924
	ds_read2_b64 v[1:4], v121 offset0:116 offset1:117
	s_waitcnt lgkmcnt(0)
	v_mul_f64 v[7:8], v[3:4], v[5:6]
	v_fma_f64 v[7:8], v[1:2], v[122:123], -v[7:8]
	v_mul_f64 v[1:2], v[1:2], v[5:6]
	v_fma_f64 v[1:2], v[3:4], v[122:123], v[1:2]
	s_waitcnt vmcnt(14)
	v_add_f64 v[3:4], v[109:110], -v[7:8]
	s_waitcnt vmcnt(12)
	v_add_f64 v[1:2], v[111:112], -v[1:2]
	buffer_store_dword v3, off, s[0:3], 0 offset:928
	buffer_store_dword v4, off, s[0:3], 0 offset:932
	buffer_store_dword v1, off, s[0:3], 0 offset:936
	buffer_store_dword v2, off, s[0:3], 0 offset:940
	ds_read2_b64 v[1:4], v121 offset0:118 offset1:119
	s_waitcnt lgkmcnt(0)
	v_mul_f64 v[7:8], v[3:4], v[5:6]
	v_fma_f64 v[7:8], v[1:2], v[122:123], -v[7:8]
	v_mul_f64 v[1:2], v[1:2], v[5:6]
	v_fma_f64 v[1:2], v[3:4], v[122:123], v[1:2]
	s_waitcnt vmcnt(14)
	v_add_f64 v[3:4], v[113:114], -v[7:8]
	s_waitcnt vmcnt(12)
	v_add_f64 v[1:2], v[115:116], -v[1:2]
	;; [unrolled: 14-line block ×3, first 2 shown]
	buffer_store_dword v4, off, s[0:3], 0 offset:964
	buffer_store_dword v3, off, s[0:3], 0 offset:960
	;; [unrolled: 1-line block ×4, first 2 shown]
	ds_read2_b64 v[1:4], v121 offset0:122 offset1:123
	s_waitcnt lgkmcnt(0)
	v_mul_f64 v[7:8], v[3:4], v[5:6]
	v_fma_f64 v[111:112], v[1:2], v[122:123], -v[7:8]
	v_mul_f64 v[1:2], v[1:2], v[5:6]
	v_fma_f64 v[109:110], v[3:4], v[122:123], v[1:2]
	buffer_load_dword v1, off, s[0:3], 0 offset:976
	buffer_load_dword v2, off, s[0:3], 0 offset:980
	;; [unrolled: 1-line block ×4, first 2 shown]
	s_waitcnt vmcnt(2)
	v_add_f64 v[1:2], v[1:2], -v[111:112]
	s_waitcnt vmcnt(0)
	v_add_f64 v[3:4], v[3:4], -v[109:110]
	buffer_store_dword v2, off, s[0:3], 0 offset:980
	buffer_store_dword v1, off, s[0:3], 0 offset:976
	;; [unrolled: 1-line block ×4, first 2 shown]
.LBB123_635:
	s_or_b64 exec, exec, s[6:7]
	v_cmp_eq_u32_e32 vcc, 58, v0
	s_waitcnt vmcnt(0) lgkmcnt(0)
	s_barrier
	s_and_saveexec_b64 s[8:9], vcc
	s_cbranch_execz .LBB123_642
; %bb.636:
	v_readlane_b32 s6, v126, 22
	v_mov_b32_e32 v4, s6
	buffer_load_dword v1, v4, s[0:3], 0 offen
	buffer_load_dword v2, v4, s[0:3], 0 offen offset:4
	buffer_load_dword v3, v4, s[0:3], 0 offen offset:8
	s_nop 0
	buffer_load_dword v4, v4, s[0:3], 0 offen offset:12
	v_readlane_b32 s6, v126, 23
	s_waitcnt vmcnt(0)
	ds_write2_b64 v125, v[1:2], v[3:4] offset1:1
	v_mov_b32_e32 v4, s14
	buffer_load_dword v1, v4, s[0:3], 0 offen
	buffer_load_dword v2, v4, s[0:3], 0 offen offset:4
	buffer_load_dword v3, v4, s[0:3], 0 offen offset:8
	s_nop 0
	buffer_load_dword v4, v4, s[0:3], 0 offen offset:12
	s_waitcnt vmcnt(0)
	ds_write2_b64 v121, v[1:2], v[3:4] offset0:118 offset1:119
	v_mov_b32_e32 v4, s42
	buffer_load_dword v1, v4, s[0:3], 0 offen
	buffer_load_dword v2, v4, s[0:3], 0 offen offset:4
	buffer_load_dword v3, v4, s[0:3], 0 offen offset:8
	s_nop 0
	buffer_load_dword v4, v4, s[0:3], 0 offen offset:12
	s_waitcnt vmcnt(0)
	ds_write2_b64 v121, v[1:2], v[3:4] offset0:120 offset1:121
	;; [unrolled: 8-line block ×3, first 2 shown]
	ds_read2_b64 v[109:112], v125 offset1:1
	s_waitcnt lgkmcnt(0)
	v_cmp_neq_f64_e32 vcc, 0, v[109:110]
	v_cmp_neq_f64_e64 s[6:7], 0, v[111:112]
	s_or_b64 s[6:7], vcc, s[6:7]
	s_and_b64 exec, exec, s[6:7]
	s_cbranch_execz .LBB123_642
; %bb.637:
	v_cmp_ngt_f64_e64 s[6:7], |v[109:110]|, |v[111:112]|
                                        ; implicit-def: $vgpr1_vgpr2
	s_and_saveexec_b64 s[10:11], s[6:7]
	s_xor_b64 s[6:7], exec, s[10:11]
                                        ; implicit-def: $vgpr3_vgpr4
	s_cbranch_execz .LBB123_639
; %bb.638:
	v_div_scale_f64 v[1:2], s[10:11], v[111:112], v[111:112], v[109:110]
	v_rcp_f64_e32 v[3:4], v[1:2]
	v_fma_f64 v[5:6], -v[1:2], v[3:4], 1.0
	v_fma_f64 v[3:4], v[3:4], v[5:6], v[3:4]
	v_div_scale_f64 v[5:6], vcc, v[109:110], v[111:112], v[109:110]
	v_fma_f64 v[7:8], -v[1:2], v[3:4], 1.0
	v_fma_f64 v[3:4], v[3:4], v[7:8], v[3:4]
	v_mul_f64 v[7:8], v[5:6], v[3:4]
	v_fma_f64 v[1:2], -v[1:2], v[7:8], v[5:6]
	v_div_fmas_f64 v[1:2], v[1:2], v[3:4], v[7:8]
	v_div_fixup_f64 v[1:2], v[1:2], v[111:112], v[109:110]
	v_fma_f64 v[3:4], v[109:110], v[1:2], v[111:112]
	v_div_scale_f64 v[5:6], s[10:11], v[3:4], v[3:4], 1.0
	v_div_scale_f64 v[111:112], vcc, 1.0, v[3:4], 1.0
	v_rcp_f64_e32 v[7:8], v[5:6]
	v_fma_f64 v[109:110], -v[5:6], v[7:8], 1.0
	v_fma_f64 v[7:8], v[7:8], v[109:110], v[7:8]
	v_fma_f64 v[109:110], -v[5:6], v[7:8], 1.0
	v_fma_f64 v[7:8], v[7:8], v[109:110], v[7:8]
	v_mul_f64 v[109:110], v[111:112], v[7:8]
	v_fma_f64 v[5:6], -v[5:6], v[109:110], v[111:112]
	v_div_fmas_f64 v[5:6], v[5:6], v[7:8], v[109:110]
                                        ; implicit-def: $vgpr109_vgpr110
	v_div_fixup_f64 v[3:4], v[5:6], v[3:4], 1.0
	v_mul_f64 v[1:2], v[1:2], v[3:4]
	v_xor_b32_e32 v4, 0x80000000, v4
.LBB123_639:
	s_andn2_saveexec_b64 s[6:7], s[6:7]
	s_cbranch_execz .LBB123_641
; %bb.640:
	v_div_scale_f64 v[1:2], s[10:11], v[109:110], v[109:110], v[111:112]
	v_rcp_f64_e32 v[3:4], v[1:2]
	v_fma_f64 v[5:6], -v[1:2], v[3:4], 1.0
	v_fma_f64 v[3:4], v[3:4], v[5:6], v[3:4]
	v_div_scale_f64 v[5:6], vcc, v[111:112], v[109:110], v[111:112]
	v_fma_f64 v[7:8], -v[1:2], v[3:4], 1.0
	v_fma_f64 v[3:4], v[3:4], v[7:8], v[3:4]
	v_mul_f64 v[7:8], v[5:6], v[3:4]
	v_fma_f64 v[1:2], -v[1:2], v[7:8], v[5:6]
	v_div_fmas_f64 v[1:2], v[1:2], v[3:4], v[7:8]
	v_div_fixup_f64 v[3:4], v[1:2], v[109:110], v[111:112]
	v_fma_f64 v[1:2], v[111:112], v[3:4], v[109:110]
	v_div_scale_f64 v[5:6], s[10:11], v[1:2], v[1:2], 1.0
	v_div_scale_f64 v[111:112], vcc, 1.0, v[1:2], 1.0
	v_rcp_f64_e32 v[7:8], v[5:6]
	v_fma_f64 v[109:110], -v[5:6], v[7:8], 1.0
	v_fma_f64 v[7:8], v[7:8], v[109:110], v[7:8]
	v_fma_f64 v[109:110], -v[5:6], v[7:8], 1.0
	v_fma_f64 v[7:8], v[7:8], v[109:110], v[7:8]
	v_mul_f64 v[109:110], v[111:112], v[7:8]
	v_fma_f64 v[5:6], -v[5:6], v[109:110], v[111:112]
	v_div_fmas_f64 v[5:6], v[5:6], v[7:8], v[109:110]
	v_div_fixup_f64 v[1:2], v[5:6], v[1:2], 1.0
	v_mul_f64 v[3:4], v[3:4], -v[1:2]
.LBB123_641:
	s_or_b64 exec, exec, s[6:7]
	ds_write2_b64 v125, v[1:2], v[3:4] offset1:1
.LBB123_642:
	s_or_b64 exec, exec, s[8:9]
	s_waitcnt lgkmcnt(0)
	s_barrier
	ds_read2_b64 v[109:112], v125 offset1:1
	v_cmp_lt_u32_e32 vcc, 58, v0
	s_and_saveexec_b64 s[6:7], vcc
	s_cbranch_execz .LBB123_644
; %bb.643:
	buffer_load_dword v1, off, s[0:3], 0 offset:928
	buffer_load_dword v2, off, s[0:3], 0 offset:932
	;; [unrolled: 1-line block ×16, first 2 shown]
	s_waitcnt vmcnt(12) lgkmcnt(0)
	v_mul_f64 v[122:123], v[111:112], v[3:4]
	v_mul_f64 v[3:4], v[109:110], v[3:4]
	v_fma_f64 v[122:123], v[109:110], v[1:2], -v[122:123]
	v_fma_f64 v[9:10], v[111:112], v[1:2], v[3:4]
	buffer_store_dword v122, off, s[0:3], 0 offset:928
	buffer_store_dword v123, off, s[0:3], 0 offset:932
	buffer_store_dword v9, off, s[0:3], 0 offset:936
	buffer_store_dword v10, off, s[0:3], 0 offset:940
	ds_read2_b64 v[1:4], v121 offset0:118 offset1:119
	s_waitcnt lgkmcnt(0)
	v_mul_f64 v[11:12], v[3:4], v[9:10]
	v_fma_f64 v[11:12], v[1:2], v[122:123], -v[11:12]
	v_mul_f64 v[1:2], v[1:2], v[9:10]
	v_fma_f64 v[1:2], v[3:4], v[122:123], v[1:2]
	s_waitcnt vmcnt(14)
	v_add_f64 v[3:4], v[5:6], -v[11:12]
	s_waitcnt vmcnt(12)
	v_add_f64 v[1:2], v[7:8], -v[1:2]
	buffer_store_dword v3, off, s[0:3], 0 offset:944
	buffer_store_dword v4, off, s[0:3], 0 offset:948
	buffer_store_dword v1, off, s[0:3], 0 offset:952
	buffer_store_dword v2, off, s[0:3], 0 offset:956
	ds_read2_b64 v[1:4], v121 offset0:120 offset1:121
	s_waitcnt lgkmcnt(0)
	v_mul_f64 v[5:6], v[3:4], v[9:10]
	v_fma_f64 v[5:6], v[1:2], v[122:123], -v[5:6]
	v_mul_f64 v[1:2], v[1:2], v[9:10]
	v_fma_f64 v[1:2], v[3:4], v[122:123], v[1:2]
	s_waitcnt vmcnt(14)
	v_add_f64 v[3:4], v[113:114], -v[5:6]
	s_waitcnt vmcnt(12)
	v_add_f64 v[1:2], v[115:116], -v[1:2]
	;; [unrolled: 14-line block ×3, first 2 shown]
	buffer_store_dword v4, off, s[0:3], 0 offset:980
	buffer_store_dword v3, off, s[0:3], 0 offset:976
	buffer_store_dword v1, off, s[0:3], 0 offset:984
	buffer_store_dword v2, off, s[0:3], 0 offset:988
.LBB123_644:
	s_or_b64 exec, exec, s[6:7]
	v_cmp_eq_u32_e32 vcc, 59, v0
	s_waitcnt vmcnt(0) lgkmcnt(0)
	s_barrier
	s_and_saveexec_b64 s[8:9], vcc
	s_cbranch_execz .LBB123_651
; %bb.645:
	v_mov_b32_e32 v4, s14
	buffer_load_dword v1, v4, s[0:3], 0 offen
	buffer_load_dword v2, v4, s[0:3], 0 offen offset:4
	buffer_load_dword v3, v4, s[0:3], 0 offen offset:8
	s_nop 0
	buffer_load_dword v4, v4, s[0:3], 0 offen offset:12
	v_readlane_b32 s6, v126, 23
	s_waitcnt vmcnt(0)
	ds_write2_b64 v125, v[1:2], v[3:4] offset1:1
	v_mov_b32_e32 v4, s42
	buffer_load_dword v1, v4, s[0:3], 0 offen
	buffer_load_dword v2, v4, s[0:3], 0 offen offset:4
	buffer_load_dword v3, v4, s[0:3], 0 offen offset:8
	s_nop 0
	buffer_load_dword v4, v4, s[0:3], 0 offen offset:12
	s_waitcnt vmcnt(0)
	ds_write2_b64 v121, v[1:2], v[3:4] offset0:120 offset1:121
	v_mov_b32_e32 v4, s6
	buffer_load_dword v1, v4, s[0:3], 0 offen
	buffer_load_dword v2, v4, s[0:3], 0 offen offset:4
	buffer_load_dword v3, v4, s[0:3], 0 offen offset:8
	s_nop 0
	buffer_load_dword v4, v4, s[0:3], 0 offen offset:12
	s_waitcnt vmcnt(0)
	ds_write2_b64 v121, v[1:2], v[3:4] offset0:122 offset1:123
	ds_read2_b64 v[113:116], v125 offset1:1
	s_waitcnt lgkmcnt(0)
	v_cmp_neq_f64_e32 vcc, 0, v[113:114]
	v_cmp_neq_f64_e64 s[6:7], 0, v[115:116]
	s_or_b64 s[6:7], vcc, s[6:7]
	s_and_b64 exec, exec, s[6:7]
	s_cbranch_execz .LBB123_651
; %bb.646:
	v_cmp_ngt_f64_e64 s[6:7], |v[113:114]|, |v[115:116]|
                                        ; implicit-def: $vgpr1_vgpr2
	s_and_saveexec_b64 s[10:11], s[6:7]
	s_xor_b64 s[6:7], exec, s[10:11]
                                        ; implicit-def: $vgpr3_vgpr4
	s_cbranch_execz .LBB123_648
; %bb.647:
	v_div_scale_f64 v[1:2], s[10:11], v[115:116], v[115:116], v[113:114]
	v_rcp_f64_e32 v[3:4], v[1:2]
	v_fma_f64 v[5:6], -v[1:2], v[3:4], 1.0
	v_fma_f64 v[3:4], v[3:4], v[5:6], v[3:4]
	v_div_scale_f64 v[5:6], vcc, v[113:114], v[115:116], v[113:114]
	v_fma_f64 v[7:8], -v[1:2], v[3:4], 1.0
	v_fma_f64 v[3:4], v[3:4], v[7:8], v[3:4]
	v_mul_f64 v[7:8], v[5:6], v[3:4]
	v_fma_f64 v[1:2], -v[1:2], v[7:8], v[5:6]
	v_div_fmas_f64 v[1:2], v[1:2], v[3:4], v[7:8]
	v_div_fixup_f64 v[1:2], v[1:2], v[115:116], v[113:114]
	v_fma_f64 v[3:4], v[113:114], v[1:2], v[115:116]
                                        ; implicit-def: $vgpr113_vgpr114
	v_div_scale_f64 v[5:6], s[10:11], v[3:4], v[3:4], 1.0
	v_div_scale_f64 v[11:12], vcc, 1.0, v[3:4], 1.0
	v_rcp_f64_e32 v[7:8], v[5:6]
	v_fma_f64 v[9:10], -v[5:6], v[7:8], 1.0
	v_fma_f64 v[7:8], v[7:8], v[9:10], v[7:8]
	v_fma_f64 v[9:10], -v[5:6], v[7:8], 1.0
	v_fma_f64 v[7:8], v[7:8], v[9:10], v[7:8]
	v_mul_f64 v[9:10], v[11:12], v[7:8]
	v_fma_f64 v[5:6], -v[5:6], v[9:10], v[11:12]
	v_div_fmas_f64 v[5:6], v[5:6], v[7:8], v[9:10]
	v_div_fixup_f64 v[3:4], v[5:6], v[3:4], 1.0
	v_mul_f64 v[1:2], v[1:2], v[3:4]
	v_xor_b32_e32 v4, 0x80000000, v4
.LBB123_648:
	s_andn2_saveexec_b64 s[6:7], s[6:7]
	s_cbranch_execz .LBB123_650
; %bb.649:
	v_div_scale_f64 v[1:2], s[10:11], v[113:114], v[113:114], v[115:116]
	v_rcp_f64_e32 v[3:4], v[1:2]
	v_fma_f64 v[5:6], -v[1:2], v[3:4], 1.0
	v_fma_f64 v[3:4], v[3:4], v[5:6], v[3:4]
	v_div_scale_f64 v[5:6], vcc, v[115:116], v[113:114], v[115:116]
	v_fma_f64 v[7:8], -v[1:2], v[3:4], 1.0
	v_fma_f64 v[3:4], v[3:4], v[7:8], v[3:4]
	v_mul_f64 v[7:8], v[5:6], v[3:4]
	v_fma_f64 v[1:2], -v[1:2], v[7:8], v[5:6]
	v_div_fmas_f64 v[1:2], v[1:2], v[3:4], v[7:8]
	v_div_fixup_f64 v[3:4], v[1:2], v[113:114], v[115:116]
	v_fma_f64 v[1:2], v[115:116], v[3:4], v[113:114]
	v_div_scale_f64 v[5:6], s[10:11], v[1:2], v[1:2], 1.0
	v_div_scale_f64 v[11:12], vcc, 1.0, v[1:2], 1.0
	v_rcp_f64_e32 v[7:8], v[5:6]
	v_fma_f64 v[9:10], -v[5:6], v[7:8], 1.0
	v_fma_f64 v[7:8], v[7:8], v[9:10], v[7:8]
	v_fma_f64 v[9:10], -v[5:6], v[7:8], 1.0
	v_fma_f64 v[7:8], v[7:8], v[9:10], v[7:8]
	v_mul_f64 v[9:10], v[11:12], v[7:8]
	v_fma_f64 v[5:6], -v[5:6], v[9:10], v[11:12]
	v_div_fmas_f64 v[5:6], v[5:6], v[7:8], v[9:10]
	v_div_fixup_f64 v[1:2], v[5:6], v[1:2], 1.0
	v_mul_f64 v[3:4], v[3:4], -v[1:2]
.LBB123_650:
	s_or_b64 exec, exec, s[6:7]
	ds_write2_b64 v125, v[1:2], v[3:4] offset1:1
.LBB123_651:
	s_or_b64 exec, exec, s[8:9]
	s_waitcnt lgkmcnt(0)
	s_barrier
	ds_read2_b64 v[113:116], v125 offset1:1
	v_cmp_lt_u32_e32 vcc, 59, v0
	s_and_saveexec_b64 s[6:7], vcc
	s_cbranch_execz .LBB123_653
; %bb.652:
	buffer_load_dword v1, off, s[0:3], 0 offset:944
	buffer_load_dword v2, off, s[0:3], 0 offset:948
	;; [unrolled: 1-line block ×12, first 2 shown]
	s_waitcnt vmcnt(8) lgkmcnt(0)
	v_mul_f64 v[117:118], v[115:116], v[3:4]
	v_mul_f64 v[3:4], v[113:114], v[3:4]
	v_fma_f64 v[117:118], v[113:114], v[1:2], -v[117:118]
	v_fma_f64 v[119:120], v[115:116], v[1:2], v[3:4]
	buffer_store_dword v117, off, s[0:3], 0 offset:944
	buffer_store_dword v118, off, s[0:3], 0 offset:948
	;; [unrolled: 1-line block ×4, first 2 shown]
	ds_read2_b64 v[1:4], v121 offset0:120 offset1:121
	s_waitcnt lgkmcnt(0)
	v_mul_f64 v[122:123], v[3:4], v[119:120]
	v_fma_f64 v[122:123], v[1:2], v[117:118], -v[122:123]
	v_mul_f64 v[1:2], v[1:2], v[119:120]
	v_fma_f64 v[1:2], v[3:4], v[117:118], v[1:2]
	s_waitcnt vmcnt(10)
	v_add_f64 v[3:4], v[5:6], -v[122:123]
	s_waitcnt vmcnt(8)
	v_add_f64 v[1:2], v[7:8], -v[1:2]
	buffer_store_dword v3, off, s[0:3], 0 offset:960
	buffer_store_dword v4, off, s[0:3], 0 offset:964
	;; [unrolled: 1-line block ×4, first 2 shown]
	ds_read2_b64 v[1:4], v121 offset0:122 offset1:123
	s_waitcnt lgkmcnt(0)
	v_mul_f64 v[5:6], v[3:4], v[119:120]
	v_fma_f64 v[5:6], v[1:2], v[117:118], -v[5:6]
	v_mul_f64 v[1:2], v[1:2], v[119:120]
	v_fma_f64 v[1:2], v[3:4], v[117:118], v[1:2]
	s_waitcnt vmcnt(10)
	v_add_f64 v[3:4], v[9:10], -v[5:6]
	s_waitcnt vmcnt(8)
	v_add_f64 v[1:2], v[11:12], -v[1:2]
	buffer_store_dword v3, off, s[0:3], 0 offset:976
	buffer_store_dword v4, off, s[0:3], 0 offset:980
	;; [unrolled: 1-line block ×4, first 2 shown]
.LBB123_653:
	s_or_b64 exec, exec, s[6:7]
	v_cmp_eq_u32_e32 vcc, 60, v0
	s_waitcnt vmcnt(0) lgkmcnt(0)
	s_barrier
	s_and_saveexec_b64 s[8:9], vcc
	s_cbranch_execz .LBB123_660
; %bb.654:
	v_mov_b32_e32 v4, s42
	buffer_load_dword v1, v4, s[0:3], 0 offen
	buffer_load_dword v2, v4, s[0:3], 0 offen offset:4
	buffer_load_dword v3, v4, s[0:3], 0 offen offset:8
	s_nop 0
	buffer_load_dword v4, v4, s[0:3], 0 offen offset:12
	v_readlane_b32 s6, v126, 23
	s_waitcnt vmcnt(0)
	ds_write2_b64 v125, v[1:2], v[3:4] offset1:1
	v_mov_b32_e32 v4, s6
	buffer_load_dword v1, v4, s[0:3], 0 offen
	buffer_load_dword v2, v4, s[0:3], 0 offen offset:4
	buffer_load_dword v3, v4, s[0:3], 0 offen offset:8
	s_nop 0
	buffer_load_dword v4, v4, s[0:3], 0 offen offset:12
	s_waitcnt vmcnt(0)
	ds_write2_b64 v121, v[1:2], v[3:4] offset0:122 offset1:123
	ds_read2_b64 v[117:120], v125 offset1:1
	s_waitcnt lgkmcnt(0)
	v_cmp_neq_f64_e32 vcc, 0, v[117:118]
	v_cmp_neq_f64_e64 s[6:7], 0, v[119:120]
	s_or_b64 s[6:7], vcc, s[6:7]
	s_and_b64 exec, exec, s[6:7]
	s_cbranch_execz .LBB123_660
; %bb.655:
	v_cmp_ngt_f64_e64 s[6:7], |v[117:118]|, |v[119:120]|
                                        ; implicit-def: $vgpr1_vgpr2
	s_and_saveexec_b64 s[10:11], s[6:7]
	s_xor_b64 s[6:7], exec, s[10:11]
                                        ; implicit-def: $vgpr3_vgpr4
	s_cbranch_execz .LBB123_657
; %bb.656:
	v_div_scale_f64 v[1:2], s[10:11], v[119:120], v[119:120], v[117:118]
	v_rcp_f64_e32 v[3:4], v[1:2]
	v_fma_f64 v[5:6], -v[1:2], v[3:4], 1.0
	v_fma_f64 v[3:4], v[3:4], v[5:6], v[3:4]
	v_div_scale_f64 v[5:6], vcc, v[117:118], v[119:120], v[117:118]
	v_fma_f64 v[7:8], -v[1:2], v[3:4], 1.0
	v_fma_f64 v[3:4], v[3:4], v[7:8], v[3:4]
	v_mul_f64 v[7:8], v[5:6], v[3:4]
	v_fma_f64 v[1:2], -v[1:2], v[7:8], v[5:6]
	v_div_fmas_f64 v[1:2], v[1:2], v[3:4], v[7:8]
	v_div_fixup_f64 v[1:2], v[1:2], v[119:120], v[117:118]
	v_fma_f64 v[3:4], v[117:118], v[1:2], v[119:120]
                                        ; implicit-def: $vgpr117_vgpr118
	v_div_scale_f64 v[5:6], s[10:11], v[3:4], v[3:4], 1.0
	v_div_scale_f64 v[11:12], vcc, 1.0, v[3:4], 1.0
	v_rcp_f64_e32 v[7:8], v[5:6]
	v_fma_f64 v[9:10], -v[5:6], v[7:8], 1.0
	v_fma_f64 v[7:8], v[7:8], v[9:10], v[7:8]
	v_fma_f64 v[9:10], -v[5:6], v[7:8], 1.0
	v_fma_f64 v[7:8], v[7:8], v[9:10], v[7:8]
	v_mul_f64 v[9:10], v[11:12], v[7:8]
	v_fma_f64 v[5:6], -v[5:6], v[9:10], v[11:12]
	v_div_fmas_f64 v[5:6], v[5:6], v[7:8], v[9:10]
	v_div_fixup_f64 v[3:4], v[5:6], v[3:4], 1.0
	v_mul_f64 v[1:2], v[1:2], v[3:4]
	v_xor_b32_e32 v4, 0x80000000, v4
.LBB123_657:
	s_andn2_saveexec_b64 s[6:7], s[6:7]
	s_cbranch_execz .LBB123_659
; %bb.658:
	v_div_scale_f64 v[1:2], s[10:11], v[117:118], v[117:118], v[119:120]
	v_rcp_f64_e32 v[3:4], v[1:2]
	v_fma_f64 v[5:6], -v[1:2], v[3:4], 1.0
	v_fma_f64 v[3:4], v[3:4], v[5:6], v[3:4]
	v_div_scale_f64 v[5:6], vcc, v[119:120], v[117:118], v[119:120]
	v_fma_f64 v[7:8], -v[1:2], v[3:4], 1.0
	v_fma_f64 v[3:4], v[3:4], v[7:8], v[3:4]
	v_mul_f64 v[7:8], v[5:6], v[3:4]
	v_fma_f64 v[1:2], -v[1:2], v[7:8], v[5:6]
	v_div_fmas_f64 v[1:2], v[1:2], v[3:4], v[7:8]
	v_div_fixup_f64 v[3:4], v[1:2], v[117:118], v[119:120]
	v_fma_f64 v[1:2], v[119:120], v[3:4], v[117:118]
	v_div_scale_f64 v[5:6], s[10:11], v[1:2], v[1:2], 1.0
	v_div_scale_f64 v[11:12], vcc, 1.0, v[1:2], 1.0
	v_rcp_f64_e32 v[7:8], v[5:6]
	v_fma_f64 v[9:10], -v[5:6], v[7:8], 1.0
	v_fma_f64 v[7:8], v[7:8], v[9:10], v[7:8]
	v_fma_f64 v[9:10], -v[5:6], v[7:8], 1.0
	v_fma_f64 v[7:8], v[7:8], v[9:10], v[7:8]
	v_mul_f64 v[9:10], v[11:12], v[7:8]
	v_fma_f64 v[5:6], -v[5:6], v[9:10], v[11:12]
	v_div_fmas_f64 v[5:6], v[5:6], v[7:8], v[9:10]
	v_div_fixup_f64 v[1:2], v[5:6], v[1:2], 1.0
	v_mul_f64 v[3:4], v[3:4], -v[1:2]
.LBB123_659:
	s_or_b64 exec, exec, s[6:7]
	ds_write2_b64 v125, v[1:2], v[3:4] offset1:1
.LBB123_660:
	s_or_b64 exec, exec, s[8:9]
	s_waitcnt lgkmcnt(0)
	s_barrier
	ds_read2_b64 v[117:120], v125 offset1:1
	v_cmp_lt_u32_e32 vcc, 60, v0
	s_and_saveexec_b64 s[6:7], vcc
	s_cbranch_execz .LBB123_662
; %bb.661:
	buffer_load_dword v1, off, s[0:3], 0 offset:960
	buffer_load_dword v2, off, s[0:3], 0 offset:964
	;; [unrolled: 1-line block ×8, first 2 shown]
	s_waitcnt vmcnt(4) lgkmcnt(0)
	v_mul_f64 v[9:10], v[119:120], v[3:4]
	v_mul_f64 v[3:4], v[117:118], v[3:4]
	v_fma_f64 v[9:10], v[117:118], v[1:2], -v[9:10]
	v_fma_f64 v[11:12], v[119:120], v[1:2], v[3:4]
	buffer_store_dword v9, off, s[0:3], 0 offset:960
	buffer_store_dword v10, off, s[0:3], 0 offset:964
	;; [unrolled: 1-line block ×4, first 2 shown]
	ds_read2_b64 v[1:4], v121 offset0:122 offset1:123
	s_waitcnt lgkmcnt(0)
	v_mul_f64 v[121:122], v[3:4], v[11:12]
	v_fma_f64 v[121:122], v[1:2], v[9:10], -v[121:122]
	v_mul_f64 v[1:2], v[1:2], v[11:12]
	v_fma_f64 v[1:2], v[3:4], v[9:10], v[1:2]
	s_waitcnt vmcnt(6)
	v_add_f64 v[3:4], v[5:6], -v[121:122]
	s_waitcnt vmcnt(4)
	v_add_f64 v[1:2], v[7:8], -v[1:2]
	buffer_store_dword v3, off, s[0:3], 0 offset:976
	buffer_store_dword v4, off, s[0:3], 0 offset:980
	;; [unrolled: 1-line block ×4, first 2 shown]
.LBB123_662:
	s_or_b64 exec, exec, s[6:7]
	v_cmp_eq_u32_e32 vcc, 61, v0
	s_waitcnt vmcnt(0) lgkmcnt(0)
	s_barrier
	s_and_saveexec_b64 s[8:9], vcc
	s_cbranch_execz .LBB123_669
; %bb.663:
	v_readlane_b32 s6, v126, 23
	v_mov_b32_e32 v1, s6
	buffer_load_dword v121, v1, s[0:3], 0 offen
	buffer_load_dword v122, v1, s[0:3], 0 offen offset:4
	buffer_load_dword v123, v1, s[0:3], 0 offen offset:8
	;; [unrolled: 1-line block ×3, first 2 shown]
	s_waitcnt vmcnt(2)
	v_cmp_neq_f64_e32 vcc, 0, v[121:122]
	s_waitcnt vmcnt(0)
	v_cmp_neq_f64_e64 s[6:7], 0, v[123:124]
	ds_write2_b64 v125, v[121:122], v[123:124] offset1:1
	s_or_b64 s[6:7], vcc, s[6:7]
	s_and_b64 exec, exec, s[6:7]
	s_cbranch_execz .LBB123_669
; %bb.664:
	v_cmp_ngt_f64_e64 s[6:7], |v[121:122]|, |v[123:124]|
                                        ; implicit-def: $vgpr1_vgpr2
	s_and_saveexec_b64 s[10:11], s[6:7]
	s_xor_b64 s[6:7], exec, s[10:11]
                                        ; implicit-def: $vgpr3_vgpr4
	s_cbranch_execz .LBB123_666
; %bb.665:
	v_div_scale_f64 v[1:2], s[10:11], v[123:124], v[123:124], v[121:122]
	v_rcp_f64_e32 v[3:4], v[1:2]
	v_fma_f64 v[5:6], -v[1:2], v[3:4], 1.0
	v_fma_f64 v[3:4], v[3:4], v[5:6], v[3:4]
	v_div_scale_f64 v[5:6], vcc, v[121:122], v[123:124], v[121:122]
	v_fma_f64 v[7:8], -v[1:2], v[3:4], 1.0
	v_fma_f64 v[3:4], v[3:4], v[7:8], v[3:4]
	v_mul_f64 v[7:8], v[5:6], v[3:4]
	v_fma_f64 v[1:2], -v[1:2], v[7:8], v[5:6]
	v_div_fmas_f64 v[1:2], v[1:2], v[3:4], v[7:8]
	v_div_fixup_f64 v[1:2], v[1:2], v[123:124], v[121:122]
	v_fma_f64 v[3:4], v[121:122], v[1:2], v[123:124]
                                        ; implicit-def: $vgpr121_vgpr122
                                        ; implicit-def: $vgpr123_vgpr124
	v_div_scale_f64 v[5:6], s[10:11], v[3:4], v[3:4], 1.0
	v_div_scale_f64 v[11:12], vcc, 1.0, v[3:4], 1.0
	v_rcp_f64_e32 v[7:8], v[5:6]
	v_fma_f64 v[9:10], -v[5:6], v[7:8], 1.0
	v_fma_f64 v[7:8], v[7:8], v[9:10], v[7:8]
	v_fma_f64 v[9:10], -v[5:6], v[7:8], 1.0
	v_fma_f64 v[7:8], v[7:8], v[9:10], v[7:8]
	v_mul_f64 v[9:10], v[11:12], v[7:8]
	v_fma_f64 v[5:6], -v[5:6], v[9:10], v[11:12]
	v_div_fmas_f64 v[5:6], v[5:6], v[7:8], v[9:10]
	v_div_fixup_f64 v[3:4], v[5:6], v[3:4], 1.0
	v_mul_f64 v[1:2], v[1:2], v[3:4]
	v_xor_b32_e32 v4, 0x80000000, v4
.LBB123_666:
	s_andn2_saveexec_b64 s[6:7], s[6:7]
	s_cbranch_execz .LBB123_668
; %bb.667:
	v_div_scale_f64 v[1:2], s[10:11], v[121:122], v[121:122], v[123:124]
	v_rcp_f64_e32 v[3:4], v[1:2]
	v_fma_f64 v[5:6], -v[1:2], v[3:4], 1.0
	v_fma_f64 v[3:4], v[3:4], v[5:6], v[3:4]
	v_div_scale_f64 v[5:6], vcc, v[123:124], v[121:122], v[123:124]
	v_fma_f64 v[7:8], -v[1:2], v[3:4], 1.0
	v_fma_f64 v[3:4], v[3:4], v[7:8], v[3:4]
	v_mul_f64 v[7:8], v[5:6], v[3:4]
	v_fma_f64 v[1:2], -v[1:2], v[7:8], v[5:6]
	v_div_fmas_f64 v[1:2], v[1:2], v[3:4], v[7:8]
	v_div_fixup_f64 v[3:4], v[1:2], v[121:122], v[123:124]
	v_fma_f64 v[1:2], v[123:124], v[3:4], v[121:122]
	v_div_scale_f64 v[5:6], s[10:11], v[1:2], v[1:2], 1.0
	v_div_scale_f64 v[11:12], vcc, 1.0, v[1:2], 1.0
	v_rcp_f64_e32 v[7:8], v[5:6]
	v_fma_f64 v[9:10], -v[5:6], v[7:8], 1.0
	v_fma_f64 v[7:8], v[7:8], v[9:10], v[7:8]
	v_fma_f64 v[9:10], -v[5:6], v[7:8], 1.0
	v_fma_f64 v[7:8], v[7:8], v[9:10], v[7:8]
	v_mul_f64 v[9:10], v[11:12], v[7:8]
	v_fma_f64 v[5:6], -v[5:6], v[9:10], v[11:12]
	v_div_fmas_f64 v[5:6], v[5:6], v[7:8], v[9:10]
	v_div_fixup_f64 v[1:2], v[5:6], v[1:2], 1.0
	v_mul_f64 v[3:4], v[3:4], -v[1:2]
.LBB123_668:
	s_or_b64 exec, exec, s[6:7]
	ds_write2_b64 v125, v[1:2], v[3:4] offset1:1
.LBB123_669:
	s_or_b64 exec, exec, s[8:9]
	s_waitcnt lgkmcnt(0)
	s_barrier
	ds_read2_b64 v[121:124], v125 offset1:1
	v_cmp_lt_u32_e32 vcc, 61, v0
	s_and_saveexec_b64 s[6:7], vcc
	s_cbranch_execz .LBB123_671
; %bb.670:
	buffer_load_dword v0, off, s[0:3], 0 offset:984
	buffer_load_dword v1, off, s[0:3], 0 offset:988
	;; [unrolled: 1-line block ×4, first 2 shown]
	s_waitcnt vmcnt(2) lgkmcnt(0)
	v_mul_f64 v[4:5], v[123:124], v[0:1]
	v_mul_f64 v[0:1], v[121:122], v[0:1]
	s_waitcnt vmcnt(0)
	v_fma_f64 v[4:5], v[121:122], v[2:3], -v[4:5]
	v_fma_f64 v[0:1], v[123:124], v[2:3], v[0:1]
	buffer_store_dword v4, off, s[0:3], 0 offset:976
	buffer_store_dword v5, off, s[0:3], 0 offset:980
	;; [unrolled: 1-line block ×4, first 2 shown]
.LBB123_671:
	s_or_b64 exec, exec, s[6:7]
	s_waitcnt vmcnt(0) lgkmcnt(0)
	s_barrier
	s_and_saveexec_b64 s[6:7], s[4:5]
	s_cbranch_execz .LBB123_674
; %bb.672:
	buffer_load_dword v0, off, s[0:3], 0 offset:1944 ; 4-byte Folded Reload
	buffer_load_dword v1, off, s[0:3], 0 offset:1948 ; 4-byte Folded Reload
	;; [unrolled: 1-line block ×4, first 2 shown]
                                        ; implicit-def: $vgpr127 : SGPR spill to VGPR lane
	s_mov_b32 s21, s78
	s_mov_b64 s[78:79], s[82:83]
	s_mov_b32 s35, s81
	s_mov_b32 s37, s85
	;; [unrolled: 1-line block ×12, first 2 shown]
	s_waitcnt vmcnt(2)
	v_cmp_eq_f64_e64 s[4:5], 0, v[0:1]
	v_writelane_b32 v126, s4, 24
	v_writelane_b32 v126, s5, 25
	s_waitcnt vmcnt(0)
	v_cmp_eq_f64_e64 s[4:5], 0, v[2:3]
	buffer_load_dword v0, off, s[0:3], 0 offset:1488 ; 4-byte Folded Reload
	buffer_load_dword v1, off, s[0:3], 0 offset:1492 ; 4-byte Folded Reload
	;; [unrolled: 1-line block ×4, first 2 shown]
	v_writelane_b32 v126, s4, 26
	v_writelane_b32 v126, s5, 27
	s_waitcnt vmcnt(2)
	v_cmp_neq_f64_e64 s[4:5], 0, v[0:1]
	v_writelane_b32 v126, s4, 28
	v_writelane_b32 v126, s5, 29
	s_waitcnt vmcnt(0)
	v_cmp_neq_f64_e64 s[4:5], 0, v[2:3]
	buffer_load_dword v0, off, s[0:3], 0 offset:1960 ; 4-byte Folded Reload
	buffer_load_dword v1, off, s[0:3], 0 offset:1964 ; 4-byte Folded Reload
	buffer_load_dword v2, off, s[0:3], 0 offset:1968 ; 4-byte Folded Reload
	buffer_load_dword v3, off, s[0:3], 0 offset:1972 ; 4-byte Folded Reload
	v_writelane_b32 v126, s4, 30
	v_writelane_b32 v126, s5, 31
	s_waitcnt vmcnt(2)
	v_cmp_eq_f64_e64 s[4:5], 0, v[0:1]
	v_writelane_b32 v126, s4, 32
	v_writelane_b32 v126, s5, 33
	s_waitcnt vmcnt(0)
	v_cmp_eq_f64_e64 s[4:5], 0, v[2:3]
	buffer_load_dword v0, off, s[0:3], 0 offset:1976 ; 4-byte Folded Reload
	buffer_load_dword v1, off, s[0:3], 0 offset:1980 ; 4-byte Folded Reload
	buffer_load_dword v2, off, s[0:3], 0 offset:1984 ; 4-byte Folded Reload
	buffer_load_dword v3, off, s[0:3], 0 offset:1988 ; 4-byte Folded Reload
	v_writelane_b32 v126, s4, 34
	v_writelane_b32 v126, s5, 35
	s_waitcnt vmcnt(2)
	v_cmp_eq_f64_e64 s[4:5], 0, v[0:1]
	v_writelane_b32 v126, s4, 36
	v_writelane_b32 v126, s5, 37
	s_waitcnt vmcnt(0)
	v_cmp_eq_f64_e64 s[4:5], 0, v[2:3]
	;; [unrolled: 12-line block ×15, first 2 shown]
	buffer_load_dword v0, off, s[0:3], 0 offset:1712 ; 4-byte Folded Reload
	buffer_load_dword v1, off, s[0:3], 0 offset:1716 ; 4-byte Folded Reload
	;; [unrolled: 1-line block ×4, first 2 shown]
	v_writelane_b32 v127, s74, 26
	v_writelane_b32 v127, s75, 27
	;; [unrolled: 1-line block ×4, first 2 shown]
	s_waitcnt vmcnt(2)
	v_cmp_eq_f64_e64 s[4:5], 0, v[0:1]
	v_writelane_b32 v127, s4, 30
	v_writelane_b32 v127, s5, 31
	s_waitcnt vmcnt(0)
	v_cmp_eq_f64_e64 s[4:5], 0, v[2:3]
	buffer_load_dword v0, off, s[0:3], 0 offset:1728 ; 4-byte Folded Reload
	buffer_load_dword v1, off, s[0:3], 0 offset:1732 ; 4-byte Folded Reload
	;; [unrolled: 1-line block ×4, first 2 shown]
	v_writelane_b32 v127, s4, 32
	v_writelane_b32 v127, s5, 33
	;; [unrolled: 1-line block ×5, first 2 shown]
	s_waitcnt vmcnt(2)
	v_cmp_eq_f64_e64 s[80:81], 0, v[0:1]
	s_waitcnt vmcnt(0)
	v_cmp_eq_f64_e64 s[82:83], 0, v[2:3]
	buffer_load_dword v0, off, s[0:3], 0 offset:1744 ; 4-byte Folded Reload
	buffer_load_dword v1, off, s[0:3], 0 offset:1748 ; 4-byte Folded Reload
	buffer_load_dword v2, off, s[0:3], 0 offset:1752 ; 4-byte Folded Reload
	buffer_load_dword v3, off, s[0:3], 0 offset:1756 ; 4-byte Folded Reload
	s_waitcnt vmcnt(2)
	v_cmp_eq_f64_e64 s[84:85], 0, v[0:1]
	s_waitcnt vmcnt(0)
	v_cmp_eq_f64_e64 s[86:87], 0, v[2:3]
	buffer_load_dword v0, off, s[0:3], 0 offset:1760 ; 4-byte Folded Reload
	buffer_load_dword v1, off, s[0:3], 0 offset:1764 ; 4-byte Folded Reload
	buffer_load_dword v2, off, s[0:3], 0 offset:1768 ; 4-byte Folded Reload
	buffer_load_dword v3, off, s[0:3], 0 offset:1772 ; 4-byte Folded Reload
	;; [unrolled: 8-line block ×13, first 2 shown]
	s_and_b64 s[8:9], s[8:9], s[6:7]
	s_waitcnt vmcnt(2)
	v_cmp_eq_f64_e64 s[4:5], 0, v[0:1]
	buffer_load_dword v0, off, s[0:3], 0 offset:1936 ; 4-byte Folded Reload
	buffer_load_dword v1, off, s[0:3], 0 offset:1940 ; 4-byte Folded Reload
	v_writelane_b32 v127, s4, 37
	v_writelane_b32 v127, s5, 38
	s_waitcnt vmcnt(2)
	v_cmp_eq_f64_e64 s[4:5], 0, v[2:3]
	v_mov_b32_e32 v2, s79
	buffer_load_dword v3, off, s[0:3], 0 offset:1904 ; 4-byte Folded Reload
	buffer_load_dword v4, off, s[0:3], 0 offset:1908 ; 4-byte Folded Reload
	;; [unrolled: 1-line block ×4, first 2 shown]
	v_writelane_b32 v127, s4, 39
	v_writelane_b32 v127, s5, 40
	v_readlane_b32 s4, v126, 28
	v_readlane_b32 s5, v126, 29
	s_waitcnt vmcnt(4)
	v_lshlrev_b64 v[0:1], 2, v[0:1]
	v_add_co_u32_e32 v0, vcc, s78, v0
	v_readlane_b32 s78, v126, 30
	v_addc_co_u32_e32 v1, vcc, v2, v1, vcc
	v_readlane_b32 s79, v126, 31
	s_or_b64 vcc, s[4:5], s[78:79]
	v_readlane_b32 s4, v126, 24
	v_readlane_b32 s78, v126, 26
	;; [unrolled: 1-line block ×4, first 2 shown]
	s_and_b64 s[4:5], s[4:5], s[78:79]
	v_cndmask_b32_e64 v2, 0, 1, s[4:5]
	s_or_b64 vcc, vcc, s[4:5]
	v_readlane_b32 s4, v126, 32
	v_readlane_b32 s78, v126, 34
	v_cndmask_b32_e32 v2, 2, v2, vcc
	v_readlane_b32 s5, v126, 33
	v_readlane_b32 s79, v126, 35
	s_and_b64 s[4:5], s[4:5], s[78:79]
	v_cmp_eq_u32_e32 vcc, 0, v2
	s_and_b64 s[4:5], s[4:5], vcc
	v_cndmask_b32_e64 v2, v2, 3, s[4:5]
	v_readlane_b32 s4, v126, 36
	v_readlane_b32 s78, v126, 38
	v_readlane_b32 s5, v126, 37
	v_readlane_b32 s79, v126, 39
	s_and_b64 s[4:5], s[4:5], s[78:79]
	v_cmp_eq_u32_e32 vcc, 0, v2
	s_and_b64 s[4:5], s[4:5], vcc
	v_cndmask_b32_e64 v2, v2, 4, s[4:5]
	v_readlane_b32 s4, v126, 40
	v_readlane_b32 s78, v126, 42
	;; [unrolled: 8-line block ×14, first 2 shown]
	v_readlane_b32 s5, v127, 25
	v_readlane_b32 s79, v127, 29
	s_and_b64 s[4:5], s[4:5], s[78:79]
	v_cmp_eq_u32_e32 vcc, 0, v2
	s_and_b64 s[4:5], s[4:5], vcc
	v_cndmask_b32_e64 v2, v2, 17, s[4:5]
	v_readlane_b32 s4, v127, 30
	v_readlane_b32 vcc_lo, v127, 32
	v_readlane_b32 s5, v127, 31
	v_readlane_b32 vcc_hi, v127, 33
	s_and_b64 s[4:5], s[4:5], vcc
	v_cmp_eq_u32_e32 vcc, 0, v2
	s_and_b64 s[4:5], s[4:5], vcc
	v_cndmask_b32_e64 v2, v2, 18, s[4:5]
	s_and_b64 s[4:5], s[80:81], s[82:83]
	v_cmp_eq_u32_e32 vcc, 0, v2
	s_and_b64 s[4:5], s[4:5], vcc
	v_cndmask_b32_e64 v2, v2, 19, s[4:5]
	s_and_b64 s[4:5], s[84:85], s[86:87]
	;; [unrolled: 4-line block ×12, first 2 shown]
	v_cmp_eq_u32_e32 vcc, 0, v2
	s_and_b64 s[4:5], s[4:5], vcc
	s_waitcnt vmcnt(2)
	v_cmp_eq_f64_e64 s[6:7], 0, v[3:4]
	s_waitcnt vmcnt(0)
	v_cmp_eq_f64_e32 vcc, 0, v[5:6]
	buffer_load_dword v3, off, s[0:3], 0 offset:1920 ; 4-byte Folded Reload
	buffer_load_dword v4, off, s[0:3], 0 offset:1924 ; 4-byte Folded Reload
	;; [unrolled: 1-line block ×4, first 2 shown]
	v_cndmask_b32_e64 v2, v2, 30, s[4:5]
	v_cmp_eq_u32_e64 s[4:5], 0, v2
	s_and_b64 s[4:5], s[8:9], s[4:5]
	v_cndmask_b32_e64 v2, v2, 31, s[4:5]
	v_readlane_b32 s4, v127, 37
	v_readlane_b32 s8, v127, 39
	;; [unrolled: 1-line block ×4, first 2 shown]
	s_and_b64 s[12:13], s[4:5], s[8:9]
	v_cmp_eq_u32_e64 s[10:11], 0, v2
	s_and_b64 s[10:11], s[12:13], s[10:11]
	v_cndmask_b32_e64 v2, v2, 32, s[10:11]
	s_and_b64 s[12:13], s[6:7], vcc
	v_cmp_eq_f64_e64 s[6:7], 0, v[13:14]
	v_cmp_eq_f64_e64 s[10:11], 0, v[15:16]
	v_cmp_eq_u32_e32 vcc, 0, v2
	s_and_b64 s[12:13], s[12:13], vcc
	v_cndmask_b32_e64 v2, v2, 33, s[12:13]
	v_cmp_eq_u32_e32 vcc, 0, v2
	v_readlane_b32 s78, v127, 26
	v_readlane_b32 s79, v127, 27
	s_mov_b32 s78, s21
	s_mov_b32 s81, s35
	;; [unrolled: 1-line block ×5, first 2 shown]
	v_readlane_b32 s84, v127, 34
	s_mov_b32 s91, s73
	s_mov_b32 s73, s17
	;; [unrolled: 1-line block ×8, first 2 shown]
	s_waitcnt vmcnt(2)
	v_cmp_eq_f64_e64 s[4:5], 0, v[3:4]
	global_load_dword v3, v[0:1], off
	s_waitcnt vmcnt(1)
	v_cmp_eq_f64_e64 s[8:9], 0, v[5:6]
	s_and_b64 s[12:13], s[4:5], s[8:9]
	v_cmp_eq_f64_e64 s[4:5], 0, v[17:18]
	v_cmp_eq_f64_e64 s[8:9], 0, v[19:20]
	s_and_b64 s[12:13], s[12:13], vcc
	v_cndmask_b32_e64 v2, v2, 34, s[12:13]
	s_and_b64 s[12:13], s[6:7], s[10:11]
	v_cmp_eq_f64_e64 s[6:7], 0, v[21:22]
	v_cmp_eq_f64_e64 s[10:11], 0, v[23:24]
	v_cmp_eq_u32_e32 vcc, 0, v2
	s_and_b64 s[12:13], s[12:13], vcc
	v_cndmask_b32_e64 v2, v2, 35, s[12:13]
	s_and_b64 s[12:13], s[4:5], s[8:9]
	v_cmp_eq_f64_e64 s[4:5], 0, v[25:26]
	v_cmp_eq_f64_e64 s[8:9], 0, v[27:28]
	v_cmp_eq_u32_e32 vcc, 0, v2
	;; [unrolled: 6-line block ×12, first 2 shown]
	s_and_b64 s[12:13], s[12:13], vcc
	v_cndmask_b32_e64 v2, v2, 46, s[12:13]
	s_and_b64 s[12:13], s[6:7], s[10:11]
	v_cmp_eq_u32_e32 vcc, 0, v2
	s_and_b64 s[12:13], s[12:13], vcc
	v_cmp_eq_f64_e64 s[6:7], 0, v[69:70]
	v_cmp_eq_f64_e64 s[10:11], 0, v[71:72]
	v_cndmask_b32_e64 v2, v2, 47, s[12:13]
	s_and_b64 s[4:5], s[4:5], s[8:9]
	v_cmp_eq_u32_e32 vcc, 0, v2
	s_and_b64 s[4:5], s[4:5], vcc
	v_cndmask_b32_e64 v2, v2, 48, s[4:5]
	v_cmp_eq_f64_e32 vcc, 0, v[73:74]
	v_cmp_eq_f64_e64 s[4:5], 0, v[75:76]
	s_and_b64 s[12:13], s[6:7], s[10:11]
	v_cmp_eq_f64_e64 s[8:9], 0, v[77:78]
	v_cmp_eq_f64_e64 s[10:11], 0, v[79:80]
	v_cmp_eq_u32_e64 s[6:7], 0, v2
	s_and_b64 s[6:7], s[12:13], s[6:7]
	v_cndmask_b32_e64 v2, v2, 49, s[6:7]
	v_cmp_eq_f64_e64 s[6:7], 0, v[83:84]
	s_and_b64 s[12:13], vcc, s[4:5]
	v_cmp_eq_f64_e64 s[4:5], 0, v[81:82]
	v_cmp_eq_u32_e32 vcc, 0, v2
	s_and_b64 s[12:13], s[12:13], vcc
	v_cndmask_b32_e64 v2, v2, 50, s[12:13]
	s_and_b64 s[12:13], s[8:9], s[10:11]
	v_cmp_eq_f64_e64 s[8:9], 0, v[85:86]
	v_cmp_eq_f64_e64 s[10:11], 0, v[87:88]
	v_cmp_eq_u32_e32 vcc, 0, v2
	s_and_b64 s[12:13], s[12:13], vcc
	v_cndmask_b32_e64 v2, v2, 51, s[12:13]
	s_and_b64 s[12:13], s[4:5], s[6:7]
	v_cmp_eq_f64_e64 s[4:5], 0, v[89:90]
	;; [unrolled: 6-line block ×9, first 2 shown]
	v_cmp_eq_f64_e64 s[10:11], 0, v[119:120]
	v_cmp_eq_u32_e32 vcc, 0, v2
	s_and_b64 s[12:13], s[12:13], vcc
	v_cndmask_b32_e64 v2, v2, 59, s[12:13]
	s_and_b64 s[12:13], s[4:5], s[6:7]
	v_cmp_eq_f64_e32 vcc, 0, v[121:122]
	v_cmp_eq_f64_e64 s[4:5], 0, v[123:124]
	v_cmp_eq_u32_e64 s[6:7], 0, v2
	s_and_b64 s[6:7], s[12:13], s[6:7]
	v_cndmask_b32_e64 v2, v2, 60, s[6:7]
	s_and_b64 s[8:9], s[8:9], s[10:11]
	v_cmp_eq_u32_e64 s[6:7], 0, v2
	s_and_b64 s[6:7], s[8:9], s[6:7]
	v_cndmask_b32_e64 v2, v2, 61, s[6:7]
	s_and_b64 s[4:5], vcc, s[4:5]
	v_cmp_eq_u32_e32 vcc, 0, v2
	s_and_b64 s[4:5], s[4:5], vcc
	v_cndmask_b32_e64 v2, v2, 62, s[4:5]
	v_readlane_b32 s6, v127, 35
	s_waitcnt vmcnt(0)
	v_cmp_eq_u32_e32 vcc, 0, v3
	v_cmp_ne_u32_e64 s[4:5], 0, v2
	v_readlane_b32 s7, v127, 36
	s_and_b64 s[4:5], vcc, s[4:5]
	s_and_b64 exec, exec, s[4:5]
	s_cbranch_execz .LBB123_674
; %bb.673:
	v_add_u32_e32 v2, s79, v2
	global_store_dword v[0:1], v2, off
.LBB123_674:
	s_or_b64 exec, exec, s[6:7]
	buffer_load_dword v0, off, s[0:3], 0
	buffer_load_dword v1, off, s[0:3], 0 offset:4
	buffer_load_dword v2, off, s[0:3], 0 offset:8
	;; [unrolled: 1-line block ×3, first 2 shown]
	buffer_load_dword v4, off, s[0:3], 0 offset:992 ; 4-byte Folded Reload
	buffer_load_dword v5, off, s[0:3], 0 offset:996 ; 4-byte Folded Reload
	v_readlane_b32 s4, v126, 0
	s_waitcnt vmcnt(0)
	global_store_dwordx4 v[4:5], v[0:3], off
	s_nop 0
	v_mov_b32_e32 v3, s70
	buffer_load_dword v0, v3, s[0:3], 0 offen
	buffer_load_dword v1, v3, s[0:3], 0 offen offset:4
	buffer_load_dword v2, v3, s[0:3], 0 offen offset:8
	s_nop 0
	buffer_load_dword v3, v3, s[0:3], 0 offen offset:12
	s_nop 0
	buffer_load_dword v4, off, s[0:3], 0 offset:1000 ; 4-byte Folded Reload
	buffer_load_dword v5, off, s[0:3], 0 offset:1004 ; 4-byte Folded Reload
	s_waitcnt vmcnt(0)
	global_store_dwordx4 v[4:5], v[0:3], off
	s_nop 0
	v_mov_b32_e32 v3, s72
	buffer_load_dword v0, v3, s[0:3], 0 offen
	buffer_load_dword v1, v3, s[0:3], 0 offen offset:4
	buffer_load_dword v2, v3, s[0:3], 0 offen offset:8
	s_nop 0
	buffer_load_dword v3, v3, s[0:3], 0 offen offset:12
	s_nop 0
	buffer_load_dword v4, off, s[0:3], 0 offset:1008 ; 4-byte Folded Reload
	buffer_load_dword v5, off, s[0:3], 0 offset:1012 ; 4-byte Folded Reload
	s_waitcnt vmcnt(0)
	global_store_dwordx4 v[4:5], v[0:3], off
	s_nop 0
	v_mov_b32_e32 v3, s94
	buffer_load_dword v0, v3, s[0:3], 0 offen
	buffer_load_dword v1, v3, s[0:3], 0 offen offset:4
	buffer_load_dword v2, v3, s[0:3], 0 offen offset:8
	s_nop 0
	buffer_load_dword v3, v3, s[0:3], 0 offen offset:12
	s_nop 0
	buffer_load_dword v4, off, s[0:3], 0 offset:1016 ; 4-byte Folded Reload
	buffer_load_dword v5, off, s[0:3], 0 offset:1020 ; 4-byte Folded Reload
	s_waitcnt vmcnt(0)
	global_store_dwordx4 v[4:5], v[0:3], off
	s_nop 0
	v_mov_b32_e32 v3, s93
	buffer_load_dword v0, v3, s[0:3], 0 offen
	buffer_load_dword v1, v3, s[0:3], 0 offen offset:4
	buffer_load_dword v2, v3, s[0:3], 0 offen offset:8
	s_nop 0
	buffer_load_dword v3, v3, s[0:3], 0 offen offset:12
	s_nop 0
	buffer_load_dword v4, off, s[0:3], 0 offset:1024 ; 4-byte Folded Reload
	buffer_load_dword v5, off, s[0:3], 0 offset:1028 ; 4-byte Folded Reload
	s_waitcnt vmcnt(0)
	global_store_dwordx4 v[4:5], v[0:3], off
	s_nop 0
	v_mov_b32_e32 v3, s78
	buffer_load_dword v0, v3, s[0:3], 0 offen
	buffer_load_dword v1, v3, s[0:3], 0 offen offset:4
	buffer_load_dword v2, v3, s[0:3], 0 offen offset:8
	s_nop 0
	buffer_load_dword v3, v3, s[0:3], 0 offen offset:12
	s_nop 0
	buffer_load_dword v4, off, s[0:3], 0 offset:1032 ; 4-byte Folded Reload
	buffer_load_dword v5, off, s[0:3], 0 offset:1036 ; 4-byte Folded Reload
	s_waitcnt vmcnt(0)
	global_store_dwordx4 v[4:5], v[0:3], off
	s_nop 0
	v_mov_b32_e32 v3, s77
	buffer_load_dword v0, v3, s[0:3], 0 offen
	buffer_load_dword v1, v3, s[0:3], 0 offen offset:4
	buffer_load_dword v2, v3, s[0:3], 0 offen offset:8
	s_nop 0
	buffer_load_dword v3, v3, s[0:3], 0 offen offset:12
	s_nop 0
	buffer_load_dword v4, off, s[0:3], 0 offset:1040 ; 4-byte Folded Reload
	buffer_load_dword v5, off, s[0:3], 0 offset:1044 ; 4-byte Folded Reload
	s_waitcnt vmcnt(0)
	global_store_dwordx4 v[4:5], v[0:3], off
	s_nop 0
	v_mov_b32_e32 v3, s92
	buffer_load_dword v0, v3, s[0:3], 0 offen
	buffer_load_dword v1, v3, s[0:3], 0 offen offset:4
	buffer_load_dword v2, v3, s[0:3], 0 offen offset:8
	s_nop 0
	buffer_load_dword v3, v3, s[0:3], 0 offen offset:12
	s_nop 0
	buffer_load_dword v4, off, s[0:3], 0 offset:1048 ; 4-byte Folded Reload
	buffer_load_dword v5, off, s[0:3], 0 offset:1052 ; 4-byte Folded Reload
	s_waitcnt vmcnt(0)
	global_store_dwordx4 v[4:5], v[0:3], off
	s_nop 0
	v_mov_b32_e32 v3, s73
	buffer_load_dword v0, v3, s[0:3], 0 offen
	buffer_load_dword v1, v3, s[0:3], 0 offen offset:4
	buffer_load_dword v2, v3, s[0:3], 0 offen offset:8
	s_nop 0
	buffer_load_dword v3, v3, s[0:3], 0 offen offset:12
	s_nop 0
	buffer_load_dword v4, off, s[0:3], 0 offset:1056 ; 4-byte Folded Reload
	buffer_load_dword v5, off, s[0:3], 0 offset:1060 ; 4-byte Folded Reload
	s_waitcnt vmcnt(0)
	global_store_dwordx4 v[4:5], v[0:3], off
	s_nop 0
	v_mov_b32_e32 v3, s91
	buffer_load_dword v0, v3, s[0:3], 0 offen
	buffer_load_dword v1, v3, s[0:3], 0 offen offset:4
	buffer_load_dword v2, v3, s[0:3], 0 offen offset:8
	s_nop 0
	buffer_load_dword v3, v3, s[0:3], 0 offen offset:12
	s_nop 0
	buffer_load_dword v4, off, s[0:3], 0 offset:1064 ; 4-byte Folded Reload
	buffer_load_dword v5, off, s[0:3], 0 offset:1068 ; 4-byte Folded Reload
	s_waitcnt vmcnt(0)
	global_store_dwordx4 v[4:5], v[0:3], off
	s_nop 0
	v_mov_b32_e32 v3, s17
	buffer_load_dword v0, v3, s[0:3], 0 offen
	buffer_load_dword v1, v3, s[0:3], 0 offen offset:4
	buffer_load_dword v2, v3, s[0:3], 0 offen offset:8
	s_nop 0
	buffer_load_dword v3, v3, s[0:3], 0 offen offset:12
	s_nop 0
	buffer_load_dword v4, off, s[0:3], 0 offset:1072 ; 4-byte Folded Reload
	buffer_load_dword v5, off, s[0:3], 0 offset:1076 ; 4-byte Folded Reload
	s_waitcnt vmcnt(0)
	global_store_dwordx4 v[4:5], v[0:3], off
	s_nop 0
	v_mov_b32_e32 v3, s90
	buffer_load_dword v0, v3, s[0:3], 0 offen
	buffer_load_dword v1, v3, s[0:3], 0 offen offset:4
	buffer_load_dword v2, v3, s[0:3], 0 offen offset:8
	s_nop 0
	buffer_load_dword v3, v3, s[0:3], 0 offen offset:12
	s_nop 0
	buffer_load_dword v4, off, s[0:3], 0 offset:1080 ; 4-byte Folded Reload
	buffer_load_dword v5, off, s[0:3], 0 offset:1084 ; 4-byte Folded Reload
	s_waitcnt vmcnt(0)
	global_store_dwordx4 v[4:5], v[0:3], off
	s_nop 0
	v_mov_b32_e32 v3, s19
	buffer_load_dword v0, v3, s[0:3], 0 offen
	buffer_load_dword v1, v3, s[0:3], 0 offen offset:4
	buffer_load_dword v2, v3, s[0:3], 0 offen offset:8
	s_nop 0
	buffer_load_dword v3, v3, s[0:3], 0 offen offset:12
	s_nop 0
	buffer_load_dword v4, off, s[0:3], 0 offset:1088 ; 4-byte Folded Reload
	buffer_load_dword v5, off, s[0:3], 0 offset:1092 ; 4-byte Folded Reload
	s_waitcnt vmcnt(0)
	global_store_dwordx4 v[4:5], v[0:3], off
	s_nop 0
	v_mov_b32_e32 v3, s89
	buffer_load_dword v0, v3, s[0:3], 0 offen
	buffer_load_dword v1, v3, s[0:3], 0 offen offset:4
	buffer_load_dword v2, v3, s[0:3], 0 offen offset:8
	s_nop 0
	buffer_load_dword v3, v3, s[0:3], 0 offen offset:12
	s_nop 0
	buffer_load_dword v4, off, s[0:3], 0 offset:1104 ; 4-byte Folded Reload
	buffer_load_dword v5, off, s[0:3], 0 offset:1108 ; 4-byte Folded Reload
	s_waitcnt vmcnt(0)
	global_store_dwordx4 v[4:5], v[0:3], off
	s_nop 0
	v_mov_b32_e32 v3, s88
	buffer_load_dword v0, v3, s[0:3], 0 offen
	buffer_load_dword v1, v3, s[0:3], 0 offen offset:4
	buffer_load_dword v2, v3, s[0:3], 0 offen offset:8
	s_nop 0
	buffer_load_dword v3, v3, s[0:3], 0 offen offset:12
	s_nop 0
	buffer_load_dword v4, off, s[0:3], 0 offset:1128 ; 4-byte Folded Reload
	buffer_load_dword v5, off, s[0:3], 0 offset:1132 ; 4-byte Folded Reload
	s_waitcnt vmcnt(0)
	global_store_dwordx4 v[4:5], v[0:3], off
	s_nop 0
	v_mov_b32_e32 v3, s4
	buffer_load_dword v0, v3, s[0:3], 0 offen
	buffer_load_dword v1, v3, s[0:3], 0 offen offset:4
	buffer_load_dword v2, v3, s[0:3], 0 offen offset:8
	s_nop 0
	buffer_load_dword v3, v3, s[0:3], 0 offen offset:12
	s_nop 0
	buffer_load_dword v4, off, s[0:3], 0 offset:1096 ; 4-byte Folded Reload
	buffer_load_dword v5, off, s[0:3], 0 offset:1100 ; 4-byte Folded Reload
	v_readlane_b32 s4, v126, 1
	s_waitcnt vmcnt(0)
	global_store_dwordx4 v[4:5], v[0:3], off
	s_nop 0
	v_mov_b32_e32 v3, s4
	buffer_load_dword v0, v3, s[0:3], 0 offen
	buffer_load_dword v1, v3, s[0:3], 0 offen offset:4
	buffer_load_dword v2, v3, s[0:3], 0 offen offset:8
	s_nop 0
	buffer_load_dword v3, v3, s[0:3], 0 offen offset:12
	s_nop 0
	buffer_load_dword v4, off, s[0:3], 0 offset:1112 ; 4-byte Folded Reload
	buffer_load_dword v5, off, s[0:3], 0 offset:1116 ; 4-byte Folded Reload
	v_readlane_b32 s4, v126, 2
	s_waitcnt vmcnt(0)
	global_store_dwordx4 v[4:5], v[0:3], off
	s_nop 0
	v_mov_b32_e32 v3, s87
	buffer_load_dword v0, v3, s[0:3], 0 offen
	buffer_load_dword v1, v3, s[0:3], 0 offen offset:4
	buffer_load_dword v2, v3, s[0:3], 0 offen offset:8
	s_nop 0
	buffer_load_dword v3, v3, s[0:3], 0 offen offset:12
	s_nop 0
	buffer_load_dword v4, off, s[0:3], 0 offset:1120 ; 4-byte Folded Reload
	buffer_load_dword v5, off, s[0:3], 0 offset:1124 ; 4-byte Folded Reload
	s_waitcnt vmcnt(0)
	global_store_dwordx4 v[4:5], v[0:3], off
	s_nop 0
	v_mov_b32_e32 v3, s86
	buffer_load_dword v0, v3, s[0:3], 0 offen
	buffer_load_dword v1, v3, s[0:3], 0 offen offset:4
	buffer_load_dword v2, v3, s[0:3], 0 offen offset:8
	s_nop 0
	buffer_load_dword v3, v3, s[0:3], 0 offen offset:12
	s_nop 0
	buffer_load_dword v4, off, s[0:3], 0 offset:1136 ; 4-byte Folded Reload
	buffer_load_dword v5, off, s[0:3], 0 offset:1140 ; 4-byte Folded Reload
	;; [unrolled: 12-line block ×6, first 2 shown]
	v_readlane_b32 s4, v126, 3
	s_waitcnt vmcnt(0)
	global_store_dwordx4 v[4:5], v[0:3], off
	s_nop 0
	v_mov_b32_e32 v3, s4
	buffer_load_dword v0, v3, s[0:3], 0 offen
	buffer_load_dword v1, v3, s[0:3], 0 offen offset:4
	buffer_load_dword v2, v3, s[0:3], 0 offen offset:8
	s_nop 0
	buffer_load_dword v3, v3, s[0:3], 0 offen offset:12
	s_nop 0
	buffer_load_dword v4, off, s[0:3], 0 offset:1176 ; 4-byte Folded Reload
	buffer_load_dword v5, off, s[0:3], 0 offset:1180 ; 4-byte Folded Reload
	v_readlane_b32 s4, v126, 4
	s_waitcnt vmcnt(0)
	global_store_dwordx4 v[4:5], v[0:3], off
	s_nop 0
	v_mov_b32_e32 v3, s4
	buffer_load_dword v0, v3, s[0:3], 0 offen
	buffer_load_dword v1, v3, s[0:3], 0 offen offset:4
	buffer_load_dword v2, v3, s[0:3], 0 offen offset:8
	s_nop 0
	buffer_load_dword v3, v3, s[0:3], 0 offen offset:12
	s_nop 0
	buffer_load_dword v4, off, s[0:3], 0 offset:1184 ; 4-byte Folded Reload
	buffer_load_dword v5, off, s[0:3], 0 offset:1188 ; 4-byte Folded Reload
	v_readlane_b32 s4, v126, 5
	s_waitcnt vmcnt(0)
	global_store_dwordx4 v[4:5], v[0:3], off
	s_nop 0
	v_mov_b32_e32 v3, s31
	buffer_load_dword v0, v3, s[0:3], 0 offen
	buffer_load_dword v1, v3, s[0:3], 0 offen offset:4
	buffer_load_dword v2, v3, s[0:3], 0 offen offset:8
	s_nop 0
	buffer_load_dword v3, v3, s[0:3], 0 offen offset:12
	s_nop 0
	buffer_load_dword v4, off, s[0:3], 0 offset:1192 ; 4-byte Folded Reload
	buffer_load_dword v5, off, s[0:3], 0 offset:1196 ; 4-byte Folded Reload
	s_waitcnt vmcnt(0)
	global_store_dwordx4 v[4:5], v[0:3], off
	s_nop 0
	v_mov_b32_e32 v3, s4
	buffer_load_dword v0, v3, s[0:3], 0 offen
	buffer_load_dword v1, v3, s[0:3], 0 offen offset:4
	buffer_load_dword v2, v3, s[0:3], 0 offen offset:8
	s_nop 0
	buffer_load_dword v3, v3, s[0:3], 0 offen offset:12
	s_nop 0
	buffer_load_dword v4, off, s[0:3], 0 offset:1200 ; 4-byte Folded Reload
	buffer_load_dword v5, off, s[0:3], 0 offset:1204 ; 4-byte Folded Reload
	v_readlane_b32 s4, v126, 6
	s_waitcnt vmcnt(0)
	global_store_dwordx4 v[4:5], v[0:3], off
	s_nop 0
	v_mov_b32_e32 v3, s4
	buffer_load_dword v0, v3, s[0:3], 0 offen
	buffer_load_dword v1, v3, s[0:3], 0 offen offset:4
	buffer_load_dword v2, v3, s[0:3], 0 offen offset:8
	s_nop 0
	buffer_load_dword v3, v3, s[0:3], 0 offen offset:12
	s_nop 0
	buffer_load_dword v4, off, s[0:3], 0 offset:1208 ; 4-byte Folded Reload
	buffer_load_dword v5, off, s[0:3], 0 offset:1212 ; 4-byte Folded Reload
	v_readlane_b32 s4, v126, 7
	;; [unrolled: 13-line block ×3, first 2 shown]
	s_waitcnt vmcnt(0)
	global_store_dwordx4 v[4:5], v[0:3], off
	s_nop 0
	v_mov_b32_e32 v3, s76
	buffer_load_dword v0, v3, s[0:3], 0 offen
	buffer_load_dword v1, v3, s[0:3], 0 offen offset:4
	buffer_load_dword v2, v3, s[0:3], 0 offen offset:8
	s_nop 0
	buffer_load_dword v3, v3, s[0:3], 0 offen offset:12
	s_nop 0
	buffer_load_dword v4, off, s[0:3], 0 offset:1224 ; 4-byte Folded Reload
	buffer_load_dword v5, off, s[0:3], 0 offset:1228 ; 4-byte Folded Reload
	s_waitcnt vmcnt(0)
	global_store_dwordx4 v[4:5], v[0:3], off
	s_nop 0
	v_mov_b32_e32 v3, s71
	buffer_load_dword v0, v3, s[0:3], 0 offen
	buffer_load_dword v1, v3, s[0:3], 0 offen offset:4
	buffer_load_dword v2, v3, s[0:3], 0 offen offset:8
	s_nop 0
	buffer_load_dword v3, v3, s[0:3], 0 offen offset:12
	s_nop 0
	buffer_load_dword v4, off, s[0:3], 0 offset:1232 ; 4-byte Folded Reload
	buffer_load_dword v5, off, s[0:3], 0 offset:1236 ; 4-byte Folded Reload
	;; [unrolled: 12-line block ×3, first 2 shown]
	v_readlane_b32 s4, v126, 9
	s_waitcnt vmcnt(0)
	global_store_dwordx4 v[4:5], v[0:3], off
	s_nop 0
	v_mov_b32_e32 v3, s95
	buffer_load_dword v0, v3, s[0:3], 0 offen
	buffer_load_dword v1, v3, s[0:3], 0 offen offset:4
	buffer_load_dword v2, v3, s[0:3], 0 offen offset:8
	s_nop 0
	buffer_load_dword v3, v3, s[0:3], 0 offen offset:12
	s_nop 0
	buffer_load_dword v4, off, s[0:3], 0 offset:1248 ; 4-byte Folded Reload
	buffer_load_dword v5, off, s[0:3], 0 offset:1252 ; 4-byte Folded Reload
	s_waitcnt vmcnt(0)
	global_store_dwordx4 v[4:5], v[0:3], off
	v_mov_b32_e32 v4, s4
	buffer_load_dword v0, v4, s[0:3], 0 offen
	buffer_load_dword v1, v4, s[0:3], 0 offen offset:4
	buffer_load_dword v2, v4, s[0:3], 0 offen offset:8
	;; [unrolled: 1-line block ×3, first 2 shown]
                                        ; kill: killed $vgpr4
	s_nop 0
	buffer_load_dword v4, off, s[0:3], 0 offset:1256 ; 4-byte Folded Reload
	buffer_load_dword v5, off, s[0:3], 0 offset:1260 ; 4-byte Folded Reload
	v_readlane_b32 s4, v126, 10
	s_waitcnt vmcnt(0)
	global_store_dwordx4 v[4:5], v[0:3], off
	v_mov_b32_e32 v4, s4
	buffer_load_dword v0, v4, s[0:3], 0 offen
	buffer_load_dword v1, v4, s[0:3], 0 offen offset:4
	buffer_load_dword v2, v4, s[0:3], 0 offen offset:8
	buffer_load_dword v3, v4, s[0:3], 0 offen offset:12
                                        ; kill: killed $vgpr4
	s_nop 0
	buffer_load_dword v4, off, s[0:3], 0 offset:1264 ; 4-byte Folded Reload
	buffer_load_dword v5, off, s[0:3], 0 offset:1268 ; 4-byte Folded Reload
	v_readlane_b32 s4, v126, 11
	s_waitcnt vmcnt(0)
	global_store_dwordx4 v[4:5], v[0:3], off
	v_mov_b32_e32 v4, s40
	buffer_load_dword v0, v4, s[0:3], 0 offen
	buffer_load_dword v1, v4, s[0:3], 0 offen offset:4
	buffer_load_dword v2, v4, s[0:3], 0 offen offset:8
	buffer_load_dword v3, v4, s[0:3], 0 offen offset:12
                                        ; kill: killed $vgpr4
	s_nop 0
	buffer_load_dword v4, off, s[0:3], 0 offset:1272 ; 4-byte Folded Reload
	buffer_load_dword v5, off, s[0:3], 0 offset:1276 ; 4-byte Folded Reload
	s_waitcnt vmcnt(0)
	global_store_dwordx4 v[4:5], v[0:3], off
	v_mov_b32_e32 v4, s4
	buffer_load_dword v0, v4, s[0:3], 0 offen
	buffer_load_dword v1, v4, s[0:3], 0 offen offset:4
	buffer_load_dword v2, v4, s[0:3], 0 offen offset:8
	buffer_load_dword v3, v4, s[0:3], 0 offen offset:12
                                        ; kill: killed $vgpr4
	s_nop 0
	buffer_load_dword v4, off, s[0:3], 0 offset:1280 ; 4-byte Folded Reload
	buffer_load_dword v5, off, s[0:3], 0 offset:1284 ; 4-byte Folded Reload
	v_readlane_b32 s4, v126, 12
	s_waitcnt vmcnt(0)
	global_store_dwordx4 v[4:5], v[0:3], off
	v_mov_b32_e32 v4, s38
	buffer_load_dword v0, v4, s[0:3], 0 offen
	buffer_load_dword v1, v4, s[0:3], 0 offen offset:4
	buffer_load_dword v2, v4, s[0:3], 0 offen offset:8
	buffer_load_dword v3, v4, s[0:3], 0 offen offset:12
                                        ; kill: killed $vgpr4
	s_nop 0
	buffer_load_dword v4, off, s[0:3], 0 offset:1288 ; 4-byte Folded Reload
	buffer_load_dword v5, off, s[0:3], 0 offset:1292 ; 4-byte Folded Reload
	;; [unrolled: 23-line block ×13, first 2 shown]
	s_waitcnt vmcnt(0)
	global_store_dwordx4 v[4:5], v[0:3], off
	v_mov_b32_e32 v4, s42
	buffer_load_dword v0, v4, s[0:3], 0 offen
	buffer_load_dword v1, v4, s[0:3], 0 offen offset:4
	buffer_load_dword v2, v4, s[0:3], 0 offen offset:8
	buffer_load_dword v3, v4, s[0:3], 0 offen offset:12
                                        ; kill: killed $vgpr4
	s_nop 0
	buffer_load_dword v4, off, s[0:3], 0 offset:1480 ; 4-byte Folded Reload
	buffer_load_dword v5, off, s[0:3], 0 offset:1484 ; 4-byte Folded Reload
	s_waitcnt vmcnt(0)
	global_store_dwordx4 v[4:5], v[0:3], off
	v_mov_b32_e32 v4, s4
	buffer_load_dword v0, v4, s[0:3], 0 offen
	buffer_load_dword v1, v4, s[0:3], 0 offen offset:4
	buffer_load_dword v2, v4, s[0:3], 0 offen offset:8
	;; [unrolled: 1-line block ×3, first 2 shown]
                                        ; kill: killed $vgpr4
	s_nop 0
	buffer_load_dword v4, off, s[0:3], 0 offset:1392 ; 4-byte Folded Reload
	buffer_load_dword v5, off, s[0:3], 0 offset:1396 ; 4-byte Folded Reload
	s_waitcnt vmcnt(0)
	global_store_dwordx4 v[4:5], v[0:3], off
.LBB123_675:
	s_endpgm
	.section	.rodata,"a",@progbits
	.p2align	6, 0x0
	.amdhsa_kernel _ZN9rocsolver6v33100L23getf2_npvt_small_kernelILi62E19rocblas_complex_numIdEiiPS3_EEvT1_T3_lS5_lPT2_S5_S5_
		.amdhsa_group_segment_fixed_size 0
		.amdhsa_private_segment_fixed_size 2048
		.amdhsa_kernarg_size 312
		.amdhsa_user_sgpr_count 6
		.amdhsa_user_sgpr_private_segment_buffer 1
		.amdhsa_user_sgpr_dispatch_ptr 0
		.amdhsa_user_sgpr_queue_ptr 0
		.amdhsa_user_sgpr_kernarg_segment_ptr 1
		.amdhsa_user_sgpr_dispatch_id 0
		.amdhsa_user_sgpr_flat_scratch_init 0
		.amdhsa_user_sgpr_private_segment_size 0
		.amdhsa_uses_dynamic_stack 0
		.amdhsa_system_sgpr_private_segment_wavefront_offset 1
		.amdhsa_system_sgpr_workgroup_id_x 1
		.amdhsa_system_sgpr_workgroup_id_y 1
		.amdhsa_system_sgpr_workgroup_id_z 0
		.amdhsa_system_sgpr_workgroup_info 0
		.amdhsa_system_vgpr_workitem_id 1
		.amdhsa_next_free_vgpr 128
		.amdhsa_next_free_sgpr 100
		.amdhsa_reserve_vcc 1
		.amdhsa_reserve_flat_scratch 0
		.amdhsa_float_round_mode_32 0
		.amdhsa_float_round_mode_16_64 0
		.amdhsa_float_denorm_mode_32 3
		.amdhsa_float_denorm_mode_16_64 3
		.amdhsa_dx10_clamp 1
		.amdhsa_ieee_mode 1
		.amdhsa_fp16_overflow 0
		.amdhsa_exception_fp_ieee_invalid_op 0
		.amdhsa_exception_fp_denorm_src 0
		.amdhsa_exception_fp_ieee_div_zero 0
		.amdhsa_exception_fp_ieee_overflow 0
		.amdhsa_exception_fp_ieee_underflow 0
		.amdhsa_exception_fp_ieee_inexact 0
		.amdhsa_exception_int_div_zero 0
	.end_amdhsa_kernel
	.section	.text._ZN9rocsolver6v33100L23getf2_npvt_small_kernelILi62E19rocblas_complex_numIdEiiPS3_EEvT1_T3_lS5_lPT2_S5_S5_,"axG",@progbits,_ZN9rocsolver6v33100L23getf2_npvt_small_kernelILi62E19rocblas_complex_numIdEiiPS3_EEvT1_T3_lS5_lPT2_S5_S5_,comdat
.Lfunc_end123:
	.size	_ZN9rocsolver6v33100L23getf2_npvt_small_kernelILi62E19rocblas_complex_numIdEiiPS3_EEvT1_T3_lS5_lPT2_S5_S5_, .Lfunc_end123-_ZN9rocsolver6v33100L23getf2_npvt_small_kernelILi62E19rocblas_complex_numIdEiiPS3_EEvT1_T3_lS5_lPT2_S5_S5_
                                        ; -- End function
	.set _ZN9rocsolver6v33100L23getf2_npvt_small_kernelILi62E19rocblas_complex_numIdEiiPS3_EEvT1_T3_lS5_lPT2_S5_S5_.num_vgpr, 128
	.set _ZN9rocsolver6v33100L23getf2_npvt_small_kernelILi62E19rocblas_complex_numIdEiiPS3_EEvT1_T3_lS5_lPT2_S5_S5_.num_agpr, 0
	.set _ZN9rocsolver6v33100L23getf2_npvt_small_kernelILi62E19rocblas_complex_numIdEiiPS3_EEvT1_T3_lS5_lPT2_S5_S5_.numbered_sgpr, 100
	.set _ZN9rocsolver6v33100L23getf2_npvt_small_kernelILi62E19rocblas_complex_numIdEiiPS3_EEvT1_T3_lS5_lPT2_S5_S5_.num_named_barrier, 0
	.set _ZN9rocsolver6v33100L23getf2_npvt_small_kernelILi62E19rocblas_complex_numIdEiiPS3_EEvT1_T3_lS5_lPT2_S5_S5_.private_seg_size, 2048
	.set _ZN9rocsolver6v33100L23getf2_npvt_small_kernelILi62E19rocblas_complex_numIdEiiPS3_EEvT1_T3_lS5_lPT2_S5_S5_.uses_vcc, 1
	.set _ZN9rocsolver6v33100L23getf2_npvt_small_kernelILi62E19rocblas_complex_numIdEiiPS3_EEvT1_T3_lS5_lPT2_S5_S5_.uses_flat_scratch, 0
	.set _ZN9rocsolver6v33100L23getf2_npvt_small_kernelILi62E19rocblas_complex_numIdEiiPS3_EEvT1_T3_lS5_lPT2_S5_S5_.has_dyn_sized_stack, 0
	.set _ZN9rocsolver6v33100L23getf2_npvt_small_kernelILi62E19rocblas_complex_numIdEiiPS3_EEvT1_T3_lS5_lPT2_S5_S5_.has_recursion, 0
	.set _ZN9rocsolver6v33100L23getf2_npvt_small_kernelILi62E19rocblas_complex_numIdEiiPS3_EEvT1_T3_lS5_lPT2_S5_S5_.has_indirect_call, 0
	.section	.AMDGPU.csdata,"",@progbits
; Kernel info:
; codeLenInByte = 191880
; TotalNumSgprs: 104
; NumVgprs: 128
; ScratchSize: 2048
; MemoryBound: 0
; FloatMode: 240
; IeeeMode: 1
; LDSByteSize: 0 bytes/workgroup (compile time only)
; SGPRBlocks: 12
; VGPRBlocks: 31
; NumSGPRsForWavesPerEU: 104
; NumVGPRsForWavesPerEU: 128
; Occupancy: 2
; WaveLimiterHint : 1
; COMPUTE_PGM_RSRC2:SCRATCH_EN: 1
; COMPUTE_PGM_RSRC2:USER_SGPR: 6
; COMPUTE_PGM_RSRC2:TRAP_HANDLER: 0
; COMPUTE_PGM_RSRC2:TGID_X_EN: 1
; COMPUTE_PGM_RSRC2:TGID_Y_EN: 1
; COMPUTE_PGM_RSRC2:TGID_Z_EN: 0
; COMPUTE_PGM_RSRC2:TIDIG_COMP_CNT: 1
	.section	.text._ZN9rocsolver6v33100L18getf2_small_kernelILi63E19rocblas_complex_numIdEiiPS3_EEvT1_T3_lS5_lPS5_llPT2_S5_S5_S7_l,"axG",@progbits,_ZN9rocsolver6v33100L18getf2_small_kernelILi63E19rocblas_complex_numIdEiiPS3_EEvT1_T3_lS5_lPS5_llPT2_S5_S5_S7_l,comdat
	.globl	_ZN9rocsolver6v33100L18getf2_small_kernelILi63E19rocblas_complex_numIdEiiPS3_EEvT1_T3_lS5_lPS5_llPT2_S5_S5_S7_l ; -- Begin function _ZN9rocsolver6v33100L18getf2_small_kernelILi63E19rocblas_complex_numIdEiiPS3_EEvT1_T3_lS5_lPS5_llPT2_S5_S5_S7_l
	.p2align	8
	.type	_ZN9rocsolver6v33100L18getf2_small_kernelILi63E19rocblas_complex_numIdEiiPS3_EEvT1_T3_lS5_lPS5_llPT2_S5_S5_S7_l,@function
_ZN9rocsolver6v33100L18getf2_small_kernelILi63E19rocblas_complex_numIdEiiPS3_EEvT1_T3_lS5_lPS5_llPT2_S5_S5_S7_l: ; @_ZN9rocsolver6v33100L18getf2_small_kernelILi63E19rocblas_complex_numIdEiiPS3_EEvT1_T3_lS5_lPS5_llPT2_S5_S5_S7_l
; %bb.0:
	s_load_dword s6, s[4:5], 0x6c
	s_load_dwordx2 s[12:13], s[4:5], 0x48
	s_add_u32 s0, s0, s8
	s_addc_u32 s1, s1, 0
	s_waitcnt lgkmcnt(0)
	s_lshr_b32 s6, s6, 16
	s_mul_i32 s7, s7, s6
	v_add_u32_e32 v6, s7, v1
	v_cmp_gt_i32_e32 vcc, s12, v6
	s_and_saveexec_b64 s[6:7], vcc
	s_cbranch_execnz .LBB124_1
; %bb.1442:
	s_getpc_b64 s[98:99]
.Lpost_getpc38:
	s_add_u32 s98, s98, (.LBB124_1441-.Lpost_getpc38)&4294967295
	s_addc_u32 s99, s99, (.LBB124_1441-.Lpost_getpc38)>>32
	s_setpc_b64 s[98:99]
.LBB124_1:
	s_load_dwordx4 s[8:11], s[4:5], 0x50
	v_mov_b32_e32 v8, 0
                                        ; implicit-def: $vgpr61 : SGPR spill to VGPR lane
	v_ashrrev_i32_e32 v7, 31, v6
	v_mov_b32_e32 v9, 0
	s_waitcnt lgkmcnt(0)
	s_cmp_eq_u64 s[8:9], 0
	s_cselect_b64 s[6:7], -1, 0
	v_writelane_b32 v61, s6, 0
	s_and_b64 vcc, exec, s[6:7]
	v_writelane_b32 v61, s7, 1
	s_cbranch_vccnz .LBB124_3
; %bb.2:
	v_mul_lo_u32 v4, s11, v6
	v_mul_lo_u32 v5, s10, v7
	v_mad_u64_u32 v[2:3], s[6:7], s10, v6, 0
	v_add3_u32 v3, v3, v5, v4
	v_lshlrev_b64 v[2:3], 2, v[2:3]
	v_mov_b32_e32 v4, s9
	v_add_co_u32_e32 v8, vcc, s8, v2
	v_addc_co_u32_e32 v9, vcc, v4, v3, vcc
.LBB124_3:
	s_load_dwordx8 s[24:31], s[4:5], 0x20
	s_load_dwordx4 s[16:19], s[4:5], 0x8
	v_lshlrev_b32_e32 v11, 4, v0
	s_movk_i32 s20, 0x80
	s_movk_i32 s33, 0x110
	s_waitcnt lgkmcnt(0)
	s_mov_b64 s[8:9], s[28:29]
	s_mov_b64 s[10:11], s[30:31]
	s_mov_b64 s[6:7], s[26:27]
	v_writelane_b32 v61, s4, 2
	v_writelane_b32 v61, s5, 3
	;; [unrolled: 1-line block ×7, first 2 shown]
	v_mul_lo_u32 v4, s25, v6
	v_mul_lo_u32 v5, s24, v7
	v_writelane_b32 v61, s11, 9
	v_mad_u64_u32 v[2:3], s[6:7], s24, v6, 0
	s_load_dword s6, s[4:5], 0x18
	s_load_dword s65, s[4:5], 0x0
	v_mov_b32_e32 v10, s17
	v_add3_u32 v3, v3, v5, v4
	v_lshlrev_b64 v[2:3], 4, v[2:3]
	s_lshl_b64 s[8:9], s[18:19], 4
	v_add_co_u32_e32 v2, vcc, s16, v2
	v_addc_co_u32_e32 v3, vcc, v10, v3, vcc
	s_waitcnt lgkmcnt(0)
	s_add_i32 s7, s6, s6
	v_mov_b32_e32 v4, s9
	v_add_co_u32_e32 v14, vcc, s8, v2
	v_add_u32_e32 v2, s7, v0
	v_addc_co_u32_e32 v15, vcc, v3, v4, vcc
	v_add_u32_e32 v3, s6, v2
	v_ashrrev_i32_e32 v4, 31, v3
	v_add_co_u32_e32 v12, vcc, v14, v11
	v_lshlrev_b64 v[4:5], 4, v[3:4]
	v_add_u32_e32 v32, s6, v3
	v_addc_co_u32_e32 v13, vcc, 0, v15, vcc
	v_ashrrev_i32_e32 v33, 31, v32
	v_add_co_u32_e32 v4, vcc, v14, v4
	v_lshlrev_b64 v[20:21], 4, v[32:33]
	v_addc_co_u32_e32 v5, vcc, v15, v5, vcc
	v_add_co_u32_e32 v28, vcc, v14, v20
	global_load_dwordx4 v[16:19], v[12:13], off
	v_addc_co_u32_e32 v29, vcc, v15, v21, vcc
	global_load_dwordx4 v[20:23], v[4:5], off
	global_load_dwordx4 v[24:27], v[28:29], off
	v_writelane_b32 v61, s7, 10
	s_ashr_i32 s7, s6, 31
	s_lshl_b64 s[8:9], s[6:7], 4
	v_mov_b32_e32 v4, s9
	v_writelane_b32 v61, s8, 11
	v_add_co_u32_e32 v3, vcc, s8, v12
	v_addc_co_u32_e32 v4, vcc, v13, v4, vcc
	global_load_dwordx4 v[28:31], v[3:4], off
	v_ashrrev_i32_e32 v3, 31, v2
	v_lshlrev_b64 v[2:3], 4, v[2:3]
	v_add_u32_e32 v4, s6, v32
	v_ashrrev_i32_e32 v5, 31, v4
	v_add_u32_e32 v32, s6, v4
	v_lshlrev_b64 v[4:5], 4, v[4:5]
	v_add_co_u32_e32 v47, vcc, v14, v2
	v_ashrrev_i32_e32 v33, 31, v32
	v_addc_co_u32_e32 v48, vcc, v15, v3, vcc
	v_add_u32_e32 v44, s6, v32
	v_lshlrev_b64 v[32:33], 4, v[32:33]
	v_add_co_u32_e32 v49, vcc, v14, v4
	v_addc_co_u32_e32 v50, vcc, v15, v5, vcc
	v_add_co_u32_e32 v51, vcc, v14, v32
	v_addc_co_u32_e32 v52, vcc, v15, v33, vcc
	global_load_dwordx4 v[2:5], v[12:13], off
	global_load_dwordx4 v[32:35], v[47:48], off
	;; [unrolled: 1-line block ×4, first 2 shown]
	v_ashrrev_i32_e32 v45, 31, v44
	v_lshlrev_b64 v[45:46], 4, v[44:45]
	s_max_i32 s7, s65, 63
	v_add_co_u32_e32 v12, vcc, v14, v45
	v_addc_co_u32_e32 v13, vcc, v15, v46, vcc
	s_load_dwordx2 s[4:5], s[4:5], 0x40
	v_writelane_b32 v61, s9, 12
	v_mov_b32_e32 v10, 0
	s_movk_i32 s18, 0x60
	s_movk_i32 s19, 0x70
	s_waitcnt lgkmcnt(0)
	v_writelane_b32 v61, s4, 13
	s_movk_i32 s24, 0x90
	s_movk_i32 s25, 0xa0
	;; [unrolled: 1-line block ×10, first 2 shown]
	s_waitcnt vmcnt(7)
	buffer_store_dword v19, off, s[0:3], 0 offset:12
	buffer_store_dword v18, off, s[0:3], 0 offset:8
	;; [unrolled: 1-line block ×3, first 2 shown]
	buffer_store_dword v16, off, s[0:3], 0
	s_waitcnt vmcnt(10)
	buffer_store_dword v23, off, s[0:3], 0 offset:60
	buffer_store_dword v22, off, s[0:3], 0 offset:56
	buffer_store_dword v21, off, s[0:3], 0 offset:52
	buffer_store_dword v20, off, s[0:3], 0 offset:48
	s_waitcnt vmcnt(13)
	buffer_store_dword v27, off, s[0:3], 0 offset:76
	buffer_store_dword v26, off, s[0:3], 0 offset:72
	buffer_store_dword v25, off, s[0:3], 0 offset:68
	buffer_store_dword v24, off, s[0:3], 0 offset:64
	;; [unrolled: 5-line block ×3, first 2 shown]
	v_add_u32_e32 v24, s6, v44
	v_ashrrev_i32_e32 v25, 31, v24
	v_lshlrev_b64 v[16:17], 4, v[24:25]
	s_movk_i32 s36, 0x140
	v_add_co_u32_e32 v25, vcc, v14, v16
	v_addc_co_u32_e32 v26, vcc, v15, v17, vcc
	global_load_dwordx4 v[16:19], v[12:13], off
	global_load_dwordx4 v[20:23], v[25:26], off
	v_add_u32_e32 v12, s6, v24
	v_ashrrev_i32_e32 v13, 31, v12
	v_lshlrev_b64 v[24:25], 4, v[12:13]
	v_add_u32_e32 v12, s6, v12
	v_add_co_u32_e32 v44, vcc, v14, v24
	v_ashrrev_i32_e32 v13, 31, v12
	v_addc_co_u32_e32 v45, vcc, v15, v25, vcc
	v_lshlrev_b64 v[24:25], 4, v[12:13]
	v_add_u32_e32 v12, s6, v12
	v_add_co_u32_e32 v46, vcc, v14, v24
	v_ashrrev_i32_e32 v13, 31, v12
	v_addc_co_u32_e32 v47, vcc, v15, v25, vcc
	global_load_dwordx4 v[24:27], v[44:45], off
	global_load_dwordx4 v[28:31], v[46:47], off
	v_lshlrev_b64 v[44:45], 4, v[12:13]
	v_add_u32_e32 v12, s6, v12
	v_add_co_u32_e32 v52, vcc, v14, v44
	v_ashrrev_i32_e32 v13, 31, v12
	v_addc_co_u32_e32 v53, vcc, v15, v45, vcc
	v_lshlrev_b64 v[44:45], 4, v[12:13]
	v_add_u32_e32 v12, s6, v12
	v_add_co_u32_e32 v54, vcc, v14, v44
	v_addc_co_u32_e32 v55, vcc, v15, v45, vcc
	global_load_dwordx4 v[44:47], v[52:53], off
	global_load_dwordx4 v[48:51], v[54:55], off
	v_ashrrev_i32_e32 v13, 31, v12
	v_lshlrev_b64 v[52:53], 4, v[12:13]
	v_add_u32_e32 v12, s6, v12
	v_ashrrev_i32_e32 v13, 31, v12
	v_add_co_u32_e32 v52, vcc, v14, v52
	v_lshlrev_b64 v[56:57], 4, v[12:13]
	v_addc_co_u32_e32 v53, vcc, v15, v53, vcc
	v_add_co_u32_e32 v56, vcc, v14, v56
	v_add_u32_e32 v12, s6, v12
	v_addc_co_u32_e32 v57, vcc, v15, v57, vcc
	v_ashrrev_i32_e32 v13, 31, v12
	global_load_dwordx4 v[52:55], v[52:53], off
	s_movk_i32 s37, 0x150
	global_load_dwordx4 v[56:59], v[56:57], off
	s_waitcnt vmcnt(26)
	buffer_store_dword v35, off, s[0:3], 0 offset:44
	buffer_store_dword v34, off, s[0:3], 0 offset:40
	buffer_store_dword v33, off, s[0:3], 0 offset:36
	buffer_store_dword v32, off, s[0:3], 0 offset:32
	v_lshlrev_b64 v[32:33], 4, v[12:13]
	v_add_u32_e32 v12, s6, v12
	v_add_co_u32_e32 v32, vcc, v14, v32
	v_addc_co_u32_e32 v33, vcc, v15, v33, vcc
	global_load_dwordx4 v[32:35], v[32:33], off
	v_ashrrev_i32_e32 v13, 31, v12
	s_movk_i32 s38, 0x160
	s_movk_i32 s39, 0x170
	;; [unrolled: 1-line block ×7, first 2 shown]
	s_waitcnt vmcnt(30)
	buffer_store_dword v39, off, s[0:3], 0 offset:92
	buffer_store_dword v38, off, s[0:3], 0 offset:88
	buffer_store_dword v37, off, s[0:3], 0 offset:84
	buffer_store_dword v36, off, s[0:3], 0 offset:80
	s_waitcnt vmcnt(33)
	buffer_store_dword v43, off, s[0:3], 0 offset:108
	buffer_store_dword v42, off, s[0:3], 0 offset:104
	buffer_store_dword v41, off, s[0:3], 0 offset:100
	buffer_store_dword v40, off, s[0:3], 0 offset:96
	;; [unrolled: 5-line block ×10, first 2 shown]
	v_lshlrev_b64 v[16:17], 4, v[12:13]
	v_add_u32_e32 v12, s6, v12
	v_add_co_u32_e32 v16, vcc, v14, v16
	v_addc_co_u32_e32 v17, vcc, v15, v17, vcc
	global_load_dwordx4 v[16:19], v[16:17], off
	v_ashrrev_i32_e32 v13, 31, v12
	v_lshlrev_b64 v[20:21], 4, v[12:13]
	v_add_u32_e32 v12, s6, v12
	v_add_co_u32_e32 v28, vcc, v14, v20
	v_ashrrev_i32_e32 v13, 31, v12
	v_addc_co_u32_e32 v29, vcc, v15, v21, vcc
	v_lshlrev_b64 v[20:21], 4, v[12:13]
	v_add_u32_e32 v12, s6, v12
	s_waitcnt vmcnt(41)
	buffer_store_dword v35, off, s[0:3], 0 offset:252
	buffer_store_dword v34, off, s[0:3], 0 offset:248
	;; [unrolled: 1-line block ×4, first 2 shown]
	v_add_co_u32_e32 v30, vcc, v14, v20
	v_ashrrev_i32_e32 v13, 31, v12
	v_addc_co_u32_e32 v31, vcc, v15, v21, vcc
	global_load_dwordx4 v[20:23], v[28:29], off
	global_load_dwordx4 v[24:27], v[30:31], off
	v_lshlrev_b64 v[28:29], 4, v[12:13]
	v_add_u32_e32 v12, s6, v12
	v_add_co_u32_e32 v36, vcc, v14, v28
	v_ashrrev_i32_e32 v13, 31, v12
	v_addc_co_u32_e32 v37, vcc, v15, v29, vcc
	v_lshlrev_b64 v[28:29], 4, v[12:13]
	v_add_u32_e32 v12, s6, v12
	v_add_co_u32_e32 v38, vcc, v14, v28
	v_ashrrev_i32_e32 v13, 31, v12
	v_addc_co_u32_e32 v39, vcc, v15, v29, vcc
	global_load_dwordx4 v[28:31], v[36:37], off
	global_load_dwordx4 v[32:35], v[38:39], off
	v_lshlrev_b64 v[36:37], 4, v[12:13]
	v_add_u32_e32 v12, s6, v12
	v_add_co_u32_e32 v44, vcc, v14, v36
	v_ashrrev_i32_e32 v13, 31, v12
	v_addc_co_u32_e32 v45, vcc, v15, v37, vcc
	v_lshlrev_b64 v[36:37], 4, v[12:13]
	v_add_u32_e32 v12, s6, v12
	;; [unrolled: 12-line block ×3, first 2 shown]
	v_add_co_u32_e32 v54, vcc, v14, v44
	v_addc_co_u32_e32 v55, vcc, v15, v45, vcc
	global_load_dwordx4 v[44:47], v[52:53], off
	global_load_dwordx4 v[48:51], v[54:55], off
	v_ashrrev_i32_e32 v13, 31, v12
	v_lshlrev_b64 v[52:53], 4, v[12:13]
	v_add_u32_e32 v12, s6, v12
	v_add_co_u32_e32 v52, vcc, v14, v52
	v_addc_co_u32_e32 v53, vcc, v15, v53, vcc
	v_ashrrev_i32_e32 v13, 31, v12
	v_lshlrev_b64 v[56:57], 4, v[12:13]
	global_load_dwordx4 v[52:55], v[52:53], off
	v_add_co_u32_e32 v56, vcc, v14, v56
	v_addc_co_u32_e32 v57, vcc, v15, v57, vcc
	global_load_dwordx4 v[56:59], v[56:57], off
	v_add_u32_e32 v12, s6, v12
	v_ashrrev_i32_e32 v13, 31, v12
	s_waitcnt vmcnt(14)
	buffer_store_dword v19, off, s[0:3], 0 offset:268
	buffer_store_dword v18, off, s[0:3], 0 offset:264
	;; [unrolled: 1-line block ×4, first 2 shown]
	v_lshlrev_b64 v[16:17], 4, v[12:13]
	v_add_u32_e32 v12, s6, v12
	v_add_co_u32_e32 v16, vcc, v14, v16
	v_addc_co_u32_e32 v17, vcc, v15, v17, vcc
	global_load_dwordx4 v[16:19], v[16:17], off
	v_ashrrev_i32_e32 v13, 31, v12
	s_waitcnt vmcnt(14)
	buffer_store_dword v20, off, s[0:3], 0 offset:272
	buffer_store_dword v21, off, s[0:3], 0 offset:276
	buffer_store_dword v22, off, s[0:3], 0 offset:280
	buffer_store_dword v23, off, s[0:3], 0 offset:284
	s_waitcnt vmcnt(17)
	buffer_store_dword v24, off, s[0:3], 0 offset:288
	buffer_store_dword v25, off, s[0:3], 0 offset:292
	buffer_store_dword v26, off, s[0:3], 0 offset:296
	buffer_store_dword v27, off, s[0:3], 0 offset:300
	;; [unrolled: 5-line block ×10, first 2 shown]
	v_lshlrev_b64 v[20:21], 4, v[12:13]
	v_add_u32_e32 v12, s6, v12
	v_add_co_u32_e32 v20, vcc, v14, v20
	v_addc_co_u32_e32 v21, vcc, v15, v21, vcc
	global_load_dwordx4 v[20:23], v[20:21], off
	v_ashrrev_i32_e32 v13, 31, v12
	s_waitcnt vmcnt(41)
	buffer_store_dword v19, off, s[0:3], 0 offset:444
	buffer_store_dword v18, off, s[0:3], 0 offset:440
	;; [unrolled: 1-line block ×4, first 2 shown]
	v_lshlrev_b64 v[16:17], 4, v[12:13]
	v_add_u32_e32 v12, s6, v12
	v_add_co_u32_e32 v28, vcc, v14, v16
	v_ashrrev_i32_e32 v13, 31, v12
	v_addc_co_u32_e32 v29, vcc, v15, v17, vcc
	v_lshlrev_b64 v[16:17], 4, v[12:13]
	v_add_u32_e32 v12, s6, v12
	v_add_co_u32_e32 v30, vcc, v14, v16
	v_ashrrev_i32_e32 v13, 31, v12
	v_addc_co_u32_e32 v31, vcc, v15, v17, vcc
	global_load_dwordx4 v[16:19], v[28:29], off
	global_load_dwordx4 v[24:27], v[30:31], off
	v_lshlrev_b64 v[28:29], 4, v[12:13]
	v_add_u32_e32 v12, s6, v12
	v_add_co_u32_e32 v36, vcc, v14, v28
	v_ashrrev_i32_e32 v13, 31, v12
	v_addc_co_u32_e32 v37, vcc, v15, v29, vcc
	v_lshlrev_b64 v[28:29], 4, v[12:13]
	v_add_u32_e32 v12, s6, v12
	v_add_co_u32_e32 v38, vcc, v14, v28
	v_ashrrev_i32_e32 v13, 31, v12
	v_addc_co_u32_e32 v39, vcc, v15, v29, vcc
	global_load_dwordx4 v[28:31], v[36:37], off
	global_load_dwordx4 v[32:35], v[38:39], off
	;; [unrolled: 12-line block ×4, first 2 shown]
	v_lshlrev_b64 v[52:53], 4, v[12:13]
	v_add_u32_e32 v12, s6, v12
	v_ashrrev_i32_e32 v13, 31, v12
	v_add_co_u32_e32 v52, vcc, v14, v52
	v_lshlrev_b64 v[56:57], 4, v[12:13]
	v_addc_co_u32_e32 v53, vcc, v15, v53, vcc
	v_add_co_u32_e32 v56, vcc, v14, v56
	v_add_u32_e32 v12, s6, v12
	v_addc_co_u32_e32 v57, vcc, v15, v57, vcc
	v_ashrrev_i32_e32 v13, 31, v12
	global_load_dwordx4 v[52:55], v[52:53], off
	s_movk_i32 s45, 0x1d0
	global_load_dwordx4 v[56:59], v[56:57], off
	s_waitcnt vmcnt(14)
	buffer_store_dword v23, off, s[0:3], 0 offset:460
	buffer_store_dword v22, off, s[0:3], 0 offset:456
	buffer_store_dword v21, off, s[0:3], 0 offset:452
	buffer_store_dword v20, off, s[0:3], 0 offset:448
	v_lshlrev_b64 v[20:21], 4, v[12:13]
	v_add_u32_e32 v12, s6, v12
	v_add_co_u32_e32 v20, vcc, v14, v20
	v_addc_co_u32_e32 v21, vcc, v15, v21, vcc
	global_load_dwordx4 v[20:23], v[20:21], off
	v_ashrrev_i32_e32 v13, 31, v12
	s_waitcnt vmcnt(14)
	buffer_store_dword v19, off, s[0:3], 0 offset:476
	buffer_store_dword v18, off, s[0:3], 0 offset:472
	buffer_store_dword v17, off, s[0:3], 0 offset:468
	buffer_store_dword v16, off, s[0:3], 0 offset:464
	s_waitcnt vmcnt(17)
	buffer_store_dword v27, off, s[0:3], 0 offset:492
	buffer_store_dword v26, off, s[0:3], 0 offset:488
	buffer_store_dword v25, off, s[0:3], 0 offset:484
	buffer_store_dword v24, off, s[0:3], 0 offset:480
	;; [unrolled: 5-line block ×10, first 2 shown]
	v_lshlrev_b64 v[16:17], 4, v[12:13]
	v_add_u32_e32 v12, s6, v12
	v_add_co_u32_e32 v16, vcc, v14, v16
	v_addc_co_u32_e32 v17, vcc, v15, v17, vcc
	v_ashrrev_i32_e32 v13, 31, v12
	global_load_dwordx4 v[16:19], v[16:17], off
	s_waitcnt vmcnt(41)
	buffer_store_dword v23, off, s[0:3], 0 offset:636
	buffer_store_dword v22, off, s[0:3], 0 offset:632
	;; [unrolled: 1-line block ×4, first 2 shown]
	v_lshlrev_b64 v[20:21], 4, v[12:13]
	v_add_u32_e32 v12, s6, v12
	v_add_co_u32_e32 v28, vcc, v14, v20
	v_ashrrev_i32_e32 v13, 31, v12
	v_addc_co_u32_e32 v29, vcc, v15, v21, vcc
	v_lshlrev_b64 v[20:21], 4, v[12:13]
	v_add_u32_e32 v12, s6, v12
	v_add_co_u32_e32 v30, vcc, v14, v20
	v_ashrrev_i32_e32 v13, 31, v12
	v_addc_co_u32_e32 v31, vcc, v15, v21, vcc
	global_load_dwordx4 v[20:23], v[28:29], off
	global_load_dwordx4 v[24:27], v[30:31], off
	v_lshlrev_b64 v[28:29], 4, v[12:13]
	v_add_u32_e32 v12, s6, v12
	v_add_co_u32_e32 v36, vcc, v14, v28
	v_ashrrev_i32_e32 v13, 31, v12
	v_addc_co_u32_e32 v37, vcc, v15, v29, vcc
	v_lshlrev_b64 v[28:29], 4, v[12:13]
	v_add_u32_e32 v12, s6, v12
	v_add_co_u32_e32 v38, vcc, v14, v28
	v_ashrrev_i32_e32 v13, 31, v12
	v_addc_co_u32_e32 v39, vcc, v15, v29, vcc
	global_load_dwordx4 v[28:31], v[36:37], off
	global_load_dwordx4 v[32:35], v[38:39], off
	;; [unrolled: 12-line block ×3, first 2 shown]
	v_lshlrev_b64 v[44:45], 4, v[12:13]
	v_add_u32_e32 v12, s6, v12
	v_add_co_u32_e32 v52, vcc, v14, v44
	v_ashrrev_i32_e32 v13, 31, v12
	v_addc_co_u32_e32 v53, vcc, v15, v45, vcc
	v_lshlrev_b64 v[44:45], 4, v[12:13]
	v_add_u32_e32 v12, s6, v12
	v_add_co_u32_e32 v54, vcc, v14, v44
	v_addc_co_u32_e32 v55, vcc, v15, v45, vcc
	global_load_dwordx4 v[44:47], v[52:53], off
	global_load_dwordx4 v[48:51], v[54:55], off
	v_ashrrev_i32_e32 v13, 31, v12
	v_lshlrev_b64 v[52:53], 4, v[12:13]
	v_add_u32_e32 v12, s6, v12
	v_add_co_u32_e32 v52, vcc, v14, v52
	v_addc_co_u32_e32 v53, vcc, v15, v53, vcc
	v_ashrrev_i32_e32 v13, 31, v12
	v_lshlrev_b64 v[56:57], 4, v[12:13]
	global_load_dwordx4 v[52:55], v[52:53], off
	v_add_co_u32_e32 v56, vcc, v14, v56
	v_addc_co_u32_e32 v57, vcc, v15, v57, vcc
	global_load_dwordx4 v[56:59], v[56:57], off
	v_add_u32_e32 v12, s6, v12
	v_ashrrev_i32_e32 v13, 31, v12
	s_waitcnt vmcnt(14)
	buffer_store_dword v19, off, s[0:3], 0 offset:652
	buffer_store_dword v18, off, s[0:3], 0 offset:648
	buffer_store_dword v17, off, s[0:3], 0 offset:644
	buffer_store_dword v16, off, s[0:3], 0 offset:640
	s_waitcnt vmcnt(13)
	buffer_store_dword v23, off, s[0:3], 0 offset:668
	buffer_store_dword v22, off, s[0:3], 0 offset:664
	buffer_store_dword v21, off, s[0:3], 0 offset:660
	buffer_store_dword v20, off, s[0:3], 0 offset:656
	;; [unrolled: 5-line block ×11, first 2 shown]
	v_lshlrev_b64 v[16:17], 4, v[12:13]
	v_add_u32_e32 v12, s6, v12
	v_add_co_u32_e32 v24, vcc, v14, v16
	v_ashrrev_i32_e32 v13, 31, v12
	v_addc_co_u32_e32 v25, vcc, v15, v17, vcc
	v_lshlrev_b64 v[16:17], 4, v[12:13]
	v_add_u32_e32 v12, s6, v12
	v_add_co_u32_e32 v26, vcc, v14, v16
	v_ashrrev_i32_e32 v13, 31, v12
	v_addc_co_u32_e32 v27, vcc, v15, v17, vcc
	global_load_dwordx4 v[16:19], v[24:25], off
	global_load_dwordx4 v[20:23], v[26:27], off
	v_lshlrev_b64 v[24:25], 4, v[12:13]
	v_add_u32_e32 v12, s6, v12
	v_add_co_u32_e32 v32, vcc, v14, v24
	v_ashrrev_i32_e32 v13, 31, v12
	v_addc_co_u32_e32 v33, vcc, v15, v25, vcc
	v_lshlrev_b64 v[24:25], 4, v[12:13]
	v_add_u32_e32 v12, s6, v12
	v_add_co_u32_e32 v34, vcc, v14, v24
	v_addc_co_u32_e32 v35, vcc, v15, v25, vcc
	global_load_dwordx4 v[24:27], v[32:33], off
	global_load_dwordx4 v[28:31], v[34:35], off
	v_ashrrev_i32_e32 v13, 31, v12
	v_lshlrev_b64 v[32:33], 4, v[12:13]
	v_add_u32_e32 v12, s6, v12
	v_add_co_u32_e32 v40, vcc, v14, v32
	v_ashrrev_i32_e32 v13, 31, v12
	v_addc_co_u32_e32 v41, vcc, v15, v33, vcc
	v_lshlrev_b64 v[32:33], 4, v[12:13]
	v_add_u32_e32 v12, s6, v12
	v_add_co_u32_e32 v42, vcc, v14, v32
	v_ashrrev_i32_e32 v13, 31, v12
	v_addc_co_u32_e32 v43, vcc, v15, v33, vcc
	global_load_dwordx4 v[32:35], v[40:41], off
	global_load_dwordx4 v[36:39], v[42:43], off
	v_lshlrev_b64 v[40:41], 4, v[12:13]
	v_add_u32_e32 v12, s6, v12
	v_add_co_u32_e32 v48, vcc, v14, v40
	v_ashrrev_i32_e32 v13, 31, v12
	v_addc_co_u32_e32 v49, vcc, v15, v41, vcc
	v_lshlrev_b64 v[40:41], 4, v[12:13]
	v_add_u32_e32 v12, s6, v12
	v_add_co_u32_e32 v50, vcc, v14, v40
	v_ashrrev_i32_e32 v13, 31, v12
	v_addc_co_u32_e32 v51, vcc, v15, v41, vcc
	global_load_dwordx4 v[40:43], v[48:49], off
	global_load_dwordx4 v[44:47], v[50:51], off
	v_lshlrev_b64 v[48:49], 4, v[12:13]
	v_add_u32_e32 v12, s6, v12
	v_ashrrev_i32_e32 v13, 31, v12
	v_add_co_u32_e32 v48, vcc, v14, v48
	v_lshlrev_b64 v[52:53], 4, v[12:13]
	v_add_u32_e32 v12, s6, v12
	v_addc_co_u32_e32 v49, vcc, v15, v49, vcc
	v_ashrrev_i32_e32 v13, 31, v12
	v_add_co_u32_e32 v52, vcc, v14, v52
	v_lshlrev_b64 v[56:57], 4, v[12:13]
	v_add_u32_e32 v12, s6, v12
	v_addc_co_u32_e32 v53, vcc, v15, v53, vcc
	v_ashrrev_i32_e32 v13, 31, v12
	v_add_co_u32_e32 v56, vcc, v14, v56
	v_lshlrev_b64 v[12:13], 4, v[12:13]
	v_addc_co_u32_e32 v57, vcc, v15, v57, vcc
	v_add_co_u32_e32 v12, vcc, v14, v12
	global_load_dwordx4 v[48:51], v[48:49], off
	v_addc_co_u32_e32 v13, vcc, v15, v13, vcc
	global_load_dwordx4 v[52:55], v[52:53], off
	s_movk_i32 s46, 0x1e0
	global_load_dwordx4 v[56:59], v[56:57], off
	s_waitcnt vmcnt(10)
	buffer_store_dword v19, off, s[0:3], 0 offset:828
	buffer_store_dword v18, off, s[0:3], 0 offset:824
	buffer_store_dword v17, off, s[0:3], 0 offset:820
	buffer_store_dword v16, off, s[0:3], 0 offset:816
	s_waitcnt vmcnt(13)
	buffer_store_dword v23, off, s[0:3], 0 offset:844
	buffer_store_dword v22, off, s[0:3], 0 offset:840
	buffer_store_dword v21, off, s[0:3], 0 offset:836
	buffer_store_dword v20, off, s[0:3], 0 offset:832
	;; [unrolled: 5-line block ×3, first 2 shown]
	s_waitcnt vmcnt(19)
	buffer_store_dword v31, off, s[0:3], 0 offset:876
	buffer_store_dword v30, off, s[0:3], 0 offset:872
	global_load_dwordx4 v[17:20], v[12:13], off
	v_mul_lo_u32 v12, s7, v1
	buffer_store_dword v29, off, s[0:3], 0 offset:868
	buffer_store_dword v28, off, s[0:3], 0 offset:864
	s_waitcnt vmcnt(23)
	buffer_store_dword v35, off, s[0:3], 0 offset:892
	buffer_store_dword v34, off, s[0:3], 0 offset:888
	buffer_store_dword v33, off, s[0:3], 0 offset:884
	buffer_store_dword v32, off, s[0:3], 0 offset:880
	s_waitcnt vmcnt(26)
	buffer_store_dword v39, off, s[0:3], 0 offset:908
	buffer_store_dword v38, off, s[0:3], 0 offset:904
	buffer_store_dword v37, off, s[0:3], 0 offset:900
	buffer_store_dword v36, off, s[0:3], 0 offset:896
	s_waitcnt vmcnt(29)
	buffer_store_dword v43, off, s[0:3], 0 offset:924
	buffer_store_dword v42, off, s[0:3], 0 offset:920
	buffer_store_dword v41, off, s[0:3], 0 offset:916
	buffer_store_dword v40, off, s[0:3], 0 offset:912
	s_waitcnt vmcnt(32)
	buffer_store_dword v47, off, s[0:3], 0 offset:940
	buffer_store_dword v46, off, s[0:3], 0 offset:936
	buffer_store_dword v45, off, s[0:3], 0 offset:932
	buffer_store_dword v44, off, s[0:3], 0 offset:928
	s_waitcnt vmcnt(35)
	buffer_store_dword v51, off, s[0:3], 0 offset:956
	buffer_store_dword v50, off, s[0:3], 0 offset:952
	buffer_store_dword v49, off, s[0:3], 0 offset:948
	buffer_store_dword v48, off, s[0:3], 0 offset:944
	s_waitcnt vmcnt(38)
	buffer_store_dword v55, off, s[0:3], 0 offset:972
	buffer_store_dword v54, off, s[0:3], 0 offset:968
	v_lshl_add_u32 v16, v12, 4, 0
	v_add_u32_e32 v1, v16, v11
	buffer_store_dword v53, off, s[0:3], 0 offset:964
	buffer_store_dword v52, off, s[0:3], 0 offset:960
	s_waitcnt vmcnt(41)
	buffer_store_dword v59, off, s[0:3], 0 offset:988
	buffer_store_dword v58, off, s[0:3], 0 offset:984
	;; [unrolled: 1-line block ×4, first 2 shown]
	s_waitcnt vmcnt(30)
	buffer_store_dword v20, off, s[0:3], 0 offset:1004
	buffer_store_dword v19, off, s[0:3], 0 offset:1000
	;; [unrolled: 1-line block ×4, first 2 shown]
	ds_write2_b64 v1, v[2:3], v[4:5] offset1:1
	s_waitcnt vmcnt(0) lgkmcnt(0)
	s_barrier
	ds_read2_b64 v[1:4], v16 offset1:1
	s_movk_i32 s7, 0x50
	s_movk_i32 s47, 0x1f0
	;; [unrolled: 1-line block ×19, first 2 shown]
	s_cmp_lt_i32 s65, 2
	v_lshlrev_b32_e32 v12, 4, v12
	s_movk_i32 s48, 0x310
	s_movk_i32 s63, 0x320
	;; [unrolled: 1-line block ×14, first 2 shown]
	v_writelane_b32 v61, s5, 14
	s_cbranch_scc1 .LBB124_6
; %bb.4:
	v_add3_u32 v5, v12, 0, 16
	s_mov_b32 s53, 1
	v_mov_b32_e32 v10, 0
.LBB124_5:                              ; =>This Inner Loop Header: Depth=1
	s_waitcnt lgkmcnt(0)
	v_cmp_gt_f64_e32 vcc, 0, v[3:4]
	v_cmp_gt_f64_e64 s[4:5], 0, v[1:2]
	ds_read2_b64 v[17:20], v5 offset1:1
	v_xor_b32_e32 v11, 0x80000000, v2
	v_xor_b32_e32 v13, 0x80000000, v4
	v_mov_b32_e32 v21, v1
	v_mov_b32_e32 v23, v3
	s_waitcnt lgkmcnt(0)
	v_mov_b32_e32 v25, v19
	v_cndmask_b32_e32 v24, v4, v13, vcc
	v_cndmask_b32_e64 v22, v2, v11, s[4:5]
	v_cmp_gt_f64_e32 vcc, 0, v[19:20]
	v_cmp_gt_f64_e64 s[4:5], 0, v[17:18]
	v_xor_b32_e32 v11, 0x80000000, v18
	v_xor_b32_e32 v13, 0x80000000, v20
	v_add_f64 v[21:22], v[21:22], v[23:24]
	v_mov_b32_e32 v23, v17
	v_add_u32_e32 v5, 16, v5
	v_cndmask_b32_e32 v26, v20, v13, vcc
	v_cndmask_b32_e64 v24, v18, v11, s[4:5]
	v_add_f64 v[23:24], v[23:24], v[25:26]
	v_mov_b32_e32 v11, s53
	s_add_i32 s53, s53, 1
	s_cmp_eq_u32 s65, s53
	v_cmp_lt_f64_e32 vcc, v[21:22], v[23:24]
	v_cndmask_b32_e32 v2, v2, v18, vcc
	v_cndmask_b32_e32 v1, v1, v17, vcc
	v_cndmask_b32_e32 v4, v4, v20, vcc
	v_cndmask_b32_e32 v3, v3, v19, vcc
	v_cndmask_b32_e32 v10, v10, v11, vcc
	s_cbranch_scc0 .LBB124_5
.LBB124_6:
	s_waitcnt lgkmcnt(0)
	v_cmp_neq_f64_e32 vcc, 0, v[1:2]
	v_cmp_neq_f64_e64 s[4:5], 0, v[3:4]
	s_mov_b32 s83, 16
	s_mov_b32 s14, s7
	;; [unrolled: 1-line block ×61, first 2 shown]
	v_mov_b32_e32 v17, 1
	s_or_b64 s[16:17], vcc, s[4:5]
	v_mov_b32_e32 v5, 1
	s_mov_b32 s15, 32
	s_and_saveexec_b64 s[4:5], s[16:17]
	s_mov_b32 s78, s10
	s_mov_b32 s79, s11
	v_readlane_b32 s10, v61, 0
	s_mov_b32 s48, s18
	s_mov_b32 s63, s19
	;; [unrolled: 1-line block ×8, first 2 shown]
	v_readlane_b32 s11, v61, 1
	s_cbranch_execz .LBB124_12
; %bb.7:
	v_cmp_ngt_f64_e64 s[16:17], |v[1:2]|, |v[3:4]|
	s_and_saveexec_b64 s[18:19], s[16:17]
	s_xor_b64 s[18:19], exec, s[18:19]
	s_cbranch_execz .LBB124_9
; %bb.8:
	v_div_scale_f64 v[17:18], s[16:17], v[3:4], v[3:4], v[1:2]
	v_rcp_f64_e32 v[19:20], v[17:18]
	v_fma_f64 v[21:22], -v[17:18], v[19:20], 1.0
	v_fma_f64 v[19:20], v[19:20], v[21:22], v[19:20]
	v_div_scale_f64 v[21:22], vcc, v[1:2], v[3:4], v[1:2]
	v_fma_f64 v[23:24], -v[17:18], v[19:20], 1.0
	v_fma_f64 v[19:20], v[19:20], v[23:24], v[19:20]
	v_mul_f64 v[23:24], v[21:22], v[19:20]
	v_fma_f64 v[17:18], -v[17:18], v[23:24], v[21:22]
	v_div_fmas_f64 v[17:18], v[17:18], v[19:20], v[23:24]
	v_div_fixup_f64 v[17:18], v[17:18], v[3:4], v[1:2]
	v_fma_f64 v[1:2], v[1:2], v[17:18], v[3:4]
	v_div_scale_f64 v[3:4], s[16:17], v[1:2], v[1:2], 1.0
	v_div_scale_f64 v[23:24], vcc, 1.0, v[1:2], 1.0
	v_rcp_f64_e32 v[19:20], v[3:4]
	v_fma_f64 v[21:22], -v[3:4], v[19:20], 1.0
	v_fma_f64 v[19:20], v[19:20], v[21:22], v[19:20]
	v_fma_f64 v[21:22], -v[3:4], v[19:20], 1.0
	v_fma_f64 v[19:20], v[19:20], v[21:22], v[19:20]
	v_mul_f64 v[21:22], v[23:24], v[19:20]
	v_fma_f64 v[3:4], -v[3:4], v[21:22], v[23:24]
	v_div_fmas_f64 v[3:4], v[3:4], v[19:20], v[21:22]
	v_div_fixup_f64 v[3:4], v[3:4], v[1:2], 1.0
	v_mul_f64 v[1:2], v[17:18], v[3:4]
	v_xor_b32_e32 v4, 0x80000000, v4
.LBB124_9:
	s_andn2_saveexec_b64 s[18:19], s[18:19]
	s_cbranch_execz .LBB124_11
; %bb.10:
	v_div_scale_f64 v[17:18], s[16:17], v[1:2], v[1:2], v[3:4]
	v_rcp_f64_e32 v[19:20], v[17:18]
	v_fma_f64 v[21:22], -v[17:18], v[19:20], 1.0
	v_fma_f64 v[19:20], v[19:20], v[21:22], v[19:20]
	v_div_scale_f64 v[21:22], vcc, v[3:4], v[1:2], v[3:4]
	v_fma_f64 v[23:24], -v[17:18], v[19:20], 1.0
	v_fma_f64 v[19:20], v[19:20], v[23:24], v[19:20]
	v_mul_f64 v[23:24], v[21:22], v[19:20]
	v_fma_f64 v[17:18], -v[17:18], v[23:24], v[21:22]
	v_div_fmas_f64 v[17:18], v[17:18], v[19:20], v[23:24]
	v_div_fixup_f64 v[17:18], v[17:18], v[1:2], v[3:4]
	v_fma_f64 v[1:2], v[3:4], v[17:18], v[1:2]
	v_div_scale_f64 v[3:4], s[16:17], v[1:2], v[1:2], 1.0
	v_div_scale_f64 v[23:24], vcc, 1.0, v[1:2], 1.0
	v_rcp_f64_e32 v[19:20], v[3:4]
	v_fma_f64 v[21:22], -v[3:4], v[19:20], 1.0
	v_fma_f64 v[19:20], v[19:20], v[21:22], v[19:20]
	v_fma_f64 v[21:22], -v[3:4], v[19:20], 1.0
	v_fma_f64 v[19:20], v[19:20], v[21:22], v[19:20]
	v_mul_f64 v[21:22], v[23:24], v[19:20]
	v_fma_f64 v[3:4], -v[3:4], v[21:22], v[23:24]
	v_div_fmas_f64 v[3:4], v[3:4], v[19:20], v[21:22]
	v_div_fixup_f64 v[1:2], v[3:4], v[1:2], 1.0
	v_mul_f64 v[3:4], v[17:18], -v[1:2]
.LBB124_11:
	s_or_b64 exec, exec, s[18:19]
	v_mov_b32_e32 v5, 0
	v_mov_b32_e32 v17, 2
.LBB124_12:
	s_or_b64 exec, exec, s[4:5]
	v_cmp_ne_u32_e32 vcc, v0, v10
                                        ; implicit-def: $vgpr19
	s_and_saveexec_b64 s[4:5], vcc
	s_xor_b64 s[4:5], exec, s[4:5]
	s_cbranch_execz .LBB124_18
; %bb.13:
	v_cmp_eq_u32_e32 vcc, 0, v0
	s_and_saveexec_b64 s[18:19], vcc
	s_cbranch_execz .LBB124_17
; %bb.14:
	v_cmp_ne_u32_e32 vcc, 0, v10
	s_xor_b64 s[16:17], s[10:11], -1
	s_and_b64 s[16:17], s[16:17], vcc
	s_and_saveexec_b64 s[24:25], s[16:17]
	s_cbranch_execz .LBB124_16
; %bb.15:
	v_ashrrev_i32_e32 v11, 31, v10
	v_lshlrev_b64 v[18:19], 2, v[10:11]
	v_add_co_u32_e32 v18, vcc, v8, v18
	v_addc_co_u32_e32 v19, vcc, v9, v19, vcc
	global_load_dword v0, v[18:19], off
	global_load_dword v11, v[8:9], off
	s_waitcnt vmcnt(1)
	global_store_dword v[8:9], v0, off
	s_waitcnt vmcnt(1)
	global_store_dword v[18:19], v11, off
.LBB124_16:
	s_or_b64 exec, exec, s[24:25]
	v_mov_b32_e32 v0, v10
.LBB124_17:
	s_or_b64 exec, exec, s[18:19]
	v_mov_b32_e32 v19, v0
                                        ; implicit-def: $vgpr0
.LBB124_18:
	s_or_saveexec_b64 s[4:5], s[4:5]
	v_mov_b32_e32 v18, v19
	s_xor_b64 exec, exec, s[4:5]
	s_cbranch_execz .LBB124_22
; %bb.19:
	s_mov_b32 s16, 16
.LBB124_20:                             ; =>This Inner Loop Header: Depth=1
	v_mov_b32_e32 v13, s16
	buffer_load_dword v10, v13, s[0:3], 0 offen
	buffer_load_dword v11, v13, s[0:3], 0 offen offset:4
	buffer_load_dword v18, v13, s[0:3], 0 offen offset:8
	;; [unrolled: 1-line block ×7, first 2 shown]
	v_add_u32_e32 v13, s16, v16
	s_add_i32 s16, s16, 32
	s_cmpk_eq_i32 s16, 0x3f0
	s_waitcnt vmcnt(4)
	ds_write2_b64 v13, v[10:11], v[18:19] offset1:1
	s_waitcnt vmcnt(0)
	ds_write2_b64 v13, v[20:21], v[22:23] offset0:2 offset1:3
	s_cbranch_scc0 .LBB124_20
; %bb.21:
	v_mov_b32_e32 v19, 0
	v_mov_b32_e32 v18, v0
.LBB124_22:
	s_or_b64 exec, exec, s[4:5]
	v_cmp_lt_i32_e32 vcc, 0, v19
	s_waitcnt vmcnt(0) lgkmcnt(0)
	s_barrier
	s_and_saveexec_b64 s[4:5], vcc
	s_cbranch_execz .LBB124_25
; %bb.23:
	buffer_load_dword v10, off, s[0:3], 0 offset:8
	buffer_load_dword v11, off, s[0:3], 0 offset:12
	buffer_load_dword v20, off, s[0:3], 0
	buffer_load_dword v21, off, s[0:3], 0 offset:4
	s_mov_b32 s16, 16
	s_waitcnt vmcnt(2)
	v_mul_f64 v[22:23], v[3:4], v[10:11]
	v_mul_f64 v[10:11], v[1:2], v[10:11]
	s_waitcnt vmcnt(0)
	v_fma_f64 v[0:1], v[1:2], v[20:21], -v[22:23]
	v_fma_f64 v[2:3], v[3:4], v[20:21], v[10:11]
	buffer_store_dword v0, off, s[0:3], 0
	buffer_store_dword v1, off, s[0:3], 0 offset:4
	buffer_store_dword v2, off, s[0:3], 0 offset:8
	;; [unrolled: 1-line block ×3, first 2 shown]
.LBB124_24:                             ; =>This Inner Loop Header: Depth=1
	v_mov_b32_e32 v4, s16
	buffer_load_dword v10, v4, s[0:3], 0 offen
	buffer_load_dword v11, v4, s[0:3], 0 offen offset:4
	buffer_load_dword v28, v4, s[0:3], 0 offen offset:8
	;; [unrolled: 1-line block ×7, first 2 shown]
	v_add_u32_e32 v13, s16, v16
	ds_read2_b64 v[20:23], v13 offset1:1
	ds_read2_b64 v[24:27], v13 offset0:2 offset1:3
	s_add_i32 s16, s16, 32
	s_cmpk_lg_i32 s16, 0x3f0
	s_waitcnt lgkmcnt(1)
	v_mul_f64 v[34:35], v[22:23], v[2:3]
	v_mul_f64 v[36:37], v[20:21], v[2:3]
	s_waitcnt lgkmcnt(0)
	v_mul_f64 v[38:39], v[26:27], v[2:3]
	v_mul_f64 v[40:41], v[24:25], v[2:3]
	v_fma_f64 v[20:21], v[20:21], v[0:1], -v[34:35]
	v_fma_f64 v[22:23], v[22:23], v[0:1], v[36:37]
	v_fma_f64 v[24:25], v[24:25], v[0:1], -v[38:39]
	v_fma_f64 v[26:27], v[26:27], v[0:1], v[40:41]
	s_waitcnt vmcnt(6)
	v_add_f64 v[10:11], v[10:11], -v[20:21]
	s_waitcnt vmcnt(4)
	v_add_f64 v[20:21], v[28:29], -v[22:23]
	;; [unrolled: 2-line block ×4, first 2 shown]
	buffer_store_dword v10, v4, s[0:3], 0 offen
	buffer_store_dword v11, v4, s[0:3], 0 offen offset:4
	buffer_store_dword v20, v4, s[0:3], 0 offen offset:8
	;; [unrolled: 1-line block ×7, first 2 shown]
	s_cbranch_scc1 .LBB124_24
.LBB124_25:
	s_or_b64 exec, exec, s[4:5]
	v_mov_b32_e32 v3, s83
	s_waitcnt vmcnt(0)
	s_barrier
	buffer_load_dword v0, v3, s[0:3], 0 offen
	buffer_load_dword v1, v3, s[0:3], 0 offen offset:4
	buffer_load_dword v2, v3, s[0:3], 0 offen offset:8
	s_nop 0
	buffer_load_dword v3, v3, s[0:3], 0 offen offset:12
	v_lshl_add_u32 v4, v19, 4, v16
	s_cmp_lt_i32 s65, 3
	s_waitcnt vmcnt(0)
	ds_write2_b64 v4, v[0:1], v[2:3] offset1:1
	s_waitcnt lgkmcnt(0)
	s_barrier
	ds_read2_b64 v[0:3], v16 offset0:2 offset1:3
	v_mov_b32_e32 v4, 1
	s_cbranch_scc1 .LBB124_28
; %bb.26:
	v_add3_u32 v10, v12, 0, 32
	s_mov_b32 s16, 2
	v_mov_b32_e32 v4, 1
.LBB124_27:                             ; =>This Inner Loop Header: Depth=1
	s_waitcnt lgkmcnt(0)
	v_cmp_gt_f64_e32 vcc, 0, v[2:3]
	v_cmp_gt_f64_e64 s[4:5], 0, v[0:1]
	ds_read2_b64 v[20:23], v10 offset1:1
	v_xor_b32_e32 v11, 0x80000000, v1
	v_xor_b32_e32 v13, 0x80000000, v3
	v_mov_b32_e32 v24, v0
	v_mov_b32_e32 v26, v2
	s_waitcnt lgkmcnt(0)
	v_mov_b32_e32 v28, v22
	v_cndmask_b32_e32 v27, v3, v13, vcc
	v_cndmask_b32_e64 v25, v1, v11, s[4:5]
	v_cmp_gt_f64_e32 vcc, 0, v[22:23]
	v_cmp_gt_f64_e64 s[4:5], 0, v[20:21]
	v_xor_b32_e32 v11, 0x80000000, v21
	v_xor_b32_e32 v13, 0x80000000, v23
	v_add_f64 v[24:25], v[24:25], v[26:27]
	v_mov_b32_e32 v26, v20
	v_add_u32_e32 v10, 16, v10
	v_cndmask_b32_e32 v29, v23, v13, vcc
	v_cndmask_b32_e64 v27, v21, v11, s[4:5]
	v_add_f64 v[26:27], v[26:27], v[28:29]
	v_mov_b32_e32 v11, s16
	s_add_i32 s16, s16, 1
	s_cmp_lg_u32 s65, s16
	v_cmp_lt_f64_e32 vcc, v[24:25], v[26:27]
	v_cndmask_b32_e32 v1, v1, v21, vcc
	v_cndmask_b32_e32 v0, v0, v20, vcc
	;; [unrolled: 1-line block ×5, first 2 shown]
	s_cbranch_scc1 .LBB124_27
.LBB124_28:
	s_waitcnt lgkmcnt(0)
	v_cmp_neq_f64_e32 vcc, 0, v[0:1]
	v_cmp_neq_f64_e64 s[4:5], 0, v[2:3]
	s_or_b64 s[16:17], vcc, s[4:5]
	s_and_saveexec_b64 s[4:5], s[16:17]
	s_cbranch_execz .LBB124_34
; %bb.29:
	v_cmp_ngt_f64_e64 s[16:17], |v[0:1]|, |v[2:3]|
	s_and_saveexec_b64 s[18:19], s[16:17]
	s_xor_b64 s[18:19], exec, s[18:19]
	s_cbranch_execz .LBB124_31
; %bb.30:
	v_div_scale_f64 v[10:11], s[16:17], v[2:3], v[2:3], v[0:1]
	v_rcp_f64_e32 v[20:21], v[10:11]
	v_fma_f64 v[22:23], -v[10:11], v[20:21], 1.0
	v_fma_f64 v[20:21], v[20:21], v[22:23], v[20:21]
	v_div_scale_f64 v[22:23], vcc, v[0:1], v[2:3], v[0:1]
	v_fma_f64 v[24:25], -v[10:11], v[20:21], 1.0
	v_fma_f64 v[20:21], v[20:21], v[24:25], v[20:21]
	v_mul_f64 v[24:25], v[22:23], v[20:21]
	v_fma_f64 v[10:11], -v[10:11], v[24:25], v[22:23]
	v_div_fmas_f64 v[10:11], v[10:11], v[20:21], v[24:25]
	v_div_fixup_f64 v[10:11], v[10:11], v[2:3], v[0:1]
	v_fma_f64 v[0:1], v[0:1], v[10:11], v[2:3]
	v_div_scale_f64 v[2:3], s[16:17], v[0:1], v[0:1], 1.0
	v_div_scale_f64 v[24:25], vcc, 1.0, v[0:1], 1.0
	v_rcp_f64_e32 v[20:21], v[2:3]
	v_fma_f64 v[22:23], -v[2:3], v[20:21], 1.0
	v_fma_f64 v[20:21], v[20:21], v[22:23], v[20:21]
	v_fma_f64 v[22:23], -v[2:3], v[20:21], 1.0
	v_fma_f64 v[20:21], v[20:21], v[22:23], v[20:21]
	v_mul_f64 v[22:23], v[24:25], v[20:21]
	v_fma_f64 v[2:3], -v[2:3], v[22:23], v[24:25]
	v_div_fmas_f64 v[2:3], v[2:3], v[20:21], v[22:23]
	v_div_fixup_f64 v[2:3], v[2:3], v[0:1], 1.0
	v_mul_f64 v[0:1], v[10:11], v[2:3]
	v_xor_b32_e32 v3, 0x80000000, v3
.LBB124_31:
	s_andn2_saveexec_b64 s[18:19], s[18:19]
	s_cbranch_execz .LBB124_33
; %bb.32:
	v_div_scale_f64 v[10:11], s[16:17], v[0:1], v[0:1], v[2:3]
	v_rcp_f64_e32 v[20:21], v[10:11]
	v_fma_f64 v[22:23], -v[10:11], v[20:21], 1.0
	v_fma_f64 v[20:21], v[20:21], v[22:23], v[20:21]
	v_div_scale_f64 v[22:23], vcc, v[2:3], v[0:1], v[2:3]
	v_fma_f64 v[24:25], -v[10:11], v[20:21], 1.0
	v_fma_f64 v[20:21], v[20:21], v[24:25], v[20:21]
	v_mul_f64 v[24:25], v[22:23], v[20:21]
	v_fma_f64 v[10:11], -v[10:11], v[24:25], v[22:23]
	v_div_fmas_f64 v[10:11], v[10:11], v[20:21], v[24:25]
	v_div_fixup_f64 v[10:11], v[10:11], v[0:1], v[2:3]
	v_fma_f64 v[0:1], v[2:3], v[10:11], v[0:1]
	v_div_scale_f64 v[2:3], s[16:17], v[0:1], v[0:1], 1.0
	v_div_scale_f64 v[24:25], vcc, 1.0, v[0:1], 1.0
	v_rcp_f64_e32 v[20:21], v[2:3]
	v_fma_f64 v[22:23], -v[2:3], v[20:21], 1.0
	v_fma_f64 v[20:21], v[20:21], v[22:23], v[20:21]
	v_fma_f64 v[22:23], -v[2:3], v[20:21], 1.0
	v_fma_f64 v[20:21], v[20:21], v[22:23], v[20:21]
	v_mul_f64 v[22:23], v[24:25], v[20:21]
	v_fma_f64 v[2:3], -v[2:3], v[22:23], v[24:25]
	v_div_fmas_f64 v[2:3], v[2:3], v[20:21], v[22:23]
	v_div_fixup_f64 v[0:1], v[2:3], v[0:1], 1.0
	v_mul_f64 v[2:3], v[10:11], -v[0:1]
.LBB124_33:
	s_or_b64 exec, exec, s[18:19]
	v_mov_b32_e32 v17, v5
.LBB124_34:
	s_or_b64 exec, exec, s[4:5]
	v_cmp_ne_u32_e32 vcc, v19, v4
	s_and_saveexec_b64 s[4:5], vcc
	s_xor_b64 s[4:5], exec, s[4:5]
	s_cbranch_execz .LBB124_40
; %bb.35:
	v_cmp_eq_u32_e32 vcc, 1, v19
	s_and_saveexec_b64 s[18:19], vcc
	s_cbranch_execz .LBB124_39
; %bb.36:
	v_cmp_ne_u32_e32 vcc, 1, v4
	s_xor_b64 s[16:17], s[10:11], -1
	s_and_b64 s[16:17], s[16:17], vcc
	s_and_saveexec_b64 s[24:25], s[16:17]
	s_cbranch_execz .LBB124_38
; %bb.37:
	v_ashrrev_i32_e32 v5, 31, v4
	v_lshlrev_b64 v[10:11], 2, v[4:5]
	v_add_co_u32_e32 v10, vcc, v8, v10
	v_addc_co_u32_e32 v11, vcc, v9, v11, vcc
	global_load_dword v5, v[10:11], off
	global_load_dword v13, v[8:9], off offset:4
	s_waitcnt vmcnt(1)
	global_store_dword v[8:9], v5, off offset:4
	s_waitcnt vmcnt(1)
	global_store_dword v[10:11], v13, off
.LBB124_38:
	s_or_b64 exec, exec, s[24:25]
	v_mov_b32_e32 v19, v4
	v_mov_b32_e32 v18, v4
.LBB124_39:
	s_or_b64 exec, exec, s[18:19]
.LBB124_40:
	s_andn2_saveexec_b64 s[4:5], s[4:5]
	s_cbranch_execz .LBB124_46
; %bb.41:
	s_mov_b32 s16, 32
	s_branch .LBB124_43
.LBB124_42:                             ;   in Loop: Header=BB124_43 Depth=1
	s_andn2_b64 vcc, exec, s[18:19]
	s_cbranch_vccz .LBB124_45
.LBB124_43:                             ; =>This Inner Loop Header: Depth=1
	v_mov_b32_e32 v4, s16
	buffer_load_dword v10, v4, s[0:3], 0 offen
	buffer_load_dword v11, v4, s[0:3], 0 offen offset:4
	buffer_load_dword v19, v4, s[0:3], 0 offen offset:8
	;; [unrolled: 1-line block ×19, first 2 shown]
	s_mov_b32 s17, s16
	v_add_u32_e32 v4, s16, v16
	s_cmpk_eq_i32 s16, 0x3a0
	s_mov_b64 s[18:19], -1
	s_waitcnt vmcnt(16)
	ds_write2_b64 v4, v[10:11], v[19:20] offset1:1
	s_waitcnt vmcnt(12)
	ds_write2_b64 v4, v[21:22], v[23:24] offset0:2 offset1:3
	s_waitcnt vmcnt(8)
	ds_write2_b64 v4, v[25:26], v[27:28] offset0:4 offset1:5
	;; [unrolled: 2-line block ×4, first 2 shown]
	s_cbranch_scc1 .LBB124_42
; %bb.44:                               ;   in Loop: Header=BB124_43 Depth=1
	v_mov_b32_e32 v5, s17
	buffer_load_dword v10, v5, s[0:3], 0 offen offset:80
	buffer_load_dword v11, v5, s[0:3], 0 offen offset:84
	buffer_load_dword v19, v5, s[0:3], 0 offen offset:88
	buffer_load_dword v20, v5, s[0:3], 0 offen offset:92
	buffer_load_dword v21, v5, s[0:3], 0 offen offset:96
	buffer_load_dword v22, v5, s[0:3], 0 offen offset:100
	buffer_load_dword v23, v5, s[0:3], 0 offen offset:104
	buffer_load_dword v24, v5, s[0:3], 0 offen offset:108
	buffer_load_dword v25, v5, s[0:3], 0 offen offset:112
	buffer_load_dword v26, v5, s[0:3], 0 offen offset:116
	buffer_load_dword v27, v5, s[0:3], 0 offen offset:120
	buffer_load_dword v28, v5, s[0:3], 0 offen offset:124
	s_addk_i32 s16, 0x80
	s_mov_b64 s[18:19], 0
	s_waitcnt vmcnt(8)
	ds_write2_b64 v4, v[10:11], v[19:20] offset0:10 offset1:11
	s_waitcnt vmcnt(4)
	ds_write2_b64 v4, v[21:22], v[23:24] offset0:12 offset1:13
	s_waitcnt vmcnt(0)
	ds_write2_b64 v4, v[25:26], v[27:28] offset0:14 offset1:15
	s_branch .LBB124_42
.LBB124_45:
	v_mov_b32_e32 v19, 1
.LBB124_46:
	s_or_b64 exec, exec, s[4:5]
	v_cmp_lt_i32_e32 vcc, 1, v19
	s_waitcnt vmcnt(0) lgkmcnt(0)
	s_barrier
	s_and_saveexec_b64 s[4:5], vcc
	s_cbranch_execz .LBB124_51
; %bb.47:
	buffer_load_dword v4, off, s[0:3], 0 offset:24
	buffer_load_dword v5, off, s[0:3], 0 offset:28
	;; [unrolled: 1-line block ×4, first 2 shown]
	s_mov_b32 s24, 32
	s_waitcnt vmcnt(2)
	v_mul_f64 v[20:21], v[2:3], v[4:5]
	v_mul_f64 v[22:23], v[0:1], v[4:5]
	s_waitcnt vmcnt(0)
	v_fma_f64 v[4:5], v[0:1], v[10:11], -v[20:21]
	v_fma_f64 v[0:1], v[2:3], v[10:11], v[22:23]
	buffer_store_dword v4, off, s[0:3], 0 offset:16
	buffer_store_dword v5, off, s[0:3], 0 offset:20
	buffer_store_dword v0, off, s[0:3], 0 offset:24
	buffer_store_dword v1, off, s[0:3], 0 offset:28
	s_branch .LBB124_49
.LBB124_48:                             ;   in Loop: Header=BB124_49 Depth=1
	s_andn2_b64 vcc, exec, s[18:19]
	s_cbranch_vccz .LBB124_51
.LBB124_49:                             ; =>This Inner Loop Header: Depth=1
	v_mov_b32_e32 v13, s24
	buffer_load_dword v10, v13, s[0:3], 0 offen
	buffer_load_dword v11, v13, s[0:3], 0 offen offset:4
	buffer_load_dword v24, v13, s[0:3], 0 offen offset:8
	;; [unrolled: 1-line block ×3, first 2 shown]
	v_add_u32_e32 v2, s24, v16
	ds_read2_b64 v[20:23], v2 offset1:1
	s_mov_b32 s16, s24
	s_cmpk_eq_i32 s24, 0x3e0
	s_mov_b64 s[18:19], -1
	s_waitcnt lgkmcnt(0)
	v_mul_f64 v[26:27], v[22:23], v[0:1]
	v_mul_f64 v[0:1], v[20:21], v[0:1]
	v_fma_f64 v[20:21], v[20:21], v[4:5], -v[26:27]
	v_fma_f64 v[0:1], v[22:23], v[4:5], v[0:1]
	s_waitcnt vmcnt(2)
	v_add_f64 v[3:4], v[10:11], -v[20:21]
	s_waitcnt vmcnt(0)
	v_add_f64 v[0:1], v[24:25], -v[0:1]
	buffer_store_dword v3, v13, s[0:3], 0 offen
	buffer_store_dword v4, v13, s[0:3], 0 offen offset:4
	buffer_store_dword v0, v13, s[0:3], 0 offen offset:8
	;; [unrolled: 1-line block ×3, first 2 shown]
                                        ; implicit-def: $vgpr4_vgpr5
                                        ; implicit-def: $vgpr0_vgpr1
	s_cbranch_scc1 .LBB124_48
; %bb.50:                               ;   in Loop: Header=BB124_49 Depth=1
	buffer_load_dword v0, off, s[0:3], 0 offset:24
	buffer_load_dword v1, off, s[0:3], 0 offset:28
	v_mov_b32_e32 v13, s16
	buffer_load_dword v4, off, s[0:3], 0 offset:16
	buffer_load_dword v10, v13, s[0:3], 0 offen offset:16
	buffer_load_dword v11, v13, s[0:3], 0 offen offset:20
	;; [unrolled: 1-line block ×4, first 2 shown]
	buffer_load_dword v5, off, s[0:3], 0 offset:20
	buffer_load_dword v34, v13, s[0:3], 0 offen offset:32
	buffer_load_dword v35, v13, s[0:3], 0 offen offset:36
	;; [unrolled: 1-line block ×8, first 2 shown]
	ds_read2_b64 v[20:23], v2 offset0:2 offset1:3
	ds_read2_b64 v[24:27], v2 offset0:4 offset1:5
	;; [unrolled: 1-line block ×3, first 2 shown]
	s_add_i32 s24, s24, 64
	s_mov_b64 s[18:19], 0
	s_waitcnt vmcnt(14) lgkmcnt(2)
	v_mul_f64 v[42:43], v[22:23], v[0:1]
	v_mul_f64 v[2:3], v[20:21], v[0:1]
	s_waitcnt lgkmcnt(1)
	v_mul_f64 v[44:45], v[26:27], v[0:1]
	v_mul_f64 v[46:47], v[24:25], v[0:1]
	s_waitcnt lgkmcnt(0)
	v_mul_f64 v[48:49], v[30:31], v[0:1]
	v_mul_f64 v[50:51], v[28:29], v[0:1]
	s_waitcnt vmcnt(8)
	v_fma_f64 v[20:21], v[20:21], v[4:5], -v[42:43]
	v_fma_f64 v[2:3], v[22:23], v[4:5], v[2:3]
	v_fma_f64 v[22:23], v[24:25], v[4:5], -v[44:45]
	v_fma_f64 v[24:25], v[26:27], v[4:5], v[46:47]
	v_fma_f64 v[26:27], v[28:29], v[4:5], -v[48:49]
	v_fma_f64 v[28:29], v[30:31], v[4:5], v[50:51]
	v_add_f64 v[10:11], v[10:11], -v[20:21]
	v_add_f64 v[2:3], v[32:33], -v[2:3]
	s_waitcnt vmcnt(6)
	v_add_f64 v[20:21], v[34:35], -v[22:23]
	s_waitcnt vmcnt(4)
	;; [unrolled: 2-line block ×4, first 2 shown]
	v_add_f64 v[26:27], v[40:41], -v[28:29]
	buffer_store_dword v10, v13, s[0:3], 0 offen offset:16
	buffer_store_dword v11, v13, s[0:3], 0 offen offset:20
	buffer_store_dword v2, v13, s[0:3], 0 offen offset:24
	buffer_store_dword v3, v13, s[0:3], 0 offen offset:28
	buffer_store_dword v20, v13, s[0:3], 0 offen offset:32
	buffer_store_dword v21, v13, s[0:3], 0 offen offset:36
	buffer_store_dword v22, v13, s[0:3], 0 offen offset:40
	buffer_store_dword v23, v13, s[0:3], 0 offen offset:44
	buffer_store_dword v24, v13, s[0:3], 0 offen offset:48
	buffer_store_dword v25, v13, s[0:3], 0 offen offset:52
	buffer_store_dword v26, v13, s[0:3], 0 offen offset:56
	buffer_store_dword v27, v13, s[0:3], 0 offen offset:60
	s_branch .LBB124_48
.LBB124_51:
	s_or_b64 exec, exec, s[4:5]
	v_mov_b32_e32 v3, s82
	s_waitcnt vmcnt(0)
	s_barrier
	buffer_load_dword v0, v3, s[0:3], 0 offen
	buffer_load_dword v1, v3, s[0:3], 0 offen offset:4
	buffer_load_dword v2, v3, s[0:3], 0 offen offset:8
	s_nop 0
	buffer_load_dword v3, v3, s[0:3], 0 offen offset:12
	v_lshl_add_u32 v4, v19, 4, v16
	s_cmp_lt_i32 s65, 4
	s_waitcnt vmcnt(0)
	ds_write2_b64 v4, v[0:1], v[2:3] offset1:1
	s_waitcnt lgkmcnt(0)
	s_barrier
	ds_read2_b64 v[0:3], v16 offset0:4 offset1:5
	v_mov_b32_e32 v4, 2
	s_cbranch_scc1 .LBB124_54
; %bb.52:
	v_add3_u32 v5, v12, 0, 48
	s_mov_b32 s16, 3
	v_mov_b32_e32 v4, 2
.LBB124_53:                             ; =>This Inner Loop Header: Depth=1
	s_waitcnt lgkmcnt(0)
	v_cmp_gt_f64_e32 vcc, 0, v[2:3]
	v_cmp_gt_f64_e64 s[4:5], 0, v[0:1]
	ds_read2_b64 v[20:23], v5 offset1:1
	v_xor_b32_e32 v11, 0x80000000, v1
	v_xor_b32_e32 v13, 0x80000000, v3
	v_mov_b32_e32 v10, v0
	v_mov_b32_e32 v24, v2
	s_waitcnt lgkmcnt(0)
	v_xor_b32_e32 v27, 0x80000000, v23
	v_cndmask_b32_e32 v25, v3, v13, vcc
	v_cndmask_b32_e64 v11, v1, v11, s[4:5]
	v_cmp_gt_f64_e32 vcc, 0, v[22:23]
	v_cmp_gt_f64_e64 s[4:5], 0, v[20:21]
	v_xor_b32_e32 v13, 0x80000000, v21
	v_add_f64 v[10:11], v[10:11], v[24:25]
	v_mov_b32_e32 v24, v20
	v_mov_b32_e32 v26, v22
	v_add_u32_e32 v5, 16, v5
	v_cndmask_b32_e32 v27, v23, v27, vcc
	v_cndmask_b32_e64 v25, v21, v13, s[4:5]
	v_add_f64 v[24:25], v[24:25], v[26:27]
	v_mov_b32_e32 v13, s16
	s_add_i32 s16, s16, 1
	s_cmp_lg_u32 s65, s16
	v_cmp_lt_f64_e32 vcc, v[10:11], v[24:25]
	v_cndmask_b32_e32 v1, v1, v21, vcc
	v_cndmask_b32_e32 v0, v0, v20, vcc
	;; [unrolled: 1-line block ×5, first 2 shown]
	s_cbranch_scc1 .LBB124_53
.LBB124_54:
	s_waitcnt lgkmcnt(0)
	v_cmp_eq_f64_e32 vcc, 0, v[0:1]
	v_cmp_eq_f64_e64 s[4:5], 0, v[2:3]
	s_and_b64 s[4:5], vcc, s[4:5]
	s_and_saveexec_b64 s[16:17], s[4:5]
	s_xor_b64 s[4:5], exec, s[16:17]
; %bb.55:
	v_cmp_ne_u32_e32 vcc, 0, v17
	v_cndmask_b32_e32 v17, 3, v17, vcc
; %bb.56:
	s_andn2_saveexec_b64 s[4:5], s[4:5]
	s_cbranch_execz .LBB124_62
; %bb.57:
	v_cmp_ngt_f64_e64 s[16:17], |v[0:1]|, |v[2:3]|
	s_and_saveexec_b64 s[18:19], s[16:17]
	s_xor_b64 s[18:19], exec, s[18:19]
	s_cbranch_execz .LBB124_59
; %bb.58:
	v_div_scale_f64 v[10:11], s[16:17], v[2:3], v[2:3], v[0:1]
	v_rcp_f64_e32 v[20:21], v[10:11]
	v_fma_f64 v[22:23], -v[10:11], v[20:21], 1.0
	v_fma_f64 v[20:21], v[20:21], v[22:23], v[20:21]
	v_div_scale_f64 v[22:23], vcc, v[0:1], v[2:3], v[0:1]
	v_fma_f64 v[24:25], -v[10:11], v[20:21], 1.0
	v_fma_f64 v[20:21], v[20:21], v[24:25], v[20:21]
	v_mul_f64 v[24:25], v[22:23], v[20:21]
	v_fma_f64 v[10:11], -v[10:11], v[24:25], v[22:23]
	v_div_fmas_f64 v[10:11], v[10:11], v[20:21], v[24:25]
	v_div_fixup_f64 v[10:11], v[10:11], v[2:3], v[0:1]
	v_fma_f64 v[0:1], v[0:1], v[10:11], v[2:3]
	v_div_scale_f64 v[2:3], s[16:17], v[0:1], v[0:1], 1.0
	v_div_scale_f64 v[24:25], vcc, 1.0, v[0:1], 1.0
	v_rcp_f64_e32 v[20:21], v[2:3]
	v_fma_f64 v[22:23], -v[2:3], v[20:21], 1.0
	v_fma_f64 v[20:21], v[20:21], v[22:23], v[20:21]
	v_fma_f64 v[22:23], -v[2:3], v[20:21], 1.0
	v_fma_f64 v[20:21], v[20:21], v[22:23], v[20:21]
	v_mul_f64 v[22:23], v[24:25], v[20:21]
	v_fma_f64 v[2:3], -v[2:3], v[22:23], v[24:25]
	v_div_fmas_f64 v[2:3], v[2:3], v[20:21], v[22:23]
	v_div_fixup_f64 v[2:3], v[2:3], v[0:1], 1.0
	v_mul_f64 v[0:1], v[10:11], v[2:3]
	v_xor_b32_e32 v3, 0x80000000, v3
.LBB124_59:
	s_andn2_saveexec_b64 s[18:19], s[18:19]
	s_cbranch_execz .LBB124_61
; %bb.60:
	v_div_scale_f64 v[10:11], s[16:17], v[0:1], v[0:1], v[2:3]
	v_rcp_f64_e32 v[20:21], v[10:11]
	v_fma_f64 v[22:23], -v[10:11], v[20:21], 1.0
	v_fma_f64 v[20:21], v[20:21], v[22:23], v[20:21]
	v_div_scale_f64 v[22:23], vcc, v[2:3], v[0:1], v[2:3]
	v_fma_f64 v[24:25], -v[10:11], v[20:21], 1.0
	v_fma_f64 v[20:21], v[20:21], v[24:25], v[20:21]
	v_mul_f64 v[24:25], v[22:23], v[20:21]
	v_fma_f64 v[10:11], -v[10:11], v[24:25], v[22:23]
	v_div_fmas_f64 v[10:11], v[10:11], v[20:21], v[24:25]
	v_div_fixup_f64 v[10:11], v[10:11], v[0:1], v[2:3]
	v_fma_f64 v[0:1], v[2:3], v[10:11], v[0:1]
	v_div_scale_f64 v[2:3], s[16:17], v[0:1], v[0:1], 1.0
	v_div_scale_f64 v[24:25], vcc, 1.0, v[0:1], 1.0
	v_rcp_f64_e32 v[20:21], v[2:3]
	v_fma_f64 v[22:23], -v[2:3], v[20:21], 1.0
	v_fma_f64 v[20:21], v[20:21], v[22:23], v[20:21]
	v_fma_f64 v[22:23], -v[2:3], v[20:21], 1.0
	v_fma_f64 v[20:21], v[20:21], v[22:23], v[20:21]
	v_mul_f64 v[22:23], v[24:25], v[20:21]
	v_fma_f64 v[2:3], -v[2:3], v[22:23], v[24:25]
	v_div_fmas_f64 v[2:3], v[2:3], v[20:21], v[22:23]
	v_div_fixup_f64 v[0:1], v[2:3], v[0:1], 1.0
	v_mul_f64 v[2:3], v[10:11], -v[0:1]
.LBB124_61:
	s_or_b64 exec, exec, s[18:19]
.LBB124_62:
	s_or_b64 exec, exec, s[4:5]
	v_cmp_ne_u32_e32 vcc, v19, v4
	s_and_saveexec_b64 s[4:5], vcc
	s_xor_b64 s[4:5], exec, s[4:5]
	s_cbranch_execz .LBB124_68
; %bb.63:
	v_cmp_eq_u32_e32 vcc, 2, v19
	s_and_saveexec_b64 s[18:19], vcc
	s_cbranch_execz .LBB124_67
; %bb.64:
	v_cmp_ne_u32_e32 vcc, 2, v4
	s_xor_b64 s[16:17], s[10:11], -1
	s_and_b64 s[16:17], s[16:17], vcc
	s_and_saveexec_b64 s[24:25], s[16:17]
	s_cbranch_execz .LBB124_66
; %bb.65:
	v_ashrrev_i32_e32 v5, 31, v4
	v_lshlrev_b64 v[10:11], 2, v[4:5]
	v_add_co_u32_e32 v10, vcc, v8, v10
	v_addc_co_u32_e32 v11, vcc, v9, v11, vcc
	global_load_dword v5, v[10:11], off
	global_load_dword v13, v[8:9], off offset:8
	s_waitcnt vmcnt(1)
	global_store_dword v[8:9], v5, off offset:8
	s_waitcnt vmcnt(1)
	global_store_dword v[10:11], v13, off
.LBB124_66:
	s_or_b64 exec, exec, s[24:25]
	v_mov_b32_e32 v19, v4
	v_mov_b32_e32 v18, v4
.LBB124_67:
	s_or_b64 exec, exec, s[18:19]
.LBB124_68:
	s_andn2_saveexec_b64 s[4:5], s[4:5]
	s_cbranch_execz .LBB124_72
; %bb.69:
	s_mov_b32 s18, 48
.LBB124_70:                             ; =>This Inner Loop Header: Depth=1
	v_mov_b32_e32 v13, s18
	buffer_load_dword v4, v13, s[0:3], 0 offen
	buffer_load_dword v5, v13, s[0:3], 0 offen offset:4
	buffer_load_dword v10, v13, s[0:3], 0 offen offset:8
	buffer_load_dword v11, v13, s[0:3], 0 offen offset:12
	buffer_load_dword v19, v13, s[0:3], 0 offen offset:16
	buffer_load_dword v20, v13, s[0:3], 0 offen offset:20
	buffer_load_dword v21, v13, s[0:3], 0 offen offset:24
	buffer_load_dword v22, v13, s[0:3], 0 offen offset:28
	buffer_load_dword v23, v13, s[0:3], 0 offen offset:32
	buffer_load_dword v24, v13, s[0:3], 0 offen offset:36
	buffer_load_dword v25, v13, s[0:3], 0 offen offset:40
	buffer_load_dword v26, v13, s[0:3], 0 offen offset:44
	buffer_load_dword v27, v13, s[0:3], 0 offen offset:48
	buffer_load_dword v28, v13, s[0:3], 0 offen offset:52
	buffer_load_dword v29, v13, s[0:3], 0 offen offset:56
	buffer_load_dword v30, v13, s[0:3], 0 offen offset:60
	v_add_u32_e32 v31, s18, v16
	s_addk_i32 s18, 0xf0
	s_cmpk_eq_i32 s18, 0x3f0
	s_waitcnt vmcnt(12)
	ds_write2_b64 v31, v[4:5], v[10:11] offset1:1
	s_waitcnt vmcnt(8)
	ds_write2_b64 v31, v[19:20], v[21:22] offset0:2 offset1:3
	s_waitcnt vmcnt(4)
	ds_write2_b64 v31, v[23:24], v[25:26] offset0:4 offset1:5
	;; [unrolled: 2-line block ×3, first 2 shown]
	buffer_load_dword v5, v13, s[0:3], 0 offen offset:76
	buffer_load_dword v4, v13, s[0:3], 0 offen offset:72
	buffer_load_dword v11, v13, s[0:3], 0 offen offset:68
	buffer_load_dword v10, v13, s[0:3], 0 offen offset:64
	s_waitcnt vmcnt(0)
	ds_write2_b64 v31, v[10:11], v[4:5] offset0:8 offset1:9
	buffer_load_dword v5, v13, s[0:3], 0 offen offset:92
	buffer_load_dword v4, v13, s[0:3], 0 offen offset:88
	buffer_load_dword v11, v13, s[0:3], 0 offen offset:84
	buffer_load_dword v10, v13, s[0:3], 0 offen offset:80
	s_waitcnt vmcnt(0)
	ds_write2_b64 v31, v[10:11], v[4:5] offset0:10 offset1:11
	;; [unrolled: 6-line block ×11, first 2 shown]
	s_cbranch_scc0 .LBB124_70
; %bb.71:
	v_mov_b32_e32 v19, 2
.LBB124_72:
	s_or_b64 exec, exec, s[4:5]
	v_cmp_lt_i32_e32 vcc, 2, v19
	s_waitcnt vmcnt(0) lgkmcnt(0)
	s_barrier
	s_and_saveexec_b64 s[4:5], vcc
	s_cbranch_execz .LBB124_75
; %bb.73:
	buffer_load_dword v4, off, s[0:3], 0 offset:40
	buffer_load_dword v5, off, s[0:3], 0 offset:44
	;; [unrolled: 1-line block ×4, first 2 shown]
	s_mov_b32 s18, 48
	s_waitcnt vmcnt(2)
	v_mul_f64 v[20:21], v[2:3], v[4:5]
	v_mul_f64 v[4:5], v[0:1], v[4:5]
	s_waitcnt vmcnt(0)
	v_fma_f64 v[0:1], v[0:1], v[10:11], -v[20:21]
	v_fma_f64 v[2:3], v[2:3], v[10:11], v[4:5]
	buffer_store_dword v0, off, s[0:3], 0 offset:32
	buffer_store_dword v1, off, s[0:3], 0 offset:36
	;; [unrolled: 1-line block ×4, first 2 shown]
.LBB124_74:                             ; =>This Inner Loop Header: Depth=1
	v_add_u32_e32 v13, s18, v16
	ds_read2_b64 v[20:23], v13 offset1:1
	v_mov_b32_e32 v30, s18
	s_addk_i32 s18, 0x60
	s_cmpk_lg_i32 s18, 0x3f0
	s_waitcnt lgkmcnt(0)
	v_mul_f64 v[4:5], v[22:23], v[2:3]
	v_mul_f64 v[2:3], v[20:21], v[2:3]
	v_fma_f64 v[4:5], v[20:21], v[0:1], -v[4:5]
	v_fma_f64 v[0:1], v[22:23], v[0:1], v[2:3]
	buffer_load_dword v2, v30, s[0:3], 0 offen
	buffer_load_dword v3, v30, s[0:3], 0 offen offset:4
	buffer_load_dword v10, v30, s[0:3], 0 offen offset:8
	;; [unrolled: 1-line block ×11, first 2 shown]
	s_waitcnt vmcnt(10)
	v_add_f64 v[2:3], v[2:3], -v[4:5]
	s_waitcnt vmcnt(8)
	v_add_f64 v[0:1], v[10:11], -v[0:1]
	buffer_store_dword v3, v30, s[0:3], 0 offen offset:4
	buffer_store_dword v2, v30, s[0:3], 0 offen
	buffer_store_dword v1, v30, s[0:3], 0 offen offset:12
	buffer_store_dword v0, v30, s[0:3], 0 offen offset:8
	ds_read2_b64 v[0:3], v13 offset0:2 offset1:3
	buffer_load_dword v5, off, s[0:3], 0 offset:36
	buffer_load_dword v4, off, s[0:3], 0 offset:32
	;; [unrolled: 1-line block ×4, first 2 shown]
	s_waitcnt vmcnt(0) lgkmcnt(0)
	v_mul_f64 v[28:29], v[2:3], v[10:11]
	v_fma_f64 v[28:29], v[0:1], v[4:5], -v[28:29]
	v_mul_f64 v[0:1], v[0:1], v[10:11]
	v_fma_f64 v[0:1], v[2:3], v[4:5], v[0:1]
	v_add_f64 v[2:3], v[20:21], -v[28:29]
	v_add_f64 v[0:1], v[22:23], -v[0:1]
	buffer_store_dword v3, v30, s[0:3], 0 offen offset:20
	buffer_store_dword v2, v30, s[0:3], 0 offen offset:16
	;; [unrolled: 1-line block ×4, first 2 shown]
	ds_read2_b64 v[20:23], v13 offset0:4 offset1:5
	buffer_load_dword v0, off, s[0:3], 0 offset:32
	buffer_load_dword v1, off, s[0:3], 0 offset:36
	;; [unrolled: 1-line block ×4, first 2 shown]
	s_waitcnt vmcnt(0) lgkmcnt(0)
	v_mul_f64 v[4:5], v[22:23], v[2:3]
	v_mul_f64 v[10:11], v[20:21], v[2:3]
	v_fma_f64 v[4:5], v[20:21], v[0:1], -v[4:5]
	v_fma_f64 v[10:11], v[22:23], v[0:1], v[10:11]
	v_add_f64 v[4:5], v[24:25], -v[4:5]
	v_add_f64 v[10:11], v[26:27], -v[10:11]
	buffer_store_dword v5, v30, s[0:3], 0 offen offset:36
	buffer_store_dword v4, v30, s[0:3], 0 offen offset:32
	buffer_store_dword v11, v30, s[0:3], 0 offen offset:44
	buffer_store_dword v10, v30, s[0:3], 0 offen offset:40
	ds_read2_b64 v[20:23], v13 offset0:6 offset1:7
	s_waitcnt lgkmcnt(0)
	v_mul_f64 v[4:5], v[22:23], v[2:3]
	v_mul_f64 v[10:11], v[20:21], v[2:3]
	v_fma_f64 v[4:5], v[20:21], v[0:1], -v[4:5]
	v_fma_f64 v[10:11], v[22:23], v[0:1], v[10:11]
	buffer_load_dword v20, v30, s[0:3], 0 offen offset:48
	buffer_load_dword v21, v30, s[0:3], 0 offen offset:52
	buffer_load_dword v22, v30, s[0:3], 0 offen offset:56
	buffer_load_dword v23, v30, s[0:3], 0 offen offset:60
	s_waitcnt vmcnt(2)
	v_add_f64 v[4:5], v[20:21], -v[4:5]
	s_waitcnt vmcnt(0)
	v_add_f64 v[10:11], v[22:23], -v[10:11]
	buffer_store_dword v5, v30, s[0:3], 0 offen offset:52
	buffer_store_dword v4, v30, s[0:3], 0 offen offset:48
	buffer_store_dword v11, v30, s[0:3], 0 offen offset:60
	buffer_store_dword v10, v30, s[0:3], 0 offen offset:56
	ds_read2_b64 v[20:23], v13 offset0:8 offset1:9
	s_waitcnt lgkmcnt(0)
	v_mul_f64 v[4:5], v[22:23], v[2:3]
	v_mul_f64 v[10:11], v[20:21], v[2:3]
	v_fma_f64 v[4:5], v[20:21], v[0:1], -v[4:5]
	v_fma_f64 v[10:11], v[22:23], v[0:1], v[10:11]
	buffer_load_dword v20, v30, s[0:3], 0 offen offset:64
	buffer_load_dword v21, v30, s[0:3], 0 offen offset:68
	buffer_load_dword v22, v30, s[0:3], 0 offen offset:72
	buffer_load_dword v23, v30, s[0:3], 0 offen offset:76
	s_waitcnt vmcnt(2)
	v_add_f64 v[4:5], v[20:21], -v[4:5]
	s_waitcnt vmcnt(0)
	;; [unrolled: 18-line block ×3, first 2 shown]
	v_add_f64 v[10:11], v[22:23], -v[10:11]
	buffer_store_dword v5, v30, s[0:3], 0 offen offset:84
	buffer_store_dword v4, v30, s[0:3], 0 offen offset:80
	;; [unrolled: 1-line block ×4, first 2 shown]
	s_cbranch_scc1 .LBB124_74
.LBB124_75:
	s_or_b64 exec, exec, s[4:5]
	v_mov_b32_e32 v3, s88
	s_waitcnt vmcnt(0)
	s_barrier
	buffer_load_dword v0, v3, s[0:3], 0 offen
	buffer_load_dword v1, v3, s[0:3], 0 offen offset:4
	buffer_load_dword v2, v3, s[0:3], 0 offen offset:8
	s_nop 0
	buffer_load_dword v3, v3, s[0:3], 0 offen offset:12
	v_lshl_add_u32 v4, v19, 4, v16
	s_mov_b32 s16, 4
	s_cmp_lt_i32 s65, 5
	s_waitcnt vmcnt(0)
	ds_write2_b64 v4, v[0:1], v[2:3] offset1:1
	s_waitcnt lgkmcnt(0)
	s_barrier
	ds_read2_b64 v[0:3], v16 offset0:6 offset1:7
	v_mov_b32_e32 v4, 3
	s_cbranch_scc1 .LBB124_78
; %bb.76:
	v_add3_u32 v5, v12, 0, 64
	v_mov_b32_e32 v4, 3
.LBB124_77:                             ; =>This Inner Loop Header: Depth=1
	s_waitcnt lgkmcnt(0)
	v_cmp_gt_f64_e32 vcc, 0, v[2:3]
	v_cmp_gt_f64_e64 s[4:5], 0, v[0:1]
	ds_read2_b64 v[10:13], v5 offset1:1
	v_xor_b32_e32 v21, 0x80000000, v1
	v_xor_b32_e32 v23, 0x80000000, v3
	v_mov_b32_e32 v20, v0
	v_mov_b32_e32 v22, v2
	s_waitcnt lgkmcnt(0)
	v_xor_b32_e32 v25, 0x80000000, v13
	v_cndmask_b32_e32 v23, v3, v23, vcc
	v_cndmask_b32_e64 v21, v1, v21, s[4:5]
	v_cmp_gt_f64_e32 vcc, 0, v[12:13]
	v_cmp_gt_f64_e64 s[4:5], 0, v[10:11]
	v_add_f64 v[20:21], v[20:21], v[22:23]
	v_xor_b32_e32 v23, 0x80000000, v11
	v_mov_b32_e32 v22, v10
	v_mov_b32_e32 v24, v12
	v_add_u32_e32 v5, 16, v5
	v_cndmask_b32_e32 v25, v13, v25, vcc
	v_cndmask_b32_e64 v23, v11, v23, s[4:5]
	v_add_f64 v[22:23], v[22:23], v[24:25]
	v_mov_b32_e32 v24, s16
	s_add_i32 s16, s16, 1
	s_cmp_lg_u32 s65, s16
	v_cmp_lt_f64_e32 vcc, v[20:21], v[22:23]
	v_cndmask_b32_e32 v1, v1, v11, vcc
	v_cndmask_b32_e32 v0, v0, v10, vcc
	;; [unrolled: 1-line block ×5, first 2 shown]
	s_cbranch_scc1 .LBB124_77
.LBB124_78:
	s_waitcnt lgkmcnt(0)
	v_cmp_eq_f64_e32 vcc, 0, v[0:1]
	v_cmp_eq_f64_e64 s[4:5], 0, v[2:3]
	s_and_b64 s[4:5], vcc, s[4:5]
	s_and_saveexec_b64 s[16:17], s[4:5]
	s_xor_b64 s[4:5], exec, s[16:17]
; %bb.79:
	v_cmp_ne_u32_e32 vcc, 0, v17
	v_cndmask_b32_e32 v17, 4, v17, vcc
; %bb.80:
	s_andn2_saveexec_b64 s[4:5], s[4:5]
	s_cbranch_execz .LBB124_86
; %bb.81:
	v_cmp_ngt_f64_e64 s[16:17], |v[0:1]|, |v[2:3]|
	s_and_saveexec_b64 s[18:19], s[16:17]
	s_xor_b64 s[18:19], exec, s[18:19]
	s_cbranch_execz .LBB124_83
; %bb.82:
	v_div_scale_f64 v[10:11], s[16:17], v[2:3], v[2:3], v[0:1]
	v_rcp_f64_e32 v[12:13], v[10:11]
	v_fma_f64 v[20:21], -v[10:11], v[12:13], 1.0
	v_fma_f64 v[12:13], v[12:13], v[20:21], v[12:13]
	v_div_scale_f64 v[20:21], vcc, v[0:1], v[2:3], v[0:1]
	v_fma_f64 v[22:23], -v[10:11], v[12:13], 1.0
	v_fma_f64 v[12:13], v[12:13], v[22:23], v[12:13]
	v_mul_f64 v[22:23], v[20:21], v[12:13]
	v_fma_f64 v[10:11], -v[10:11], v[22:23], v[20:21]
	v_div_fmas_f64 v[10:11], v[10:11], v[12:13], v[22:23]
	v_div_fixup_f64 v[10:11], v[10:11], v[2:3], v[0:1]
	v_fma_f64 v[0:1], v[0:1], v[10:11], v[2:3]
	v_div_scale_f64 v[2:3], s[16:17], v[0:1], v[0:1], 1.0
	v_div_scale_f64 v[22:23], vcc, 1.0, v[0:1], 1.0
	v_rcp_f64_e32 v[12:13], v[2:3]
	v_fma_f64 v[20:21], -v[2:3], v[12:13], 1.0
	v_fma_f64 v[12:13], v[12:13], v[20:21], v[12:13]
	v_fma_f64 v[20:21], -v[2:3], v[12:13], 1.0
	v_fma_f64 v[12:13], v[12:13], v[20:21], v[12:13]
	v_mul_f64 v[20:21], v[22:23], v[12:13]
	v_fma_f64 v[2:3], -v[2:3], v[20:21], v[22:23]
	v_div_fmas_f64 v[2:3], v[2:3], v[12:13], v[20:21]
	v_div_fixup_f64 v[2:3], v[2:3], v[0:1], 1.0
	v_mul_f64 v[0:1], v[10:11], v[2:3]
	v_xor_b32_e32 v3, 0x80000000, v3
.LBB124_83:
	s_andn2_saveexec_b64 s[18:19], s[18:19]
	s_cbranch_execz .LBB124_85
; %bb.84:
	v_div_scale_f64 v[10:11], s[16:17], v[0:1], v[0:1], v[2:3]
	v_rcp_f64_e32 v[12:13], v[10:11]
	v_fma_f64 v[20:21], -v[10:11], v[12:13], 1.0
	v_fma_f64 v[12:13], v[12:13], v[20:21], v[12:13]
	v_div_scale_f64 v[20:21], vcc, v[2:3], v[0:1], v[2:3]
	v_fma_f64 v[22:23], -v[10:11], v[12:13], 1.0
	v_fma_f64 v[12:13], v[12:13], v[22:23], v[12:13]
	v_mul_f64 v[22:23], v[20:21], v[12:13]
	v_fma_f64 v[10:11], -v[10:11], v[22:23], v[20:21]
	v_div_fmas_f64 v[10:11], v[10:11], v[12:13], v[22:23]
	v_div_fixup_f64 v[10:11], v[10:11], v[0:1], v[2:3]
	v_fma_f64 v[0:1], v[2:3], v[10:11], v[0:1]
	v_div_scale_f64 v[2:3], s[16:17], v[0:1], v[0:1], 1.0
	v_div_scale_f64 v[22:23], vcc, 1.0, v[0:1], 1.0
	v_rcp_f64_e32 v[12:13], v[2:3]
	v_fma_f64 v[20:21], -v[2:3], v[12:13], 1.0
	v_fma_f64 v[12:13], v[12:13], v[20:21], v[12:13]
	v_fma_f64 v[20:21], -v[2:3], v[12:13], 1.0
	v_fma_f64 v[12:13], v[12:13], v[20:21], v[12:13]
	v_mul_f64 v[20:21], v[22:23], v[12:13]
	v_fma_f64 v[2:3], -v[2:3], v[20:21], v[22:23]
	v_div_fmas_f64 v[2:3], v[2:3], v[12:13], v[20:21]
	v_div_fixup_f64 v[0:1], v[2:3], v[0:1], 1.0
	v_mul_f64 v[2:3], v[10:11], -v[0:1]
.LBB124_85:
	s_or_b64 exec, exec, s[18:19]
.LBB124_86:
	s_or_b64 exec, exec, s[4:5]
	v_cmp_ne_u32_e32 vcc, v19, v4
	s_and_saveexec_b64 s[4:5], vcc
	s_xor_b64 s[4:5], exec, s[4:5]
	s_cbranch_execz .LBB124_92
; %bb.87:
	v_cmp_eq_u32_e32 vcc, 3, v19
	s_and_saveexec_b64 s[18:19], vcc
	s_cbranch_execz .LBB124_91
; %bb.88:
	v_cmp_ne_u32_e32 vcc, 3, v4
	s_xor_b64 s[16:17], s[10:11], -1
	s_and_b64 s[16:17], s[16:17], vcc
	s_and_saveexec_b64 s[24:25], s[16:17]
	s_cbranch_execz .LBB124_90
; %bb.89:
	v_ashrrev_i32_e32 v5, 31, v4
	v_lshlrev_b64 v[10:11], 2, v[4:5]
	v_add_co_u32_e32 v10, vcc, v8, v10
	v_addc_co_u32_e32 v11, vcc, v9, v11, vcc
	global_load_dword v5, v[10:11], off
	global_load_dword v12, v[8:9], off offset:12
	s_waitcnt vmcnt(1)
	global_store_dword v[8:9], v5, off offset:12
	s_waitcnt vmcnt(1)
	global_store_dword v[10:11], v12, off
.LBB124_90:
	s_or_b64 exec, exec, s[24:25]
	v_mov_b32_e32 v19, v4
	v_mov_b32_e32 v18, v4
.LBB124_91:
	s_or_b64 exec, exec, s[18:19]
.LBB124_92:
	s_andn2_saveexec_b64 s[4:5], s[4:5]
	s_cbranch_execz .LBB124_98
; %bb.93:
	s_mov_b32 s16, 64
	s_branch .LBB124_95
.LBB124_94:                             ;   in Loop: Header=BB124_95 Depth=1
	s_andn2_b64 vcc, exec, s[18:19]
	s_cbranch_vccz .LBB124_97
.LBB124_95:                             ; =>This Inner Loop Header: Depth=1
	v_mov_b32_e32 v4, s16
	buffer_load_dword v10, v4, s[0:3], 0 offen
	buffer_load_dword v11, v4, s[0:3], 0 offen offset:4
	buffer_load_dword v12, v4, s[0:3], 0 offen offset:8
	;; [unrolled: 1-line block ×11, first 2 shown]
	s_mov_b32 s17, s16
	v_add_u32_e32 v4, s16, v16
	s_cmpk_eq_i32 s16, 0x3c0
	s_mov_b64 s[18:19], -1
	s_waitcnt vmcnt(8)
	ds_write2_b64 v4, v[10:11], v[12:13] offset1:1
	s_waitcnt vmcnt(4)
	ds_write2_b64 v4, v[19:20], v[21:22] offset0:2 offset1:3
	s_waitcnt vmcnt(0)
	ds_write2_b64 v4, v[23:24], v[25:26] offset0:4 offset1:5
	s_cbranch_scc1 .LBB124_94
; %bb.96:                               ;   in Loop: Header=BB124_95 Depth=1
	v_mov_b32_e32 v5, s17
	buffer_load_dword v10, v5, s[0:3], 0 offen offset:48
	buffer_load_dword v11, v5, s[0:3], 0 offen offset:52
	;; [unrolled: 1-line block ×20, first 2 shown]
	s_addk_i32 s16, 0x80
	s_mov_b64 s[18:19], 0
	s_waitcnt vmcnt(16)
	ds_write2_b64 v4, v[10:11], v[12:13] offset0:6 offset1:7
	s_waitcnt vmcnt(12)
	ds_write2_b64 v4, v[19:20], v[21:22] offset0:8 offset1:9
	;; [unrolled: 2-line block ×5, first 2 shown]
	s_branch .LBB124_94
.LBB124_97:
	v_mov_b32_e32 v19, 3
.LBB124_98:
	s_or_b64 exec, exec, s[4:5]
	v_cmp_lt_i32_e32 vcc, 3, v19
	s_waitcnt vmcnt(0) lgkmcnt(0)
	s_barrier
	s_and_saveexec_b64 s[4:5], vcc
	s_cbranch_execz .LBB124_103
; %bb.99:
	buffer_load_dword v4, off, s[0:3], 0 offset:56
	buffer_load_dword v5, off, s[0:3], 0 offset:60
	;; [unrolled: 1-line block ×4, first 2 shown]
	s_mov_b32 s24, 64
	s_waitcnt vmcnt(2)
	v_mul_f64 v[12:13], v[2:3], v[4:5]
	v_mul_f64 v[4:5], v[0:1], v[4:5]
	s_waitcnt vmcnt(0)
	v_fma_f64 v[0:1], v[0:1], v[10:11], -v[12:13]
	v_fma_f64 v[2:3], v[2:3], v[10:11], v[4:5]
	buffer_store_dword v0, off, s[0:3], 0 offset:48
	buffer_store_dword v1, off, s[0:3], 0 offset:52
	;; [unrolled: 1-line block ×4, first 2 shown]
	s_branch .LBB124_101
.LBB124_100:                            ;   in Loop: Header=BB124_101 Depth=1
	s_andn2_b64 vcc, exec, s[18:19]
	s_cbranch_vccz .LBB124_103
.LBB124_101:                            ; =>This Inner Loop Header: Depth=1
	v_mov_b32_e32 v5, s24
	buffer_load_dword v24, v5, s[0:3], 0 offen
	buffer_load_dword v25, v5, s[0:3], 0 offen offset:4
	buffer_load_dword v26, v5, s[0:3], 0 offen offset:8
	;; [unrolled: 1-line block ×3, first 2 shown]
	v_add_u32_e32 v4, s24, v16
	ds_read2_b64 v[10:13], v4 offset1:1
	ds_read2_b64 v[20:23], v4 offset0:2 offset1:3
	s_mov_b32 s16, s24
	s_cmpk_eq_i32 s24, 0x3c0
	s_mov_b64 s[18:19], -1
	s_waitcnt lgkmcnt(1)
	v_mul_f64 v[28:29], v[12:13], v[2:3]
	v_mul_f64 v[2:3], v[10:11], v[2:3]
	v_fma_f64 v[10:11], v[10:11], v[0:1], -v[28:29]
	v_fma_f64 v[0:1], v[12:13], v[0:1], v[2:3]
	buffer_load_dword v2, v5, s[0:3], 0 offen offset:20
	buffer_load_dword v12, v5, s[0:3], 0 offen offset:28
	buffer_load_dword v28, v5, s[0:3], 0 offen offset:40
	s_waitcnt vmcnt(5)
	v_add_f64 v[10:11], v[24:25], -v[10:11]
	s_waitcnt vmcnt(3)
	v_add_f64 v[0:1], v[26:27], -v[0:1]
	buffer_store_dword v11, v5, s[0:3], 0 offen offset:4
	buffer_store_dword v10, v5, s[0:3], 0 offen
	buffer_store_dword v1, v5, s[0:3], 0 offen offset:12
	buffer_store_dword v0, v5, s[0:3], 0 offen offset:8
	buffer_load_dword v11, v5, s[0:3], 0 offen offset:24
	s_nop 0
	buffer_load_dword v13, v5, s[0:3], 0 offen offset:36
	buffer_load_dword v25, off, s[0:3], 0 offset:60
	buffer_load_dword v24, off, s[0:3], 0 offset:56
	;; [unrolled: 1-line block ×4, first 2 shown]
	buffer_load_dword v1, v5, s[0:3], 0 offen offset:16
	s_waitcnt vmcnt(3) lgkmcnt(0)
	v_mul_f64 v[29:30], v[22:23], v[24:25]
	v_mul_f64 v[24:25], v[20:21], v[24:25]
	s_waitcnt vmcnt(1)
	v_fma_f64 v[20:21], v[20:21], v[26:27], -v[29:30]
	v_fma_f64 v[22:23], v[22:23], v[26:27], v[24:25]
	s_waitcnt vmcnt(0)
	v_add_f64 v[0:1], v[1:2], -v[20:21]
	v_add_f64 v[2:3], v[11:12], -v[22:23]
	buffer_store_dword v1, v5, s[0:3], 0 offen offset:20
	buffer_store_dword v0, v5, s[0:3], 0 offen offset:16
	;; [unrolled: 1-line block ×4, first 2 shown]
	buffer_load_dword v29, v5, s[0:3], 0 offen offset:44
	buffer_load_dword v10, off, s[0:3], 0 offset:56
	buffer_load_dword v11, off, s[0:3], 0 offset:60
	;; [unrolled: 1-line block ×4, first 2 shown]
	buffer_load_dword v12, v5, s[0:3], 0 offen offset:32
	ds_read2_b64 v[0:3], v4 offset0:4 offset1:5
	s_waitcnt vmcnt(3) lgkmcnt(0)
	v_mul_f64 v[22:23], v[2:3], v[10:11]
	v_mul_f64 v[10:11], v[0:1], v[10:11]
	s_waitcnt vmcnt(1)
	v_fma_f64 v[0:1], v[0:1], v[20:21], -v[22:23]
	v_fma_f64 v[2:3], v[2:3], v[20:21], v[10:11]
	s_waitcnt vmcnt(0)
	v_add_f64 v[0:1], v[12:13], -v[0:1]
	v_add_f64 v[2:3], v[28:29], -v[2:3]
	buffer_store_dword v1, v5, s[0:3], 0 offen offset:36
	buffer_store_dword v0, v5, s[0:3], 0 offen offset:32
	;; [unrolled: 1-line block ×4, first 2 shown]
                                        ; implicit-def: $vgpr0_vgpr1
                                        ; implicit-def: $vgpr2_vgpr3
	s_cbranch_scc1 .LBB124_100
; %bb.102:                              ;   in Loop: Header=BB124_101 Depth=1
	buffer_load_dword v2, off, s[0:3], 0 offset:56
	buffer_load_dword v3, off, s[0:3], 0 offset:60
	;; [unrolled: 1-line block ×4, first 2 shown]
	v_mov_b32_e32 v26, s16
	buffer_load_dword v20, v26, s[0:3], 0 offen offset:48
	buffer_load_dword v21, v26, s[0:3], 0 offen offset:52
	;; [unrolled: 1-line block ×4, first 2 shown]
	ds_read2_b64 v[10:13], v4 offset0:6 offset1:7
	s_add_i32 s24, s24, 64
	s_mov_b64 s[18:19], 0
	s_waitcnt vmcnt(6) lgkmcnt(0)
	v_mul_f64 v[4:5], v[12:13], v[2:3]
	v_mul_f64 v[24:25], v[10:11], v[2:3]
	s_waitcnt vmcnt(4)
	v_fma_f64 v[4:5], v[10:11], v[0:1], -v[4:5]
	v_fma_f64 v[10:11], v[12:13], v[0:1], v[24:25]
	s_waitcnt vmcnt(2)
	v_add_f64 v[4:5], v[20:21], -v[4:5]
	s_waitcnt vmcnt(0)
	v_add_f64 v[10:11], v[22:23], -v[10:11]
	buffer_store_dword v4, v26, s[0:3], 0 offen offset:48
	buffer_store_dword v5, v26, s[0:3], 0 offen offset:52
	;; [unrolled: 1-line block ×4, first 2 shown]
	s_branch .LBB124_100
.LBB124_103:
	s_or_b64 exec, exec, s[4:5]
	v_mov_b32_e32 v3, s86
	s_waitcnt vmcnt(0)
	s_barrier
	buffer_load_dword v0, v3, s[0:3], 0 offen
	buffer_load_dword v1, v3, s[0:3], 0 offen offset:4
	buffer_load_dword v2, v3, s[0:3], 0 offen offset:8
	s_nop 0
	buffer_load_dword v3, v3, s[0:3], 0 offen offset:12
	v_lshl_add_u32 v4, v19, 4, v16
	s_cmp_lt_i32 s65, 6
	s_waitcnt vmcnt(0)
	ds_write2_b64 v4, v[0:1], v[2:3] offset1:1
	s_waitcnt lgkmcnt(0)
	s_barrier
	ds_read2_b64 v[0:3], v16 offset0:8 offset1:9
	v_mov_b32_e32 v4, 4
	s_cbranch_scc1 .LBB124_106
; %bb.104:
	v_mov_b32_e32 v4, 4
	v_add_u32_e32 v5, 0x50, v16
	s_mov_b32 s16, 5
.LBB124_105:                            ; =>This Inner Loop Header: Depth=1
	s_waitcnt lgkmcnt(0)
	v_cmp_gt_f64_e32 vcc, 0, v[2:3]
	v_cmp_gt_f64_e64 s[4:5], 0, v[0:1]
	ds_read2_b64 v[10:13], v5 offset1:1
	v_xor_b32_e32 v21, 0x80000000, v1
	v_xor_b32_e32 v23, 0x80000000, v3
	v_mov_b32_e32 v20, v0
	v_mov_b32_e32 v22, v2
	s_waitcnt lgkmcnt(0)
	v_xor_b32_e32 v25, 0x80000000, v13
	v_cndmask_b32_e32 v23, v3, v23, vcc
	v_cndmask_b32_e64 v21, v1, v21, s[4:5]
	v_cmp_gt_f64_e32 vcc, 0, v[12:13]
	v_cmp_gt_f64_e64 s[4:5], 0, v[10:11]
	v_add_f64 v[20:21], v[20:21], v[22:23]
	v_xor_b32_e32 v23, 0x80000000, v11
	v_mov_b32_e32 v22, v10
	v_mov_b32_e32 v24, v12
	v_add_u32_e32 v5, 16, v5
	v_cndmask_b32_e32 v25, v13, v25, vcc
	v_cndmask_b32_e64 v23, v11, v23, s[4:5]
	v_add_f64 v[22:23], v[22:23], v[24:25]
	v_mov_b32_e32 v24, s16
	s_add_i32 s16, s16, 1
	s_cmp_lg_u32 s65, s16
	v_cmp_lt_f64_e32 vcc, v[20:21], v[22:23]
	v_cndmask_b32_e32 v1, v1, v11, vcc
	v_cndmask_b32_e32 v0, v0, v10, vcc
	;; [unrolled: 1-line block ×5, first 2 shown]
	s_cbranch_scc1 .LBB124_105
.LBB124_106:
	s_waitcnt lgkmcnt(0)
	v_cmp_eq_f64_e32 vcc, 0, v[0:1]
	v_cmp_eq_f64_e64 s[4:5], 0, v[2:3]
	s_and_b64 s[4:5], vcc, s[4:5]
	s_and_saveexec_b64 s[16:17], s[4:5]
	s_xor_b64 s[4:5], exec, s[16:17]
; %bb.107:
	v_cmp_ne_u32_e32 vcc, 0, v17
	v_cndmask_b32_e32 v17, 5, v17, vcc
; %bb.108:
	s_andn2_saveexec_b64 s[4:5], s[4:5]
	s_cbranch_execz .LBB124_114
; %bb.109:
	v_cmp_ngt_f64_e64 s[16:17], |v[0:1]|, |v[2:3]|
	s_and_saveexec_b64 s[18:19], s[16:17]
	s_xor_b64 s[18:19], exec, s[18:19]
	s_cbranch_execz .LBB124_111
; %bb.110:
	v_div_scale_f64 v[10:11], s[16:17], v[2:3], v[2:3], v[0:1]
	v_rcp_f64_e32 v[12:13], v[10:11]
	v_fma_f64 v[20:21], -v[10:11], v[12:13], 1.0
	v_fma_f64 v[12:13], v[12:13], v[20:21], v[12:13]
	v_div_scale_f64 v[20:21], vcc, v[0:1], v[2:3], v[0:1]
	v_fma_f64 v[22:23], -v[10:11], v[12:13], 1.0
	v_fma_f64 v[12:13], v[12:13], v[22:23], v[12:13]
	v_mul_f64 v[22:23], v[20:21], v[12:13]
	v_fma_f64 v[10:11], -v[10:11], v[22:23], v[20:21]
	v_div_fmas_f64 v[10:11], v[10:11], v[12:13], v[22:23]
	v_div_fixup_f64 v[10:11], v[10:11], v[2:3], v[0:1]
	v_fma_f64 v[0:1], v[0:1], v[10:11], v[2:3]
	v_div_scale_f64 v[2:3], s[16:17], v[0:1], v[0:1], 1.0
	v_div_scale_f64 v[22:23], vcc, 1.0, v[0:1], 1.0
	v_rcp_f64_e32 v[12:13], v[2:3]
	v_fma_f64 v[20:21], -v[2:3], v[12:13], 1.0
	v_fma_f64 v[12:13], v[12:13], v[20:21], v[12:13]
	v_fma_f64 v[20:21], -v[2:3], v[12:13], 1.0
	v_fma_f64 v[12:13], v[12:13], v[20:21], v[12:13]
	v_mul_f64 v[20:21], v[22:23], v[12:13]
	v_fma_f64 v[2:3], -v[2:3], v[20:21], v[22:23]
	v_div_fmas_f64 v[2:3], v[2:3], v[12:13], v[20:21]
	v_div_fixup_f64 v[2:3], v[2:3], v[0:1], 1.0
	v_mul_f64 v[0:1], v[10:11], v[2:3]
	v_xor_b32_e32 v3, 0x80000000, v3
.LBB124_111:
	s_andn2_saveexec_b64 s[18:19], s[18:19]
	s_cbranch_execz .LBB124_113
; %bb.112:
	v_div_scale_f64 v[10:11], s[16:17], v[0:1], v[0:1], v[2:3]
	v_rcp_f64_e32 v[12:13], v[10:11]
	v_fma_f64 v[20:21], -v[10:11], v[12:13], 1.0
	v_fma_f64 v[12:13], v[12:13], v[20:21], v[12:13]
	v_div_scale_f64 v[20:21], vcc, v[2:3], v[0:1], v[2:3]
	v_fma_f64 v[22:23], -v[10:11], v[12:13], 1.0
	v_fma_f64 v[12:13], v[12:13], v[22:23], v[12:13]
	v_mul_f64 v[22:23], v[20:21], v[12:13]
	v_fma_f64 v[10:11], -v[10:11], v[22:23], v[20:21]
	v_div_fmas_f64 v[10:11], v[10:11], v[12:13], v[22:23]
	v_div_fixup_f64 v[10:11], v[10:11], v[0:1], v[2:3]
	v_fma_f64 v[0:1], v[2:3], v[10:11], v[0:1]
	v_div_scale_f64 v[2:3], s[16:17], v[0:1], v[0:1], 1.0
	v_div_scale_f64 v[22:23], vcc, 1.0, v[0:1], 1.0
	v_rcp_f64_e32 v[12:13], v[2:3]
	v_fma_f64 v[20:21], -v[2:3], v[12:13], 1.0
	v_fma_f64 v[12:13], v[12:13], v[20:21], v[12:13]
	v_fma_f64 v[20:21], -v[2:3], v[12:13], 1.0
	v_fma_f64 v[12:13], v[12:13], v[20:21], v[12:13]
	v_mul_f64 v[20:21], v[22:23], v[12:13]
	v_fma_f64 v[2:3], -v[2:3], v[20:21], v[22:23]
	v_div_fmas_f64 v[2:3], v[2:3], v[12:13], v[20:21]
	v_div_fixup_f64 v[0:1], v[2:3], v[0:1], 1.0
	v_mul_f64 v[2:3], v[10:11], -v[0:1]
.LBB124_113:
	s_or_b64 exec, exec, s[18:19]
.LBB124_114:
	s_or_b64 exec, exec, s[4:5]
	v_cmp_ne_u32_e32 vcc, v19, v4
	s_and_saveexec_b64 s[4:5], vcc
	s_xor_b64 s[4:5], exec, s[4:5]
	s_cbranch_execz .LBB124_120
; %bb.115:
	v_cmp_eq_u32_e32 vcc, 4, v19
	s_and_saveexec_b64 s[18:19], vcc
	s_cbranch_execz .LBB124_119
; %bb.116:
	v_cmp_ne_u32_e32 vcc, 4, v4
	s_xor_b64 s[16:17], s[10:11], -1
	s_and_b64 s[16:17], s[16:17], vcc
	s_and_saveexec_b64 s[24:25], s[16:17]
	s_cbranch_execz .LBB124_118
; %bb.117:
	v_ashrrev_i32_e32 v5, 31, v4
	v_lshlrev_b64 v[10:11], 2, v[4:5]
	v_add_co_u32_e32 v10, vcc, v8, v10
	v_addc_co_u32_e32 v11, vcc, v9, v11, vcc
	global_load_dword v5, v[10:11], off
	global_load_dword v12, v[8:9], off offset:16
	s_waitcnt vmcnt(1)
	global_store_dword v[8:9], v5, off offset:16
	s_waitcnt vmcnt(1)
	global_store_dword v[10:11], v12, off
.LBB124_118:
	s_or_b64 exec, exec, s[24:25]
	v_mov_b32_e32 v19, v4
	v_mov_b32_e32 v18, v4
.LBB124_119:
	s_or_b64 exec, exec, s[18:19]
.LBB124_120:
	s_andn2_saveexec_b64 s[4:5], s[4:5]
	s_cbranch_execz .LBB124_124
; %bb.121:
	s_movk_i32 s16, 0x50
.LBB124_122:                            ; =>This Inner Loop Header: Depth=1
	v_mov_b32_e32 v20, s16
	buffer_load_dword v4, v20, s[0:3], 0 offen
	buffer_load_dword v5, v20, s[0:3], 0 offen offset:4
	buffer_load_dword v10, v20, s[0:3], 0 offen offset:8
	;; [unrolled: 1-line block ×6, first 2 shown]
	s_nop 0
	buffer_load_dword v20, v20, s[0:3], 0 offen offset:28
	v_add_u32_e32 v21, s16, v16
	s_add_i32 s16, s16, 32
	s_cmpk_eq_i32 s16, 0x3f0
	s_waitcnt vmcnt(4)
	ds_write2_b64 v21, v[4:5], v[10:11] offset1:1
	s_waitcnt vmcnt(0)
	ds_write2_b64 v21, v[12:13], v[19:20] offset0:2 offset1:3
	s_cbranch_scc0 .LBB124_122
; %bb.123:
	v_mov_b32_e32 v19, 4
.LBB124_124:
	s_or_b64 exec, exec, s[4:5]
	v_cmp_lt_i32_e32 vcc, 4, v19
	s_waitcnt vmcnt(0) lgkmcnt(0)
	s_barrier
	s_and_saveexec_b64 s[4:5], vcc
	s_cbranch_execz .LBB124_127
; %bb.125:
	buffer_load_dword v4, off, s[0:3], 0 offset:72
	buffer_load_dword v5, off, s[0:3], 0 offset:76
	;; [unrolled: 1-line block ×4, first 2 shown]
	s_movk_i32 s16, 0x50
	s_waitcnt vmcnt(2)
	v_mul_f64 v[12:13], v[2:3], v[4:5]
	v_mul_f64 v[4:5], v[0:1], v[4:5]
	s_waitcnt vmcnt(0)
	v_fma_f64 v[0:1], v[0:1], v[10:11], -v[12:13]
	v_fma_f64 v[2:3], v[2:3], v[10:11], v[4:5]
	buffer_store_dword v0, off, s[0:3], 0 offset:64
	buffer_store_dword v1, off, s[0:3], 0 offset:68
	;; [unrolled: 1-line block ×4, first 2 shown]
.LBB124_126:                            ; =>This Inner Loop Header: Depth=1
	buffer_load_dword v4, off, s[0:3], 0 offset:72
	buffer_load_dword v5, off, s[0:3], 0 offset:76
	;; [unrolled: 1-line block ×4, first 2 shown]
	v_mov_b32_e32 v32, s16
	buffer_load_dword v22, v32, s[0:3], 0 offen
	buffer_load_dword v23, v32, s[0:3], 0 offen offset:4
	buffer_load_dword v24, v32, s[0:3], 0 offen offset:8
	;; [unrolled: 1-line block ×3, first 2 shown]
	v_add_u32_e32 v10, s16, v16
	ds_read2_b64 v[0:3], v10 offset1:1
	buffer_load_dword v26, v32, s[0:3], 0 offen offset:16
	buffer_load_dword v27, v32, s[0:3], 0 offen offset:20
	;; [unrolled: 1-line block ×4, first 2 shown]
	ds_read2_b64 v[10:13], v10 offset0:2 offset1:3
	s_add_i32 s16, s16, 32
	s_cmpk_lg_i32 s16, 0x3f0
	s_waitcnt vmcnt(10) lgkmcnt(1)
	v_mul_f64 v[30:31], v[2:3], v[4:5]
	v_mul_f64 v[4:5], v[0:1], v[4:5]
	s_waitcnt vmcnt(8)
	v_fma_f64 v[0:1], v[0:1], v[20:21], -v[30:31]
	v_fma_f64 v[2:3], v[2:3], v[20:21], v[4:5]
	s_waitcnt vmcnt(6)
	v_add_f64 v[0:1], v[22:23], -v[0:1]
	s_waitcnt vmcnt(4)
	v_add_f64 v[2:3], v[24:25], -v[2:3]
	buffer_store_dword v1, v32, s[0:3], 0 offen offset:4
	buffer_store_dword v0, v32, s[0:3], 0 offen
	buffer_store_dword v3, v32, s[0:3], 0 offen offset:12
	buffer_store_dword v2, v32, s[0:3], 0 offen offset:8
	buffer_load_dword v1, off, s[0:3], 0 offset:76
	s_nop 0
	buffer_load_dword v0, off, s[0:3], 0 offset:72
	buffer_load_dword v3, off, s[0:3], 0 offset:68
	;; [unrolled: 1-line block ×3, first 2 shown]
	s_waitcnt vmcnt(2) lgkmcnt(0)
	v_mul_f64 v[4:5], v[12:13], v[0:1]
	v_mul_f64 v[0:1], v[10:11], v[0:1]
	s_waitcnt vmcnt(0)
	v_fma_f64 v[4:5], v[10:11], v[2:3], -v[4:5]
	v_fma_f64 v[0:1], v[12:13], v[2:3], v[0:1]
	v_add_f64 v[2:3], v[26:27], -v[4:5]
	v_add_f64 v[0:1], v[28:29], -v[0:1]
	buffer_store_dword v3, v32, s[0:3], 0 offen offset:20
	buffer_store_dword v2, v32, s[0:3], 0 offen offset:16
	buffer_store_dword v1, v32, s[0:3], 0 offen offset:28
	buffer_store_dword v0, v32, s[0:3], 0 offen offset:24
	s_cbranch_scc1 .LBB124_126
.LBB124_127:
	s_or_b64 exec, exec, s[4:5]
	v_mov_b32_e32 v3, s81
	s_waitcnt vmcnt(0)
	s_barrier
	buffer_load_dword v0, v3, s[0:3], 0 offen
	buffer_load_dword v1, v3, s[0:3], 0 offen offset:4
	buffer_load_dword v2, v3, s[0:3], 0 offen offset:8
	s_nop 0
	buffer_load_dword v3, v3, s[0:3], 0 offen offset:12
	v_lshl_add_u32 v4, v19, 4, v16
	s_cmp_lt_i32 s65, 7
	s_waitcnt vmcnt(0)
	ds_write2_b64 v4, v[0:1], v[2:3] offset1:1
	s_waitcnt lgkmcnt(0)
	s_barrier
	ds_read2_b64 v[0:3], v16 offset0:10 offset1:11
	v_mov_b32_e32 v4, 5
	s_cbranch_scc1 .LBB124_130
; %bb.128:
	v_add_u32_e32 v5, 0x60, v16
	s_mov_b32 s16, 6
	v_mov_b32_e32 v4, 5
.LBB124_129:                            ; =>This Inner Loop Header: Depth=1
	s_waitcnt lgkmcnt(0)
	v_cmp_gt_f64_e32 vcc, 0, v[2:3]
	v_cmp_gt_f64_e64 s[4:5], 0, v[0:1]
	ds_read2_b64 v[10:13], v5 offset1:1
	v_xor_b32_e32 v21, 0x80000000, v1
	v_xor_b32_e32 v23, 0x80000000, v3
	v_mov_b32_e32 v20, v0
	v_mov_b32_e32 v22, v2
	s_waitcnt lgkmcnt(0)
	v_xor_b32_e32 v25, 0x80000000, v13
	v_cndmask_b32_e32 v23, v3, v23, vcc
	v_cndmask_b32_e64 v21, v1, v21, s[4:5]
	v_cmp_gt_f64_e32 vcc, 0, v[12:13]
	v_cmp_gt_f64_e64 s[4:5], 0, v[10:11]
	v_add_f64 v[20:21], v[20:21], v[22:23]
	v_xor_b32_e32 v23, 0x80000000, v11
	v_mov_b32_e32 v22, v10
	v_mov_b32_e32 v24, v12
	v_add_u32_e32 v5, 16, v5
	v_cndmask_b32_e32 v25, v13, v25, vcc
	v_cndmask_b32_e64 v23, v11, v23, s[4:5]
	v_add_f64 v[22:23], v[22:23], v[24:25]
	v_mov_b32_e32 v24, s16
	s_add_i32 s16, s16, 1
	s_cmp_lg_u32 s65, s16
	v_cmp_lt_f64_e32 vcc, v[20:21], v[22:23]
	v_cndmask_b32_e32 v1, v1, v11, vcc
	v_cndmask_b32_e32 v0, v0, v10, vcc
	;; [unrolled: 1-line block ×5, first 2 shown]
	s_cbranch_scc1 .LBB124_129
.LBB124_130:
	s_waitcnt lgkmcnt(0)
	v_cmp_eq_f64_e32 vcc, 0, v[0:1]
	v_cmp_eq_f64_e64 s[4:5], 0, v[2:3]
	s_and_b64 s[4:5], vcc, s[4:5]
	s_and_saveexec_b64 s[16:17], s[4:5]
	s_xor_b64 s[4:5], exec, s[16:17]
; %bb.131:
	v_cmp_ne_u32_e32 vcc, 0, v17
	v_cndmask_b32_e32 v17, 6, v17, vcc
; %bb.132:
	s_andn2_saveexec_b64 s[4:5], s[4:5]
	s_cbranch_execz .LBB124_138
; %bb.133:
	v_cmp_ngt_f64_e64 s[16:17], |v[0:1]|, |v[2:3]|
	s_and_saveexec_b64 s[18:19], s[16:17]
	s_xor_b64 s[18:19], exec, s[18:19]
	s_cbranch_execz .LBB124_135
; %bb.134:
	v_div_scale_f64 v[10:11], s[16:17], v[2:3], v[2:3], v[0:1]
	v_rcp_f64_e32 v[12:13], v[10:11]
	v_fma_f64 v[20:21], -v[10:11], v[12:13], 1.0
	v_fma_f64 v[12:13], v[12:13], v[20:21], v[12:13]
	v_div_scale_f64 v[20:21], vcc, v[0:1], v[2:3], v[0:1]
	v_fma_f64 v[22:23], -v[10:11], v[12:13], 1.0
	v_fma_f64 v[12:13], v[12:13], v[22:23], v[12:13]
	v_mul_f64 v[22:23], v[20:21], v[12:13]
	v_fma_f64 v[10:11], -v[10:11], v[22:23], v[20:21]
	v_div_fmas_f64 v[10:11], v[10:11], v[12:13], v[22:23]
	v_div_fixup_f64 v[10:11], v[10:11], v[2:3], v[0:1]
	v_fma_f64 v[0:1], v[0:1], v[10:11], v[2:3]
	v_div_scale_f64 v[2:3], s[16:17], v[0:1], v[0:1], 1.0
	v_div_scale_f64 v[22:23], vcc, 1.0, v[0:1], 1.0
	v_rcp_f64_e32 v[12:13], v[2:3]
	v_fma_f64 v[20:21], -v[2:3], v[12:13], 1.0
	v_fma_f64 v[12:13], v[12:13], v[20:21], v[12:13]
	v_fma_f64 v[20:21], -v[2:3], v[12:13], 1.0
	v_fma_f64 v[12:13], v[12:13], v[20:21], v[12:13]
	v_mul_f64 v[20:21], v[22:23], v[12:13]
	v_fma_f64 v[2:3], -v[2:3], v[20:21], v[22:23]
	v_div_fmas_f64 v[2:3], v[2:3], v[12:13], v[20:21]
	v_div_fixup_f64 v[2:3], v[2:3], v[0:1], 1.0
	v_mul_f64 v[0:1], v[10:11], v[2:3]
	v_xor_b32_e32 v3, 0x80000000, v3
.LBB124_135:
	s_andn2_saveexec_b64 s[18:19], s[18:19]
	s_cbranch_execz .LBB124_137
; %bb.136:
	v_div_scale_f64 v[10:11], s[16:17], v[0:1], v[0:1], v[2:3]
	v_rcp_f64_e32 v[12:13], v[10:11]
	v_fma_f64 v[20:21], -v[10:11], v[12:13], 1.0
	v_fma_f64 v[12:13], v[12:13], v[20:21], v[12:13]
	v_div_scale_f64 v[20:21], vcc, v[2:3], v[0:1], v[2:3]
	v_fma_f64 v[22:23], -v[10:11], v[12:13], 1.0
	v_fma_f64 v[12:13], v[12:13], v[22:23], v[12:13]
	v_mul_f64 v[22:23], v[20:21], v[12:13]
	v_fma_f64 v[10:11], -v[10:11], v[22:23], v[20:21]
	v_div_fmas_f64 v[10:11], v[10:11], v[12:13], v[22:23]
	v_div_fixup_f64 v[10:11], v[10:11], v[0:1], v[2:3]
	v_fma_f64 v[0:1], v[2:3], v[10:11], v[0:1]
	v_div_scale_f64 v[2:3], s[16:17], v[0:1], v[0:1], 1.0
	v_div_scale_f64 v[22:23], vcc, 1.0, v[0:1], 1.0
	v_rcp_f64_e32 v[12:13], v[2:3]
	v_fma_f64 v[20:21], -v[2:3], v[12:13], 1.0
	v_fma_f64 v[12:13], v[12:13], v[20:21], v[12:13]
	v_fma_f64 v[20:21], -v[2:3], v[12:13], 1.0
	v_fma_f64 v[12:13], v[12:13], v[20:21], v[12:13]
	v_mul_f64 v[20:21], v[22:23], v[12:13]
	v_fma_f64 v[2:3], -v[2:3], v[20:21], v[22:23]
	v_div_fmas_f64 v[2:3], v[2:3], v[12:13], v[20:21]
	v_div_fixup_f64 v[0:1], v[2:3], v[0:1], 1.0
	v_mul_f64 v[2:3], v[10:11], -v[0:1]
.LBB124_137:
	s_or_b64 exec, exec, s[18:19]
.LBB124_138:
	s_or_b64 exec, exec, s[4:5]
	v_cmp_ne_u32_e32 vcc, v19, v4
	s_and_saveexec_b64 s[4:5], vcc
	s_xor_b64 s[4:5], exec, s[4:5]
	s_cbranch_execz .LBB124_144
; %bb.139:
	v_cmp_eq_u32_e32 vcc, 5, v19
	s_and_saveexec_b64 s[18:19], vcc
	s_cbranch_execz .LBB124_143
; %bb.140:
	v_cmp_ne_u32_e32 vcc, 5, v4
	s_xor_b64 s[16:17], s[10:11], -1
	s_and_b64 s[16:17], s[16:17], vcc
	s_and_saveexec_b64 s[24:25], s[16:17]
	s_cbranch_execz .LBB124_142
; %bb.141:
	v_ashrrev_i32_e32 v5, 31, v4
	v_lshlrev_b64 v[10:11], 2, v[4:5]
	v_add_co_u32_e32 v10, vcc, v8, v10
	v_addc_co_u32_e32 v11, vcc, v9, v11, vcc
	global_load_dword v5, v[10:11], off
	global_load_dword v12, v[8:9], off offset:20
	s_waitcnt vmcnt(1)
	global_store_dword v[8:9], v5, off offset:20
	s_waitcnt vmcnt(1)
	global_store_dword v[10:11], v12, off
.LBB124_142:
	s_or_b64 exec, exec, s[24:25]
	v_mov_b32_e32 v19, v4
	v_mov_b32_e32 v18, v4
.LBB124_143:
	s_or_b64 exec, exec, s[18:19]
.LBB124_144:
	s_andn2_saveexec_b64 s[4:5], s[4:5]
	s_cbranch_execz .LBB124_148
; %bb.145:
	s_movk_i32 s16, 0x60
.LBB124_146:                            ; =>This Inner Loop Header: Depth=1
	v_mov_b32_e32 v24, s16
	buffer_load_dword v4, v24, s[0:3], 0 offen
	buffer_load_dword v5, v24, s[0:3], 0 offen offset:4
	buffer_load_dword v10, v24, s[0:3], 0 offen offset:8
	;; [unrolled: 1-line block ×10, first 2 shown]
	s_nop 0
	buffer_load_dword v24, v24, s[0:3], 0 offen offset:44
	v_add_u32_e32 v25, s16, v16
	s_add_i32 s16, s16, 48
	s_cmpk_eq_i32 s16, 0x3f0
	s_waitcnt vmcnt(8)
	ds_write2_b64 v25, v[4:5], v[10:11] offset1:1
	s_waitcnt vmcnt(4)
	ds_write2_b64 v25, v[12:13], v[19:20] offset0:2 offset1:3
	s_waitcnt vmcnt(0)
	ds_write2_b64 v25, v[21:22], v[23:24] offset0:4 offset1:5
	s_cbranch_scc0 .LBB124_146
; %bb.147:
	v_mov_b32_e32 v19, 5
.LBB124_148:
	s_or_b64 exec, exec, s[4:5]
	v_cmp_lt_i32_e32 vcc, 5, v19
	s_waitcnt vmcnt(0) lgkmcnt(0)
	s_barrier
	s_and_saveexec_b64 s[4:5], vcc
	s_cbranch_execz .LBB124_151
; %bb.149:
	buffer_load_dword v4, off, s[0:3], 0 offset:88
	buffer_load_dword v5, off, s[0:3], 0 offset:92
	buffer_load_dword v10, off, s[0:3], 0 offset:80
	buffer_load_dword v11, off, s[0:3], 0 offset:84
	s_movk_i32 s16, 0x60
	s_waitcnt vmcnt(2)
	v_mul_f64 v[12:13], v[2:3], v[4:5]
	v_mul_f64 v[4:5], v[0:1], v[4:5]
	s_waitcnt vmcnt(0)
	v_fma_f64 v[0:1], v[0:1], v[10:11], -v[12:13]
	v_fma_f64 v[2:3], v[2:3], v[10:11], v[4:5]
	buffer_store_dword v0, off, s[0:3], 0 offset:80
	buffer_store_dword v1, off, s[0:3], 0 offset:84
	;; [unrolled: 1-line block ×4, first 2 shown]
.LBB124_150:                            ; =>This Inner Loop Header: Depth=1
	buffer_load_dword v4, off, s[0:3], 0 offset:88
	buffer_load_dword v5, off, s[0:3], 0 offset:92
	;; [unrolled: 1-line block ×4, first 2 shown]
	v_mov_b32_e32 v32, s16
	buffer_load_dword v22, v32, s[0:3], 0 offen
	buffer_load_dword v23, v32, s[0:3], 0 offen offset:4
	buffer_load_dword v24, v32, s[0:3], 0 offen offset:8
	;; [unrolled: 1-line block ×3, first 2 shown]
	v_add_u32_e32 v33, s16, v16
	ds_read2_b64 v[0:3], v33 offset1:1
	buffer_load_dword v26, v32, s[0:3], 0 offen offset:16
	buffer_load_dword v27, v32, s[0:3], 0 offen offset:20
	;; [unrolled: 1-line block ×4, first 2 shown]
	ds_read2_b64 v[10:13], v33 offset0:2 offset1:3
	s_add_i32 s16, s16, 48
	s_cmpk_lg_i32 s16, 0x3f0
	s_waitcnt vmcnt(10) lgkmcnt(1)
	v_mul_f64 v[30:31], v[2:3], v[4:5]
	v_mul_f64 v[4:5], v[0:1], v[4:5]
	s_waitcnt vmcnt(8)
	v_fma_f64 v[0:1], v[0:1], v[20:21], -v[30:31]
	v_fma_f64 v[2:3], v[2:3], v[20:21], v[4:5]
	s_waitcnt vmcnt(6)
	v_add_f64 v[0:1], v[22:23], -v[0:1]
	s_waitcnt vmcnt(4)
	v_add_f64 v[2:3], v[24:25], -v[2:3]
	buffer_store_dword v1, v32, s[0:3], 0 offen offset:4
	buffer_store_dword v0, v32, s[0:3], 0 offen
	buffer_store_dword v3, v32, s[0:3], 0 offen offset:12
	buffer_store_dword v2, v32, s[0:3], 0 offen offset:8
	buffer_load_dword v1, off, s[0:3], 0 offset:92
	s_nop 0
	buffer_load_dword v0, off, s[0:3], 0 offset:88
	buffer_load_dword v3, off, s[0:3], 0 offset:84
	;; [unrolled: 1-line block ×3, first 2 shown]
	buffer_load_dword v4, v32, s[0:3], 0 offen offset:32
	buffer_load_dword v5, v32, s[0:3], 0 offen offset:36
	;; [unrolled: 1-line block ×4, first 2 shown]
	s_waitcnt vmcnt(6) lgkmcnt(0)
	v_mul_f64 v[22:23], v[12:13], v[0:1]
	v_mul_f64 v[0:1], v[10:11], v[0:1]
	s_waitcnt vmcnt(4)
	v_fma_f64 v[10:11], v[10:11], v[2:3], -v[22:23]
	v_fma_f64 v[0:1], v[12:13], v[2:3], v[0:1]
	v_add_f64 v[2:3], v[26:27], -v[10:11]
	v_add_f64 v[0:1], v[28:29], -v[0:1]
	buffer_store_dword v3, v32, s[0:3], 0 offen offset:20
	buffer_store_dword v2, v32, s[0:3], 0 offen offset:16
	;; [unrolled: 1-line block ×4, first 2 shown]
	buffer_load_dword v10, off, s[0:3], 0 offset:88
	buffer_load_dword v11, off, s[0:3], 0 offset:92
	;; [unrolled: 1-line block ×4, first 2 shown]
	ds_read2_b64 v[0:3], v33 offset0:4 offset1:5
	s_waitcnt vmcnt(2) lgkmcnt(0)
	v_mul_f64 v[22:23], v[2:3], v[10:11]
	v_mul_f64 v[10:11], v[0:1], v[10:11]
	s_waitcnt vmcnt(0)
	v_fma_f64 v[0:1], v[0:1], v[12:13], -v[22:23]
	v_fma_f64 v[2:3], v[2:3], v[12:13], v[10:11]
	v_add_f64 v[0:1], v[4:5], -v[0:1]
	v_add_f64 v[2:3], v[20:21], -v[2:3]
	buffer_store_dword v1, v32, s[0:3], 0 offen offset:36
	buffer_store_dword v0, v32, s[0:3], 0 offen offset:32
	;; [unrolled: 1-line block ×4, first 2 shown]
	s_cbranch_scc1 .LBB124_150
.LBB124_151:
	s_or_b64 exec, exec, s[4:5]
	v_mov_b32_e32 v3, s80
	s_waitcnt vmcnt(0)
	s_barrier
	buffer_load_dword v0, v3, s[0:3], 0 offen
	buffer_load_dword v1, v3, s[0:3], 0 offen offset:4
	buffer_load_dword v2, v3, s[0:3], 0 offen offset:8
	s_nop 0
	buffer_load_dword v3, v3, s[0:3], 0 offen offset:12
	v_lshl_add_u32 v4, v19, 4, v16
	s_cmp_lt_i32 s65, 8
	s_waitcnt vmcnt(0)
	ds_write2_b64 v4, v[0:1], v[2:3] offset1:1
	s_waitcnt lgkmcnt(0)
	s_barrier
	ds_read2_b64 v[0:3], v16 offset0:12 offset1:13
	v_mov_b32_e32 v4, 6
	s_cbranch_scc1 .LBB124_154
; %bb.152:
	v_add_u32_e32 v5, 0x70, v16
	s_mov_b32 s16, 7
	v_mov_b32_e32 v4, 6
.LBB124_153:                            ; =>This Inner Loop Header: Depth=1
	s_waitcnt lgkmcnt(0)
	v_cmp_gt_f64_e32 vcc, 0, v[2:3]
	v_cmp_gt_f64_e64 s[4:5], 0, v[0:1]
	ds_read2_b64 v[10:13], v5 offset1:1
	v_xor_b32_e32 v21, 0x80000000, v1
	v_xor_b32_e32 v23, 0x80000000, v3
	v_mov_b32_e32 v20, v0
	v_mov_b32_e32 v22, v2
	s_waitcnt lgkmcnt(0)
	v_xor_b32_e32 v25, 0x80000000, v13
	v_cndmask_b32_e32 v23, v3, v23, vcc
	v_cndmask_b32_e64 v21, v1, v21, s[4:5]
	v_cmp_gt_f64_e32 vcc, 0, v[12:13]
	v_cmp_gt_f64_e64 s[4:5], 0, v[10:11]
	v_add_f64 v[20:21], v[20:21], v[22:23]
	v_xor_b32_e32 v23, 0x80000000, v11
	v_mov_b32_e32 v22, v10
	v_mov_b32_e32 v24, v12
	v_add_u32_e32 v5, 16, v5
	v_cndmask_b32_e32 v25, v13, v25, vcc
	v_cndmask_b32_e64 v23, v11, v23, s[4:5]
	v_add_f64 v[22:23], v[22:23], v[24:25]
	v_mov_b32_e32 v24, s16
	s_add_i32 s16, s16, 1
	s_cmp_lg_u32 s65, s16
	v_cmp_lt_f64_e32 vcc, v[20:21], v[22:23]
	v_cndmask_b32_e32 v1, v1, v11, vcc
	v_cndmask_b32_e32 v0, v0, v10, vcc
	;; [unrolled: 1-line block ×5, first 2 shown]
	s_cbranch_scc1 .LBB124_153
.LBB124_154:
	s_waitcnt lgkmcnt(0)
	v_cmp_eq_f64_e32 vcc, 0, v[0:1]
	v_cmp_eq_f64_e64 s[4:5], 0, v[2:3]
	s_and_b64 s[4:5], vcc, s[4:5]
	s_and_saveexec_b64 s[16:17], s[4:5]
	s_xor_b64 s[4:5], exec, s[16:17]
; %bb.155:
	v_cmp_ne_u32_e32 vcc, 0, v17
	v_cndmask_b32_e32 v17, 7, v17, vcc
; %bb.156:
	s_andn2_saveexec_b64 s[4:5], s[4:5]
	s_cbranch_execz .LBB124_162
; %bb.157:
	v_cmp_ngt_f64_e64 s[16:17], |v[0:1]|, |v[2:3]|
	s_and_saveexec_b64 s[18:19], s[16:17]
	s_xor_b64 s[18:19], exec, s[18:19]
	s_cbranch_execz .LBB124_159
; %bb.158:
	v_div_scale_f64 v[10:11], s[16:17], v[2:3], v[2:3], v[0:1]
	v_rcp_f64_e32 v[12:13], v[10:11]
	v_fma_f64 v[20:21], -v[10:11], v[12:13], 1.0
	v_fma_f64 v[12:13], v[12:13], v[20:21], v[12:13]
	v_div_scale_f64 v[20:21], vcc, v[0:1], v[2:3], v[0:1]
	v_fma_f64 v[22:23], -v[10:11], v[12:13], 1.0
	v_fma_f64 v[12:13], v[12:13], v[22:23], v[12:13]
	v_mul_f64 v[22:23], v[20:21], v[12:13]
	v_fma_f64 v[10:11], -v[10:11], v[22:23], v[20:21]
	v_div_fmas_f64 v[10:11], v[10:11], v[12:13], v[22:23]
	v_div_fixup_f64 v[10:11], v[10:11], v[2:3], v[0:1]
	v_fma_f64 v[0:1], v[0:1], v[10:11], v[2:3]
	v_div_scale_f64 v[2:3], s[16:17], v[0:1], v[0:1], 1.0
	v_div_scale_f64 v[22:23], vcc, 1.0, v[0:1], 1.0
	v_rcp_f64_e32 v[12:13], v[2:3]
	v_fma_f64 v[20:21], -v[2:3], v[12:13], 1.0
	v_fma_f64 v[12:13], v[12:13], v[20:21], v[12:13]
	v_fma_f64 v[20:21], -v[2:3], v[12:13], 1.0
	v_fma_f64 v[12:13], v[12:13], v[20:21], v[12:13]
	v_mul_f64 v[20:21], v[22:23], v[12:13]
	v_fma_f64 v[2:3], -v[2:3], v[20:21], v[22:23]
	v_div_fmas_f64 v[2:3], v[2:3], v[12:13], v[20:21]
	v_div_fixup_f64 v[2:3], v[2:3], v[0:1], 1.0
	v_mul_f64 v[0:1], v[10:11], v[2:3]
	v_xor_b32_e32 v3, 0x80000000, v3
.LBB124_159:
	s_andn2_saveexec_b64 s[18:19], s[18:19]
	s_cbranch_execz .LBB124_161
; %bb.160:
	v_div_scale_f64 v[10:11], s[16:17], v[0:1], v[0:1], v[2:3]
	v_rcp_f64_e32 v[12:13], v[10:11]
	v_fma_f64 v[20:21], -v[10:11], v[12:13], 1.0
	v_fma_f64 v[12:13], v[12:13], v[20:21], v[12:13]
	v_div_scale_f64 v[20:21], vcc, v[2:3], v[0:1], v[2:3]
	v_fma_f64 v[22:23], -v[10:11], v[12:13], 1.0
	v_fma_f64 v[12:13], v[12:13], v[22:23], v[12:13]
	v_mul_f64 v[22:23], v[20:21], v[12:13]
	v_fma_f64 v[10:11], -v[10:11], v[22:23], v[20:21]
	v_div_fmas_f64 v[10:11], v[10:11], v[12:13], v[22:23]
	v_div_fixup_f64 v[10:11], v[10:11], v[0:1], v[2:3]
	v_fma_f64 v[0:1], v[2:3], v[10:11], v[0:1]
	v_div_scale_f64 v[2:3], s[16:17], v[0:1], v[0:1], 1.0
	v_div_scale_f64 v[22:23], vcc, 1.0, v[0:1], 1.0
	v_rcp_f64_e32 v[12:13], v[2:3]
	v_fma_f64 v[20:21], -v[2:3], v[12:13], 1.0
	v_fma_f64 v[12:13], v[12:13], v[20:21], v[12:13]
	v_fma_f64 v[20:21], -v[2:3], v[12:13], 1.0
	v_fma_f64 v[12:13], v[12:13], v[20:21], v[12:13]
	v_mul_f64 v[20:21], v[22:23], v[12:13]
	v_fma_f64 v[2:3], -v[2:3], v[20:21], v[22:23]
	v_div_fmas_f64 v[2:3], v[2:3], v[12:13], v[20:21]
	v_div_fixup_f64 v[0:1], v[2:3], v[0:1], 1.0
	v_mul_f64 v[2:3], v[10:11], -v[0:1]
.LBB124_161:
	s_or_b64 exec, exec, s[18:19]
.LBB124_162:
	s_or_b64 exec, exec, s[4:5]
	v_cmp_ne_u32_e32 vcc, v19, v4
	s_and_saveexec_b64 s[4:5], vcc
	s_xor_b64 s[4:5], exec, s[4:5]
	s_cbranch_execz .LBB124_168
; %bb.163:
	v_cmp_eq_u32_e32 vcc, 6, v19
	s_and_saveexec_b64 s[18:19], vcc
	s_cbranch_execz .LBB124_167
; %bb.164:
	v_cmp_ne_u32_e32 vcc, 6, v4
	s_xor_b64 s[16:17], s[10:11], -1
	s_and_b64 s[16:17], s[16:17], vcc
	s_and_saveexec_b64 s[24:25], s[16:17]
	s_cbranch_execz .LBB124_166
; %bb.165:
	v_ashrrev_i32_e32 v5, 31, v4
	v_lshlrev_b64 v[10:11], 2, v[4:5]
	v_add_co_u32_e32 v10, vcc, v8, v10
	v_addc_co_u32_e32 v11, vcc, v9, v11, vcc
	global_load_dword v5, v[10:11], off
	global_load_dword v12, v[8:9], off offset:24
	s_waitcnt vmcnt(1)
	global_store_dword v[8:9], v5, off offset:24
	s_waitcnt vmcnt(1)
	global_store_dword v[10:11], v12, off
.LBB124_166:
	s_or_b64 exec, exec, s[24:25]
	v_mov_b32_e32 v19, v4
	v_mov_b32_e32 v18, v4
.LBB124_167:
	s_or_b64 exec, exec, s[18:19]
.LBB124_168:
	s_andn2_saveexec_b64 s[4:5], s[4:5]
	s_cbranch_execz .LBB124_172
; %bb.169:
	s_movk_i32 s18, 0x70
.LBB124_170:                            ; =>This Inner Loop Header: Depth=1
	v_mov_b32_e32 v29, s18
	buffer_load_dword v4, v29, s[0:3], 0 offen
	buffer_load_dword v5, v29, s[0:3], 0 offen offset:4
	buffer_load_dword v10, v29, s[0:3], 0 offen offset:8
	;; [unrolled: 1-line block ×15, first 2 shown]
	v_add_u32_e32 v30, s18, v16
	s_addk_i32 s18, 0xe0
	s_cmpk_eq_i32 s18, 0x3f0
	s_waitcnt vmcnt(12)
	ds_write2_b64 v30, v[4:5], v[10:11] offset1:1
	s_waitcnt vmcnt(8)
	ds_write2_b64 v30, v[12:13], v[19:20] offset0:2 offset1:3
	s_waitcnt vmcnt(4)
	ds_write2_b64 v30, v[21:22], v[23:24] offset0:4 offset1:5
	;; [unrolled: 2-line block ×3, first 2 shown]
	buffer_load_dword v5, v29, s[0:3], 0 offen offset:76
	buffer_load_dword v4, v29, s[0:3], 0 offen offset:72
	buffer_load_dword v11, v29, s[0:3], 0 offen offset:68
	buffer_load_dword v10, v29, s[0:3], 0 offen offset:64
	s_waitcnt vmcnt(0)
	ds_write2_b64 v30, v[10:11], v[4:5] offset0:8 offset1:9
	buffer_load_dword v5, v29, s[0:3], 0 offen offset:92
	buffer_load_dword v4, v29, s[0:3], 0 offen offset:88
	buffer_load_dword v11, v29, s[0:3], 0 offen offset:84
	buffer_load_dword v10, v29, s[0:3], 0 offen offset:80
	s_waitcnt vmcnt(0)
	ds_write2_b64 v30, v[10:11], v[4:5] offset0:10 offset1:11
	buffer_load_dword v5, v29, s[0:3], 0 offen offset:108
	buffer_load_dword v4, v29, s[0:3], 0 offen offset:104
	buffer_load_dword v11, v29, s[0:3], 0 offen offset:100
	buffer_load_dword v10, v29, s[0:3], 0 offen offset:96
	s_waitcnt vmcnt(0)
	ds_write2_b64 v30, v[10:11], v[4:5] offset0:12 offset1:13
	buffer_load_dword v5, v29, s[0:3], 0 offen offset:124
	buffer_load_dword v4, v29, s[0:3], 0 offen offset:120
	buffer_load_dword v11, v29, s[0:3], 0 offen offset:116
	buffer_load_dword v10, v29, s[0:3], 0 offen offset:112
	s_waitcnt vmcnt(0)
	ds_write2_b64 v30, v[10:11], v[4:5] offset0:14 offset1:15
	buffer_load_dword v4, v29, s[0:3], 0 offen offset:128
	buffer_load_dword v5, v29, s[0:3], 0 offen offset:132
	buffer_load_dword v10, v29, s[0:3], 0 offen offset:136
	buffer_load_dword v11, v29, s[0:3], 0 offen offset:140
	s_waitcnt vmcnt(0)
	ds_write2_b64 v30, v[4:5], v[10:11] offset0:16 offset1:17
	buffer_load_dword v4, v29, s[0:3], 0 offen offset:144
	buffer_load_dword v5, v29, s[0:3], 0 offen offset:148
	buffer_load_dword v10, v29, s[0:3], 0 offen offset:152
	buffer_load_dword v11, v29, s[0:3], 0 offen offset:156
	s_waitcnt vmcnt(0)
	ds_write2_b64 v30, v[4:5], v[10:11] offset0:18 offset1:19
	buffer_load_dword v4, v29, s[0:3], 0 offen offset:160
	buffer_load_dword v5, v29, s[0:3], 0 offen offset:164
	buffer_load_dword v10, v29, s[0:3], 0 offen offset:168
	buffer_load_dword v11, v29, s[0:3], 0 offen offset:172
	s_waitcnt vmcnt(0)
	ds_write2_b64 v30, v[4:5], v[10:11] offset0:20 offset1:21
	buffer_load_dword v4, v29, s[0:3], 0 offen offset:176
	buffer_load_dword v5, v29, s[0:3], 0 offen offset:180
	buffer_load_dword v10, v29, s[0:3], 0 offen offset:184
	buffer_load_dword v11, v29, s[0:3], 0 offen offset:188
	s_waitcnt vmcnt(0)
	ds_write2_b64 v30, v[4:5], v[10:11] offset0:22 offset1:23
	buffer_load_dword v4, v29, s[0:3], 0 offen offset:192
	buffer_load_dword v5, v29, s[0:3], 0 offen offset:196
	buffer_load_dword v10, v29, s[0:3], 0 offen offset:200
	buffer_load_dword v11, v29, s[0:3], 0 offen offset:204
	s_waitcnt vmcnt(0)
	ds_write2_b64 v30, v[4:5], v[10:11] offset0:24 offset1:25
	buffer_load_dword v4, v29, s[0:3], 0 offen offset:208
	buffer_load_dword v5, v29, s[0:3], 0 offen offset:212
	buffer_load_dword v10, v29, s[0:3], 0 offen offset:216
	buffer_load_dword v11, v29, s[0:3], 0 offen offset:220
	s_waitcnt vmcnt(0)
	ds_write2_b64 v30, v[4:5], v[10:11] offset0:26 offset1:27
	s_cbranch_scc0 .LBB124_170
; %bb.171:
	v_mov_b32_e32 v19, 6
.LBB124_172:
	s_or_b64 exec, exec, s[4:5]
	v_cmp_lt_i32_e32 vcc, 6, v19
	s_waitcnt vmcnt(0) lgkmcnt(0)
	s_barrier
	s_and_saveexec_b64 s[4:5], vcc
	s_cbranch_execz .LBB124_175
; %bb.173:
	buffer_load_dword v4, off, s[0:3], 0 offset:104
	buffer_load_dword v5, off, s[0:3], 0 offset:108
	;; [unrolled: 1-line block ×4, first 2 shown]
	s_movk_i32 s18, 0x70
	s_waitcnt vmcnt(2)
	v_mul_f64 v[12:13], v[2:3], v[4:5]
	v_mul_f64 v[4:5], v[0:1], v[4:5]
	s_waitcnt vmcnt(0)
	v_fma_f64 v[0:1], v[0:1], v[10:11], -v[12:13]
	v_fma_f64 v[2:3], v[2:3], v[10:11], v[4:5]
	buffer_store_dword v0, off, s[0:3], 0 offset:96
	buffer_store_dword v1, off, s[0:3], 0 offset:100
	;; [unrolled: 1-line block ×4, first 2 shown]
.LBB124_174:                            ; =>This Inner Loop Header: Depth=1
	v_mov_b32_e32 v4, s18
	buffer_load_dword v24, v4, s[0:3], 0 offen
	buffer_load_dword v25, v4, s[0:3], 0 offen offset:4
	buffer_load_dword v26, v4, s[0:3], 0 offen offset:8
	;; [unrolled: 1-line block ×3, first 2 shown]
	v_add_u32_e32 v5, s18, v16
	ds_read2_b64 v[10:13], v5 offset1:1
	ds_read2_b64 v[20:23], v5 offset0:2 offset1:3
	buffer_load_dword v28, v4, s[0:3], 0 offen offset:16
	buffer_load_dword v30, v4, s[0:3], 0 offen offset:24
	;; [unrolled: 1-line block ×8, first 2 shown]
	s_addk_i32 s18, 0x70
	s_cmpk_lg_i32 s18, 0x3f0
	s_waitcnt lgkmcnt(1)
	v_mul_f64 v[38:39], v[12:13], v[2:3]
	v_mul_f64 v[2:3], v[10:11], v[2:3]
	v_fma_f64 v[10:11], v[10:11], v[0:1], -v[38:39]
	v_fma_f64 v[0:1], v[12:13], v[0:1], v[2:3]
	s_waitcnt vmcnt(10)
	v_add_f64 v[2:3], v[24:25], -v[10:11]
	s_waitcnt vmcnt(8)
	v_add_f64 v[0:1], v[26:27], -v[0:1]
	buffer_store_dword v3, v4, s[0:3], 0 offen offset:4
	buffer_store_dword v2, v4, s[0:3], 0 offen
	buffer_store_dword v1, v4, s[0:3], 0 offen offset:12
	buffer_store_dword v0, v4, s[0:3], 0 offen offset:8
	buffer_load_dword v1, off, s[0:3], 0 offset:108
	s_nop 0
	buffer_load_dword v0, off, s[0:3], 0 offset:104
	buffer_load_dword v3, off, s[0:3], 0 offset:100
	;; [unrolled: 1-line block ×3, first 2 shown]
	buffer_load_dword v32, v4, s[0:3], 0 offen offset:32
	buffer_load_dword v36, v4, s[0:3], 0 offen offset:44
	;; [unrolled: 1-line block ×4, first 2 shown]
	s_waitcnt vmcnt(6) lgkmcnt(0)
	v_mul_f64 v[10:11], v[22:23], v[0:1]
	v_mul_f64 v[0:1], v[20:21], v[0:1]
	s_waitcnt vmcnt(4)
	v_fma_f64 v[10:11], v[20:21], v[2:3], -v[10:11]
	v_fma_f64 v[0:1], v[22:23], v[2:3], v[0:1]
	v_add_f64 v[2:3], v[28:29], -v[10:11]
	v_add_f64 v[0:1], v[30:31], -v[0:1]
	buffer_store_dword v3, v4, s[0:3], 0 offen offset:20
	buffer_store_dword v2, v4, s[0:3], 0 offen offset:16
	;; [unrolled: 1-line block ×4, first 2 shown]
	buffer_load_dword v20, off, s[0:3], 0 offset:104
	buffer_load_dword v21, off, s[0:3], 0 offset:108
	;; [unrolled: 1-line block ×4, first 2 shown]
	ds_read2_b64 v[0:3], v5 offset0:4 offset1:5
	ds_read2_b64 v[10:13], v5 offset0:6 offset1:7
	s_waitcnt vmcnt(2) lgkmcnt(1)
	v_mul_f64 v[25:26], v[2:3], v[20:21]
	v_mul_f64 v[20:21], v[0:1], v[20:21]
	s_waitcnt vmcnt(0)
	v_fma_f64 v[0:1], v[0:1], v[22:23], -v[25:26]
	v_fma_f64 v[2:3], v[2:3], v[22:23], v[20:21]
	v_add_f64 v[0:1], v[32:33], -v[0:1]
	v_add_f64 v[2:3], v[35:36], -v[2:3]
	buffer_store_dword v1, v4, s[0:3], 0 offen offset:36
	buffer_store_dword v0, v4, s[0:3], 0 offen offset:32
	;; [unrolled: 1-line block ×4, first 2 shown]
	buffer_load_dword v0, off, s[0:3], 0 offset:104
	s_nop 0
	buffer_load_dword v1, off, s[0:3], 0 offset:108
	buffer_load_dword v2, off, s[0:3], 0 offset:96
	;; [unrolled: 1-line block ×3, first 2 shown]
	buffer_load_dword v33, v4, s[0:3], 0 offen offset:48
	buffer_load_dword v21, v4, s[0:3], 0 offen offset:68
	;; [unrolled: 1-line block ×4, first 2 shown]
	s_waitcnt vmcnt(6) lgkmcnt(0)
	v_mul_f64 v[25:26], v[12:13], v[0:1]
	v_mul_f64 v[0:1], v[10:11], v[0:1]
	s_waitcnt vmcnt(4)
	v_fma_f64 v[10:11], v[10:11], v[2:3], -v[25:26]
	v_fma_f64 v[0:1], v[12:13], v[2:3], v[0:1]
	s_waitcnt vmcnt(3)
	v_add_f64 v[2:3], v[33:34], -v[10:11]
	v_add_f64 v[0:1], v[37:38], -v[0:1]
	buffer_store_dword v3, v4, s[0:3], 0 offen offset:52
	buffer_store_dword v2, v4, s[0:3], 0 offen offset:48
	buffer_store_dword v1, v4, s[0:3], 0 offen offset:60
	buffer_store_dword v0, v4, s[0:3], 0 offen offset:56
	buffer_load_dword v26, off, s[0:3], 0 offset:104
	buffer_load_dword v27, off, s[0:3], 0 offset:108
	;; [unrolled: 1-line block ×4, first 2 shown]
	buffer_load_dword v20, v4, s[0:3], 0 offen offset:64
	buffer_load_dword v25, v4, s[0:3], 0 offen offset:76
	ds_read2_b64 v[0:3], v5 offset0:8 offset1:9
	ds_read2_b64 v[10:13], v5 offset0:10 offset1:11
	buffer_load_dword v30, v4, s[0:3], 0 offen offset:88
	buffer_load_dword v32, v4, s[0:3], 0 offen offset:104
	s_waitcnt vmcnt(6) lgkmcnt(1)
	v_mul_f64 v[33:34], v[2:3], v[26:27]
	v_mul_f64 v[26:27], v[0:1], v[26:27]
	s_waitcnt vmcnt(4)
	v_fma_f64 v[0:1], v[0:1], v[28:29], -v[33:34]
	v_fma_f64 v[2:3], v[2:3], v[28:29], v[26:27]
	s_waitcnt vmcnt(3)
	v_add_f64 v[0:1], v[20:21], -v[0:1]
	s_waitcnt vmcnt(2)
	v_add_f64 v[2:3], v[24:25], -v[2:3]
	buffer_store_dword v1, v4, s[0:3], 0 offen offset:68
	buffer_store_dword v0, v4, s[0:3], 0 offen offset:64
	;; [unrolled: 1-line block ×4, first 2 shown]
	buffer_load_dword v0, off, s[0:3], 0 offset:104
	s_nop 0
	buffer_load_dword v1, off, s[0:3], 0 offset:108
	buffer_load_dword v2, off, s[0:3], 0 offset:96
	;; [unrolled: 1-line block ×3, first 2 shown]
	buffer_load_dword v21, v4, s[0:3], 0 offen offset:80
	buffer_load_dword v31, v4, s[0:3], 0 offen offset:92
	;; [unrolled: 1-line block ×3, first 2 shown]
	s_waitcnt vmcnt(5) lgkmcnt(0)
	v_mul_f64 v[24:25], v[12:13], v[0:1]
	v_mul_f64 v[0:1], v[10:11], v[0:1]
	s_waitcnt vmcnt(3)
	v_fma_f64 v[10:11], v[10:11], v[2:3], -v[24:25]
	v_fma_f64 v[0:1], v[12:13], v[2:3], v[0:1]
	s_waitcnt vmcnt(2)
	v_add_f64 v[2:3], v[21:22], -v[10:11]
	s_waitcnt vmcnt(1)
	v_add_f64 v[0:1], v[30:31], -v[0:1]
	buffer_store_dword v3, v4, s[0:3], 0 offen offset:84
	buffer_store_dword v2, v4, s[0:3], 0 offen offset:80
	;; [unrolled: 1-line block ×4, first 2 shown]
	buffer_load_dword v2, off, s[0:3], 0 offset:104
	s_nop 0
	buffer_load_dword v3, off, s[0:3], 0 offset:108
	buffer_load_dword v0, off, s[0:3], 0 offset:96
	buffer_load_dword v1, off, s[0:3], 0 offset:100
	buffer_load_dword v22, v4, s[0:3], 0 offen offset:96
	ds_read2_b64 v[10:13], v5 offset0:12 offset1:13
	s_waitcnt vmcnt(3) lgkmcnt(0)
	v_mul_f64 v[20:21], v[12:13], v[2:3]
	v_mul_f64 v[24:25], v[10:11], v[2:3]
	s_waitcnt vmcnt(1)
	v_fma_f64 v[10:11], v[10:11], v[0:1], -v[20:21]
	v_fma_f64 v[12:13], v[12:13], v[0:1], v[24:25]
	s_waitcnt vmcnt(0)
	v_add_f64 v[10:11], v[22:23], -v[10:11]
	v_add_f64 v[12:13], v[32:33], -v[12:13]
	buffer_store_dword v11, v4, s[0:3], 0 offen offset:100
	buffer_store_dword v10, v4, s[0:3], 0 offen offset:96
	;; [unrolled: 1-line block ×4, first 2 shown]
	s_cbranch_scc1 .LBB124_174
.LBB124_175:
	s_or_b64 exec, exec, s[4:5]
	v_mov_b32_e32 v3, s79
	s_waitcnt vmcnt(0)
	s_barrier
	buffer_load_dword v0, v3, s[0:3], 0 offen
	buffer_load_dword v1, v3, s[0:3], 0 offen offset:4
	buffer_load_dword v2, v3, s[0:3], 0 offen offset:8
	s_nop 0
	buffer_load_dword v3, v3, s[0:3], 0 offen offset:12
	v_lshl_add_u32 v4, v19, 4, v16
	s_cmp_lt_i32 s65, 9
	s_waitcnt vmcnt(0)
	ds_write2_b64 v4, v[0:1], v[2:3] offset1:1
	s_waitcnt lgkmcnt(0)
	s_barrier
	ds_read2_b64 v[0:3], v16 offset0:14 offset1:15
	v_mov_b32_e32 v4, 7
	s_cbranch_scc1 .LBB124_178
; %bb.176:
	v_add_u32_e32 v5, 0x80, v16
	s_mov_b32 s16, 8
	v_mov_b32_e32 v4, 7
.LBB124_177:                            ; =>This Inner Loop Header: Depth=1
	s_waitcnt lgkmcnt(0)
	v_cmp_gt_f64_e32 vcc, 0, v[2:3]
	v_cmp_gt_f64_e64 s[4:5], 0, v[0:1]
	ds_read2_b64 v[10:13], v5 offset1:1
	v_xor_b32_e32 v21, 0x80000000, v1
	v_xor_b32_e32 v23, 0x80000000, v3
	v_mov_b32_e32 v20, v0
	v_mov_b32_e32 v22, v2
	s_waitcnt lgkmcnt(0)
	v_xor_b32_e32 v25, 0x80000000, v13
	v_cndmask_b32_e32 v23, v3, v23, vcc
	v_cndmask_b32_e64 v21, v1, v21, s[4:5]
	v_cmp_gt_f64_e32 vcc, 0, v[12:13]
	v_cmp_gt_f64_e64 s[4:5], 0, v[10:11]
	v_add_f64 v[20:21], v[20:21], v[22:23]
	v_xor_b32_e32 v23, 0x80000000, v11
	v_mov_b32_e32 v22, v10
	v_mov_b32_e32 v24, v12
	v_add_u32_e32 v5, 16, v5
	v_cndmask_b32_e32 v25, v13, v25, vcc
	v_cndmask_b32_e64 v23, v11, v23, s[4:5]
	v_add_f64 v[22:23], v[22:23], v[24:25]
	v_mov_b32_e32 v24, s16
	s_add_i32 s16, s16, 1
	s_cmp_lg_u32 s65, s16
	v_cmp_lt_f64_e32 vcc, v[20:21], v[22:23]
	v_cndmask_b32_e32 v1, v1, v11, vcc
	v_cndmask_b32_e32 v0, v0, v10, vcc
	;; [unrolled: 1-line block ×5, first 2 shown]
	s_cbranch_scc1 .LBB124_177
.LBB124_178:
	s_waitcnt lgkmcnt(0)
	v_cmp_eq_f64_e32 vcc, 0, v[0:1]
	v_cmp_eq_f64_e64 s[4:5], 0, v[2:3]
	s_and_b64 s[4:5], vcc, s[4:5]
	s_and_saveexec_b64 s[16:17], s[4:5]
	s_xor_b64 s[4:5], exec, s[16:17]
; %bb.179:
	v_cmp_ne_u32_e32 vcc, 0, v17
	v_cndmask_b32_e32 v17, 8, v17, vcc
; %bb.180:
	s_andn2_saveexec_b64 s[4:5], s[4:5]
	s_cbranch_execz .LBB124_186
; %bb.181:
	v_cmp_ngt_f64_e64 s[16:17], |v[0:1]|, |v[2:3]|
	s_and_saveexec_b64 s[18:19], s[16:17]
	s_xor_b64 s[18:19], exec, s[18:19]
	s_cbranch_execz .LBB124_183
; %bb.182:
	v_div_scale_f64 v[10:11], s[16:17], v[2:3], v[2:3], v[0:1]
	v_rcp_f64_e32 v[12:13], v[10:11]
	v_fma_f64 v[20:21], -v[10:11], v[12:13], 1.0
	v_fma_f64 v[12:13], v[12:13], v[20:21], v[12:13]
	v_div_scale_f64 v[20:21], vcc, v[0:1], v[2:3], v[0:1]
	v_fma_f64 v[22:23], -v[10:11], v[12:13], 1.0
	v_fma_f64 v[12:13], v[12:13], v[22:23], v[12:13]
	v_mul_f64 v[22:23], v[20:21], v[12:13]
	v_fma_f64 v[10:11], -v[10:11], v[22:23], v[20:21]
	v_div_fmas_f64 v[10:11], v[10:11], v[12:13], v[22:23]
	v_div_fixup_f64 v[10:11], v[10:11], v[2:3], v[0:1]
	v_fma_f64 v[0:1], v[0:1], v[10:11], v[2:3]
	v_div_scale_f64 v[2:3], s[16:17], v[0:1], v[0:1], 1.0
	v_div_scale_f64 v[22:23], vcc, 1.0, v[0:1], 1.0
	v_rcp_f64_e32 v[12:13], v[2:3]
	v_fma_f64 v[20:21], -v[2:3], v[12:13], 1.0
	v_fma_f64 v[12:13], v[12:13], v[20:21], v[12:13]
	v_fma_f64 v[20:21], -v[2:3], v[12:13], 1.0
	v_fma_f64 v[12:13], v[12:13], v[20:21], v[12:13]
	v_mul_f64 v[20:21], v[22:23], v[12:13]
	v_fma_f64 v[2:3], -v[2:3], v[20:21], v[22:23]
	v_div_fmas_f64 v[2:3], v[2:3], v[12:13], v[20:21]
	v_div_fixup_f64 v[2:3], v[2:3], v[0:1], 1.0
	v_mul_f64 v[0:1], v[10:11], v[2:3]
	v_xor_b32_e32 v3, 0x80000000, v3
.LBB124_183:
	s_andn2_saveexec_b64 s[18:19], s[18:19]
	s_cbranch_execz .LBB124_185
; %bb.184:
	v_div_scale_f64 v[10:11], s[16:17], v[0:1], v[0:1], v[2:3]
	v_rcp_f64_e32 v[12:13], v[10:11]
	v_fma_f64 v[20:21], -v[10:11], v[12:13], 1.0
	v_fma_f64 v[12:13], v[12:13], v[20:21], v[12:13]
	v_div_scale_f64 v[20:21], vcc, v[2:3], v[0:1], v[2:3]
	v_fma_f64 v[22:23], -v[10:11], v[12:13], 1.0
	v_fma_f64 v[12:13], v[12:13], v[22:23], v[12:13]
	v_mul_f64 v[22:23], v[20:21], v[12:13]
	v_fma_f64 v[10:11], -v[10:11], v[22:23], v[20:21]
	v_div_fmas_f64 v[10:11], v[10:11], v[12:13], v[22:23]
	v_div_fixup_f64 v[10:11], v[10:11], v[0:1], v[2:3]
	v_fma_f64 v[0:1], v[2:3], v[10:11], v[0:1]
	v_div_scale_f64 v[2:3], s[16:17], v[0:1], v[0:1], 1.0
	v_div_scale_f64 v[22:23], vcc, 1.0, v[0:1], 1.0
	v_rcp_f64_e32 v[12:13], v[2:3]
	v_fma_f64 v[20:21], -v[2:3], v[12:13], 1.0
	v_fma_f64 v[12:13], v[12:13], v[20:21], v[12:13]
	v_fma_f64 v[20:21], -v[2:3], v[12:13], 1.0
	v_fma_f64 v[12:13], v[12:13], v[20:21], v[12:13]
	v_mul_f64 v[20:21], v[22:23], v[12:13]
	v_fma_f64 v[2:3], -v[2:3], v[20:21], v[22:23]
	v_div_fmas_f64 v[2:3], v[2:3], v[12:13], v[20:21]
	v_div_fixup_f64 v[0:1], v[2:3], v[0:1], 1.0
	v_mul_f64 v[2:3], v[10:11], -v[0:1]
.LBB124_185:
	s_or_b64 exec, exec, s[18:19]
.LBB124_186:
	s_or_b64 exec, exec, s[4:5]
	v_cmp_ne_u32_e32 vcc, v19, v4
	s_and_saveexec_b64 s[4:5], vcc
	s_xor_b64 s[4:5], exec, s[4:5]
	s_cbranch_execz .LBB124_192
; %bb.187:
	v_cmp_eq_u32_e32 vcc, 7, v19
	s_and_saveexec_b64 s[18:19], vcc
	s_cbranch_execz .LBB124_191
; %bb.188:
	v_cmp_ne_u32_e32 vcc, 7, v4
	s_xor_b64 s[16:17], s[10:11], -1
	s_and_b64 s[16:17], s[16:17], vcc
	s_and_saveexec_b64 s[24:25], s[16:17]
	s_cbranch_execz .LBB124_190
; %bb.189:
	v_ashrrev_i32_e32 v5, 31, v4
	v_lshlrev_b64 v[10:11], 2, v[4:5]
	v_add_co_u32_e32 v10, vcc, v8, v10
	v_addc_co_u32_e32 v11, vcc, v9, v11, vcc
	global_load_dword v5, v[10:11], off
	global_load_dword v12, v[8:9], off offset:28
	s_waitcnt vmcnt(1)
	global_store_dword v[8:9], v5, off offset:28
	s_waitcnt vmcnt(1)
	global_store_dword v[10:11], v12, off
.LBB124_190:
	s_or_b64 exec, exec, s[24:25]
	v_mov_b32_e32 v19, v4
	v_mov_b32_e32 v18, v4
.LBB124_191:
	s_or_b64 exec, exec, s[18:19]
.LBB124_192:
	s_andn2_saveexec_b64 s[4:5], s[4:5]
	s_cbranch_execz .LBB124_196
; %bb.193:
	s_movk_i32 s16, 0x80
.LBB124_194:                            ; =>This Inner Loop Header: Depth=1
	v_mov_b32_e32 v56, s16
	buffer_load_dword v4, v56, s[0:3], 0 offen
	buffer_load_dword v5, v56, s[0:3], 0 offen offset:4
	buffer_load_dword v10, v56, s[0:3], 0 offen offset:8
	;; [unrolled: 1-line block ×42, first 2 shown]
	s_nop 0
	buffer_load_dword v56, v56, s[0:3], 0 offen offset:172
	v_add_u32_e32 v57, s16, v16
	s_addk_i32 s16, 0xb0
	s_cmpk_eq_i32 s16, 0x3f0
	s_waitcnt vmcnt(40)
	ds_write2_b64 v57, v[4:5], v[10:11] offset1:1
	s_waitcnt vmcnt(36)
	ds_write2_b64 v57, v[12:13], v[19:20] offset0:2 offset1:3
	s_waitcnt vmcnt(32)
	ds_write2_b64 v57, v[21:22], v[23:24] offset0:4 offset1:5
	;; [unrolled: 2-line block ×4, first 2 shown]
	ds_write2_b64 v57, v[33:34], v[31:32] offset0:10 offset1:11
	s_waitcnt vmcnt(12)
	ds_write2_b64 v57, v[43:44], v[37:38] offset0:12 offset1:13
	ds_write2_b64 v57, v[41:42], v[39:40] offset0:14 offset1:15
	s_waitcnt vmcnt(8)
	ds_write2_b64 v57, v[45:46], v[47:48] offset0:16 offset1:17
	s_waitcnt vmcnt(4)
	;; [unrolled: 2-line block ×3, first 2 shown]
	ds_write2_b64 v57, v[53:54], v[55:56] offset0:20 offset1:21
	s_cbranch_scc0 .LBB124_194
; %bb.195:
	v_mov_b32_e32 v19, 7
.LBB124_196:
	s_or_b64 exec, exec, s[4:5]
	v_cmp_lt_i32_e32 vcc, 7, v19
	s_waitcnt vmcnt(0) lgkmcnt(0)
	s_barrier
	s_and_saveexec_b64 s[4:5], vcc
	s_cbranch_execz .LBB124_199
; %bb.197:
	buffer_load_dword v4, off, s[0:3], 0 offset:120
	buffer_load_dword v5, off, s[0:3], 0 offset:124
	;; [unrolled: 1-line block ×4, first 2 shown]
	s_movk_i32 s18, 0x80
	s_waitcnt vmcnt(2)
	v_mul_f64 v[12:13], v[2:3], v[4:5]
	v_mul_f64 v[4:5], v[0:1], v[4:5]
	s_waitcnt vmcnt(0)
	v_fma_f64 v[0:1], v[0:1], v[10:11], -v[12:13]
	v_fma_f64 v[2:3], v[2:3], v[10:11], v[4:5]
	buffer_store_dword v0, off, s[0:3], 0 offset:112
	buffer_store_dword v1, off, s[0:3], 0 offset:116
	;; [unrolled: 1-line block ×4, first 2 shown]
.LBB124_198:                            ; =>This Inner Loop Header: Depth=1
	buffer_load_dword v4, off, s[0:3], 0 offset:120
	buffer_load_dword v5, off, s[0:3], 0 offset:124
	;; [unrolled: 1-line block ×4, first 2 shown]
	v_mov_b32_e32 v32, s18
	buffer_load_dword v22, v32, s[0:3], 0 offen
	buffer_load_dword v23, v32, s[0:3], 0 offen offset:4
	buffer_load_dword v24, v32, s[0:3], 0 offen offset:8
	;; [unrolled: 1-line block ×3, first 2 shown]
	v_add_u32_e32 v33, s18, v16
	ds_read2_b64 v[0:3], v33 offset1:1
	buffer_load_dword v26, v32, s[0:3], 0 offen offset:16
	buffer_load_dword v27, v32, s[0:3], 0 offen offset:20
	;; [unrolled: 1-line block ×4, first 2 shown]
	ds_read2_b64 v[10:13], v33 offset0:2 offset1:3
	s_addk_i32 s18, 0x50
	s_cmpk_lg_i32 s18, 0x3f0
	s_waitcnt vmcnt(10) lgkmcnt(1)
	v_mul_f64 v[30:31], v[2:3], v[4:5]
	v_mul_f64 v[4:5], v[0:1], v[4:5]
	s_waitcnt vmcnt(8)
	v_fma_f64 v[0:1], v[0:1], v[20:21], -v[30:31]
	v_fma_f64 v[2:3], v[2:3], v[20:21], v[4:5]
	s_waitcnt vmcnt(6)
	v_add_f64 v[0:1], v[22:23], -v[0:1]
	s_waitcnt vmcnt(4)
	v_add_f64 v[2:3], v[24:25], -v[2:3]
	buffer_store_dword v1, v32, s[0:3], 0 offen offset:4
	buffer_store_dword v0, v32, s[0:3], 0 offen
	buffer_store_dword v3, v32, s[0:3], 0 offen offset:12
	buffer_store_dword v2, v32, s[0:3], 0 offen offset:8
	buffer_load_dword v1, off, s[0:3], 0 offset:124
	s_nop 0
	buffer_load_dword v0, off, s[0:3], 0 offset:120
	buffer_load_dword v3, off, s[0:3], 0 offset:116
	;; [unrolled: 1-line block ×3, first 2 shown]
	buffer_load_dword v4, v32, s[0:3], 0 offen offset:32
	buffer_load_dword v5, v32, s[0:3], 0 offen offset:36
	;; [unrolled: 1-line block ×4, first 2 shown]
	s_waitcnt vmcnt(6) lgkmcnt(0)
	v_mul_f64 v[22:23], v[12:13], v[0:1]
	v_mul_f64 v[0:1], v[10:11], v[0:1]
	s_waitcnt vmcnt(4)
	v_fma_f64 v[10:11], v[10:11], v[2:3], -v[22:23]
	v_fma_f64 v[0:1], v[12:13], v[2:3], v[0:1]
	v_add_f64 v[2:3], v[26:27], -v[10:11]
	v_add_f64 v[0:1], v[28:29], -v[0:1]
	buffer_store_dword v3, v32, s[0:3], 0 offen offset:20
	buffer_store_dword v2, v32, s[0:3], 0 offen offset:16
	;; [unrolled: 1-line block ×4, first 2 shown]
	buffer_load_dword v22, off, s[0:3], 0 offset:120
	buffer_load_dword v23, off, s[0:3], 0 offset:124
	;; [unrolled: 1-line block ×4, first 2 shown]
	ds_read2_b64 v[0:3], v33 offset0:4 offset1:5
	ds_read2_b64 v[10:13], v33 offset0:6 offset1:7
	s_waitcnt vmcnt(2) lgkmcnt(1)
	v_mul_f64 v[26:27], v[2:3], v[22:23]
	v_mul_f64 v[22:23], v[0:1], v[22:23]
	s_waitcnt vmcnt(0)
	v_fma_f64 v[0:1], v[0:1], v[24:25], -v[26:27]
	v_fma_f64 v[2:3], v[2:3], v[24:25], v[22:23]
	v_add_f64 v[0:1], v[4:5], -v[0:1]
	v_add_f64 v[2:3], v[20:21], -v[2:3]
	buffer_store_dword v1, v32, s[0:3], 0 offen offset:36
	buffer_store_dword v0, v32, s[0:3], 0 offen offset:32
	;; [unrolled: 1-line block ×4, first 2 shown]
	buffer_load_dword v0, off, s[0:3], 0 offset:120
	s_nop 0
	buffer_load_dword v1, off, s[0:3], 0 offset:124
	buffer_load_dword v2, off, s[0:3], 0 offset:112
	;; [unrolled: 1-line block ×3, first 2 shown]
	buffer_load_dword v4, v32, s[0:3], 0 offen offset:48
	buffer_load_dword v5, v32, s[0:3], 0 offen offset:52
	;; [unrolled: 1-line block ×4, first 2 shown]
	s_waitcnt vmcnt(6) lgkmcnt(0)
	v_mul_f64 v[22:23], v[12:13], v[0:1]
	v_mul_f64 v[0:1], v[10:11], v[0:1]
	s_waitcnt vmcnt(4)
	v_fma_f64 v[10:11], v[10:11], v[2:3], -v[22:23]
	v_fma_f64 v[0:1], v[12:13], v[2:3], v[0:1]
	s_waitcnt vmcnt(2)
	v_add_f64 v[2:3], v[4:5], -v[10:11]
	s_waitcnt vmcnt(0)
	v_add_f64 v[0:1], v[20:21], -v[0:1]
	buffer_store_dword v3, v32, s[0:3], 0 offen offset:52
	buffer_store_dword v2, v32, s[0:3], 0 offen offset:48
	;; [unrolled: 1-line block ×4, first 2 shown]
	buffer_load_dword v4, off, s[0:3], 0 offset:120
	buffer_load_dword v5, off, s[0:3], 0 offset:124
	;; [unrolled: 1-line block ×4, first 2 shown]
	buffer_load_dword v12, v32, s[0:3], 0 offen offset:64
	buffer_load_dword v13, v32, s[0:3], 0 offen offset:68
	;; [unrolled: 1-line block ×4, first 2 shown]
	ds_read2_b64 v[0:3], v33 offset0:8 offset1:9
	s_waitcnt vmcnt(6) lgkmcnt(0)
	v_mul_f64 v[22:23], v[2:3], v[4:5]
	v_mul_f64 v[4:5], v[0:1], v[4:5]
	s_waitcnt vmcnt(4)
	v_fma_f64 v[0:1], v[0:1], v[10:11], -v[22:23]
	v_fma_f64 v[2:3], v[2:3], v[10:11], v[4:5]
	s_waitcnt vmcnt(2)
	v_add_f64 v[0:1], v[12:13], -v[0:1]
	s_waitcnt vmcnt(0)
	v_add_f64 v[2:3], v[20:21], -v[2:3]
	buffer_store_dword v1, v32, s[0:3], 0 offen offset:68
	buffer_store_dword v0, v32, s[0:3], 0 offen offset:64
	;; [unrolled: 1-line block ×4, first 2 shown]
	s_cbranch_scc1 .LBB124_198
.LBB124_199:
	s_or_b64 exec, exec, s[4:5]
	v_mov_b32_e32 v3, s78
	s_waitcnt vmcnt(0)
	s_barrier
	buffer_load_dword v0, v3, s[0:3], 0 offen
	buffer_load_dword v1, v3, s[0:3], 0 offen offset:4
	buffer_load_dword v2, v3, s[0:3], 0 offen offset:8
	s_nop 0
	buffer_load_dword v3, v3, s[0:3], 0 offen offset:12
	v_lshl_add_u32 v4, v19, 4, v16
	s_cmp_lt_i32 s65, 10
	s_waitcnt vmcnt(0)
	ds_write2_b64 v4, v[0:1], v[2:3] offset1:1
	s_waitcnt lgkmcnt(0)
	s_barrier
	ds_read2_b64 v[0:3], v16 offset0:16 offset1:17
	v_mov_b32_e32 v4, 8
	s_cbranch_scc1 .LBB124_202
; %bb.200:
	v_add_u32_e32 v5, 0x90, v16
	s_mov_b32 s16, 9
	v_mov_b32_e32 v4, 8
.LBB124_201:                            ; =>This Inner Loop Header: Depth=1
	s_waitcnt lgkmcnt(0)
	v_cmp_gt_f64_e32 vcc, 0, v[2:3]
	v_cmp_gt_f64_e64 s[4:5], 0, v[0:1]
	ds_read2_b64 v[10:13], v5 offset1:1
	v_xor_b32_e32 v21, 0x80000000, v1
	v_xor_b32_e32 v23, 0x80000000, v3
	v_mov_b32_e32 v20, v0
	v_mov_b32_e32 v22, v2
	s_waitcnt lgkmcnt(0)
	v_xor_b32_e32 v25, 0x80000000, v13
	v_cndmask_b32_e32 v23, v3, v23, vcc
	v_cndmask_b32_e64 v21, v1, v21, s[4:5]
	v_cmp_gt_f64_e32 vcc, 0, v[12:13]
	v_cmp_gt_f64_e64 s[4:5], 0, v[10:11]
	v_add_f64 v[20:21], v[20:21], v[22:23]
	v_xor_b32_e32 v23, 0x80000000, v11
	v_mov_b32_e32 v22, v10
	v_mov_b32_e32 v24, v12
	v_add_u32_e32 v5, 16, v5
	v_cndmask_b32_e32 v25, v13, v25, vcc
	v_cndmask_b32_e64 v23, v11, v23, s[4:5]
	v_add_f64 v[22:23], v[22:23], v[24:25]
	v_mov_b32_e32 v24, s16
	s_add_i32 s16, s16, 1
	s_cmp_lg_u32 s65, s16
	v_cmp_lt_f64_e32 vcc, v[20:21], v[22:23]
	v_cndmask_b32_e32 v1, v1, v11, vcc
	v_cndmask_b32_e32 v0, v0, v10, vcc
	;; [unrolled: 1-line block ×5, first 2 shown]
	s_cbranch_scc1 .LBB124_201
.LBB124_202:
	s_waitcnt lgkmcnt(0)
	v_cmp_eq_f64_e32 vcc, 0, v[0:1]
	v_cmp_eq_f64_e64 s[4:5], 0, v[2:3]
	s_and_b64 s[4:5], vcc, s[4:5]
	s_and_saveexec_b64 s[16:17], s[4:5]
	s_xor_b64 s[4:5], exec, s[16:17]
; %bb.203:
	v_cmp_ne_u32_e32 vcc, 0, v17
	v_cndmask_b32_e32 v17, 9, v17, vcc
; %bb.204:
	s_andn2_saveexec_b64 s[4:5], s[4:5]
	s_cbranch_execz .LBB124_210
; %bb.205:
	v_cmp_ngt_f64_e64 s[16:17], |v[0:1]|, |v[2:3]|
	s_and_saveexec_b64 s[18:19], s[16:17]
	s_xor_b64 s[18:19], exec, s[18:19]
	s_cbranch_execz .LBB124_207
; %bb.206:
	v_div_scale_f64 v[10:11], s[16:17], v[2:3], v[2:3], v[0:1]
	v_rcp_f64_e32 v[12:13], v[10:11]
	v_fma_f64 v[20:21], -v[10:11], v[12:13], 1.0
	v_fma_f64 v[12:13], v[12:13], v[20:21], v[12:13]
	v_div_scale_f64 v[20:21], vcc, v[0:1], v[2:3], v[0:1]
	v_fma_f64 v[22:23], -v[10:11], v[12:13], 1.0
	v_fma_f64 v[12:13], v[12:13], v[22:23], v[12:13]
	v_mul_f64 v[22:23], v[20:21], v[12:13]
	v_fma_f64 v[10:11], -v[10:11], v[22:23], v[20:21]
	v_div_fmas_f64 v[10:11], v[10:11], v[12:13], v[22:23]
	v_div_fixup_f64 v[10:11], v[10:11], v[2:3], v[0:1]
	v_fma_f64 v[0:1], v[0:1], v[10:11], v[2:3]
	v_div_scale_f64 v[2:3], s[16:17], v[0:1], v[0:1], 1.0
	v_div_scale_f64 v[22:23], vcc, 1.0, v[0:1], 1.0
	v_rcp_f64_e32 v[12:13], v[2:3]
	v_fma_f64 v[20:21], -v[2:3], v[12:13], 1.0
	v_fma_f64 v[12:13], v[12:13], v[20:21], v[12:13]
	v_fma_f64 v[20:21], -v[2:3], v[12:13], 1.0
	v_fma_f64 v[12:13], v[12:13], v[20:21], v[12:13]
	v_mul_f64 v[20:21], v[22:23], v[12:13]
	v_fma_f64 v[2:3], -v[2:3], v[20:21], v[22:23]
	v_div_fmas_f64 v[2:3], v[2:3], v[12:13], v[20:21]
	v_div_fixup_f64 v[2:3], v[2:3], v[0:1], 1.0
	v_mul_f64 v[0:1], v[10:11], v[2:3]
	v_xor_b32_e32 v3, 0x80000000, v3
.LBB124_207:
	s_andn2_saveexec_b64 s[18:19], s[18:19]
	s_cbranch_execz .LBB124_209
; %bb.208:
	v_div_scale_f64 v[10:11], s[16:17], v[0:1], v[0:1], v[2:3]
	v_rcp_f64_e32 v[12:13], v[10:11]
	v_fma_f64 v[20:21], -v[10:11], v[12:13], 1.0
	v_fma_f64 v[12:13], v[12:13], v[20:21], v[12:13]
	v_div_scale_f64 v[20:21], vcc, v[2:3], v[0:1], v[2:3]
	v_fma_f64 v[22:23], -v[10:11], v[12:13], 1.0
	v_fma_f64 v[12:13], v[12:13], v[22:23], v[12:13]
	v_mul_f64 v[22:23], v[20:21], v[12:13]
	v_fma_f64 v[10:11], -v[10:11], v[22:23], v[20:21]
	v_div_fmas_f64 v[10:11], v[10:11], v[12:13], v[22:23]
	v_div_fixup_f64 v[10:11], v[10:11], v[0:1], v[2:3]
	v_fma_f64 v[0:1], v[2:3], v[10:11], v[0:1]
	v_div_scale_f64 v[2:3], s[16:17], v[0:1], v[0:1], 1.0
	v_div_scale_f64 v[22:23], vcc, 1.0, v[0:1], 1.0
	v_rcp_f64_e32 v[12:13], v[2:3]
	v_fma_f64 v[20:21], -v[2:3], v[12:13], 1.0
	v_fma_f64 v[12:13], v[12:13], v[20:21], v[12:13]
	v_fma_f64 v[20:21], -v[2:3], v[12:13], 1.0
	v_fma_f64 v[12:13], v[12:13], v[20:21], v[12:13]
	v_mul_f64 v[20:21], v[22:23], v[12:13]
	v_fma_f64 v[2:3], -v[2:3], v[20:21], v[22:23]
	v_div_fmas_f64 v[2:3], v[2:3], v[12:13], v[20:21]
	v_div_fixup_f64 v[0:1], v[2:3], v[0:1], 1.0
	v_mul_f64 v[2:3], v[10:11], -v[0:1]
.LBB124_209:
	s_or_b64 exec, exec, s[18:19]
.LBB124_210:
	s_or_b64 exec, exec, s[4:5]
	v_cmp_ne_u32_e32 vcc, v19, v4
	s_and_saveexec_b64 s[4:5], vcc
	s_xor_b64 s[4:5], exec, s[4:5]
	s_cbranch_execz .LBB124_216
; %bb.211:
	v_cmp_eq_u32_e32 vcc, 8, v19
	s_and_saveexec_b64 s[18:19], vcc
	s_cbranch_execz .LBB124_215
; %bb.212:
	v_cmp_ne_u32_e32 vcc, 8, v4
	s_xor_b64 s[16:17], s[10:11], -1
	s_and_b64 s[16:17], s[16:17], vcc
	s_and_saveexec_b64 s[24:25], s[16:17]
	s_cbranch_execz .LBB124_214
; %bb.213:
	v_ashrrev_i32_e32 v5, 31, v4
	v_lshlrev_b64 v[10:11], 2, v[4:5]
	v_add_co_u32_e32 v10, vcc, v8, v10
	v_addc_co_u32_e32 v11, vcc, v9, v11, vcc
	global_load_dword v5, v[10:11], off
	global_load_dword v12, v[8:9], off offset:32
	s_waitcnt vmcnt(1)
	global_store_dword v[8:9], v5, off offset:32
	s_waitcnt vmcnt(1)
	global_store_dword v[10:11], v12, off
.LBB124_214:
	s_or_b64 exec, exec, s[24:25]
	v_mov_b32_e32 v19, v4
	v_mov_b32_e32 v18, v4
.LBB124_215:
	s_or_b64 exec, exec, s[18:19]
.LBB124_216:
	s_andn2_saveexec_b64 s[4:5], s[4:5]
	s_cbranch_execz .LBB124_220
; %bb.217:
	s_movk_i32 s18, 0x90
.LBB124_218:                            ; =>This Inner Loop Header: Depth=1
	v_mov_b32_e32 v29, s18
	buffer_load_dword v4, v29, s[0:3], 0 offen
	buffer_load_dword v5, v29, s[0:3], 0 offen offset:4
	buffer_load_dword v10, v29, s[0:3], 0 offen offset:8
	;; [unrolled: 1-line block ×15, first 2 shown]
	v_add_u32_e32 v30, s18, v16
	s_addk_i32 s18, 0x120
	s_cmpk_eq_i32 s18, 0x3f0
	s_waitcnt vmcnt(12)
	ds_write2_b64 v30, v[4:5], v[10:11] offset1:1
	s_waitcnt vmcnt(8)
	ds_write2_b64 v30, v[12:13], v[19:20] offset0:2 offset1:3
	s_waitcnt vmcnt(4)
	ds_write2_b64 v30, v[21:22], v[23:24] offset0:4 offset1:5
	;; [unrolled: 2-line block ×3, first 2 shown]
	buffer_load_dword v5, v29, s[0:3], 0 offen offset:76
	buffer_load_dword v4, v29, s[0:3], 0 offen offset:72
	buffer_load_dword v11, v29, s[0:3], 0 offen offset:68
	buffer_load_dword v10, v29, s[0:3], 0 offen offset:64
	s_waitcnt vmcnt(0)
	ds_write2_b64 v30, v[10:11], v[4:5] offset0:8 offset1:9
	buffer_load_dword v5, v29, s[0:3], 0 offen offset:92
	buffer_load_dword v4, v29, s[0:3], 0 offen offset:88
	buffer_load_dword v11, v29, s[0:3], 0 offen offset:84
	buffer_load_dword v10, v29, s[0:3], 0 offen offset:80
	s_waitcnt vmcnt(0)
	ds_write2_b64 v30, v[10:11], v[4:5] offset0:10 offset1:11
	;; [unrolled: 6-line block ×14, first 2 shown]
	s_cbranch_scc0 .LBB124_218
; %bb.219:
	v_mov_b32_e32 v19, 8
.LBB124_220:
	s_or_b64 exec, exec, s[4:5]
	v_cmp_lt_i32_e32 vcc, 8, v19
	s_waitcnt vmcnt(0) lgkmcnt(0)
	s_barrier
	s_and_saveexec_b64 s[4:5], vcc
	s_cbranch_execz .LBB124_223
; %bb.221:
	buffer_load_dword v4, off, s[0:3], 0 offset:136
	buffer_load_dword v5, off, s[0:3], 0 offset:140
	;; [unrolled: 1-line block ×4, first 2 shown]
	s_movk_i32 s18, 0x90
	s_waitcnt vmcnt(2)
	v_mul_f64 v[12:13], v[2:3], v[4:5]
	v_mul_f64 v[4:5], v[0:1], v[4:5]
	s_waitcnt vmcnt(0)
	v_fma_f64 v[0:1], v[0:1], v[10:11], -v[12:13]
	v_fma_f64 v[2:3], v[2:3], v[10:11], v[4:5]
	buffer_store_dword v0, off, s[0:3], 0 offset:128
	buffer_store_dword v1, off, s[0:3], 0 offset:132
	;; [unrolled: 1-line block ×4, first 2 shown]
.LBB124_222:                            ; =>This Inner Loop Header: Depth=1
	buffer_load_dword v4, off, s[0:3], 0 offset:136
	buffer_load_dword v5, off, s[0:3], 0 offset:140
	;; [unrolled: 1-line block ×4, first 2 shown]
	v_mov_b32_e32 v32, s18
	buffer_load_dword v22, v32, s[0:3], 0 offen
	buffer_load_dword v23, v32, s[0:3], 0 offen offset:4
	buffer_load_dword v24, v32, s[0:3], 0 offen offset:8
	;; [unrolled: 1-line block ×3, first 2 shown]
	v_add_u32_e32 v33, s18, v16
	ds_read2_b64 v[0:3], v33 offset1:1
	buffer_load_dword v26, v32, s[0:3], 0 offen offset:16
	buffer_load_dword v27, v32, s[0:3], 0 offen offset:20
	;; [unrolled: 1-line block ×4, first 2 shown]
	ds_read2_b64 v[10:13], v33 offset0:2 offset1:3
	s_addk_i32 s18, 0x60
	s_cmpk_lg_i32 s18, 0x3f0
	s_waitcnt vmcnt(10) lgkmcnt(1)
	v_mul_f64 v[30:31], v[2:3], v[4:5]
	v_mul_f64 v[4:5], v[0:1], v[4:5]
	s_waitcnt vmcnt(8)
	v_fma_f64 v[0:1], v[0:1], v[20:21], -v[30:31]
	v_fma_f64 v[2:3], v[2:3], v[20:21], v[4:5]
	s_waitcnt vmcnt(6)
	v_add_f64 v[0:1], v[22:23], -v[0:1]
	s_waitcnt vmcnt(4)
	v_add_f64 v[2:3], v[24:25], -v[2:3]
	buffer_store_dword v1, v32, s[0:3], 0 offen offset:4
	buffer_store_dword v0, v32, s[0:3], 0 offen
	buffer_store_dword v3, v32, s[0:3], 0 offen offset:12
	buffer_store_dword v2, v32, s[0:3], 0 offen offset:8
	buffer_load_dword v1, off, s[0:3], 0 offset:140
	s_nop 0
	buffer_load_dword v0, off, s[0:3], 0 offset:136
	buffer_load_dword v3, off, s[0:3], 0 offset:132
	;; [unrolled: 1-line block ×3, first 2 shown]
	buffer_load_dword v4, v32, s[0:3], 0 offen offset:32
	buffer_load_dword v5, v32, s[0:3], 0 offen offset:36
	;; [unrolled: 1-line block ×4, first 2 shown]
	s_waitcnt vmcnt(6) lgkmcnt(0)
	v_mul_f64 v[22:23], v[12:13], v[0:1]
	v_mul_f64 v[0:1], v[10:11], v[0:1]
	s_waitcnt vmcnt(4)
	v_fma_f64 v[10:11], v[10:11], v[2:3], -v[22:23]
	v_fma_f64 v[0:1], v[12:13], v[2:3], v[0:1]
	v_add_f64 v[2:3], v[26:27], -v[10:11]
	v_add_f64 v[0:1], v[28:29], -v[0:1]
	buffer_store_dword v3, v32, s[0:3], 0 offen offset:20
	buffer_store_dword v2, v32, s[0:3], 0 offen offset:16
	;; [unrolled: 1-line block ×4, first 2 shown]
	buffer_load_dword v22, off, s[0:3], 0 offset:136
	buffer_load_dword v23, off, s[0:3], 0 offset:140
	;; [unrolled: 1-line block ×4, first 2 shown]
	ds_read2_b64 v[0:3], v33 offset0:4 offset1:5
	ds_read2_b64 v[10:13], v33 offset0:6 offset1:7
	s_waitcnt vmcnt(2) lgkmcnt(1)
	v_mul_f64 v[26:27], v[2:3], v[22:23]
	v_mul_f64 v[22:23], v[0:1], v[22:23]
	s_waitcnt vmcnt(0)
	v_fma_f64 v[0:1], v[0:1], v[24:25], -v[26:27]
	v_fma_f64 v[2:3], v[2:3], v[24:25], v[22:23]
	v_add_f64 v[0:1], v[4:5], -v[0:1]
	v_add_f64 v[2:3], v[20:21], -v[2:3]
	buffer_store_dword v1, v32, s[0:3], 0 offen offset:36
	buffer_store_dword v0, v32, s[0:3], 0 offen offset:32
	;; [unrolled: 1-line block ×4, first 2 shown]
	buffer_load_dword v0, off, s[0:3], 0 offset:136
	s_nop 0
	buffer_load_dword v1, off, s[0:3], 0 offset:140
	buffer_load_dword v2, off, s[0:3], 0 offset:128
	;; [unrolled: 1-line block ×3, first 2 shown]
	buffer_load_dword v4, v32, s[0:3], 0 offen offset:48
	buffer_load_dword v5, v32, s[0:3], 0 offen offset:52
	;; [unrolled: 1-line block ×4, first 2 shown]
	s_waitcnt vmcnt(6) lgkmcnt(0)
	v_mul_f64 v[22:23], v[12:13], v[0:1]
	v_mul_f64 v[0:1], v[10:11], v[0:1]
	s_waitcnt vmcnt(4)
	v_fma_f64 v[10:11], v[10:11], v[2:3], -v[22:23]
	v_fma_f64 v[0:1], v[12:13], v[2:3], v[0:1]
	s_waitcnt vmcnt(2)
	v_add_f64 v[2:3], v[4:5], -v[10:11]
	s_waitcnt vmcnt(0)
	v_add_f64 v[0:1], v[20:21], -v[0:1]
	buffer_store_dword v3, v32, s[0:3], 0 offen offset:52
	buffer_store_dword v2, v32, s[0:3], 0 offen offset:48
	;; [unrolled: 1-line block ×4, first 2 shown]
	buffer_load_dword v4, off, s[0:3], 0 offset:136
	buffer_load_dword v5, off, s[0:3], 0 offset:140
	;; [unrolled: 1-line block ×4, first 2 shown]
	buffer_load_dword v22, v32, s[0:3], 0 offen offset:64
	buffer_load_dword v23, v32, s[0:3], 0 offen offset:68
	;; [unrolled: 1-line block ×4, first 2 shown]
	ds_read2_b64 v[0:3], v33 offset0:8 offset1:9
	ds_read2_b64 v[10:13], v33 offset0:10 offset1:11
	s_waitcnt vmcnt(6) lgkmcnt(1)
	v_mul_f64 v[26:27], v[2:3], v[4:5]
	v_mul_f64 v[4:5], v[0:1], v[4:5]
	s_waitcnt vmcnt(4)
	v_fma_f64 v[0:1], v[0:1], v[20:21], -v[26:27]
	v_fma_f64 v[2:3], v[2:3], v[20:21], v[4:5]
	s_waitcnt vmcnt(2)
	v_add_f64 v[0:1], v[22:23], -v[0:1]
	s_waitcnt vmcnt(0)
	v_add_f64 v[2:3], v[24:25], -v[2:3]
	buffer_store_dword v1, v32, s[0:3], 0 offen offset:68
	buffer_store_dword v0, v32, s[0:3], 0 offen offset:64
	;; [unrolled: 1-line block ×4, first 2 shown]
	buffer_load_dword v0, off, s[0:3], 0 offset:136
	s_nop 0
	buffer_load_dword v1, off, s[0:3], 0 offset:140
	buffer_load_dword v2, off, s[0:3], 0 offset:128
	;; [unrolled: 1-line block ×3, first 2 shown]
	buffer_load_dword v4, v32, s[0:3], 0 offen offset:80
	buffer_load_dword v5, v32, s[0:3], 0 offen offset:84
	;; [unrolled: 1-line block ×4, first 2 shown]
	s_waitcnt vmcnt(6) lgkmcnt(0)
	v_mul_f64 v[22:23], v[12:13], v[0:1]
	v_mul_f64 v[0:1], v[10:11], v[0:1]
	s_waitcnt vmcnt(4)
	v_fma_f64 v[10:11], v[10:11], v[2:3], -v[22:23]
	v_fma_f64 v[0:1], v[12:13], v[2:3], v[0:1]
	s_waitcnt vmcnt(2)
	v_add_f64 v[2:3], v[4:5], -v[10:11]
	s_waitcnt vmcnt(0)
	v_add_f64 v[0:1], v[20:21], -v[0:1]
	buffer_store_dword v3, v32, s[0:3], 0 offen offset:84
	buffer_store_dword v2, v32, s[0:3], 0 offen offset:80
	;; [unrolled: 1-line block ×4, first 2 shown]
	s_cbranch_scc1 .LBB124_222
.LBB124_223:
	s_or_b64 exec, exec, s[4:5]
	v_mov_b32_e32 v3, s57
	s_waitcnt vmcnt(0)
	s_barrier
	buffer_load_dword v0, v3, s[0:3], 0 offen
	buffer_load_dword v1, v3, s[0:3], 0 offen offset:4
	buffer_load_dword v2, v3, s[0:3], 0 offen offset:8
	s_nop 0
	buffer_load_dword v3, v3, s[0:3], 0 offen offset:12
	v_lshl_add_u32 v4, v19, 4, v16
	s_cmp_lt_i32 s65, 11
	s_waitcnt vmcnt(0)
	ds_write2_b64 v4, v[0:1], v[2:3] offset1:1
	s_waitcnt lgkmcnt(0)
	s_barrier
	ds_read2_b64 v[0:3], v16 offset0:18 offset1:19
	v_mov_b32_e32 v4, 9
	s_cbranch_scc1 .LBB124_226
; %bb.224:
	v_add_u32_e32 v5, 0xa0, v16
	s_mov_b32 s16, 10
	v_mov_b32_e32 v4, 9
.LBB124_225:                            ; =>This Inner Loop Header: Depth=1
	s_waitcnt lgkmcnt(0)
	v_cmp_gt_f64_e32 vcc, 0, v[2:3]
	v_cmp_gt_f64_e64 s[4:5], 0, v[0:1]
	ds_read2_b64 v[10:13], v5 offset1:1
	v_xor_b32_e32 v21, 0x80000000, v1
	v_xor_b32_e32 v23, 0x80000000, v3
	v_mov_b32_e32 v20, v0
	v_mov_b32_e32 v22, v2
	s_waitcnt lgkmcnt(0)
	v_xor_b32_e32 v25, 0x80000000, v13
	v_cndmask_b32_e32 v23, v3, v23, vcc
	v_cndmask_b32_e64 v21, v1, v21, s[4:5]
	v_cmp_gt_f64_e32 vcc, 0, v[12:13]
	v_cmp_gt_f64_e64 s[4:5], 0, v[10:11]
	v_add_f64 v[20:21], v[20:21], v[22:23]
	v_xor_b32_e32 v23, 0x80000000, v11
	v_mov_b32_e32 v22, v10
	v_mov_b32_e32 v24, v12
	v_add_u32_e32 v5, 16, v5
	v_cndmask_b32_e32 v25, v13, v25, vcc
	v_cndmask_b32_e64 v23, v11, v23, s[4:5]
	v_add_f64 v[22:23], v[22:23], v[24:25]
	v_mov_b32_e32 v24, s16
	s_add_i32 s16, s16, 1
	s_cmp_lg_u32 s65, s16
	v_cmp_lt_f64_e32 vcc, v[20:21], v[22:23]
	v_cndmask_b32_e32 v1, v1, v11, vcc
	v_cndmask_b32_e32 v0, v0, v10, vcc
	;; [unrolled: 1-line block ×5, first 2 shown]
	s_cbranch_scc1 .LBB124_225
.LBB124_226:
	s_waitcnt lgkmcnt(0)
	v_cmp_eq_f64_e32 vcc, 0, v[0:1]
	v_cmp_eq_f64_e64 s[4:5], 0, v[2:3]
	s_and_b64 s[4:5], vcc, s[4:5]
	s_and_saveexec_b64 s[16:17], s[4:5]
	s_xor_b64 s[4:5], exec, s[16:17]
; %bb.227:
	v_cmp_ne_u32_e32 vcc, 0, v17
	v_cndmask_b32_e32 v17, 10, v17, vcc
; %bb.228:
	s_andn2_saveexec_b64 s[4:5], s[4:5]
	s_cbranch_execz .LBB124_234
; %bb.229:
	v_cmp_ngt_f64_e64 s[16:17], |v[0:1]|, |v[2:3]|
	s_and_saveexec_b64 s[18:19], s[16:17]
	s_xor_b64 s[18:19], exec, s[18:19]
	s_cbranch_execz .LBB124_231
; %bb.230:
	v_div_scale_f64 v[10:11], s[16:17], v[2:3], v[2:3], v[0:1]
	v_rcp_f64_e32 v[12:13], v[10:11]
	v_fma_f64 v[20:21], -v[10:11], v[12:13], 1.0
	v_fma_f64 v[12:13], v[12:13], v[20:21], v[12:13]
	v_div_scale_f64 v[20:21], vcc, v[0:1], v[2:3], v[0:1]
	v_fma_f64 v[22:23], -v[10:11], v[12:13], 1.0
	v_fma_f64 v[12:13], v[12:13], v[22:23], v[12:13]
	v_mul_f64 v[22:23], v[20:21], v[12:13]
	v_fma_f64 v[10:11], -v[10:11], v[22:23], v[20:21]
	v_div_fmas_f64 v[10:11], v[10:11], v[12:13], v[22:23]
	v_div_fixup_f64 v[10:11], v[10:11], v[2:3], v[0:1]
	v_fma_f64 v[0:1], v[0:1], v[10:11], v[2:3]
	v_div_scale_f64 v[2:3], s[16:17], v[0:1], v[0:1], 1.0
	v_div_scale_f64 v[22:23], vcc, 1.0, v[0:1], 1.0
	v_rcp_f64_e32 v[12:13], v[2:3]
	v_fma_f64 v[20:21], -v[2:3], v[12:13], 1.0
	v_fma_f64 v[12:13], v[12:13], v[20:21], v[12:13]
	v_fma_f64 v[20:21], -v[2:3], v[12:13], 1.0
	v_fma_f64 v[12:13], v[12:13], v[20:21], v[12:13]
	v_mul_f64 v[20:21], v[22:23], v[12:13]
	v_fma_f64 v[2:3], -v[2:3], v[20:21], v[22:23]
	v_div_fmas_f64 v[2:3], v[2:3], v[12:13], v[20:21]
	v_div_fixup_f64 v[2:3], v[2:3], v[0:1], 1.0
	v_mul_f64 v[0:1], v[10:11], v[2:3]
	v_xor_b32_e32 v3, 0x80000000, v3
.LBB124_231:
	s_andn2_saveexec_b64 s[18:19], s[18:19]
	s_cbranch_execz .LBB124_233
; %bb.232:
	v_div_scale_f64 v[10:11], s[16:17], v[0:1], v[0:1], v[2:3]
	v_rcp_f64_e32 v[12:13], v[10:11]
	v_fma_f64 v[20:21], -v[10:11], v[12:13], 1.0
	v_fma_f64 v[12:13], v[12:13], v[20:21], v[12:13]
	v_div_scale_f64 v[20:21], vcc, v[2:3], v[0:1], v[2:3]
	v_fma_f64 v[22:23], -v[10:11], v[12:13], 1.0
	v_fma_f64 v[12:13], v[12:13], v[22:23], v[12:13]
	v_mul_f64 v[22:23], v[20:21], v[12:13]
	v_fma_f64 v[10:11], -v[10:11], v[22:23], v[20:21]
	v_div_fmas_f64 v[10:11], v[10:11], v[12:13], v[22:23]
	v_div_fixup_f64 v[10:11], v[10:11], v[0:1], v[2:3]
	v_fma_f64 v[0:1], v[2:3], v[10:11], v[0:1]
	v_div_scale_f64 v[2:3], s[16:17], v[0:1], v[0:1], 1.0
	v_div_scale_f64 v[22:23], vcc, 1.0, v[0:1], 1.0
	v_rcp_f64_e32 v[12:13], v[2:3]
	v_fma_f64 v[20:21], -v[2:3], v[12:13], 1.0
	v_fma_f64 v[12:13], v[12:13], v[20:21], v[12:13]
	v_fma_f64 v[20:21], -v[2:3], v[12:13], 1.0
	v_fma_f64 v[12:13], v[12:13], v[20:21], v[12:13]
	v_mul_f64 v[20:21], v[22:23], v[12:13]
	v_fma_f64 v[2:3], -v[2:3], v[20:21], v[22:23]
	v_div_fmas_f64 v[2:3], v[2:3], v[12:13], v[20:21]
	v_div_fixup_f64 v[0:1], v[2:3], v[0:1], 1.0
	v_mul_f64 v[2:3], v[10:11], -v[0:1]
.LBB124_233:
	s_or_b64 exec, exec, s[18:19]
.LBB124_234:
	s_or_b64 exec, exec, s[4:5]
	v_cmp_ne_u32_e32 vcc, v19, v4
	s_and_saveexec_b64 s[4:5], vcc
	s_xor_b64 s[4:5], exec, s[4:5]
	s_cbranch_execz .LBB124_240
; %bb.235:
	v_cmp_eq_u32_e32 vcc, 9, v19
	s_and_saveexec_b64 s[18:19], vcc
	s_cbranch_execz .LBB124_239
; %bb.236:
	v_cmp_ne_u32_e32 vcc, 9, v4
	s_xor_b64 s[16:17], s[10:11], -1
	s_and_b64 s[16:17], s[16:17], vcc
	s_and_saveexec_b64 s[24:25], s[16:17]
	s_cbranch_execz .LBB124_238
; %bb.237:
	v_ashrrev_i32_e32 v5, 31, v4
	v_lshlrev_b64 v[10:11], 2, v[4:5]
	v_add_co_u32_e32 v10, vcc, v8, v10
	v_addc_co_u32_e32 v11, vcc, v9, v11, vcc
	global_load_dword v5, v[10:11], off
	global_load_dword v12, v[8:9], off offset:36
	s_waitcnt vmcnt(1)
	global_store_dword v[8:9], v5, off offset:36
	s_waitcnt vmcnt(1)
	global_store_dword v[10:11], v12, off
.LBB124_238:
	s_or_b64 exec, exec, s[24:25]
	v_mov_b32_e32 v19, v4
	v_mov_b32_e32 v18, v4
.LBB124_239:
	s_or_b64 exec, exec, s[18:19]
.LBB124_240:
	s_andn2_saveexec_b64 s[4:5], s[4:5]
	s_cbranch_execz .LBB124_246
; %bb.241:
	s_movk_i32 s16, 0xa0
	s_branch .LBB124_243
.LBB124_242:                            ;   in Loop: Header=BB124_243 Depth=1
	s_andn2_b64 vcc, exec, s[18:19]
	s_cbranch_vccz .LBB124_245
.LBB124_243:                            ; =>This Inner Loop Header: Depth=1
	v_mov_b32_e32 v4, s16
	buffer_load_dword v10, v4, s[0:3], 0 offen
	buffer_load_dword v11, v4, s[0:3], 0 offen offset:4
	buffer_load_dword v12, v4, s[0:3], 0 offen offset:8
	;; [unrolled: 1-line block ×19, first 2 shown]
	s_mov_b32 s17, s16
	v_add_u32_e32 v4, s16, v16
	s_cmpk_eq_i32 s16, 0x3a0
	s_mov_b64 s[18:19], -1
	s_waitcnt vmcnt(16)
	ds_write2_b64 v4, v[10:11], v[12:13] offset1:1
	s_waitcnt vmcnt(12)
	ds_write2_b64 v4, v[19:20], v[21:22] offset0:2 offset1:3
	s_waitcnt vmcnt(8)
	ds_write2_b64 v4, v[23:24], v[25:26] offset0:4 offset1:5
	;; [unrolled: 2-line block ×4, first 2 shown]
	s_cbranch_scc1 .LBB124_242
; %bb.244:                              ;   in Loop: Header=BB124_243 Depth=1
	v_mov_b32_e32 v5, s17
	buffer_load_dword v10, v5, s[0:3], 0 offen offset:80
	buffer_load_dword v11, v5, s[0:3], 0 offen offset:84
	;; [unrolled: 1-line block ×12, first 2 shown]
	s_addk_i32 s16, 0x80
	s_mov_b64 s[18:19], 0
	s_waitcnt vmcnt(8)
	ds_write2_b64 v4, v[10:11], v[12:13] offset0:10 offset1:11
	s_waitcnt vmcnt(4)
	ds_write2_b64 v4, v[19:20], v[21:22] offset0:12 offset1:13
	;; [unrolled: 2-line block ×3, first 2 shown]
	s_branch .LBB124_242
.LBB124_245:
	v_mov_b32_e32 v19, 9
.LBB124_246:
	s_or_b64 exec, exec, s[4:5]
	v_cmp_lt_i32_e32 vcc, 9, v19
	s_waitcnt vmcnt(0) lgkmcnt(0)
	s_barrier
	s_and_saveexec_b64 s[4:5], vcc
	s_cbranch_execz .LBB124_251
; %bb.247:
	buffer_load_dword v4, off, s[0:3], 0 offset:152
	buffer_load_dword v5, off, s[0:3], 0 offset:156
	;; [unrolled: 1-line block ×4, first 2 shown]
	s_movk_i32 s24, 0xa0
	s_waitcnt vmcnt(2)
	v_mul_f64 v[12:13], v[2:3], v[4:5]
	v_mul_f64 v[4:5], v[0:1], v[4:5]
	s_waitcnt vmcnt(0)
	v_fma_f64 v[0:1], v[0:1], v[10:11], -v[12:13]
	v_fma_f64 v[2:3], v[2:3], v[10:11], v[4:5]
	buffer_store_dword v0, off, s[0:3], 0 offset:144
	buffer_store_dword v1, off, s[0:3], 0 offset:148
	;; [unrolled: 1-line block ×4, first 2 shown]
	s_branch .LBB124_249
.LBB124_248:                            ;   in Loop: Header=BB124_249 Depth=1
	s_andn2_b64 vcc, exec, s[18:19]
	s_cbranch_vccz .LBB124_251
.LBB124_249:                            ; =>This Inner Loop Header: Depth=1
	v_mov_b32_e32 v5, s24
	buffer_load_dword v20, v5, s[0:3], 0 offen
	buffer_load_dword v21, v5, s[0:3], 0 offen offset:4
	buffer_load_dword v22, v5, s[0:3], 0 offen offset:8
	;; [unrolled: 1-line block ×3, first 2 shown]
	v_add_u32_e32 v4, s24, v16
	ds_read2_b64 v[10:13], v4 offset1:1
	s_mov_b32 s16, s24
	s_cmpk_eq_i32 s24, 0x3e0
	s_mov_b64 s[18:19], -1
	s_waitcnt vmcnt(4) lgkmcnt(0)
	v_mul_f64 v[24:25], v[12:13], v[2:3]
	v_mul_f64 v[2:3], v[10:11], v[2:3]
	v_fma_f64 v[10:11], v[10:11], v[0:1], -v[24:25]
	v_fma_f64 v[0:1], v[12:13], v[0:1], v[2:3]
	s_waitcnt vmcnt(2)
	v_add_f64 v[2:3], v[20:21], -v[10:11]
	s_waitcnt vmcnt(0)
	v_add_f64 v[0:1], v[22:23], -v[0:1]
	buffer_store_dword v2, v5, s[0:3], 0 offen
	buffer_store_dword v3, v5, s[0:3], 0 offen offset:4
	buffer_store_dword v0, v5, s[0:3], 0 offen offset:8
	;; [unrolled: 1-line block ×3, first 2 shown]
                                        ; implicit-def: $vgpr0_vgpr1
                                        ; implicit-def: $vgpr2_vgpr3
	s_cbranch_scc1 .LBB124_248
; %bb.250:                              ;   in Loop: Header=BB124_249 Depth=1
	buffer_load_dword v20, off, s[0:3], 0 offset:152
	buffer_load_dword v21, off, s[0:3], 0 offset:156
	;; [unrolled: 1-line block ×4, first 2 shown]
	v_mov_b32_e32 v30, s16
	buffer_load_dword v24, v30, s[0:3], 0 offen offset:16
	buffer_load_dword v25, v30, s[0:3], 0 offen offset:20
	;; [unrolled: 1-line block ×4, first 2 shown]
	ds_read2_b64 v[0:3], v4 offset0:2 offset1:3
	ds_read2_b64 v[10:13], v4 offset0:4 offset1:5
	s_add_i32 s24, s24, 64
	s_mov_b64 s[18:19], 0
	s_waitcnt vmcnt(6) lgkmcnt(1)
	v_mul_f64 v[28:29], v[2:3], v[20:21]
	v_mul_f64 v[20:21], v[0:1], v[20:21]
	s_waitcnt vmcnt(4)
	v_fma_f64 v[0:1], v[0:1], v[22:23], -v[28:29]
	v_fma_f64 v[2:3], v[2:3], v[22:23], v[20:21]
	s_waitcnt vmcnt(2)
	v_add_f64 v[0:1], v[24:25], -v[0:1]
	s_waitcnt vmcnt(0)
	v_add_f64 v[2:3], v[26:27], -v[2:3]
	buffer_store_dword v1, v30, s[0:3], 0 offen offset:20
	buffer_store_dword v0, v30, s[0:3], 0 offen offset:16
	;; [unrolled: 1-line block ×4, first 2 shown]
	buffer_load_dword v1, v30, s[0:3], 0 offen offset:36
	s_nop 0
	buffer_load_dword v2, v30, s[0:3], 0 offen offset:40
	buffer_load_dword v3, v30, s[0:3], 0 offen offset:44
	buffer_load_dword v21, off, s[0:3], 0 offset:156
	buffer_load_dword v20, off, s[0:3], 0 offset:152
	;; [unrolled: 1-line block ×4, first 2 shown]
	buffer_load_dword v0, v30, s[0:3], 0 offen offset:32
	s_waitcnt vmcnt(3) lgkmcnt(0)
	v_mul_f64 v[24:25], v[12:13], v[20:21]
	v_mul_f64 v[20:21], v[10:11], v[20:21]
	s_waitcnt vmcnt(1)
	v_fma_f64 v[10:11], v[10:11], v[22:23], -v[24:25]
	v_fma_f64 v[12:13], v[12:13], v[22:23], v[20:21]
	s_waitcnt vmcnt(0)
	v_add_f64 v[0:1], v[0:1], -v[10:11]
	v_add_f64 v[2:3], v[2:3], -v[12:13]
	buffer_store_dword v1, v30, s[0:3], 0 offen offset:36
	buffer_store_dword v0, v30, s[0:3], 0 offen offset:32
	;; [unrolled: 1-line block ×4, first 2 shown]
	buffer_load_dword v11, v30, s[0:3], 0 offen offset:52
	buffer_load_dword v12, v30, s[0:3], 0 offen offset:56
	;; [unrolled: 1-line block ×3, first 2 shown]
	buffer_load_dword v20, off, s[0:3], 0 offset:152
	buffer_load_dword v21, off, s[0:3], 0 offset:156
	;; [unrolled: 1-line block ×4, first 2 shown]
	buffer_load_dword v10, v30, s[0:3], 0 offen offset:48
	ds_read2_b64 v[0:3], v4 offset0:6 offset1:7
	s_waitcnt vmcnt(3) lgkmcnt(0)
	v_mul_f64 v[4:5], v[2:3], v[20:21]
	v_mul_f64 v[20:21], v[0:1], v[20:21]
	s_waitcnt vmcnt(1)
	v_fma_f64 v[0:1], v[0:1], v[22:23], -v[4:5]
	v_fma_f64 v[2:3], v[2:3], v[22:23], v[20:21]
	s_waitcnt vmcnt(0)
	v_add_f64 v[0:1], v[10:11], -v[0:1]
	v_add_f64 v[2:3], v[12:13], -v[2:3]
	buffer_store_dword v1, v30, s[0:3], 0 offen offset:52
	buffer_store_dword v0, v30, s[0:3], 0 offen offset:48
	;; [unrolled: 1-line block ×4, first 2 shown]
	buffer_load_dword v0, off, s[0:3], 0 offset:144
	s_nop 0
	buffer_load_dword v1, off, s[0:3], 0 offset:148
	buffer_load_dword v2, off, s[0:3], 0 offset:152
	;; [unrolled: 1-line block ×3, first 2 shown]
	s_branch .LBB124_248
.LBB124_251:
	s_or_b64 exec, exec, s[4:5]
	s_waitcnt vmcnt(0)
	v_mov_b32_e32 v3, s9
	s_barrier
	buffer_load_dword v0, v3, s[0:3], 0 offen
	buffer_load_dword v1, v3, s[0:3], 0 offen offset:4
	buffer_load_dword v2, v3, s[0:3], 0 offen offset:8
	s_nop 0
	buffer_load_dword v3, v3, s[0:3], 0 offen offset:12
	v_lshl_add_u32 v4, v19, 4, v16
	s_cmp_lt_i32 s65, 12
	s_waitcnt vmcnt(0)
	ds_write2_b64 v4, v[0:1], v[2:3] offset1:1
	s_waitcnt lgkmcnt(0)
	s_barrier
	ds_read2_b64 v[0:3], v16 offset0:20 offset1:21
	v_mov_b32_e32 v4, 10
	s_cbranch_scc1 .LBB124_254
; %bb.252:
	v_add_u32_e32 v5, 0xb0, v16
	s_mov_b32 s16, 11
	v_mov_b32_e32 v4, 10
.LBB124_253:                            ; =>This Inner Loop Header: Depth=1
	s_waitcnt lgkmcnt(0)
	v_cmp_gt_f64_e32 vcc, 0, v[2:3]
	v_cmp_gt_f64_e64 s[4:5], 0, v[0:1]
	ds_read2_b64 v[10:13], v5 offset1:1
	v_xor_b32_e32 v21, 0x80000000, v1
	v_xor_b32_e32 v23, 0x80000000, v3
	v_mov_b32_e32 v20, v0
	v_mov_b32_e32 v22, v2
	s_waitcnt lgkmcnt(0)
	v_xor_b32_e32 v25, 0x80000000, v13
	v_cndmask_b32_e32 v23, v3, v23, vcc
	v_cndmask_b32_e64 v21, v1, v21, s[4:5]
	v_cmp_gt_f64_e32 vcc, 0, v[12:13]
	v_cmp_gt_f64_e64 s[4:5], 0, v[10:11]
	v_add_f64 v[20:21], v[20:21], v[22:23]
	v_xor_b32_e32 v23, 0x80000000, v11
	v_mov_b32_e32 v22, v10
	v_mov_b32_e32 v24, v12
	v_add_u32_e32 v5, 16, v5
	v_cndmask_b32_e32 v25, v13, v25, vcc
	v_cndmask_b32_e64 v23, v11, v23, s[4:5]
	v_add_f64 v[22:23], v[22:23], v[24:25]
	v_mov_b32_e32 v24, s16
	s_add_i32 s16, s16, 1
	s_cmp_lg_u32 s65, s16
	v_cmp_lt_f64_e32 vcc, v[20:21], v[22:23]
	v_cndmask_b32_e32 v1, v1, v11, vcc
	v_cndmask_b32_e32 v0, v0, v10, vcc
	;; [unrolled: 1-line block ×5, first 2 shown]
	s_cbranch_scc1 .LBB124_253
.LBB124_254:
	s_waitcnt lgkmcnt(0)
	v_cmp_eq_f64_e32 vcc, 0, v[0:1]
	v_cmp_eq_f64_e64 s[4:5], 0, v[2:3]
	s_and_b64 s[4:5], vcc, s[4:5]
	s_and_saveexec_b64 s[16:17], s[4:5]
	s_xor_b64 s[4:5], exec, s[16:17]
; %bb.255:
	v_cmp_ne_u32_e32 vcc, 0, v17
	v_cndmask_b32_e32 v17, 11, v17, vcc
; %bb.256:
	s_andn2_saveexec_b64 s[4:5], s[4:5]
	s_cbranch_execz .LBB124_262
; %bb.257:
	v_cmp_ngt_f64_e64 s[16:17], |v[0:1]|, |v[2:3]|
	s_and_saveexec_b64 s[18:19], s[16:17]
	s_xor_b64 s[18:19], exec, s[18:19]
	s_cbranch_execz .LBB124_259
; %bb.258:
	v_div_scale_f64 v[10:11], s[16:17], v[2:3], v[2:3], v[0:1]
	v_rcp_f64_e32 v[12:13], v[10:11]
	v_fma_f64 v[20:21], -v[10:11], v[12:13], 1.0
	v_fma_f64 v[12:13], v[12:13], v[20:21], v[12:13]
	v_div_scale_f64 v[20:21], vcc, v[0:1], v[2:3], v[0:1]
	v_fma_f64 v[22:23], -v[10:11], v[12:13], 1.0
	v_fma_f64 v[12:13], v[12:13], v[22:23], v[12:13]
	v_mul_f64 v[22:23], v[20:21], v[12:13]
	v_fma_f64 v[10:11], -v[10:11], v[22:23], v[20:21]
	v_div_fmas_f64 v[10:11], v[10:11], v[12:13], v[22:23]
	v_div_fixup_f64 v[10:11], v[10:11], v[2:3], v[0:1]
	v_fma_f64 v[0:1], v[0:1], v[10:11], v[2:3]
	v_div_scale_f64 v[2:3], s[16:17], v[0:1], v[0:1], 1.0
	v_div_scale_f64 v[22:23], vcc, 1.0, v[0:1], 1.0
	v_rcp_f64_e32 v[12:13], v[2:3]
	v_fma_f64 v[20:21], -v[2:3], v[12:13], 1.0
	v_fma_f64 v[12:13], v[12:13], v[20:21], v[12:13]
	v_fma_f64 v[20:21], -v[2:3], v[12:13], 1.0
	v_fma_f64 v[12:13], v[12:13], v[20:21], v[12:13]
	v_mul_f64 v[20:21], v[22:23], v[12:13]
	v_fma_f64 v[2:3], -v[2:3], v[20:21], v[22:23]
	v_div_fmas_f64 v[2:3], v[2:3], v[12:13], v[20:21]
	v_div_fixup_f64 v[2:3], v[2:3], v[0:1], 1.0
	v_mul_f64 v[0:1], v[10:11], v[2:3]
	v_xor_b32_e32 v3, 0x80000000, v3
.LBB124_259:
	s_andn2_saveexec_b64 s[18:19], s[18:19]
	s_cbranch_execz .LBB124_261
; %bb.260:
	v_div_scale_f64 v[10:11], s[16:17], v[0:1], v[0:1], v[2:3]
	v_rcp_f64_e32 v[12:13], v[10:11]
	v_fma_f64 v[20:21], -v[10:11], v[12:13], 1.0
	v_fma_f64 v[12:13], v[12:13], v[20:21], v[12:13]
	v_div_scale_f64 v[20:21], vcc, v[2:3], v[0:1], v[2:3]
	v_fma_f64 v[22:23], -v[10:11], v[12:13], 1.0
	v_fma_f64 v[12:13], v[12:13], v[22:23], v[12:13]
	v_mul_f64 v[22:23], v[20:21], v[12:13]
	v_fma_f64 v[10:11], -v[10:11], v[22:23], v[20:21]
	v_div_fmas_f64 v[10:11], v[10:11], v[12:13], v[22:23]
	v_div_fixup_f64 v[10:11], v[10:11], v[0:1], v[2:3]
	v_fma_f64 v[0:1], v[2:3], v[10:11], v[0:1]
	v_div_scale_f64 v[2:3], s[16:17], v[0:1], v[0:1], 1.0
	v_div_scale_f64 v[22:23], vcc, 1.0, v[0:1], 1.0
	v_rcp_f64_e32 v[12:13], v[2:3]
	v_fma_f64 v[20:21], -v[2:3], v[12:13], 1.0
	v_fma_f64 v[12:13], v[12:13], v[20:21], v[12:13]
	v_fma_f64 v[20:21], -v[2:3], v[12:13], 1.0
	v_fma_f64 v[12:13], v[12:13], v[20:21], v[12:13]
	v_mul_f64 v[20:21], v[22:23], v[12:13]
	v_fma_f64 v[2:3], -v[2:3], v[20:21], v[22:23]
	v_div_fmas_f64 v[2:3], v[2:3], v[12:13], v[20:21]
	v_div_fixup_f64 v[0:1], v[2:3], v[0:1], 1.0
	v_mul_f64 v[2:3], v[10:11], -v[0:1]
.LBB124_261:
	s_or_b64 exec, exec, s[18:19]
.LBB124_262:
	s_or_b64 exec, exec, s[4:5]
	v_cmp_ne_u32_e32 vcc, v19, v4
	s_and_saveexec_b64 s[4:5], vcc
	s_xor_b64 s[4:5], exec, s[4:5]
	s_cbranch_execz .LBB124_268
; %bb.263:
	v_cmp_eq_u32_e32 vcc, 10, v19
	s_and_saveexec_b64 s[18:19], vcc
	s_cbranch_execz .LBB124_267
; %bb.264:
	v_cmp_ne_u32_e32 vcc, 10, v4
	s_xor_b64 s[16:17], s[10:11], -1
	s_and_b64 s[16:17], s[16:17], vcc
	s_and_saveexec_b64 s[24:25], s[16:17]
	s_cbranch_execz .LBB124_266
; %bb.265:
	v_ashrrev_i32_e32 v5, 31, v4
	v_lshlrev_b64 v[10:11], 2, v[4:5]
	v_add_co_u32_e32 v10, vcc, v8, v10
	v_addc_co_u32_e32 v11, vcc, v9, v11, vcc
	global_load_dword v5, v[10:11], off
	global_load_dword v12, v[8:9], off offset:40
	s_waitcnt vmcnt(1)
	global_store_dword v[8:9], v5, off offset:40
	s_waitcnt vmcnt(1)
	global_store_dword v[10:11], v12, off
.LBB124_266:
	s_or_b64 exec, exec, s[24:25]
	v_mov_b32_e32 v19, v4
	v_mov_b32_e32 v18, v4
.LBB124_267:
	s_or_b64 exec, exec, s[18:19]
.LBB124_268:
	s_andn2_saveexec_b64 s[4:5], s[4:5]
	s_cbranch_execz .LBB124_272
; %bb.269:
	s_movk_i32 s16, 0xb0
.LBB124_270:                            ; =>This Inner Loop Header: Depth=1
	v_mov_b32_e32 v29, s16
	buffer_load_dword v4, v29, s[0:3], 0 offen
	buffer_load_dword v5, v29, s[0:3], 0 offen offset:4
	buffer_load_dword v10, v29, s[0:3], 0 offen offset:8
	;; [unrolled: 1-line block ×15, first 2 shown]
	v_add_u32_e32 v30, s16, v16
	s_addk_i32 s16, 0xd0
	s_cmpk_eq_i32 s16, 0x3f0
	s_waitcnt vmcnt(12)
	ds_write2_b64 v30, v[4:5], v[10:11] offset1:1
	s_waitcnt vmcnt(8)
	ds_write2_b64 v30, v[12:13], v[19:20] offset0:2 offset1:3
	s_waitcnt vmcnt(4)
	ds_write2_b64 v30, v[21:22], v[23:24] offset0:4 offset1:5
	;; [unrolled: 2-line block ×3, first 2 shown]
	buffer_load_dword v5, v29, s[0:3], 0 offen offset:76
	buffer_load_dword v4, v29, s[0:3], 0 offen offset:72
	buffer_load_dword v11, v29, s[0:3], 0 offen offset:68
	buffer_load_dword v10, v29, s[0:3], 0 offen offset:64
	s_waitcnt vmcnt(0)
	ds_write2_b64 v30, v[10:11], v[4:5] offset0:8 offset1:9
	buffer_load_dword v5, v29, s[0:3], 0 offen offset:92
	buffer_load_dword v4, v29, s[0:3], 0 offen offset:88
	buffer_load_dword v11, v29, s[0:3], 0 offen offset:84
	buffer_load_dword v10, v29, s[0:3], 0 offen offset:80
	s_waitcnt vmcnt(0)
	ds_write2_b64 v30, v[10:11], v[4:5] offset0:10 offset1:11
	;; [unrolled: 6-line block ×9, first 2 shown]
	s_cbranch_scc0 .LBB124_270
; %bb.271:
	v_mov_b32_e32 v19, 10
.LBB124_272:
	s_or_b64 exec, exec, s[4:5]
	v_cmp_lt_i32_e32 vcc, 10, v19
	s_waitcnt vmcnt(0) lgkmcnt(0)
	s_barrier
	s_and_saveexec_b64 s[4:5], vcc
	s_cbranch_execz .LBB124_275
; %bb.273:
	buffer_load_dword v4, off, s[0:3], 0 offset:168
	buffer_load_dword v5, off, s[0:3], 0 offset:172
	;; [unrolled: 1-line block ×4, first 2 shown]
	s_movk_i32 s18, 0xb0
	s_waitcnt vmcnt(2)
	v_mul_f64 v[12:13], v[2:3], v[4:5]
	v_mul_f64 v[4:5], v[0:1], v[4:5]
	s_waitcnt vmcnt(0)
	v_fma_f64 v[0:1], v[0:1], v[10:11], -v[12:13]
	v_fma_f64 v[2:3], v[2:3], v[10:11], v[4:5]
	buffer_store_dword v0, off, s[0:3], 0 offset:160
	buffer_store_dword v1, off, s[0:3], 0 offset:164
	;; [unrolled: 1-line block ×4, first 2 shown]
.LBB124_274:                            ; =>This Inner Loop Header: Depth=1
	buffer_load_dword v4, off, s[0:3], 0 offset:168
	buffer_load_dword v5, off, s[0:3], 0 offset:172
	;; [unrolled: 1-line block ×4, first 2 shown]
	v_mov_b32_e32 v32, s18
	buffer_load_dword v22, v32, s[0:3], 0 offen
	buffer_load_dword v23, v32, s[0:3], 0 offen offset:4
	buffer_load_dword v24, v32, s[0:3], 0 offen offset:8
	buffer_load_dword v25, v32, s[0:3], 0 offen offset:12
	v_add_u32_e32 v33, s18, v16
	ds_read2_b64 v[0:3], v33 offset1:1
	buffer_load_dword v26, v32, s[0:3], 0 offen offset:16
	buffer_load_dword v27, v32, s[0:3], 0 offen offset:20
	;; [unrolled: 1-line block ×4, first 2 shown]
	ds_read2_b64 v[10:13], v33 offset0:2 offset1:3
	s_add_i32 s18, s18, 64
	s_cmpk_lg_i32 s18, 0x3f0
	s_waitcnt vmcnt(10) lgkmcnt(1)
	v_mul_f64 v[30:31], v[2:3], v[4:5]
	v_mul_f64 v[4:5], v[0:1], v[4:5]
	s_waitcnt vmcnt(8)
	v_fma_f64 v[0:1], v[0:1], v[20:21], -v[30:31]
	v_fma_f64 v[2:3], v[2:3], v[20:21], v[4:5]
	s_waitcnt vmcnt(6)
	v_add_f64 v[0:1], v[22:23], -v[0:1]
	s_waitcnt vmcnt(4)
	v_add_f64 v[2:3], v[24:25], -v[2:3]
	buffer_store_dword v1, v32, s[0:3], 0 offen offset:4
	buffer_store_dword v0, v32, s[0:3], 0 offen
	buffer_store_dword v3, v32, s[0:3], 0 offen offset:12
	buffer_store_dword v2, v32, s[0:3], 0 offen offset:8
	buffer_load_dword v1, off, s[0:3], 0 offset:172
	s_nop 0
	buffer_load_dword v0, off, s[0:3], 0 offset:168
	buffer_load_dword v3, off, s[0:3], 0 offset:164
	;; [unrolled: 1-line block ×3, first 2 shown]
	buffer_load_dword v4, v32, s[0:3], 0 offen offset:32
	buffer_load_dword v5, v32, s[0:3], 0 offen offset:36
	;; [unrolled: 1-line block ×4, first 2 shown]
	s_waitcnt vmcnt(6) lgkmcnt(0)
	v_mul_f64 v[22:23], v[12:13], v[0:1]
	v_mul_f64 v[0:1], v[10:11], v[0:1]
	s_waitcnt vmcnt(4)
	v_fma_f64 v[10:11], v[10:11], v[2:3], -v[22:23]
	v_fma_f64 v[0:1], v[12:13], v[2:3], v[0:1]
	v_add_f64 v[2:3], v[26:27], -v[10:11]
	v_add_f64 v[0:1], v[28:29], -v[0:1]
	buffer_store_dword v3, v32, s[0:3], 0 offen offset:20
	buffer_store_dword v2, v32, s[0:3], 0 offen offset:16
	;; [unrolled: 1-line block ×4, first 2 shown]
	buffer_load_dword v22, off, s[0:3], 0 offset:168
	buffer_load_dword v23, off, s[0:3], 0 offset:172
	buffer_load_dword v24, off, s[0:3], 0 offset:160
	buffer_load_dword v25, off, s[0:3], 0 offset:164
	ds_read2_b64 v[0:3], v33 offset0:4 offset1:5
	ds_read2_b64 v[10:13], v33 offset0:6 offset1:7
	s_waitcnt vmcnt(2) lgkmcnt(1)
	v_mul_f64 v[26:27], v[2:3], v[22:23]
	v_mul_f64 v[22:23], v[0:1], v[22:23]
	s_waitcnt vmcnt(0)
	v_fma_f64 v[0:1], v[0:1], v[24:25], -v[26:27]
	v_fma_f64 v[2:3], v[2:3], v[24:25], v[22:23]
	v_add_f64 v[0:1], v[4:5], -v[0:1]
	v_add_f64 v[2:3], v[20:21], -v[2:3]
	buffer_store_dword v1, v32, s[0:3], 0 offen offset:36
	buffer_store_dword v0, v32, s[0:3], 0 offen offset:32
	;; [unrolled: 1-line block ×4, first 2 shown]
	buffer_load_dword v0, off, s[0:3], 0 offset:168
	s_nop 0
	buffer_load_dword v1, off, s[0:3], 0 offset:172
	buffer_load_dword v2, off, s[0:3], 0 offset:160
	;; [unrolled: 1-line block ×3, first 2 shown]
	buffer_load_dword v4, v32, s[0:3], 0 offen offset:48
	buffer_load_dword v5, v32, s[0:3], 0 offen offset:52
	;; [unrolled: 1-line block ×4, first 2 shown]
	s_waitcnt vmcnt(6) lgkmcnt(0)
	v_mul_f64 v[22:23], v[12:13], v[0:1]
	v_mul_f64 v[0:1], v[10:11], v[0:1]
	s_waitcnt vmcnt(4)
	v_fma_f64 v[10:11], v[10:11], v[2:3], -v[22:23]
	v_fma_f64 v[0:1], v[12:13], v[2:3], v[0:1]
	s_waitcnt vmcnt(2)
	v_add_f64 v[2:3], v[4:5], -v[10:11]
	s_waitcnt vmcnt(0)
	v_add_f64 v[0:1], v[20:21], -v[0:1]
	buffer_store_dword v3, v32, s[0:3], 0 offen offset:52
	buffer_store_dword v2, v32, s[0:3], 0 offen offset:48
	buffer_store_dword v1, v32, s[0:3], 0 offen offset:60
	buffer_store_dword v0, v32, s[0:3], 0 offen offset:56
	s_cbranch_scc1 .LBB124_274
.LBB124_275:
	s_or_b64 exec, exec, s[4:5]
	v_mov_b32_e32 v3, s77
	s_waitcnt vmcnt(0)
	s_barrier
	buffer_load_dword v0, v3, s[0:3], 0 offen
	buffer_load_dword v1, v3, s[0:3], 0 offen offset:4
	buffer_load_dword v2, v3, s[0:3], 0 offen offset:8
	s_nop 0
	buffer_load_dword v3, v3, s[0:3], 0 offen offset:12
	v_lshl_add_u32 v4, v19, 4, v16
	s_cmp_lt_i32 s65, 13
	s_waitcnt vmcnt(0)
	ds_write2_b64 v4, v[0:1], v[2:3] offset1:1
	s_waitcnt lgkmcnt(0)
	s_barrier
	ds_read2_b64 v[0:3], v16 offset0:22 offset1:23
	v_mov_b32_e32 v4, 11
	s_cbranch_scc1 .LBB124_278
; %bb.276:
	v_add_u32_e32 v5, 0xc0, v16
	s_mov_b32 s16, 12
	v_mov_b32_e32 v4, 11
.LBB124_277:                            ; =>This Inner Loop Header: Depth=1
	s_waitcnt lgkmcnt(0)
	v_cmp_gt_f64_e32 vcc, 0, v[2:3]
	v_cmp_gt_f64_e64 s[4:5], 0, v[0:1]
	ds_read2_b64 v[10:13], v5 offset1:1
	v_xor_b32_e32 v21, 0x80000000, v1
	v_xor_b32_e32 v23, 0x80000000, v3
	v_mov_b32_e32 v20, v0
	v_mov_b32_e32 v22, v2
	s_waitcnt lgkmcnt(0)
	v_xor_b32_e32 v25, 0x80000000, v13
	v_cndmask_b32_e32 v23, v3, v23, vcc
	v_cndmask_b32_e64 v21, v1, v21, s[4:5]
	v_cmp_gt_f64_e32 vcc, 0, v[12:13]
	v_cmp_gt_f64_e64 s[4:5], 0, v[10:11]
	v_add_f64 v[20:21], v[20:21], v[22:23]
	v_xor_b32_e32 v23, 0x80000000, v11
	v_mov_b32_e32 v22, v10
	v_mov_b32_e32 v24, v12
	v_add_u32_e32 v5, 16, v5
	v_cndmask_b32_e32 v25, v13, v25, vcc
	v_cndmask_b32_e64 v23, v11, v23, s[4:5]
	v_add_f64 v[22:23], v[22:23], v[24:25]
	v_mov_b32_e32 v24, s16
	s_add_i32 s16, s16, 1
	s_cmp_lg_u32 s65, s16
	v_cmp_lt_f64_e32 vcc, v[20:21], v[22:23]
	v_cndmask_b32_e32 v1, v1, v11, vcc
	v_cndmask_b32_e32 v0, v0, v10, vcc
	;; [unrolled: 1-line block ×5, first 2 shown]
	s_cbranch_scc1 .LBB124_277
.LBB124_278:
	s_waitcnt lgkmcnt(0)
	v_cmp_eq_f64_e32 vcc, 0, v[0:1]
	v_cmp_eq_f64_e64 s[4:5], 0, v[2:3]
	s_and_b64 s[4:5], vcc, s[4:5]
	s_and_saveexec_b64 s[16:17], s[4:5]
	s_xor_b64 s[4:5], exec, s[16:17]
; %bb.279:
	v_cmp_ne_u32_e32 vcc, 0, v17
	v_cndmask_b32_e32 v17, 12, v17, vcc
; %bb.280:
	s_andn2_saveexec_b64 s[4:5], s[4:5]
	s_cbranch_execz .LBB124_286
; %bb.281:
	v_cmp_ngt_f64_e64 s[16:17], |v[0:1]|, |v[2:3]|
	s_and_saveexec_b64 s[18:19], s[16:17]
	s_xor_b64 s[18:19], exec, s[18:19]
	s_cbranch_execz .LBB124_283
; %bb.282:
	v_div_scale_f64 v[10:11], s[16:17], v[2:3], v[2:3], v[0:1]
	v_rcp_f64_e32 v[12:13], v[10:11]
	v_fma_f64 v[20:21], -v[10:11], v[12:13], 1.0
	v_fma_f64 v[12:13], v[12:13], v[20:21], v[12:13]
	v_div_scale_f64 v[20:21], vcc, v[0:1], v[2:3], v[0:1]
	v_fma_f64 v[22:23], -v[10:11], v[12:13], 1.0
	v_fma_f64 v[12:13], v[12:13], v[22:23], v[12:13]
	v_mul_f64 v[22:23], v[20:21], v[12:13]
	v_fma_f64 v[10:11], -v[10:11], v[22:23], v[20:21]
	v_div_fmas_f64 v[10:11], v[10:11], v[12:13], v[22:23]
	v_div_fixup_f64 v[10:11], v[10:11], v[2:3], v[0:1]
	v_fma_f64 v[0:1], v[0:1], v[10:11], v[2:3]
	v_div_scale_f64 v[2:3], s[16:17], v[0:1], v[0:1], 1.0
	v_div_scale_f64 v[22:23], vcc, 1.0, v[0:1], 1.0
	v_rcp_f64_e32 v[12:13], v[2:3]
	v_fma_f64 v[20:21], -v[2:3], v[12:13], 1.0
	v_fma_f64 v[12:13], v[12:13], v[20:21], v[12:13]
	v_fma_f64 v[20:21], -v[2:3], v[12:13], 1.0
	v_fma_f64 v[12:13], v[12:13], v[20:21], v[12:13]
	v_mul_f64 v[20:21], v[22:23], v[12:13]
	v_fma_f64 v[2:3], -v[2:3], v[20:21], v[22:23]
	v_div_fmas_f64 v[2:3], v[2:3], v[12:13], v[20:21]
	v_div_fixup_f64 v[2:3], v[2:3], v[0:1], 1.0
	v_mul_f64 v[0:1], v[10:11], v[2:3]
	v_xor_b32_e32 v3, 0x80000000, v3
.LBB124_283:
	s_andn2_saveexec_b64 s[18:19], s[18:19]
	s_cbranch_execz .LBB124_285
; %bb.284:
	v_div_scale_f64 v[10:11], s[16:17], v[0:1], v[0:1], v[2:3]
	v_rcp_f64_e32 v[12:13], v[10:11]
	v_fma_f64 v[20:21], -v[10:11], v[12:13], 1.0
	v_fma_f64 v[12:13], v[12:13], v[20:21], v[12:13]
	v_div_scale_f64 v[20:21], vcc, v[2:3], v[0:1], v[2:3]
	v_fma_f64 v[22:23], -v[10:11], v[12:13], 1.0
	v_fma_f64 v[12:13], v[12:13], v[22:23], v[12:13]
	v_mul_f64 v[22:23], v[20:21], v[12:13]
	v_fma_f64 v[10:11], -v[10:11], v[22:23], v[20:21]
	v_div_fmas_f64 v[10:11], v[10:11], v[12:13], v[22:23]
	v_div_fixup_f64 v[10:11], v[10:11], v[0:1], v[2:3]
	v_fma_f64 v[0:1], v[2:3], v[10:11], v[0:1]
	v_div_scale_f64 v[2:3], s[16:17], v[0:1], v[0:1], 1.0
	v_div_scale_f64 v[22:23], vcc, 1.0, v[0:1], 1.0
	v_rcp_f64_e32 v[12:13], v[2:3]
	v_fma_f64 v[20:21], -v[2:3], v[12:13], 1.0
	v_fma_f64 v[12:13], v[12:13], v[20:21], v[12:13]
	v_fma_f64 v[20:21], -v[2:3], v[12:13], 1.0
	v_fma_f64 v[12:13], v[12:13], v[20:21], v[12:13]
	v_mul_f64 v[20:21], v[22:23], v[12:13]
	v_fma_f64 v[2:3], -v[2:3], v[20:21], v[22:23]
	v_div_fmas_f64 v[2:3], v[2:3], v[12:13], v[20:21]
	v_div_fixup_f64 v[0:1], v[2:3], v[0:1], 1.0
	v_mul_f64 v[2:3], v[10:11], -v[0:1]
.LBB124_285:
	s_or_b64 exec, exec, s[18:19]
.LBB124_286:
	s_or_b64 exec, exec, s[4:5]
	v_cmp_ne_u32_e32 vcc, v19, v4
	s_and_saveexec_b64 s[4:5], vcc
	s_xor_b64 s[4:5], exec, s[4:5]
	s_cbranch_execz .LBB124_292
; %bb.287:
	v_cmp_eq_u32_e32 vcc, 11, v19
	s_and_saveexec_b64 s[18:19], vcc
	s_cbranch_execz .LBB124_291
; %bb.288:
	v_cmp_ne_u32_e32 vcc, 11, v4
	s_xor_b64 s[16:17], s[10:11], -1
	s_and_b64 s[16:17], s[16:17], vcc
	s_and_saveexec_b64 s[24:25], s[16:17]
	s_cbranch_execz .LBB124_290
; %bb.289:
	v_ashrrev_i32_e32 v5, 31, v4
	v_lshlrev_b64 v[10:11], 2, v[4:5]
	v_add_co_u32_e32 v10, vcc, v8, v10
	v_addc_co_u32_e32 v11, vcc, v9, v11, vcc
	global_load_dword v5, v[10:11], off
	global_load_dword v12, v[8:9], off offset:44
	s_waitcnt vmcnt(1)
	global_store_dword v[8:9], v5, off offset:44
	s_waitcnt vmcnt(1)
	global_store_dword v[10:11], v12, off
.LBB124_290:
	s_or_b64 exec, exec, s[24:25]
	v_mov_b32_e32 v19, v4
	v_mov_b32_e32 v18, v4
.LBB124_291:
	s_or_b64 exec, exec, s[18:19]
.LBB124_292:
	s_andn2_saveexec_b64 s[4:5], s[4:5]
	s_cbranch_execz .LBB124_296
; %bb.293:
	s_movk_i32 s18, 0xc0
.LBB124_294:                            ; =>This Inner Loop Header: Depth=1
	v_mov_b32_e32 v29, s18
	buffer_load_dword v4, v29, s[0:3], 0 offen
	buffer_load_dword v5, v29, s[0:3], 0 offen offset:4
	buffer_load_dword v10, v29, s[0:3], 0 offen offset:8
	;; [unrolled: 1-line block ×15, first 2 shown]
	v_add_u32_e32 v30, s18, v16
	s_addk_i32 s18, 0x110
	s_cmpk_eq_i32 s18, 0x3f0
	s_waitcnt vmcnt(12)
	ds_write2_b64 v30, v[4:5], v[10:11] offset1:1
	s_waitcnt vmcnt(8)
	ds_write2_b64 v30, v[12:13], v[19:20] offset0:2 offset1:3
	s_waitcnt vmcnt(4)
	ds_write2_b64 v30, v[21:22], v[23:24] offset0:4 offset1:5
	;; [unrolled: 2-line block ×3, first 2 shown]
	buffer_load_dword v5, v29, s[0:3], 0 offen offset:76
	buffer_load_dword v4, v29, s[0:3], 0 offen offset:72
	buffer_load_dword v11, v29, s[0:3], 0 offen offset:68
	buffer_load_dword v10, v29, s[0:3], 0 offen offset:64
	s_waitcnt vmcnt(0)
	ds_write2_b64 v30, v[10:11], v[4:5] offset0:8 offset1:9
	buffer_load_dword v5, v29, s[0:3], 0 offen offset:92
	buffer_load_dword v4, v29, s[0:3], 0 offen offset:88
	buffer_load_dword v11, v29, s[0:3], 0 offen offset:84
	buffer_load_dword v10, v29, s[0:3], 0 offen offset:80
	s_waitcnt vmcnt(0)
	ds_write2_b64 v30, v[10:11], v[4:5] offset0:10 offset1:11
	;; [unrolled: 6-line block ×13, first 2 shown]
	s_cbranch_scc0 .LBB124_294
; %bb.295:
	v_mov_b32_e32 v19, 11
.LBB124_296:
	s_or_b64 exec, exec, s[4:5]
	v_cmp_lt_i32_e32 vcc, 11, v19
	s_waitcnt vmcnt(0) lgkmcnt(0)
	s_barrier
	s_and_saveexec_b64 s[4:5], vcc
	s_cbranch_execz .LBB124_299
; %bb.297:
	buffer_load_dword v4, off, s[0:3], 0 offset:184
	buffer_load_dword v5, off, s[0:3], 0 offset:188
	;; [unrolled: 1-line block ×4, first 2 shown]
	s_movk_i32 s16, 0xc0
	s_waitcnt vmcnt(2)
	v_mul_f64 v[12:13], v[2:3], v[4:5]
	v_mul_f64 v[4:5], v[0:1], v[4:5]
	s_waitcnt vmcnt(0)
	v_fma_f64 v[0:1], v[0:1], v[10:11], -v[12:13]
	v_fma_f64 v[2:3], v[2:3], v[10:11], v[4:5]
	buffer_store_dword v0, off, s[0:3], 0 offset:176
	buffer_store_dword v1, off, s[0:3], 0 offset:180
	buffer_store_dword v2, off, s[0:3], 0 offset:184
	buffer_store_dword v3, off, s[0:3], 0 offset:188
.LBB124_298:                            ; =>This Inner Loop Header: Depth=1
	buffer_load_dword v4, off, s[0:3], 0 offset:184
	buffer_load_dword v5, off, s[0:3], 0 offset:188
	buffer_load_dword v20, off, s[0:3], 0 offset:176
	buffer_load_dword v21, off, s[0:3], 0 offset:180
	v_mov_b32_e32 v32, s16
	buffer_load_dword v22, v32, s[0:3], 0 offen
	buffer_load_dword v23, v32, s[0:3], 0 offen offset:4
	buffer_load_dword v24, v32, s[0:3], 0 offen offset:8
	;; [unrolled: 1-line block ×3, first 2 shown]
	v_add_u32_e32 v33, s16, v16
	ds_read2_b64 v[0:3], v33 offset1:1
	buffer_load_dword v26, v32, s[0:3], 0 offen offset:16
	buffer_load_dword v27, v32, s[0:3], 0 offen offset:20
	;; [unrolled: 1-line block ×4, first 2 shown]
	ds_read2_b64 v[10:13], v33 offset0:2 offset1:3
	s_add_i32 s16, s16, 48
	s_cmpk_lg_i32 s16, 0x3f0
	s_waitcnt vmcnt(10) lgkmcnt(1)
	v_mul_f64 v[30:31], v[2:3], v[4:5]
	v_mul_f64 v[4:5], v[0:1], v[4:5]
	s_waitcnt vmcnt(8)
	v_fma_f64 v[0:1], v[0:1], v[20:21], -v[30:31]
	v_fma_f64 v[2:3], v[2:3], v[20:21], v[4:5]
	s_waitcnt vmcnt(6)
	v_add_f64 v[0:1], v[22:23], -v[0:1]
	s_waitcnt vmcnt(4)
	v_add_f64 v[2:3], v[24:25], -v[2:3]
	buffer_store_dword v1, v32, s[0:3], 0 offen offset:4
	buffer_store_dword v0, v32, s[0:3], 0 offen
	buffer_store_dword v3, v32, s[0:3], 0 offen offset:12
	buffer_store_dword v2, v32, s[0:3], 0 offen offset:8
	buffer_load_dword v1, off, s[0:3], 0 offset:188
	s_nop 0
	buffer_load_dword v0, off, s[0:3], 0 offset:184
	buffer_load_dword v3, off, s[0:3], 0 offset:180
	;; [unrolled: 1-line block ×3, first 2 shown]
	buffer_load_dword v4, v32, s[0:3], 0 offen offset:32
	buffer_load_dword v5, v32, s[0:3], 0 offen offset:36
	;; [unrolled: 1-line block ×4, first 2 shown]
	s_waitcnt vmcnt(6) lgkmcnt(0)
	v_mul_f64 v[22:23], v[12:13], v[0:1]
	v_mul_f64 v[0:1], v[10:11], v[0:1]
	s_waitcnt vmcnt(4)
	v_fma_f64 v[10:11], v[10:11], v[2:3], -v[22:23]
	v_fma_f64 v[0:1], v[12:13], v[2:3], v[0:1]
	v_add_f64 v[2:3], v[26:27], -v[10:11]
	v_add_f64 v[0:1], v[28:29], -v[0:1]
	buffer_store_dword v3, v32, s[0:3], 0 offen offset:20
	buffer_store_dword v2, v32, s[0:3], 0 offen offset:16
	;; [unrolled: 1-line block ×4, first 2 shown]
	buffer_load_dword v10, off, s[0:3], 0 offset:184
	buffer_load_dword v11, off, s[0:3], 0 offset:188
	;; [unrolled: 1-line block ×4, first 2 shown]
	ds_read2_b64 v[0:3], v33 offset0:4 offset1:5
	s_waitcnt vmcnt(2) lgkmcnt(0)
	v_mul_f64 v[22:23], v[2:3], v[10:11]
	v_mul_f64 v[10:11], v[0:1], v[10:11]
	s_waitcnt vmcnt(0)
	v_fma_f64 v[0:1], v[0:1], v[12:13], -v[22:23]
	v_fma_f64 v[2:3], v[2:3], v[12:13], v[10:11]
	v_add_f64 v[0:1], v[4:5], -v[0:1]
	v_add_f64 v[2:3], v[20:21], -v[2:3]
	buffer_store_dword v1, v32, s[0:3], 0 offen offset:36
	buffer_store_dword v0, v32, s[0:3], 0 offen offset:32
	;; [unrolled: 1-line block ×4, first 2 shown]
	s_cbranch_scc1 .LBB124_298
.LBB124_299:
	s_or_b64 exec, exec, s[4:5]
	v_mov_b32_e32 v3, s76
	s_waitcnt vmcnt(0)
	s_barrier
	buffer_load_dword v0, v3, s[0:3], 0 offen
	buffer_load_dword v1, v3, s[0:3], 0 offen offset:4
	buffer_load_dword v2, v3, s[0:3], 0 offen offset:8
	s_nop 0
	buffer_load_dword v3, v3, s[0:3], 0 offen offset:12
	v_lshl_add_u32 v4, v19, 4, v16
	s_cmp_lt_i32 s65, 14
	s_waitcnt vmcnt(0)
	ds_write2_b64 v4, v[0:1], v[2:3] offset1:1
	s_waitcnt lgkmcnt(0)
	s_barrier
	ds_read2_b64 v[0:3], v16 offset0:24 offset1:25
	v_mov_b32_e32 v4, 12
	s_cbranch_scc1 .LBB124_302
; %bb.300:
	v_add_u32_e32 v5, 0xd0, v16
	s_mov_b32 s16, 13
	v_mov_b32_e32 v4, 12
.LBB124_301:                            ; =>This Inner Loop Header: Depth=1
	s_waitcnt lgkmcnt(0)
	v_cmp_gt_f64_e32 vcc, 0, v[2:3]
	v_cmp_gt_f64_e64 s[4:5], 0, v[0:1]
	ds_read2_b64 v[10:13], v5 offset1:1
	v_xor_b32_e32 v21, 0x80000000, v1
	v_xor_b32_e32 v23, 0x80000000, v3
	v_mov_b32_e32 v20, v0
	v_mov_b32_e32 v22, v2
	s_waitcnt lgkmcnt(0)
	v_xor_b32_e32 v25, 0x80000000, v13
	v_cndmask_b32_e32 v23, v3, v23, vcc
	v_cndmask_b32_e64 v21, v1, v21, s[4:5]
	v_cmp_gt_f64_e32 vcc, 0, v[12:13]
	v_cmp_gt_f64_e64 s[4:5], 0, v[10:11]
	v_add_f64 v[20:21], v[20:21], v[22:23]
	v_xor_b32_e32 v23, 0x80000000, v11
	v_mov_b32_e32 v22, v10
	v_mov_b32_e32 v24, v12
	v_add_u32_e32 v5, 16, v5
	v_cndmask_b32_e32 v25, v13, v25, vcc
	v_cndmask_b32_e64 v23, v11, v23, s[4:5]
	v_add_f64 v[22:23], v[22:23], v[24:25]
	v_mov_b32_e32 v24, s16
	s_add_i32 s16, s16, 1
	s_cmp_lg_u32 s65, s16
	v_cmp_lt_f64_e32 vcc, v[20:21], v[22:23]
	v_cndmask_b32_e32 v1, v1, v11, vcc
	v_cndmask_b32_e32 v0, v0, v10, vcc
	;; [unrolled: 1-line block ×5, first 2 shown]
	s_cbranch_scc1 .LBB124_301
.LBB124_302:
	s_waitcnt lgkmcnt(0)
	v_cmp_eq_f64_e32 vcc, 0, v[0:1]
	v_cmp_eq_f64_e64 s[4:5], 0, v[2:3]
	s_and_b64 s[4:5], vcc, s[4:5]
	s_and_saveexec_b64 s[16:17], s[4:5]
	s_xor_b64 s[4:5], exec, s[16:17]
; %bb.303:
	v_cmp_ne_u32_e32 vcc, 0, v17
	v_cndmask_b32_e32 v17, 13, v17, vcc
; %bb.304:
	s_andn2_saveexec_b64 s[4:5], s[4:5]
	s_cbranch_execz .LBB124_310
; %bb.305:
	v_cmp_ngt_f64_e64 s[16:17], |v[0:1]|, |v[2:3]|
	s_and_saveexec_b64 s[18:19], s[16:17]
	s_xor_b64 s[18:19], exec, s[18:19]
	s_cbranch_execz .LBB124_307
; %bb.306:
	v_div_scale_f64 v[10:11], s[16:17], v[2:3], v[2:3], v[0:1]
	v_rcp_f64_e32 v[12:13], v[10:11]
	v_fma_f64 v[20:21], -v[10:11], v[12:13], 1.0
	v_fma_f64 v[12:13], v[12:13], v[20:21], v[12:13]
	v_div_scale_f64 v[20:21], vcc, v[0:1], v[2:3], v[0:1]
	v_fma_f64 v[22:23], -v[10:11], v[12:13], 1.0
	v_fma_f64 v[12:13], v[12:13], v[22:23], v[12:13]
	v_mul_f64 v[22:23], v[20:21], v[12:13]
	v_fma_f64 v[10:11], -v[10:11], v[22:23], v[20:21]
	v_div_fmas_f64 v[10:11], v[10:11], v[12:13], v[22:23]
	v_div_fixup_f64 v[10:11], v[10:11], v[2:3], v[0:1]
	v_fma_f64 v[0:1], v[0:1], v[10:11], v[2:3]
	v_div_scale_f64 v[2:3], s[16:17], v[0:1], v[0:1], 1.0
	v_div_scale_f64 v[22:23], vcc, 1.0, v[0:1], 1.0
	v_rcp_f64_e32 v[12:13], v[2:3]
	v_fma_f64 v[20:21], -v[2:3], v[12:13], 1.0
	v_fma_f64 v[12:13], v[12:13], v[20:21], v[12:13]
	v_fma_f64 v[20:21], -v[2:3], v[12:13], 1.0
	v_fma_f64 v[12:13], v[12:13], v[20:21], v[12:13]
	v_mul_f64 v[20:21], v[22:23], v[12:13]
	v_fma_f64 v[2:3], -v[2:3], v[20:21], v[22:23]
	v_div_fmas_f64 v[2:3], v[2:3], v[12:13], v[20:21]
	v_div_fixup_f64 v[2:3], v[2:3], v[0:1], 1.0
	v_mul_f64 v[0:1], v[10:11], v[2:3]
	v_xor_b32_e32 v3, 0x80000000, v3
.LBB124_307:
	s_andn2_saveexec_b64 s[18:19], s[18:19]
	s_cbranch_execz .LBB124_309
; %bb.308:
	v_div_scale_f64 v[10:11], s[16:17], v[0:1], v[0:1], v[2:3]
	v_rcp_f64_e32 v[12:13], v[10:11]
	v_fma_f64 v[20:21], -v[10:11], v[12:13], 1.0
	v_fma_f64 v[12:13], v[12:13], v[20:21], v[12:13]
	v_div_scale_f64 v[20:21], vcc, v[2:3], v[0:1], v[2:3]
	v_fma_f64 v[22:23], -v[10:11], v[12:13], 1.0
	v_fma_f64 v[12:13], v[12:13], v[22:23], v[12:13]
	v_mul_f64 v[22:23], v[20:21], v[12:13]
	v_fma_f64 v[10:11], -v[10:11], v[22:23], v[20:21]
	v_div_fmas_f64 v[10:11], v[10:11], v[12:13], v[22:23]
	v_div_fixup_f64 v[10:11], v[10:11], v[0:1], v[2:3]
	v_fma_f64 v[0:1], v[2:3], v[10:11], v[0:1]
	v_div_scale_f64 v[2:3], s[16:17], v[0:1], v[0:1], 1.0
	v_div_scale_f64 v[22:23], vcc, 1.0, v[0:1], 1.0
	v_rcp_f64_e32 v[12:13], v[2:3]
	v_fma_f64 v[20:21], -v[2:3], v[12:13], 1.0
	v_fma_f64 v[12:13], v[12:13], v[20:21], v[12:13]
	v_fma_f64 v[20:21], -v[2:3], v[12:13], 1.0
	v_fma_f64 v[12:13], v[12:13], v[20:21], v[12:13]
	v_mul_f64 v[20:21], v[22:23], v[12:13]
	v_fma_f64 v[2:3], -v[2:3], v[20:21], v[22:23]
	v_div_fmas_f64 v[2:3], v[2:3], v[12:13], v[20:21]
	v_div_fixup_f64 v[0:1], v[2:3], v[0:1], 1.0
	v_mul_f64 v[2:3], v[10:11], -v[0:1]
.LBB124_309:
	s_or_b64 exec, exec, s[18:19]
.LBB124_310:
	s_or_b64 exec, exec, s[4:5]
	v_cmp_ne_u32_e32 vcc, v19, v4
	s_and_saveexec_b64 s[4:5], vcc
	s_xor_b64 s[4:5], exec, s[4:5]
	s_cbranch_execz .LBB124_316
; %bb.311:
	v_cmp_eq_u32_e32 vcc, 12, v19
	s_and_saveexec_b64 s[18:19], vcc
	s_cbranch_execz .LBB124_315
; %bb.312:
	v_cmp_ne_u32_e32 vcc, 12, v4
	s_xor_b64 s[16:17], s[10:11], -1
	s_and_b64 s[16:17], s[16:17], vcc
	s_and_saveexec_b64 s[24:25], s[16:17]
	s_cbranch_execz .LBB124_314
; %bb.313:
	v_ashrrev_i32_e32 v5, 31, v4
	v_lshlrev_b64 v[10:11], 2, v[4:5]
	v_add_co_u32_e32 v10, vcc, v8, v10
	v_addc_co_u32_e32 v11, vcc, v9, v11, vcc
	global_load_dword v5, v[10:11], off
	global_load_dword v12, v[8:9], off offset:48
	s_waitcnt vmcnt(1)
	global_store_dword v[8:9], v5, off offset:48
	s_waitcnt vmcnt(1)
	global_store_dword v[10:11], v12, off
.LBB124_314:
	s_or_b64 exec, exec, s[24:25]
	v_mov_b32_e32 v19, v4
	v_mov_b32_e32 v18, v4
.LBB124_315:
	s_or_b64 exec, exec, s[18:19]
.LBB124_316:
	s_andn2_saveexec_b64 s[4:5], s[4:5]
	s_cbranch_execz .LBB124_320
; %bb.317:
	s_movk_i32 s16, 0xd0
.LBB124_318:                            ; =>This Inner Loop Header: Depth=1
	v_mov_b32_e32 v52, s16
	buffer_load_dword v4, v52, s[0:3], 0 offen
	buffer_load_dword v5, v52, s[0:3], 0 offen offset:4
	buffer_load_dword v10, v52, s[0:3], 0 offen offset:8
	;; [unrolled: 1-line block ×38, first 2 shown]
	s_nop 0
	buffer_load_dword v52, v52, s[0:3], 0 offen offset:156
	v_add_u32_e32 v53, s16, v16
	s_addk_i32 s16, 0xa0
	s_cmpk_eq_i32 s16, 0x3f0
	s_waitcnt vmcnt(36)
	ds_write2_b64 v53, v[4:5], v[10:11] offset1:1
	s_waitcnt vmcnt(32)
	ds_write2_b64 v53, v[12:13], v[19:20] offset0:2 offset1:3
	s_waitcnt vmcnt(28)
	ds_write2_b64 v53, v[21:22], v[23:24] offset0:4 offset1:5
	;; [unrolled: 2-line block ×4, first 2 shown]
	ds_write2_b64 v53, v[33:34], v[31:32] offset0:10 offset1:11
	s_waitcnt vmcnt(8)
	ds_write2_b64 v53, v[43:44], v[37:38] offset0:12 offset1:13
	ds_write2_b64 v53, v[41:42], v[39:40] offset0:14 offset1:15
	s_waitcnt vmcnt(4)
	ds_write2_b64 v53, v[45:46], v[47:48] offset0:16 offset1:17
	s_waitcnt vmcnt(0)
	ds_write2_b64 v53, v[49:50], v[51:52] offset0:18 offset1:19
	s_cbranch_scc0 .LBB124_318
; %bb.319:
	v_mov_b32_e32 v19, 12
.LBB124_320:
	s_or_b64 exec, exec, s[4:5]
	v_cmp_lt_i32_e32 vcc, 12, v19
	s_waitcnt vmcnt(0) lgkmcnt(0)
	s_barrier
	s_and_saveexec_b64 s[4:5], vcc
	s_cbranch_execz .LBB124_323
; %bb.321:
	buffer_load_dword v4, off, s[0:3], 0 offset:200
	buffer_load_dword v5, off, s[0:3], 0 offset:204
	;; [unrolled: 1-line block ×4, first 2 shown]
	s_movk_i32 s18, 0xd0
	s_waitcnt vmcnt(2)
	v_mul_f64 v[12:13], v[2:3], v[4:5]
	v_mul_f64 v[4:5], v[0:1], v[4:5]
	s_waitcnt vmcnt(0)
	v_fma_f64 v[0:1], v[0:1], v[10:11], -v[12:13]
	v_fma_f64 v[2:3], v[2:3], v[10:11], v[4:5]
	buffer_store_dword v0, off, s[0:3], 0 offset:192
	buffer_store_dword v1, off, s[0:3], 0 offset:196
	;; [unrolled: 1-line block ×4, first 2 shown]
.LBB124_322:                            ; =>This Inner Loop Header: Depth=1
	buffer_load_dword v4, off, s[0:3], 0 offset:200
	buffer_load_dword v5, off, s[0:3], 0 offset:204
	;; [unrolled: 1-line block ×4, first 2 shown]
	v_mov_b32_e32 v32, s18
	buffer_load_dword v22, v32, s[0:3], 0 offen
	buffer_load_dword v23, v32, s[0:3], 0 offen offset:4
	buffer_load_dword v24, v32, s[0:3], 0 offen offset:8
	;; [unrolled: 1-line block ×3, first 2 shown]
	v_add_u32_e32 v33, s18, v16
	ds_read2_b64 v[0:3], v33 offset1:1
	buffer_load_dword v26, v32, s[0:3], 0 offen offset:16
	buffer_load_dword v27, v32, s[0:3], 0 offen offset:20
	;; [unrolled: 1-line block ×4, first 2 shown]
	ds_read2_b64 v[10:13], v33 offset0:2 offset1:3
	s_addk_i32 s18, 0x50
	s_cmpk_lg_i32 s18, 0x3f0
	s_waitcnt vmcnt(10) lgkmcnt(1)
	v_mul_f64 v[30:31], v[2:3], v[4:5]
	v_mul_f64 v[4:5], v[0:1], v[4:5]
	s_waitcnt vmcnt(8)
	v_fma_f64 v[0:1], v[0:1], v[20:21], -v[30:31]
	v_fma_f64 v[2:3], v[2:3], v[20:21], v[4:5]
	s_waitcnt vmcnt(6)
	v_add_f64 v[0:1], v[22:23], -v[0:1]
	s_waitcnt vmcnt(4)
	v_add_f64 v[2:3], v[24:25], -v[2:3]
	buffer_store_dword v1, v32, s[0:3], 0 offen offset:4
	buffer_store_dword v0, v32, s[0:3], 0 offen
	buffer_store_dword v3, v32, s[0:3], 0 offen offset:12
	buffer_store_dword v2, v32, s[0:3], 0 offen offset:8
	buffer_load_dword v1, off, s[0:3], 0 offset:204
	s_nop 0
	buffer_load_dword v0, off, s[0:3], 0 offset:200
	buffer_load_dword v3, off, s[0:3], 0 offset:196
	;; [unrolled: 1-line block ×3, first 2 shown]
	buffer_load_dword v4, v32, s[0:3], 0 offen offset:32
	buffer_load_dword v5, v32, s[0:3], 0 offen offset:36
	;; [unrolled: 1-line block ×4, first 2 shown]
	s_waitcnt vmcnt(6) lgkmcnt(0)
	v_mul_f64 v[22:23], v[12:13], v[0:1]
	v_mul_f64 v[0:1], v[10:11], v[0:1]
	s_waitcnt vmcnt(4)
	v_fma_f64 v[10:11], v[10:11], v[2:3], -v[22:23]
	v_fma_f64 v[0:1], v[12:13], v[2:3], v[0:1]
	v_add_f64 v[2:3], v[26:27], -v[10:11]
	v_add_f64 v[0:1], v[28:29], -v[0:1]
	buffer_store_dword v3, v32, s[0:3], 0 offen offset:20
	buffer_store_dword v2, v32, s[0:3], 0 offen offset:16
	;; [unrolled: 1-line block ×4, first 2 shown]
	buffer_load_dword v22, off, s[0:3], 0 offset:200
	buffer_load_dword v23, off, s[0:3], 0 offset:204
	;; [unrolled: 1-line block ×4, first 2 shown]
	ds_read2_b64 v[0:3], v33 offset0:4 offset1:5
	ds_read2_b64 v[10:13], v33 offset0:6 offset1:7
	s_waitcnt vmcnt(2) lgkmcnt(1)
	v_mul_f64 v[26:27], v[2:3], v[22:23]
	v_mul_f64 v[22:23], v[0:1], v[22:23]
	s_waitcnt vmcnt(0)
	v_fma_f64 v[0:1], v[0:1], v[24:25], -v[26:27]
	v_fma_f64 v[2:3], v[2:3], v[24:25], v[22:23]
	v_add_f64 v[0:1], v[4:5], -v[0:1]
	v_add_f64 v[2:3], v[20:21], -v[2:3]
	buffer_store_dword v1, v32, s[0:3], 0 offen offset:36
	buffer_store_dword v0, v32, s[0:3], 0 offen offset:32
	;; [unrolled: 1-line block ×4, first 2 shown]
	buffer_load_dword v0, off, s[0:3], 0 offset:200
	s_nop 0
	buffer_load_dword v1, off, s[0:3], 0 offset:204
	buffer_load_dword v2, off, s[0:3], 0 offset:192
	;; [unrolled: 1-line block ×3, first 2 shown]
	buffer_load_dword v4, v32, s[0:3], 0 offen offset:48
	buffer_load_dword v5, v32, s[0:3], 0 offen offset:52
	;; [unrolled: 1-line block ×4, first 2 shown]
	s_waitcnt vmcnt(6) lgkmcnt(0)
	v_mul_f64 v[22:23], v[12:13], v[0:1]
	v_mul_f64 v[0:1], v[10:11], v[0:1]
	s_waitcnt vmcnt(4)
	v_fma_f64 v[10:11], v[10:11], v[2:3], -v[22:23]
	v_fma_f64 v[0:1], v[12:13], v[2:3], v[0:1]
	s_waitcnt vmcnt(2)
	v_add_f64 v[2:3], v[4:5], -v[10:11]
	s_waitcnt vmcnt(0)
	v_add_f64 v[0:1], v[20:21], -v[0:1]
	buffer_store_dword v3, v32, s[0:3], 0 offen offset:52
	buffer_store_dword v2, v32, s[0:3], 0 offen offset:48
	;; [unrolled: 1-line block ×4, first 2 shown]
	buffer_load_dword v4, off, s[0:3], 0 offset:200
	buffer_load_dword v5, off, s[0:3], 0 offset:204
	;; [unrolled: 1-line block ×4, first 2 shown]
	buffer_load_dword v12, v32, s[0:3], 0 offen offset:64
	buffer_load_dword v13, v32, s[0:3], 0 offen offset:68
	;; [unrolled: 1-line block ×4, first 2 shown]
	ds_read2_b64 v[0:3], v33 offset0:8 offset1:9
	s_waitcnt vmcnt(6) lgkmcnt(0)
	v_mul_f64 v[22:23], v[2:3], v[4:5]
	v_mul_f64 v[4:5], v[0:1], v[4:5]
	s_waitcnt vmcnt(4)
	v_fma_f64 v[0:1], v[0:1], v[10:11], -v[22:23]
	v_fma_f64 v[2:3], v[2:3], v[10:11], v[4:5]
	s_waitcnt vmcnt(2)
	v_add_f64 v[0:1], v[12:13], -v[0:1]
	s_waitcnt vmcnt(0)
	v_add_f64 v[2:3], v[20:21], -v[2:3]
	buffer_store_dword v1, v32, s[0:3], 0 offen offset:68
	buffer_store_dword v0, v32, s[0:3], 0 offen offset:64
	;; [unrolled: 1-line block ×4, first 2 shown]
	s_cbranch_scc1 .LBB124_322
.LBB124_323:
	s_or_b64 exec, exec, s[4:5]
	v_mov_b32_e32 v3, s75
	s_waitcnt vmcnt(0)
	s_barrier
	buffer_load_dword v0, v3, s[0:3], 0 offen
	buffer_load_dword v1, v3, s[0:3], 0 offen offset:4
	buffer_load_dword v2, v3, s[0:3], 0 offen offset:8
	s_nop 0
	buffer_load_dword v3, v3, s[0:3], 0 offen offset:12
	v_lshl_add_u32 v4, v19, 4, v16
	s_cmp_lt_i32 s65, 15
	s_waitcnt vmcnt(0)
	ds_write2_b64 v4, v[0:1], v[2:3] offset1:1
	s_waitcnt lgkmcnt(0)
	s_barrier
	ds_read2_b64 v[0:3], v16 offset0:26 offset1:27
	v_mov_b32_e32 v4, 13
	s_cbranch_scc1 .LBB124_326
; %bb.324:
	v_add_u32_e32 v5, 0xe0, v16
	s_mov_b32 s16, 14
	v_mov_b32_e32 v4, 13
.LBB124_325:                            ; =>This Inner Loop Header: Depth=1
	s_waitcnt lgkmcnt(0)
	v_cmp_gt_f64_e32 vcc, 0, v[2:3]
	v_cmp_gt_f64_e64 s[4:5], 0, v[0:1]
	ds_read2_b64 v[10:13], v5 offset1:1
	v_xor_b32_e32 v21, 0x80000000, v1
	v_xor_b32_e32 v23, 0x80000000, v3
	v_mov_b32_e32 v20, v0
	v_mov_b32_e32 v22, v2
	s_waitcnt lgkmcnt(0)
	v_xor_b32_e32 v25, 0x80000000, v13
	v_cndmask_b32_e32 v23, v3, v23, vcc
	v_cndmask_b32_e64 v21, v1, v21, s[4:5]
	v_cmp_gt_f64_e32 vcc, 0, v[12:13]
	v_cmp_gt_f64_e64 s[4:5], 0, v[10:11]
	v_add_f64 v[20:21], v[20:21], v[22:23]
	v_xor_b32_e32 v23, 0x80000000, v11
	v_mov_b32_e32 v22, v10
	v_mov_b32_e32 v24, v12
	v_add_u32_e32 v5, 16, v5
	v_cndmask_b32_e32 v25, v13, v25, vcc
	v_cndmask_b32_e64 v23, v11, v23, s[4:5]
	v_add_f64 v[22:23], v[22:23], v[24:25]
	v_mov_b32_e32 v24, s16
	s_add_i32 s16, s16, 1
	s_cmp_lg_u32 s65, s16
	v_cmp_lt_f64_e32 vcc, v[20:21], v[22:23]
	v_cndmask_b32_e32 v1, v1, v11, vcc
	v_cndmask_b32_e32 v0, v0, v10, vcc
	;; [unrolled: 1-line block ×5, first 2 shown]
	s_cbranch_scc1 .LBB124_325
.LBB124_326:
	s_waitcnt lgkmcnt(0)
	v_cmp_eq_f64_e32 vcc, 0, v[0:1]
	v_cmp_eq_f64_e64 s[4:5], 0, v[2:3]
	s_and_b64 s[4:5], vcc, s[4:5]
	s_and_saveexec_b64 s[16:17], s[4:5]
	s_xor_b64 s[4:5], exec, s[16:17]
; %bb.327:
	v_cmp_ne_u32_e32 vcc, 0, v17
	v_cndmask_b32_e32 v17, 14, v17, vcc
; %bb.328:
	s_andn2_saveexec_b64 s[4:5], s[4:5]
	s_cbranch_execz .LBB124_334
; %bb.329:
	v_cmp_ngt_f64_e64 s[16:17], |v[0:1]|, |v[2:3]|
	s_and_saveexec_b64 s[18:19], s[16:17]
	s_xor_b64 s[18:19], exec, s[18:19]
	s_cbranch_execz .LBB124_331
; %bb.330:
	v_div_scale_f64 v[10:11], s[16:17], v[2:3], v[2:3], v[0:1]
	v_rcp_f64_e32 v[12:13], v[10:11]
	v_fma_f64 v[20:21], -v[10:11], v[12:13], 1.0
	v_fma_f64 v[12:13], v[12:13], v[20:21], v[12:13]
	v_div_scale_f64 v[20:21], vcc, v[0:1], v[2:3], v[0:1]
	v_fma_f64 v[22:23], -v[10:11], v[12:13], 1.0
	v_fma_f64 v[12:13], v[12:13], v[22:23], v[12:13]
	v_mul_f64 v[22:23], v[20:21], v[12:13]
	v_fma_f64 v[10:11], -v[10:11], v[22:23], v[20:21]
	v_div_fmas_f64 v[10:11], v[10:11], v[12:13], v[22:23]
	v_div_fixup_f64 v[10:11], v[10:11], v[2:3], v[0:1]
	v_fma_f64 v[0:1], v[0:1], v[10:11], v[2:3]
	v_div_scale_f64 v[2:3], s[16:17], v[0:1], v[0:1], 1.0
	v_div_scale_f64 v[22:23], vcc, 1.0, v[0:1], 1.0
	v_rcp_f64_e32 v[12:13], v[2:3]
	v_fma_f64 v[20:21], -v[2:3], v[12:13], 1.0
	v_fma_f64 v[12:13], v[12:13], v[20:21], v[12:13]
	v_fma_f64 v[20:21], -v[2:3], v[12:13], 1.0
	v_fma_f64 v[12:13], v[12:13], v[20:21], v[12:13]
	v_mul_f64 v[20:21], v[22:23], v[12:13]
	v_fma_f64 v[2:3], -v[2:3], v[20:21], v[22:23]
	v_div_fmas_f64 v[2:3], v[2:3], v[12:13], v[20:21]
	v_div_fixup_f64 v[2:3], v[2:3], v[0:1], 1.0
	v_mul_f64 v[0:1], v[10:11], v[2:3]
	v_xor_b32_e32 v3, 0x80000000, v3
.LBB124_331:
	s_andn2_saveexec_b64 s[18:19], s[18:19]
	s_cbranch_execz .LBB124_333
; %bb.332:
	v_div_scale_f64 v[10:11], s[16:17], v[0:1], v[0:1], v[2:3]
	v_rcp_f64_e32 v[12:13], v[10:11]
	v_fma_f64 v[20:21], -v[10:11], v[12:13], 1.0
	v_fma_f64 v[12:13], v[12:13], v[20:21], v[12:13]
	v_div_scale_f64 v[20:21], vcc, v[2:3], v[0:1], v[2:3]
	v_fma_f64 v[22:23], -v[10:11], v[12:13], 1.0
	v_fma_f64 v[12:13], v[12:13], v[22:23], v[12:13]
	v_mul_f64 v[22:23], v[20:21], v[12:13]
	v_fma_f64 v[10:11], -v[10:11], v[22:23], v[20:21]
	v_div_fmas_f64 v[10:11], v[10:11], v[12:13], v[22:23]
	v_div_fixup_f64 v[10:11], v[10:11], v[0:1], v[2:3]
	v_fma_f64 v[0:1], v[2:3], v[10:11], v[0:1]
	v_div_scale_f64 v[2:3], s[16:17], v[0:1], v[0:1], 1.0
	v_div_scale_f64 v[22:23], vcc, 1.0, v[0:1], 1.0
	v_rcp_f64_e32 v[12:13], v[2:3]
	v_fma_f64 v[20:21], -v[2:3], v[12:13], 1.0
	v_fma_f64 v[12:13], v[12:13], v[20:21], v[12:13]
	v_fma_f64 v[20:21], -v[2:3], v[12:13], 1.0
	v_fma_f64 v[12:13], v[12:13], v[20:21], v[12:13]
	v_mul_f64 v[20:21], v[22:23], v[12:13]
	v_fma_f64 v[2:3], -v[2:3], v[20:21], v[22:23]
	v_div_fmas_f64 v[2:3], v[2:3], v[12:13], v[20:21]
	v_div_fixup_f64 v[0:1], v[2:3], v[0:1], 1.0
	v_mul_f64 v[2:3], v[10:11], -v[0:1]
.LBB124_333:
	s_or_b64 exec, exec, s[18:19]
.LBB124_334:
	s_or_b64 exec, exec, s[4:5]
	v_cmp_ne_u32_e32 vcc, v19, v4
	s_and_saveexec_b64 s[4:5], vcc
	s_xor_b64 s[4:5], exec, s[4:5]
	s_cbranch_execz .LBB124_340
; %bb.335:
	v_cmp_eq_u32_e32 vcc, 13, v19
	s_and_saveexec_b64 s[18:19], vcc
	s_cbranch_execz .LBB124_339
; %bb.336:
	v_cmp_ne_u32_e32 vcc, 13, v4
	s_xor_b64 s[16:17], s[10:11], -1
	s_and_b64 s[16:17], s[16:17], vcc
	s_and_saveexec_b64 s[24:25], s[16:17]
	s_cbranch_execz .LBB124_338
; %bb.337:
	v_ashrrev_i32_e32 v5, 31, v4
	v_lshlrev_b64 v[10:11], 2, v[4:5]
	v_add_co_u32_e32 v10, vcc, v8, v10
	v_addc_co_u32_e32 v11, vcc, v9, v11, vcc
	global_load_dword v5, v[10:11], off
	global_load_dword v12, v[8:9], off offset:52
	s_waitcnt vmcnt(1)
	global_store_dword v[8:9], v5, off offset:52
	s_waitcnt vmcnt(1)
	global_store_dword v[10:11], v12, off
.LBB124_338:
	s_or_b64 exec, exec, s[24:25]
	v_mov_b32_e32 v19, v4
	v_mov_b32_e32 v18, v4
.LBB124_339:
	s_or_b64 exec, exec, s[18:19]
.LBB124_340:
	s_andn2_saveexec_b64 s[4:5], s[4:5]
	s_cbranch_execz .LBB124_344
; %bb.341:
	s_movk_i32 s16, 0xe0
.LBB124_342:                            ; =>This Inner Loop Header: Depth=1
	v_mov_b32_e32 v39, s16
	buffer_load_dword v4, v39, s[0:3], 0 offen
	buffer_load_dword v5, v39, s[0:3], 0 offen offset:4
	buffer_load_dword v10, v39, s[0:3], 0 offen offset:8
	;; [unrolled: 1-line block ×26, first 2 shown]
	s_nop 0
	buffer_load_dword v39, v39, s[0:3], 0 offen offset:96
	v_add_u32_e32 v41, s16, v16
	s_addk_i32 s16, 0x70
	s_cmpk_eq_i32 s16, 0x3f0
	s_waitcnt vmcnt(24)
	ds_write2_b64 v41, v[4:5], v[10:11] offset1:1
	s_waitcnt vmcnt(20)
	ds_write2_b64 v41, v[12:13], v[19:20] offset0:2 offset1:3
	s_waitcnt vmcnt(16)
	ds_write2_b64 v41, v[21:22], v[23:24] offset0:4 offset1:5
	;; [unrolled: 2-line block ×4, first 2 shown]
	ds_write2_b64 v41, v[33:34], v[31:32] offset0:10 offset1:11
	s_waitcnt vmcnt(0)
	ds_write2_b64 v41, v[39:40], v[37:38] offset0:12 offset1:13
	s_cbranch_scc0 .LBB124_342
; %bb.343:
	v_mov_b32_e32 v19, 13
.LBB124_344:
	s_or_b64 exec, exec, s[4:5]
	v_cmp_lt_i32_e32 vcc, 13, v19
	s_waitcnt vmcnt(0) lgkmcnt(0)
	s_barrier
	s_and_saveexec_b64 s[4:5], vcc
	s_cbranch_execz .LBB124_347
; %bb.345:
	buffer_load_dword v4, off, s[0:3], 0 offset:216
	buffer_load_dword v5, off, s[0:3], 0 offset:220
	;; [unrolled: 1-line block ×4, first 2 shown]
	s_movk_i32 s18, 0xe0
	s_waitcnt vmcnt(2)
	v_mul_f64 v[12:13], v[2:3], v[4:5]
	v_mul_f64 v[4:5], v[0:1], v[4:5]
	s_waitcnt vmcnt(0)
	v_fma_f64 v[0:1], v[0:1], v[10:11], -v[12:13]
	v_fma_f64 v[2:3], v[2:3], v[10:11], v[4:5]
	buffer_store_dword v0, off, s[0:3], 0 offset:208
	buffer_store_dword v1, off, s[0:3], 0 offset:212
	;; [unrolled: 1-line block ×4, first 2 shown]
.LBB124_346:                            ; =>This Inner Loop Header: Depth=1
	buffer_load_dword v20, off, s[0:3], 0 offset:216
	buffer_load_dword v21, off, s[0:3], 0 offset:220
	;; [unrolled: 1-line block ×4, first 2 shown]
	v_mov_b32_e32 v0, s18
	buffer_load_dword v24, v0, s[0:3], 0 offen
	buffer_load_dword v25, v0, s[0:3], 0 offen offset:4
	buffer_load_dword v26, v0, s[0:3], 0 offen offset:8
	;; [unrolled: 1-line block ×3, first 2 shown]
	v_add_u32_e32 v5, s18, v16
	ds_read2_b64 v[1:4], v5 offset1:1
	buffer_load_dword v28, v0, s[0:3], 0 offen offset:16
	buffer_load_dword v29, v0, s[0:3], 0 offen offset:20
	;; [unrolled: 1-line block ×4, first 2 shown]
	ds_read2_b64 v[10:13], v5 offset0:2 offset1:3
	s_addk_i32 s18, 0x70
	s_cmpk_lg_i32 s18, 0x3f0
	s_waitcnt vmcnt(10) lgkmcnt(1)
	v_mul_f64 v[32:33], v[3:4], v[20:21]
	v_mul_f64 v[20:21], v[1:2], v[20:21]
	s_waitcnt vmcnt(8)
	v_fma_f64 v[1:2], v[1:2], v[22:23], -v[32:33]
	v_fma_f64 v[3:4], v[3:4], v[22:23], v[20:21]
	s_waitcnt vmcnt(6)
	v_add_f64 v[1:2], v[24:25], -v[1:2]
	s_waitcnt vmcnt(4)
	v_add_f64 v[3:4], v[26:27], -v[3:4]
	buffer_store_dword v2, v0, s[0:3], 0 offen offset:4
	buffer_store_dword v1, v0, s[0:3], 0 offen
	buffer_store_dword v4, v0, s[0:3], 0 offen offset:12
	buffer_store_dword v3, v0, s[0:3], 0 offen offset:8
	buffer_load_dword v2, off, s[0:3], 0 offset:220
	s_nop 0
	buffer_load_dword v1, off, s[0:3], 0 offset:216
	buffer_load_dword v4, off, s[0:3], 0 offset:212
	;; [unrolled: 1-line block ×3, first 2 shown]
	buffer_load_dword v20, v0, s[0:3], 0 offen offset:32
	buffer_load_dword v21, v0, s[0:3], 0 offen offset:36
	;; [unrolled: 1-line block ×4, first 2 shown]
	s_waitcnt vmcnt(6) lgkmcnt(0)
	v_mul_f64 v[24:25], v[12:13], v[1:2]
	v_mul_f64 v[1:2], v[10:11], v[1:2]
	s_waitcnt vmcnt(4)
	v_fma_f64 v[10:11], v[10:11], v[3:4], -v[24:25]
	v_fma_f64 v[1:2], v[12:13], v[3:4], v[1:2]
	v_add_f64 v[3:4], v[28:29], -v[10:11]
	v_add_f64 v[1:2], v[30:31], -v[1:2]
	buffer_store_dword v4, v0, s[0:3], 0 offen offset:20
	buffer_store_dword v3, v0, s[0:3], 0 offen offset:16
	;; [unrolled: 1-line block ×4, first 2 shown]
	buffer_load_dword v24, off, s[0:3], 0 offset:216
	buffer_load_dword v25, off, s[0:3], 0 offset:220
	;; [unrolled: 1-line block ×4, first 2 shown]
	ds_read2_b64 v[1:4], v5 offset0:4 offset1:5
	ds_read2_b64 v[10:13], v5 offset0:6 offset1:7
	s_waitcnt vmcnt(2) lgkmcnt(1)
	v_mul_f64 v[28:29], v[3:4], v[24:25]
	v_mul_f64 v[24:25], v[1:2], v[24:25]
	s_waitcnt vmcnt(0)
	v_fma_f64 v[1:2], v[1:2], v[26:27], -v[28:29]
	v_fma_f64 v[3:4], v[3:4], v[26:27], v[24:25]
	v_add_f64 v[1:2], v[20:21], -v[1:2]
	v_add_f64 v[3:4], v[22:23], -v[3:4]
	buffer_store_dword v2, v0, s[0:3], 0 offen offset:36
	buffer_store_dword v1, v0, s[0:3], 0 offen offset:32
	;; [unrolled: 1-line block ×4, first 2 shown]
	buffer_load_dword v1, off, s[0:3], 0 offset:216
	s_nop 0
	buffer_load_dword v2, off, s[0:3], 0 offset:220
	buffer_load_dword v3, off, s[0:3], 0 offset:208
	;; [unrolled: 1-line block ×3, first 2 shown]
	buffer_load_dword v20, v0, s[0:3], 0 offen offset:48
	buffer_load_dword v21, v0, s[0:3], 0 offen offset:52
	;; [unrolled: 1-line block ×4, first 2 shown]
	s_waitcnt vmcnt(6) lgkmcnt(0)
	v_mul_f64 v[24:25], v[12:13], v[1:2]
	v_mul_f64 v[1:2], v[10:11], v[1:2]
	s_waitcnt vmcnt(4)
	v_fma_f64 v[10:11], v[10:11], v[3:4], -v[24:25]
	v_fma_f64 v[1:2], v[12:13], v[3:4], v[1:2]
	s_waitcnt vmcnt(2)
	v_add_f64 v[3:4], v[20:21], -v[10:11]
	s_waitcnt vmcnt(0)
	v_add_f64 v[1:2], v[22:23], -v[1:2]
	buffer_store_dword v4, v0, s[0:3], 0 offen offset:52
	buffer_store_dword v3, v0, s[0:3], 0 offen offset:48
	;; [unrolled: 1-line block ×4, first 2 shown]
	buffer_load_dword v20, off, s[0:3], 0 offset:216
	buffer_load_dword v21, off, s[0:3], 0 offset:220
	;; [unrolled: 1-line block ×4, first 2 shown]
	buffer_load_dword v24, v0, s[0:3], 0 offen offset:64
	buffer_load_dword v25, v0, s[0:3], 0 offen offset:68
	;; [unrolled: 1-line block ×4, first 2 shown]
	ds_read2_b64 v[1:4], v5 offset0:8 offset1:9
	ds_read2_b64 v[10:13], v5 offset0:10 offset1:11
	s_waitcnt vmcnt(6) lgkmcnt(1)
	v_mul_f64 v[28:29], v[3:4], v[20:21]
	v_mul_f64 v[20:21], v[1:2], v[20:21]
	s_waitcnt vmcnt(4)
	v_fma_f64 v[1:2], v[1:2], v[22:23], -v[28:29]
	v_fma_f64 v[3:4], v[3:4], v[22:23], v[20:21]
	s_waitcnt vmcnt(2)
	v_add_f64 v[1:2], v[24:25], -v[1:2]
	s_waitcnt vmcnt(0)
	v_add_f64 v[3:4], v[26:27], -v[3:4]
	buffer_store_dword v2, v0, s[0:3], 0 offen offset:68
	buffer_store_dword v1, v0, s[0:3], 0 offen offset:64
	;; [unrolled: 1-line block ×4, first 2 shown]
	buffer_load_dword v1, off, s[0:3], 0 offset:216
	s_nop 0
	buffer_load_dword v2, off, s[0:3], 0 offset:220
	buffer_load_dword v3, off, s[0:3], 0 offset:208
	;; [unrolled: 1-line block ×3, first 2 shown]
	buffer_load_dword v20, v0, s[0:3], 0 offen offset:80
	buffer_load_dword v21, v0, s[0:3], 0 offen offset:84
	;; [unrolled: 1-line block ×4, first 2 shown]
	s_waitcnt vmcnt(6) lgkmcnt(0)
	v_mul_f64 v[24:25], v[12:13], v[1:2]
	v_mul_f64 v[1:2], v[10:11], v[1:2]
	s_waitcnt vmcnt(4)
	v_fma_f64 v[10:11], v[10:11], v[3:4], -v[24:25]
	v_fma_f64 v[1:2], v[12:13], v[3:4], v[1:2]
	s_waitcnt vmcnt(2)
	v_add_f64 v[3:4], v[20:21], -v[10:11]
	s_waitcnt vmcnt(0)
	v_add_f64 v[1:2], v[22:23], -v[1:2]
	buffer_store_dword v4, v0, s[0:3], 0 offen offset:84
	buffer_store_dword v3, v0, s[0:3], 0 offen offset:80
	;; [unrolled: 1-line block ×4, first 2 shown]
	buffer_load_dword v10, off, s[0:3], 0 offset:216
	buffer_load_dword v11, off, s[0:3], 0 offset:220
	;; [unrolled: 1-line block ×4, first 2 shown]
	buffer_load_dword v20, v0, s[0:3], 0 offen offset:96
	buffer_load_dword v21, v0, s[0:3], 0 offen offset:100
	buffer_load_dword v22, v0, s[0:3], 0 offen offset:104
	buffer_load_dword v23, v0, s[0:3], 0 offen offset:108
	ds_read2_b64 v[1:4], v5 offset0:12 offset1:13
	s_waitcnt vmcnt(6) lgkmcnt(0)
	v_mul_f64 v[24:25], v[3:4], v[10:11]
	v_mul_f64 v[10:11], v[1:2], v[10:11]
	s_waitcnt vmcnt(4)
	v_fma_f64 v[1:2], v[1:2], v[12:13], -v[24:25]
	v_fma_f64 v[3:4], v[3:4], v[12:13], v[10:11]
	s_waitcnt vmcnt(2)
	v_add_f64 v[1:2], v[20:21], -v[1:2]
	s_waitcnt vmcnt(0)
	v_add_f64 v[3:4], v[22:23], -v[3:4]
	buffer_store_dword v2, v0, s[0:3], 0 offen offset:100
	buffer_store_dword v1, v0, s[0:3], 0 offen offset:96
	;; [unrolled: 1-line block ×4, first 2 shown]
	s_cbranch_scc1 .LBB124_346
.LBB124_347:
	s_or_b64 exec, exec, s[4:5]
	v_mov_b32_e32 v3, s74
	s_waitcnt vmcnt(0)
	s_barrier
	buffer_load_dword v0, v3, s[0:3], 0 offen
	buffer_load_dword v1, v3, s[0:3], 0 offen offset:4
	buffer_load_dword v2, v3, s[0:3], 0 offen offset:8
	s_nop 0
	buffer_load_dword v3, v3, s[0:3], 0 offen offset:12
	v_lshl_add_u32 v4, v19, 4, v16
	s_cmp_lt_i32 s65, 16
	s_waitcnt vmcnt(0)
	ds_write2_b64 v4, v[0:1], v[2:3] offset1:1
	s_waitcnt lgkmcnt(0)
	s_barrier
	ds_read2_b64 v[0:3], v16 offset0:28 offset1:29
	v_mov_b32_e32 v4, 14
	s_cbranch_scc1 .LBB124_350
; %bb.348:
	v_add_u32_e32 v5, 0xf0, v16
	s_mov_b32 s16, 15
	v_mov_b32_e32 v4, 14
.LBB124_349:                            ; =>This Inner Loop Header: Depth=1
	s_waitcnt lgkmcnt(0)
	v_cmp_gt_f64_e32 vcc, 0, v[2:3]
	v_cmp_gt_f64_e64 s[4:5], 0, v[0:1]
	ds_read2_b64 v[10:13], v5 offset1:1
	v_xor_b32_e32 v21, 0x80000000, v1
	v_xor_b32_e32 v23, 0x80000000, v3
	v_mov_b32_e32 v20, v0
	v_mov_b32_e32 v22, v2
	s_waitcnt lgkmcnt(0)
	v_xor_b32_e32 v25, 0x80000000, v13
	v_cndmask_b32_e32 v23, v3, v23, vcc
	v_cndmask_b32_e64 v21, v1, v21, s[4:5]
	v_cmp_gt_f64_e32 vcc, 0, v[12:13]
	v_cmp_gt_f64_e64 s[4:5], 0, v[10:11]
	v_add_f64 v[20:21], v[20:21], v[22:23]
	v_xor_b32_e32 v23, 0x80000000, v11
	v_mov_b32_e32 v22, v10
	v_mov_b32_e32 v24, v12
	v_add_u32_e32 v5, 16, v5
	v_cndmask_b32_e32 v25, v13, v25, vcc
	v_cndmask_b32_e64 v23, v11, v23, s[4:5]
	v_add_f64 v[22:23], v[22:23], v[24:25]
	v_mov_b32_e32 v24, s16
	s_add_i32 s16, s16, 1
	s_cmp_lg_u32 s65, s16
	v_cmp_lt_f64_e32 vcc, v[20:21], v[22:23]
	v_cndmask_b32_e32 v1, v1, v11, vcc
	v_cndmask_b32_e32 v0, v0, v10, vcc
	;; [unrolled: 1-line block ×5, first 2 shown]
	s_cbranch_scc1 .LBB124_349
.LBB124_350:
	s_waitcnt lgkmcnt(0)
	v_cmp_eq_f64_e32 vcc, 0, v[0:1]
	v_cmp_eq_f64_e64 s[4:5], 0, v[2:3]
	s_and_b64 s[4:5], vcc, s[4:5]
	s_and_saveexec_b64 s[16:17], s[4:5]
	s_xor_b64 s[4:5], exec, s[16:17]
; %bb.351:
	v_cmp_ne_u32_e32 vcc, 0, v17
	v_cndmask_b32_e32 v17, 15, v17, vcc
; %bb.352:
	s_andn2_saveexec_b64 s[4:5], s[4:5]
	s_cbranch_execz .LBB124_358
; %bb.353:
	v_cmp_ngt_f64_e64 s[16:17], |v[0:1]|, |v[2:3]|
	s_and_saveexec_b64 s[18:19], s[16:17]
	s_xor_b64 s[18:19], exec, s[18:19]
	s_cbranch_execz .LBB124_355
; %bb.354:
	v_div_scale_f64 v[10:11], s[16:17], v[2:3], v[2:3], v[0:1]
	v_rcp_f64_e32 v[12:13], v[10:11]
	v_fma_f64 v[20:21], -v[10:11], v[12:13], 1.0
	v_fma_f64 v[12:13], v[12:13], v[20:21], v[12:13]
	v_div_scale_f64 v[20:21], vcc, v[0:1], v[2:3], v[0:1]
	v_fma_f64 v[22:23], -v[10:11], v[12:13], 1.0
	v_fma_f64 v[12:13], v[12:13], v[22:23], v[12:13]
	v_mul_f64 v[22:23], v[20:21], v[12:13]
	v_fma_f64 v[10:11], -v[10:11], v[22:23], v[20:21]
	v_div_fmas_f64 v[10:11], v[10:11], v[12:13], v[22:23]
	v_div_fixup_f64 v[10:11], v[10:11], v[2:3], v[0:1]
	v_fma_f64 v[0:1], v[0:1], v[10:11], v[2:3]
	v_div_scale_f64 v[2:3], s[16:17], v[0:1], v[0:1], 1.0
	v_div_scale_f64 v[22:23], vcc, 1.0, v[0:1], 1.0
	v_rcp_f64_e32 v[12:13], v[2:3]
	v_fma_f64 v[20:21], -v[2:3], v[12:13], 1.0
	v_fma_f64 v[12:13], v[12:13], v[20:21], v[12:13]
	v_fma_f64 v[20:21], -v[2:3], v[12:13], 1.0
	v_fma_f64 v[12:13], v[12:13], v[20:21], v[12:13]
	v_mul_f64 v[20:21], v[22:23], v[12:13]
	v_fma_f64 v[2:3], -v[2:3], v[20:21], v[22:23]
	v_div_fmas_f64 v[2:3], v[2:3], v[12:13], v[20:21]
	v_div_fixup_f64 v[2:3], v[2:3], v[0:1], 1.0
	v_mul_f64 v[0:1], v[10:11], v[2:3]
	v_xor_b32_e32 v3, 0x80000000, v3
.LBB124_355:
	s_andn2_saveexec_b64 s[18:19], s[18:19]
	s_cbranch_execz .LBB124_357
; %bb.356:
	v_div_scale_f64 v[10:11], s[16:17], v[0:1], v[0:1], v[2:3]
	v_rcp_f64_e32 v[12:13], v[10:11]
	v_fma_f64 v[20:21], -v[10:11], v[12:13], 1.0
	v_fma_f64 v[12:13], v[12:13], v[20:21], v[12:13]
	v_div_scale_f64 v[20:21], vcc, v[2:3], v[0:1], v[2:3]
	v_fma_f64 v[22:23], -v[10:11], v[12:13], 1.0
	v_fma_f64 v[12:13], v[12:13], v[22:23], v[12:13]
	v_mul_f64 v[22:23], v[20:21], v[12:13]
	v_fma_f64 v[10:11], -v[10:11], v[22:23], v[20:21]
	v_div_fmas_f64 v[10:11], v[10:11], v[12:13], v[22:23]
	v_div_fixup_f64 v[10:11], v[10:11], v[0:1], v[2:3]
	v_fma_f64 v[0:1], v[2:3], v[10:11], v[0:1]
	v_div_scale_f64 v[2:3], s[16:17], v[0:1], v[0:1], 1.0
	v_div_scale_f64 v[22:23], vcc, 1.0, v[0:1], 1.0
	v_rcp_f64_e32 v[12:13], v[2:3]
	v_fma_f64 v[20:21], -v[2:3], v[12:13], 1.0
	v_fma_f64 v[12:13], v[12:13], v[20:21], v[12:13]
	v_fma_f64 v[20:21], -v[2:3], v[12:13], 1.0
	v_fma_f64 v[12:13], v[12:13], v[20:21], v[12:13]
	v_mul_f64 v[20:21], v[22:23], v[12:13]
	v_fma_f64 v[2:3], -v[2:3], v[20:21], v[22:23]
	v_div_fmas_f64 v[2:3], v[2:3], v[12:13], v[20:21]
	v_div_fixup_f64 v[0:1], v[2:3], v[0:1], 1.0
	v_mul_f64 v[2:3], v[10:11], -v[0:1]
.LBB124_357:
	s_or_b64 exec, exec, s[18:19]
.LBB124_358:
	s_or_b64 exec, exec, s[4:5]
	v_cmp_ne_u32_e32 vcc, v19, v4
	s_and_saveexec_b64 s[4:5], vcc
	s_xor_b64 s[4:5], exec, s[4:5]
	s_cbranch_execz .LBB124_364
; %bb.359:
	v_cmp_eq_u32_e32 vcc, 14, v19
	s_and_saveexec_b64 s[18:19], vcc
	s_cbranch_execz .LBB124_363
; %bb.360:
	v_cmp_ne_u32_e32 vcc, 14, v4
	s_xor_b64 s[16:17], s[10:11], -1
	s_and_b64 s[16:17], s[16:17], vcc
	s_and_saveexec_b64 s[24:25], s[16:17]
	s_cbranch_execz .LBB124_362
; %bb.361:
	v_ashrrev_i32_e32 v5, 31, v4
	v_lshlrev_b64 v[10:11], 2, v[4:5]
	v_add_co_u32_e32 v10, vcc, v8, v10
	v_addc_co_u32_e32 v11, vcc, v9, v11, vcc
	global_load_dword v5, v[10:11], off
	global_load_dword v12, v[8:9], off offset:56
	s_waitcnt vmcnt(1)
	global_store_dword v[8:9], v5, off offset:56
	s_waitcnt vmcnt(1)
	global_store_dword v[10:11], v12, off
.LBB124_362:
	s_or_b64 exec, exec, s[24:25]
	v_mov_b32_e32 v19, v4
	v_mov_b32_e32 v18, v4
.LBB124_363:
	s_or_b64 exec, exec, s[18:19]
.LBB124_364:
	s_andn2_saveexec_b64 s[4:5], s[4:5]
	s_cbranch_execz .LBB124_368
; %bb.365:
	s_movk_i32 s18, 0xf0
.LBB124_366:                            ; =>This Inner Loop Header: Depth=1
	v_mov_b32_e32 v29, s18
	buffer_load_dword v4, v29, s[0:3], 0 offen
	buffer_load_dword v5, v29, s[0:3], 0 offen offset:4
	buffer_load_dword v10, v29, s[0:3], 0 offen offset:8
	buffer_load_dword v11, v29, s[0:3], 0 offen offset:12
	buffer_load_dword v12, v29, s[0:3], 0 offen offset:16
	buffer_load_dword v13, v29, s[0:3], 0 offen offset:20
	buffer_load_dword v19, v29, s[0:3], 0 offen offset:24
	buffer_load_dword v20, v29, s[0:3], 0 offen offset:28
	buffer_load_dword v21, v29, s[0:3], 0 offen offset:32
	buffer_load_dword v22, v29, s[0:3], 0 offen offset:36
	buffer_load_dword v23, v29, s[0:3], 0 offen offset:40
	buffer_load_dword v24, v29, s[0:3], 0 offen offset:44
	buffer_load_dword v25, v29, s[0:3], 0 offen offset:48
	buffer_load_dword v26, v29, s[0:3], 0 offen offset:52
	buffer_load_dword v27, v29, s[0:3], 0 offen offset:56
	buffer_load_dword v28, v29, s[0:3], 0 offen offset:60
	v_add_u32_e32 v30, s18, v16
	s_addk_i32 s18, 0x100
	s_cmpk_eq_i32 s18, 0x3f0
	s_waitcnt vmcnt(12)
	ds_write2_b64 v30, v[4:5], v[10:11] offset1:1
	s_waitcnt vmcnt(8)
	ds_write2_b64 v30, v[12:13], v[19:20] offset0:2 offset1:3
	s_waitcnt vmcnt(4)
	ds_write2_b64 v30, v[21:22], v[23:24] offset0:4 offset1:5
	;; [unrolled: 2-line block ×3, first 2 shown]
	buffer_load_dword v5, v29, s[0:3], 0 offen offset:76
	buffer_load_dword v4, v29, s[0:3], 0 offen offset:72
	buffer_load_dword v11, v29, s[0:3], 0 offen offset:68
	buffer_load_dword v10, v29, s[0:3], 0 offen offset:64
	s_waitcnt vmcnt(0)
	ds_write2_b64 v30, v[10:11], v[4:5] offset0:8 offset1:9
	buffer_load_dword v5, v29, s[0:3], 0 offen offset:92
	buffer_load_dword v4, v29, s[0:3], 0 offen offset:88
	buffer_load_dword v11, v29, s[0:3], 0 offen offset:84
	buffer_load_dword v10, v29, s[0:3], 0 offen offset:80
	s_waitcnt vmcnt(0)
	ds_write2_b64 v30, v[10:11], v[4:5] offset0:10 offset1:11
	;; [unrolled: 6-line block ×12, first 2 shown]
	s_cbranch_scc0 .LBB124_366
; %bb.367:
	v_mov_b32_e32 v19, 14
.LBB124_368:
	s_or_b64 exec, exec, s[4:5]
	v_cmp_lt_i32_e32 vcc, 14, v19
	s_waitcnt vmcnt(0) lgkmcnt(0)
	s_barrier
	s_and_saveexec_b64 s[4:5], vcc
	s_cbranch_execz .LBB124_371
; %bb.369:
	buffer_load_dword v4, off, s[0:3], 0 offset:232
	buffer_load_dword v5, off, s[0:3], 0 offset:236
	;; [unrolled: 1-line block ×4, first 2 shown]
	s_movk_i32 s18, 0xf0
	s_waitcnt vmcnt(2)
	v_mul_f64 v[12:13], v[2:3], v[4:5]
	v_mul_f64 v[4:5], v[0:1], v[4:5]
	s_waitcnt vmcnt(0)
	v_fma_f64 v[0:1], v[0:1], v[10:11], -v[12:13]
	v_fma_f64 v[2:3], v[2:3], v[10:11], v[4:5]
	buffer_store_dword v0, off, s[0:3], 0 offset:224
	buffer_store_dword v1, off, s[0:3], 0 offset:228
	;; [unrolled: 1-line block ×4, first 2 shown]
.LBB124_370:                            ; =>This Inner Loop Header: Depth=1
	buffer_load_dword v4, off, s[0:3], 0 offset:232
	buffer_load_dword v5, off, s[0:3], 0 offset:236
	;; [unrolled: 1-line block ×4, first 2 shown]
	v_mov_b32_e32 v32, s18
	buffer_load_dword v22, v32, s[0:3], 0 offen
	buffer_load_dword v23, v32, s[0:3], 0 offen offset:4
	buffer_load_dword v24, v32, s[0:3], 0 offen offset:8
	buffer_load_dword v25, v32, s[0:3], 0 offen offset:12
	v_add_u32_e32 v33, s18, v16
	ds_read2_b64 v[0:3], v33 offset1:1
	buffer_load_dword v26, v32, s[0:3], 0 offen offset:16
	buffer_load_dword v27, v32, s[0:3], 0 offen offset:20
	;; [unrolled: 1-line block ×4, first 2 shown]
	ds_read2_b64 v[10:13], v33 offset0:2 offset1:3
	s_addk_i32 s18, 0x60
	s_cmpk_lg_i32 s18, 0x3f0
	s_waitcnt vmcnt(10) lgkmcnt(1)
	v_mul_f64 v[30:31], v[2:3], v[4:5]
	v_mul_f64 v[4:5], v[0:1], v[4:5]
	s_waitcnt vmcnt(8)
	v_fma_f64 v[0:1], v[0:1], v[20:21], -v[30:31]
	v_fma_f64 v[2:3], v[2:3], v[20:21], v[4:5]
	s_waitcnt vmcnt(6)
	v_add_f64 v[0:1], v[22:23], -v[0:1]
	s_waitcnt vmcnt(4)
	v_add_f64 v[2:3], v[24:25], -v[2:3]
	buffer_store_dword v1, v32, s[0:3], 0 offen offset:4
	buffer_store_dword v0, v32, s[0:3], 0 offen
	buffer_store_dword v3, v32, s[0:3], 0 offen offset:12
	buffer_store_dword v2, v32, s[0:3], 0 offen offset:8
	buffer_load_dword v1, off, s[0:3], 0 offset:236
	s_nop 0
	buffer_load_dword v0, off, s[0:3], 0 offset:232
	buffer_load_dword v3, off, s[0:3], 0 offset:228
	;; [unrolled: 1-line block ×3, first 2 shown]
	buffer_load_dword v4, v32, s[0:3], 0 offen offset:32
	buffer_load_dword v5, v32, s[0:3], 0 offen offset:36
	;; [unrolled: 1-line block ×4, first 2 shown]
	s_waitcnt vmcnt(6) lgkmcnt(0)
	v_mul_f64 v[22:23], v[12:13], v[0:1]
	v_mul_f64 v[0:1], v[10:11], v[0:1]
	s_waitcnt vmcnt(4)
	v_fma_f64 v[10:11], v[10:11], v[2:3], -v[22:23]
	v_fma_f64 v[0:1], v[12:13], v[2:3], v[0:1]
	v_add_f64 v[2:3], v[26:27], -v[10:11]
	v_add_f64 v[0:1], v[28:29], -v[0:1]
	buffer_store_dword v3, v32, s[0:3], 0 offen offset:20
	buffer_store_dword v2, v32, s[0:3], 0 offen offset:16
	;; [unrolled: 1-line block ×4, first 2 shown]
	buffer_load_dword v22, off, s[0:3], 0 offset:232
	buffer_load_dword v23, off, s[0:3], 0 offset:236
	;; [unrolled: 1-line block ×4, first 2 shown]
	ds_read2_b64 v[0:3], v33 offset0:4 offset1:5
	ds_read2_b64 v[10:13], v33 offset0:6 offset1:7
	s_waitcnt vmcnt(2) lgkmcnt(1)
	v_mul_f64 v[26:27], v[2:3], v[22:23]
	v_mul_f64 v[22:23], v[0:1], v[22:23]
	s_waitcnt vmcnt(0)
	v_fma_f64 v[0:1], v[0:1], v[24:25], -v[26:27]
	v_fma_f64 v[2:3], v[2:3], v[24:25], v[22:23]
	v_add_f64 v[0:1], v[4:5], -v[0:1]
	v_add_f64 v[2:3], v[20:21], -v[2:3]
	buffer_store_dword v1, v32, s[0:3], 0 offen offset:36
	buffer_store_dword v0, v32, s[0:3], 0 offen offset:32
	;; [unrolled: 1-line block ×4, first 2 shown]
	buffer_load_dword v0, off, s[0:3], 0 offset:232
	s_nop 0
	buffer_load_dword v1, off, s[0:3], 0 offset:236
	buffer_load_dword v2, off, s[0:3], 0 offset:224
	;; [unrolled: 1-line block ×3, first 2 shown]
	buffer_load_dword v4, v32, s[0:3], 0 offen offset:48
	buffer_load_dword v5, v32, s[0:3], 0 offen offset:52
	;; [unrolled: 1-line block ×4, first 2 shown]
	s_waitcnt vmcnt(6) lgkmcnt(0)
	v_mul_f64 v[22:23], v[12:13], v[0:1]
	v_mul_f64 v[0:1], v[10:11], v[0:1]
	s_waitcnt vmcnt(4)
	v_fma_f64 v[10:11], v[10:11], v[2:3], -v[22:23]
	v_fma_f64 v[0:1], v[12:13], v[2:3], v[0:1]
	s_waitcnt vmcnt(2)
	v_add_f64 v[2:3], v[4:5], -v[10:11]
	s_waitcnt vmcnt(0)
	v_add_f64 v[0:1], v[20:21], -v[0:1]
	buffer_store_dword v3, v32, s[0:3], 0 offen offset:52
	buffer_store_dword v2, v32, s[0:3], 0 offen offset:48
	;; [unrolled: 1-line block ×4, first 2 shown]
	buffer_load_dword v4, off, s[0:3], 0 offset:232
	buffer_load_dword v5, off, s[0:3], 0 offset:236
	;; [unrolled: 1-line block ×4, first 2 shown]
	buffer_load_dword v22, v32, s[0:3], 0 offen offset:64
	buffer_load_dword v23, v32, s[0:3], 0 offen offset:68
	;; [unrolled: 1-line block ×4, first 2 shown]
	ds_read2_b64 v[0:3], v33 offset0:8 offset1:9
	ds_read2_b64 v[10:13], v33 offset0:10 offset1:11
	s_waitcnt vmcnt(6) lgkmcnt(1)
	v_mul_f64 v[26:27], v[2:3], v[4:5]
	v_mul_f64 v[4:5], v[0:1], v[4:5]
	s_waitcnt vmcnt(4)
	v_fma_f64 v[0:1], v[0:1], v[20:21], -v[26:27]
	v_fma_f64 v[2:3], v[2:3], v[20:21], v[4:5]
	s_waitcnt vmcnt(2)
	v_add_f64 v[0:1], v[22:23], -v[0:1]
	s_waitcnt vmcnt(0)
	v_add_f64 v[2:3], v[24:25], -v[2:3]
	buffer_store_dword v1, v32, s[0:3], 0 offen offset:68
	buffer_store_dword v0, v32, s[0:3], 0 offen offset:64
	;; [unrolled: 1-line block ×4, first 2 shown]
	buffer_load_dword v0, off, s[0:3], 0 offset:232
	s_nop 0
	buffer_load_dword v1, off, s[0:3], 0 offset:236
	buffer_load_dword v2, off, s[0:3], 0 offset:224
	;; [unrolled: 1-line block ×3, first 2 shown]
	buffer_load_dword v4, v32, s[0:3], 0 offen offset:80
	buffer_load_dword v5, v32, s[0:3], 0 offen offset:84
	;; [unrolled: 1-line block ×4, first 2 shown]
	s_waitcnt vmcnt(6) lgkmcnt(0)
	v_mul_f64 v[22:23], v[12:13], v[0:1]
	v_mul_f64 v[0:1], v[10:11], v[0:1]
	s_waitcnt vmcnt(4)
	v_fma_f64 v[10:11], v[10:11], v[2:3], -v[22:23]
	v_fma_f64 v[0:1], v[12:13], v[2:3], v[0:1]
	s_waitcnt vmcnt(2)
	v_add_f64 v[2:3], v[4:5], -v[10:11]
	s_waitcnt vmcnt(0)
	v_add_f64 v[0:1], v[20:21], -v[0:1]
	buffer_store_dword v3, v32, s[0:3], 0 offen offset:84
	buffer_store_dword v2, v32, s[0:3], 0 offen offset:80
	buffer_store_dword v1, v32, s[0:3], 0 offen offset:92
	buffer_store_dword v0, v32, s[0:3], 0 offen offset:88
	s_cbranch_scc1 .LBB124_370
.LBB124_371:
	s_or_b64 exec, exec, s[4:5]
	v_mov_b32_e32 v3, s73
	s_waitcnt vmcnt(0)
	s_barrier
	buffer_load_dword v0, v3, s[0:3], 0 offen
	buffer_load_dword v1, v3, s[0:3], 0 offen offset:4
	buffer_load_dword v2, v3, s[0:3], 0 offen offset:8
	s_nop 0
	buffer_load_dword v3, v3, s[0:3], 0 offen offset:12
	v_lshl_add_u32 v4, v19, 4, v16
	s_cmp_lt_i32 s65, 17
	s_waitcnt vmcnt(0)
	ds_write2_b64 v4, v[0:1], v[2:3] offset1:1
	s_waitcnt lgkmcnt(0)
	s_barrier
	ds_read2_b64 v[0:3], v16 offset0:30 offset1:31
	v_mov_b32_e32 v4, 15
	s_cbranch_scc1 .LBB124_374
; %bb.372:
	v_add_u32_e32 v5, 0x100, v16
	s_mov_b32 s16, 16
	v_mov_b32_e32 v4, 15
.LBB124_373:                            ; =>This Inner Loop Header: Depth=1
	s_waitcnt lgkmcnt(0)
	v_cmp_gt_f64_e32 vcc, 0, v[2:3]
	v_cmp_gt_f64_e64 s[4:5], 0, v[0:1]
	ds_read2_b64 v[10:13], v5 offset1:1
	v_xor_b32_e32 v21, 0x80000000, v1
	v_xor_b32_e32 v23, 0x80000000, v3
	v_mov_b32_e32 v20, v0
	v_mov_b32_e32 v22, v2
	s_waitcnt lgkmcnt(0)
	v_xor_b32_e32 v25, 0x80000000, v13
	v_cndmask_b32_e32 v23, v3, v23, vcc
	v_cndmask_b32_e64 v21, v1, v21, s[4:5]
	v_cmp_gt_f64_e32 vcc, 0, v[12:13]
	v_cmp_gt_f64_e64 s[4:5], 0, v[10:11]
	v_add_f64 v[20:21], v[20:21], v[22:23]
	v_xor_b32_e32 v23, 0x80000000, v11
	v_mov_b32_e32 v22, v10
	v_mov_b32_e32 v24, v12
	v_add_u32_e32 v5, 16, v5
	v_cndmask_b32_e32 v25, v13, v25, vcc
	v_cndmask_b32_e64 v23, v11, v23, s[4:5]
	v_add_f64 v[22:23], v[22:23], v[24:25]
	v_mov_b32_e32 v24, s16
	s_add_i32 s16, s16, 1
	s_cmp_lg_u32 s65, s16
	v_cmp_lt_f64_e32 vcc, v[20:21], v[22:23]
	v_cndmask_b32_e32 v1, v1, v11, vcc
	v_cndmask_b32_e32 v0, v0, v10, vcc
	;; [unrolled: 1-line block ×5, first 2 shown]
	s_cbranch_scc1 .LBB124_373
.LBB124_374:
	s_waitcnt lgkmcnt(0)
	v_cmp_eq_f64_e32 vcc, 0, v[0:1]
	v_cmp_eq_f64_e64 s[4:5], 0, v[2:3]
	s_and_b64 s[4:5], vcc, s[4:5]
	s_and_saveexec_b64 s[16:17], s[4:5]
	s_xor_b64 s[4:5], exec, s[16:17]
; %bb.375:
	v_cmp_ne_u32_e32 vcc, 0, v17
	v_cndmask_b32_e32 v17, 16, v17, vcc
; %bb.376:
	s_andn2_saveexec_b64 s[4:5], s[4:5]
	s_cbranch_execz .LBB124_382
; %bb.377:
	v_cmp_ngt_f64_e64 s[16:17], |v[0:1]|, |v[2:3]|
	s_and_saveexec_b64 s[18:19], s[16:17]
	s_xor_b64 s[18:19], exec, s[18:19]
	s_cbranch_execz .LBB124_379
; %bb.378:
	v_div_scale_f64 v[10:11], s[16:17], v[2:3], v[2:3], v[0:1]
	v_rcp_f64_e32 v[12:13], v[10:11]
	v_fma_f64 v[20:21], -v[10:11], v[12:13], 1.0
	v_fma_f64 v[12:13], v[12:13], v[20:21], v[12:13]
	v_div_scale_f64 v[20:21], vcc, v[0:1], v[2:3], v[0:1]
	v_fma_f64 v[22:23], -v[10:11], v[12:13], 1.0
	v_fma_f64 v[12:13], v[12:13], v[22:23], v[12:13]
	v_mul_f64 v[22:23], v[20:21], v[12:13]
	v_fma_f64 v[10:11], -v[10:11], v[22:23], v[20:21]
	v_div_fmas_f64 v[10:11], v[10:11], v[12:13], v[22:23]
	v_div_fixup_f64 v[10:11], v[10:11], v[2:3], v[0:1]
	v_fma_f64 v[0:1], v[0:1], v[10:11], v[2:3]
	v_div_scale_f64 v[2:3], s[16:17], v[0:1], v[0:1], 1.0
	v_div_scale_f64 v[22:23], vcc, 1.0, v[0:1], 1.0
	v_rcp_f64_e32 v[12:13], v[2:3]
	v_fma_f64 v[20:21], -v[2:3], v[12:13], 1.0
	v_fma_f64 v[12:13], v[12:13], v[20:21], v[12:13]
	v_fma_f64 v[20:21], -v[2:3], v[12:13], 1.0
	v_fma_f64 v[12:13], v[12:13], v[20:21], v[12:13]
	v_mul_f64 v[20:21], v[22:23], v[12:13]
	v_fma_f64 v[2:3], -v[2:3], v[20:21], v[22:23]
	v_div_fmas_f64 v[2:3], v[2:3], v[12:13], v[20:21]
	v_div_fixup_f64 v[2:3], v[2:3], v[0:1], 1.0
	v_mul_f64 v[0:1], v[10:11], v[2:3]
	v_xor_b32_e32 v3, 0x80000000, v3
.LBB124_379:
	s_andn2_saveexec_b64 s[18:19], s[18:19]
	s_cbranch_execz .LBB124_381
; %bb.380:
	v_div_scale_f64 v[10:11], s[16:17], v[0:1], v[0:1], v[2:3]
	v_rcp_f64_e32 v[12:13], v[10:11]
	v_fma_f64 v[20:21], -v[10:11], v[12:13], 1.0
	v_fma_f64 v[12:13], v[12:13], v[20:21], v[12:13]
	v_div_scale_f64 v[20:21], vcc, v[2:3], v[0:1], v[2:3]
	v_fma_f64 v[22:23], -v[10:11], v[12:13], 1.0
	v_fma_f64 v[12:13], v[12:13], v[22:23], v[12:13]
	v_mul_f64 v[22:23], v[20:21], v[12:13]
	v_fma_f64 v[10:11], -v[10:11], v[22:23], v[20:21]
	v_div_fmas_f64 v[10:11], v[10:11], v[12:13], v[22:23]
	v_div_fixup_f64 v[10:11], v[10:11], v[0:1], v[2:3]
	v_fma_f64 v[0:1], v[2:3], v[10:11], v[0:1]
	v_div_scale_f64 v[2:3], s[16:17], v[0:1], v[0:1], 1.0
	v_div_scale_f64 v[22:23], vcc, 1.0, v[0:1], 1.0
	v_rcp_f64_e32 v[12:13], v[2:3]
	v_fma_f64 v[20:21], -v[2:3], v[12:13], 1.0
	v_fma_f64 v[12:13], v[12:13], v[20:21], v[12:13]
	v_fma_f64 v[20:21], -v[2:3], v[12:13], 1.0
	v_fma_f64 v[12:13], v[12:13], v[20:21], v[12:13]
	v_mul_f64 v[20:21], v[22:23], v[12:13]
	v_fma_f64 v[2:3], -v[2:3], v[20:21], v[22:23]
	v_div_fmas_f64 v[2:3], v[2:3], v[12:13], v[20:21]
	v_div_fixup_f64 v[0:1], v[2:3], v[0:1], 1.0
	v_mul_f64 v[2:3], v[10:11], -v[0:1]
.LBB124_381:
	s_or_b64 exec, exec, s[18:19]
.LBB124_382:
	s_or_b64 exec, exec, s[4:5]
	v_cmp_ne_u32_e32 vcc, v19, v4
	s_and_saveexec_b64 s[4:5], vcc
	s_xor_b64 s[4:5], exec, s[4:5]
	s_cbranch_execz .LBB124_388
; %bb.383:
	v_cmp_eq_u32_e32 vcc, 15, v19
	s_and_saveexec_b64 s[18:19], vcc
	s_cbranch_execz .LBB124_387
; %bb.384:
	v_cmp_ne_u32_e32 vcc, 15, v4
	s_xor_b64 s[16:17], s[10:11], -1
	s_and_b64 s[16:17], s[16:17], vcc
	s_and_saveexec_b64 s[24:25], s[16:17]
	s_cbranch_execz .LBB124_386
; %bb.385:
	v_ashrrev_i32_e32 v5, 31, v4
	v_lshlrev_b64 v[10:11], 2, v[4:5]
	v_add_co_u32_e32 v10, vcc, v8, v10
	v_addc_co_u32_e32 v11, vcc, v9, v11, vcc
	global_load_dword v5, v[10:11], off
	global_load_dword v12, v[8:9], off offset:60
	s_waitcnt vmcnt(1)
	global_store_dword v[8:9], v5, off offset:60
	s_waitcnt vmcnt(1)
	global_store_dword v[10:11], v12, off
.LBB124_386:
	s_or_b64 exec, exec, s[24:25]
	v_mov_b32_e32 v19, v4
	v_mov_b32_e32 v18, v4
.LBB124_387:
	s_or_b64 exec, exec, s[18:19]
.LBB124_388:
	s_andn2_saveexec_b64 s[4:5], s[4:5]
	s_cbranch_execz .LBB124_394
; %bb.389:
	s_movk_i32 s16, 0x100
	s_branch .LBB124_391
.LBB124_390:                            ;   in Loop: Header=BB124_391 Depth=1
	s_andn2_b64 vcc, exec, s[18:19]
	s_cbranch_vccz .LBB124_393
.LBB124_391:                            ; =>This Inner Loop Header: Depth=1
	v_mov_b32_e32 v4, s16
	buffer_load_dword v10, v4, s[0:3], 0 offen
	buffer_load_dword v11, v4, s[0:3], 0 offen offset:4
	buffer_load_dword v12, v4, s[0:3], 0 offen offset:8
	;; [unrolled: 1-line block ×27, first 2 shown]
	s_mov_b32 s17, s16
	v_add_u32_e32 v4, s16, v16
	s_cmpk_eq_i32 s16, 0x380
	s_mov_b64 s[18:19], -1
	s_waitcnt vmcnt(24)
	ds_write2_b64 v4, v[10:11], v[12:13] offset1:1
	s_waitcnt vmcnt(20)
	ds_write2_b64 v4, v[19:20], v[21:22] offset0:2 offset1:3
	s_waitcnt vmcnt(16)
	ds_write2_b64 v4, v[23:24], v[25:26] offset0:4 offset1:5
	;; [unrolled: 2-line block ×4, first 2 shown]
	ds_write2_b64 v4, v[35:36], v[33:34] offset0:10 offset1:11
	s_waitcnt vmcnt(0)
	ds_write2_b64 v4, v[41:42], v[39:40] offset0:12 offset1:13
	s_cbranch_scc1 .LBB124_390
; %bb.392:                              ;   in Loop: Header=BB124_391 Depth=1
	v_mov_b32_e32 v5, s17
	buffer_load_dword v10, v5, s[0:3], 0 offen offset:112
	buffer_load_dword v11, v5, s[0:3], 0 offen offset:116
	;; [unrolled: 1-line block ×4, first 2 shown]
	s_addk_i32 s16, 0x80
	s_mov_b64 s[18:19], 0
	s_waitcnt vmcnt(0)
	ds_write2_b64 v4, v[10:11], v[12:13] offset0:14 offset1:15
	s_branch .LBB124_390
.LBB124_393:
	v_mov_b32_e32 v19, 15
.LBB124_394:
	s_or_b64 exec, exec, s[4:5]
	v_cmp_lt_i32_e32 vcc, 15, v19
	s_waitcnt vmcnt(0) lgkmcnt(0)
	s_barrier
	s_and_saveexec_b64 s[4:5], vcc
	s_cbranch_execz .LBB124_399
; %bb.395:
	buffer_load_dword v4, off, s[0:3], 0 offset:248
	buffer_load_dword v5, off, s[0:3], 0 offset:252
	buffer_load_dword v10, off, s[0:3], 0 offset:240
	buffer_load_dword v11, off, s[0:3], 0 offset:244
	s_movk_i32 s24, 0x100
	s_waitcnt vmcnt(2)
	v_mul_f64 v[12:13], v[2:3], v[4:5]
	v_mul_f64 v[4:5], v[0:1], v[4:5]
	s_waitcnt vmcnt(0)
	v_fma_f64 v[0:1], v[0:1], v[10:11], -v[12:13]
	v_fma_f64 v[2:3], v[2:3], v[10:11], v[4:5]
	buffer_store_dword v0, off, s[0:3], 0 offset:240
	buffer_store_dword v1, off, s[0:3], 0 offset:244
	;; [unrolled: 1-line block ×4, first 2 shown]
	s_branch .LBB124_397
.LBB124_396:                            ;   in Loop: Header=BB124_397 Depth=1
	s_andn2_b64 vcc, exec, s[18:19]
	s_cbranch_vccz .LBB124_399
.LBB124_397:                            ; =>This Inner Loop Header: Depth=1
	v_mov_b32_e32 v5, s24
	buffer_load_dword v24, v5, s[0:3], 0 offen
	buffer_load_dword v25, v5, s[0:3], 0 offen offset:4
	buffer_load_dword v26, v5, s[0:3], 0 offen offset:8
	buffer_load_dword v27, v5, s[0:3], 0 offen offset:12
	v_add_u32_e32 v4, s24, v16
	ds_read2_b64 v[10:13], v4 offset1:1
	ds_read2_b64 v[20:23], v4 offset0:2 offset1:3
	s_mov_b32 s16, s24
	s_cmpk_eq_i32 s24, 0x3c0
	s_mov_b64 s[18:19], -1
	s_waitcnt vmcnt(5) lgkmcnt(1)
	v_mul_f64 v[28:29], v[12:13], v[2:3]
	v_mul_f64 v[2:3], v[10:11], v[2:3]
	s_waitcnt vmcnt(4)
	v_fma_f64 v[10:11], v[10:11], v[0:1], -v[28:29]
	v_fma_f64 v[0:1], v[12:13], v[0:1], v[2:3]
	buffer_load_dword v2, v5, s[0:3], 0 offen offset:20
	buffer_load_dword v12, v5, s[0:3], 0 offen offset:28
	;; [unrolled: 1-line block ×3, first 2 shown]
	s_waitcnt vmcnt(5)
	v_add_f64 v[10:11], v[24:25], -v[10:11]
	s_waitcnt vmcnt(3)
	v_add_f64 v[0:1], v[26:27], -v[0:1]
	buffer_store_dword v11, v5, s[0:3], 0 offen offset:4
	buffer_store_dword v10, v5, s[0:3], 0 offen
	buffer_store_dword v1, v5, s[0:3], 0 offen offset:12
	buffer_store_dword v0, v5, s[0:3], 0 offen offset:8
	buffer_load_dword v11, v5, s[0:3], 0 offen offset:24
	s_nop 0
	buffer_load_dword v13, v5, s[0:3], 0 offen offset:36
	buffer_load_dword v25, off, s[0:3], 0 offset:252
	buffer_load_dword v24, off, s[0:3], 0 offset:248
	;; [unrolled: 1-line block ×4, first 2 shown]
	buffer_load_dword v1, v5, s[0:3], 0 offen offset:16
	s_waitcnt vmcnt(3) lgkmcnt(0)
	v_mul_f64 v[29:30], v[22:23], v[24:25]
	v_mul_f64 v[24:25], v[20:21], v[24:25]
	s_waitcnt vmcnt(1)
	v_fma_f64 v[20:21], v[20:21], v[26:27], -v[29:30]
	v_fma_f64 v[22:23], v[22:23], v[26:27], v[24:25]
	s_waitcnt vmcnt(0)
	v_add_f64 v[0:1], v[1:2], -v[20:21]
	v_add_f64 v[2:3], v[11:12], -v[22:23]
	buffer_store_dword v1, v5, s[0:3], 0 offen offset:20
	buffer_store_dword v0, v5, s[0:3], 0 offen offset:16
	;; [unrolled: 1-line block ×4, first 2 shown]
	buffer_load_dword v29, v5, s[0:3], 0 offen offset:44
	buffer_load_dword v10, off, s[0:3], 0 offset:248
	buffer_load_dword v11, off, s[0:3], 0 offset:252
	;; [unrolled: 1-line block ×4, first 2 shown]
	buffer_load_dword v12, v5, s[0:3], 0 offen offset:32
	ds_read2_b64 v[0:3], v4 offset0:4 offset1:5
	s_waitcnt vmcnt(3) lgkmcnt(0)
	v_mul_f64 v[22:23], v[2:3], v[10:11]
	v_mul_f64 v[10:11], v[0:1], v[10:11]
	s_waitcnt vmcnt(1)
	v_fma_f64 v[0:1], v[0:1], v[20:21], -v[22:23]
	v_fma_f64 v[2:3], v[2:3], v[20:21], v[10:11]
	s_waitcnt vmcnt(0)
	v_add_f64 v[0:1], v[12:13], -v[0:1]
	v_add_f64 v[2:3], v[28:29], -v[2:3]
	buffer_store_dword v1, v5, s[0:3], 0 offen offset:36
	buffer_store_dword v0, v5, s[0:3], 0 offen offset:32
	;; [unrolled: 1-line block ×4, first 2 shown]
                                        ; implicit-def: $vgpr0_vgpr1
                                        ; implicit-def: $vgpr2_vgpr3
	s_cbranch_scc1 .LBB124_396
; %bb.398:                              ;   in Loop: Header=BB124_397 Depth=1
	buffer_load_dword v10, off, s[0:3], 0 offset:248
	buffer_load_dword v11, off, s[0:3], 0 offset:252
	;; [unrolled: 1-line block ×4, first 2 shown]
	v_mov_b32_e32 v24, s16
	buffer_load_dword v20, v24, s[0:3], 0 offen offset:48
	buffer_load_dword v21, v24, s[0:3], 0 offen offset:52
	buffer_load_dword v22, v24, s[0:3], 0 offen offset:56
	buffer_load_dword v23, v24, s[0:3], 0 offen offset:60
	ds_read2_b64 v[0:3], v4 offset0:6 offset1:7
	s_add_i32 s24, s24, 64
	s_mov_b64 s[18:19], 0
	s_waitcnt vmcnt(6) lgkmcnt(0)
	v_mul_f64 v[4:5], v[2:3], v[10:11]
	v_mul_f64 v[10:11], v[0:1], v[10:11]
	s_waitcnt vmcnt(4)
	v_fma_f64 v[0:1], v[0:1], v[12:13], -v[4:5]
	v_fma_f64 v[2:3], v[2:3], v[12:13], v[10:11]
	s_waitcnt vmcnt(2)
	v_add_f64 v[0:1], v[20:21], -v[0:1]
	s_waitcnt vmcnt(0)
	v_add_f64 v[2:3], v[22:23], -v[2:3]
	buffer_store_dword v1, v24, s[0:3], 0 offen offset:52
	buffer_store_dword v0, v24, s[0:3], 0 offen offset:48
	;; [unrolled: 1-line block ×4, first 2 shown]
	buffer_load_dword v1, off, s[0:3], 0 offset:244
	s_nop 0
	buffer_load_dword v3, off, s[0:3], 0 offset:252
	buffer_load_dword v2, off, s[0:3], 0 offset:248
	;; [unrolled: 1-line block ×3, first 2 shown]
	s_branch .LBB124_396
.LBB124_399:
	s_or_b64 exec, exec, s[4:5]
	s_waitcnt vmcnt(2)
	v_mov_b32_e32 v3, s72
	s_waitcnt vmcnt(0)
	s_barrier
	buffer_load_dword v0, v3, s[0:3], 0 offen
	buffer_load_dword v1, v3, s[0:3], 0 offen offset:4
	buffer_load_dword v2, v3, s[0:3], 0 offen offset:8
	s_nop 0
	buffer_load_dword v3, v3, s[0:3], 0 offen offset:12
	v_lshl_add_u32 v4, v19, 4, v16
	s_cmp_lt_i32 s65, 18
	s_waitcnt vmcnt(0)
	ds_write2_b64 v4, v[0:1], v[2:3] offset1:1
	s_waitcnt lgkmcnt(0)
	s_barrier
	ds_read2_b64 v[0:3], v16 offset0:32 offset1:33
	v_mov_b32_e32 v4, 16
	s_cbranch_scc1 .LBB124_402
; %bb.400:
	v_add_u32_e32 v5, 0x110, v16
	s_mov_b32 s16, 17
	v_mov_b32_e32 v4, 16
.LBB124_401:                            ; =>This Inner Loop Header: Depth=1
	s_waitcnt lgkmcnt(0)
	v_cmp_gt_f64_e32 vcc, 0, v[2:3]
	v_cmp_gt_f64_e64 s[4:5], 0, v[0:1]
	ds_read2_b64 v[10:13], v5 offset1:1
	v_xor_b32_e32 v21, 0x80000000, v1
	v_xor_b32_e32 v23, 0x80000000, v3
	v_mov_b32_e32 v20, v0
	v_mov_b32_e32 v22, v2
	s_waitcnt lgkmcnt(0)
	v_xor_b32_e32 v25, 0x80000000, v13
	v_cndmask_b32_e32 v23, v3, v23, vcc
	v_cndmask_b32_e64 v21, v1, v21, s[4:5]
	v_cmp_gt_f64_e32 vcc, 0, v[12:13]
	v_cmp_gt_f64_e64 s[4:5], 0, v[10:11]
	v_add_f64 v[20:21], v[20:21], v[22:23]
	v_xor_b32_e32 v23, 0x80000000, v11
	v_mov_b32_e32 v22, v10
	v_mov_b32_e32 v24, v12
	v_add_u32_e32 v5, 16, v5
	v_cndmask_b32_e32 v25, v13, v25, vcc
	v_cndmask_b32_e64 v23, v11, v23, s[4:5]
	v_add_f64 v[22:23], v[22:23], v[24:25]
	v_mov_b32_e32 v24, s16
	s_add_i32 s16, s16, 1
	s_cmp_lg_u32 s65, s16
	v_cmp_lt_f64_e32 vcc, v[20:21], v[22:23]
	v_cndmask_b32_e32 v1, v1, v11, vcc
	v_cndmask_b32_e32 v0, v0, v10, vcc
	;; [unrolled: 1-line block ×5, first 2 shown]
	s_cbranch_scc1 .LBB124_401
.LBB124_402:
	s_waitcnt lgkmcnt(0)
	v_cmp_eq_f64_e32 vcc, 0, v[0:1]
	v_cmp_eq_f64_e64 s[4:5], 0, v[2:3]
	s_and_b64 s[4:5], vcc, s[4:5]
	s_and_saveexec_b64 s[16:17], s[4:5]
	s_xor_b64 s[4:5], exec, s[16:17]
; %bb.403:
	v_cmp_ne_u32_e32 vcc, 0, v17
	v_cndmask_b32_e32 v17, 17, v17, vcc
; %bb.404:
	s_andn2_saveexec_b64 s[4:5], s[4:5]
	s_cbranch_execz .LBB124_410
; %bb.405:
	v_cmp_ngt_f64_e64 s[16:17], |v[0:1]|, |v[2:3]|
	s_and_saveexec_b64 s[18:19], s[16:17]
	s_xor_b64 s[18:19], exec, s[18:19]
	s_cbranch_execz .LBB124_407
; %bb.406:
	v_div_scale_f64 v[10:11], s[16:17], v[2:3], v[2:3], v[0:1]
	v_rcp_f64_e32 v[12:13], v[10:11]
	v_fma_f64 v[20:21], -v[10:11], v[12:13], 1.0
	v_fma_f64 v[12:13], v[12:13], v[20:21], v[12:13]
	v_div_scale_f64 v[20:21], vcc, v[0:1], v[2:3], v[0:1]
	v_fma_f64 v[22:23], -v[10:11], v[12:13], 1.0
	v_fma_f64 v[12:13], v[12:13], v[22:23], v[12:13]
	v_mul_f64 v[22:23], v[20:21], v[12:13]
	v_fma_f64 v[10:11], -v[10:11], v[22:23], v[20:21]
	v_div_fmas_f64 v[10:11], v[10:11], v[12:13], v[22:23]
	v_div_fixup_f64 v[10:11], v[10:11], v[2:3], v[0:1]
	v_fma_f64 v[0:1], v[0:1], v[10:11], v[2:3]
	v_div_scale_f64 v[2:3], s[16:17], v[0:1], v[0:1], 1.0
	v_div_scale_f64 v[22:23], vcc, 1.0, v[0:1], 1.0
	v_rcp_f64_e32 v[12:13], v[2:3]
	v_fma_f64 v[20:21], -v[2:3], v[12:13], 1.0
	v_fma_f64 v[12:13], v[12:13], v[20:21], v[12:13]
	v_fma_f64 v[20:21], -v[2:3], v[12:13], 1.0
	v_fma_f64 v[12:13], v[12:13], v[20:21], v[12:13]
	v_mul_f64 v[20:21], v[22:23], v[12:13]
	v_fma_f64 v[2:3], -v[2:3], v[20:21], v[22:23]
	v_div_fmas_f64 v[2:3], v[2:3], v[12:13], v[20:21]
	v_div_fixup_f64 v[2:3], v[2:3], v[0:1], 1.0
	v_mul_f64 v[0:1], v[10:11], v[2:3]
	v_xor_b32_e32 v3, 0x80000000, v3
.LBB124_407:
	s_andn2_saveexec_b64 s[18:19], s[18:19]
	s_cbranch_execz .LBB124_409
; %bb.408:
	v_div_scale_f64 v[10:11], s[16:17], v[0:1], v[0:1], v[2:3]
	v_rcp_f64_e32 v[12:13], v[10:11]
	v_fma_f64 v[20:21], -v[10:11], v[12:13], 1.0
	v_fma_f64 v[12:13], v[12:13], v[20:21], v[12:13]
	v_div_scale_f64 v[20:21], vcc, v[2:3], v[0:1], v[2:3]
	v_fma_f64 v[22:23], -v[10:11], v[12:13], 1.0
	v_fma_f64 v[12:13], v[12:13], v[22:23], v[12:13]
	v_mul_f64 v[22:23], v[20:21], v[12:13]
	v_fma_f64 v[10:11], -v[10:11], v[22:23], v[20:21]
	v_div_fmas_f64 v[10:11], v[10:11], v[12:13], v[22:23]
	v_div_fixup_f64 v[10:11], v[10:11], v[0:1], v[2:3]
	v_fma_f64 v[0:1], v[2:3], v[10:11], v[0:1]
	v_div_scale_f64 v[2:3], s[16:17], v[0:1], v[0:1], 1.0
	v_div_scale_f64 v[22:23], vcc, 1.0, v[0:1], 1.0
	v_rcp_f64_e32 v[12:13], v[2:3]
	v_fma_f64 v[20:21], -v[2:3], v[12:13], 1.0
	v_fma_f64 v[12:13], v[12:13], v[20:21], v[12:13]
	v_fma_f64 v[20:21], -v[2:3], v[12:13], 1.0
	v_fma_f64 v[12:13], v[12:13], v[20:21], v[12:13]
	v_mul_f64 v[20:21], v[22:23], v[12:13]
	v_fma_f64 v[2:3], -v[2:3], v[20:21], v[22:23]
	v_div_fmas_f64 v[2:3], v[2:3], v[12:13], v[20:21]
	v_div_fixup_f64 v[0:1], v[2:3], v[0:1], 1.0
	v_mul_f64 v[2:3], v[10:11], -v[0:1]
.LBB124_409:
	s_or_b64 exec, exec, s[18:19]
.LBB124_410:
	s_or_b64 exec, exec, s[4:5]
	v_cmp_ne_u32_e32 vcc, v19, v4
	s_and_saveexec_b64 s[4:5], vcc
	s_xor_b64 s[4:5], exec, s[4:5]
	s_cbranch_execz .LBB124_416
; %bb.411:
	v_cmp_eq_u32_e32 vcc, 16, v19
	s_and_saveexec_b64 s[18:19], vcc
	s_cbranch_execz .LBB124_415
; %bb.412:
	v_cmp_ne_u32_e32 vcc, 16, v4
	s_xor_b64 s[16:17], s[10:11], -1
	s_and_b64 s[16:17], s[16:17], vcc
	s_and_saveexec_b64 s[24:25], s[16:17]
	s_cbranch_execz .LBB124_414
; %bb.413:
	v_ashrrev_i32_e32 v5, 31, v4
	v_lshlrev_b64 v[10:11], 2, v[4:5]
	v_add_co_u32_e32 v10, vcc, v8, v10
	v_addc_co_u32_e32 v11, vcc, v9, v11, vcc
	global_load_dword v5, v[10:11], off
	global_load_dword v12, v[8:9], off offset:64
	s_waitcnt vmcnt(1)
	global_store_dword v[8:9], v5, off offset:64
	s_waitcnt vmcnt(1)
	global_store_dword v[10:11], v12, off
.LBB124_414:
	s_or_b64 exec, exec, s[24:25]
	v_mov_b32_e32 v19, v4
	v_mov_b32_e32 v18, v4
.LBB124_415:
	s_or_b64 exec, exec, s[18:19]
.LBB124_416:
	s_andn2_saveexec_b64 s[4:5], s[4:5]
	s_cbranch_execz .LBB124_420
; %bb.417:
	s_movk_i32 s16, 0x110
.LBB124_418:                            ; =>This Inner Loop Header: Depth=1
	v_mov_b32_e32 v20, s16
	buffer_load_dword v4, v20, s[0:3], 0 offen
	buffer_load_dword v5, v20, s[0:3], 0 offen offset:4
	buffer_load_dword v10, v20, s[0:3], 0 offen offset:8
	;; [unrolled: 1-line block ×6, first 2 shown]
	s_nop 0
	buffer_load_dword v20, v20, s[0:3], 0 offen offset:28
	v_add_u32_e32 v21, s16, v16
	s_add_i32 s16, s16, 32
	s_cmpk_eq_i32 s16, 0x3f0
	s_waitcnt vmcnt(4)
	ds_write2_b64 v21, v[4:5], v[10:11] offset1:1
	s_waitcnt vmcnt(0)
	ds_write2_b64 v21, v[12:13], v[19:20] offset0:2 offset1:3
	s_cbranch_scc0 .LBB124_418
; %bb.419:
	v_mov_b32_e32 v19, 16
.LBB124_420:
	s_or_b64 exec, exec, s[4:5]
	v_cmp_lt_i32_e32 vcc, 16, v19
	s_waitcnt vmcnt(0) lgkmcnt(0)
	s_barrier
	s_and_saveexec_b64 s[4:5], vcc
	s_cbranch_execz .LBB124_423
; %bb.421:
	buffer_load_dword v4, off, s[0:3], 0 offset:264
	buffer_load_dword v5, off, s[0:3], 0 offset:268
	;; [unrolled: 1-line block ×4, first 2 shown]
	s_movk_i32 s16, 0x110
	s_waitcnt vmcnt(2)
	v_mul_f64 v[12:13], v[2:3], v[4:5]
	v_mul_f64 v[4:5], v[0:1], v[4:5]
	s_waitcnt vmcnt(0)
	v_fma_f64 v[0:1], v[0:1], v[10:11], -v[12:13]
	v_fma_f64 v[2:3], v[2:3], v[10:11], v[4:5]
	buffer_store_dword v0, off, s[0:3], 0 offset:256
	buffer_store_dword v1, off, s[0:3], 0 offset:260
	;; [unrolled: 1-line block ×4, first 2 shown]
.LBB124_422:                            ; =>This Inner Loop Header: Depth=1
	buffer_load_dword v4, off, s[0:3], 0 offset:264
	buffer_load_dword v5, off, s[0:3], 0 offset:268
	;; [unrolled: 1-line block ×4, first 2 shown]
	v_mov_b32_e32 v32, s16
	buffer_load_dword v22, v32, s[0:3], 0 offen
	buffer_load_dword v23, v32, s[0:3], 0 offen offset:4
	buffer_load_dword v24, v32, s[0:3], 0 offen offset:8
	;; [unrolled: 1-line block ×3, first 2 shown]
	v_add_u32_e32 v10, s16, v16
	ds_read2_b64 v[0:3], v10 offset1:1
	buffer_load_dword v26, v32, s[0:3], 0 offen offset:16
	buffer_load_dword v27, v32, s[0:3], 0 offen offset:20
	;; [unrolled: 1-line block ×4, first 2 shown]
	ds_read2_b64 v[10:13], v10 offset0:2 offset1:3
	s_add_i32 s16, s16, 32
	s_cmpk_lg_i32 s16, 0x3f0
	s_waitcnt vmcnt(10) lgkmcnt(1)
	v_mul_f64 v[30:31], v[2:3], v[4:5]
	v_mul_f64 v[4:5], v[0:1], v[4:5]
	s_waitcnt vmcnt(8)
	v_fma_f64 v[0:1], v[0:1], v[20:21], -v[30:31]
	v_fma_f64 v[2:3], v[2:3], v[20:21], v[4:5]
	s_waitcnt vmcnt(6)
	v_add_f64 v[0:1], v[22:23], -v[0:1]
	s_waitcnt vmcnt(4)
	v_add_f64 v[2:3], v[24:25], -v[2:3]
	buffer_store_dword v1, v32, s[0:3], 0 offen offset:4
	buffer_store_dword v0, v32, s[0:3], 0 offen
	buffer_store_dword v3, v32, s[0:3], 0 offen offset:12
	buffer_store_dword v2, v32, s[0:3], 0 offen offset:8
	buffer_load_dword v1, off, s[0:3], 0 offset:268
	s_nop 0
	buffer_load_dword v0, off, s[0:3], 0 offset:264
	buffer_load_dword v3, off, s[0:3], 0 offset:260
	;; [unrolled: 1-line block ×3, first 2 shown]
	s_waitcnt vmcnt(2) lgkmcnt(0)
	v_mul_f64 v[4:5], v[12:13], v[0:1]
	v_mul_f64 v[0:1], v[10:11], v[0:1]
	s_waitcnt vmcnt(0)
	v_fma_f64 v[4:5], v[10:11], v[2:3], -v[4:5]
	v_fma_f64 v[0:1], v[12:13], v[2:3], v[0:1]
	v_add_f64 v[2:3], v[26:27], -v[4:5]
	v_add_f64 v[0:1], v[28:29], -v[0:1]
	buffer_store_dword v3, v32, s[0:3], 0 offen offset:20
	buffer_store_dword v2, v32, s[0:3], 0 offen offset:16
	buffer_store_dword v1, v32, s[0:3], 0 offen offset:28
	buffer_store_dword v0, v32, s[0:3], 0 offen offset:24
	s_cbranch_scc1 .LBB124_422
.LBB124_423:
	s_or_b64 exec, exec, s[4:5]
	v_mov_b32_e32 v3, s71
	s_waitcnt vmcnt(0)
	s_barrier
	buffer_load_dword v0, v3, s[0:3], 0 offen
	buffer_load_dword v1, v3, s[0:3], 0 offen offset:4
	buffer_load_dword v2, v3, s[0:3], 0 offen offset:8
	s_nop 0
	buffer_load_dword v3, v3, s[0:3], 0 offen offset:12
	v_lshl_add_u32 v4, v19, 4, v16
	s_cmp_lt_i32 s65, 19
	s_waitcnt vmcnt(0)
	ds_write2_b64 v4, v[0:1], v[2:3] offset1:1
	s_waitcnt lgkmcnt(0)
	s_barrier
	ds_read2_b64 v[0:3], v16 offset0:34 offset1:35
	v_mov_b32_e32 v4, 17
	s_cbranch_scc1 .LBB124_426
; %bb.424:
	v_add_u32_e32 v5, 0x120, v16
	s_mov_b32 s16, 18
	v_mov_b32_e32 v4, 17
.LBB124_425:                            ; =>This Inner Loop Header: Depth=1
	s_waitcnt lgkmcnt(0)
	v_cmp_gt_f64_e32 vcc, 0, v[2:3]
	v_cmp_gt_f64_e64 s[4:5], 0, v[0:1]
	ds_read2_b64 v[10:13], v5 offset1:1
	v_xor_b32_e32 v21, 0x80000000, v1
	v_xor_b32_e32 v23, 0x80000000, v3
	v_mov_b32_e32 v20, v0
	v_mov_b32_e32 v22, v2
	s_waitcnt lgkmcnt(0)
	v_xor_b32_e32 v25, 0x80000000, v13
	v_cndmask_b32_e32 v23, v3, v23, vcc
	v_cndmask_b32_e64 v21, v1, v21, s[4:5]
	v_cmp_gt_f64_e32 vcc, 0, v[12:13]
	v_cmp_gt_f64_e64 s[4:5], 0, v[10:11]
	v_add_f64 v[20:21], v[20:21], v[22:23]
	v_xor_b32_e32 v23, 0x80000000, v11
	v_mov_b32_e32 v22, v10
	v_mov_b32_e32 v24, v12
	v_add_u32_e32 v5, 16, v5
	v_cndmask_b32_e32 v25, v13, v25, vcc
	v_cndmask_b32_e64 v23, v11, v23, s[4:5]
	v_add_f64 v[22:23], v[22:23], v[24:25]
	v_mov_b32_e32 v24, s16
	s_add_i32 s16, s16, 1
	s_cmp_lg_u32 s65, s16
	v_cmp_lt_f64_e32 vcc, v[20:21], v[22:23]
	v_cndmask_b32_e32 v1, v1, v11, vcc
	v_cndmask_b32_e32 v0, v0, v10, vcc
	;; [unrolled: 1-line block ×5, first 2 shown]
	s_cbranch_scc1 .LBB124_425
.LBB124_426:
	s_waitcnt lgkmcnt(0)
	v_cmp_eq_f64_e32 vcc, 0, v[0:1]
	v_cmp_eq_f64_e64 s[4:5], 0, v[2:3]
	s_and_b64 s[4:5], vcc, s[4:5]
	s_and_saveexec_b64 s[16:17], s[4:5]
	s_xor_b64 s[4:5], exec, s[16:17]
; %bb.427:
	v_cmp_ne_u32_e32 vcc, 0, v17
	v_cndmask_b32_e32 v17, 18, v17, vcc
; %bb.428:
	s_andn2_saveexec_b64 s[4:5], s[4:5]
	s_cbranch_execz .LBB124_434
; %bb.429:
	v_cmp_ngt_f64_e64 s[16:17], |v[0:1]|, |v[2:3]|
	s_and_saveexec_b64 s[18:19], s[16:17]
	s_xor_b64 s[18:19], exec, s[18:19]
	s_cbranch_execz .LBB124_431
; %bb.430:
	v_div_scale_f64 v[10:11], s[16:17], v[2:3], v[2:3], v[0:1]
	v_rcp_f64_e32 v[12:13], v[10:11]
	v_fma_f64 v[20:21], -v[10:11], v[12:13], 1.0
	v_fma_f64 v[12:13], v[12:13], v[20:21], v[12:13]
	v_div_scale_f64 v[20:21], vcc, v[0:1], v[2:3], v[0:1]
	v_fma_f64 v[22:23], -v[10:11], v[12:13], 1.0
	v_fma_f64 v[12:13], v[12:13], v[22:23], v[12:13]
	v_mul_f64 v[22:23], v[20:21], v[12:13]
	v_fma_f64 v[10:11], -v[10:11], v[22:23], v[20:21]
	v_div_fmas_f64 v[10:11], v[10:11], v[12:13], v[22:23]
	v_div_fixup_f64 v[10:11], v[10:11], v[2:3], v[0:1]
	v_fma_f64 v[0:1], v[0:1], v[10:11], v[2:3]
	v_div_scale_f64 v[2:3], s[16:17], v[0:1], v[0:1], 1.0
	v_div_scale_f64 v[22:23], vcc, 1.0, v[0:1], 1.0
	v_rcp_f64_e32 v[12:13], v[2:3]
	v_fma_f64 v[20:21], -v[2:3], v[12:13], 1.0
	v_fma_f64 v[12:13], v[12:13], v[20:21], v[12:13]
	v_fma_f64 v[20:21], -v[2:3], v[12:13], 1.0
	v_fma_f64 v[12:13], v[12:13], v[20:21], v[12:13]
	v_mul_f64 v[20:21], v[22:23], v[12:13]
	v_fma_f64 v[2:3], -v[2:3], v[20:21], v[22:23]
	v_div_fmas_f64 v[2:3], v[2:3], v[12:13], v[20:21]
	v_div_fixup_f64 v[2:3], v[2:3], v[0:1], 1.0
	v_mul_f64 v[0:1], v[10:11], v[2:3]
	v_xor_b32_e32 v3, 0x80000000, v3
.LBB124_431:
	s_andn2_saveexec_b64 s[18:19], s[18:19]
	s_cbranch_execz .LBB124_433
; %bb.432:
	v_div_scale_f64 v[10:11], s[16:17], v[0:1], v[0:1], v[2:3]
	v_rcp_f64_e32 v[12:13], v[10:11]
	v_fma_f64 v[20:21], -v[10:11], v[12:13], 1.0
	v_fma_f64 v[12:13], v[12:13], v[20:21], v[12:13]
	v_div_scale_f64 v[20:21], vcc, v[2:3], v[0:1], v[2:3]
	v_fma_f64 v[22:23], -v[10:11], v[12:13], 1.0
	v_fma_f64 v[12:13], v[12:13], v[22:23], v[12:13]
	v_mul_f64 v[22:23], v[20:21], v[12:13]
	v_fma_f64 v[10:11], -v[10:11], v[22:23], v[20:21]
	v_div_fmas_f64 v[10:11], v[10:11], v[12:13], v[22:23]
	v_div_fixup_f64 v[10:11], v[10:11], v[0:1], v[2:3]
	v_fma_f64 v[0:1], v[2:3], v[10:11], v[0:1]
	v_div_scale_f64 v[2:3], s[16:17], v[0:1], v[0:1], 1.0
	v_div_scale_f64 v[22:23], vcc, 1.0, v[0:1], 1.0
	v_rcp_f64_e32 v[12:13], v[2:3]
	v_fma_f64 v[20:21], -v[2:3], v[12:13], 1.0
	v_fma_f64 v[12:13], v[12:13], v[20:21], v[12:13]
	v_fma_f64 v[20:21], -v[2:3], v[12:13], 1.0
	v_fma_f64 v[12:13], v[12:13], v[20:21], v[12:13]
	v_mul_f64 v[20:21], v[22:23], v[12:13]
	v_fma_f64 v[2:3], -v[2:3], v[20:21], v[22:23]
	v_div_fmas_f64 v[2:3], v[2:3], v[12:13], v[20:21]
	v_div_fixup_f64 v[0:1], v[2:3], v[0:1], 1.0
	v_mul_f64 v[2:3], v[10:11], -v[0:1]
.LBB124_433:
	s_or_b64 exec, exec, s[18:19]
.LBB124_434:
	s_or_b64 exec, exec, s[4:5]
	v_cmp_ne_u32_e32 vcc, v19, v4
	s_and_saveexec_b64 s[4:5], vcc
	s_xor_b64 s[4:5], exec, s[4:5]
	s_cbranch_execz .LBB124_440
; %bb.435:
	v_cmp_eq_u32_e32 vcc, 17, v19
	s_and_saveexec_b64 s[18:19], vcc
	s_cbranch_execz .LBB124_439
; %bb.436:
	v_cmp_ne_u32_e32 vcc, 17, v4
	s_xor_b64 s[16:17], s[10:11], -1
	s_and_b64 s[16:17], s[16:17], vcc
	s_and_saveexec_b64 s[24:25], s[16:17]
	s_cbranch_execz .LBB124_438
; %bb.437:
	v_ashrrev_i32_e32 v5, 31, v4
	v_lshlrev_b64 v[10:11], 2, v[4:5]
	v_add_co_u32_e32 v10, vcc, v8, v10
	v_addc_co_u32_e32 v11, vcc, v9, v11, vcc
	global_load_dword v5, v[10:11], off
	global_load_dword v12, v[8:9], off offset:68
	s_waitcnt vmcnt(1)
	global_store_dword v[8:9], v5, off offset:68
	s_waitcnt vmcnt(1)
	global_store_dword v[10:11], v12, off
.LBB124_438:
	s_or_b64 exec, exec, s[24:25]
	v_mov_b32_e32 v19, v4
	v_mov_b32_e32 v18, v4
.LBB124_439:
	s_or_b64 exec, exec, s[18:19]
.LBB124_440:
	s_andn2_saveexec_b64 s[4:5], s[4:5]
	s_cbranch_execz .LBB124_444
; %bb.441:
	s_movk_i32 s18, 0x120
.LBB124_442:                            ; =>This Inner Loop Header: Depth=1
	v_mov_b32_e32 v29, s18
	buffer_load_dword v4, v29, s[0:3], 0 offen
	buffer_load_dword v5, v29, s[0:3], 0 offen offset:4
	buffer_load_dword v10, v29, s[0:3], 0 offen offset:8
	;; [unrolled: 1-line block ×15, first 2 shown]
	v_add_u32_e32 v30, s18, v16
	s_addk_i32 s18, 0xf0
	s_cmpk_eq_i32 s18, 0x3f0
	s_waitcnt vmcnt(12)
	ds_write2_b64 v30, v[4:5], v[10:11] offset1:1
	s_waitcnt vmcnt(8)
	ds_write2_b64 v30, v[12:13], v[19:20] offset0:2 offset1:3
	s_waitcnt vmcnt(4)
	ds_write2_b64 v30, v[21:22], v[23:24] offset0:4 offset1:5
	;; [unrolled: 2-line block ×3, first 2 shown]
	buffer_load_dword v5, v29, s[0:3], 0 offen offset:76
	buffer_load_dword v4, v29, s[0:3], 0 offen offset:72
	buffer_load_dword v11, v29, s[0:3], 0 offen offset:68
	buffer_load_dword v10, v29, s[0:3], 0 offen offset:64
	s_waitcnt vmcnt(0)
	ds_write2_b64 v30, v[10:11], v[4:5] offset0:8 offset1:9
	buffer_load_dword v5, v29, s[0:3], 0 offen offset:92
	buffer_load_dword v4, v29, s[0:3], 0 offen offset:88
	buffer_load_dword v11, v29, s[0:3], 0 offen offset:84
	buffer_load_dword v10, v29, s[0:3], 0 offen offset:80
	s_waitcnt vmcnt(0)
	ds_write2_b64 v30, v[10:11], v[4:5] offset0:10 offset1:11
	;; [unrolled: 6-line block ×11, first 2 shown]
	s_cbranch_scc0 .LBB124_442
; %bb.443:
	v_mov_b32_e32 v19, 17
.LBB124_444:
	s_or_b64 exec, exec, s[4:5]
	v_cmp_lt_i32_e32 vcc, 17, v19
	s_waitcnt vmcnt(0) lgkmcnt(0)
	s_barrier
	s_and_saveexec_b64 s[4:5], vcc
	s_cbranch_execz .LBB124_447
; %bb.445:
	buffer_load_dword v4, off, s[0:3], 0 offset:280
	buffer_load_dword v5, off, s[0:3], 0 offset:284
	;; [unrolled: 1-line block ×4, first 2 shown]
	s_movk_i32 s18, 0x120
	s_waitcnt vmcnt(2)
	v_mul_f64 v[12:13], v[2:3], v[4:5]
	v_mul_f64 v[4:5], v[0:1], v[4:5]
	s_waitcnt vmcnt(0)
	v_fma_f64 v[0:1], v[0:1], v[10:11], -v[12:13]
	v_fma_f64 v[2:3], v[2:3], v[10:11], v[4:5]
	buffer_store_dword v0, off, s[0:3], 0 offset:272
	buffer_store_dword v1, off, s[0:3], 0 offset:276
	;; [unrolled: 1-line block ×4, first 2 shown]
.LBB124_446:                            ; =>This Inner Loop Header: Depth=1
	buffer_load_dword v4, off, s[0:3], 0 offset:280
	buffer_load_dword v5, off, s[0:3], 0 offset:284
	;; [unrolled: 1-line block ×4, first 2 shown]
	v_mov_b32_e32 v32, s18
	buffer_load_dword v22, v32, s[0:3], 0 offen
	buffer_load_dword v23, v32, s[0:3], 0 offen offset:4
	buffer_load_dword v24, v32, s[0:3], 0 offen offset:8
	;; [unrolled: 1-line block ×3, first 2 shown]
	v_add_u32_e32 v33, s18, v16
	ds_read2_b64 v[0:3], v33 offset1:1
	buffer_load_dword v26, v32, s[0:3], 0 offen offset:16
	buffer_load_dword v27, v32, s[0:3], 0 offen offset:20
	;; [unrolled: 1-line block ×4, first 2 shown]
	ds_read2_b64 v[10:13], v33 offset0:2 offset1:3
	s_addk_i32 s18, 0x50
	s_cmpk_lg_i32 s18, 0x3f0
	s_waitcnt vmcnt(10) lgkmcnt(1)
	v_mul_f64 v[30:31], v[2:3], v[4:5]
	v_mul_f64 v[4:5], v[0:1], v[4:5]
	s_waitcnt vmcnt(8)
	v_fma_f64 v[0:1], v[0:1], v[20:21], -v[30:31]
	v_fma_f64 v[2:3], v[2:3], v[20:21], v[4:5]
	s_waitcnt vmcnt(6)
	v_add_f64 v[0:1], v[22:23], -v[0:1]
	s_waitcnt vmcnt(4)
	v_add_f64 v[2:3], v[24:25], -v[2:3]
	buffer_store_dword v1, v32, s[0:3], 0 offen offset:4
	buffer_store_dword v0, v32, s[0:3], 0 offen
	buffer_store_dword v3, v32, s[0:3], 0 offen offset:12
	buffer_store_dword v2, v32, s[0:3], 0 offen offset:8
	buffer_load_dword v1, off, s[0:3], 0 offset:284
	s_nop 0
	buffer_load_dword v0, off, s[0:3], 0 offset:280
	buffer_load_dword v3, off, s[0:3], 0 offset:276
	;; [unrolled: 1-line block ×3, first 2 shown]
	buffer_load_dword v4, v32, s[0:3], 0 offen offset:32
	buffer_load_dword v5, v32, s[0:3], 0 offen offset:36
	;; [unrolled: 1-line block ×4, first 2 shown]
	s_waitcnt vmcnt(6) lgkmcnt(0)
	v_mul_f64 v[22:23], v[12:13], v[0:1]
	v_mul_f64 v[0:1], v[10:11], v[0:1]
	s_waitcnt vmcnt(4)
	v_fma_f64 v[10:11], v[10:11], v[2:3], -v[22:23]
	v_fma_f64 v[0:1], v[12:13], v[2:3], v[0:1]
	v_add_f64 v[2:3], v[26:27], -v[10:11]
	v_add_f64 v[0:1], v[28:29], -v[0:1]
	buffer_store_dword v3, v32, s[0:3], 0 offen offset:20
	buffer_store_dword v2, v32, s[0:3], 0 offen offset:16
	buffer_store_dword v1, v32, s[0:3], 0 offen offset:28
	buffer_store_dword v0, v32, s[0:3], 0 offen offset:24
	buffer_load_dword v22, off, s[0:3], 0 offset:280
	buffer_load_dword v23, off, s[0:3], 0 offset:284
	;; [unrolled: 1-line block ×4, first 2 shown]
	ds_read2_b64 v[0:3], v33 offset0:4 offset1:5
	ds_read2_b64 v[10:13], v33 offset0:6 offset1:7
	s_waitcnt vmcnt(2) lgkmcnt(1)
	v_mul_f64 v[26:27], v[2:3], v[22:23]
	v_mul_f64 v[22:23], v[0:1], v[22:23]
	s_waitcnt vmcnt(0)
	v_fma_f64 v[0:1], v[0:1], v[24:25], -v[26:27]
	v_fma_f64 v[2:3], v[2:3], v[24:25], v[22:23]
	v_add_f64 v[0:1], v[4:5], -v[0:1]
	v_add_f64 v[2:3], v[20:21], -v[2:3]
	buffer_store_dword v1, v32, s[0:3], 0 offen offset:36
	buffer_store_dword v0, v32, s[0:3], 0 offen offset:32
	;; [unrolled: 1-line block ×4, first 2 shown]
	buffer_load_dword v0, off, s[0:3], 0 offset:280
	s_nop 0
	buffer_load_dword v1, off, s[0:3], 0 offset:284
	buffer_load_dword v2, off, s[0:3], 0 offset:272
	buffer_load_dword v3, off, s[0:3], 0 offset:276
	buffer_load_dword v4, v32, s[0:3], 0 offen offset:48
	buffer_load_dword v5, v32, s[0:3], 0 offen offset:52
	;; [unrolled: 1-line block ×4, first 2 shown]
	s_waitcnt vmcnt(6) lgkmcnt(0)
	v_mul_f64 v[22:23], v[12:13], v[0:1]
	v_mul_f64 v[0:1], v[10:11], v[0:1]
	s_waitcnt vmcnt(4)
	v_fma_f64 v[10:11], v[10:11], v[2:3], -v[22:23]
	v_fma_f64 v[0:1], v[12:13], v[2:3], v[0:1]
	s_waitcnt vmcnt(2)
	v_add_f64 v[2:3], v[4:5], -v[10:11]
	s_waitcnt vmcnt(0)
	v_add_f64 v[0:1], v[20:21], -v[0:1]
	buffer_store_dword v3, v32, s[0:3], 0 offen offset:52
	buffer_store_dword v2, v32, s[0:3], 0 offen offset:48
	;; [unrolled: 1-line block ×4, first 2 shown]
	buffer_load_dword v4, off, s[0:3], 0 offset:280
	buffer_load_dword v5, off, s[0:3], 0 offset:284
	;; [unrolled: 1-line block ×4, first 2 shown]
	buffer_load_dword v12, v32, s[0:3], 0 offen offset:64
	buffer_load_dword v13, v32, s[0:3], 0 offen offset:68
	;; [unrolled: 1-line block ×4, first 2 shown]
	ds_read2_b64 v[0:3], v33 offset0:8 offset1:9
	s_waitcnt vmcnt(6) lgkmcnt(0)
	v_mul_f64 v[22:23], v[2:3], v[4:5]
	v_mul_f64 v[4:5], v[0:1], v[4:5]
	s_waitcnt vmcnt(4)
	v_fma_f64 v[0:1], v[0:1], v[10:11], -v[22:23]
	v_fma_f64 v[2:3], v[2:3], v[10:11], v[4:5]
	s_waitcnt vmcnt(2)
	v_add_f64 v[0:1], v[12:13], -v[0:1]
	s_waitcnt vmcnt(0)
	v_add_f64 v[2:3], v[20:21], -v[2:3]
	buffer_store_dword v1, v32, s[0:3], 0 offen offset:68
	buffer_store_dword v0, v32, s[0:3], 0 offen offset:64
	;; [unrolled: 1-line block ×4, first 2 shown]
	s_cbranch_scc1 .LBB124_446
.LBB124_447:
	s_or_b64 exec, exec, s[4:5]
	v_mov_b32_e32 v3, s70
	s_waitcnt vmcnt(0)
	s_barrier
	buffer_load_dword v0, v3, s[0:3], 0 offen
	buffer_load_dword v1, v3, s[0:3], 0 offen offset:4
	buffer_load_dword v2, v3, s[0:3], 0 offen offset:8
	s_nop 0
	buffer_load_dword v3, v3, s[0:3], 0 offen offset:12
	v_lshl_add_u32 v4, v19, 4, v16
	s_cmp_lt_i32 s65, 20
	s_waitcnt vmcnt(0)
	ds_write2_b64 v4, v[0:1], v[2:3] offset1:1
	s_waitcnt lgkmcnt(0)
	s_barrier
	ds_read2_b64 v[0:3], v16 offset0:36 offset1:37
	v_mov_b32_e32 v4, 18
	s_cbranch_scc1 .LBB124_450
; %bb.448:
	v_add_u32_e32 v5, 0x130, v16
	s_mov_b32 s16, 19
	v_mov_b32_e32 v4, 18
.LBB124_449:                            ; =>This Inner Loop Header: Depth=1
	s_waitcnt lgkmcnt(0)
	v_cmp_gt_f64_e32 vcc, 0, v[2:3]
	v_cmp_gt_f64_e64 s[4:5], 0, v[0:1]
	ds_read2_b64 v[10:13], v5 offset1:1
	v_xor_b32_e32 v21, 0x80000000, v1
	v_xor_b32_e32 v23, 0x80000000, v3
	v_mov_b32_e32 v20, v0
	v_mov_b32_e32 v22, v2
	s_waitcnt lgkmcnt(0)
	v_xor_b32_e32 v25, 0x80000000, v13
	v_cndmask_b32_e32 v23, v3, v23, vcc
	v_cndmask_b32_e64 v21, v1, v21, s[4:5]
	v_cmp_gt_f64_e32 vcc, 0, v[12:13]
	v_cmp_gt_f64_e64 s[4:5], 0, v[10:11]
	v_add_f64 v[20:21], v[20:21], v[22:23]
	v_xor_b32_e32 v23, 0x80000000, v11
	v_mov_b32_e32 v22, v10
	v_mov_b32_e32 v24, v12
	v_add_u32_e32 v5, 16, v5
	v_cndmask_b32_e32 v25, v13, v25, vcc
	v_cndmask_b32_e64 v23, v11, v23, s[4:5]
	v_add_f64 v[22:23], v[22:23], v[24:25]
	v_mov_b32_e32 v24, s16
	s_add_i32 s16, s16, 1
	s_cmp_lg_u32 s65, s16
	v_cmp_lt_f64_e32 vcc, v[20:21], v[22:23]
	v_cndmask_b32_e32 v1, v1, v11, vcc
	v_cndmask_b32_e32 v0, v0, v10, vcc
	v_cndmask_b32_e32 v3, v3, v13, vcc
	v_cndmask_b32_e32 v2, v2, v12, vcc
	v_cndmask_b32_e32 v4, v4, v24, vcc
	s_cbranch_scc1 .LBB124_449
.LBB124_450:
	s_waitcnt lgkmcnt(0)
	v_cmp_eq_f64_e32 vcc, 0, v[0:1]
	v_cmp_eq_f64_e64 s[4:5], 0, v[2:3]
	s_and_b64 s[4:5], vcc, s[4:5]
	s_and_saveexec_b64 s[16:17], s[4:5]
	s_xor_b64 s[4:5], exec, s[16:17]
; %bb.451:
	v_cmp_ne_u32_e32 vcc, 0, v17
	v_cndmask_b32_e32 v17, 19, v17, vcc
; %bb.452:
	s_andn2_saveexec_b64 s[4:5], s[4:5]
	s_cbranch_execz .LBB124_458
; %bb.453:
	v_cmp_ngt_f64_e64 s[16:17], |v[0:1]|, |v[2:3]|
	s_and_saveexec_b64 s[18:19], s[16:17]
	s_xor_b64 s[18:19], exec, s[18:19]
	s_cbranch_execz .LBB124_455
; %bb.454:
	v_div_scale_f64 v[10:11], s[16:17], v[2:3], v[2:3], v[0:1]
	v_rcp_f64_e32 v[12:13], v[10:11]
	v_fma_f64 v[20:21], -v[10:11], v[12:13], 1.0
	v_fma_f64 v[12:13], v[12:13], v[20:21], v[12:13]
	v_div_scale_f64 v[20:21], vcc, v[0:1], v[2:3], v[0:1]
	v_fma_f64 v[22:23], -v[10:11], v[12:13], 1.0
	v_fma_f64 v[12:13], v[12:13], v[22:23], v[12:13]
	v_mul_f64 v[22:23], v[20:21], v[12:13]
	v_fma_f64 v[10:11], -v[10:11], v[22:23], v[20:21]
	v_div_fmas_f64 v[10:11], v[10:11], v[12:13], v[22:23]
	v_div_fixup_f64 v[10:11], v[10:11], v[2:3], v[0:1]
	v_fma_f64 v[0:1], v[0:1], v[10:11], v[2:3]
	v_div_scale_f64 v[2:3], s[16:17], v[0:1], v[0:1], 1.0
	v_div_scale_f64 v[22:23], vcc, 1.0, v[0:1], 1.0
	v_rcp_f64_e32 v[12:13], v[2:3]
	v_fma_f64 v[20:21], -v[2:3], v[12:13], 1.0
	v_fma_f64 v[12:13], v[12:13], v[20:21], v[12:13]
	v_fma_f64 v[20:21], -v[2:3], v[12:13], 1.0
	v_fma_f64 v[12:13], v[12:13], v[20:21], v[12:13]
	v_mul_f64 v[20:21], v[22:23], v[12:13]
	v_fma_f64 v[2:3], -v[2:3], v[20:21], v[22:23]
	v_div_fmas_f64 v[2:3], v[2:3], v[12:13], v[20:21]
	v_div_fixup_f64 v[2:3], v[2:3], v[0:1], 1.0
	v_mul_f64 v[0:1], v[10:11], v[2:3]
	v_xor_b32_e32 v3, 0x80000000, v3
.LBB124_455:
	s_andn2_saveexec_b64 s[18:19], s[18:19]
	s_cbranch_execz .LBB124_457
; %bb.456:
	v_div_scale_f64 v[10:11], s[16:17], v[0:1], v[0:1], v[2:3]
	v_rcp_f64_e32 v[12:13], v[10:11]
	v_fma_f64 v[20:21], -v[10:11], v[12:13], 1.0
	v_fma_f64 v[12:13], v[12:13], v[20:21], v[12:13]
	v_div_scale_f64 v[20:21], vcc, v[2:3], v[0:1], v[2:3]
	v_fma_f64 v[22:23], -v[10:11], v[12:13], 1.0
	v_fma_f64 v[12:13], v[12:13], v[22:23], v[12:13]
	v_mul_f64 v[22:23], v[20:21], v[12:13]
	v_fma_f64 v[10:11], -v[10:11], v[22:23], v[20:21]
	v_div_fmas_f64 v[10:11], v[10:11], v[12:13], v[22:23]
	v_div_fixup_f64 v[10:11], v[10:11], v[0:1], v[2:3]
	v_fma_f64 v[0:1], v[2:3], v[10:11], v[0:1]
	v_div_scale_f64 v[2:3], s[16:17], v[0:1], v[0:1], 1.0
	v_div_scale_f64 v[22:23], vcc, 1.0, v[0:1], 1.0
	v_rcp_f64_e32 v[12:13], v[2:3]
	v_fma_f64 v[20:21], -v[2:3], v[12:13], 1.0
	v_fma_f64 v[12:13], v[12:13], v[20:21], v[12:13]
	v_fma_f64 v[20:21], -v[2:3], v[12:13], 1.0
	v_fma_f64 v[12:13], v[12:13], v[20:21], v[12:13]
	v_mul_f64 v[20:21], v[22:23], v[12:13]
	v_fma_f64 v[2:3], -v[2:3], v[20:21], v[22:23]
	v_div_fmas_f64 v[2:3], v[2:3], v[12:13], v[20:21]
	v_div_fixup_f64 v[0:1], v[2:3], v[0:1], 1.0
	v_mul_f64 v[2:3], v[10:11], -v[0:1]
.LBB124_457:
	s_or_b64 exec, exec, s[18:19]
.LBB124_458:
	s_or_b64 exec, exec, s[4:5]
	v_cmp_ne_u32_e32 vcc, v19, v4
	s_and_saveexec_b64 s[4:5], vcc
	s_xor_b64 s[4:5], exec, s[4:5]
	s_cbranch_execz .LBB124_464
; %bb.459:
	v_cmp_eq_u32_e32 vcc, 18, v19
	s_and_saveexec_b64 s[18:19], vcc
	s_cbranch_execz .LBB124_463
; %bb.460:
	v_cmp_ne_u32_e32 vcc, 18, v4
	s_xor_b64 s[16:17], s[10:11], -1
	s_and_b64 s[16:17], s[16:17], vcc
	s_and_saveexec_b64 s[24:25], s[16:17]
	s_cbranch_execz .LBB124_462
; %bb.461:
	v_ashrrev_i32_e32 v5, 31, v4
	v_lshlrev_b64 v[10:11], 2, v[4:5]
	v_add_co_u32_e32 v10, vcc, v8, v10
	v_addc_co_u32_e32 v11, vcc, v9, v11, vcc
	global_load_dword v5, v[10:11], off
	global_load_dword v12, v[8:9], off offset:72
	s_waitcnt vmcnt(1)
	global_store_dword v[8:9], v5, off offset:72
	s_waitcnt vmcnt(1)
	global_store_dword v[10:11], v12, off
.LBB124_462:
	s_or_b64 exec, exec, s[24:25]
	v_mov_b32_e32 v19, v4
	v_mov_b32_e32 v18, v4
.LBB124_463:
	s_or_b64 exec, exec, s[18:19]
.LBB124_464:
	s_andn2_saveexec_b64 s[4:5], s[4:5]
	s_cbranch_execz .LBB124_468
; %bb.465:
	s_movk_i32 s16, 0x130
.LBB124_466:                            ; =>This Inner Loop Header: Depth=1
	v_mov_b32_e32 v56, s16
	buffer_load_dword v4, v56, s[0:3], 0 offen
	buffer_load_dword v5, v56, s[0:3], 0 offen offset:4
	buffer_load_dword v10, v56, s[0:3], 0 offen offset:8
	;; [unrolled: 1-line block ×42, first 2 shown]
	s_nop 0
	buffer_load_dword v56, v56, s[0:3], 0 offen offset:172
	v_add_u32_e32 v57, s16, v16
	s_addk_i32 s16, 0xb0
	s_cmpk_eq_i32 s16, 0x3f0
	s_waitcnt vmcnt(40)
	ds_write2_b64 v57, v[4:5], v[10:11] offset1:1
	s_waitcnt vmcnt(36)
	ds_write2_b64 v57, v[12:13], v[19:20] offset0:2 offset1:3
	s_waitcnt vmcnt(32)
	ds_write2_b64 v57, v[21:22], v[23:24] offset0:4 offset1:5
	;; [unrolled: 2-line block ×4, first 2 shown]
	ds_write2_b64 v57, v[33:34], v[31:32] offset0:10 offset1:11
	s_waitcnt vmcnt(12)
	ds_write2_b64 v57, v[43:44], v[37:38] offset0:12 offset1:13
	ds_write2_b64 v57, v[41:42], v[39:40] offset0:14 offset1:15
	s_waitcnt vmcnt(8)
	ds_write2_b64 v57, v[45:46], v[47:48] offset0:16 offset1:17
	s_waitcnt vmcnt(4)
	;; [unrolled: 2-line block ×3, first 2 shown]
	ds_write2_b64 v57, v[53:54], v[55:56] offset0:20 offset1:21
	s_cbranch_scc0 .LBB124_466
; %bb.467:
	v_mov_b32_e32 v19, 18
.LBB124_468:
	s_or_b64 exec, exec, s[4:5]
	v_cmp_lt_i32_e32 vcc, 18, v19
	s_waitcnt vmcnt(0) lgkmcnt(0)
	s_barrier
	s_and_saveexec_b64 s[4:5], vcc
	s_cbranch_execz .LBB124_471
; %bb.469:
	buffer_load_dword v4, off, s[0:3], 0 offset:296
	buffer_load_dword v5, off, s[0:3], 0 offset:300
	buffer_load_dword v10, off, s[0:3], 0 offset:288
	buffer_load_dword v11, off, s[0:3], 0 offset:292
	s_movk_i32 s18, 0x130
	s_waitcnt vmcnt(2)
	v_mul_f64 v[12:13], v[2:3], v[4:5]
	v_mul_f64 v[4:5], v[0:1], v[4:5]
	s_waitcnt vmcnt(0)
	v_fma_f64 v[0:1], v[0:1], v[10:11], -v[12:13]
	v_fma_f64 v[2:3], v[2:3], v[10:11], v[4:5]
	buffer_store_dword v0, off, s[0:3], 0 offset:288
	buffer_store_dword v1, off, s[0:3], 0 offset:292
	;; [unrolled: 1-line block ×4, first 2 shown]
.LBB124_470:                            ; =>This Inner Loop Header: Depth=1
	buffer_load_dword v4, off, s[0:3], 0 offset:296
	buffer_load_dword v5, off, s[0:3], 0 offset:300
	buffer_load_dword v20, off, s[0:3], 0 offset:288
	buffer_load_dword v21, off, s[0:3], 0 offset:292
	v_mov_b32_e32 v32, s18
	buffer_load_dword v22, v32, s[0:3], 0 offen
	buffer_load_dword v23, v32, s[0:3], 0 offen offset:4
	buffer_load_dword v24, v32, s[0:3], 0 offen offset:8
	;; [unrolled: 1-line block ×3, first 2 shown]
	v_add_u32_e32 v33, s18, v16
	ds_read2_b64 v[0:3], v33 offset1:1
	buffer_load_dword v26, v32, s[0:3], 0 offen offset:16
	buffer_load_dword v27, v32, s[0:3], 0 offen offset:20
	;; [unrolled: 1-line block ×4, first 2 shown]
	ds_read2_b64 v[10:13], v33 offset0:2 offset1:3
	s_add_i32 s18, s18, 64
	s_cmpk_lg_i32 s18, 0x3f0
	s_waitcnt vmcnt(10) lgkmcnt(1)
	v_mul_f64 v[30:31], v[2:3], v[4:5]
	v_mul_f64 v[4:5], v[0:1], v[4:5]
	s_waitcnt vmcnt(8)
	v_fma_f64 v[0:1], v[0:1], v[20:21], -v[30:31]
	v_fma_f64 v[2:3], v[2:3], v[20:21], v[4:5]
	s_waitcnt vmcnt(6)
	v_add_f64 v[0:1], v[22:23], -v[0:1]
	s_waitcnt vmcnt(4)
	v_add_f64 v[2:3], v[24:25], -v[2:3]
	buffer_store_dword v1, v32, s[0:3], 0 offen offset:4
	buffer_store_dword v0, v32, s[0:3], 0 offen
	buffer_store_dword v3, v32, s[0:3], 0 offen offset:12
	buffer_store_dword v2, v32, s[0:3], 0 offen offset:8
	buffer_load_dword v1, off, s[0:3], 0 offset:300
	s_nop 0
	buffer_load_dword v0, off, s[0:3], 0 offset:296
	buffer_load_dword v3, off, s[0:3], 0 offset:292
	;; [unrolled: 1-line block ×3, first 2 shown]
	buffer_load_dword v4, v32, s[0:3], 0 offen offset:32
	buffer_load_dword v5, v32, s[0:3], 0 offen offset:36
	;; [unrolled: 1-line block ×4, first 2 shown]
	s_waitcnt vmcnt(6) lgkmcnt(0)
	v_mul_f64 v[22:23], v[12:13], v[0:1]
	v_mul_f64 v[0:1], v[10:11], v[0:1]
	s_waitcnt vmcnt(4)
	v_fma_f64 v[10:11], v[10:11], v[2:3], -v[22:23]
	v_fma_f64 v[0:1], v[12:13], v[2:3], v[0:1]
	v_add_f64 v[2:3], v[26:27], -v[10:11]
	v_add_f64 v[0:1], v[28:29], -v[0:1]
	buffer_store_dword v3, v32, s[0:3], 0 offen offset:20
	buffer_store_dword v2, v32, s[0:3], 0 offen offset:16
	;; [unrolled: 1-line block ×4, first 2 shown]
	buffer_load_dword v22, off, s[0:3], 0 offset:296
	buffer_load_dword v23, off, s[0:3], 0 offset:300
	;; [unrolled: 1-line block ×4, first 2 shown]
	ds_read2_b64 v[0:3], v33 offset0:4 offset1:5
	ds_read2_b64 v[10:13], v33 offset0:6 offset1:7
	s_waitcnt vmcnt(2) lgkmcnt(1)
	v_mul_f64 v[26:27], v[2:3], v[22:23]
	v_mul_f64 v[22:23], v[0:1], v[22:23]
	s_waitcnt vmcnt(0)
	v_fma_f64 v[0:1], v[0:1], v[24:25], -v[26:27]
	v_fma_f64 v[2:3], v[2:3], v[24:25], v[22:23]
	v_add_f64 v[0:1], v[4:5], -v[0:1]
	v_add_f64 v[2:3], v[20:21], -v[2:3]
	buffer_store_dword v1, v32, s[0:3], 0 offen offset:36
	buffer_store_dword v0, v32, s[0:3], 0 offen offset:32
	;; [unrolled: 1-line block ×4, first 2 shown]
	buffer_load_dword v0, off, s[0:3], 0 offset:296
	s_nop 0
	buffer_load_dword v1, off, s[0:3], 0 offset:300
	buffer_load_dword v2, off, s[0:3], 0 offset:288
	;; [unrolled: 1-line block ×3, first 2 shown]
	buffer_load_dword v4, v32, s[0:3], 0 offen offset:48
	buffer_load_dword v5, v32, s[0:3], 0 offen offset:52
	;; [unrolled: 1-line block ×4, first 2 shown]
	s_waitcnt vmcnt(6) lgkmcnt(0)
	v_mul_f64 v[22:23], v[12:13], v[0:1]
	v_mul_f64 v[0:1], v[10:11], v[0:1]
	s_waitcnt vmcnt(4)
	v_fma_f64 v[10:11], v[10:11], v[2:3], -v[22:23]
	v_fma_f64 v[0:1], v[12:13], v[2:3], v[0:1]
	s_waitcnt vmcnt(2)
	v_add_f64 v[2:3], v[4:5], -v[10:11]
	s_waitcnt vmcnt(0)
	v_add_f64 v[0:1], v[20:21], -v[0:1]
	buffer_store_dword v3, v32, s[0:3], 0 offen offset:52
	buffer_store_dword v2, v32, s[0:3], 0 offen offset:48
	;; [unrolled: 1-line block ×4, first 2 shown]
	s_cbranch_scc1 .LBB124_470
.LBB124_471:
	s_or_b64 exec, exec, s[4:5]
	v_mov_b32_e32 v3, s69
	s_waitcnt vmcnt(0)
	s_barrier
	buffer_load_dword v0, v3, s[0:3], 0 offen
	buffer_load_dword v1, v3, s[0:3], 0 offen offset:4
	buffer_load_dword v2, v3, s[0:3], 0 offen offset:8
	s_nop 0
	buffer_load_dword v3, v3, s[0:3], 0 offen offset:12
	v_lshl_add_u32 v4, v19, 4, v16
	s_cmp_lt_i32 s65, 21
	s_waitcnt vmcnt(0)
	ds_write2_b64 v4, v[0:1], v[2:3] offset1:1
	s_waitcnt lgkmcnt(0)
	s_barrier
	ds_read2_b64 v[0:3], v16 offset0:38 offset1:39
	v_mov_b32_e32 v4, 19
	s_cbranch_scc1 .LBB124_474
; %bb.472:
	v_add_u32_e32 v5, 0x140, v16
	s_mov_b32 s16, 20
	v_mov_b32_e32 v4, 19
.LBB124_473:                            ; =>This Inner Loop Header: Depth=1
	s_waitcnt lgkmcnt(0)
	v_cmp_gt_f64_e32 vcc, 0, v[2:3]
	v_cmp_gt_f64_e64 s[4:5], 0, v[0:1]
	ds_read2_b64 v[10:13], v5 offset1:1
	v_xor_b32_e32 v21, 0x80000000, v1
	v_xor_b32_e32 v23, 0x80000000, v3
	v_mov_b32_e32 v20, v0
	v_mov_b32_e32 v22, v2
	s_waitcnt lgkmcnt(0)
	v_xor_b32_e32 v25, 0x80000000, v13
	v_cndmask_b32_e32 v23, v3, v23, vcc
	v_cndmask_b32_e64 v21, v1, v21, s[4:5]
	v_cmp_gt_f64_e32 vcc, 0, v[12:13]
	v_cmp_gt_f64_e64 s[4:5], 0, v[10:11]
	v_add_f64 v[20:21], v[20:21], v[22:23]
	v_xor_b32_e32 v23, 0x80000000, v11
	v_mov_b32_e32 v22, v10
	v_mov_b32_e32 v24, v12
	v_add_u32_e32 v5, 16, v5
	v_cndmask_b32_e32 v25, v13, v25, vcc
	v_cndmask_b32_e64 v23, v11, v23, s[4:5]
	v_add_f64 v[22:23], v[22:23], v[24:25]
	v_mov_b32_e32 v24, s16
	s_add_i32 s16, s16, 1
	s_cmp_lg_u32 s65, s16
	v_cmp_lt_f64_e32 vcc, v[20:21], v[22:23]
	v_cndmask_b32_e32 v1, v1, v11, vcc
	v_cndmask_b32_e32 v0, v0, v10, vcc
	;; [unrolled: 1-line block ×5, first 2 shown]
	s_cbranch_scc1 .LBB124_473
.LBB124_474:
	s_waitcnt lgkmcnt(0)
	v_cmp_eq_f64_e32 vcc, 0, v[0:1]
	v_cmp_eq_f64_e64 s[4:5], 0, v[2:3]
	s_and_b64 s[4:5], vcc, s[4:5]
	s_and_saveexec_b64 s[16:17], s[4:5]
	s_xor_b64 s[4:5], exec, s[16:17]
; %bb.475:
	v_cmp_ne_u32_e32 vcc, 0, v17
	v_cndmask_b32_e32 v17, 20, v17, vcc
; %bb.476:
	s_andn2_saveexec_b64 s[4:5], s[4:5]
	s_cbranch_execz .LBB124_482
; %bb.477:
	v_cmp_ngt_f64_e64 s[16:17], |v[0:1]|, |v[2:3]|
	s_and_saveexec_b64 s[18:19], s[16:17]
	s_xor_b64 s[18:19], exec, s[18:19]
	s_cbranch_execz .LBB124_479
; %bb.478:
	v_div_scale_f64 v[10:11], s[16:17], v[2:3], v[2:3], v[0:1]
	v_rcp_f64_e32 v[12:13], v[10:11]
	v_fma_f64 v[20:21], -v[10:11], v[12:13], 1.0
	v_fma_f64 v[12:13], v[12:13], v[20:21], v[12:13]
	v_div_scale_f64 v[20:21], vcc, v[0:1], v[2:3], v[0:1]
	v_fma_f64 v[22:23], -v[10:11], v[12:13], 1.0
	v_fma_f64 v[12:13], v[12:13], v[22:23], v[12:13]
	v_mul_f64 v[22:23], v[20:21], v[12:13]
	v_fma_f64 v[10:11], -v[10:11], v[22:23], v[20:21]
	v_div_fmas_f64 v[10:11], v[10:11], v[12:13], v[22:23]
	v_div_fixup_f64 v[10:11], v[10:11], v[2:3], v[0:1]
	v_fma_f64 v[0:1], v[0:1], v[10:11], v[2:3]
	v_div_scale_f64 v[2:3], s[16:17], v[0:1], v[0:1], 1.0
	v_div_scale_f64 v[22:23], vcc, 1.0, v[0:1], 1.0
	v_rcp_f64_e32 v[12:13], v[2:3]
	v_fma_f64 v[20:21], -v[2:3], v[12:13], 1.0
	v_fma_f64 v[12:13], v[12:13], v[20:21], v[12:13]
	v_fma_f64 v[20:21], -v[2:3], v[12:13], 1.0
	v_fma_f64 v[12:13], v[12:13], v[20:21], v[12:13]
	v_mul_f64 v[20:21], v[22:23], v[12:13]
	v_fma_f64 v[2:3], -v[2:3], v[20:21], v[22:23]
	v_div_fmas_f64 v[2:3], v[2:3], v[12:13], v[20:21]
	v_div_fixup_f64 v[2:3], v[2:3], v[0:1], 1.0
	v_mul_f64 v[0:1], v[10:11], v[2:3]
	v_xor_b32_e32 v3, 0x80000000, v3
.LBB124_479:
	s_andn2_saveexec_b64 s[18:19], s[18:19]
	s_cbranch_execz .LBB124_481
; %bb.480:
	v_div_scale_f64 v[10:11], s[16:17], v[0:1], v[0:1], v[2:3]
	v_rcp_f64_e32 v[12:13], v[10:11]
	v_fma_f64 v[20:21], -v[10:11], v[12:13], 1.0
	v_fma_f64 v[12:13], v[12:13], v[20:21], v[12:13]
	v_div_scale_f64 v[20:21], vcc, v[2:3], v[0:1], v[2:3]
	v_fma_f64 v[22:23], -v[10:11], v[12:13], 1.0
	v_fma_f64 v[12:13], v[12:13], v[22:23], v[12:13]
	v_mul_f64 v[22:23], v[20:21], v[12:13]
	v_fma_f64 v[10:11], -v[10:11], v[22:23], v[20:21]
	v_div_fmas_f64 v[10:11], v[10:11], v[12:13], v[22:23]
	v_div_fixup_f64 v[10:11], v[10:11], v[0:1], v[2:3]
	v_fma_f64 v[0:1], v[2:3], v[10:11], v[0:1]
	v_div_scale_f64 v[2:3], s[16:17], v[0:1], v[0:1], 1.0
	v_div_scale_f64 v[22:23], vcc, 1.0, v[0:1], 1.0
	v_rcp_f64_e32 v[12:13], v[2:3]
	v_fma_f64 v[20:21], -v[2:3], v[12:13], 1.0
	v_fma_f64 v[12:13], v[12:13], v[20:21], v[12:13]
	v_fma_f64 v[20:21], -v[2:3], v[12:13], 1.0
	v_fma_f64 v[12:13], v[12:13], v[20:21], v[12:13]
	v_mul_f64 v[20:21], v[22:23], v[12:13]
	v_fma_f64 v[2:3], -v[2:3], v[20:21], v[22:23]
	v_div_fmas_f64 v[2:3], v[2:3], v[12:13], v[20:21]
	v_div_fixup_f64 v[0:1], v[2:3], v[0:1], 1.0
	v_mul_f64 v[2:3], v[10:11], -v[0:1]
.LBB124_481:
	s_or_b64 exec, exec, s[18:19]
.LBB124_482:
	s_or_b64 exec, exec, s[4:5]
	v_cmp_ne_u32_e32 vcc, v19, v4
	s_and_saveexec_b64 s[4:5], vcc
	s_xor_b64 s[4:5], exec, s[4:5]
	s_cbranch_execz .LBB124_488
; %bb.483:
	v_cmp_eq_u32_e32 vcc, 19, v19
	s_and_saveexec_b64 s[18:19], vcc
	s_cbranch_execz .LBB124_487
; %bb.484:
	v_cmp_ne_u32_e32 vcc, 19, v4
	s_xor_b64 s[16:17], s[10:11], -1
	s_and_b64 s[16:17], s[16:17], vcc
	s_and_saveexec_b64 s[24:25], s[16:17]
	s_cbranch_execz .LBB124_486
; %bb.485:
	v_ashrrev_i32_e32 v5, 31, v4
	v_lshlrev_b64 v[10:11], 2, v[4:5]
	v_add_co_u32_e32 v10, vcc, v8, v10
	v_addc_co_u32_e32 v11, vcc, v9, v11, vcc
	global_load_dword v5, v[10:11], off
	global_load_dword v12, v[8:9], off offset:76
	s_waitcnt vmcnt(1)
	global_store_dword v[8:9], v5, off offset:76
	s_waitcnt vmcnt(1)
	global_store_dword v[10:11], v12, off
.LBB124_486:
	s_or_b64 exec, exec, s[24:25]
	v_mov_b32_e32 v19, v4
	v_mov_b32_e32 v18, v4
.LBB124_487:
	s_or_b64 exec, exec, s[18:19]
.LBB124_488:
	s_andn2_saveexec_b64 s[4:5], s[4:5]
	s_cbranch_execz .LBB124_494
; %bb.489:
	s_movk_i32 s16, 0x140
	s_branch .LBB124_491
.LBB124_490:                            ;   in Loop: Header=BB124_491 Depth=1
	s_andn2_b64 vcc, exec, s[18:19]
	s_cbranch_vccz .LBB124_493
.LBB124_491:                            ; =>This Inner Loop Header: Depth=1
	v_mov_b32_e32 v4, s16
	buffer_load_dword v10, v4, s[0:3], 0 offen
	buffer_load_dword v11, v4, s[0:3], 0 offen offset:4
	buffer_load_dword v12, v4, s[0:3], 0 offen offset:8
	;; [unrolled: 1-line block ×11, first 2 shown]
	s_mov_b32 s17, s16
	v_add_u32_e32 v4, s16, v16
	s_cmpk_eq_i32 s16, 0x3c0
	s_mov_b64 s[18:19], -1
	s_waitcnt vmcnt(8)
	ds_write2_b64 v4, v[10:11], v[12:13] offset1:1
	s_waitcnt vmcnt(4)
	ds_write2_b64 v4, v[19:20], v[21:22] offset0:2 offset1:3
	s_waitcnt vmcnt(0)
	ds_write2_b64 v4, v[23:24], v[25:26] offset0:4 offset1:5
	s_cbranch_scc1 .LBB124_490
; %bb.492:                              ;   in Loop: Header=BB124_491 Depth=1
	v_mov_b32_e32 v5, s17
	buffer_load_dword v10, v5, s[0:3], 0 offen offset:48
	buffer_load_dword v11, v5, s[0:3], 0 offen offset:52
	buffer_load_dword v12, v5, s[0:3], 0 offen offset:56
	buffer_load_dword v13, v5, s[0:3], 0 offen offset:60
	buffer_load_dword v19, v5, s[0:3], 0 offen offset:64
	buffer_load_dword v20, v5, s[0:3], 0 offen offset:68
	buffer_load_dword v21, v5, s[0:3], 0 offen offset:72
	buffer_load_dword v22, v5, s[0:3], 0 offen offset:76
	buffer_load_dword v23, v5, s[0:3], 0 offen offset:80
	buffer_load_dword v24, v5, s[0:3], 0 offen offset:84
	buffer_load_dword v25, v5, s[0:3], 0 offen offset:88
	buffer_load_dword v26, v5, s[0:3], 0 offen offset:92
	buffer_load_dword v27, v5, s[0:3], 0 offen offset:96
	buffer_load_dword v28, v5, s[0:3], 0 offen offset:100
	buffer_load_dword v29, v5, s[0:3], 0 offen offset:104
	buffer_load_dword v30, v5, s[0:3], 0 offen offset:108
	buffer_load_dword v32, v5, s[0:3], 0 offen offset:124
	buffer_load_dword v31, v5, s[0:3], 0 offen offset:120
	buffer_load_dword v34, v5, s[0:3], 0 offen offset:116
	buffer_load_dword v33, v5, s[0:3], 0 offen offset:112
	s_addk_i32 s16, 0x80
	s_mov_b64 s[18:19], 0
	s_waitcnt vmcnt(16)
	ds_write2_b64 v4, v[10:11], v[12:13] offset0:6 offset1:7
	s_waitcnt vmcnt(12)
	ds_write2_b64 v4, v[19:20], v[21:22] offset0:8 offset1:9
	;; [unrolled: 2-line block ×5, first 2 shown]
	s_branch .LBB124_490
.LBB124_493:
	v_mov_b32_e32 v19, 19
.LBB124_494:
	s_or_b64 exec, exec, s[4:5]
	v_cmp_lt_i32_e32 vcc, 19, v19
	s_waitcnt vmcnt(0) lgkmcnt(0)
	s_barrier
	s_and_saveexec_b64 s[4:5], vcc
	s_cbranch_execz .LBB124_499
; %bb.495:
	buffer_load_dword v4, off, s[0:3], 0 offset:312
	buffer_load_dword v5, off, s[0:3], 0 offset:316
	;; [unrolled: 1-line block ×4, first 2 shown]
	s_movk_i32 s24, 0x140
	s_waitcnt vmcnt(2)
	v_mul_f64 v[12:13], v[2:3], v[4:5]
	v_mul_f64 v[4:5], v[0:1], v[4:5]
	s_waitcnt vmcnt(0)
	v_fma_f64 v[0:1], v[0:1], v[10:11], -v[12:13]
	v_fma_f64 v[2:3], v[2:3], v[10:11], v[4:5]
	buffer_store_dword v0, off, s[0:3], 0 offset:304
	buffer_store_dword v1, off, s[0:3], 0 offset:308
	;; [unrolled: 1-line block ×4, first 2 shown]
	s_branch .LBB124_497
.LBB124_496:                            ;   in Loop: Header=BB124_497 Depth=1
	s_andn2_b64 vcc, exec, s[18:19]
	s_cbranch_vccz .LBB124_499
.LBB124_497:                            ; =>This Inner Loop Header: Depth=1
	v_mov_b32_e32 v5, s24
	buffer_load_dword v24, v5, s[0:3], 0 offen
	buffer_load_dword v25, v5, s[0:3], 0 offen offset:4
	buffer_load_dword v26, v5, s[0:3], 0 offen offset:8
	;; [unrolled: 1-line block ×3, first 2 shown]
	v_add_u32_e32 v4, s24, v16
	ds_read2_b64 v[10:13], v4 offset1:1
	ds_read2_b64 v[20:23], v4 offset0:2 offset1:3
	s_mov_b32 s16, s24
	s_cmpk_eq_i32 s24, 0x3c0
	s_mov_b64 s[18:19], -1
	s_waitcnt vmcnt(5) lgkmcnt(1)
	v_mul_f64 v[28:29], v[12:13], v[2:3]
	v_mul_f64 v[2:3], v[10:11], v[2:3]
	s_waitcnt vmcnt(4)
	v_fma_f64 v[10:11], v[10:11], v[0:1], -v[28:29]
	v_fma_f64 v[0:1], v[12:13], v[0:1], v[2:3]
	buffer_load_dword v2, v5, s[0:3], 0 offen offset:20
	buffer_load_dword v12, v5, s[0:3], 0 offen offset:28
	;; [unrolled: 1-line block ×3, first 2 shown]
	s_waitcnt vmcnt(5)
	v_add_f64 v[10:11], v[24:25], -v[10:11]
	s_waitcnt vmcnt(3)
	v_add_f64 v[0:1], v[26:27], -v[0:1]
	buffer_store_dword v11, v5, s[0:3], 0 offen offset:4
	buffer_store_dword v10, v5, s[0:3], 0 offen
	buffer_store_dword v1, v5, s[0:3], 0 offen offset:12
	buffer_store_dword v0, v5, s[0:3], 0 offen offset:8
	buffer_load_dword v11, v5, s[0:3], 0 offen offset:24
	s_nop 0
	buffer_load_dword v13, v5, s[0:3], 0 offen offset:36
	buffer_load_dword v25, off, s[0:3], 0 offset:316
	buffer_load_dword v24, off, s[0:3], 0 offset:312
	;; [unrolled: 1-line block ×4, first 2 shown]
	buffer_load_dword v1, v5, s[0:3], 0 offen offset:16
	s_waitcnt vmcnt(3) lgkmcnt(0)
	v_mul_f64 v[29:30], v[22:23], v[24:25]
	v_mul_f64 v[24:25], v[20:21], v[24:25]
	s_waitcnt vmcnt(1)
	v_fma_f64 v[20:21], v[20:21], v[26:27], -v[29:30]
	v_fma_f64 v[22:23], v[22:23], v[26:27], v[24:25]
	s_waitcnt vmcnt(0)
	v_add_f64 v[0:1], v[1:2], -v[20:21]
	v_add_f64 v[2:3], v[11:12], -v[22:23]
	buffer_store_dword v1, v5, s[0:3], 0 offen offset:20
	buffer_store_dword v0, v5, s[0:3], 0 offen offset:16
	;; [unrolled: 1-line block ×4, first 2 shown]
	buffer_load_dword v29, v5, s[0:3], 0 offen offset:44
	buffer_load_dword v10, off, s[0:3], 0 offset:312
	buffer_load_dword v11, off, s[0:3], 0 offset:316
	;; [unrolled: 1-line block ×4, first 2 shown]
	buffer_load_dword v12, v5, s[0:3], 0 offen offset:32
	ds_read2_b64 v[0:3], v4 offset0:4 offset1:5
	s_waitcnt vmcnt(3) lgkmcnt(0)
	v_mul_f64 v[22:23], v[2:3], v[10:11]
	v_mul_f64 v[10:11], v[0:1], v[10:11]
	s_waitcnt vmcnt(1)
	v_fma_f64 v[0:1], v[0:1], v[20:21], -v[22:23]
	v_fma_f64 v[2:3], v[2:3], v[20:21], v[10:11]
	s_waitcnt vmcnt(0)
	v_add_f64 v[0:1], v[12:13], -v[0:1]
	v_add_f64 v[2:3], v[28:29], -v[2:3]
	buffer_store_dword v1, v5, s[0:3], 0 offen offset:36
	buffer_store_dword v0, v5, s[0:3], 0 offen offset:32
	;; [unrolled: 1-line block ×4, first 2 shown]
                                        ; implicit-def: $vgpr0_vgpr1
                                        ; implicit-def: $vgpr2_vgpr3
	s_cbranch_scc1 .LBB124_496
; %bb.498:                              ;   in Loop: Header=BB124_497 Depth=1
	buffer_load_dword v10, off, s[0:3], 0 offset:312
	buffer_load_dword v11, off, s[0:3], 0 offset:316
	;; [unrolled: 1-line block ×4, first 2 shown]
	v_mov_b32_e32 v24, s16
	buffer_load_dword v20, v24, s[0:3], 0 offen offset:48
	buffer_load_dword v21, v24, s[0:3], 0 offen offset:52
	buffer_load_dword v22, v24, s[0:3], 0 offen offset:56
	buffer_load_dword v23, v24, s[0:3], 0 offen offset:60
	ds_read2_b64 v[0:3], v4 offset0:6 offset1:7
	s_add_i32 s24, s24, 64
	s_mov_b64 s[18:19], 0
	s_waitcnt vmcnt(6) lgkmcnt(0)
	v_mul_f64 v[4:5], v[2:3], v[10:11]
	v_mul_f64 v[10:11], v[0:1], v[10:11]
	s_waitcnt vmcnt(4)
	v_fma_f64 v[0:1], v[0:1], v[12:13], -v[4:5]
	v_fma_f64 v[2:3], v[2:3], v[12:13], v[10:11]
	s_waitcnt vmcnt(2)
	v_add_f64 v[0:1], v[20:21], -v[0:1]
	s_waitcnt vmcnt(0)
	v_add_f64 v[2:3], v[22:23], -v[2:3]
	buffer_store_dword v1, v24, s[0:3], 0 offen offset:52
	buffer_store_dword v0, v24, s[0:3], 0 offen offset:48
	;; [unrolled: 1-line block ×4, first 2 shown]
	buffer_load_dword v1, off, s[0:3], 0 offset:308
	s_nop 0
	buffer_load_dword v3, off, s[0:3], 0 offset:316
	buffer_load_dword v2, off, s[0:3], 0 offset:312
	;; [unrolled: 1-line block ×3, first 2 shown]
	s_branch .LBB124_496
.LBB124_499:
	s_or_b64 exec, exec, s[4:5]
	s_waitcnt vmcnt(2)
	v_mov_b32_e32 v3, s68
	s_waitcnt vmcnt(0)
	s_barrier
	buffer_load_dword v0, v3, s[0:3], 0 offen
	buffer_load_dword v1, v3, s[0:3], 0 offen offset:4
	buffer_load_dword v2, v3, s[0:3], 0 offen offset:8
	s_nop 0
	buffer_load_dword v3, v3, s[0:3], 0 offen offset:12
	v_lshl_add_u32 v4, v19, 4, v16
	s_cmp_lt_i32 s65, 22
	s_waitcnt vmcnt(0)
	ds_write2_b64 v4, v[0:1], v[2:3] offset1:1
	s_waitcnt lgkmcnt(0)
	s_barrier
	ds_read2_b64 v[0:3], v16 offset0:40 offset1:41
	v_mov_b32_e32 v4, 20
	s_cbranch_scc1 .LBB124_502
; %bb.500:
	v_add_u32_e32 v5, 0x150, v16
	s_mov_b32 s16, 21
	v_mov_b32_e32 v4, 20
.LBB124_501:                            ; =>This Inner Loop Header: Depth=1
	s_waitcnt lgkmcnt(0)
	v_cmp_gt_f64_e32 vcc, 0, v[2:3]
	v_cmp_gt_f64_e64 s[4:5], 0, v[0:1]
	ds_read2_b64 v[10:13], v5 offset1:1
	v_xor_b32_e32 v21, 0x80000000, v1
	v_xor_b32_e32 v23, 0x80000000, v3
	v_mov_b32_e32 v20, v0
	v_mov_b32_e32 v22, v2
	s_waitcnt lgkmcnt(0)
	v_xor_b32_e32 v25, 0x80000000, v13
	v_cndmask_b32_e32 v23, v3, v23, vcc
	v_cndmask_b32_e64 v21, v1, v21, s[4:5]
	v_cmp_gt_f64_e32 vcc, 0, v[12:13]
	v_cmp_gt_f64_e64 s[4:5], 0, v[10:11]
	v_add_f64 v[20:21], v[20:21], v[22:23]
	v_xor_b32_e32 v23, 0x80000000, v11
	v_mov_b32_e32 v22, v10
	v_mov_b32_e32 v24, v12
	v_add_u32_e32 v5, 16, v5
	v_cndmask_b32_e32 v25, v13, v25, vcc
	v_cndmask_b32_e64 v23, v11, v23, s[4:5]
	v_add_f64 v[22:23], v[22:23], v[24:25]
	v_mov_b32_e32 v24, s16
	s_add_i32 s16, s16, 1
	s_cmp_lg_u32 s65, s16
	v_cmp_lt_f64_e32 vcc, v[20:21], v[22:23]
	v_cndmask_b32_e32 v1, v1, v11, vcc
	v_cndmask_b32_e32 v0, v0, v10, vcc
	;; [unrolled: 1-line block ×5, first 2 shown]
	s_cbranch_scc1 .LBB124_501
.LBB124_502:
	s_waitcnt lgkmcnt(0)
	v_cmp_eq_f64_e32 vcc, 0, v[0:1]
	v_cmp_eq_f64_e64 s[4:5], 0, v[2:3]
	s_and_b64 s[4:5], vcc, s[4:5]
	s_and_saveexec_b64 s[16:17], s[4:5]
	s_xor_b64 s[4:5], exec, s[16:17]
; %bb.503:
	v_cmp_ne_u32_e32 vcc, 0, v17
	v_cndmask_b32_e32 v17, 21, v17, vcc
; %bb.504:
	s_andn2_saveexec_b64 s[4:5], s[4:5]
	s_cbranch_execz .LBB124_510
; %bb.505:
	v_cmp_ngt_f64_e64 s[16:17], |v[0:1]|, |v[2:3]|
	s_and_saveexec_b64 s[18:19], s[16:17]
	s_xor_b64 s[18:19], exec, s[18:19]
	s_cbranch_execz .LBB124_507
; %bb.506:
	v_div_scale_f64 v[10:11], s[16:17], v[2:3], v[2:3], v[0:1]
	v_rcp_f64_e32 v[12:13], v[10:11]
	v_fma_f64 v[20:21], -v[10:11], v[12:13], 1.0
	v_fma_f64 v[12:13], v[12:13], v[20:21], v[12:13]
	v_div_scale_f64 v[20:21], vcc, v[0:1], v[2:3], v[0:1]
	v_fma_f64 v[22:23], -v[10:11], v[12:13], 1.0
	v_fma_f64 v[12:13], v[12:13], v[22:23], v[12:13]
	v_mul_f64 v[22:23], v[20:21], v[12:13]
	v_fma_f64 v[10:11], -v[10:11], v[22:23], v[20:21]
	v_div_fmas_f64 v[10:11], v[10:11], v[12:13], v[22:23]
	v_div_fixup_f64 v[10:11], v[10:11], v[2:3], v[0:1]
	v_fma_f64 v[0:1], v[0:1], v[10:11], v[2:3]
	v_div_scale_f64 v[2:3], s[16:17], v[0:1], v[0:1], 1.0
	v_div_scale_f64 v[22:23], vcc, 1.0, v[0:1], 1.0
	v_rcp_f64_e32 v[12:13], v[2:3]
	v_fma_f64 v[20:21], -v[2:3], v[12:13], 1.0
	v_fma_f64 v[12:13], v[12:13], v[20:21], v[12:13]
	v_fma_f64 v[20:21], -v[2:3], v[12:13], 1.0
	v_fma_f64 v[12:13], v[12:13], v[20:21], v[12:13]
	v_mul_f64 v[20:21], v[22:23], v[12:13]
	v_fma_f64 v[2:3], -v[2:3], v[20:21], v[22:23]
	v_div_fmas_f64 v[2:3], v[2:3], v[12:13], v[20:21]
	v_div_fixup_f64 v[2:3], v[2:3], v[0:1], 1.0
	v_mul_f64 v[0:1], v[10:11], v[2:3]
	v_xor_b32_e32 v3, 0x80000000, v3
.LBB124_507:
	s_andn2_saveexec_b64 s[18:19], s[18:19]
	s_cbranch_execz .LBB124_509
; %bb.508:
	v_div_scale_f64 v[10:11], s[16:17], v[0:1], v[0:1], v[2:3]
	v_rcp_f64_e32 v[12:13], v[10:11]
	v_fma_f64 v[20:21], -v[10:11], v[12:13], 1.0
	v_fma_f64 v[12:13], v[12:13], v[20:21], v[12:13]
	v_div_scale_f64 v[20:21], vcc, v[2:3], v[0:1], v[2:3]
	v_fma_f64 v[22:23], -v[10:11], v[12:13], 1.0
	v_fma_f64 v[12:13], v[12:13], v[22:23], v[12:13]
	v_mul_f64 v[22:23], v[20:21], v[12:13]
	v_fma_f64 v[10:11], -v[10:11], v[22:23], v[20:21]
	v_div_fmas_f64 v[10:11], v[10:11], v[12:13], v[22:23]
	v_div_fixup_f64 v[10:11], v[10:11], v[0:1], v[2:3]
	v_fma_f64 v[0:1], v[2:3], v[10:11], v[0:1]
	v_div_scale_f64 v[2:3], s[16:17], v[0:1], v[0:1], 1.0
	v_div_scale_f64 v[22:23], vcc, 1.0, v[0:1], 1.0
	v_rcp_f64_e32 v[12:13], v[2:3]
	v_fma_f64 v[20:21], -v[2:3], v[12:13], 1.0
	v_fma_f64 v[12:13], v[12:13], v[20:21], v[12:13]
	v_fma_f64 v[20:21], -v[2:3], v[12:13], 1.0
	v_fma_f64 v[12:13], v[12:13], v[20:21], v[12:13]
	v_mul_f64 v[20:21], v[22:23], v[12:13]
	v_fma_f64 v[2:3], -v[2:3], v[20:21], v[22:23]
	v_div_fmas_f64 v[2:3], v[2:3], v[12:13], v[20:21]
	v_div_fixup_f64 v[0:1], v[2:3], v[0:1], 1.0
	v_mul_f64 v[2:3], v[10:11], -v[0:1]
.LBB124_509:
	s_or_b64 exec, exec, s[18:19]
.LBB124_510:
	s_or_b64 exec, exec, s[4:5]
	v_cmp_ne_u32_e32 vcc, v19, v4
	s_and_saveexec_b64 s[4:5], vcc
	s_xor_b64 s[4:5], exec, s[4:5]
	s_cbranch_execz .LBB124_516
; %bb.511:
	v_cmp_eq_u32_e32 vcc, 20, v19
	s_and_saveexec_b64 s[18:19], vcc
	s_cbranch_execz .LBB124_515
; %bb.512:
	v_cmp_ne_u32_e32 vcc, 20, v4
	s_xor_b64 s[16:17], s[10:11], -1
	s_and_b64 s[16:17], s[16:17], vcc
	s_and_saveexec_b64 s[24:25], s[16:17]
	s_cbranch_execz .LBB124_514
; %bb.513:
	v_ashrrev_i32_e32 v5, 31, v4
	v_lshlrev_b64 v[10:11], 2, v[4:5]
	v_add_co_u32_e32 v10, vcc, v8, v10
	v_addc_co_u32_e32 v11, vcc, v9, v11, vcc
	global_load_dword v5, v[10:11], off
	global_load_dword v12, v[8:9], off offset:80
	s_waitcnt vmcnt(1)
	global_store_dword v[8:9], v5, off offset:80
	s_waitcnt vmcnt(1)
	global_store_dword v[10:11], v12, off
.LBB124_514:
	s_or_b64 exec, exec, s[24:25]
	v_mov_b32_e32 v19, v4
	v_mov_b32_e32 v18, v4
.LBB124_515:
	s_or_b64 exec, exec, s[18:19]
.LBB124_516:
	s_andn2_saveexec_b64 s[4:5], s[4:5]
	s_cbranch_execz .LBB124_520
; %bb.517:
	s_movk_i32 s18, 0x150
.LBB124_518:                            ; =>This Inner Loop Header: Depth=1
	v_mov_b32_e32 v29, s18
	buffer_load_dword v4, v29, s[0:3], 0 offen
	buffer_load_dword v5, v29, s[0:3], 0 offen offset:4
	buffer_load_dword v10, v29, s[0:3], 0 offen offset:8
	;; [unrolled: 1-line block ×15, first 2 shown]
	v_add_u32_e32 v30, s18, v16
	s_addk_i32 s18, 0xe0
	s_cmpk_eq_i32 s18, 0x3f0
	s_waitcnt vmcnt(12)
	ds_write2_b64 v30, v[4:5], v[10:11] offset1:1
	s_waitcnt vmcnt(8)
	ds_write2_b64 v30, v[12:13], v[19:20] offset0:2 offset1:3
	s_waitcnt vmcnt(4)
	ds_write2_b64 v30, v[21:22], v[23:24] offset0:4 offset1:5
	;; [unrolled: 2-line block ×3, first 2 shown]
	buffer_load_dword v5, v29, s[0:3], 0 offen offset:76
	buffer_load_dword v4, v29, s[0:3], 0 offen offset:72
	buffer_load_dword v11, v29, s[0:3], 0 offen offset:68
	buffer_load_dword v10, v29, s[0:3], 0 offen offset:64
	s_waitcnt vmcnt(0)
	ds_write2_b64 v30, v[10:11], v[4:5] offset0:8 offset1:9
	buffer_load_dword v5, v29, s[0:3], 0 offen offset:92
	buffer_load_dword v4, v29, s[0:3], 0 offen offset:88
	buffer_load_dword v11, v29, s[0:3], 0 offen offset:84
	buffer_load_dword v10, v29, s[0:3], 0 offen offset:80
	s_waitcnt vmcnt(0)
	ds_write2_b64 v30, v[10:11], v[4:5] offset0:10 offset1:11
	;; [unrolled: 6-line block ×10, first 2 shown]
	s_cbranch_scc0 .LBB124_518
; %bb.519:
	v_mov_b32_e32 v19, 20
.LBB124_520:
	s_or_b64 exec, exec, s[4:5]
	v_cmp_lt_i32_e32 vcc, 20, v19
	s_waitcnt vmcnt(0) lgkmcnt(0)
	s_barrier
	s_and_saveexec_b64 s[4:5], vcc
	s_cbranch_execz .LBB124_523
; %bb.521:
	buffer_load_dword v4, off, s[0:3], 0 offset:328
	buffer_load_dword v5, off, s[0:3], 0 offset:332
	;; [unrolled: 1-line block ×4, first 2 shown]
	s_movk_i32 s18, 0x150
	s_waitcnt vmcnt(2)
	v_mul_f64 v[12:13], v[2:3], v[4:5]
	v_mul_f64 v[4:5], v[0:1], v[4:5]
	s_waitcnt vmcnt(0)
	v_fma_f64 v[0:1], v[0:1], v[10:11], -v[12:13]
	v_fma_f64 v[2:3], v[2:3], v[10:11], v[4:5]
	buffer_store_dword v0, off, s[0:3], 0 offset:320
	buffer_store_dword v1, off, s[0:3], 0 offset:324
	;; [unrolled: 1-line block ×4, first 2 shown]
.LBB124_522:                            ; =>This Inner Loop Header: Depth=1
	buffer_load_dword v20, off, s[0:3], 0 offset:328
	buffer_load_dword v21, off, s[0:3], 0 offset:332
	;; [unrolled: 1-line block ×4, first 2 shown]
	v_mov_b32_e32 v0, s18
	buffer_load_dword v24, v0, s[0:3], 0 offen
	buffer_load_dword v25, v0, s[0:3], 0 offen offset:4
	buffer_load_dword v26, v0, s[0:3], 0 offen offset:8
	;; [unrolled: 1-line block ×3, first 2 shown]
	v_add_u32_e32 v5, s18, v16
	ds_read2_b64 v[1:4], v5 offset1:1
	buffer_load_dword v28, v0, s[0:3], 0 offen offset:16
	buffer_load_dword v29, v0, s[0:3], 0 offen offset:20
	;; [unrolled: 1-line block ×4, first 2 shown]
	ds_read2_b64 v[10:13], v5 offset0:2 offset1:3
	s_addk_i32 s18, 0x70
	s_cmpk_lg_i32 s18, 0x3f0
	s_waitcnt vmcnt(10) lgkmcnt(1)
	v_mul_f64 v[32:33], v[3:4], v[20:21]
	v_mul_f64 v[20:21], v[1:2], v[20:21]
	s_waitcnt vmcnt(8)
	v_fma_f64 v[1:2], v[1:2], v[22:23], -v[32:33]
	v_fma_f64 v[3:4], v[3:4], v[22:23], v[20:21]
	s_waitcnt vmcnt(6)
	v_add_f64 v[1:2], v[24:25], -v[1:2]
	s_waitcnt vmcnt(4)
	v_add_f64 v[3:4], v[26:27], -v[3:4]
	buffer_store_dword v2, v0, s[0:3], 0 offen offset:4
	buffer_store_dword v1, v0, s[0:3], 0 offen
	buffer_store_dword v4, v0, s[0:3], 0 offen offset:12
	buffer_store_dword v3, v0, s[0:3], 0 offen offset:8
	buffer_load_dword v2, off, s[0:3], 0 offset:332
	s_nop 0
	buffer_load_dword v1, off, s[0:3], 0 offset:328
	buffer_load_dword v4, off, s[0:3], 0 offset:324
	;; [unrolled: 1-line block ×3, first 2 shown]
	buffer_load_dword v20, v0, s[0:3], 0 offen offset:32
	buffer_load_dword v21, v0, s[0:3], 0 offen offset:36
	;; [unrolled: 1-line block ×4, first 2 shown]
	s_waitcnt vmcnt(6) lgkmcnt(0)
	v_mul_f64 v[24:25], v[12:13], v[1:2]
	v_mul_f64 v[1:2], v[10:11], v[1:2]
	s_waitcnt vmcnt(4)
	v_fma_f64 v[10:11], v[10:11], v[3:4], -v[24:25]
	v_fma_f64 v[1:2], v[12:13], v[3:4], v[1:2]
	v_add_f64 v[3:4], v[28:29], -v[10:11]
	v_add_f64 v[1:2], v[30:31], -v[1:2]
	buffer_store_dword v4, v0, s[0:3], 0 offen offset:20
	buffer_store_dword v3, v0, s[0:3], 0 offen offset:16
	;; [unrolled: 1-line block ×4, first 2 shown]
	buffer_load_dword v24, off, s[0:3], 0 offset:328
	buffer_load_dword v25, off, s[0:3], 0 offset:332
	;; [unrolled: 1-line block ×4, first 2 shown]
	ds_read2_b64 v[1:4], v5 offset0:4 offset1:5
	ds_read2_b64 v[10:13], v5 offset0:6 offset1:7
	s_waitcnt vmcnt(2) lgkmcnt(1)
	v_mul_f64 v[28:29], v[3:4], v[24:25]
	v_mul_f64 v[24:25], v[1:2], v[24:25]
	s_waitcnt vmcnt(0)
	v_fma_f64 v[1:2], v[1:2], v[26:27], -v[28:29]
	v_fma_f64 v[3:4], v[3:4], v[26:27], v[24:25]
	v_add_f64 v[1:2], v[20:21], -v[1:2]
	v_add_f64 v[3:4], v[22:23], -v[3:4]
	buffer_store_dword v2, v0, s[0:3], 0 offen offset:36
	buffer_store_dword v1, v0, s[0:3], 0 offen offset:32
	;; [unrolled: 1-line block ×4, first 2 shown]
	buffer_load_dword v1, off, s[0:3], 0 offset:328
	s_nop 0
	buffer_load_dword v2, off, s[0:3], 0 offset:332
	buffer_load_dword v3, off, s[0:3], 0 offset:320
	;; [unrolled: 1-line block ×3, first 2 shown]
	buffer_load_dword v20, v0, s[0:3], 0 offen offset:48
	buffer_load_dword v21, v0, s[0:3], 0 offen offset:52
	;; [unrolled: 1-line block ×4, first 2 shown]
	s_waitcnt vmcnt(6) lgkmcnt(0)
	v_mul_f64 v[24:25], v[12:13], v[1:2]
	v_mul_f64 v[1:2], v[10:11], v[1:2]
	s_waitcnt vmcnt(4)
	v_fma_f64 v[10:11], v[10:11], v[3:4], -v[24:25]
	v_fma_f64 v[1:2], v[12:13], v[3:4], v[1:2]
	s_waitcnt vmcnt(2)
	v_add_f64 v[3:4], v[20:21], -v[10:11]
	s_waitcnt vmcnt(0)
	v_add_f64 v[1:2], v[22:23], -v[1:2]
	buffer_store_dword v4, v0, s[0:3], 0 offen offset:52
	buffer_store_dword v3, v0, s[0:3], 0 offen offset:48
	;; [unrolled: 1-line block ×4, first 2 shown]
	buffer_load_dword v20, off, s[0:3], 0 offset:328
	buffer_load_dword v21, off, s[0:3], 0 offset:332
	;; [unrolled: 1-line block ×4, first 2 shown]
	buffer_load_dword v24, v0, s[0:3], 0 offen offset:64
	buffer_load_dword v25, v0, s[0:3], 0 offen offset:68
	;; [unrolled: 1-line block ×4, first 2 shown]
	ds_read2_b64 v[1:4], v5 offset0:8 offset1:9
	ds_read2_b64 v[10:13], v5 offset0:10 offset1:11
	s_waitcnt vmcnt(6) lgkmcnt(1)
	v_mul_f64 v[28:29], v[3:4], v[20:21]
	v_mul_f64 v[20:21], v[1:2], v[20:21]
	s_waitcnt vmcnt(4)
	v_fma_f64 v[1:2], v[1:2], v[22:23], -v[28:29]
	v_fma_f64 v[3:4], v[3:4], v[22:23], v[20:21]
	s_waitcnt vmcnt(2)
	v_add_f64 v[1:2], v[24:25], -v[1:2]
	s_waitcnt vmcnt(0)
	v_add_f64 v[3:4], v[26:27], -v[3:4]
	buffer_store_dword v2, v0, s[0:3], 0 offen offset:68
	buffer_store_dword v1, v0, s[0:3], 0 offen offset:64
	;; [unrolled: 1-line block ×4, first 2 shown]
	buffer_load_dword v1, off, s[0:3], 0 offset:328
	s_nop 0
	buffer_load_dword v2, off, s[0:3], 0 offset:332
	buffer_load_dword v3, off, s[0:3], 0 offset:320
	;; [unrolled: 1-line block ×3, first 2 shown]
	buffer_load_dword v20, v0, s[0:3], 0 offen offset:80
	buffer_load_dword v21, v0, s[0:3], 0 offen offset:84
	;; [unrolled: 1-line block ×4, first 2 shown]
	s_waitcnt vmcnt(6) lgkmcnt(0)
	v_mul_f64 v[24:25], v[12:13], v[1:2]
	v_mul_f64 v[1:2], v[10:11], v[1:2]
	s_waitcnt vmcnt(4)
	v_fma_f64 v[10:11], v[10:11], v[3:4], -v[24:25]
	v_fma_f64 v[1:2], v[12:13], v[3:4], v[1:2]
	s_waitcnt vmcnt(2)
	v_add_f64 v[3:4], v[20:21], -v[10:11]
	s_waitcnt vmcnt(0)
	v_add_f64 v[1:2], v[22:23], -v[1:2]
	buffer_store_dword v4, v0, s[0:3], 0 offen offset:84
	buffer_store_dword v3, v0, s[0:3], 0 offen offset:80
	;; [unrolled: 1-line block ×4, first 2 shown]
	buffer_load_dword v10, off, s[0:3], 0 offset:328
	buffer_load_dword v11, off, s[0:3], 0 offset:332
	;; [unrolled: 1-line block ×4, first 2 shown]
	buffer_load_dword v20, v0, s[0:3], 0 offen offset:96
	buffer_load_dword v21, v0, s[0:3], 0 offen offset:100
	;; [unrolled: 1-line block ×4, first 2 shown]
	ds_read2_b64 v[1:4], v5 offset0:12 offset1:13
	s_waitcnt vmcnt(6) lgkmcnt(0)
	v_mul_f64 v[24:25], v[3:4], v[10:11]
	v_mul_f64 v[10:11], v[1:2], v[10:11]
	s_waitcnt vmcnt(4)
	v_fma_f64 v[1:2], v[1:2], v[12:13], -v[24:25]
	v_fma_f64 v[3:4], v[3:4], v[12:13], v[10:11]
	s_waitcnt vmcnt(2)
	v_add_f64 v[1:2], v[20:21], -v[1:2]
	s_waitcnt vmcnt(0)
	v_add_f64 v[3:4], v[22:23], -v[3:4]
	buffer_store_dword v2, v0, s[0:3], 0 offen offset:100
	buffer_store_dword v1, v0, s[0:3], 0 offen offset:96
	;; [unrolled: 1-line block ×4, first 2 shown]
	s_cbranch_scc1 .LBB124_522
.LBB124_523:
	s_or_b64 exec, exec, s[4:5]
	v_mov_b32_e32 v3, s67
	s_waitcnt vmcnt(0)
	s_barrier
	buffer_load_dword v0, v3, s[0:3], 0 offen
	buffer_load_dword v1, v3, s[0:3], 0 offen offset:4
	buffer_load_dword v2, v3, s[0:3], 0 offen offset:8
	s_nop 0
	buffer_load_dword v3, v3, s[0:3], 0 offen offset:12
	v_lshl_add_u32 v4, v19, 4, v16
	s_cmp_lt_i32 s65, 23
	s_waitcnt vmcnt(0)
	ds_write2_b64 v4, v[0:1], v[2:3] offset1:1
	s_waitcnt lgkmcnt(0)
	s_barrier
	ds_read2_b64 v[0:3], v16 offset0:42 offset1:43
	v_mov_b32_e32 v4, 21
	s_cbranch_scc1 .LBB124_526
; %bb.524:
	v_add_u32_e32 v5, 0x160, v16
	s_mov_b32 s16, 22
	v_mov_b32_e32 v4, 21
.LBB124_525:                            ; =>This Inner Loop Header: Depth=1
	s_waitcnt lgkmcnt(0)
	v_cmp_gt_f64_e32 vcc, 0, v[2:3]
	v_cmp_gt_f64_e64 s[4:5], 0, v[0:1]
	ds_read2_b64 v[10:13], v5 offset1:1
	v_xor_b32_e32 v21, 0x80000000, v1
	v_xor_b32_e32 v23, 0x80000000, v3
	v_mov_b32_e32 v20, v0
	v_mov_b32_e32 v22, v2
	s_waitcnt lgkmcnt(0)
	v_xor_b32_e32 v25, 0x80000000, v13
	v_cndmask_b32_e32 v23, v3, v23, vcc
	v_cndmask_b32_e64 v21, v1, v21, s[4:5]
	v_cmp_gt_f64_e32 vcc, 0, v[12:13]
	v_cmp_gt_f64_e64 s[4:5], 0, v[10:11]
	v_add_f64 v[20:21], v[20:21], v[22:23]
	v_xor_b32_e32 v23, 0x80000000, v11
	v_mov_b32_e32 v22, v10
	v_mov_b32_e32 v24, v12
	v_add_u32_e32 v5, 16, v5
	v_cndmask_b32_e32 v25, v13, v25, vcc
	v_cndmask_b32_e64 v23, v11, v23, s[4:5]
	v_add_f64 v[22:23], v[22:23], v[24:25]
	v_mov_b32_e32 v24, s16
	s_add_i32 s16, s16, 1
	s_cmp_lg_u32 s65, s16
	v_cmp_lt_f64_e32 vcc, v[20:21], v[22:23]
	v_cndmask_b32_e32 v1, v1, v11, vcc
	v_cndmask_b32_e32 v0, v0, v10, vcc
	;; [unrolled: 1-line block ×5, first 2 shown]
	s_cbranch_scc1 .LBB124_525
.LBB124_526:
	s_waitcnt lgkmcnt(0)
	v_cmp_eq_f64_e32 vcc, 0, v[0:1]
	v_cmp_eq_f64_e64 s[4:5], 0, v[2:3]
	s_and_b64 s[4:5], vcc, s[4:5]
	s_and_saveexec_b64 s[16:17], s[4:5]
	s_xor_b64 s[4:5], exec, s[16:17]
; %bb.527:
	v_cmp_ne_u32_e32 vcc, 0, v17
	v_cndmask_b32_e32 v17, 22, v17, vcc
; %bb.528:
	s_andn2_saveexec_b64 s[4:5], s[4:5]
	s_cbranch_execz .LBB124_534
; %bb.529:
	v_cmp_ngt_f64_e64 s[16:17], |v[0:1]|, |v[2:3]|
	s_and_saveexec_b64 s[18:19], s[16:17]
	s_xor_b64 s[18:19], exec, s[18:19]
	s_cbranch_execz .LBB124_531
; %bb.530:
	v_div_scale_f64 v[10:11], s[16:17], v[2:3], v[2:3], v[0:1]
	v_rcp_f64_e32 v[12:13], v[10:11]
	v_fma_f64 v[20:21], -v[10:11], v[12:13], 1.0
	v_fma_f64 v[12:13], v[12:13], v[20:21], v[12:13]
	v_div_scale_f64 v[20:21], vcc, v[0:1], v[2:3], v[0:1]
	v_fma_f64 v[22:23], -v[10:11], v[12:13], 1.0
	v_fma_f64 v[12:13], v[12:13], v[22:23], v[12:13]
	v_mul_f64 v[22:23], v[20:21], v[12:13]
	v_fma_f64 v[10:11], -v[10:11], v[22:23], v[20:21]
	v_div_fmas_f64 v[10:11], v[10:11], v[12:13], v[22:23]
	v_div_fixup_f64 v[10:11], v[10:11], v[2:3], v[0:1]
	v_fma_f64 v[0:1], v[0:1], v[10:11], v[2:3]
	v_div_scale_f64 v[2:3], s[16:17], v[0:1], v[0:1], 1.0
	v_div_scale_f64 v[22:23], vcc, 1.0, v[0:1], 1.0
	v_rcp_f64_e32 v[12:13], v[2:3]
	v_fma_f64 v[20:21], -v[2:3], v[12:13], 1.0
	v_fma_f64 v[12:13], v[12:13], v[20:21], v[12:13]
	v_fma_f64 v[20:21], -v[2:3], v[12:13], 1.0
	v_fma_f64 v[12:13], v[12:13], v[20:21], v[12:13]
	v_mul_f64 v[20:21], v[22:23], v[12:13]
	v_fma_f64 v[2:3], -v[2:3], v[20:21], v[22:23]
	v_div_fmas_f64 v[2:3], v[2:3], v[12:13], v[20:21]
	v_div_fixup_f64 v[2:3], v[2:3], v[0:1], 1.0
	v_mul_f64 v[0:1], v[10:11], v[2:3]
	v_xor_b32_e32 v3, 0x80000000, v3
.LBB124_531:
	s_andn2_saveexec_b64 s[18:19], s[18:19]
	s_cbranch_execz .LBB124_533
; %bb.532:
	v_div_scale_f64 v[10:11], s[16:17], v[0:1], v[0:1], v[2:3]
	v_rcp_f64_e32 v[12:13], v[10:11]
	v_fma_f64 v[20:21], -v[10:11], v[12:13], 1.0
	v_fma_f64 v[12:13], v[12:13], v[20:21], v[12:13]
	v_div_scale_f64 v[20:21], vcc, v[2:3], v[0:1], v[2:3]
	v_fma_f64 v[22:23], -v[10:11], v[12:13], 1.0
	v_fma_f64 v[12:13], v[12:13], v[22:23], v[12:13]
	v_mul_f64 v[22:23], v[20:21], v[12:13]
	v_fma_f64 v[10:11], -v[10:11], v[22:23], v[20:21]
	v_div_fmas_f64 v[10:11], v[10:11], v[12:13], v[22:23]
	v_div_fixup_f64 v[10:11], v[10:11], v[0:1], v[2:3]
	v_fma_f64 v[0:1], v[2:3], v[10:11], v[0:1]
	v_div_scale_f64 v[2:3], s[16:17], v[0:1], v[0:1], 1.0
	v_div_scale_f64 v[22:23], vcc, 1.0, v[0:1], 1.0
	v_rcp_f64_e32 v[12:13], v[2:3]
	v_fma_f64 v[20:21], -v[2:3], v[12:13], 1.0
	v_fma_f64 v[12:13], v[12:13], v[20:21], v[12:13]
	v_fma_f64 v[20:21], -v[2:3], v[12:13], 1.0
	v_fma_f64 v[12:13], v[12:13], v[20:21], v[12:13]
	v_mul_f64 v[20:21], v[22:23], v[12:13]
	v_fma_f64 v[2:3], -v[2:3], v[20:21], v[22:23]
	v_div_fmas_f64 v[2:3], v[2:3], v[12:13], v[20:21]
	v_div_fixup_f64 v[0:1], v[2:3], v[0:1], 1.0
	v_mul_f64 v[2:3], v[10:11], -v[0:1]
.LBB124_533:
	s_or_b64 exec, exec, s[18:19]
.LBB124_534:
	s_or_b64 exec, exec, s[4:5]
	v_cmp_ne_u32_e32 vcc, v19, v4
	s_and_saveexec_b64 s[4:5], vcc
	s_xor_b64 s[4:5], exec, s[4:5]
	s_cbranch_execz .LBB124_540
; %bb.535:
	v_cmp_eq_u32_e32 vcc, 21, v19
	s_and_saveexec_b64 s[18:19], vcc
	s_cbranch_execz .LBB124_539
; %bb.536:
	v_cmp_ne_u32_e32 vcc, 21, v4
	s_xor_b64 s[16:17], s[10:11], -1
	s_and_b64 s[16:17], s[16:17], vcc
	s_and_saveexec_b64 s[24:25], s[16:17]
	s_cbranch_execz .LBB124_538
; %bb.537:
	v_ashrrev_i32_e32 v5, 31, v4
	v_lshlrev_b64 v[10:11], 2, v[4:5]
	v_add_co_u32_e32 v10, vcc, v8, v10
	v_addc_co_u32_e32 v11, vcc, v9, v11, vcc
	global_load_dword v5, v[10:11], off
	global_load_dword v12, v[8:9], off offset:84
	s_waitcnt vmcnt(1)
	global_store_dword v[8:9], v5, off offset:84
	s_waitcnt vmcnt(1)
	global_store_dword v[10:11], v12, off
.LBB124_538:
	s_or_b64 exec, exec, s[24:25]
	v_mov_b32_e32 v19, v4
	v_mov_b32_e32 v18, v4
.LBB124_539:
	s_or_b64 exec, exec, s[18:19]
.LBB124_540:
	s_andn2_saveexec_b64 s[4:5], s[4:5]
	s_cbranch_execz .LBB124_546
; %bb.541:
	s_movk_i32 s16, 0x160
	s_branch .LBB124_543
.LBB124_542:                            ;   in Loop: Header=BB124_543 Depth=1
	s_andn2_b64 vcc, exec, s[18:19]
	s_cbranch_vccz .LBB124_545
.LBB124_543:                            ; =>This Inner Loop Header: Depth=1
	v_mov_b32_e32 v4, s16
	buffer_load_dword v10, v4, s[0:3], 0 offen
	buffer_load_dword v11, v4, s[0:3], 0 offen offset:4
	buffer_load_dword v12, v4, s[0:3], 0 offen offset:8
	;; [unrolled: 1-line block ×3, first 2 shown]
	s_mov_b32 s17, s16
	v_add_u32_e32 v4, s16, v16
	s_cmpk_eq_i32 s16, 0x3e0
	s_mov_b64 s[18:19], -1
	s_waitcnt vmcnt(0)
	ds_write2_b64 v4, v[10:11], v[12:13] offset1:1
	s_cbranch_scc1 .LBB124_542
; %bb.544:                              ;   in Loop: Header=BB124_543 Depth=1
	v_mov_b32_e32 v5, s17
	buffer_load_dword v10, v5, s[0:3], 0 offen offset:16
	buffer_load_dword v11, v5, s[0:3], 0 offen offset:20
	;; [unrolled: 1-line block ×28, first 2 shown]
	s_addk_i32 s16, 0x80
	s_mov_b64 s[18:19], 0
	s_waitcnt vmcnt(24)
	ds_write2_b64 v4, v[10:11], v[12:13] offset0:2 offset1:3
	s_waitcnt vmcnt(20)
	ds_write2_b64 v4, v[19:20], v[21:22] offset0:4 offset1:5
	;; [unrolled: 2-line block ×5, first 2 shown]
	ds_write2_b64 v4, v[35:36], v[33:34] offset0:12 offset1:13
	s_waitcnt vmcnt(0)
	ds_write2_b64 v4, v[41:42], v[39:40] offset0:14 offset1:15
	s_branch .LBB124_542
.LBB124_545:
	v_mov_b32_e32 v19, 21
.LBB124_546:
	s_or_b64 exec, exec, s[4:5]
	v_cmp_lt_i32_e32 vcc, 21, v19
	s_waitcnt vmcnt(0) lgkmcnt(0)
	s_barrier
	s_and_saveexec_b64 s[4:5], vcc
	s_cbranch_execz .LBB124_551
; %bb.547:
	buffer_load_dword v4, off, s[0:3], 0 offset:344
	buffer_load_dword v5, off, s[0:3], 0 offset:348
	;; [unrolled: 1-line block ×4, first 2 shown]
	s_movk_i32 s24, 0x160
	s_waitcnt vmcnt(2)
	v_mul_f64 v[12:13], v[2:3], v[4:5]
	v_mul_f64 v[4:5], v[0:1], v[4:5]
	s_waitcnt vmcnt(0)
	v_fma_f64 v[0:1], v[0:1], v[10:11], -v[12:13]
	v_fma_f64 v[2:3], v[2:3], v[10:11], v[4:5]
	buffer_store_dword v0, off, s[0:3], 0 offset:336
	buffer_store_dword v1, off, s[0:3], 0 offset:340
	buffer_store_dword v2, off, s[0:3], 0 offset:344
	buffer_store_dword v3, off, s[0:3], 0 offset:348
	s_branch .LBB124_549
.LBB124_548:                            ;   in Loop: Header=BB124_549 Depth=1
	s_andn2_b64 vcc, exec, s[18:19]
	s_cbranch_vccz .LBB124_551
.LBB124_549:                            ; =>This Inner Loop Header: Depth=1
	v_mov_b32_e32 v5, s24
	buffer_load_dword v20, v5, s[0:3], 0 offen
	buffer_load_dword v21, v5, s[0:3], 0 offen offset:4
	buffer_load_dword v22, v5, s[0:3], 0 offen offset:8
	buffer_load_dword v23, v5, s[0:3], 0 offen offset:12
	v_add_u32_e32 v4, s24, v16
	ds_read2_b64 v[10:13], v4 offset1:1
	s_mov_b32 s16, s24
	s_cmpk_eq_i32 s24, 0x3e0
	s_mov_b64 s[18:19], -1
	s_waitcnt vmcnt(4) lgkmcnt(0)
	v_mul_f64 v[24:25], v[12:13], v[2:3]
	v_mul_f64 v[2:3], v[10:11], v[2:3]
	v_fma_f64 v[10:11], v[10:11], v[0:1], -v[24:25]
	v_fma_f64 v[0:1], v[12:13], v[0:1], v[2:3]
	s_waitcnt vmcnt(2)
	v_add_f64 v[2:3], v[20:21], -v[10:11]
	s_waitcnt vmcnt(0)
	v_add_f64 v[0:1], v[22:23], -v[0:1]
	buffer_store_dword v2, v5, s[0:3], 0 offen
	buffer_store_dword v3, v5, s[0:3], 0 offen offset:4
	buffer_store_dword v0, v5, s[0:3], 0 offen offset:8
	;; [unrolled: 1-line block ×3, first 2 shown]
                                        ; implicit-def: $vgpr0_vgpr1
                                        ; implicit-def: $vgpr2_vgpr3
	s_cbranch_scc1 .LBB124_548
; %bb.550:                              ;   in Loop: Header=BB124_549 Depth=1
	buffer_load_dword v20, off, s[0:3], 0 offset:344
	buffer_load_dword v21, off, s[0:3], 0 offset:348
	;; [unrolled: 1-line block ×4, first 2 shown]
	v_mov_b32_e32 v30, s16
	buffer_load_dword v24, v30, s[0:3], 0 offen offset:16
	buffer_load_dword v25, v30, s[0:3], 0 offen offset:20
	;; [unrolled: 1-line block ×4, first 2 shown]
	ds_read2_b64 v[0:3], v4 offset0:2 offset1:3
	ds_read2_b64 v[10:13], v4 offset0:4 offset1:5
	s_add_i32 s24, s24, 64
	s_mov_b64 s[18:19], 0
	s_waitcnt vmcnt(6) lgkmcnt(1)
	v_mul_f64 v[28:29], v[2:3], v[20:21]
	v_mul_f64 v[20:21], v[0:1], v[20:21]
	s_waitcnt vmcnt(4)
	v_fma_f64 v[0:1], v[0:1], v[22:23], -v[28:29]
	v_fma_f64 v[2:3], v[2:3], v[22:23], v[20:21]
	s_waitcnt vmcnt(2)
	v_add_f64 v[0:1], v[24:25], -v[0:1]
	s_waitcnt vmcnt(0)
	v_add_f64 v[2:3], v[26:27], -v[2:3]
	buffer_store_dword v1, v30, s[0:3], 0 offen offset:20
	buffer_store_dword v0, v30, s[0:3], 0 offen offset:16
	;; [unrolled: 1-line block ×4, first 2 shown]
	buffer_load_dword v1, v30, s[0:3], 0 offen offset:36
	s_nop 0
	buffer_load_dword v2, v30, s[0:3], 0 offen offset:40
	buffer_load_dword v3, v30, s[0:3], 0 offen offset:44
	buffer_load_dword v21, off, s[0:3], 0 offset:348
	buffer_load_dword v20, off, s[0:3], 0 offset:344
	;; [unrolled: 1-line block ×4, first 2 shown]
	buffer_load_dword v0, v30, s[0:3], 0 offen offset:32
	s_waitcnt vmcnt(3) lgkmcnt(0)
	v_mul_f64 v[24:25], v[12:13], v[20:21]
	v_mul_f64 v[20:21], v[10:11], v[20:21]
	s_waitcnt vmcnt(1)
	v_fma_f64 v[10:11], v[10:11], v[22:23], -v[24:25]
	v_fma_f64 v[12:13], v[12:13], v[22:23], v[20:21]
	s_waitcnt vmcnt(0)
	v_add_f64 v[0:1], v[0:1], -v[10:11]
	v_add_f64 v[2:3], v[2:3], -v[12:13]
	buffer_store_dword v1, v30, s[0:3], 0 offen offset:36
	buffer_store_dword v0, v30, s[0:3], 0 offen offset:32
	;; [unrolled: 1-line block ×4, first 2 shown]
	buffer_load_dword v11, v30, s[0:3], 0 offen offset:52
	buffer_load_dword v12, v30, s[0:3], 0 offen offset:56
	;; [unrolled: 1-line block ×3, first 2 shown]
	buffer_load_dword v20, off, s[0:3], 0 offset:344
	buffer_load_dword v21, off, s[0:3], 0 offset:348
	;; [unrolled: 1-line block ×4, first 2 shown]
	buffer_load_dword v10, v30, s[0:3], 0 offen offset:48
	ds_read2_b64 v[0:3], v4 offset0:6 offset1:7
	s_waitcnt vmcnt(3) lgkmcnt(0)
	v_mul_f64 v[4:5], v[2:3], v[20:21]
	v_mul_f64 v[20:21], v[0:1], v[20:21]
	s_waitcnt vmcnt(1)
	v_fma_f64 v[0:1], v[0:1], v[22:23], -v[4:5]
	v_fma_f64 v[2:3], v[2:3], v[22:23], v[20:21]
	s_waitcnt vmcnt(0)
	v_add_f64 v[0:1], v[10:11], -v[0:1]
	v_add_f64 v[2:3], v[12:13], -v[2:3]
	buffer_store_dword v1, v30, s[0:3], 0 offen offset:52
	buffer_store_dword v0, v30, s[0:3], 0 offen offset:48
	;; [unrolled: 1-line block ×4, first 2 shown]
	buffer_load_dword v0, off, s[0:3], 0 offset:336
	s_nop 0
	buffer_load_dword v1, off, s[0:3], 0 offset:340
	buffer_load_dword v2, off, s[0:3], 0 offset:344
	;; [unrolled: 1-line block ×3, first 2 shown]
	s_branch .LBB124_548
.LBB124_551:
	s_or_b64 exec, exec, s[4:5]
	s_waitcnt vmcnt(0)
	v_mov_b32_e32 v3, s66
	s_barrier
	buffer_load_dword v0, v3, s[0:3], 0 offen
	buffer_load_dword v1, v3, s[0:3], 0 offen offset:4
	buffer_load_dword v2, v3, s[0:3], 0 offen offset:8
	s_nop 0
	buffer_load_dword v3, v3, s[0:3], 0 offen offset:12
	v_lshl_add_u32 v4, v19, 4, v16
	s_cmp_lt_i32 s65, 24
	s_waitcnt vmcnt(0)
	ds_write2_b64 v4, v[0:1], v[2:3] offset1:1
	s_waitcnt lgkmcnt(0)
	s_barrier
	ds_read2_b64 v[0:3], v16 offset0:44 offset1:45
	v_mov_b32_e32 v4, 22
	s_cbranch_scc1 .LBB124_554
; %bb.552:
	v_add_u32_e32 v5, 0x170, v16
	s_mov_b32 s16, 23
	v_mov_b32_e32 v4, 22
.LBB124_553:                            ; =>This Inner Loop Header: Depth=1
	s_waitcnt lgkmcnt(0)
	v_cmp_gt_f64_e32 vcc, 0, v[2:3]
	v_cmp_gt_f64_e64 s[4:5], 0, v[0:1]
	ds_read2_b64 v[10:13], v5 offset1:1
	v_xor_b32_e32 v21, 0x80000000, v1
	v_xor_b32_e32 v23, 0x80000000, v3
	v_mov_b32_e32 v20, v0
	v_mov_b32_e32 v22, v2
	s_waitcnt lgkmcnt(0)
	v_xor_b32_e32 v25, 0x80000000, v13
	v_cndmask_b32_e32 v23, v3, v23, vcc
	v_cndmask_b32_e64 v21, v1, v21, s[4:5]
	v_cmp_gt_f64_e32 vcc, 0, v[12:13]
	v_cmp_gt_f64_e64 s[4:5], 0, v[10:11]
	v_add_f64 v[20:21], v[20:21], v[22:23]
	v_xor_b32_e32 v23, 0x80000000, v11
	v_mov_b32_e32 v22, v10
	v_mov_b32_e32 v24, v12
	v_add_u32_e32 v5, 16, v5
	v_cndmask_b32_e32 v25, v13, v25, vcc
	v_cndmask_b32_e64 v23, v11, v23, s[4:5]
	v_add_f64 v[22:23], v[22:23], v[24:25]
	v_mov_b32_e32 v24, s16
	s_add_i32 s16, s16, 1
	s_cmp_lg_u32 s65, s16
	v_cmp_lt_f64_e32 vcc, v[20:21], v[22:23]
	v_cndmask_b32_e32 v1, v1, v11, vcc
	v_cndmask_b32_e32 v0, v0, v10, vcc
	;; [unrolled: 1-line block ×5, first 2 shown]
	s_cbranch_scc1 .LBB124_553
.LBB124_554:
	s_waitcnt lgkmcnt(0)
	v_cmp_eq_f64_e32 vcc, 0, v[0:1]
	v_cmp_eq_f64_e64 s[4:5], 0, v[2:3]
	s_and_b64 s[4:5], vcc, s[4:5]
	s_and_saveexec_b64 s[16:17], s[4:5]
	s_xor_b64 s[4:5], exec, s[16:17]
; %bb.555:
	v_cmp_ne_u32_e32 vcc, 0, v17
	v_cndmask_b32_e32 v17, 23, v17, vcc
; %bb.556:
	s_andn2_saveexec_b64 s[4:5], s[4:5]
	s_cbranch_execz .LBB124_562
; %bb.557:
	v_cmp_ngt_f64_e64 s[16:17], |v[0:1]|, |v[2:3]|
	s_and_saveexec_b64 s[18:19], s[16:17]
	s_xor_b64 s[18:19], exec, s[18:19]
	s_cbranch_execz .LBB124_559
; %bb.558:
	v_div_scale_f64 v[10:11], s[16:17], v[2:3], v[2:3], v[0:1]
	v_rcp_f64_e32 v[12:13], v[10:11]
	v_fma_f64 v[20:21], -v[10:11], v[12:13], 1.0
	v_fma_f64 v[12:13], v[12:13], v[20:21], v[12:13]
	v_div_scale_f64 v[20:21], vcc, v[0:1], v[2:3], v[0:1]
	v_fma_f64 v[22:23], -v[10:11], v[12:13], 1.0
	v_fma_f64 v[12:13], v[12:13], v[22:23], v[12:13]
	v_mul_f64 v[22:23], v[20:21], v[12:13]
	v_fma_f64 v[10:11], -v[10:11], v[22:23], v[20:21]
	v_div_fmas_f64 v[10:11], v[10:11], v[12:13], v[22:23]
	v_div_fixup_f64 v[10:11], v[10:11], v[2:3], v[0:1]
	v_fma_f64 v[0:1], v[0:1], v[10:11], v[2:3]
	v_div_scale_f64 v[2:3], s[16:17], v[0:1], v[0:1], 1.0
	v_div_scale_f64 v[22:23], vcc, 1.0, v[0:1], 1.0
	v_rcp_f64_e32 v[12:13], v[2:3]
	v_fma_f64 v[20:21], -v[2:3], v[12:13], 1.0
	v_fma_f64 v[12:13], v[12:13], v[20:21], v[12:13]
	v_fma_f64 v[20:21], -v[2:3], v[12:13], 1.0
	v_fma_f64 v[12:13], v[12:13], v[20:21], v[12:13]
	v_mul_f64 v[20:21], v[22:23], v[12:13]
	v_fma_f64 v[2:3], -v[2:3], v[20:21], v[22:23]
	v_div_fmas_f64 v[2:3], v[2:3], v[12:13], v[20:21]
	v_div_fixup_f64 v[2:3], v[2:3], v[0:1], 1.0
	v_mul_f64 v[0:1], v[10:11], v[2:3]
	v_xor_b32_e32 v3, 0x80000000, v3
.LBB124_559:
	s_andn2_saveexec_b64 s[18:19], s[18:19]
	s_cbranch_execz .LBB124_561
; %bb.560:
	v_div_scale_f64 v[10:11], s[16:17], v[0:1], v[0:1], v[2:3]
	v_rcp_f64_e32 v[12:13], v[10:11]
	v_fma_f64 v[20:21], -v[10:11], v[12:13], 1.0
	v_fma_f64 v[12:13], v[12:13], v[20:21], v[12:13]
	v_div_scale_f64 v[20:21], vcc, v[2:3], v[0:1], v[2:3]
	v_fma_f64 v[22:23], -v[10:11], v[12:13], 1.0
	v_fma_f64 v[12:13], v[12:13], v[22:23], v[12:13]
	v_mul_f64 v[22:23], v[20:21], v[12:13]
	v_fma_f64 v[10:11], -v[10:11], v[22:23], v[20:21]
	v_div_fmas_f64 v[10:11], v[10:11], v[12:13], v[22:23]
	v_div_fixup_f64 v[10:11], v[10:11], v[0:1], v[2:3]
	v_fma_f64 v[0:1], v[2:3], v[10:11], v[0:1]
	v_div_scale_f64 v[2:3], s[16:17], v[0:1], v[0:1], 1.0
	v_div_scale_f64 v[22:23], vcc, 1.0, v[0:1], 1.0
	v_rcp_f64_e32 v[12:13], v[2:3]
	v_fma_f64 v[20:21], -v[2:3], v[12:13], 1.0
	v_fma_f64 v[12:13], v[12:13], v[20:21], v[12:13]
	v_fma_f64 v[20:21], -v[2:3], v[12:13], 1.0
	v_fma_f64 v[12:13], v[12:13], v[20:21], v[12:13]
	v_mul_f64 v[20:21], v[22:23], v[12:13]
	v_fma_f64 v[2:3], -v[2:3], v[20:21], v[22:23]
	v_div_fmas_f64 v[2:3], v[2:3], v[12:13], v[20:21]
	v_div_fixup_f64 v[0:1], v[2:3], v[0:1], 1.0
	v_mul_f64 v[2:3], v[10:11], -v[0:1]
.LBB124_561:
	s_or_b64 exec, exec, s[18:19]
.LBB124_562:
	s_or_b64 exec, exec, s[4:5]
	v_cmp_ne_u32_e32 vcc, v19, v4
	s_and_saveexec_b64 s[4:5], vcc
	s_xor_b64 s[4:5], exec, s[4:5]
	s_cbranch_execz .LBB124_568
; %bb.563:
	v_cmp_eq_u32_e32 vcc, 22, v19
	s_and_saveexec_b64 s[18:19], vcc
	s_cbranch_execz .LBB124_567
; %bb.564:
	v_cmp_ne_u32_e32 vcc, 22, v4
	s_xor_b64 s[16:17], s[10:11], -1
	s_and_b64 s[16:17], s[16:17], vcc
	s_and_saveexec_b64 s[24:25], s[16:17]
	s_cbranch_execz .LBB124_566
; %bb.565:
	v_ashrrev_i32_e32 v5, 31, v4
	v_lshlrev_b64 v[10:11], 2, v[4:5]
	v_add_co_u32_e32 v10, vcc, v8, v10
	v_addc_co_u32_e32 v11, vcc, v9, v11, vcc
	global_load_dword v5, v[10:11], off
	global_load_dword v12, v[8:9], off offset:88
	s_waitcnt vmcnt(1)
	global_store_dword v[8:9], v5, off offset:88
	s_waitcnt vmcnt(1)
	global_store_dword v[10:11], v12, off
.LBB124_566:
	s_or_b64 exec, exec, s[24:25]
	v_mov_b32_e32 v19, v4
	v_mov_b32_e32 v18, v4
.LBB124_567:
	s_or_b64 exec, exec, s[18:19]
.LBB124_568:
	s_andn2_saveexec_b64 s[4:5], s[4:5]
	s_cbranch_execz .LBB124_572
; %bb.569:
	s_movk_i32 s16, 0x170
.LBB124_570:                            ; =>This Inner Loop Header: Depth=1
	v_mov_b32_e32 v52, s16
	buffer_load_dword v4, v52, s[0:3], 0 offen
	buffer_load_dword v5, v52, s[0:3], 0 offen offset:4
	buffer_load_dword v10, v52, s[0:3], 0 offen offset:8
	;; [unrolled: 1-line block ×38, first 2 shown]
	s_nop 0
	buffer_load_dword v52, v52, s[0:3], 0 offen offset:156
	v_add_u32_e32 v53, s16, v16
	s_addk_i32 s16, 0xa0
	s_cmpk_eq_i32 s16, 0x3f0
	s_waitcnt vmcnt(36)
	ds_write2_b64 v53, v[4:5], v[10:11] offset1:1
	s_waitcnt vmcnt(32)
	ds_write2_b64 v53, v[12:13], v[19:20] offset0:2 offset1:3
	s_waitcnt vmcnt(28)
	ds_write2_b64 v53, v[21:22], v[23:24] offset0:4 offset1:5
	;; [unrolled: 2-line block ×4, first 2 shown]
	ds_write2_b64 v53, v[33:34], v[31:32] offset0:10 offset1:11
	s_waitcnt vmcnt(8)
	ds_write2_b64 v53, v[43:44], v[37:38] offset0:12 offset1:13
	ds_write2_b64 v53, v[41:42], v[39:40] offset0:14 offset1:15
	s_waitcnt vmcnt(4)
	ds_write2_b64 v53, v[45:46], v[47:48] offset0:16 offset1:17
	s_waitcnt vmcnt(0)
	ds_write2_b64 v53, v[49:50], v[51:52] offset0:18 offset1:19
	s_cbranch_scc0 .LBB124_570
; %bb.571:
	v_mov_b32_e32 v19, 22
.LBB124_572:
	s_or_b64 exec, exec, s[4:5]
	v_cmp_lt_i32_e32 vcc, 22, v19
	s_waitcnt vmcnt(0) lgkmcnt(0)
	s_barrier
	s_and_saveexec_b64 s[4:5], vcc
	s_cbranch_execz .LBB124_575
; %bb.573:
	buffer_load_dword v4, off, s[0:3], 0 offset:360
	buffer_load_dword v5, off, s[0:3], 0 offset:364
	;; [unrolled: 1-line block ×4, first 2 shown]
	s_movk_i32 s18, 0x170
	s_waitcnt vmcnt(2)
	v_mul_f64 v[12:13], v[2:3], v[4:5]
	v_mul_f64 v[4:5], v[0:1], v[4:5]
	s_waitcnt vmcnt(0)
	v_fma_f64 v[0:1], v[0:1], v[10:11], -v[12:13]
	v_fma_f64 v[2:3], v[2:3], v[10:11], v[4:5]
	buffer_store_dword v0, off, s[0:3], 0 offset:352
	buffer_store_dword v1, off, s[0:3], 0 offset:356
	buffer_store_dword v2, off, s[0:3], 0 offset:360
	buffer_store_dword v3, off, s[0:3], 0 offset:364
.LBB124_574:                            ; =>This Inner Loop Header: Depth=1
	buffer_load_dword v4, off, s[0:3], 0 offset:360
	buffer_load_dword v5, off, s[0:3], 0 offset:364
	;; [unrolled: 1-line block ×4, first 2 shown]
	v_mov_b32_e32 v32, s18
	buffer_load_dword v22, v32, s[0:3], 0 offen
	buffer_load_dword v23, v32, s[0:3], 0 offen offset:4
	buffer_load_dword v24, v32, s[0:3], 0 offen offset:8
	;; [unrolled: 1-line block ×3, first 2 shown]
	v_add_u32_e32 v33, s18, v16
	ds_read2_b64 v[0:3], v33 offset1:1
	buffer_load_dword v26, v32, s[0:3], 0 offen offset:16
	buffer_load_dword v27, v32, s[0:3], 0 offen offset:20
	buffer_load_dword v28, v32, s[0:3], 0 offen offset:24
	buffer_load_dword v29, v32, s[0:3], 0 offen offset:28
	ds_read2_b64 v[10:13], v33 offset0:2 offset1:3
	s_addk_i32 s18, 0x50
	s_cmpk_lg_i32 s18, 0x3f0
	s_waitcnt vmcnt(10) lgkmcnt(1)
	v_mul_f64 v[30:31], v[2:3], v[4:5]
	v_mul_f64 v[4:5], v[0:1], v[4:5]
	s_waitcnt vmcnt(8)
	v_fma_f64 v[0:1], v[0:1], v[20:21], -v[30:31]
	v_fma_f64 v[2:3], v[2:3], v[20:21], v[4:5]
	s_waitcnt vmcnt(6)
	v_add_f64 v[0:1], v[22:23], -v[0:1]
	s_waitcnt vmcnt(4)
	v_add_f64 v[2:3], v[24:25], -v[2:3]
	buffer_store_dword v1, v32, s[0:3], 0 offen offset:4
	buffer_store_dword v0, v32, s[0:3], 0 offen
	buffer_store_dword v3, v32, s[0:3], 0 offen offset:12
	buffer_store_dword v2, v32, s[0:3], 0 offen offset:8
	buffer_load_dword v1, off, s[0:3], 0 offset:364
	s_nop 0
	buffer_load_dword v0, off, s[0:3], 0 offset:360
	buffer_load_dword v3, off, s[0:3], 0 offset:356
	;; [unrolled: 1-line block ×3, first 2 shown]
	buffer_load_dword v4, v32, s[0:3], 0 offen offset:32
	buffer_load_dword v5, v32, s[0:3], 0 offen offset:36
	;; [unrolled: 1-line block ×4, first 2 shown]
	s_waitcnt vmcnt(6) lgkmcnt(0)
	v_mul_f64 v[22:23], v[12:13], v[0:1]
	v_mul_f64 v[0:1], v[10:11], v[0:1]
	s_waitcnt vmcnt(4)
	v_fma_f64 v[10:11], v[10:11], v[2:3], -v[22:23]
	v_fma_f64 v[0:1], v[12:13], v[2:3], v[0:1]
	v_add_f64 v[2:3], v[26:27], -v[10:11]
	v_add_f64 v[0:1], v[28:29], -v[0:1]
	buffer_store_dword v3, v32, s[0:3], 0 offen offset:20
	buffer_store_dword v2, v32, s[0:3], 0 offen offset:16
	;; [unrolled: 1-line block ×4, first 2 shown]
	buffer_load_dword v22, off, s[0:3], 0 offset:360
	buffer_load_dword v23, off, s[0:3], 0 offset:364
	;; [unrolled: 1-line block ×4, first 2 shown]
	ds_read2_b64 v[0:3], v33 offset0:4 offset1:5
	ds_read2_b64 v[10:13], v33 offset0:6 offset1:7
	s_waitcnt vmcnt(2) lgkmcnt(1)
	v_mul_f64 v[26:27], v[2:3], v[22:23]
	v_mul_f64 v[22:23], v[0:1], v[22:23]
	s_waitcnt vmcnt(0)
	v_fma_f64 v[0:1], v[0:1], v[24:25], -v[26:27]
	v_fma_f64 v[2:3], v[2:3], v[24:25], v[22:23]
	v_add_f64 v[0:1], v[4:5], -v[0:1]
	v_add_f64 v[2:3], v[20:21], -v[2:3]
	buffer_store_dword v1, v32, s[0:3], 0 offen offset:36
	buffer_store_dword v0, v32, s[0:3], 0 offen offset:32
	;; [unrolled: 1-line block ×4, first 2 shown]
	buffer_load_dword v0, off, s[0:3], 0 offset:360
	s_nop 0
	buffer_load_dword v1, off, s[0:3], 0 offset:364
	buffer_load_dword v2, off, s[0:3], 0 offset:352
	;; [unrolled: 1-line block ×3, first 2 shown]
	buffer_load_dword v4, v32, s[0:3], 0 offen offset:48
	buffer_load_dword v5, v32, s[0:3], 0 offen offset:52
	;; [unrolled: 1-line block ×4, first 2 shown]
	s_waitcnt vmcnt(6) lgkmcnt(0)
	v_mul_f64 v[22:23], v[12:13], v[0:1]
	v_mul_f64 v[0:1], v[10:11], v[0:1]
	s_waitcnt vmcnt(4)
	v_fma_f64 v[10:11], v[10:11], v[2:3], -v[22:23]
	v_fma_f64 v[0:1], v[12:13], v[2:3], v[0:1]
	s_waitcnt vmcnt(2)
	v_add_f64 v[2:3], v[4:5], -v[10:11]
	s_waitcnt vmcnt(0)
	v_add_f64 v[0:1], v[20:21], -v[0:1]
	buffer_store_dword v3, v32, s[0:3], 0 offen offset:52
	buffer_store_dword v2, v32, s[0:3], 0 offen offset:48
	;; [unrolled: 1-line block ×4, first 2 shown]
	buffer_load_dword v4, off, s[0:3], 0 offset:360
	buffer_load_dword v5, off, s[0:3], 0 offset:364
	buffer_load_dword v10, off, s[0:3], 0 offset:352
	buffer_load_dword v11, off, s[0:3], 0 offset:356
	buffer_load_dword v12, v32, s[0:3], 0 offen offset:64
	buffer_load_dword v13, v32, s[0:3], 0 offen offset:68
	;; [unrolled: 1-line block ×4, first 2 shown]
	ds_read2_b64 v[0:3], v33 offset0:8 offset1:9
	s_waitcnt vmcnt(6) lgkmcnt(0)
	v_mul_f64 v[22:23], v[2:3], v[4:5]
	v_mul_f64 v[4:5], v[0:1], v[4:5]
	s_waitcnt vmcnt(4)
	v_fma_f64 v[0:1], v[0:1], v[10:11], -v[22:23]
	v_fma_f64 v[2:3], v[2:3], v[10:11], v[4:5]
	s_waitcnt vmcnt(2)
	v_add_f64 v[0:1], v[12:13], -v[0:1]
	s_waitcnt vmcnt(0)
	v_add_f64 v[2:3], v[20:21], -v[2:3]
	buffer_store_dword v1, v32, s[0:3], 0 offen offset:68
	buffer_store_dword v0, v32, s[0:3], 0 offen offset:64
	;; [unrolled: 1-line block ×4, first 2 shown]
	s_cbranch_scc1 .LBB124_574
.LBB124_575:
	s_or_b64 exec, exec, s[4:5]
	v_mov_b32_e32 v3, s64
	s_waitcnt vmcnt(0)
	s_barrier
	buffer_load_dword v0, v3, s[0:3], 0 offen
	buffer_load_dword v1, v3, s[0:3], 0 offen offset:4
	buffer_load_dword v2, v3, s[0:3], 0 offen offset:8
	s_nop 0
	buffer_load_dword v3, v3, s[0:3], 0 offen offset:12
	v_lshl_add_u32 v4, v19, 4, v16
	s_cmp_lt_i32 s65, 25
	s_waitcnt vmcnt(0)
	ds_write2_b64 v4, v[0:1], v[2:3] offset1:1
	s_waitcnt lgkmcnt(0)
	s_barrier
	ds_read2_b64 v[0:3], v16 offset0:46 offset1:47
	v_mov_b32_e32 v4, 23
	s_cbranch_scc1 .LBB124_578
; %bb.576:
	v_add_u32_e32 v5, 0x180, v16
	s_mov_b32 s16, 24
	v_mov_b32_e32 v4, 23
.LBB124_577:                            ; =>This Inner Loop Header: Depth=1
	s_waitcnt lgkmcnt(0)
	v_cmp_gt_f64_e32 vcc, 0, v[2:3]
	v_cmp_gt_f64_e64 s[4:5], 0, v[0:1]
	ds_read2_b64 v[10:13], v5 offset1:1
	v_xor_b32_e32 v21, 0x80000000, v1
	v_xor_b32_e32 v23, 0x80000000, v3
	v_mov_b32_e32 v20, v0
	v_mov_b32_e32 v22, v2
	s_waitcnt lgkmcnt(0)
	v_xor_b32_e32 v25, 0x80000000, v13
	v_cndmask_b32_e32 v23, v3, v23, vcc
	v_cndmask_b32_e64 v21, v1, v21, s[4:5]
	v_cmp_gt_f64_e32 vcc, 0, v[12:13]
	v_cmp_gt_f64_e64 s[4:5], 0, v[10:11]
	v_add_f64 v[20:21], v[20:21], v[22:23]
	v_xor_b32_e32 v23, 0x80000000, v11
	v_mov_b32_e32 v22, v10
	v_mov_b32_e32 v24, v12
	v_add_u32_e32 v5, 16, v5
	v_cndmask_b32_e32 v25, v13, v25, vcc
	v_cndmask_b32_e64 v23, v11, v23, s[4:5]
	v_add_f64 v[22:23], v[22:23], v[24:25]
	v_mov_b32_e32 v24, s16
	s_add_i32 s16, s16, 1
	s_cmp_lg_u32 s65, s16
	v_cmp_lt_f64_e32 vcc, v[20:21], v[22:23]
	v_cndmask_b32_e32 v1, v1, v11, vcc
	v_cndmask_b32_e32 v0, v0, v10, vcc
	;; [unrolled: 1-line block ×5, first 2 shown]
	s_cbranch_scc1 .LBB124_577
.LBB124_578:
	s_waitcnt lgkmcnt(0)
	v_cmp_eq_f64_e32 vcc, 0, v[0:1]
	v_cmp_eq_f64_e64 s[4:5], 0, v[2:3]
	s_and_b64 s[4:5], vcc, s[4:5]
	s_and_saveexec_b64 s[16:17], s[4:5]
	s_xor_b64 s[4:5], exec, s[16:17]
; %bb.579:
	v_cmp_ne_u32_e32 vcc, 0, v17
	v_cndmask_b32_e32 v17, 24, v17, vcc
; %bb.580:
	s_andn2_saveexec_b64 s[4:5], s[4:5]
	s_cbranch_execz .LBB124_586
; %bb.581:
	v_cmp_ngt_f64_e64 s[16:17], |v[0:1]|, |v[2:3]|
	s_and_saveexec_b64 s[18:19], s[16:17]
	s_xor_b64 s[18:19], exec, s[18:19]
	s_cbranch_execz .LBB124_583
; %bb.582:
	v_div_scale_f64 v[10:11], s[16:17], v[2:3], v[2:3], v[0:1]
	v_rcp_f64_e32 v[12:13], v[10:11]
	v_fma_f64 v[20:21], -v[10:11], v[12:13], 1.0
	v_fma_f64 v[12:13], v[12:13], v[20:21], v[12:13]
	v_div_scale_f64 v[20:21], vcc, v[0:1], v[2:3], v[0:1]
	v_fma_f64 v[22:23], -v[10:11], v[12:13], 1.0
	v_fma_f64 v[12:13], v[12:13], v[22:23], v[12:13]
	v_mul_f64 v[22:23], v[20:21], v[12:13]
	v_fma_f64 v[10:11], -v[10:11], v[22:23], v[20:21]
	v_div_fmas_f64 v[10:11], v[10:11], v[12:13], v[22:23]
	v_div_fixup_f64 v[10:11], v[10:11], v[2:3], v[0:1]
	v_fma_f64 v[0:1], v[0:1], v[10:11], v[2:3]
	v_div_scale_f64 v[2:3], s[16:17], v[0:1], v[0:1], 1.0
	v_div_scale_f64 v[22:23], vcc, 1.0, v[0:1], 1.0
	v_rcp_f64_e32 v[12:13], v[2:3]
	v_fma_f64 v[20:21], -v[2:3], v[12:13], 1.0
	v_fma_f64 v[12:13], v[12:13], v[20:21], v[12:13]
	v_fma_f64 v[20:21], -v[2:3], v[12:13], 1.0
	v_fma_f64 v[12:13], v[12:13], v[20:21], v[12:13]
	v_mul_f64 v[20:21], v[22:23], v[12:13]
	v_fma_f64 v[2:3], -v[2:3], v[20:21], v[22:23]
	v_div_fmas_f64 v[2:3], v[2:3], v[12:13], v[20:21]
	v_div_fixup_f64 v[2:3], v[2:3], v[0:1], 1.0
	v_mul_f64 v[0:1], v[10:11], v[2:3]
	v_xor_b32_e32 v3, 0x80000000, v3
.LBB124_583:
	s_andn2_saveexec_b64 s[18:19], s[18:19]
	s_cbranch_execz .LBB124_585
; %bb.584:
	v_div_scale_f64 v[10:11], s[16:17], v[0:1], v[0:1], v[2:3]
	v_rcp_f64_e32 v[12:13], v[10:11]
	v_fma_f64 v[20:21], -v[10:11], v[12:13], 1.0
	v_fma_f64 v[12:13], v[12:13], v[20:21], v[12:13]
	v_div_scale_f64 v[20:21], vcc, v[2:3], v[0:1], v[2:3]
	v_fma_f64 v[22:23], -v[10:11], v[12:13], 1.0
	v_fma_f64 v[12:13], v[12:13], v[22:23], v[12:13]
	v_mul_f64 v[22:23], v[20:21], v[12:13]
	v_fma_f64 v[10:11], -v[10:11], v[22:23], v[20:21]
	v_div_fmas_f64 v[10:11], v[10:11], v[12:13], v[22:23]
	v_div_fixup_f64 v[10:11], v[10:11], v[0:1], v[2:3]
	v_fma_f64 v[0:1], v[2:3], v[10:11], v[0:1]
	v_div_scale_f64 v[2:3], s[16:17], v[0:1], v[0:1], 1.0
	v_div_scale_f64 v[22:23], vcc, 1.0, v[0:1], 1.0
	v_rcp_f64_e32 v[12:13], v[2:3]
	v_fma_f64 v[20:21], -v[2:3], v[12:13], 1.0
	v_fma_f64 v[12:13], v[12:13], v[20:21], v[12:13]
	v_fma_f64 v[20:21], -v[2:3], v[12:13], 1.0
	v_fma_f64 v[12:13], v[12:13], v[20:21], v[12:13]
	v_mul_f64 v[20:21], v[22:23], v[12:13]
	v_fma_f64 v[2:3], -v[2:3], v[20:21], v[22:23]
	v_div_fmas_f64 v[2:3], v[2:3], v[12:13], v[20:21]
	v_div_fixup_f64 v[0:1], v[2:3], v[0:1], 1.0
	v_mul_f64 v[2:3], v[10:11], -v[0:1]
.LBB124_585:
	s_or_b64 exec, exec, s[18:19]
.LBB124_586:
	s_or_b64 exec, exec, s[4:5]
	v_cmp_ne_u32_e32 vcc, v19, v4
	s_and_saveexec_b64 s[4:5], vcc
	s_xor_b64 s[4:5], exec, s[4:5]
	s_cbranch_execz .LBB124_592
; %bb.587:
	v_cmp_eq_u32_e32 vcc, 23, v19
	s_and_saveexec_b64 s[18:19], vcc
	s_cbranch_execz .LBB124_591
; %bb.588:
	v_cmp_ne_u32_e32 vcc, 23, v4
	s_xor_b64 s[16:17], s[10:11], -1
	s_and_b64 s[16:17], s[16:17], vcc
	s_and_saveexec_b64 s[24:25], s[16:17]
	s_cbranch_execz .LBB124_590
; %bb.589:
	v_ashrrev_i32_e32 v5, 31, v4
	v_lshlrev_b64 v[10:11], 2, v[4:5]
	v_add_co_u32_e32 v10, vcc, v8, v10
	v_addc_co_u32_e32 v11, vcc, v9, v11, vcc
	global_load_dword v5, v[10:11], off
	global_load_dword v12, v[8:9], off offset:92
	s_waitcnt vmcnt(1)
	global_store_dword v[8:9], v5, off offset:92
	s_waitcnt vmcnt(1)
	global_store_dword v[10:11], v12, off
.LBB124_590:
	s_or_b64 exec, exec, s[24:25]
	v_mov_b32_e32 v19, v4
	v_mov_b32_e32 v18, v4
.LBB124_591:
	s_or_b64 exec, exec, s[18:19]
.LBB124_592:
	s_andn2_saveexec_b64 s[4:5], s[4:5]
	s_cbranch_execz .LBB124_596
; %bb.593:
	s_movk_i32 s16, 0x180
.LBB124_594:                            ; =>This Inner Loop Header: Depth=1
	v_mov_b32_e32 v29, s16
	buffer_load_dword v4, v29, s[0:3], 0 offen
	buffer_load_dword v5, v29, s[0:3], 0 offen offset:4
	buffer_load_dword v10, v29, s[0:3], 0 offen offset:8
	buffer_load_dword v11, v29, s[0:3], 0 offen offset:12
	buffer_load_dword v12, v29, s[0:3], 0 offen offset:16
	buffer_load_dword v13, v29, s[0:3], 0 offen offset:20
	buffer_load_dword v19, v29, s[0:3], 0 offen offset:24
	buffer_load_dword v20, v29, s[0:3], 0 offen offset:28
	buffer_load_dword v21, v29, s[0:3], 0 offen offset:32
	buffer_load_dword v22, v29, s[0:3], 0 offen offset:36
	buffer_load_dword v23, v29, s[0:3], 0 offen offset:40
	buffer_load_dword v24, v29, s[0:3], 0 offen offset:44
	buffer_load_dword v25, v29, s[0:3], 0 offen offset:48
	buffer_load_dword v26, v29, s[0:3], 0 offen offset:52
	buffer_load_dword v27, v29, s[0:3], 0 offen offset:56
	buffer_load_dword v28, v29, s[0:3], 0 offen offset:60
	v_add_u32_e32 v30, s16, v16
	s_addk_i32 s16, 0xd0
	s_cmpk_eq_i32 s16, 0x3f0
	s_waitcnt vmcnt(12)
	ds_write2_b64 v30, v[4:5], v[10:11] offset1:1
	s_waitcnt vmcnt(8)
	ds_write2_b64 v30, v[12:13], v[19:20] offset0:2 offset1:3
	s_waitcnt vmcnt(4)
	ds_write2_b64 v30, v[21:22], v[23:24] offset0:4 offset1:5
	;; [unrolled: 2-line block ×3, first 2 shown]
	buffer_load_dword v5, v29, s[0:3], 0 offen offset:76
	buffer_load_dword v4, v29, s[0:3], 0 offen offset:72
	buffer_load_dword v11, v29, s[0:3], 0 offen offset:68
	buffer_load_dword v10, v29, s[0:3], 0 offen offset:64
	s_waitcnt vmcnt(0)
	ds_write2_b64 v30, v[10:11], v[4:5] offset0:8 offset1:9
	buffer_load_dword v5, v29, s[0:3], 0 offen offset:92
	buffer_load_dword v4, v29, s[0:3], 0 offen offset:88
	buffer_load_dword v11, v29, s[0:3], 0 offen offset:84
	buffer_load_dword v10, v29, s[0:3], 0 offen offset:80
	s_waitcnt vmcnt(0)
	ds_write2_b64 v30, v[10:11], v[4:5] offset0:10 offset1:11
	;; [unrolled: 6-line block ×9, first 2 shown]
	s_cbranch_scc0 .LBB124_594
; %bb.595:
	v_mov_b32_e32 v19, 23
.LBB124_596:
	s_or_b64 exec, exec, s[4:5]
	v_cmp_lt_i32_e32 vcc, 23, v19
	s_waitcnt vmcnt(0) lgkmcnt(0)
	s_barrier
	s_and_saveexec_b64 s[4:5], vcc
	s_cbranch_execz .LBB124_599
; %bb.597:
	buffer_load_dword v4, off, s[0:3], 0 offset:376
	buffer_load_dword v5, off, s[0:3], 0 offset:380
	;; [unrolled: 1-line block ×4, first 2 shown]
	s_movk_i32 s16, 0x180
	s_waitcnt vmcnt(2)
	v_mul_f64 v[12:13], v[2:3], v[4:5]
	v_mul_f64 v[4:5], v[0:1], v[4:5]
	s_waitcnt vmcnt(0)
	v_fma_f64 v[0:1], v[0:1], v[10:11], -v[12:13]
	v_fma_f64 v[2:3], v[2:3], v[10:11], v[4:5]
	buffer_store_dword v0, off, s[0:3], 0 offset:368
	buffer_store_dword v1, off, s[0:3], 0 offset:372
	;; [unrolled: 1-line block ×4, first 2 shown]
.LBB124_598:                            ; =>This Inner Loop Header: Depth=1
	buffer_load_dword v4, off, s[0:3], 0 offset:376
	buffer_load_dword v5, off, s[0:3], 0 offset:380
	;; [unrolled: 1-line block ×4, first 2 shown]
	v_mov_b32_e32 v32, s16
	buffer_load_dword v22, v32, s[0:3], 0 offen
	buffer_load_dword v23, v32, s[0:3], 0 offen offset:4
	buffer_load_dword v24, v32, s[0:3], 0 offen offset:8
	;; [unrolled: 1-line block ×3, first 2 shown]
	v_add_u32_e32 v33, s16, v16
	ds_read2_b64 v[0:3], v33 offset1:1
	buffer_load_dword v26, v32, s[0:3], 0 offen offset:16
	buffer_load_dword v27, v32, s[0:3], 0 offen offset:20
	;; [unrolled: 1-line block ×4, first 2 shown]
	ds_read2_b64 v[10:13], v33 offset0:2 offset1:3
	s_add_i32 s16, s16, 48
	s_cmpk_lg_i32 s16, 0x3f0
	s_waitcnt vmcnt(10) lgkmcnt(1)
	v_mul_f64 v[30:31], v[2:3], v[4:5]
	v_mul_f64 v[4:5], v[0:1], v[4:5]
	s_waitcnt vmcnt(8)
	v_fma_f64 v[0:1], v[0:1], v[20:21], -v[30:31]
	v_fma_f64 v[2:3], v[2:3], v[20:21], v[4:5]
	s_waitcnt vmcnt(6)
	v_add_f64 v[0:1], v[22:23], -v[0:1]
	s_waitcnt vmcnt(4)
	v_add_f64 v[2:3], v[24:25], -v[2:3]
	buffer_store_dword v1, v32, s[0:3], 0 offen offset:4
	buffer_store_dword v0, v32, s[0:3], 0 offen
	buffer_store_dword v3, v32, s[0:3], 0 offen offset:12
	buffer_store_dword v2, v32, s[0:3], 0 offen offset:8
	buffer_load_dword v1, off, s[0:3], 0 offset:380
	s_nop 0
	buffer_load_dword v0, off, s[0:3], 0 offset:376
	buffer_load_dword v3, off, s[0:3], 0 offset:372
	;; [unrolled: 1-line block ×3, first 2 shown]
	buffer_load_dword v4, v32, s[0:3], 0 offen offset:32
	buffer_load_dword v5, v32, s[0:3], 0 offen offset:36
	;; [unrolled: 1-line block ×4, first 2 shown]
	s_waitcnt vmcnt(6) lgkmcnt(0)
	v_mul_f64 v[22:23], v[12:13], v[0:1]
	v_mul_f64 v[0:1], v[10:11], v[0:1]
	s_waitcnt vmcnt(4)
	v_fma_f64 v[10:11], v[10:11], v[2:3], -v[22:23]
	v_fma_f64 v[0:1], v[12:13], v[2:3], v[0:1]
	v_add_f64 v[2:3], v[26:27], -v[10:11]
	v_add_f64 v[0:1], v[28:29], -v[0:1]
	buffer_store_dword v3, v32, s[0:3], 0 offen offset:20
	buffer_store_dword v2, v32, s[0:3], 0 offen offset:16
	;; [unrolled: 1-line block ×4, first 2 shown]
	buffer_load_dword v10, off, s[0:3], 0 offset:376
	buffer_load_dword v11, off, s[0:3], 0 offset:380
	;; [unrolled: 1-line block ×4, first 2 shown]
	ds_read2_b64 v[0:3], v33 offset0:4 offset1:5
	s_waitcnt vmcnt(2) lgkmcnt(0)
	v_mul_f64 v[22:23], v[2:3], v[10:11]
	v_mul_f64 v[10:11], v[0:1], v[10:11]
	s_waitcnt vmcnt(0)
	v_fma_f64 v[0:1], v[0:1], v[12:13], -v[22:23]
	v_fma_f64 v[2:3], v[2:3], v[12:13], v[10:11]
	v_add_f64 v[0:1], v[4:5], -v[0:1]
	v_add_f64 v[2:3], v[20:21], -v[2:3]
	buffer_store_dword v1, v32, s[0:3], 0 offen offset:36
	buffer_store_dword v0, v32, s[0:3], 0 offen offset:32
	;; [unrolled: 1-line block ×4, first 2 shown]
	s_cbranch_scc1 .LBB124_598
.LBB124_599:
	s_or_b64 exec, exec, s[4:5]
	v_mov_b32_e32 v3, s63
	s_waitcnt vmcnt(0)
	s_barrier
	buffer_load_dword v0, v3, s[0:3], 0 offen
	buffer_load_dword v1, v3, s[0:3], 0 offen offset:4
	buffer_load_dword v2, v3, s[0:3], 0 offen offset:8
	s_nop 0
	buffer_load_dword v3, v3, s[0:3], 0 offen offset:12
	v_lshl_add_u32 v4, v19, 4, v16
	s_cmp_lt_i32 s65, 26
	s_waitcnt vmcnt(0)
	ds_write2_b64 v4, v[0:1], v[2:3] offset1:1
	s_waitcnt lgkmcnt(0)
	s_barrier
	ds_read2_b64 v[0:3], v16 offset0:48 offset1:49
	v_mov_b32_e32 v4, 24
	s_cbranch_scc1 .LBB124_602
; %bb.600:
	v_add_u32_e32 v5, 0x190, v16
	s_mov_b32 s16, 25
	v_mov_b32_e32 v4, 24
.LBB124_601:                            ; =>This Inner Loop Header: Depth=1
	s_waitcnt lgkmcnt(0)
	v_cmp_gt_f64_e32 vcc, 0, v[2:3]
	v_cmp_gt_f64_e64 s[4:5], 0, v[0:1]
	ds_read2_b64 v[10:13], v5 offset1:1
	v_xor_b32_e32 v21, 0x80000000, v1
	v_xor_b32_e32 v23, 0x80000000, v3
	v_mov_b32_e32 v20, v0
	v_mov_b32_e32 v22, v2
	s_waitcnt lgkmcnt(0)
	v_xor_b32_e32 v25, 0x80000000, v13
	v_cndmask_b32_e32 v23, v3, v23, vcc
	v_cndmask_b32_e64 v21, v1, v21, s[4:5]
	v_cmp_gt_f64_e32 vcc, 0, v[12:13]
	v_cmp_gt_f64_e64 s[4:5], 0, v[10:11]
	v_add_f64 v[20:21], v[20:21], v[22:23]
	v_xor_b32_e32 v23, 0x80000000, v11
	v_mov_b32_e32 v22, v10
	v_mov_b32_e32 v24, v12
	v_add_u32_e32 v5, 16, v5
	v_cndmask_b32_e32 v25, v13, v25, vcc
	v_cndmask_b32_e64 v23, v11, v23, s[4:5]
	v_add_f64 v[22:23], v[22:23], v[24:25]
	v_mov_b32_e32 v24, s16
	s_add_i32 s16, s16, 1
	s_cmp_lg_u32 s65, s16
	v_cmp_lt_f64_e32 vcc, v[20:21], v[22:23]
	v_cndmask_b32_e32 v1, v1, v11, vcc
	v_cndmask_b32_e32 v0, v0, v10, vcc
	;; [unrolled: 1-line block ×5, first 2 shown]
	s_cbranch_scc1 .LBB124_601
.LBB124_602:
	s_waitcnt lgkmcnt(0)
	v_cmp_eq_f64_e32 vcc, 0, v[0:1]
	v_cmp_eq_f64_e64 s[4:5], 0, v[2:3]
	s_and_b64 s[4:5], vcc, s[4:5]
	s_and_saveexec_b64 s[16:17], s[4:5]
	s_xor_b64 s[4:5], exec, s[16:17]
; %bb.603:
	v_cmp_ne_u32_e32 vcc, 0, v17
	v_cndmask_b32_e32 v17, 25, v17, vcc
; %bb.604:
	s_andn2_saveexec_b64 s[4:5], s[4:5]
	s_cbranch_execz .LBB124_610
; %bb.605:
	v_cmp_ngt_f64_e64 s[16:17], |v[0:1]|, |v[2:3]|
	s_and_saveexec_b64 s[18:19], s[16:17]
	s_xor_b64 s[18:19], exec, s[18:19]
	s_cbranch_execz .LBB124_607
; %bb.606:
	v_div_scale_f64 v[10:11], s[16:17], v[2:3], v[2:3], v[0:1]
	v_rcp_f64_e32 v[12:13], v[10:11]
	v_fma_f64 v[20:21], -v[10:11], v[12:13], 1.0
	v_fma_f64 v[12:13], v[12:13], v[20:21], v[12:13]
	v_div_scale_f64 v[20:21], vcc, v[0:1], v[2:3], v[0:1]
	v_fma_f64 v[22:23], -v[10:11], v[12:13], 1.0
	v_fma_f64 v[12:13], v[12:13], v[22:23], v[12:13]
	v_mul_f64 v[22:23], v[20:21], v[12:13]
	v_fma_f64 v[10:11], -v[10:11], v[22:23], v[20:21]
	v_div_fmas_f64 v[10:11], v[10:11], v[12:13], v[22:23]
	v_div_fixup_f64 v[10:11], v[10:11], v[2:3], v[0:1]
	v_fma_f64 v[0:1], v[0:1], v[10:11], v[2:3]
	v_div_scale_f64 v[2:3], s[16:17], v[0:1], v[0:1], 1.0
	v_div_scale_f64 v[22:23], vcc, 1.0, v[0:1], 1.0
	v_rcp_f64_e32 v[12:13], v[2:3]
	v_fma_f64 v[20:21], -v[2:3], v[12:13], 1.0
	v_fma_f64 v[12:13], v[12:13], v[20:21], v[12:13]
	v_fma_f64 v[20:21], -v[2:3], v[12:13], 1.0
	v_fma_f64 v[12:13], v[12:13], v[20:21], v[12:13]
	v_mul_f64 v[20:21], v[22:23], v[12:13]
	v_fma_f64 v[2:3], -v[2:3], v[20:21], v[22:23]
	v_div_fmas_f64 v[2:3], v[2:3], v[12:13], v[20:21]
	v_div_fixup_f64 v[2:3], v[2:3], v[0:1], 1.0
	v_mul_f64 v[0:1], v[10:11], v[2:3]
	v_xor_b32_e32 v3, 0x80000000, v3
.LBB124_607:
	s_andn2_saveexec_b64 s[18:19], s[18:19]
	s_cbranch_execz .LBB124_609
; %bb.608:
	v_div_scale_f64 v[10:11], s[16:17], v[0:1], v[0:1], v[2:3]
	v_rcp_f64_e32 v[12:13], v[10:11]
	v_fma_f64 v[20:21], -v[10:11], v[12:13], 1.0
	v_fma_f64 v[12:13], v[12:13], v[20:21], v[12:13]
	v_div_scale_f64 v[20:21], vcc, v[2:3], v[0:1], v[2:3]
	v_fma_f64 v[22:23], -v[10:11], v[12:13], 1.0
	v_fma_f64 v[12:13], v[12:13], v[22:23], v[12:13]
	v_mul_f64 v[22:23], v[20:21], v[12:13]
	v_fma_f64 v[10:11], -v[10:11], v[22:23], v[20:21]
	v_div_fmas_f64 v[10:11], v[10:11], v[12:13], v[22:23]
	v_div_fixup_f64 v[10:11], v[10:11], v[0:1], v[2:3]
	v_fma_f64 v[0:1], v[2:3], v[10:11], v[0:1]
	v_div_scale_f64 v[2:3], s[16:17], v[0:1], v[0:1], 1.0
	v_div_scale_f64 v[22:23], vcc, 1.0, v[0:1], 1.0
	v_rcp_f64_e32 v[12:13], v[2:3]
	v_fma_f64 v[20:21], -v[2:3], v[12:13], 1.0
	v_fma_f64 v[12:13], v[12:13], v[20:21], v[12:13]
	v_fma_f64 v[20:21], -v[2:3], v[12:13], 1.0
	v_fma_f64 v[12:13], v[12:13], v[20:21], v[12:13]
	v_mul_f64 v[20:21], v[22:23], v[12:13]
	v_fma_f64 v[2:3], -v[2:3], v[20:21], v[22:23]
	v_div_fmas_f64 v[2:3], v[2:3], v[12:13], v[20:21]
	v_div_fixup_f64 v[0:1], v[2:3], v[0:1], 1.0
	v_mul_f64 v[2:3], v[10:11], -v[0:1]
.LBB124_609:
	s_or_b64 exec, exec, s[18:19]
.LBB124_610:
	s_or_b64 exec, exec, s[4:5]
	v_cmp_ne_u32_e32 vcc, v19, v4
	s_and_saveexec_b64 s[4:5], vcc
	s_xor_b64 s[4:5], exec, s[4:5]
	s_cbranch_execz .LBB124_616
; %bb.611:
	v_cmp_eq_u32_e32 vcc, 24, v19
	s_and_saveexec_b64 s[18:19], vcc
	s_cbranch_execz .LBB124_615
; %bb.612:
	v_cmp_ne_u32_e32 vcc, 24, v4
	s_xor_b64 s[16:17], s[10:11], -1
	s_and_b64 s[16:17], s[16:17], vcc
	s_and_saveexec_b64 s[24:25], s[16:17]
	s_cbranch_execz .LBB124_614
; %bb.613:
	v_ashrrev_i32_e32 v5, 31, v4
	v_lshlrev_b64 v[10:11], 2, v[4:5]
	v_add_co_u32_e32 v10, vcc, v8, v10
	v_addc_co_u32_e32 v11, vcc, v9, v11, vcc
	global_load_dword v5, v[10:11], off
	global_load_dword v12, v[8:9], off offset:96
	s_waitcnt vmcnt(1)
	global_store_dword v[8:9], v5, off offset:96
	s_waitcnt vmcnt(1)
	global_store_dword v[10:11], v12, off
.LBB124_614:
	s_or_b64 exec, exec, s[24:25]
	v_mov_b32_e32 v19, v4
	v_mov_b32_e32 v18, v4
.LBB124_615:
	s_or_b64 exec, exec, s[18:19]
.LBB124_616:
	s_andn2_saveexec_b64 s[4:5], s[4:5]
	s_cbranch_execz .LBB124_620
; %bb.617:
	s_movk_i32 s16, 0x190
.LBB124_618:                            ; =>This Inner Loop Header: Depth=1
	v_mov_b32_e32 v20, s16
	buffer_load_dword v4, v20, s[0:3], 0 offen
	buffer_load_dword v5, v20, s[0:3], 0 offen offset:4
	buffer_load_dword v10, v20, s[0:3], 0 offen offset:8
	;; [unrolled: 1-line block ×6, first 2 shown]
	s_nop 0
	buffer_load_dword v20, v20, s[0:3], 0 offen offset:28
	v_add_u32_e32 v21, s16, v16
	s_add_i32 s16, s16, 32
	s_cmpk_eq_i32 s16, 0x3f0
	s_waitcnt vmcnt(4)
	ds_write2_b64 v21, v[4:5], v[10:11] offset1:1
	s_waitcnt vmcnt(0)
	ds_write2_b64 v21, v[12:13], v[19:20] offset0:2 offset1:3
	s_cbranch_scc0 .LBB124_618
; %bb.619:
	v_mov_b32_e32 v19, 24
.LBB124_620:
	s_or_b64 exec, exec, s[4:5]
	v_cmp_lt_i32_e32 vcc, 24, v19
	s_waitcnt vmcnt(0) lgkmcnt(0)
	s_barrier
	s_and_saveexec_b64 s[4:5], vcc
	s_cbranch_execz .LBB124_623
; %bb.621:
	buffer_load_dword v4, off, s[0:3], 0 offset:392
	buffer_load_dword v5, off, s[0:3], 0 offset:396
	buffer_load_dword v10, off, s[0:3], 0 offset:384
	buffer_load_dword v11, off, s[0:3], 0 offset:388
	s_movk_i32 s16, 0x190
	s_waitcnt vmcnt(2)
	v_mul_f64 v[12:13], v[2:3], v[4:5]
	v_mul_f64 v[4:5], v[0:1], v[4:5]
	s_waitcnt vmcnt(0)
	v_fma_f64 v[0:1], v[0:1], v[10:11], -v[12:13]
	v_fma_f64 v[2:3], v[2:3], v[10:11], v[4:5]
	buffer_store_dword v0, off, s[0:3], 0 offset:384
	buffer_store_dword v1, off, s[0:3], 0 offset:388
	;; [unrolled: 1-line block ×4, first 2 shown]
.LBB124_622:                            ; =>This Inner Loop Header: Depth=1
	buffer_load_dword v4, off, s[0:3], 0 offset:392
	buffer_load_dword v5, off, s[0:3], 0 offset:396
	;; [unrolled: 1-line block ×4, first 2 shown]
	v_mov_b32_e32 v32, s16
	buffer_load_dword v22, v32, s[0:3], 0 offen
	buffer_load_dword v23, v32, s[0:3], 0 offen offset:4
	buffer_load_dword v24, v32, s[0:3], 0 offen offset:8
	;; [unrolled: 1-line block ×3, first 2 shown]
	v_add_u32_e32 v10, s16, v16
	ds_read2_b64 v[0:3], v10 offset1:1
	buffer_load_dword v26, v32, s[0:3], 0 offen offset:16
	buffer_load_dword v27, v32, s[0:3], 0 offen offset:20
	;; [unrolled: 1-line block ×4, first 2 shown]
	ds_read2_b64 v[10:13], v10 offset0:2 offset1:3
	s_add_i32 s16, s16, 32
	s_cmpk_lg_i32 s16, 0x3f0
	s_waitcnt vmcnt(10) lgkmcnt(1)
	v_mul_f64 v[30:31], v[2:3], v[4:5]
	v_mul_f64 v[4:5], v[0:1], v[4:5]
	s_waitcnt vmcnt(8)
	v_fma_f64 v[0:1], v[0:1], v[20:21], -v[30:31]
	v_fma_f64 v[2:3], v[2:3], v[20:21], v[4:5]
	s_waitcnt vmcnt(6)
	v_add_f64 v[0:1], v[22:23], -v[0:1]
	s_waitcnt vmcnt(4)
	v_add_f64 v[2:3], v[24:25], -v[2:3]
	buffer_store_dword v1, v32, s[0:3], 0 offen offset:4
	buffer_store_dword v0, v32, s[0:3], 0 offen
	buffer_store_dword v3, v32, s[0:3], 0 offen offset:12
	buffer_store_dword v2, v32, s[0:3], 0 offen offset:8
	buffer_load_dword v1, off, s[0:3], 0 offset:396
	s_nop 0
	buffer_load_dword v0, off, s[0:3], 0 offset:392
	buffer_load_dword v3, off, s[0:3], 0 offset:388
	;; [unrolled: 1-line block ×3, first 2 shown]
	s_waitcnt vmcnt(2) lgkmcnt(0)
	v_mul_f64 v[4:5], v[12:13], v[0:1]
	v_mul_f64 v[0:1], v[10:11], v[0:1]
	s_waitcnt vmcnt(0)
	v_fma_f64 v[4:5], v[10:11], v[2:3], -v[4:5]
	v_fma_f64 v[0:1], v[12:13], v[2:3], v[0:1]
	v_add_f64 v[2:3], v[26:27], -v[4:5]
	v_add_f64 v[0:1], v[28:29], -v[0:1]
	buffer_store_dword v3, v32, s[0:3], 0 offen offset:20
	buffer_store_dword v2, v32, s[0:3], 0 offen offset:16
	;; [unrolled: 1-line block ×4, first 2 shown]
	s_cbranch_scc1 .LBB124_622
.LBB124_623:
	s_or_b64 exec, exec, s[4:5]
	v_mov_b32_e32 v3, s48
	s_waitcnt vmcnt(0)
	s_barrier
	buffer_load_dword v0, v3, s[0:3], 0 offen
	buffer_load_dword v1, v3, s[0:3], 0 offen offset:4
	buffer_load_dword v2, v3, s[0:3], 0 offen offset:8
	s_nop 0
	buffer_load_dword v3, v3, s[0:3], 0 offen offset:12
	v_lshl_add_u32 v4, v19, 4, v16
	s_cmp_lt_i32 s65, 27
	s_waitcnt vmcnt(0)
	ds_write2_b64 v4, v[0:1], v[2:3] offset1:1
	s_waitcnt lgkmcnt(0)
	s_barrier
	ds_read2_b64 v[0:3], v16 offset0:50 offset1:51
	v_mov_b32_e32 v4, 25
	s_cbranch_scc1 .LBB124_626
; %bb.624:
	v_add_u32_e32 v5, 0x1a0, v16
	s_mov_b32 s16, 26
	v_mov_b32_e32 v4, 25
.LBB124_625:                            ; =>This Inner Loop Header: Depth=1
	s_waitcnt lgkmcnt(0)
	v_cmp_gt_f64_e32 vcc, 0, v[2:3]
	v_cmp_gt_f64_e64 s[4:5], 0, v[0:1]
	ds_read2_b64 v[10:13], v5 offset1:1
	v_xor_b32_e32 v21, 0x80000000, v1
	v_xor_b32_e32 v23, 0x80000000, v3
	v_mov_b32_e32 v20, v0
	v_mov_b32_e32 v22, v2
	s_waitcnt lgkmcnt(0)
	v_xor_b32_e32 v25, 0x80000000, v13
	v_cndmask_b32_e32 v23, v3, v23, vcc
	v_cndmask_b32_e64 v21, v1, v21, s[4:5]
	v_cmp_gt_f64_e32 vcc, 0, v[12:13]
	v_cmp_gt_f64_e64 s[4:5], 0, v[10:11]
	v_add_f64 v[20:21], v[20:21], v[22:23]
	v_xor_b32_e32 v23, 0x80000000, v11
	v_mov_b32_e32 v22, v10
	v_mov_b32_e32 v24, v12
	v_add_u32_e32 v5, 16, v5
	v_cndmask_b32_e32 v25, v13, v25, vcc
	v_cndmask_b32_e64 v23, v11, v23, s[4:5]
	v_add_f64 v[22:23], v[22:23], v[24:25]
	v_mov_b32_e32 v24, s16
	s_add_i32 s16, s16, 1
	s_cmp_lg_u32 s65, s16
	v_cmp_lt_f64_e32 vcc, v[20:21], v[22:23]
	v_cndmask_b32_e32 v1, v1, v11, vcc
	v_cndmask_b32_e32 v0, v0, v10, vcc
	;; [unrolled: 1-line block ×5, first 2 shown]
	s_cbranch_scc1 .LBB124_625
.LBB124_626:
	s_waitcnt lgkmcnt(0)
	v_cmp_eq_f64_e32 vcc, 0, v[0:1]
	v_cmp_eq_f64_e64 s[4:5], 0, v[2:3]
	s_and_b64 s[4:5], vcc, s[4:5]
	s_and_saveexec_b64 s[16:17], s[4:5]
	s_xor_b64 s[4:5], exec, s[16:17]
; %bb.627:
	v_cmp_ne_u32_e32 vcc, 0, v17
	v_cndmask_b32_e32 v17, 26, v17, vcc
; %bb.628:
	s_andn2_saveexec_b64 s[4:5], s[4:5]
	s_cbranch_execz .LBB124_634
; %bb.629:
	v_cmp_ngt_f64_e64 s[16:17], |v[0:1]|, |v[2:3]|
	s_and_saveexec_b64 s[18:19], s[16:17]
	s_xor_b64 s[18:19], exec, s[18:19]
	s_cbranch_execz .LBB124_631
; %bb.630:
	v_div_scale_f64 v[10:11], s[16:17], v[2:3], v[2:3], v[0:1]
	v_rcp_f64_e32 v[12:13], v[10:11]
	v_fma_f64 v[20:21], -v[10:11], v[12:13], 1.0
	v_fma_f64 v[12:13], v[12:13], v[20:21], v[12:13]
	v_div_scale_f64 v[20:21], vcc, v[0:1], v[2:3], v[0:1]
	v_fma_f64 v[22:23], -v[10:11], v[12:13], 1.0
	v_fma_f64 v[12:13], v[12:13], v[22:23], v[12:13]
	v_mul_f64 v[22:23], v[20:21], v[12:13]
	v_fma_f64 v[10:11], -v[10:11], v[22:23], v[20:21]
	v_div_fmas_f64 v[10:11], v[10:11], v[12:13], v[22:23]
	v_div_fixup_f64 v[10:11], v[10:11], v[2:3], v[0:1]
	v_fma_f64 v[0:1], v[0:1], v[10:11], v[2:3]
	v_div_scale_f64 v[2:3], s[16:17], v[0:1], v[0:1], 1.0
	v_div_scale_f64 v[22:23], vcc, 1.0, v[0:1], 1.0
	v_rcp_f64_e32 v[12:13], v[2:3]
	v_fma_f64 v[20:21], -v[2:3], v[12:13], 1.0
	v_fma_f64 v[12:13], v[12:13], v[20:21], v[12:13]
	v_fma_f64 v[20:21], -v[2:3], v[12:13], 1.0
	v_fma_f64 v[12:13], v[12:13], v[20:21], v[12:13]
	v_mul_f64 v[20:21], v[22:23], v[12:13]
	v_fma_f64 v[2:3], -v[2:3], v[20:21], v[22:23]
	v_div_fmas_f64 v[2:3], v[2:3], v[12:13], v[20:21]
	v_div_fixup_f64 v[2:3], v[2:3], v[0:1], 1.0
	v_mul_f64 v[0:1], v[10:11], v[2:3]
	v_xor_b32_e32 v3, 0x80000000, v3
.LBB124_631:
	s_andn2_saveexec_b64 s[18:19], s[18:19]
	s_cbranch_execz .LBB124_633
; %bb.632:
	v_div_scale_f64 v[10:11], s[16:17], v[0:1], v[0:1], v[2:3]
	v_rcp_f64_e32 v[12:13], v[10:11]
	v_fma_f64 v[20:21], -v[10:11], v[12:13], 1.0
	v_fma_f64 v[12:13], v[12:13], v[20:21], v[12:13]
	v_div_scale_f64 v[20:21], vcc, v[2:3], v[0:1], v[2:3]
	v_fma_f64 v[22:23], -v[10:11], v[12:13], 1.0
	v_fma_f64 v[12:13], v[12:13], v[22:23], v[12:13]
	v_mul_f64 v[22:23], v[20:21], v[12:13]
	v_fma_f64 v[10:11], -v[10:11], v[22:23], v[20:21]
	v_div_fmas_f64 v[10:11], v[10:11], v[12:13], v[22:23]
	v_div_fixup_f64 v[10:11], v[10:11], v[0:1], v[2:3]
	v_fma_f64 v[0:1], v[2:3], v[10:11], v[0:1]
	v_div_scale_f64 v[2:3], s[16:17], v[0:1], v[0:1], 1.0
	v_div_scale_f64 v[22:23], vcc, 1.0, v[0:1], 1.0
	v_rcp_f64_e32 v[12:13], v[2:3]
	v_fma_f64 v[20:21], -v[2:3], v[12:13], 1.0
	v_fma_f64 v[12:13], v[12:13], v[20:21], v[12:13]
	v_fma_f64 v[20:21], -v[2:3], v[12:13], 1.0
	v_fma_f64 v[12:13], v[12:13], v[20:21], v[12:13]
	v_mul_f64 v[20:21], v[22:23], v[12:13]
	v_fma_f64 v[2:3], -v[2:3], v[20:21], v[22:23]
	v_div_fmas_f64 v[2:3], v[2:3], v[12:13], v[20:21]
	v_div_fixup_f64 v[0:1], v[2:3], v[0:1], 1.0
	v_mul_f64 v[2:3], v[10:11], -v[0:1]
.LBB124_633:
	s_or_b64 exec, exec, s[18:19]
.LBB124_634:
	s_or_b64 exec, exec, s[4:5]
	v_cmp_ne_u32_e32 vcc, v19, v4
	s_and_saveexec_b64 s[4:5], vcc
	s_xor_b64 s[4:5], exec, s[4:5]
	s_cbranch_execz .LBB124_640
; %bb.635:
	v_cmp_eq_u32_e32 vcc, 25, v19
	s_and_saveexec_b64 s[18:19], vcc
	s_cbranch_execz .LBB124_639
; %bb.636:
	v_cmp_ne_u32_e32 vcc, 25, v4
	s_xor_b64 s[16:17], s[10:11], -1
	s_and_b64 s[16:17], s[16:17], vcc
	s_and_saveexec_b64 s[24:25], s[16:17]
	s_cbranch_execz .LBB124_638
; %bb.637:
	v_ashrrev_i32_e32 v5, 31, v4
	v_lshlrev_b64 v[10:11], 2, v[4:5]
	v_add_co_u32_e32 v10, vcc, v8, v10
	v_addc_co_u32_e32 v11, vcc, v9, v11, vcc
	global_load_dword v5, v[10:11], off
	global_load_dword v12, v[8:9], off offset:100
	s_waitcnt vmcnt(1)
	global_store_dword v[8:9], v5, off offset:100
	s_waitcnt vmcnt(1)
	global_store_dword v[10:11], v12, off
.LBB124_638:
	s_or_b64 exec, exec, s[24:25]
	v_mov_b32_e32 v19, v4
	v_mov_b32_e32 v18, v4
.LBB124_639:
	s_or_b64 exec, exec, s[18:19]
.LBB124_640:
	s_andn2_saveexec_b64 s[4:5], s[4:5]
	s_cbranch_execz .LBB124_646
; %bb.641:
	s_mov_b32 s16, 0
	v_add_u32_e32 v4, 0x1a0, v16
	s_branch .LBB124_643
.LBB124_642:                            ;   in Loop: Header=BB124_643 Depth=1
	s_andn2_b64 vcc, exec, s[18:19]
	s_cbranch_vccz .LBB124_645
.LBB124_643:                            ; =>This Inner Loop Header: Depth=1
	s_add_i32 s17, s62, s16
	v_mov_b32_e32 v5, s17
	buffer_load_dword v10, v5, s[0:3], 0 offen
	buffer_load_dword v11, v5, s[0:3], 0 offen offset:4
	buffer_load_dword v12, v5, s[0:3], 0 offen offset:8
	;; [unrolled: 1-line block ×19, first 2 shown]
	v_add_u32_e32 v5, s16, v4
	s_cmpk_eq_i32 s16, 0x200
	s_mov_b64 s[18:19], -1
	s_waitcnt vmcnt(16)
	ds_write2_b64 v5, v[10:11], v[12:13] offset1:1
	s_waitcnt vmcnt(12)
	ds_write2_b64 v5, v[19:20], v[21:22] offset0:2 offset1:3
	s_waitcnt vmcnt(8)
	ds_write2_b64 v5, v[23:24], v[25:26] offset0:4 offset1:5
	;; [unrolled: 2-line block ×4, first 2 shown]
	s_cbranch_scc1 .LBB124_642
; %bb.644:                              ;   in Loop: Header=BB124_643 Depth=1
	v_mov_b32_e32 v26, s17
	buffer_load_dword v10, v26, s[0:3], 0 offen offset:80
	buffer_load_dword v11, v26, s[0:3], 0 offen offset:84
	;; [unrolled: 1-line block ×11, first 2 shown]
	s_nop 0
	buffer_load_dword v26, v26, s[0:3], 0 offen offset:124
	s_addk_i32 s16, 0x80
	s_mov_b64 s[18:19], 0
	s_waitcnt vmcnt(8)
	ds_write2_b64 v5, v[10:11], v[12:13] offset0:10 offset1:11
	s_waitcnt vmcnt(4)
	ds_write2_b64 v5, v[19:20], v[21:22] offset0:12 offset1:13
	;; [unrolled: 2-line block ×3, first 2 shown]
	s_branch .LBB124_642
.LBB124_645:
	v_mov_b32_e32 v19, 25
.LBB124_646:
	s_or_b64 exec, exec, s[4:5]
	v_cmp_lt_i32_e32 vcc, 25, v19
	s_waitcnt vmcnt(0) lgkmcnt(0)
	s_barrier
	s_and_saveexec_b64 s[4:5], vcc
	s_cbranch_execz .LBB124_651
; %bb.647:
	buffer_load_dword v4, off, s[0:3], 0 offset:408
	buffer_load_dword v5, off, s[0:3], 0 offset:412
	;; [unrolled: 1-line block ×4, first 2 shown]
	s_movk_i32 s24, 0x1a0
	s_waitcnt vmcnt(2)
	v_mul_f64 v[12:13], v[2:3], v[4:5]
	v_mul_f64 v[4:5], v[0:1], v[4:5]
	s_waitcnt vmcnt(0)
	v_fma_f64 v[0:1], v[0:1], v[10:11], -v[12:13]
	v_fma_f64 v[2:3], v[2:3], v[10:11], v[4:5]
	buffer_store_dword v0, off, s[0:3], 0 offset:400
	buffer_store_dword v1, off, s[0:3], 0 offset:404
	;; [unrolled: 1-line block ×4, first 2 shown]
	s_branch .LBB124_649
.LBB124_648:                            ;   in Loop: Header=BB124_649 Depth=1
	s_andn2_b64 vcc, exec, s[18:19]
	s_cbranch_vccz .LBB124_651
.LBB124_649:                            ; =>This Inner Loop Header: Depth=1
	v_mov_b32_e32 v5, s24
	buffer_load_dword v20, v5, s[0:3], 0 offen
	buffer_load_dword v21, v5, s[0:3], 0 offen offset:4
	buffer_load_dword v22, v5, s[0:3], 0 offen offset:8
	;; [unrolled: 1-line block ×3, first 2 shown]
	v_add_u32_e32 v4, s24, v16
	ds_read2_b64 v[10:13], v4 offset1:1
	s_mov_b32 s16, s24
	s_cmpk_eq_i32 s24, 0x3e0
	s_mov_b64 s[18:19], -1
	s_waitcnt vmcnt(4) lgkmcnt(0)
	v_mul_f64 v[24:25], v[12:13], v[2:3]
	v_mul_f64 v[2:3], v[10:11], v[2:3]
	v_fma_f64 v[10:11], v[10:11], v[0:1], -v[24:25]
	v_fma_f64 v[0:1], v[12:13], v[0:1], v[2:3]
	s_waitcnt vmcnt(2)
	v_add_f64 v[2:3], v[20:21], -v[10:11]
	s_waitcnt vmcnt(0)
	v_add_f64 v[0:1], v[22:23], -v[0:1]
	buffer_store_dword v2, v5, s[0:3], 0 offen
	buffer_store_dword v3, v5, s[0:3], 0 offen offset:4
	buffer_store_dword v0, v5, s[0:3], 0 offen offset:8
	;; [unrolled: 1-line block ×3, first 2 shown]
                                        ; implicit-def: $vgpr0_vgpr1
                                        ; implicit-def: $vgpr2_vgpr3
	s_cbranch_scc1 .LBB124_648
; %bb.650:                              ;   in Loop: Header=BB124_649 Depth=1
	buffer_load_dword v20, off, s[0:3], 0 offset:408
	buffer_load_dword v21, off, s[0:3], 0 offset:412
	buffer_load_dword v22, off, s[0:3], 0 offset:400
	buffer_load_dword v23, off, s[0:3], 0 offset:404
	v_mov_b32_e32 v30, s16
	buffer_load_dword v24, v30, s[0:3], 0 offen offset:16
	buffer_load_dword v25, v30, s[0:3], 0 offen offset:20
	;; [unrolled: 1-line block ×4, first 2 shown]
	ds_read2_b64 v[0:3], v4 offset0:2 offset1:3
	ds_read2_b64 v[10:13], v4 offset0:4 offset1:5
	s_add_i32 s24, s24, 64
	s_mov_b64 s[18:19], 0
	s_waitcnt vmcnt(6) lgkmcnt(1)
	v_mul_f64 v[28:29], v[2:3], v[20:21]
	v_mul_f64 v[20:21], v[0:1], v[20:21]
	s_waitcnt vmcnt(4)
	v_fma_f64 v[0:1], v[0:1], v[22:23], -v[28:29]
	v_fma_f64 v[2:3], v[2:3], v[22:23], v[20:21]
	s_waitcnt vmcnt(2)
	v_add_f64 v[0:1], v[24:25], -v[0:1]
	s_waitcnt vmcnt(0)
	v_add_f64 v[2:3], v[26:27], -v[2:3]
	buffer_store_dword v1, v30, s[0:3], 0 offen offset:20
	buffer_store_dword v0, v30, s[0:3], 0 offen offset:16
	;; [unrolled: 1-line block ×4, first 2 shown]
	buffer_load_dword v1, v30, s[0:3], 0 offen offset:36
	s_nop 0
	buffer_load_dword v2, v30, s[0:3], 0 offen offset:40
	buffer_load_dword v3, v30, s[0:3], 0 offen offset:44
	buffer_load_dword v21, off, s[0:3], 0 offset:412
	buffer_load_dword v20, off, s[0:3], 0 offset:408
	buffer_load_dword v23, off, s[0:3], 0 offset:404
	buffer_load_dword v22, off, s[0:3], 0 offset:400
	buffer_load_dword v0, v30, s[0:3], 0 offen offset:32
	s_waitcnt vmcnt(3) lgkmcnt(0)
	v_mul_f64 v[24:25], v[12:13], v[20:21]
	v_mul_f64 v[20:21], v[10:11], v[20:21]
	s_waitcnt vmcnt(1)
	v_fma_f64 v[10:11], v[10:11], v[22:23], -v[24:25]
	v_fma_f64 v[12:13], v[12:13], v[22:23], v[20:21]
	s_waitcnt vmcnt(0)
	v_add_f64 v[0:1], v[0:1], -v[10:11]
	v_add_f64 v[2:3], v[2:3], -v[12:13]
	buffer_store_dword v1, v30, s[0:3], 0 offen offset:36
	buffer_store_dword v0, v30, s[0:3], 0 offen offset:32
	;; [unrolled: 1-line block ×4, first 2 shown]
	buffer_load_dword v11, v30, s[0:3], 0 offen offset:52
	buffer_load_dword v12, v30, s[0:3], 0 offen offset:56
	;; [unrolled: 1-line block ×3, first 2 shown]
	buffer_load_dword v20, off, s[0:3], 0 offset:408
	buffer_load_dword v21, off, s[0:3], 0 offset:412
	;; [unrolled: 1-line block ×4, first 2 shown]
	buffer_load_dword v10, v30, s[0:3], 0 offen offset:48
	ds_read2_b64 v[0:3], v4 offset0:6 offset1:7
	s_waitcnt vmcnt(3) lgkmcnt(0)
	v_mul_f64 v[4:5], v[2:3], v[20:21]
	v_mul_f64 v[20:21], v[0:1], v[20:21]
	s_waitcnt vmcnt(1)
	v_fma_f64 v[0:1], v[0:1], v[22:23], -v[4:5]
	v_fma_f64 v[2:3], v[2:3], v[22:23], v[20:21]
	s_waitcnt vmcnt(0)
	v_add_f64 v[0:1], v[10:11], -v[0:1]
	v_add_f64 v[2:3], v[12:13], -v[2:3]
	buffer_store_dword v1, v30, s[0:3], 0 offen offset:52
	buffer_store_dword v0, v30, s[0:3], 0 offen offset:48
	;; [unrolled: 1-line block ×4, first 2 shown]
	buffer_load_dword v0, off, s[0:3], 0 offset:400
	s_nop 0
	buffer_load_dword v1, off, s[0:3], 0 offset:404
	buffer_load_dword v2, off, s[0:3], 0 offset:408
	;; [unrolled: 1-line block ×3, first 2 shown]
	s_branch .LBB124_648
.LBB124_651:
	s_or_b64 exec, exec, s[4:5]
	s_waitcnt vmcnt(0)
	v_mov_b32_e32 v3, s62
	s_barrier
	buffer_load_dword v0, v3, s[0:3], 0 offen
	buffer_load_dword v1, v3, s[0:3], 0 offen offset:4
	buffer_load_dword v2, v3, s[0:3], 0 offen offset:8
	s_nop 0
	buffer_load_dword v3, v3, s[0:3], 0 offen offset:12
	v_lshl_add_u32 v4, v19, 4, v16
	s_cmp_lt_i32 s65, 28
	s_waitcnt vmcnt(0)
	ds_write2_b64 v4, v[0:1], v[2:3] offset1:1
	s_waitcnt lgkmcnt(0)
	s_barrier
	ds_read2_b64 v[0:3], v16 offset0:52 offset1:53
	v_mov_b32_e32 v4, 26
	s_cbranch_scc1 .LBB124_654
; %bb.652:
	v_add_u32_e32 v5, 0x1b0, v16
	s_mov_b32 s16, 27
	v_mov_b32_e32 v4, 26
.LBB124_653:                            ; =>This Inner Loop Header: Depth=1
	s_waitcnt lgkmcnt(0)
	v_cmp_gt_f64_e32 vcc, 0, v[2:3]
	v_cmp_gt_f64_e64 s[4:5], 0, v[0:1]
	ds_read2_b64 v[10:13], v5 offset1:1
	v_xor_b32_e32 v21, 0x80000000, v1
	v_xor_b32_e32 v23, 0x80000000, v3
	v_mov_b32_e32 v20, v0
	v_mov_b32_e32 v22, v2
	s_waitcnt lgkmcnt(0)
	v_xor_b32_e32 v25, 0x80000000, v13
	v_cndmask_b32_e32 v23, v3, v23, vcc
	v_cndmask_b32_e64 v21, v1, v21, s[4:5]
	v_cmp_gt_f64_e32 vcc, 0, v[12:13]
	v_cmp_gt_f64_e64 s[4:5], 0, v[10:11]
	v_add_f64 v[20:21], v[20:21], v[22:23]
	v_xor_b32_e32 v23, 0x80000000, v11
	v_mov_b32_e32 v22, v10
	v_mov_b32_e32 v24, v12
	v_add_u32_e32 v5, 16, v5
	v_cndmask_b32_e32 v25, v13, v25, vcc
	v_cndmask_b32_e64 v23, v11, v23, s[4:5]
	v_add_f64 v[22:23], v[22:23], v[24:25]
	v_mov_b32_e32 v24, s16
	s_add_i32 s16, s16, 1
	s_cmp_lg_u32 s65, s16
	v_cmp_lt_f64_e32 vcc, v[20:21], v[22:23]
	v_cndmask_b32_e32 v1, v1, v11, vcc
	v_cndmask_b32_e32 v0, v0, v10, vcc
	;; [unrolled: 1-line block ×5, first 2 shown]
	s_cbranch_scc1 .LBB124_653
.LBB124_654:
	s_waitcnt lgkmcnt(0)
	v_cmp_eq_f64_e32 vcc, 0, v[0:1]
	v_cmp_eq_f64_e64 s[4:5], 0, v[2:3]
	s_and_b64 s[4:5], vcc, s[4:5]
	s_and_saveexec_b64 s[16:17], s[4:5]
	s_xor_b64 s[4:5], exec, s[16:17]
; %bb.655:
	v_cmp_ne_u32_e32 vcc, 0, v17
	v_cndmask_b32_e32 v17, 27, v17, vcc
; %bb.656:
	s_andn2_saveexec_b64 s[4:5], s[4:5]
	s_cbranch_execz .LBB124_662
; %bb.657:
	v_cmp_ngt_f64_e64 s[16:17], |v[0:1]|, |v[2:3]|
	s_and_saveexec_b64 s[18:19], s[16:17]
	s_xor_b64 s[18:19], exec, s[18:19]
	s_cbranch_execz .LBB124_659
; %bb.658:
	v_div_scale_f64 v[10:11], s[16:17], v[2:3], v[2:3], v[0:1]
	v_rcp_f64_e32 v[12:13], v[10:11]
	v_fma_f64 v[20:21], -v[10:11], v[12:13], 1.0
	v_fma_f64 v[12:13], v[12:13], v[20:21], v[12:13]
	v_div_scale_f64 v[20:21], vcc, v[0:1], v[2:3], v[0:1]
	v_fma_f64 v[22:23], -v[10:11], v[12:13], 1.0
	v_fma_f64 v[12:13], v[12:13], v[22:23], v[12:13]
	v_mul_f64 v[22:23], v[20:21], v[12:13]
	v_fma_f64 v[10:11], -v[10:11], v[22:23], v[20:21]
	v_div_fmas_f64 v[10:11], v[10:11], v[12:13], v[22:23]
	v_div_fixup_f64 v[10:11], v[10:11], v[2:3], v[0:1]
	v_fma_f64 v[0:1], v[0:1], v[10:11], v[2:3]
	v_div_scale_f64 v[2:3], s[16:17], v[0:1], v[0:1], 1.0
	v_div_scale_f64 v[22:23], vcc, 1.0, v[0:1], 1.0
	v_rcp_f64_e32 v[12:13], v[2:3]
	v_fma_f64 v[20:21], -v[2:3], v[12:13], 1.0
	v_fma_f64 v[12:13], v[12:13], v[20:21], v[12:13]
	v_fma_f64 v[20:21], -v[2:3], v[12:13], 1.0
	v_fma_f64 v[12:13], v[12:13], v[20:21], v[12:13]
	v_mul_f64 v[20:21], v[22:23], v[12:13]
	v_fma_f64 v[2:3], -v[2:3], v[20:21], v[22:23]
	v_div_fmas_f64 v[2:3], v[2:3], v[12:13], v[20:21]
	v_div_fixup_f64 v[2:3], v[2:3], v[0:1], 1.0
	v_mul_f64 v[0:1], v[10:11], v[2:3]
	v_xor_b32_e32 v3, 0x80000000, v3
.LBB124_659:
	s_andn2_saveexec_b64 s[18:19], s[18:19]
	s_cbranch_execz .LBB124_661
; %bb.660:
	v_div_scale_f64 v[10:11], s[16:17], v[0:1], v[0:1], v[2:3]
	v_rcp_f64_e32 v[12:13], v[10:11]
	v_fma_f64 v[20:21], -v[10:11], v[12:13], 1.0
	v_fma_f64 v[12:13], v[12:13], v[20:21], v[12:13]
	v_div_scale_f64 v[20:21], vcc, v[2:3], v[0:1], v[2:3]
	v_fma_f64 v[22:23], -v[10:11], v[12:13], 1.0
	v_fma_f64 v[12:13], v[12:13], v[22:23], v[12:13]
	v_mul_f64 v[22:23], v[20:21], v[12:13]
	v_fma_f64 v[10:11], -v[10:11], v[22:23], v[20:21]
	v_div_fmas_f64 v[10:11], v[10:11], v[12:13], v[22:23]
	v_div_fixup_f64 v[10:11], v[10:11], v[0:1], v[2:3]
	v_fma_f64 v[0:1], v[2:3], v[10:11], v[0:1]
	v_div_scale_f64 v[2:3], s[16:17], v[0:1], v[0:1], 1.0
	v_div_scale_f64 v[22:23], vcc, 1.0, v[0:1], 1.0
	v_rcp_f64_e32 v[12:13], v[2:3]
	v_fma_f64 v[20:21], -v[2:3], v[12:13], 1.0
	v_fma_f64 v[12:13], v[12:13], v[20:21], v[12:13]
	v_fma_f64 v[20:21], -v[2:3], v[12:13], 1.0
	v_fma_f64 v[12:13], v[12:13], v[20:21], v[12:13]
	v_mul_f64 v[20:21], v[22:23], v[12:13]
	v_fma_f64 v[2:3], -v[2:3], v[20:21], v[22:23]
	v_div_fmas_f64 v[2:3], v[2:3], v[12:13], v[20:21]
	v_div_fixup_f64 v[0:1], v[2:3], v[0:1], 1.0
	v_mul_f64 v[2:3], v[10:11], -v[0:1]
.LBB124_661:
	s_or_b64 exec, exec, s[18:19]
.LBB124_662:
	s_or_b64 exec, exec, s[4:5]
	v_cmp_ne_u32_e32 vcc, v19, v4
	s_and_saveexec_b64 s[4:5], vcc
	s_xor_b64 s[4:5], exec, s[4:5]
	s_cbranch_execz .LBB124_668
; %bb.663:
	v_cmp_eq_u32_e32 vcc, 26, v19
	s_and_saveexec_b64 s[18:19], vcc
	s_cbranch_execz .LBB124_667
; %bb.664:
	v_cmp_ne_u32_e32 vcc, 26, v4
	s_xor_b64 s[16:17], s[10:11], -1
	s_and_b64 s[16:17], s[16:17], vcc
	s_and_saveexec_b64 s[24:25], s[16:17]
	s_cbranch_execz .LBB124_666
; %bb.665:
	v_ashrrev_i32_e32 v5, 31, v4
	v_lshlrev_b64 v[10:11], 2, v[4:5]
	v_add_co_u32_e32 v10, vcc, v8, v10
	v_addc_co_u32_e32 v11, vcc, v9, v11, vcc
	global_load_dword v5, v[10:11], off
	global_load_dword v12, v[8:9], off offset:104
	s_waitcnt vmcnt(1)
	global_store_dword v[8:9], v5, off offset:104
	s_waitcnt vmcnt(1)
	global_store_dword v[10:11], v12, off
.LBB124_666:
	s_or_b64 exec, exec, s[24:25]
	v_mov_b32_e32 v19, v4
	v_mov_b32_e32 v18, v4
.LBB124_667:
	s_or_b64 exec, exec, s[18:19]
.LBB124_668:
	s_andn2_saveexec_b64 s[4:5], s[4:5]
	s_cbranch_execz .LBB124_670
; %bb.669:
	v_mov_b32_e32 v11, s61
	buffer_load_dword v4, v11, s[0:3], 0 offen
	buffer_load_dword v5, v11, s[0:3], 0 offen offset:4
	buffer_load_dword v10, v11, s[0:3], 0 offen offset:8
	s_nop 0
	buffer_load_dword v11, v11, s[0:3], 0 offen offset:12
	v_mov_b32_e32 v19, 26
	s_waitcnt vmcnt(0)
	ds_write2_b64 v16, v[4:5], v[10:11] offset0:54 offset1:55
	v_mov_b32_e32 v11, s60
	buffer_load_dword v4, v11, s[0:3], 0 offen
	buffer_load_dword v5, v11, s[0:3], 0 offen offset:4
	buffer_load_dword v10, v11, s[0:3], 0 offen offset:8
	s_nop 0
	buffer_load_dword v11, v11, s[0:3], 0 offen offset:12
	s_waitcnt vmcnt(0)
	ds_write2_b64 v16, v[4:5], v[10:11] offset0:56 offset1:57
	v_mov_b32_e32 v11, s59
	buffer_load_dword v4, v11, s[0:3], 0 offen
	buffer_load_dword v5, v11, s[0:3], 0 offen offset:4
	buffer_load_dword v10, v11, s[0:3], 0 offen offset:8
	s_nop 0
	buffer_load_dword v11, v11, s[0:3], 0 offen offset:12
	;; [unrolled: 8-line block ×35, first 2 shown]
	s_waitcnt vmcnt(0)
	ds_write2_b64 v16, v[4:5], v[10:11] offset0:124 offset1:125
.LBB124_670:
	s_or_b64 exec, exec, s[4:5]
	v_cmp_lt_i32_e32 vcc, 26, v19
	s_waitcnt vmcnt(0) lgkmcnt(0)
	s_barrier
	s_and_saveexec_b64 s[4:5], vcc
	s_cbranch_execz .LBB124_673
; %bb.671:
	buffer_load_dword v4, off, s[0:3], 0 offset:424
	buffer_load_dword v5, off, s[0:3], 0 offset:428
	;; [unrolled: 1-line block ×4, first 2 shown]
	s_movk_i32 s18, 0x1b0
	s_waitcnt vmcnt(2)
	v_mul_f64 v[12:13], v[2:3], v[4:5]
	v_mul_f64 v[4:5], v[0:1], v[4:5]
	s_waitcnt vmcnt(0)
	v_fma_f64 v[0:1], v[0:1], v[10:11], -v[12:13]
	v_fma_f64 v[2:3], v[2:3], v[10:11], v[4:5]
	buffer_store_dword v0, off, s[0:3], 0 offset:416
	buffer_store_dword v1, off, s[0:3], 0 offset:420
	;; [unrolled: 1-line block ×4, first 2 shown]
.LBB124_672:                            ; =>This Inner Loop Header: Depth=1
	buffer_load_dword v4, off, s[0:3], 0 offset:424
	buffer_load_dword v5, off, s[0:3], 0 offset:428
	buffer_load_dword v20, off, s[0:3], 0 offset:416
	buffer_load_dword v21, off, s[0:3], 0 offset:420
	v_mov_b32_e32 v32, s18
	buffer_load_dword v22, v32, s[0:3], 0 offen
	buffer_load_dword v23, v32, s[0:3], 0 offen offset:4
	buffer_load_dword v24, v32, s[0:3], 0 offen offset:8
	;; [unrolled: 1-line block ×3, first 2 shown]
	v_add_u32_e32 v33, s18, v16
	ds_read2_b64 v[0:3], v33 offset1:1
	buffer_load_dword v26, v32, s[0:3], 0 offen offset:16
	buffer_load_dword v27, v32, s[0:3], 0 offen offset:20
	;; [unrolled: 1-line block ×4, first 2 shown]
	ds_read2_b64 v[10:13], v33 offset0:2 offset1:3
	s_addk_i32 s18, 0x60
	s_cmpk_lg_i32 s18, 0x3f0
	s_waitcnt vmcnt(10) lgkmcnt(1)
	v_mul_f64 v[30:31], v[2:3], v[4:5]
	v_mul_f64 v[4:5], v[0:1], v[4:5]
	s_waitcnt vmcnt(8)
	v_fma_f64 v[0:1], v[0:1], v[20:21], -v[30:31]
	v_fma_f64 v[2:3], v[2:3], v[20:21], v[4:5]
	s_waitcnt vmcnt(6)
	v_add_f64 v[0:1], v[22:23], -v[0:1]
	s_waitcnt vmcnt(4)
	v_add_f64 v[2:3], v[24:25], -v[2:3]
	buffer_store_dword v1, v32, s[0:3], 0 offen offset:4
	buffer_store_dword v0, v32, s[0:3], 0 offen
	buffer_store_dword v3, v32, s[0:3], 0 offen offset:12
	buffer_store_dword v2, v32, s[0:3], 0 offen offset:8
	buffer_load_dword v1, off, s[0:3], 0 offset:428
	s_nop 0
	buffer_load_dword v0, off, s[0:3], 0 offset:424
	buffer_load_dword v3, off, s[0:3], 0 offset:420
	;; [unrolled: 1-line block ×3, first 2 shown]
	buffer_load_dword v4, v32, s[0:3], 0 offen offset:32
	buffer_load_dword v5, v32, s[0:3], 0 offen offset:36
	;; [unrolled: 1-line block ×4, first 2 shown]
	s_waitcnt vmcnt(6) lgkmcnt(0)
	v_mul_f64 v[22:23], v[12:13], v[0:1]
	v_mul_f64 v[0:1], v[10:11], v[0:1]
	s_waitcnt vmcnt(4)
	v_fma_f64 v[10:11], v[10:11], v[2:3], -v[22:23]
	v_fma_f64 v[0:1], v[12:13], v[2:3], v[0:1]
	v_add_f64 v[2:3], v[26:27], -v[10:11]
	v_add_f64 v[0:1], v[28:29], -v[0:1]
	buffer_store_dword v3, v32, s[0:3], 0 offen offset:20
	buffer_store_dword v2, v32, s[0:3], 0 offen offset:16
	;; [unrolled: 1-line block ×4, first 2 shown]
	buffer_load_dword v22, off, s[0:3], 0 offset:424
	buffer_load_dword v23, off, s[0:3], 0 offset:428
	;; [unrolled: 1-line block ×4, first 2 shown]
	ds_read2_b64 v[0:3], v33 offset0:4 offset1:5
	ds_read2_b64 v[10:13], v33 offset0:6 offset1:7
	s_waitcnt vmcnt(2) lgkmcnt(1)
	v_mul_f64 v[26:27], v[2:3], v[22:23]
	v_mul_f64 v[22:23], v[0:1], v[22:23]
	s_waitcnt vmcnt(0)
	v_fma_f64 v[0:1], v[0:1], v[24:25], -v[26:27]
	v_fma_f64 v[2:3], v[2:3], v[24:25], v[22:23]
	v_add_f64 v[0:1], v[4:5], -v[0:1]
	v_add_f64 v[2:3], v[20:21], -v[2:3]
	buffer_store_dword v1, v32, s[0:3], 0 offen offset:36
	buffer_store_dword v0, v32, s[0:3], 0 offen offset:32
	;; [unrolled: 1-line block ×4, first 2 shown]
	buffer_load_dword v0, off, s[0:3], 0 offset:424
	s_nop 0
	buffer_load_dword v1, off, s[0:3], 0 offset:428
	buffer_load_dword v2, off, s[0:3], 0 offset:416
	;; [unrolled: 1-line block ×3, first 2 shown]
	buffer_load_dword v4, v32, s[0:3], 0 offen offset:48
	buffer_load_dword v5, v32, s[0:3], 0 offen offset:52
	;; [unrolled: 1-line block ×4, first 2 shown]
	s_waitcnt vmcnt(6) lgkmcnt(0)
	v_mul_f64 v[22:23], v[12:13], v[0:1]
	v_mul_f64 v[0:1], v[10:11], v[0:1]
	s_waitcnt vmcnt(4)
	v_fma_f64 v[10:11], v[10:11], v[2:3], -v[22:23]
	v_fma_f64 v[0:1], v[12:13], v[2:3], v[0:1]
	s_waitcnt vmcnt(2)
	v_add_f64 v[2:3], v[4:5], -v[10:11]
	s_waitcnt vmcnt(0)
	v_add_f64 v[0:1], v[20:21], -v[0:1]
	buffer_store_dword v3, v32, s[0:3], 0 offen offset:52
	buffer_store_dword v2, v32, s[0:3], 0 offen offset:48
	;; [unrolled: 1-line block ×4, first 2 shown]
	buffer_load_dword v4, off, s[0:3], 0 offset:424
	buffer_load_dword v5, off, s[0:3], 0 offset:428
	;; [unrolled: 1-line block ×4, first 2 shown]
	buffer_load_dword v22, v32, s[0:3], 0 offen offset:64
	buffer_load_dword v23, v32, s[0:3], 0 offen offset:68
	;; [unrolled: 1-line block ×4, first 2 shown]
	ds_read2_b64 v[0:3], v33 offset0:8 offset1:9
	ds_read2_b64 v[10:13], v33 offset0:10 offset1:11
	s_waitcnt vmcnt(6) lgkmcnt(1)
	v_mul_f64 v[26:27], v[2:3], v[4:5]
	v_mul_f64 v[4:5], v[0:1], v[4:5]
	s_waitcnt vmcnt(4)
	v_fma_f64 v[0:1], v[0:1], v[20:21], -v[26:27]
	v_fma_f64 v[2:3], v[2:3], v[20:21], v[4:5]
	s_waitcnt vmcnt(2)
	v_add_f64 v[0:1], v[22:23], -v[0:1]
	s_waitcnt vmcnt(0)
	v_add_f64 v[2:3], v[24:25], -v[2:3]
	buffer_store_dword v1, v32, s[0:3], 0 offen offset:68
	buffer_store_dword v0, v32, s[0:3], 0 offen offset:64
	;; [unrolled: 1-line block ×4, first 2 shown]
	buffer_load_dword v0, off, s[0:3], 0 offset:424
	s_nop 0
	buffer_load_dword v1, off, s[0:3], 0 offset:428
	buffer_load_dword v2, off, s[0:3], 0 offset:416
	;; [unrolled: 1-line block ×3, first 2 shown]
	buffer_load_dword v4, v32, s[0:3], 0 offen offset:80
	buffer_load_dword v5, v32, s[0:3], 0 offen offset:84
	;; [unrolled: 1-line block ×4, first 2 shown]
	s_waitcnt vmcnt(6) lgkmcnt(0)
	v_mul_f64 v[22:23], v[12:13], v[0:1]
	v_mul_f64 v[0:1], v[10:11], v[0:1]
	s_waitcnt vmcnt(4)
	v_fma_f64 v[10:11], v[10:11], v[2:3], -v[22:23]
	v_fma_f64 v[0:1], v[12:13], v[2:3], v[0:1]
	s_waitcnt vmcnt(2)
	v_add_f64 v[2:3], v[4:5], -v[10:11]
	s_waitcnt vmcnt(0)
	v_add_f64 v[0:1], v[20:21], -v[0:1]
	buffer_store_dword v3, v32, s[0:3], 0 offen offset:84
	buffer_store_dword v2, v32, s[0:3], 0 offen offset:80
	;; [unrolled: 1-line block ×4, first 2 shown]
	s_cbranch_scc1 .LBB124_672
.LBB124_673:
	s_or_b64 exec, exec, s[4:5]
	v_mov_b32_e32 v3, s61
	s_waitcnt vmcnt(0)
	s_barrier
	buffer_load_dword v0, v3, s[0:3], 0 offen
	buffer_load_dword v1, v3, s[0:3], 0 offen offset:4
	buffer_load_dword v2, v3, s[0:3], 0 offen offset:8
	s_nop 0
	buffer_load_dword v3, v3, s[0:3], 0 offen offset:12
	v_lshl_add_u32 v4, v19, 4, v16
	s_cmp_lt_i32 s65, 29
	s_waitcnt vmcnt(0)
	ds_write2_b64 v4, v[0:1], v[2:3] offset1:1
	s_waitcnt lgkmcnt(0)
	s_barrier
	ds_read2_b64 v[0:3], v16 offset0:54 offset1:55
	v_mov_b32_e32 v4, 27
	s_cbranch_scc1 .LBB124_676
; %bb.674:
	v_add_u32_e32 v5, 0x1c0, v16
	s_mov_b32 s16, 28
	v_mov_b32_e32 v4, 27
.LBB124_675:                            ; =>This Inner Loop Header: Depth=1
	s_waitcnt lgkmcnt(0)
	v_cmp_gt_f64_e32 vcc, 0, v[2:3]
	v_cmp_gt_f64_e64 s[4:5], 0, v[0:1]
	ds_read2_b64 v[10:13], v5 offset1:1
	v_xor_b32_e32 v21, 0x80000000, v1
	v_xor_b32_e32 v23, 0x80000000, v3
	v_mov_b32_e32 v20, v0
	v_mov_b32_e32 v22, v2
	s_waitcnt lgkmcnt(0)
	v_xor_b32_e32 v25, 0x80000000, v13
	v_cndmask_b32_e32 v23, v3, v23, vcc
	v_cndmask_b32_e64 v21, v1, v21, s[4:5]
	v_cmp_gt_f64_e32 vcc, 0, v[12:13]
	v_cmp_gt_f64_e64 s[4:5], 0, v[10:11]
	v_add_f64 v[20:21], v[20:21], v[22:23]
	v_xor_b32_e32 v23, 0x80000000, v11
	v_mov_b32_e32 v22, v10
	v_mov_b32_e32 v24, v12
	v_add_u32_e32 v5, 16, v5
	v_cndmask_b32_e32 v25, v13, v25, vcc
	v_cndmask_b32_e64 v23, v11, v23, s[4:5]
	v_add_f64 v[22:23], v[22:23], v[24:25]
	v_mov_b32_e32 v24, s16
	s_add_i32 s16, s16, 1
	s_cmp_lg_u32 s65, s16
	v_cmp_lt_f64_e32 vcc, v[20:21], v[22:23]
	v_cndmask_b32_e32 v1, v1, v11, vcc
	v_cndmask_b32_e32 v0, v0, v10, vcc
	;; [unrolled: 1-line block ×5, first 2 shown]
	s_cbranch_scc1 .LBB124_675
.LBB124_676:
	s_waitcnt lgkmcnt(0)
	v_cmp_eq_f64_e32 vcc, 0, v[0:1]
	v_cmp_eq_f64_e64 s[4:5], 0, v[2:3]
	s_and_b64 s[4:5], vcc, s[4:5]
	s_and_saveexec_b64 s[16:17], s[4:5]
	s_xor_b64 s[4:5], exec, s[16:17]
; %bb.677:
	v_cmp_ne_u32_e32 vcc, 0, v17
	v_cndmask_b32_e32 v17, 28, v17, vcc
; %bb.678:
	s_andn2_saveexec_b64 s[4:5], s[4:5]
	s_cbranch_execz .LBB124_684
; %bb.679:
	v_cmp_ngt_f64_e64 s[16:17], |v[0:1]|, |v[2:3]|
	s_and_saveexec_b64 s[18:19], s[16:17]
	s_xor_b64 s[18:19], exec, s[18:19]
	s_cbranch_execz .LBB124_681
; %bb.680:
	v_div_scale_f64 v[10:11], s[16:17], v[2:3], v[2:3], v[0:1]
	v_rcp_f64_e32 v[12:13], v[10:11]
	v_fma_f64 v[20:21], -v[10:11], v[12:13], 1.0
	v_fma_f64 v[12:13], v[12:13], v[20:21], v[12:13]
	v_div_scale_f64 v[20:21], vcc, v[0:1], v[2:3], v[0:1]
	v_fma_f64 v[22:23], -v[10:11], v[12:13], 1.0
	v_fma_f64 v[12:13], v[12:13], v[22:23], v[12:13]
	v_mul_f64 v[22:23], v[20:21], v[12:13]
	v_fma_f64 v[10:11], -v[10:11], v[22:23], v[20:21]
	v_div_fmas_f64 v[10:11], v[10:11], v[12:13], v[22:23]
	v_div_fixup_f64 v[10:11], v[10:11], v[2:3], v[0:1]
	v_fma_f64 v[0:1], v[0:1], v[10:11], v[2:3]
	v_div_scale_f64 v[2:3], s[16:17], v[0:1], v[0:1], 1.0
	v_div_scale_f64 v[22:23], vcc, 1.0, v[0:1], 1.0
	v_rcp_f64_e32 v[12:13], v[2:3]
	v_fma_f64 v[20:21], -v[2:3], v[12:13], 1.0
	v_fma_f64 v[12:13], v[12:13], v[20:21], v[12:13]
	v_fma_f64 v[20:21], -v[2:3], v[12:13], 1.0
	v_fma_f64 v[12:13], v[12:13], v[20:21], v[12:13]
	v_mul_f64 v[20:21], v[22:23], v[12:13]
	v_fma_f64 v[2:3], -v[2:3], v[20:21], v[22:23]
	v_div_fmas_f64 v[2:3], v[2:3], v[12:13], v[20:21]
	v_div_fixup_f64 v[2:3], v[2:3], v[0:1], 1.0
	v_mul_f64 v[0:1], v[10:11], v[2:3]
	v_xor_b32_e32 v3, 0x80000000, v3
.LBB124_681:
	s_andn2_saveexec_b64 s[18:19], s[18:19]
	s_cbranch_execz .LBB124_683
; %bb.682:
	v_div_scale_f64 v[10:11], s[16:17], v[0:1], v[0:1], v[2:3]
	v_rcp_f64_e32 v[12:13], v[10:11]
	v_fma_f64 v[20:21], -v[10:11], v[12:13], 1.0
	v_fma_f64 v[12:13], v[12:13], v[20:21], v[12:13]
	v_div_scale_f64 v[20:21], vcc, v[2:3], v[0:1], v[2:3]
	v_fma_f64 v[22:23], -v[10:11], v[12:13], 1.0
	v_fma_f64 v[12:13], v[12:13], v[22:23], v[12:13]
	v_mul_f64 v[22:23], v[20:21], v[12:13]
	v_fma_f64 v[10:11], -v[10:11], v[22:23], v[20:21]
	v_div_fmas_f64 v[10:11], v[10:11], v[12:13], v[22:23]
	v_div_fixup_f64 v[10:11], v[10:11], v[0:1], v[2:3]
	v_fma_f64 v[0:1], v[2:3], v[10:11], v[0:1]
	v_div_scale_f64 v[2:3], s[16:17], v[0:1], v[0:1], 1.0
	v_div_scale_f64 v[22:23], vcc, 1.0, v[0:1], 1.0
	v_rcp_f64_e32 v[12:13], v[2:3]
	v_fma_f64 v[20:21], -v[2:3], v[12:13], 1.0
	v_fma_f64 v[12:13], v[12:13], v[20:21], v[12:13]
	v_fma_f64 v[20:21], -v[2:3], v[12:13], 1.0
	v_fma_f64 v[12:13], v[12:13], v[20:21], v[12:13]
	v_mul_f64 v[20:21], v[22:23], v[12:13]
	v_fma_f64 v[2:3], -v[2:3], v[20:21], v[22:23]
	v_div_fmas_f64 v[2:3], v[2:3], v[12:13], v[20:21]
	v_div_fixup_f64 v[0:1], v[2:3], v[0:1], 1.0
	v_mul_f64 v[2:3], v[10:11], -v[0:1]
.LBB124_683:
	s_or_b64 exec, exec, s[18:19]
.LBB124_684:
	s_or_b64 exec, exec, s[4:5]
	v_cmp_ne_u32_e32 vcc, v19, v4
	s_and_saveexec_b64 s[4:5], vcc
	s_xor_b64 s[4:5], exec, s[4:5]
	s_cbranch_execz .LBB124_690
; %bb.685:
	v_cmp_eq_u32_e32 vcc, 27, v19
	s_and_saveexec_b64 s[18:19], vcc
	s_cbranch_execz .LBB124_689
; %bb.686:
	v_cmp_ne_u32_e32 vcc, 27, v4
	s_xor_b64 s[16:17], s[10:11], -1
	s_and_b64 s[16:17], s[16:17], vcc
	s_and_saveexec_b64 s[24:25], s[16:17]
	s_cbranch_execz .LBB124_688
; %bb.687:
	v_ashrrev_i32_e32 v5, 31, v4
	v_lshlrev_b64 v[10:11], 2, v[4:5]
	v_add_co_u32_e32 v10, vcc, v8, v10
	v_addc_co_u32_e32 v11, vcc, v9, v11, vcc
	global_load_dword v5, v[10:11], off
	global_load_dword v12, v[8:9], off offset:108
	s_waitcnt vmcnt(1)
	global_store_dword v[8:9], v5, off offset:108
	s_waitcnt vmcnt(1)
	global_store_dword v[10:11], v12, off
.LBB124_688:
	s_or_b64 exec, exec, s[24:25]
	v_mov_b32_e32 v19, v4
	v_mov_b32_e32 v18, v4
.LBB124_689:
	s_or_b64 exec, exec, s[18:19]
.LBB124_690:
	s_andn2_saveexec_b64 s[4:5], s[4:5]
	s_cbranch_execz .LBB124_692
; %bb.691:
	v_mov_b32_e32 v11, s60
	buffer_load_dword v4, v11, s[0:3], 0 offen
	buffer_load_dword v5, v11, s[0:3], 0 offen offset:4
	buffer_load_dword v10, v11, s[0:3], 0 offen offset:8
	s_nop 0
	buffer_load_dword v11, v11, s[0:3], 0 offen offset:12
	v_mov_b32_e32 v19, 27
	s_waitcnt vmcnt(0)
	ds_write2_b64 v16, v[4:5], v[10:11] offset0:56 offset1:57
	v_mov_b32_e32 v11, s59
	buffer_load_dword v4, v11, s[0:3], 0 offen
	buffer_load_dword v5, v11, s[0:3], 0 offen offset:4
	buffer_load_dword v10, v11, s[0:3], 0 offen offset:8
	s_nop 0
	buffer_load_dword v11, v11, s[0:3], 0 offen offset:12
	s_waitcnt vmcnt(0)
	ds_write2_b64 v16, v[4:5], v[10:11] offset0:58 offset1:59
	v_mov_b32_e32 v11, s58
	buffer_load_dword v4, v11, s[0:3], 0 offen
	buffer_load_dword v5, v11, s[0:3], 0 offen offset:4
	buffer_load_dword v10, v11, s[0:3], 0 offen offset:8
	s_nop 0
	buffer_load_dword v11, v11, s[0:3], 0 offen offset:12
	;; [unrolled: 8-line block ×34, first 2 shown]
	s_waitcnt vmcnt(0)
	ds_write2_b64 v16, v[4:5], v[10:11] offset0:124 offset1:125
.LBB124_692:
	s_or_b64 exec, exec, s[4:5]
	v_cmp_lt_i32_e32 vcc, 27, v19
	s_waitcnt vmcnt(0) lgkmcnt(0)
	s_barrier
	s_and_saveexec_b64 s[4:5], vcc
	s_cbranch_execz .LBB124_695
; %bb.693:
	buffer_load_dword v4, off, s[0:3], 0 offset:440
	buffer_load_dword v5, off, s[0:3], 0 offset:444
	;; [unrolled: 1-line block ×4, first 2 shown]
	s_movk_i32 s18, 0x1c0
	s_waitcnt vmcnt(2)
	v_mul_f64 v[12:13], v[2:3], v[4:5]
	v_mul_f64 v[4:5], v[0:1], v[4:5]
	s_waitcnt vmcnt(0)
	v_fma_f64 v[0:1], v[0:1], v[10:11], -v[12:13]
	v_fma_f64 v[2:3], v[2:3], v[10:11], v[4:5]
	buffer_store_dword v0, off, s[0:3], 0 offset:432
	buffer_store_dword v1, off, s[0:3], 0 offset:436
	;; [unrolled: 1-line block ×4, first 2 shown]
.LBB124_694:                            ; =>This Inner Loop Header: Depth=1
	buffer_load_dword v20, off, s[0:3], 0 offset:440
	buffer_load_dword v21, off, s[0:3], 0 offset:444
	;; [unrolled: 1-line block ×4, first 2 shown]
	v_mov_b32_e32 v0, s18
	buffer_load_dword v24, v0, s[0:3], 0 offen
	buffer_load_dword v25, v0, s[0:3], 0 offen offset:4
	buffer_load_dword v26, v0, s[0:3], 0 offen offset:8
	buffer_load_dword v27, v0, s[0:3], 0 offen offset:12
	v_add_u32_e32 v5, s18, v16
	ds_read2_b64 v[1:4], v5 offset1:1
	buffer_load_dword v28, v0, s[0:3], 0 offen offset:16
	buffer_load_dword v29, v0, s[0:3], 0 offen offset:20
	;; [unrolled: 1-line block ×4, first 2 shown]
	ds_read2_b64 v[10:13], v5 offset0:2 offset1:3
	s_addk_i32 s18, 0x70
	s_cmpk_lg_i32 s18, 0x3f0
	s_waitcnt vmcnt(10) lgkmcnt(1)
	v_mul_f64 v[32:33], v[3:4], v[20:21]
	v_mul_f64 v[20:21], v[1:2], v[20:21]
	s_waitcnt vmcnt(8)
	v_fma_f64 v[1:2], v[1:2], v[22:23], -v[32:33]
	v_fma_f64 v[3:4], v[3:4], v[22:23], v[20:21]
	s_waitcnt vmcnt(6)
	v_add_f64 v[1:2], v[24:25], -v[1:2]
	s_waitcnt vmcnt(4)
	v_add_f64 v[3:4], v[26:27], -v[3:4]
	buffer_store_dword v2, v0, s[0:3], 0 offen offset:4
	buffer_store_dword v1, v0, s[0:3], 0 offen
	buffer_store_dword v4, v0, s[0:3], 0 offen offset:12
	buffer_store_dword v3, v0, s[0:3], 0 offen offset:8
	buffer_load_dword v2, off, s[0:3], 0 offset:444
	s_nop 0
	buffer_load_dword v1, off, s[0:3], 0 offset:440
	buffer_load_dword v4, off, s[0:3], 0 offset:436
	;; [unrolled: 1-line block ×3, first 2 shown]
	buffer_load_dword v20, v0, s[0:3], 0 offen offset:32
	buffer_load_dword v21, v0, s[0:3], 0 offen offset:36
	;; [unrolled: 1-line block ×4, first 2 shown]
	s_waitcnt vmcnt(6) lgkmcnt(0)
	v_mul_f64 v[24:25], v[12:13], v[1:2]
	v_mul_f64 v[1:2], v[10:11], v[1:2]
	s_waitcnt vmcnt(4)
	v_fma_f64 v[10:11], v[10:11], v[3:4], -v[24:25]
	v_fma_f64 v[1:2], v[12:13], v[3:4], v[1:2]
	v_add_f64 v[3:4], v[28:29], -v[10:11]
	v_add_f64 v[1:2], v[30:31], -v[1:2]
	buffer_store_dword v4, v0, s[0:3], 0 offen offset:20
	buffer_store_dword v3, v0, s[0:3], 0 offen offset:16
	;; [unrolled: 1-line block ×4, first 2 shown]
	buffer_load_dword v24, off, s[0:3], 0 offset:440
	buffer_load_dword v25, off, s[0:3], 0 offset:444
	;; [unrolled: 1-line block ×4, first 2 shown]
	ds_read2_b64 v[1:4], v5 offset0:4 offset1:5
	ds_read2_b64 v[10:13], v5 offset0:6 offset1:7
	s_waitcnt vmcnt(2) lgkmcnt(1)
	v_mul_f64 v[28:29], v[3:4], v[24:25]
	v_mul_f64 v[24:25], v[1:2], v[24:25]
	s_waitcnt vmcnt(0)
	v_fma_f64 v[1:2], v[1:2], v[26:27], -v[28:29]
	v_fma_f64 v[3:4], v[3:4], v[26:27], v[24:25]
	v_add_f64 v[1:2], v[20:21], -v[1:2]
	v_add_f64 v[3:4], v[22:23], -v[3:4]
	buffer_store_dword v2, v0, s[0:3], 0 offen offset:36
	buffer_store_dword v1, v0, s[0:3], 0 offen offset:32
	;; [unrolled: 1-line block ×4, first 2 shown]
	buffer_load_dword v1, off, s[0:3], 0 offset:440
	s_nop 0
	buffer_load_dword v2, off, s[0:3], 0 offset:444
	buffer_load_dword v3, off, s[0:3], 0 offset:432
	buffer_load_dword v4, off, s[0:3], 0 offset:436
	buffer_load_dword v20, v0, s[0:3], 0 offen offset:48
	buffer_load_dword v21, v0, s[0:3], 0 offen offset:52
	;; [unrolled: 1-line block ×4, first 2 shown]
	s_waitcnt vmcnt(6) lgkmcnt(0)
	v_mul_f64 v[24:25], v[12:13], v[1:2]
	v_mul_f64 v[1:2], v[10:11], v[1:2]
	s_waitcnt vmcnt(4)
	v_fma_f64 v[10:11], v[10:11], v[3:4], -v[24:25]
	v_fma_f64 v[1:2], v[12:13], v[3:4], v[1:2]
	s_waitcnt vmcnt(2)
	v_add_f64 v[3:4], v[20:21], -v[10:11]
	s_waitcnt vmcnt(0)
	v_add_f64 v[1:2], v[22:23], -v[1:2]
	buffer_store_dword v4, v0, s[0:3], 0 offen offset:52
	buffer_store_dword v3, v0, s[0:3], 0 offen offset:48
	;; [unrolled: 1-line block ×4, first 2 shown]
	buffer_load_dword v20, off, s[0:3], 0 offset:440
	buffer_load_dword v21, off, s[0:3], 0 offset:444
	;; [unrolled: 1-line block ×4, first 2 shown]
	buffer_load_dword v24, v0, s[0:3], 0 offen offset:64
	buffer_load_dword v25, v0, s[0:3], 0 offen offset:68
	;; [unrolled: 1-line block ×4, first 2 shown]
	ds_read2_b64 v[1:4], v5 offset0:8 offset1:9
	ds_read2_b64 v[10:13], v5 offset0:10 offset1:11
	s_waitcnt vmcnt(6) lgkmcnt(1)
	v_mul_f64 v[28:29], v[3:4], v[20:21]
	v_mul_f64 v[20:21], v[1:2], v[20:21]
	s_waitcnt vmcnt(4)
	v_fma_f64 v[1:2], v[1:2], v[22:23], -v[28:29]
	v_fma_f64 v[3:4], v[3:4], v[22:23], v[20:21]
	s_waitcnt vmcnt(2)
	v_add_f64 v[1:2], v[24:25], -v[1:2]
	s_waitcnt vmcnt(0)
	v_add_f64 v[3:4], v[26:27], -v[3:4]
	buffer_store_dword v2, v0, s[0:3], 0 offen offset:68
	buffer_store_dword v1, v0, s[0:3], 0 offen offset:64
	;; [unrolled: 1-line block ×4, first 2 shown]
	buffer_load_dword v1, off, s[0:3], 0 offset:440
	s_nop 0
	buffer_load_dword v2, off, s[0:3], 0 offset:444
	buffer_load_dword v3, off, s[0:3], 0 offset:432
	;; [unrolled: 1-line block ×3, first 2 shown]
	buffer_load_dword v20, v0, s[0:3], 0 offen offset:80
	buffer_load_dword v21, v0, s[0:3], 0 offen offset:84
	;; [unrolled: 1-line block ×4, first 2 shown]
	s_waitcnt vmcnt(6) lgkmcnt(0)
	v_mul_f64 v[24:25], v[12:13], v[1:2]
	v_mul_f64 v[1:2], v[10:11], v[1:2]
	s_waitcnt vmcnt(4)
	v_fma_f64 v[10:11], v[10:11], v[3:4], -v[24:25]
	v_fma_f64 v[1:2], v[12:13], v[3:4], v[1:2]
	s_waitcnt vmcnt(2)
	v_add_f64 v[3:4], v[20:21], -v[10:11]
	s_waitcnt vmcnt(0)
	v_add_f64 v[1:2], v[22:23], -v[1:2]
	buffer_store_dword v4, v0, s[0:3], 0 offen offset:84
	buffer_store_dword v3, v0, s[0:3], 0 offen offset:80
	;; [unrolled: 1-line block ×4, first 2 shown]
	buffer_load_dword v10, off, s[0:3], 0 offset:440
	buffer_load_dword v11, off, s[0:3], 0 offset:444
	;; [unrolled: 1-line block ×4, first 2 shown]
	buffer_load_dword v20, v0, s[0:3], 0 offen offset:96
	buffer_load_dword v21, v0, s[0:3], 0 offen offset:100
	;; [unrolled: 1-line block ×4, first 2 shown]
	ds_read2_b64 v[1:4], v5 offset0:12 offset1:13
	s_waitcnt vmcnt(6) lgkmcnt(0)
	v_mul_f64 v[24:25], v[3:4], v[10:11]
	v_mul_f64 v[10:11], v[1:2], v[10:11]
	s_waitcnt vmcnt(4)
	v_fma_f64 v[1:2], v[1:2], v[12:13], -v[24:25]
	v_fma_f64 v[3:4], v[3:4], v[12:13], v[10:11]
	s_waitcnt vmcnt(2)
	v_add_f64 v[1:2], v[20:21], -v[1:2]
	s_waitcnt vmcnt(0)
	v_add_f64 v[3:4], v[22:23], -v[3:4]
	buffer_store_dword v2, v0, s[0:3], 0 offen offset:100
	buffer_store_dword v1, v0, s[0:3], 0 offen offset:96
	;; [unrolled: 1-line block ×4, first 2 shown]
	s_cbranch_scc1 .LBB124_694
.LBB124_695:
	s_or_b64 exec, exec, s[4:5]
	v_mov_b32_e32 v3, s60
	s_waitcnt vmcnt(0)
	s_barrier
	buffer_load_dword v0, v3, s[0:3], 0 offen
	buffer_load_dword v1, v3, s[0:3], 0 offen offset:4
	buffer_load_dword v2, v3, s[0:3], 0 offen offset:8
	s_nop 0
	buffer_load_dword v3, v3, s[0:3], 0 offen offset:12
	v_lshl_add_u32 v4, v19, 4, v16
	s_cmp_lt_i32 s65, 30
	s_waitcnt vmcnt(0)
	ds_write2_b64 v4, v[0:1], v[2:3] offset1:1
	s_waitcnt lgkmcnt(0)
	s_barrier
	ds_read2_b64 v[0:3], v16 offset0:56 offset1:57
	v_mov_b32_e32 v4, 28
	s_cbranch_scc1 .LBB124_698
; %bb.696:
	v_add_u32_e32 v5, 0x1d0, v16
	s_mov_b32 s16, 29
	v_mov_b32_e32 v4, 28
.LBB124_697:                            ; =>This Inner Loop Header: Depth=1
	s_waitcnt lgkmcnt(0)
	v_cmp_gt_f64_e32 vcc, 0, v[2:3]
	v_cmp_gt_f64_e64 s[4:5], 0, v[0:1]
	ds_read2_b64 v[10:13], v5 offset1:1
	v_xor_b32_e32 v21, 0x80000000, v1
	v_xor_b32_e32 v23, 0x80000000, v3
	v_mov_b32_e32 v20, v0
	v_mov_b32_e32 v22, v2
	s_waitcnt lgkmcnt(0)
	v_xor_b32_e32 v25, 0x80000000, v13
	v_cndmask_b32_e32 v23, v3, v23, vcc
	v_cndmask_b32_e64 v21, v1, v21, s[4:5]
	v_cmp_gt_f64_e32 vcc, 0, v[12:13]
	v_cmp_gt_f64_e64 s[4:5], 0, v[10:11]
	v_add_f64 v[20:21], v[20:21], v[22:23]
	v_xor_b32_e32 v23, 0x80000000, v11
	v_mov_b32_e32 v22, v10
	v_mov_b32_e32 v24, v12
	v_add_u32_e32 v5, 16, v5
	v_cndmask_b32_e32 v25, v13, v25, vcc
	v_cndmask_b32_e64 v23, v11, v23, s[4:5]
	v_add_f64 v[22:23], v[22:23], v[24:25]
	v_mov_b32_e32 v24, s16
	s_add_i32 s16, s16, 1
	s_cmp_lg_u32 s65, s16
	v_cmp_lt_f64_e32 vcc, v[20:21], v[22:23]
	v_cndmask_b32_e32 v1, v1, v11, vcc
	v_cndmask_b32_e32 v0, v0, v10, vcc
	v_cndmask_b32_e32 v3, v3, v13, vcc
	v_cndmask_b32_e32 v2, v2, v12, vcc
	v_cndmask_b32_e32 v4, v4, v24, vcc
	s_cbranch_scc1 .LBB124_697
.LBB124_698:
	s_waitcnt lgkmcnt(0)
	v_cmp_eq_f64_e32 vcc, 0, v[0:1]
	v_cmp_eq_f64_e64 s[4:5], 0, v[2:3]
	s_and_b64 s[4:5], vcc, s[4:5]
	s_and_saveexec_b64 s[16:17], s[4:5]
	s_xor_b64 s[4:5], exec, s[16:17]
; %bb.699:
	v_cmp_ne_u32_e32 vcc, 0, v17
	v_cndmask_b32_e32 v17, 29, v17, vcc
; %bb.700:
	s_andn2_saveexec_b64 s[4:5], s[4:5]
	s_cbranch_execz .LBB124_706
; %bb.701:
	v_cmp_ngt_f64_e64 s[16:17], |v[0:1]|, |v[2:3]|
	s_and_saveexec_b64 s[18:19], s[16:17]
	s_xor_b64 s[18:19], exec, s[18:19]
	s_cbranch_execz .LBB124_703
; %bb.702:
	v_div_scale_f64 v[10:11], s[16:17], v[2:3], v[2:3], v[0:1]
	v_rcp_f64_e32 v[12:13], v[10:11]
	v_fma_f64 v[20:21], -v[10:11], v[12:13], 1.0
	v_fma_f64 v[12:13], v[12:13], v[20:21], v[12:13]
	v_div_scale_f64 v[20:21], vcc, v[0:1], v[2:3], v[0:1]
	v_fma_f64 v[22:23], -v[10:11], v[12:13], 1.0
	v_fma_f64 v[12:13], v[12:13], v[22:23], v[12:13]
	v_mul_f64 v[22:23], v[20:21], v[12:13]
	v_fma_f64 v[10:11], -v[10:11], v[22:23], v[20:21]
	v_div_fmas_f64 v[10:11], v[10:11], v[12:13], v[22:23]
	v_div_fixup_f64 v[10:11], v[10:11], v[2:3], v[0:1]
	v_fma_f64 v[0:1], v[0:1], v[10:11], v[2:3]
	v_div_scale_f64 v[2:3], s[16:17], v[0:1], v[0:1], 1.0
	v_div_scale_f64 v[22:23], vcc, 1.0, v[0:1], 1.0
	v_rcp_f64_e32 v[12:13], v[2:3]
	v_fma_f64 v[20:21], -v[2:3], v[12:13], 1.0
	v_fma_f64 v[12:13], v[12:13], v[20:21], v[12:13]
	v_fma_f64 v[20:21], -v[2:3], v[12:13], 1.0
	v_fma_f64 v[12:13], v[12:13], v[20:21], v[12:13]
	v_mul_f64 v[20:21], v[22:23], v[12:13]
	v_fma_f64 v[2:3], -v[2:3], v[20:21], v[22:23]
	v_div_fmas_f64 v[2:3], v[2:3], v[12:13], v[20:21]
	v_div_fixup_f64 v[2:3], v[2:3], v[0:1], 1.0
	v_mul_f64 v[0:1], v[10:11], v[2:3]
	v_xor_b32_e32 v3, 0x80000000, v3
.LBB124_703:
	s_andn2_saveexec_b64 s[18:19], s[18:19]
	s_cbranch_execz .LBB124_705
; %bb.704:
	v_div_scale_f64 v[10:11], s[16:17], v[0:1], v[0:1], v[2:3]
	v_rcp_f64_e32 v[12:13], v[10:11]
	v_fma_f64 v[20:21], -v[10:11], v[12:13], 1.0
	v_fma_f64 v[12:13], v[12:13], v[20:21], v[12:13]
	v_div_scale_f64 v[20:21], vcc, v[2:3], v[0:1], v[2:3]
	v_fma_f64 v[22:23], -v[10:11], v[12:13], 1.0
	v_fma_f64 v[12:13], v[12:13], v[22:23], v[12:13]
	v_mul_f64 v[22:23], v[20:21], v[12:13]
	v_fma_f64 v[10:11], -v[10:11], v[22:23], v[20:21]
	v_div_fmas_f64 v[10:11], v[10:11], v[12:13], v[22:23]
	v_div_fixup_f64 v[10:11], v[10:11], v[0:1], v[2:3]
	v_fma_f64 v[0:1], v[2:3], v[10:11], v[0:1]
	v_div_scale_f64 v[2:3], s[16:17], v[0:1], v[0:1], 1.0
	v_div_scale_f64 v[22:23], vcc, 1.0, v[0:1], 1.0
	v_rcp_f64_e32 v[12:13], v[2:3]
	v_fma_f64 v[20:21], -v[2:3], v[12:13], 1.0
	v_fma_f64 v[12:13], v[12:13], v[20:21], v[12:13]
	v_fma_f64 v[20:21], -v[2:3], v[12:13], 1.0
	v_fma_f64 v[12:13], v[12:13], v[20:21], v[12:13]
	v_mul_f64 v[20:21], v[22:23], v[12:13]
	v_fma_f64 v[2:3], -v[2:3], v[20:21], v[22:23]
	v_div_fmas_f64 v[2:3], v[2:3], v[12:13], v[20:21]
	v_div_fixup_f64 v[0:1], v[2:3], v[0:1], 1.0
	v_mul_f64 v[2:3], v[10:11], -v[0:1]
.LBB124_705:
	s_or_b64 exec, exec, s[18:19]
.LBB124_706:
	s_or_b64 exec, exec, s[4:5]
	v_cmp_ne_u32_e32 vcc, v19, v4
	s_and_saveexec_b64 s[4:5], vcc
	s_xor_b64 s[4:5], exec, s[4:5]
	s_cbranch_execz .LBB124_712
; %bb.707:
	v_cmp_eq_u32_e32 vcc, 28, v19
	s_and_saveexec_b64 s[18:19], vcc
	s_cbranch_execz .LBB124_711
; %bb.708:
	v_cmp_ne_u32_e32 vcc, 28, v4
	s_xor_b64 s[16:17], s[10:11], -1
	s_and_b64 s[16:17], s[16:17], vcc
	s_and_saveexec_b64 s[24:25], s[16:17]
	s_cbranch_execz .LBB124_710
; %bb.709:
	v_ashrrev_i32_e32 v5, 31, v4
	v_lshlrev_b64 v[10:11], 2, v[4:5]
	v_add_co_u32_e32 v10, vcc, v8, v10
	v_addc_co_u32_e32 v11, vcc, v9, v11, vcc
	global_load_dword v5, v[10:11], off
	global_load_dword v12, v[8:9], off offset:112
	s_waitcnt vmcnt(1)
	global_store_dword v[8:9], v5, off offset:112
	s_waitcnt vmcnt(1)
	global_store_dword v[10:11], v12, off
.LBB124_710:
	s_or_b64 exec, exec, s[24:25]
	v_mov_b32_e32 v19, v4
	v_mov_b32_e32 v18, v4
.LBB124_711:
	s_or_b64 exec, exec, s[18:19]
.LBB124_712:
	s_andn2_saveexec_b64 s[4:5], s[4:5]
	s_cbranch_execz .LBB124_714
; %bb.713:
	v_mov_b32_e32 v11, s59
	buffer_load_dword v4, v11, s[0:3], 0 offen
	buffer_load_dword v5, v11, s[0:3], 0 offen offset:4
	buffer_load_dword v10, v11, s[0:3], 0 offen offset:8
	s_nop 0
	buffer_load_dword v11, v11, s[0:3], 0 offen offset:12
	v_mov_b32_e32 v19, 28
	s_waitcnt vmcnt(0)
	ds_write2_b64 v16, v[4:5], v[10:11] offset0:58 offset1:59
	v_mov_b32_e32 v11, s58
	buffer_load_dword v4, v11, s[0:3], 0 offen
	buffer_load_dword v5, v11, s[0:3], 0 offen offset:4
	buffer_load_dword v10, v11, s[0:3], 0 offen offset:8
	s_nop 0
	buffer_load_dword v11, v11, s[0:3], 0 offen offset:12
	s_waitcnt vmcnt(0)
	ds_write2_b64 v16, v[4:5], v[10:11] offset0:60 offset1:61
	v_mov_b32_e32 v11, s8
	buffer_load_dword v4, v11, s[0:3], 0 offen
	buffer_load_dword v5, v11, s[0:3], 0 offen offset:4
	buffer_load_dword v10, v11, s[0:3], 0 offen offset:8
	s_nop 0
	buffer_load_dword v11, v11, s[0:3], 0 offen offset:12
	;; [unrolled: 8-line block ×33, first 2 shown]
	s_waitcnt vmcnt(0)
	ds_write2_b64 v16, v[4:5], v[10:11] offset0:124 offset1:125
.LBB124_714:
	s_or_b64 exec, exec, s[4:5]
	v_cmp_lt_i32_e32 vcc, 28, v19
	s_waitcnt vmcnt(0) lgkmcnt(0)
	s_barrier
	s_and_saveexec_b64 s[4:5], vcc
	s_cbranch_execz .LBB124_717
; %bb.715:
	buffer_load_dword v4, off, s[0:3], 0 offset:456
	buffer_load_dword v5, off, s[0:3], 0 offset:460
	buffer_load_dword v10, off, s[0:3], 0 offset:448
	buffer_load_dword v11, off, s[0:3], 0 offset:452
	s_movk_i32 s16, 0x1d0
	s_waitcnt vmcnt(2)
	v_mul_f64 v[12:13], v[2:3], v[4:5]
	v_mul_f64 v[4:5], v[0:1], v[4:5]
	s_waitcnt vmcnt(0)
	v_fma_f64 v[0:1], v[0:1], v[10:11], -v[12:13]
	v_fma_f64 v[2:3], v[2:3], v[10:11], v[4:5]
	buffer_store_dword v0, off, s[0:3], 0 offset:448
	buffer_store_dword v1, off, s[0:3], 0 offset:452
	;; [unrolled: 1-line block ×4, first 2 shown]
.LBB124_716:                            ; =>This Inner Loop Header: Depth=1
	buffer_load_dword v4, off, s[0:3], 0 offset:456
	buffer_load_dword v5, off, s[0:3], 0 offset:460
	;; [unrolled: 1-line block ×4, first 2 shown]
	v_mov_b32_e32 v32, s16
	buffer_load_dword v22, v32, s[0:3], 0 offen
	buffer_load_dword v23, v32, s[0:3], 0 offen offset:4
	buffer_load_dword v24, v32, s[0:3], 0 offen offset:8
	buffer_load_dword v25, v32, s[0:3], 0 offen offset:12
	v_add_u32_e32 v10, s16, v16
	ds_read2_b64 v[0:3], v10 offset1:1
	buffer_load_dword v26, v32, s[0:3], 0 offen offset:16
	buffer_load_dword v27, v32, s[0:3], 0 offen offset:20
	buffer_load_dword v28, v32, s[0:3], 0 offen offset:24
	buffer_load_dword v29, v32, s[0:3], 0 offen offset:28
	ds_read2_b64 v[10:13], v10 offset0:2 offset1:3
	s_add_i32 s16, s16, 32
	s_cmpk_lg_i32 s16, 0x3f0
	s_waitcnt vmcnt(10) lgkmcnt(1)
	v_mul_f64 v[30:31], v[2:3], v[4:5]
	v_mul_f64 v[4:5], v[0:1], v[4:5]
	s_waitcnt vmcnt(8)
	v_fma_f64 v[0:1], v[0:1], v[20:21], -v[30:31]
	v_fma_f64 v[2:3], v[2:3], v[20:21], v[4:5]
	s_waitcnt vmcnt(6)
	v_add_f64 v[0:1], v[22:23], -v[0:1]
	s_waitcnt vmcnt(4)
	v_add_f64 v[2:3], v[24:25], -v[2:3]
	buffer_store_dword v1, v32, s[0:3], 0 offen offset:4
	buffer_store_dword v0, v32, s[0:3], 0 offen
	buffer_store_dword v3, v32, s[0:3], 0 offen offset:12
	buffer_store_dword v2, v32, s[0:3], 0 offen offset:8
	buffer_load_dword v1, off, s[0:3], 0 offset:460
	s_nop 0
	buffer_load_dword v0, off, s[0:3], 0 offset:456
	buffer_load_dword v3, off, s[0:3], 0 offset:452
	;; [unrolled: 1-line block ×3, first 2 shown]
	s_waitcnt vmcnt(2) lgkmcnt(0)
	v_mul_f64 v[4:5], v[12:13], v[0:1]
	v_mul_f64 v[0:1], v[10:11], v[0:1]
	s_waitcnt vmcnt(0)
	v_fma_f64 v[4:5], v[10:11], v[2:3], -v[4:5]
	v_fma_f64 v[0:1], v[12:13], v[2:3], v[0:1]
	v_add_f64 v[2:3], v[26:27], -v[4:5]
	v_add_f64 v[0:1], v[28:29], -v[0:1]
	buffer_store_dword v3, v32, s[0:3], 0 offen offset:20
	buffer_store_dword v2, v32, s[0:3], 0 offen offset:16
	;; [unrolled: 1-line block ×4, first 2 shown]
	s_cbranch_scc1 .LBB124_716
.LBB124_717:
	s_or_b64 exec, exec, s[4:5]
	v_mov_b32_e32 v3, s59
	s_waitcnt vmcnt(0)
	s_barrier
	buffer_load_dword v0, v3, s[0:3], 0 offen
	buffer_load_dword v1, v3, s[0:3], 0 offen offset:4
	buffer_load_dword v2, v3, s[0:3], 0 offen offset:8
	s_nop 0
	buffer_load_dword v3, v3, s[0:3], 0 offen offset:12
	v_lshl_add_u32 v4, v19, 4, v16
	s_cmp_lt_i32 s65, 31
	s_waitcnt vmcnt(0)
	ds_write2_b64 v4, v[0:1], v[2:3] offset1:1
	s_waitcnt lgkmcnt(0)
	s_barrier
	ds_read2_b64 v[0:3], v16 offset0:58 offset1:59
	v_mov_b32_e32 v4, 29
	s_cbranch_scc1 .LBB124_720
; %bb.718:
	v_add_u32_e32 v5, 0x1e0, v16
	s_mov_b32 s16, 30
	v_mov_b32_e32 v4, 29
.LBB124_719:                            ; =>This Inner Loop Header: Depth=1
	s_waitcnt lgkmcnt(0)
	v_cmp_gt_f64_e32 vcc, 0, v[2:3]
	v_cmp_gt_f64_e64 s[4:5], 0, v[0:1]
	ds_read2_b64 v[10:13], v5 offset1:1
	v_xor_b32_e32 v21, 0x80000000, v1
	v_xor_b32_e32 v23, 0x80000000, v3
	v_mov_b32_e32 v20, v0
	v_mov_b32_e32 v22, v2
	s_waitcnt lgkmcnt(0)
	v_xor_b32_e32 v25, 0x80000000, v13
	v_cndmask_b32_e32 v23, v3, v23, vcc
	v_cndmask_b32_e64 v21, v1, v21, s[4:5]
	v_cmp_gt_f64_e32 vcc, 0, v[12:13]
	v_cmp_gt_f64_e64 s[4:5], 0, v[10:11]
	v_add_f64 v[20:21], v[20:21], v[22:23]
	v_xor_b32_e32 v23, 0x80000000, v11
	v_mov_b32_e32 v22, v10
	v_mov_b32_e32 v24, v12
	v_add_u32_e32 v5, 16, v5
	v_cndmask_b32_e32 v25, v13, v25, vcc
	v_cndmask_b32_e64 v23, v11, v23, s[4:5]
	v_add_f64 v[22:23], v[22:23], v[24:25]
	v_mov_b32_e32 v24, s16
	s_add_i32 s16, s16, 1
	s_cmp_lg_u32 s65, s16
	v_cmp_lt_f64_e32 vcc, v[20:21], v[22:23]
	v_cndmask_b32_e32 v1, v1, v11, vcc
	v_cndmask_b32_e32 v0, v0, v10, vcc
	;; [unrolled: 1-line block ×5, first 2 shown]
	s_cbranch_scc1 .LBB124_719
.LBB124_720:
	s_waitcnt lgkmcnt(0)
	v_cmp_eq_f64_e32 vcc, 0, v[0:1]
	v_cmp_eq_f64_e64 s[4:5], 0, v[2:3]
	s_and_b64 s[4:5], vcc, s[4:5]
	s_and_saveexec_b64 s[16:17], s[4:5]
	s_xor_b64 s[4:5], exec, s[16:17]
; %bb.721:
	v_cmp_ne_u32_e32 vcc, 0, v17
	v_cndmask_b32_e32 v17, 30, v17, vcc
; %bb.722:
	s_andn2_saveexec_b64 s[4:5], s[4:5]
	s_cbranch_execz .LBB124_728
; %bb.723:
	v_cmp_ngt_f64_e64 s[16:17], |v[0:1]|, |v[2:3]|
	s_and_saveexec_b64 s[18:19], s[16:17]
	s_xor_b64 s[18:19], exec, s[18:19]
	s_cbranch_execz .LBB124_725
; %bb.724:
	v_div_scale_f64 v[10:11], s[16:17], v[2:3], v[2:3], v[0:1]
	v_rcp_f64_e32 v[12:13], v[10:11]
	v_fma_f64 v[20:21], -v[10:11], v[12:13], 1.0
	v_fma_f64 v[12:13], v[12:13], v[20:21], v[12:13]
	v_div_scale_f64 v[20:21], vcc, v[0:1], v[2:3], v[0:1]
	v_fma_f64 v[22:23], -v[10:11], v[12:13], 1.0
	v_fma_f64 v[12:13], v[12:13], v[22:23], v[12:13]
	v_mul_f64 v[22:23], v[20:21], v[12:13]
	v_fma_f64 v[10:11], -v[10:11], v[22:23], v[20:21]
	v_div_fmas_f64 v[10:11], v[10:11], v[12:13], v[22:23]
	v_div_fixup_f64 v[10:11], v[10:11], v[2:3], v[0:1]
	v_fma_f64 v[0:1], v[0:1], v[10:11], v[2:3]
	v_div_scale_f64 v[2:3], s[16:17], v[0:1], v[0:1], 1.0
	v_div_scale_f64 v[22:23], vcc, 1.0, v[0:1], 1.0
	v_rcp_f64_e32 v[12:13], v[2:3]
	v_fma_f64 v[20:21], -v[2:3], v[12:13], 1.0
	v_fma_f64 v[12:13], v[12:13], v[20:21], v[12:13]
	v_fma_f64 v[20:21], -v[2:3], v[12:13], 1.0
	v_fma_f64 v[12:13], v[12:13], v[20:21], v[12:13]
	v_mul_f64 v[20:21], v[22:23], v[12:13]
	v_fma_f64 v[2:3], -v[2:3], v[20:21], v[22:23]
	v_div_fmas_f64 v[2:3], v[2:3], v[12:13], v[20:21]
	v_div_fixup_f64 v[2:3], v[2:3], v[0:1], 1.0
	v_mul_f64 v[0:1], v[10:11], v[2:3]
	v_xor_b32_e32 v3, 0x80000000, v3
.LBB124_725:
	s_andn2_saveexec_b64 s[18:19], s[18:19]
	s_cbranch_execz .LBB124_727
; %bb.726:
	v_div_scale_f64 v[10:11], s[16:17], v[0:1], v[0:1], v[2:3]
	v_rcp_f64_e32 v[12:13], v[10:11]
	v_fma_f64 v[20:21], -v[10:11], v[12:13], 1.0
	v_fma_f64 v[12:13], v[12:13], v[20:21], v[12:13]
	v_div_scale_f64 v[20:21], vcc, v[2:3], v[0:1], v[2:3]
	v_fma_f64 v[22:23], -v[10:11], v[12:13], 1.0
	v_fma_f64 v[12:13], v[12:13], v[22:23], v[12:13]
	v_mul_f64 v[22:23], v[20:21], v[12:13]
	v_fma_f64 v[10:11], -v[10:11], v[22:23], v[20:21]
	v_div_fmas_f64 v[10:11], v[10:11], v[12:13], v[22:23]
	v_div_fixup_f64 v[10:11], v[10:11], v[0:1], v[2:3]
	v_fma_f64 v[0:1], v[2:3], v[10:11], v[0:1]
	v_div_scale_f64 v[2:3], s[16:17], v[0:1], v[0:1], 1.0
	v_div_scale_f64 v[22:23], vcc, 1.0, v[0:1], 1.0
	v_rcp_f64_e32 v[12:13], v[2:3]
	v_fma_f64 v[20:21], -v[2:3], v[12:13], 1.0
	v_fma_f64 v[12:13], v[12:13], v[20:21], v[12:13]
	v_fma_f64 v[20:21], -v[2:3], v[12:13], 1.0
	v_fma_f64 v[12:13], v[12:13], v[20:21], v[12:13]
	v_mul_f64 v[20:21], v[22:23], v[12:13]
	v_fma_f64 v[2:3], -v[2:3], v[20:21], v[22:23]
	v_div_fmas_f64 v[2:3], v[2:3], v[12:13], v[20:21]
	v_div_fixup_f64 v[0:1], v[2:3], v[0:1], 1.0
	v_mul_f64 v[2:3], v[10:11], -v[0:1]
.LBB124_727:
	s_or_b64 exec, exec, s[18:19]
.LBB124_728:
	s_or_b64 exec, exec, s[4:5]
	v_cmp_ne_u32_e32 vcc, v19, v4
	s_and_saveexec_b64 s[4:5], vcc
	s_xor_b64 s[4:5], exec, s[4:5]
	s_cbranch_execz .LBB124_734
; %bb.729:
	v_cmp_eq_u32_e32 vcc, 29, v19
	s_and_saveexec_b64 s[18:19], vcc
	s_cbranch_execz .LBB124_733
; %bb.730:
	v_cmp_ne_u32_e32 vcc, 29, v4
	s_xor_b64 s[16:17], s[10:11], -1
	s_and_b64 s[16:17], s[16:17], vcc
	s_and_saveexec_b64 s[24:25], s[16:17]
	s_cbranch_execz .LBB124_732
; %bb.731:
	v_ashrrev_i32_e32 v5, 31, v4
	v_lshlrev_b64 v[10:11], 2, v[4:5]
	v_add_co_u32_e32 v10, vcc, v8, v10
	v_addc_co_u32_e32 v11, vcc, v9, v11, vcc
	global_load_dword v5, v[10:11], off
	global_load_dword v12, v[8:9], off offset:116
	s_waitcnt vmcnt(1)
	global_store_dword v[8:9], v5, off offset:116
	s_waitcnt vmcnt(1)
	global_store_dword v[10:11], v12, off
.LBB124_732:
	s_or_b64 exec, exec, s[24:25]
	v_mov_b32_e32 v19, v4
	v_mov_b32_e32 v18, v4
.LBB124_733:
	s_or_b64 exec, exec, s[18:19]
.LBB124_734:
	s_andn2_saveexec_b64 s[4:5], s[4:5]
	s_cbranch_execz .LBB124_736
; %bb.735:
	v_mov_b32_e32 v11, s58
	buffer_load_dword v4, v11, s[0:3], 0 offen
	buffer_load_dword v5, v11, s[0:3], 0 offen offset:4
	buffer_load_dword v10, v11, s[0:3], 0 offen offset:8
	s_nop 0
	buffer_load_dword v11, v11, s[0:3], 0 offen offset:12
	v_mov_b32_e32 v19, 29
	s_waitcnt vmcnt(0)
	ds_write2_b64 v16, v[4:5], v[10:11] offset0:60 offset1:61
	v_mov_b32_e32 v11, s8
	buffer_load_dword v4, v11, s[0:3], 0 offen
	buffer_load_dword v5, v11, s[0:3], 0 offen offset:4
	buffer_load_dword v10, v11, s[0:3], 0 offen offset:8
	s_nop 0
	buffer_load_dword v11, v11, s[0:3], 0 offen offset:12
	s_waitcnt vmcnt(0)
	ds_write2_b64 v16, v[4:5], v[10:11] offset0:62 offset1:63
	v_mov_b32_e32 v11, s56
	buffer_load_dword v4, v11, s[0:3], 0 offen
	buffer_load_dword v5, v11, s[0:3], 0 offen offset:4
	buffer_load_dword v10, v11, s[0:3], 0 offen offset:8
	s_nop 0
	buffer_load_dword v11, v11, s[0:3], 0 offen offset:12
	s_waitcnt vmcnt(0)
	ds_write2_b64 v16, v[4:5], v[10:11] offset0:64 offset1:65
	v_mov_b32_e32 v11, s55
	buffer_load_dword v4, v11, s[0:3], 0 offen
	buffer_load_dword v5, v11, s[0:3], 0 offen offset:4
	buffer_load_dword v10, v11, s[0:3], 0 offen offset:8
	s_nop 0
	buffer_load_dword v11, v11, s[0:3], 0 offen offset:12
	s_waitcnt vmcnt(0)
	ds_write2_b64 v16, v[4:5], v[10:11] offset0:66 offset1:67
	v_mov_b32_e32 v11, s54
	buffer_load_dword v4, v11, s[0:3], 0 offen
	buffer_load_dword v5, v11, s[0:3], 0 offen offset:4
	buffer_load_dword v10, v11, s[0:3], 0 offen offset:8
	s_nop 0
	buffer_load_dword v11, v11, s[0:3], 0 offen offset:12
	s_waitcnt vmcnt(0)
	ds_write2_b64 v16, v[4:5], v[10:11] offset0:68 offset1:69
	v_mov_b32_e32 v11, s53
	buffer_load_dword v4, v11, s[0:3], 0 offen
	buffer_load_dword v5, v11, s[0:3], 0 offen offset:4
	buffer_load_dword v10, v11, s[0:3], 0 offen offset:8
	s_nop 0
	buffer_load_dword v11, v11, s[0:3], 0 offen offset:12
	s_waitcnt vmcnt(0)
	ds_write2_b64 v16, v[4:5], v[10:11] offset0:70 offset1:71
	v_mov_b32_e32 v11, s52
	buffer_load_dword v4, v11, s[0:3], 0 offen
	buffer_load_dword v5, v11, s[0:3], 0 offen offset:4
	buffer_load_dword v10, v11, s[0:3], 0 offen offset:8
	s_nop 0
	buffer_load_dword v11, v11, s[0:3], 0 offen offset:12
	s_waitcnt vmcnt(0)
	ds_write2_b64 v16, v[4:5], v[10:11] offset0:72 offset1:73
	v_mov_b32_e32 v11, s51
	buffer_load_dword v4, v11, s[0:3], 0 offen
	buffer_load_dword v5, v11, s[0:3], 0 offen offset:4
	buffer_load_dword v10, v11, s[0:3], 0 offen offset:8
	s_nop 0
	buffer_load_dword v11, v11, s[0:3], 0 offen offset:12
	s_waitcnt vmcnt(0)
	ds_write2_b64 v16, v[4:5], v[10:11] offset0:74 offset1:75
	v_mov_b32_e32 v11, s50
	buffer_load_dword v4, v11, s[0:3], 0 offen
	buffer_load_dword v5, v11, s[0:3], 0 offen offset:4
	buffer_load_dword v10, v11, s[0:3], 0 offen offset:8
	s_nop 0
	buffer_load_dword v11, v11, s[0:3], 0 offen offset:12
	s_waitcnt vmcnt(0)
	ds_write2_b64 v16, v[4:5], v[10:11] offset0:76 offset1:77
	v_mov_b32_e32 v11, s49
	buffer_load_dword v4, v11, s[0:3], 0 offen
	buffer_load_dword v5, v11, s[0:3], 0 offen offset:4
	buffer_load_dword v10, v11, s[0:3], 0 offen offset:8
	s_nop 0
	buffer_load_dword v11, v11, s[0:3], 0 offen offset:12
	s_waitcnt vmcnt(0)
	ds_write2_b64 v16, v[4:5], v[10:11] offset0:78 offset1:79
	v_mov_b32_e32 v11, s47
	buffer_load_dword v4, v11, s[0:3], 0 offen
	buffer_load_dword v5, v11, s[0:3], 0 offen offset:4
	buffer_load_dword v10, v11, s[0:3], 0 offen offset:8
	s_nop 0
	buffer_load_dword v11, v11, s[0:3], 0 offen offset:12
	s_waitcnt vmcnt(0)
	ds_write2_b64 v16, v[4:5], v[10:11] offset0:80 offset1:81
	v_mov_b32_e32 v11, s46
	buffer_load_dword v4, v11, s[0:3], 0 offen
	buffer_load_dword v5, v11, s[0:3], 0 offen offset:4
	buffer_load_dword v10, v11, s[0:3], 0 offen offset:8
	s_nop 0
	buffer_load_dword v11, v11, s[0:3], 0 offen offset:12
	s_waitcnt vmcnt(0)
	ds_write2_b64 v16, v[4:5], v[10:11] offset0:82 offset1:83
	v_mov_b32_e32 v11, s45
	buffer_load_dword v4, v11, s[0:3], 0 offen
	buffer_load_dword v5, v11, s[0:3], 0 offen offset:4
	buffer_load_dword v10, v11, s[0:3], 0 offen offset:8
	s_nop 0
	buffer_load_dword v11, v11, s[0:3], 0 offen offset:12
	s_waitcnt vmcnt(0)
	ds_write2_b64 v16, v[4:5], v[10:11] offset0:84 offset1:85
	v_mov_b32_e32 v11, s44
	buffer_load_dword v4, v11, s[0:3], 0 offen
	buffer_load_dword v5, v11, s[0:3], 0 offen offset:4
	buffer_load_dword v10, v11, s[0:3], 0 offen offset:8
	s_nop 0
	buffer_load_dword v11, v11, s[0:3], 0 offen offset:12
	s_waitcnt vmcnt(0)
	ds_write2_b64 v16, v[4:5], v[10:11] offset0:86 offset1:87
	v_mov_b32_e32 v11, s43
	buffer_load_dword v4, v11, s[0:3], 0 offen
	buffer_load_dword v5, v11, s[0:3], 0 offen offset:4
	buffer_load_dword v10, v11, s[0:3], 0 offen offset:8
	s_nop 0
	buffer_load_dword v11, v11, s[0:3], 0 offen offset:12
	s_waitcnt vmcnt(0)
	ds_write2_b64 v16, v[4:5], v[10:11] offset0:88 offset1:89
	v_mov_b32_e32 v11, s42
	buffer_load_dword v4, v11, s[0:3], 0 offen
	buffer_load_dword v5, v11, s[0:3], 0 offen offset:4
	buffer_load_dword v10, v11, s[0:3], 0 offen offset:8
	s_nop 0
	buffer_load_dword v11, v11, s[0:3], 0 offen offset:12
	s_waitcnt vmcnt(0)
	ds_write2_b64 v16, v[4:5], v[10:11] offset0:90 offset1:91
	v_mov_b32_e32 v11, s41
	buffer_load_dword v4, v11, s[0:3], 0 offen
	buffer_load_dword v5, v11, s[0:3], 0 offen offset:4
	buffer_load_dword v10, v11, s[0:3], 0 offen offset:8
	s_nop 0
	buffer_load_dword v11, v11, s[0:3], 0 offen offset:12
	s_waitcnt vmcnt(0)
	ds_write2_b64 v16, v[4:5], v[10:11] offset0:92 offset1:93
	v_mov_b32_e32 v11, s40
	buffer_load_dword v4, v11, s[0:3], 0 offen
	buffer_load_dword v5, v11, s[0:3], 0 offen offset:4
	buffer_load_dword v10, v11, s[0:3], 0 offen offset:8
	s_nop 0
	buffer_load_dword v11, v11, s[0:3], 0 offen offset:12
	s_waitcnt vmcnt(0)
	ds_write2_b64 v16, v[4:5], v[10:11] offset0:94 offset1:95
	v_mov_b32_e32 v11, s39
	buffer_load_dword v4, v11, s[0:3], 0 offen
	buffer_load_dword v5, v11, s[0:3], 0 offen offset:4
	buffer_load_dword v10, v11, s[0:3], 0 offen offset:8
	s_nop 0
	buffer_load_dword v11, v11, s[0:3], 0 offen offset:12
	s_waitcnt vmcnt(0)
	ds_write2_b64 v16, v[4:5], v[10:11] offset0:96 offset1:97
	v_mov_b32_e32 v11, s38
	buffer_load_dword v4, v11, s[0:3], 0 offen
	buffer_load_dword v5, v11, s[0:3], 0 offen offset:4
	buffer_load_dword v10, v11, s[0:3], 0 offen offset:8
	s_nop 0
	buffer_load_dword v11, v11, s[0:3], 0 offen offset:12
	s_waitcnt vmcnt(0)
	ds_write2_b64 v16, v[4:5], v[10:11] offset0:98 offset1:99
	v_mov_b32_e32 v11, s37
	buffer_load_dword v4, v11, s[0:3], 0 offen
	buffer_load_dword v5, v11, s[0:3], 0 offen offset:4
	buffer_load_dword v10, v11, s[0:3], 0 offen offset:8
	s_nop 0
	buffer_load_dword v11, v11, s[0:3], 0 offen offset:12
	s_waitcnt vmcnt(0)
	ds_write2_b64 v16, v[4:5], v[10:11] offset0:100 offset1:101
	v_mov_b32_e32 v11, s36
	buffer_load_dword v4, v11, s[0:3], 0 offen
	buffer_load_dword v5, v11, s[0:3], 0 offen offset:4
	buffer_load_dword v10, v11, s[0:3], 0 offen offset:8
	s_nop 0
	buffer_load_dword v11, v11, s[0:3], 0 offen offset:12
	s_waitcnt vmcnt(0)
	ds_write2_b64 v16, v[4:5], v[10:11] offset0:102 offset1:103
	v_mov_b32_e32 v11, s35
	buffer_load_dword v4, v11, s[0:3], 0 offen
	buffer_load_dword v5, v11, s[0:3], 0 offen offset:4
	buffer_load_dword v10, v11, s[0:3], 0 offen offset:8
	s_nop 0
	buffer_load_dword v11, v11, s[0:3], 0 offen offset:12
	s_waitcnt vmcnt(0)
	ds_write2_b64 v16, v[4:5], v[10:11] offset0:104 offset1:105
	v_mov_b32_e32 v11, s34
	buffer_load_dword v4, v11, s[0:3], 0 offen
	buffer_load_dword v5, v11, s[0:3], 0 offen offset:4
	buffer_load_dword v10, v11, s[0:3], 0 offen offset:8
	s_nop 0
	buffer_load_dword v11, v11, s[0:3], 0 offen offset:12
	s_waitcnt vmcnt(0)
	ds_write2_b64 v16, v[4:5], v[10:11] offset0:106 offset1:107
	v_mov_b32_e32 v11, s33
	buffer_load_dword v4, v11, s[0:3], 0 offen
	buffer_load_dword v5, v11, s[0:3], 0 offen offset:4
	buffer_load_dword v10, v11, s[0:3], 0 offen offset:8
	s_nop 0
	buffer_load_dword v11, v11, s[0:3], 0 offen offset:12
	s_waitcnt vmcnt(0)
	ds_write2_b64 v16, v[4:5], v[10:11] offset0:108 offset1:109
	v_mov_b32_e32 v11, s31
	buffer_load_dword v4, v11, s[0:3], 0 offen
	buffer_load_dword v5, v11, s[0:3], 0 offen offset:4
	buffer_load_dword v10, v11, s[0:3], 0 offen offset:8
	s_nop 0
	buffer_load_dword v11, v11, s[0:3], 0 offen offset:12
	s_waitcnt vmcnt(0)
	ds_write2_b64 v16, v[4:5], v[10:11] offset0:110 offset1:111
	v_mov_b32_e32 v11, s30
	buffer_load_dword v4, v11, s[0:3], 0 offen
	buffer_load_dword v5, v11, s[0:3], 0 offen offset:4
	buffer_load_dword v10, v11, s[0:3], 0 offen offset:8
	s_nop 0
	buffer_load_dword v11, v11, s[0:3], 0 offen offset:12
	s_waitcnt vmcnt(0)
	ds_write2_b64 v16, v[4:5], v[10:11] offset0:112 offset1:113
	v_mov_b32_e32 v11, s29
	buffer_load_dword v4, v11, s[0:3], 0 offen
	buffer_load_dword v5, v11, s[0:3], 0 offen offset:4
	buffer_load_dword v10, v11, s[0:3], 0 offen offset:8
	s_nop 0
	buffer_load_dword v11, v11, s[0:3], 0 offen offset:12
	s_waitcnt vmcnt(0)
	ds_write2_b64 v16, v[4:5], v[10:11] offset0:114 offset1:115
	v_mov_b32_e32 v11, s28
	buffer_load_dword v4, v11, s[0:3], 0 offen
	buffer_load_dword v5, v11, s[0:3], 0 offen offset:4
	buffer_load_dword v10, v11, s[0:3], 0 offen offset:8
	s_nop 0
	buffer_load_dword v11, v11, s[0:3], 0 offen offset:12
	s_waitcnt vmcnt(0)
	ds_write2_b64 v16, v[4:5], v[10:11] offset0:116 offset1:117
	v_mov_b32_e32 v11, s27
	buffer_load_dword v4, v11, s[0:3], 0 offen
	buffer_load_dword v5, v11, s[0:3], 0 offen offset:4
	buffer_load_dword v10, v11, s[0:3], 0 offen offset:8
	s_nop 0
	buffer_load_dword v11, v11, s[0:3], 0 offen offset:12
	s_waitcnt vmcnt(0)
	ds_write2_b64 v16, v[4:5], v[10:11] offset0:118 offset1:119
	v_mov_b32_e32 v11, s26
	buffer_load_dword v4, v11, s[0:3], 0 offen
	buffer_load_dword v5, v11, s[0:3], 0 offen offset:4
	buffer_load_dword v10, v11, s[0:3], 0 offen offset:8
	s_nop 0
	buffer_load_dword v11, v11, s[0:3], 0 offen offset:12
	s_waitcnt vmcnt(0)
	ds_write2_b64 v16, v[4:5], v[10:11] offset0:120 offset1:121
	v_mov_b32_e32 v11, s20
	buffer_load_dword v4, v11, s[0:3], 0 offen
	buffer_load_dword v5, v11, s[0:3], 0 offen offset:4
	buffer_load_dword v10, v11, s[0:3], 0 offen offset:8
	s_nop 0
	buffer_load_dword v11, v11, s[0:3], 0 offen offset:12
	s_waitcnt vmcnt(0)
	ds_write2_b64 v16, v[4:5], v[10:11] offset0:122 offset1:123
	v_mov_b32_e32 v11, s7
	buffer_load_dword v4, v11, s[0:3], 0 offen
	buffer_load_dword v5, v11, s[0:3], 0 offen offset:4
	buffer_load_dword v10, v11, s[0:3], 0 offen offset:8
	s_nop 0
	buffer_load_dword v11, v11, s[0:3], 0 offen offset:12
	s_waitcnt vmcnt(0)
	ds_write2_b64 v16, v[4:5], v[10:11] offset0:124 offset1:125
.LBB124_736:
	s_or_b64 exec, exec, s[4:5]
	v_cmp_lt_i32_e32 vcc, 29, v19
	s_waitcnt vmcnt(0) lgkmcnt(0)
	s_barrier
	s_and_saveexec_b64 s[4:5], vcc
	s_cbranch_execz .LBB124_739
; %bb.737:
	buffer_load_dword v4, off, s[0:3], 0 offset:472
	buffer_load_dword v5, off, s[0:3], 0 offset:476
	;; [unrolled: 1-line block ×4, first 2 shown]
	s_movk_i32 s16, 0x1e0
	s_waitcnt vmcnt(2)
	v_mul_f64 v[12:13], v[2:3], v[4:5]
	v_mul_f64 v[4:5], v[0:1], v[4:5]
	s_waitcnt vmcnt(0)
	v_fma_f64 v[0:1], v[0:1], v[10:11], -v[12:13]
	v_fma_f64 v[2:3], v[2:3], v[10:11], v[4:5]
	buffer_store_dword v0, off, s[0:3], 0 offset:464
	buffer_store_dword v1, off, s[0:3], 0 offset:468
	;; [unrolled: 1-line block ×4, first 2 shown]
.LBB124_738:                            ; =>This Inner Loop Header: Depth=1
	buffer_load_dword v4, off, s[0:3], 0 offset:472
	buffer_load_dword v5, off, s[0:3], 0 offset:476
	;; [unrolled: 1-line block ×4, first 2 shown]
	v_mov_b32_e32 v32, s16
	buffer_load_dword v22, v32, s[0:3], 0 offen
	buffer_load_dword v23, v32, s[0:3], 0 offen offset:4
	buffer_load_dword v24, v32, s[0:3], 0 offen offset:8
	;; [unrolled: 1-line block ×3, first 2 shown]
	v_add_u32_e32 v33, s16, v16
	ds_read2_b64 v[0:3], v33 offset1:1
	buffer_load_dword v26, v32, s[0:3], 0 offen offset:16
	buffer_load_dword v27, v32, s[0:3], 0 offen offset:20
	;; [unrolled: 1-line block ×4, first 2 shown]
	ds_read2_b64 v[10:13], v33 offset0:2 offset1:3
	s_add_i32 s16, s16, 48
	s_cmpk_lg_i32 s16, 0x3f0
	s_waitcnt vmcnt(10) lgkmcnt(1)
	v_mul_f64 v[30:31], v[2:3], v[4:5]
	v_mul_f64 v[4:5], v[0:1], v[4:5]
	s_waitcnt vmcnt(8)
	v_fma_f64 v[0:1], v[0:1], v[20:21], -v[30:31]
	v_fma_f64 v[2:3], v[2:3], v[20:21], v[4:5]
	s_waitcnt vmcnt(6)
	v_add_f64 v[0:1], v[22:23], -v[0:1]
	s_waitcnt vmcnt(4)
	v_add_f64 v[2:3], v[24:25], -v[2:3]
	buffer_store_dword v1, v32, s[0:3], 0 offen offset:4
	buffer_store_dword v0, v32, s[0:3], 0 offen
	buffer_store_dword v3, v32, s[0:3], 0 offen offset:12
	buffer_store_dword v2, v32, s[0:3], 0 offen offset:8
	buffer_load_dword v1, off, s[0:3], 0 offset:476
	s_nop 0
	buffer_load_dword v0, off, s[0:3], 0 offset:472
	buffer_load_dword v3, off, s[0:3], 0 offset:468
	;; [unrolled: 1-line block ×3, first 2 shown]
	buffer_load_dword v4, v32, s[0:3], 0 offen offset:32
	buffer_load_dword v5, v32, s[0:3], 0 offen offset:36
	;; [unrolled: 1-line block ×4, first 2 shown]
	s_waitcnt vmcnt(6) lgkmcnt(0)
	v_mul_f64 v[22:23], v[12:13], v[0:1]
	v_mul_f64 v[0:1], v[10:11], v[0:1]
	s_waitcnt vmcnt(4)
	v_fma_f64 v[10:11], v[10:11], v[2:3], -v[22:23]
	v_fma_f64 v[0:1], v[12:13], v[2:3], v[0:1]
	v_add_f64 v[2:3], v[26:27], -v[10:11]
	v_add_f64 v[0:1], v[28:29], -v[0:1]
	buffer_store_dword v3, v32, s[0:3], 0 offen offset:20
	buffer_store_dword v2, v32, s[0:3], 0 offen offset:16
	;; [unrolled: 1-line block ×4, first 2 shown]
	buffer_load_dword v10, off, s[0:3], 0 offset:472
	buffer_load_dword v11, off, s[0:3], 0 offset:476
	;; [unrolled: 1-line block ×4, first 2 shown]
	ds_read2_b64 v[0:3], v33 offset0:4 offset1:5
	s_waitcnt vmcnt(2) lgkmcnt(0)
	v_mul_f64 v[22:23], v[2:3], v[10:11]
	v_mul_f64 v[10:11], v[0:1], v[10:11]
	s_waitcnt vmcnt(0)
	v_fma_f64 v[0:1], v[0:1], v[12:13], -v[22:23]
	v_fma_f64 v[2:3], v[2:3], v[12:13], v[10:11]
	v_add_f64 v[0:1], v[4:5], -v[0:1]
	v_add_f64 v[2:3], v[20:21], -v[2:3]
	buffer_store_dword v1, v32, s[0:3], 0 offen offset:36
	buffer_store_dword v0, v32, s[0:3], 0 offen offset:32
	;; [unrolled: 1-line block ×4, first 2 shown]
	s_cbranch_scc1 .LBB124_738
.LBB124_739:
	s_or_b64 exec, exec, s[4:5]
	v_mov_b32_e32 v3, s58
	s_waitcnt vmcnt(0)
	s_barrier
	buffer_load_dword v0, v3, s[0:3], 0 offen
	buffer_load_dword v1, v3, s[0:3], 0 offen offset:4
	buffer_load_dword v2, v3, s[0:3], 0 offen offset:8
	s_nop 0
	buffer_load_dword v3, v3, s[0:3], 0 offen offset:12
	v_lshl_add_u32 v4, v19, 4, v16
	s_cmp_lt_i32 s65, 32
	s_waitcnt vmcnt(0)
	ds_write2_b64 v4, v[0:1], v[2:3] offset1:1
	s_waitcnt lgkmcnt(0)
	s_barrier
	ds_read2_b64 v[0:3], v16 offset0:60 offset1:61
	v_mov_b32_e32 v4, 30
	s_cbranch_scc1 .LBB124_742
; %bb.740:
	v_add_u32_e32 v5, 0x1f0, v16
	s_mov_b32 s16, 31
	v_mov_b32_e32 v4, 30
.LBB124_741:                            ; =>This Inner Loop Header: Depth=1
	s_waitcnt lgkmcnt(0)
	v_cmp_gt_f64_e32 vcc, 0, v[2:3]
	v_cmp_gt_f64_e64 s[4:5], 0, v[0:1]
	ds_read2_b64 v[10:13], v5 offset1:1
	v_xor_b32_e32 v21, 0x80000000, v1
	v_xor_b32_e32 v23, 0x80000000, v3
	v_mov_b32_e32 v20, v0
	v_mov_b32_e32 v22, v2
	s_waitcnt lgkmcnt(0)
	v_xor_b32_e32 v25, 0x80000000, v13
	v_cndmask_b32_e32 v23, v3, v23, vcc
	v_cndmask_b32_e64 v21, v1, v21, s[4:5]
	v_cmp_gt_f64_e32 vcc, 0, v[12:13]
	v_cmp_gt_f64_e64 s[4:5], 0, v[10:11]
	v_add_f64 v[20:21], v[20:21], v[22:23]
	v_xor_b32_e32 v23, 0x80000000, v11
	v_mov_b32_e32 v22, v10
	v_mov_b32_e32 v24, v12
	v_add_u32_e32 v5, 16, v5
	v_cndmask_b32_e32 v25, v13, v25, vcc
	v_cndmask_b32_e64 v23, v11, v23, s[4:5]
	v_add_f64 v[22:23], v[22:23], v[24:25]
	v_mov_b32_e32 v24, s16
	s_add_i32 s16, s16, 1
	s_cmp_lg_u32 s65, s16
	v_cmp_lt_f64_e32 vcc, v[20:21], v[22:23]
	v_cndmask_b32_e32 v1, v1, v11, vcc
	v_cndmask_b32_e32 v0, v0, v10, vcc
	;; [unrolled: 1-line block ×5, first 2 shown]
	s_cbranch_scc1 .LBB124_741
.LBB124_742:
	s_waitcnt lgkmcnt(0)
	v_cmp_eq_f64_e32 vcc, 0, v[0:1]
	v_cmp_eq_f64_e64 s[4:5], 0, v[2:3]
	s_and_b64 s[4:5], vcc, s[4:5]
	s_and_saveexec_b64 s[16:17], s[4:5]
	s_xor_b64 s[4:5], exec, s[16:17]
; %bb.743:
	v_cmp_ne_u32_e32 vcc, 0, v17
	v_cndmask_b32_e32 v17, 31, v17, vcc
; %bb.744:
	s_andn2_saveexec_b64 s[4:5], s[4:5]
	s_cbranch_execz .LBB124_750
; %bb.745:
	v_cmp_ngt_f64_e64 s[16:17], |v[0:1]|, |v[2:3]|
	s_and_saveexec_b64 s[18:19], s[16:17]
	s_xor_b64 s[18:19], exec, s[18:19]
	s_cbranch_execz .LBB124_747
; %bb.746:
	v_div_scale_f64 v[10:11], s[16:17], v[2:3], v[2:3], v[0:1]
	v_rcp_f64_e32 v[12:13], v[10:11]
	v_fma_f64 v[20:21], -v[10:11], v[12:13], 1.0
	v_fma_f64 v[12:13], v[12:13], v[20:21], v[12:13]
	v_div_scale_f64 v[20:21], vcc, v[0:1], v[2:3], v[0:1]
	v_fma_f64 v[22:23], -v[10:11], v[12:13], 1.0
	v_fma_f64 v[12:13], v[12:13], v[22:23], v[12:13]
	v_mul_f64 v[22:23], v[20:21], v[12:13]
	v_fma_f64 v[10:11], -v[10:11], v[22:23], v[20:21]
	v_div_fmas_f64 v[10:11], v[10:11], v[12:13], v[22:23]
	v_div_fixup_f64 v[10:11], v[10:11], v[2:3], v[0:1]
	v_fma_f64 v[0:1], v[0:1], v[10:11], v[2:3]
	v_div_scale_f64 v[2:3], s[16:17], v[0:1], v[0:1], 1.0
	v_div_scale_f64 v[22:23], vcc, 1.0, v[0:1], 1.0
	v_rcp_f64_e32 v[12:13], v[2:3]
	v_fma_f64 v[20:21], -v[2:3], v[12:13], 1.0
	v_fma_f64 v[12:13], v[12:13], v[20:21], v[12:13]
	v_fma_f64 v[20:21], -v[2:3], v[12:13], 1.0
	v_fma_f64 v[12:13], v[12:13], v[20:21], v[12:13]
	v_mul_f64 v[20:21], v[22:23], v[12:13]
	v_fma_f64 v[2:3], -v[2:3], v[20:21], v[22:23]
	v_div_fmas_f64 v[2:3], v[2:3], v[12:13], v[20:21]
	v_div_fixup_f64 v[2:3], v[2:3], v[0:1], 1.0
	v_mul_f64 v[0:1], v[10:11], v[2:3]
	v_xor_b32_e32 v3, 0x80000000, v3
.LBB124_747:
	s_andn2_saveexec_b64 s[18:19], s[18:19]
	s_cbranch_execz .LBB124_749
; %bb.748:
	v_div_scale_f64 v[10:11], s[16:17], v[0:1], v[0:1], v[2:3]
	v_rcp_f64_e32 v[12:13], v[10:11]
	v_fma_f64 v[20:21], -v[10:11], v[12:13], 1.0
	v_fma_f64 v[12:13], v[12:13], v[20:21], v[12:13]
	v_div_scale_f64 v[20:21], vcc, v[2:3], v[0:1], v[2:3]
	v_fma_f64 v[22:23], -v[10:11], v[12:13], 1.0
	v_fma_f64 v[12:13], v[12:13], v[22:23], v[12:13]
	v_mul_f64 v[22:23], v[20:21], v[12:13]
	v_fma_f64 v[10:11], -v[10:11], v[22:23], v[20:21]
	v_div_fmas_f64 v[10:11], v[10:11], v[12:13], v[22:23]
	v_div_fixup_f64 v[10:11], v[10:11], v[0:1], v[2:3]
	v_fma_f64 v[0:1], v[2:3], v[10:11], v[0:1]
	v_div_scale_f64 v[2:3], s[16:17], v[0:1], v[0:1], 1.0
	v_div_scale_f64 v[22:23], vcc, 1.0, v[0:1], 1.0
	v_rcp_f64_e32 v[12:13], v[2:3]
	v_fma_f64 v[20:21], -v[2:3], v[12:13], 1.0
	v_fma_f64 v[12:13], v[12:13], v[20:21], v[12:13]
	v_fma_f64 v[20:21], -v[2:3], v[12:13], 1.0
	v_fma_f64 v[12:13], v[12:13], v[20:21], v[12:13]
	v_mul_f64 v[20:21], v[22:23], v[12:13]
	v_fma_f64 v[2:3], -v[2:3], v[20:21], v[22:23]
	v_div_fmas_f64 v[2:3], v[2:3], v[12:13], v[20:21]
	v_div_fixup_f64 v[0:1], v[2:3], v[0:1], 1.0
	v_mul_f64 v[2:3], v[10:11], -v[0:1]
.LBB124_749:
	s_or_b64 exec, exec, s[18:19]
.LBB124_750:
	s_or_b64 exec, exec, s[4:5]
	v_cmp_ne_u32_e32 vcc, v19, v4
	s_and_saveexec_b64 s[4:5], vcc
	s_xor_b64 s[4:5], exec, s[4:5]
	s_cbranch_execz .LBB124_756
; %bb.751:
	v_cmp_eq_u32_e32 vcc, 30, v19
	s_and_saveexec_b64 s[18:19], vcc
	s_cbranch_execz .LBB124_755
; %bb.752:
	v_cmp_ne_u32_e32 vcc, 30, v4
	s_xor_b64 s[16:17], s[10:11], -1
	s_and_b64 s[16:17], s[16:17], vcc
	s_and_saveexec_b64 s[24:25], s[16:17]
	s_cbranch_execz .LBB124_754
; %bb.753:
	v_ashrrev_i32_e32 v5, 31, v4
	v_lshlrev_b64 v[10:11], 2, v[4:5]
	v_add_co_u32_e32 v10, vcc, v8, v10
	v_addc_co_u32_e32 v11, vcc, v9, v11, vcc
	global_load_dword v5, v[10:11], off
	global_load_dword v12, v[8:9], off offset:120
	s_waitcnt vmcnt(1)
	global_store_dword v[8:9], v5, off offset:120
	s_waitcnt vmcnt(1)
	global_store_dword v[10:11], v12, off
.LBB124_754:
	s_or_b64 exec, exec, s[24:25]
	v_mov_b32_e32 v19, v4
	v_mov_b32_e32 v18, v4
.LBB124_755:
	s_or_b64 exec, exec, s[18:19]
.LBB124_756:
	s_andn2_saveexec_b64 s[4:5], s[4:5]
	s_cbranch_execz .LBB124_758
; %bb.757:
	v_mov_b32_e32 v11, s8
	buffer_load_dword v4, v11, s[0:3], 0 offen
	buffer_load_dword v5, v11, s[0:3], 0 offen offset:4
	buffer_load_dword v10, v11, s[0:3], 0 offen offset:8
	s_nop 0
	buffer_load_dword v11, v11, s[0:3], 0 offen offset:12
	v_mov_b32_e32 v19, 30
	s_waitcnt vmcnt(0)
	ds_write2_b64 v16, v[4:5], v[10:11] offset0:62 offset1:63
	v_mov_b32_e32 v11, s56
	buffer_load_dword v4, v11, s[0:3], 0 offen
	buffer_load_dword v5, v11, s[0:3], 0 offen offset:4
	buffer_load_dword v10, v11, s[0:3], 0 offen offset:8
	s_nop 0
	buffer_load_dword v11, v11, s[0:3], 0 offen offset:12
	s_waitcnt vmcnt(0)
	ds_write2_b64 v16, v[4:5], v[10:11] offset0:64 offset1:65
	v_mov_b32_e32 v11, s55
	buffer_load_dword v4, v11, s[0:3], 0 offen
	buffer_load_dword v5, v11, s[0:3], 0 offen offset:4
	buffer_load_dword v10, v11, s[0:3], 0 offen offset:8
	s_nop 0
	buffer_load_dword v11, v11, s[0:3], 0 offen offset:12
	;; [unrolled: 8-line block ×31, first 2 shown]
	s_waitcnt vmcnt(0)
	ds_write2_b64 v16, v[4:5], v[10:11] offset0:124 offset1:125
.LBB124_758:
	s_or_b64 exec, exec, s[4:5]
	v_cmp_lt_i32_e32 vcc, 30, v19
	s_waitcnt vmcnt(0) lgkmcnt(0)
	s_barrier
	s_and_saveexec_b64 s[4:5], vcc
	s_cbranch_execz .LBB124_761
; %bb.759:
	buffer_load_dword v4, off, s[0:3], 0 offset:488
	buffer_load_dword v5, off, s[0:3], 0 offset:492
	;; [unrolled: 1-line block ×4, first 2 shown]
	s_mov_b32 s18, 0
	s_waitcnt vmcnt(2)
	v_mul_f64 v[12:13], v[2:3], v[4:5]
	v_mul_f64 v[4:5], v[0:1], v[4:5]
	s_waitcnt vmcnt(0)
	v_fma_f64 v[0:1], v[0:1], v[10:11], -v[12:13]
	v_fma_f64 v[2:3], v[2:3], v[10:11], v[4:5]
	v_add_u32_e32 v4, 0x1f0, v16
	buffer_store_dword v0, off, s[0:3], 0 offset:480
	buffer_store_dword v1, off, s[0:3], 0 offset:484
	buffer_store_dword v2, off, s[0:3], 0 offset:488
	buffer_store_dword v3, off, s[0:3], 0 offset:492
.LBB124_760:                            ; =>This Inner Loop Header: Depth=1
	v_add_u32_e32 v5, s18, v4
	ds_read2_b64 v[10:13], v5 offset1:1
	v_mov_b32_e32 v36, s18
	s_add_i32 s18, s18, 64
	s_cmpk_lg_i32 s18, 0x200
	s_waitcnt lgkmcnt(0)
	v_mul_f64 v[20:21], v[12:13], v[2:3]
	v_fma_f64 v[20:21], v[10:11], v[0:1], -v[20:21]
	v_mul_f64 v[10:11], v[10:11], v[2:3]
	v_fma_f64 v[10:11], v[12:13], v[0:1], v[10:11]
	buffer_load_dword v12, v36, s[0:3], 0 offen offset:496
	buffer_load_dword v13, v36, s[0:3], 0 offen offset:500
	;; [unrolled: 1-line block ×16, first 2 shown]
	s_waitcnt vmcnt(14)
	v_add_f64 v[12:13], v[12:13], -v[20:21]
	s_waitcnt vmcnt(12)
	v_add_f64 v[10:11], v[22:23], -v[10:11]
	buffer_store_dword v12, v36, s[0:3], 0 offen offset:496
	buffer_store_dword v13, v36, s[0:3], 0 offen offset:500
	buffer_store_dword v10, v36, s[0:3], 0 offen offset:504
	buffer_store_dword v11, v36, s[0:3], 0 offen offset:508
	ds_read2_b64 v[10:13], v5 offset0:2 offset1:3
	s_waitcnt lgkmcnt(0)
	v_mul_f64 v[20:21], v[12:13], v[2:3]
	v_fma_f64 v[20:21], v[10:11], v[0:1], -v[20:21]
	v_mul_f64 v[10:11], v[10:11], v[2:3]
	v_fma_f64 v[10:11], v[12:13], v[0:1], v[10:11]
	s_waitcnt vmcnt(14)
	v_add_f64 v[12:13], v[24:25], -v[20:21]
	s_waitcnt vmcnt(12)
	v_add_f64 v[10:11], v[26:27], -v[10:11]
	buffer_store_dword v12, v36, s[0:3], 0 offen offset:512
	buffer_store_dword v13, v36, s[0:3], 0 offen offset:516
	buffer_store_dword v10, v36, s[0:3], 0 offen offset:520
	buffer_store_dword v11, v36, s[0:3], 0 offen offset:524
	ds_read2_b64 v[10:13], v5 offset0:4 offset1:5
	s_waitcnt lgkmcnt(0)
	v_mul_f64 v[20:21], v[12:13], v[2:3]
	v_fma_f64 v[20:21], v[10:11], v[0:1], -v[20:21]
	v_mul_f64 v[10:11], v[10:11], v[2:3]
	v_fma_f64 v[10:11], v[12:13], v[0:1], v[10:11]
	;; [unrolled: 14-line block ×3, first 2 shown]
	s_waitcnt vmcnt(14)
	v_add_f64 v[12:13], v[32:33], -v[20:21]
	s_waitcnt vmcnt(12)
	v_add_f64 v[10:11], v[34:35], -v[10:11]
	buffer_store_dword v13, v36, s[0:3], 0 offen offset:548
	buffer_store_dword v12, v36, s[0:3], 0 offen offset:544
	;; [unrolled: 1-line block ×4, first 2 shown]
	s_cbranch_scc1 .LBB124_760
.LBB124_761:
	s_or_b64 exec, exec, s[4:5]
	v_mov_b32_e32 v3, s8
	s_waitcnt vmcnt(0)
	s_barrier
	buffer_load_dword v0, v3, s[0:3], 0 offen
	buffer_load_dword v1, v3, s[0:3], 0 offen offset:4
	buffer_load_dword v2, v3, s[0:3], 0 offen offset:8
	s_nop 0
	buffer_load_dword v3, v3, s[0:3], 0 offen offset:12
	v_lshl_add_u32 v4, v19, 4, v16
	s_cmp_lt_i32 s65, 33
	s_waitcnt vmcnt(0)
	ds_write2_b64 v4, v[0:1], v[2:3] offset1:1
	s_waitcnt lgkmcnt(0)
	s_barrier
	ds_read2_b64 v[0:3], v16 offset0:62 offset1:63
	v_mov_b32_e32 v4, 31
	s_cbranch_scc1 .LBB124_764
; %bb.762:
	v_add_u32_e32 v5, 0x200, v16
	s_mov_b32 s16, 32
	v_mov_b32_e32 v4, 31
.LBB124_763:                            ; =>This Inner Loop Header: Depth=1
	s_waitcnt lgkmcnt(0)
	v_cmp_gt_f64_e32 vcc, 0, v[2:3]
	v_cmp_gt_f64_e64 s[4:5], 0, v[0:1]
	ds_read2_b64 v[10:13], v5 offset1:1
	v_xor_b32_e32 v21, 0x80000000, v1
	v_xor_b32_e32 v23, 0x80000000, v3
	v_mov_b32_e32 v20, v0
	v_mov_b32_e32 v22, v2
	s_waitcnt lgkmcnt(0)
	v_xor_b32_e32 v25, 0x80000000, v13
	v_cndmask_b32_e32 v23, v3, v23, vcc
	v_cndmask_b32_e64 v21, v1, v21, s[4:5]
	v_cmp_gt_f64_e32 vcc, 0, v[12:13]
	v_cmp_gt_f64_e64 s[4:5], 0, v[10:11]
	v_add_f64 v[20:21], v[20:21], v[22:23]
	v_xor_b32_e32 v23, 0x80000000, v11
	v_mov_b32_e32 v22, v10
	v_mov_b32_e32 v24, v12
	v_add_u32_e32 v5, 16, v5
	v_cndmask_b32_e32 v25, v13, v25, vcc
	v_cndmask_b32_e64 v23, v11, v23, s[4:5]
	v_add_f64 v[22:23], v[22:23], v[24:25]
	v_mov_b32_e32 v24, s16
	s_add_i32 s16, s16, 1
	s_cmp_lg_u32 s65, s16
	v_cmp_lt_f64_e32 vcc, v[20:21], v[22:23]
	v_cndmask_b32_e32 v1, v1, v11, vcc
	v_cndmask_b32_e32 v0, v0, v10, vcc
	;; [unrolled: 1-line block ×5, first 2 shown]
	s_cbranch_scc1 .LBB124_763
.LBB124_764:
	s_waitcnt lgkmcnt(0)
	v_cmp_eq_f64_e32 vcc, 0, v[0:1]
	v_cmp_eq_f64_e64 s[4:5], 0, v[2:3]
	s_and_b64 s[4:5], vcc, s[4:5]
	s_and_saveexec_b64 s[16:17], s[4:5]
	s_xor_b64 s[4:5], exec, s[16:17]
; %bb.765:
	v_cmp_ne_u32_e32 vcc, 0, v17
	v_cndmask_b32_e32 v17, 32, v17, vcc
; %bb.766:
	s_andn2_saveexec_b64 s[4:5], s[4:5]
	s_cbranch_execz .LBB124_772
; %bb.767:
	v_cmp_ngt_f64_e64 s[16:17], |v[0:1]|, |v[2:3]|
	s_and_saveexec_b64 s[18:19], s[16:17]
	s_xor_b64 s[18:19], exec, s[18:19]
	s_cbranch_execz .LBB124_769
; %bb.768:
	v_div_scale_f64 v[10:11], s[16:17], v[2:3], v[2:3], v[0:1]
	v_rcp_f64_e32 v[12:13], v[10:11]
	v_fma_f64 v[20:21], -v[10:11], v[12:13], 1.0
	v_fma_f64 v[12:13], v[12:13], v[20:21], v[12:13]
	v_div_scale_f64 v[20:21], vcc, v[0:1], v[2:3], v[0:1]
	v_fma_f64 v[22:23], -v[10:11], v[12:13], 1.0
	v_fma_f64 v[12:13], v[12:13], v[22:23], v[12:13]
	v_mul_f64 v[22:23], v[20:21], v[12:13]
	v_fma_f64 v[10:11], -v[10:11], v[22:23], v[20:21]
	v_div_fmas_f64 v[10:11], v[10:11], v[12:13], v[22:23]
	v_div_fixup_f64 v[10:11], v[10:11], v[2:3], v[0:1]
	v_fma_f64 v[0:1], v[0:1], v[10:11], v[2:3]
	v_div_scale_f64 v[2:3], s[16:17], v[0:1], v[0:1], 1.0
	v_div_scale_f64 v[22:23], vcc, 1.0, v[0:1], 1.0
	v_rcp_f64_e32 v[12:13], v[2:3]
	v_fma_f64 v[20:21], -v[2:3], v[12:13], 1.0
	v_fma_f64 v[12:13], v[12:13], v[20:21], v[12:13]
	v_fma_f64 v[20:21], -v[2:3], v[12:13], 1.0
	v_fma_f64 v[12:13], v[12:13], v[20:21], v[12:13]
	v_mul_f64 v[20:21], v[22:23], v[12:13]
	v_fma_f64 v[2:3], -v[2:3], v[20:21], v[22:23]
	v_div_fmas_f64 v[2:3], v[2:3], v[12:13], v[20:21]
	v_div_fixup_f64 v[2:3], v[2:3], v[0:1], 1.0
	v_mul_f64 v[0:1], v[10:11], v[2:3]
	v_xor_b32_e32 v3, 0x80000000, v3
.LBB124_769:
	s_andn2_saveexec_b64 s[18:19], s[18:19]
	s_cbranch_execz .LBB124_771
; %bb.770:
	v_div_scale_f64 v[10:11], s[16:17], v[0:1], v[0:1], v[2:3]
	v_rcp_f64_e32 v[12:13], v[10:11]
	v_fma_f64 v[20:21], -v[10:11], v[12:13], 1.0
	v_fma_f64 v[12:13], v[12:13], v[20:21], v[12:13]
	v_div_scale_f64 v[20:21], vcc, v[2:3], v[0:1], v[2:3]
	v_fma_f64 v[22:23], -v[10:11], v[12:13], 1.0
	v_fma_f64 v[12:13], v[12:13], v[22:23], v[12:13]
	v_mul_f64 v[22:23], v[20:21], v[12:13]
	v_fma_f64 v[10:11], -v[10:11], v[22:23], v[20:21]
	v_div_fmas_f64 v[10:11], v[10:11], v[12:13], v[22:23]
	v_div_fixup_f64 v[10:11], v[10:11], v[0:1], v[2:3]
	v_fma_f64 v[0:1], v[2:3], v[10:11], v[0:1]
	v_div_scale_f64 v[2:3], s[16:17], v[0:1], v[0:1], 1.0
	v_div_scale_f64 v[22:23], vcc, 1.0, v[0:1], 1.0
	v_rcp_f64_e32 v[12:13], v[2:3]
	v_fma_f64 v[20:21], -v[2:3], v[12:13], 1.0
	v_fma_f64 v[12:13], v[12:13], v[20:21], v[12:13]
	v_fma_f64 v[20:21], -v[2:3], v[12:13], 1.0
	v_fma_f64 v[12:13], v[12:13], v[20:21], v[12:13]
	v_mul_f64 v[20:21], v[22:23], v[12:13]
	v_fma_f64 v[2:3], -v[2:3], v[20:21], v[22:23]
	v_div_fmas_f64 v[2:3], v[2:3], v[12:13], v[20:21]
	v_div_fixup_f64 v[0:1], v[2:3], v[0:1], 1.0
	v_mul_f64 v[2:3], v[10:11], -v[0:1]
.LBB124_771:
	s_or_b64 exec, exec, s[18:19]
.LBB124_772:
	s_or_b64 exec, exec, s[4:5]
	v_cmp_ne_u32_e32 vcc, v19, v4
	s_and_saveexec_b64 s[4:5], vcc
	s_xor_b64 s[4:5], exec, s[4:5]
	s_cbranch_execz .LBB124_778
; %bb.773:
	v_cmp_eq_u32_e32 vcc, 31, v19
	s_and_saveexec_b64 s[18:19], vcc
	s_cbranch_execz .LBB124_777
; %bb.774:
	v_cmp_ne_u32_e32 vcc, 31, v4
	s_xor_b64 s[16:17], s[10:11], -1
	s_and_b64 s[16:17], s[16:17], vcc
	s_and_saveexec_b64 s[24:25], s[16:17]
	s_cbranch_execz .LBB124_776
; %bb.775:
	v_ashrrev_i32_e32 v5, 31, v4
	v_lshlrev_b64 v[10:11], 2, v[4:5]
	v_add_co_u32_e32 v10, vcc, v8, v10
	v_addc_co_u32_e32 v11, vcc, v9, v11, vcc
	global_load_dword v5, v[10:11], off
	global_load_dword v12, v[8:9], off offset:124
	s_waitcnt vmcnt(1)
	global_store_dword v[8:9], v5, off offset:124
	s_waitcnt vmcnt(1)
	global_store_dword v[10:11], v12, off
.LBB124_776:
	s_or_b64 exec, exec, s[24:25]
	v_mov_b32_e32 v19, v4
	v_mov_b32_e32 v18, v4
.LBB124_777:
	s_or_b64 exec, exec, s[18:19]
.LBB124_778:
	s_andn2_saveexec_b64 s[4:5], s[4:5]
	s_cbranch_execz .LBB124_780
; %bb.779:
	v_mov_b32_e32 v11, s56
	buffer_load_dword v4, v11, s[0:3], 0 offen
	buffer_load_dword v5, v11, s[0:3], 0 offen offset:4
	buffer_load_dword v10, v11, s[0:3], 0 offen offset:8
	s_nop 0
	buffer_load_dword v11, v11, s[0:3], 0 offen offset:12
	v_mov_b32_e32 v19, 31
	s_waitcnt vmcnt(0)
	ds_write2_b64 v16, v[4:5], v[10:11] offset0:64 offset1:65
	v_mov_b32_e32 v11, s55
	buffer_load_dword v4, v11, s[0:3], 0 offen
	buffer_load_dword v5, v11, s[0:3], 0 offen offset:4
	buffer_load_dword v10, v11, s[0:3], 0 offen offset:8
	s_nop 0
	buffer_load_dword v11, v11, s[0:3], 0 offen offset:12
	s_waitcnt vmcnt(0)
	ds_write2_b64 v16, v[4:5], v[10:11] offset0:66 offset1:67
	v_mov_b32_e32 v11, s54
	buffer_load_dword v4, v11, s[0:3], 0 offen
	buffer_load_dword v5, v11, s[0:3], 0 offen offset:4
	buffer_load_dword v10, v11, s[0:3], 0 offen offset:8
	s_nop 0
	buffer_load_dword v11, v11, s[0:3], 0 offen offset:12
	;; [unrolled: 8-line block ×30, first 2 shown]
	s_waitcnt vmcnt(0)
	ds_write2_b64 v16, v[4:5], v[10:11] offset0:124 offset1:125
.LBB124_780:
	s_or_b64 exec, exec, s[4:5]
	v_cmp_lt_i32_e32 vcc, 31, v19
	s_waitcnt vmcnt(0) lgkmcnt(0)
	s_barrier
	s_and_saveexec_b64 s[4:5], vcc
	s_cbranch_execz .LBB124_785
; %bb.781:
	buffer_load_dword v4, off, s[0:3], 0 offset:504
	buffer_load_dword v5, off, s[0:3], 0 offset:508
	;; [unrolled: 1-line block ×4, first 2 shown]
	s_mov_b32 s16, 0
	s_waitcnt vmcnt(2)
	v_mul_f64 v[12:13], v[2:3], v[4:5]
	v_mul_f64 v[4:5], v[0:1], v[4:5]
	s_waitcnt vmcnt(0)
	v_fma_f64 v[0:1], v[0:1], v[10:11], -v[12:13]
	v_fma_f64 v[2:3], v[2:3], v[10:11], v[4:5]
	v_add_u32_e32 v4, 0x200, v16
	buffer_store_dword v0, off, s[0:3], 0 offset:496
	buffer_store_dword v1, off, s[0:3], 0 offset:500
	;; [unrolled: 1-line block ×4, first 2 shown]
	s_branch .LBB124_783
.LBB124_782:                            ;   in Loop: Header=BB124_783 Depth=1
	s_andn2_b64 vcc, exec, s[18:19]
	s_cbranch_vccz .LBB124_785
.LBB124_783:                            ; =>This Inner Loop Header: Depth=1
	v_mov_b32_e32 v52, s16
	buffer_load_dword v28, v52, s[0:3], 0 offen offset:512
	buffer_load_dword v29, v52, s[0:3], 0 offen offset:516
	;; [unrolled: 1-line block ×12, first 2 shown]
	v_add_u32_e32 v5, s16, v4
	ds_read2_b64 v[10:13], v5 offset1:1
	ds_read2_b64 v[20:23], v5 offset0:2 offset1:3
	ds_read2_b64 v[24:27], v5 offset0:4 offset1:5
	s_mov_b32 s17, s16
	s_cmpk_eq_i32 s16, 0x1c0
	s_waitcnt lgkmcnt(2)
	v_mul_f64 v[40:41], v[12:13], v[2:3]
	v_mul_f64 v[42:43], v[10:11], v[2:3]
	s_waitcnt lgkmcnt(1)
	v_mul_f64 v[44:45], v[22:23], v[2:3]
	v_mul_f64 v[46:47], v[20:21], v[2:3]
	;; [unrolled: 3-line block ×3, first 2 shown]
	s_mov_b64 s[18:19], -1
	v_fma_f64 v[10:11], v[10:11], v[0:1], -v[40:41]
	v_fma_f64 v[12:13], v[12:13], v[0:1], v[42:43]
	v_fma_f64 v[20:21], v[20:21], v[0:1], -v[44:45]
	v_fma_f64 v[22:23], v[22:23], v[0:1], v[46:47]
	;; [unrolled: 2-line block ×3, first 2 shown]
	s_waitcnt vmcnt(10)
	v_add_f64 v[10:11], v[28:29], -v[10:11]
	s_waitcnt vmcnt(8)
	v_add_f64 v[12:13], v[30:31], -v[12:13]
	;; [unrolled: 2-line block ×6, first 2 shown]
	buffer_store_dword v10, v52, s[0:3], 0 offen offset:512
	buffer_store_dword v11, v52, s[0:3], 0 offen offset:516
	;; [unrolled: 1-line block ×12, first 2 shown]
	s_cbranch_scc1 .LBB124_782
; %bb.784:                              ;   in Loop: Header=BB124_783 Depth=1
	v_mov_b32_e32 v28, s17
	buffer_load_dword v20, v28, s[0:3], 0 offen offset:560
	buffer_load_dword v21, v28, s[0:3], 0 offen offset:564
	;; [unrolled: 1-line block ×4, first 2 shown]
	ds_read2_b64 v[10:13], v5 offset0:6 offset1:7
	s_add_i32 s16, s16, 64
	s_mov_b64 s[18:19], 0
	s_waitcnt lgkmcnt(0)
	v_mul_f64 v[24:25], v[12:13], v[2:3]
	v_mul_f64 v[26:27], v[10:11], v[2:3]
	v_fma_f64 v[10:11], v[10:11], v[0:1], -v[24:25]
	v_fma_f64 v[12:13], v[12:13], v[0:1], v[26:27]
	s_waitcnt vmcnt(2)
	v_add_f64 v[10:11], v[20:21], -v[10:11]
	s_waitcnt vmcnt(0)
	v_add_f64 v[12:13], v[22:23], -v[12:13]
	buffer_store_dword v10, v28, s[0:3], 0 offen offset:560
	buffer_store_dword v11, v28, s[0:3], 0 offen offset:564
	;; [unrolled: 1-line block ×4, first 2 shown]
	s_branch .LBB124_782
.LBB124_785:
	s_or_b64 exec, exec, s[4:5]
	v_mov_b32_e32 v3, s56
	s_waitcnt vmcnt(0)
	s_barrier
	buffer_load_dword v0, v3, s[0:3], 0 offen
	buffer_load_dword v1, v3, s[0:3], 0 offen offset:4
	buffer_load_dword v2, v3, s[0:3], 0 offen offset:8
	s_nop 0
	buffer_load_dword v3, v3, s[0:3], 0 offen offset:12
	v_lshl_add_u32 v4, v19, 4, v16
	s_cmp_lt_i32 s65, 34
	s_waitcnt vmcnt(0)
	ds_write2_b64 v4, v[0:1], v[2:3] offset1:1
	s_waitcnt lgkmcnt(0)
	s_barrier
	ds_read2_b64 v[0:3], v16 offset0:64 offset1:65
	v_mov_b32_e32 v4, 32
	s_cbranch_scc1 .LBB124_788
; %bb.786:
	v_add_u32_e32 v5, 0x210, v16
	s_mov_b32 s16, 33
	v_mov_b32_e32 v4, 32
.LBB124_787:                            ; =>This Inner Loop Header: Depth=1
	s_waitcnt lgkmcnt(0)
	v_cmp_gt_f64_e32 vcc, 0, v[2:3]
	v_cmp_gt_f64_e64 s[4:5], 0, v[0:1]
	ds_read2_b64 v[10:13], v5 offset1:1
	v_xor_b32_e32 v21, 0x80000000, v1
	v_xor_b32_e32 v23, 0x80000000, v3
	v_mov_b32_e32 v20, v0
	v_mov_b32_e32 v22, v2
	s_waitcnt lgkmcnt(0)
	v_xor_b32_e32 v25, 0x80000000, v13
	v_cndmask_b32_e32 v23, v3, v23, vcc
	v_cndmask_b32_e64 v21, v1, v21, s[4:5]
	v_cmp_gt_f64_e32 vcc, 0, v[12:13]
	v_cmp_gt_f64_e64 s[4:5], 0, v[10:11]
	v_add_f64 v[20:21], v[20:21], v[22:23]
	v_xor_b32_e32 v23, 0x80000000, v11
	v_mov_b32_e32 v22, v10
	v_mov_b32_e32 v24, v12
	v_add_u32_e32 v5, 16, v5
	v_cndmask_b32_e32 v25, v13, v25, vcc
	v_cndmask_b32_e64 v23, v11, v23, s[4:5]
	v_add_f64 v[22:23], v[22:23], v[24:25]
	v_mov_b32_e32 v24, s16
	s_add_i32 s16, s16, 1
	s_cmp_lg_u32 s65, s16
	v_cmp_lt_f64_e32 vcc, v[20:21], v[22:23]
	v_cndmask_b32_e32 v1, v1, v11, vcc
	v_cndmask_b32_e32 v0, v0, v10, vcc
	;; [unrolled: 1-line block ×5, first 2 shown]
	s_cbranch_scc1 .LBB124_787
.LBB124_788:
	s_waitcnt lgkmcnt(0)
	v_cmp_eq_f64_e32 vcc, 0, v[0:1]
	v_cmp_eq_f64_e64 s[4:5], 0, v[2:3]
	s_and_b64 s[4:5], vcc, s[4:5]
	s_and_saveexec_b64 s[16:17], s[4:5]
	s_xor_b64 s[4:5], exec, s[16:17]
; %bb.789:
	v_cmp_ne_u32_e32 vcc, 0, v17
	v_cndmask_b32_e32 v17, 33, v17, vcc
; %bb.790:
	s_andn2_saveexec_b64 s[4:5], s[4:5]
	s_cbranch_execz .LBB124_796
; %bb.791:
	v_cmp_ngt_f64_e64 s[16:17], |v[0:1]|, |v[2:3]|
	s_and_saveexec_b64 s[18:19], s[16:17]
	s_xor_b64 s[18:19], exec, s[18:19]
	s_cbranch_execz .LBB124_793
; %bb.792:
	v_div_scale_f64 v[10:11], s[16:17], v[2:3], v[2:3], v[0:1]
	v_rcp_f64_e32 v[12:13], v[10:11]
	v_fma_f64 v[20:21], -v[10:11], v[12:13], 1.0
	v_fma_f64 v[12:13], v[12:13], v[20:21], v[12:13]
	v_div_scale_f64 v[20:21], vcc, v[0:1], v[2:3], v[0:1]
	v_fma_f64 v[22:23], -v[10:11], v[12:13], 1.0
	v_fma_f64 v[12:13], v[12:13], v[22:23], v[12:13]
	v_mul_f64 v[22:23], v[20:21], v[12:13]
	v_fma_f64 v[10:11], -v[10:11], v[22:23], v[20:21]
	v_div_fmas_f64 v[10:11], v[10:11], v[12:13], v[22:23]
	v_div_fixup_f64 v[10:11], v[10:11], v[2:3], v[0:1]
	v_fma_f64 v[0:1], v[0:1], v[10:11], v[2:3]
	v_div_scale_f64 v[2:3], s[16:17], v[0:1], v[0:1], 1.0
	v_div_scale_f64 v[22:23], vcc, 1.0, v[0:1], 1.0
	v_rcp_f64_e32 v[12:13], v[2:3]
	v_fma_f64 v[20:21], -v[2:3], v[12:13], 1.0
	v_fma_f64 v[12:13], v[12:13], v[20:21], v[12:13]
	v_fma_f64 v[20:21], -v[2:3], v[12:13], 1.0
	v_fma_f64 v[12:13], v[12:13], v[20:21], v[12:13]
	v_mul_f64 v[20:21], v[22:23], v[12:13]
	v_fma_f64 v[2:3], -v[2:3], v[20:21], v[22:23]
	v_div_fmas_f64 v[2:3], v[2:3], v[12:13], v[20:21]
	v_div_fixup_f64 v[2:3], v[2:3], v[0:1], 1.0
	v_mul_f64 v[0:1], v[10:11], v[2:3]
	v_xor_b32_e32 v3, 0x80000000, v3
.LBB124_793:
	s_andn2_saveexec_b64 s[18:19], s[18:19]
	s_cbranch_execz .LBB124_795
; %bb.794:
	v_div_scale_f64 v[10:11], s[16:17], v[0:1], v[0:1], v[2:3]
	v_rcp_f64_e32 v[12:13], v[10:11]
	v_fma_f64 v[20:21], -v[10:11], v[12:13], 1.0
	v_fma_f64 v[12:13], v[12:13], v[20:21], v[12:13]
	v_div_scale_f64 v[20:21], vcc, v[2:3], v[0:1], v[2:3]
	v_fma_f64 v[22:23], -v[10:11], v[12:13], 1.0
	v_fma_f64 v[12:13], v[12:13], v[22:23], v[12:13]
	v_mul_f64 v[22:23], v[20:21], v[12:13]
	v_fma_f64 v[10:11], -v[10:11], v[22:23], v[20:21]
	v_div_fmas_f64 v[10:11], v[10:11], v[12:13], v[22:23]
	v_div_fixup_f64 v[10:11], v[10:11], v[0:1], v[2:3]
	v_fma_f64 v[0:1], v[2:3], v[10:11], v[0:1]
	v_div_scale_f64 v[2:3], s[16:17], v[0:1], v[0:1], 1.0
	v_div_scale_f64 v[22:23], vcc, 1.0, v[0:1], 1.0
	v_rcp_f64_e32 v[12:13], v[2:3]
	v_fma_f64 v[20:21], -v[2:3], v[12:13], 1.0
	v_fma_f64 v[12:13], v[12:13], v[20:21], v[12:13]
	v_fma_f64 v[20:21], -v[2:3], v[12:13], 1.0
	v_fma_f64 v[12:13], v[12:13], v[20:21], v[12:13]
	v_mul_f64 v[20:21], v[22:23], v[12:13]
	v_fma_f64 v[2:3], -v[2:3], v[20:21], v[22:23]
	v_div_fmas_f64 v[2:3], v[2:3], v[12:13], v[20:21]
	v_div_fixup_f64 v[0:1], v[2:3], v[0:1], 1.0
	v_mul_f64 v[2:3], v[10:11], -v[0:1]
.LBB124_795:
	s_or_b64 exec, exec, s[18:19]
.LBB124_796:
	s_or_b64 exec, exec, s[4:5]
	v_cmp_ne_u32_e32 vcc, v19, v4
	s_and_saveexec_b64 s[4:5], vcc
	s_xor_b64 s[4:5], exec, s[4:5]
	s_cbranch_execz .LBB124_802
; %bb.797:
	v_cmp_eq_u32_e32 vcc, 32, v19
	s_and_saveexec_b64 s[18:19], vcc
	s_cbranch_execz .LBB124_801
; %bb.798:
	v_cmp_ne_u32_e32 vcc, 32, v4
	s_xor_b64 s[16:17], s[10:11], -1
	s_and_b64 s[16:17], s[16:17], vcc
	s_and_saveexec_b64 s[24:25], s[16:17]
	s_cbranch_execz .LBB124_800
; %bb.799:
	v_ashrrev_i32_e32 v5, 31, v4
	v_lshlrev_b64 v[10:11], 2, v[4:5]
	v_add_co_u32_e32 v10, vcc, v8, v10
	v_addc_co_u32_e32 v11, vcc, v9, v11, vcc
	global_load_dword v5, v[10:11], off
	global_load_dword v12, v[8:9], off offset:128
	s_waitcnt vmcnt(1)
	global_store_dword v[8:9], v5, off offset:128
	s_waitcnt vmcnt(1)
	global_store_dword v[10:11], v12, off
.LBB124_800:
	s_or_b64 exec, exec, s[24:25]
	v_mov_b32_e32 v19, v4
	v_mov_b32_e32 v18, v4
.LBB124_801:
	s_or_b64 exec, exec, s[18:19]
.LBB124_802:
	s_andn2_saveexec_b64 s[4:5], s[4:5]
	s_cbranch_execz .LBB124_804
; %bb.803:
	v_mov_b32_e32 v11, s55
	buffer_load_dword v4, v11, s[0:3], 0 offen
	buffer_load_dword v5, v11, s[0:3], 0 offen offset:4
	buffer_load_dword v10, v11, s[0:3], 0 offen offset:8
	s_nop 0
	buffer_load_dword v11, v11, s[0:3], 0 offen offset:12
	v_mov_b32_e32 v19, 32
	s_waitcnt vmcnt(0)
	ds_write2_b64 v16, v[4:5], v[10:11] offset0:66 offset1:67
	v_mov_b32_e32 v11, s54
	buffer_load_dword v4, v11, s[0:3], 0 offen
	buffer_load_dword v5, v11, s[0:3], 0 offen offset:4
	buffer_load_dword v10, v11, s[0:3], 0 offen offset:8
	s_nop 0
	buffer_load_dword v11, v11, s[0:3], 0 offen offset:12
	s_waitcnt vmcnt(0)
	ds_write2_b64 v16, v[4:5], v[10:11] offset0:68 offset1:69
	v_mov_b32_e32 v11, s53
	buffer_load_dword v4, v11, s[0:3], 0 offen
	buffer_load_dword v5, v11, s[0:3], 0 offen offset:4
	buffer_load_dword v10, v11, s[0:3], 0 offen offset:8
	s_nop 0
	buffer_load_dword v11, v11, s[0:3], 0 offen offset:12
	;; [unrolled: 8-line block ×29, first 2 shown]
	s_waitcnt vmcnt(0)
	ds_write2_b64 v16, v[4:5], v[10:11] offset0:124 offset1:125
.LBB124_804:
	s_or_b64 exec, exec, s[4:5]
	v_cmp_lt_i32_e32 vcc, 32, v19
	s_waitcnt vmcnt(0) lgkmcnt(0)
	s_barrier
	s_and_saveexec_b64 s[4:5], vcc
	s_cbranch_execz .LBB124_807
; %bb.805:
	buffer_load_dword v4, off, s[0:3], 0 offset:520
	buffer_load_dword v5, off, s[0:3], 0 offset:524
	buffer_load_dword v10, off, s[0:3], 0 offset:512
	buffer_load_dword v11, off, s[0:3], 0 offset:516
	s_mov_b32 s18, 0
	s_waitcnt vmcnt(2)
	v_mul_f64 v[12:13], v[2:3], v[4:5]
	v_mul_f64 v[4:5], v[0:1], v[4:5]
	s_waitcnt vmcnt(0)
	v_fma_f64 v[0:1], v[0:1], v[10:11], -v[12:13]
	v_fma_f64 v[2:3], v[2:3], v[10:11], v[4:5]
	v_add_u32_e32 v4, 0x210, v16
	buffer_store_dword v0, off, s[0:3], 0 offset:512
	buffer_store_dword v1, off, s[0:3], 0 offset:516
	;; [unrolled: 1-line block ×4, first 2 shown]
.LBB124_806:                            ; =>This Inner Loop Header: Depth=1
	v_add_u32_e32 v5, s18, v4
	ds_read2_b64 v[10:13], v5 offset1:1
	v_mov_b32_e32 v36, s18
	s_addk_i32 s18, 0x60
	s_cmpk_lg_i32 s18, 0x1e0
	s_waitcnt lgkmcnt(0)
	v_mul_f64 v[20:21], v[12:13], v[2:3]
	v_fma_f64 v[20:21], v[10:11], v[0:1], -v[20:21]
	v_mul_f64 v[10:11], v[10:11], v[2:3]
	v_fma_f64 v[10:11], v[12:13], v[0:1], v[10:11]
	buffer_load_dword v12, v36, s[0:3], 0 offen offset:528
	buffer_load_dword v13, v36, s[0:3], 0 offen offset:532
	;; [unrolled: 1-line block ×16, first 2 shown]
	s_waitcnt vmcnt(14)
	v_add_f64 v[12:13], v[12:13], -v[20:21]
	s_waitcnt vmcnt(12)
	v_add_f64 v[10:11], v[22:23], -v[10:11]
	buffer_store_dword v12, v36, s[0:3], 0 offen offset:528
	buffer_store_dword v13, v36, s[0:3], 0 offen offset:532
	buffer_store_dword v10, v36, s[0:3], 0 offen offset:536
	buffer_store_dword v11, v36, s[0:3], 0 offen offset:540
	ds_read2_b64 v[10:13], v5 offset0:2 offset1:3
	s_waitcnt lgkmcnt(0)
	v_mul_f64 v[20:21], v[12:13], v[2:3]
	v_fma_f64 v[20:21], v[10:11], v[0:1], -v[20:21]
	v_mul_f64 v[10:11], v[10:11], v[2:3]
	v_fma_f64 v[10:11], v[12:13], v[0:1], v[10:11]
	s_waitcnt vmcnt(14)
	v_add_f64 v[12:13], v[24:25], -v[20:21]
	s_waitcnt vmcnt(12)
	v_add_f64 v[10:11], v[26:27], -v[10:11]
	buffer_store_dword v12, v36, s[0:3], 0 offen offset:544
	buffer_store_dword v13, v36, s[0:3], 0 offen offset:548
	buffer_store_dword v10, v36, s[0:3], 0 offen offset:552
	buffer_store_dword v11, v36, s[0:3], 0 offen offset:556
	ds_read2_b64 v[10:13], v5 offset0:4 offset1:5
	s_waitcnt lgkmcnt(0)
	v_mul_f64 v[20:21], v[12:13], v[2:3]
	v_fma_f64 v[20:21], v[10:11], v[0:1], -v[20:21]
	v_mul_f64 v[10:11], v[10:11], v[2:3]
	v_fma_f64 v[10:11], v[12:13], v[0:1], v[10:11]
	;; [unrolled: 14-line block ×4, first 2 shown]
	buffer_load_dword v12, v36, s[0:3], 0 offen offset:592
	buffer_load_dword v13, v36, s[0:3], 0 offen offset:596
	;; [unrolled: 1-line block ×4, first 2 shown]
	s_waitcnt vmcnt(2)
	v_add_f64 v[12:13], v[12:13], -v[20:21]
	s_waitcnt vmcnt(0)
	v_add_f64 v[10:11], v[22:23], -v[10:11]
	buffer_store_dword v13, v36, s[0:3], 0 offen offset:596
	buffer_store_dword v12, v36, s[0:3], 0 offen offset:592
	;; [unrolled: 1-line block ×4, first 2 shown]
	ds_read2_b64 v[10:13], v5 offset0:10 offset1:11
	s_waitcnt lgkmcnt(0)
	v_mul_f64 v[20:21], v[12:13], v[2:3]
	v_fma_f64 v[20:21], v[10:11], v[0:1], -v[20:21]
	v_mul_f64 v[10:11], v[10:11], v[2:3]
	v_fma_f64 v[10:11], v[12:13], v[0:1], v[10:11]
	buffer_load_dword v12, v36, s[0:3], 0 offen offset:608
	buffer_load_dword v13, v36, s[0:3], 0 offen offset:612
	;; [unrolled: 1-line block ×4, first 2 shown]
	s_waitcnt vmcnt(2)
	v_add_f64 v[12:13], v[12:13], -v[20:21]
	s_waitcnt vmcnt(0)
	v_add_f64 v[10:11], v[22:23], -v[10:11]
	buffer_store_dword v13, v36, s[0:3], 0 offen offset:612
	buffer_store_dword v12, v36, s[0:3], 0 offen offset:608
	;; [unrolled: 1-line block ×4, first 2 shown]
	s_cbranch_scc1 .LBB124_806
.LBB124_807:
	s_or_b64 exec, exec, s[4:5]
	v_mov_b32_e32 v3, s55
	s_waitcnt vmcnt(0)
	s_barrier
	buffer_load_dword v0, v3, s[0:3], 0 offen
	buffer_load_dword v1, v3, s[0:3], 0 offen offset:4
	buffer_load_dword v2, v3, s[0:3], 0 offen offset:8
	s_nop 0
	buffer_load_dword v3, v3, s[0:3], 0 offen offset:12
	v_lshl_add_u32 v4, v19, 4, v16
	s_cmp_lt_i32 s65, 35
	s_waitcnt vmcnt(0)
	ds_write2_b64 v4, v[0:1], v[2:3] offset1:1
	s_waitcnt lgkmcnt(0)
	s_barrier
	ds_read2_b64 v[0:3], v16 offset0:66 offset1:67
	v_mov_b32_e32 v4, 33
	s_cbranch_scc1 .LBB124_810
; %bb.808:
	v_add_u32_e32 v5, 0x220, v16
	s_mov_b32 s16, 34
	v_mov_b32_e32 v4, 33
.LBB124_809:                            ; =>This Inner Loop Header: Depth=1
	s_waitcnt lgkmcnt(0)
	v_cmp_gt_f64_e32 vcc, 0, v[2:3]
	v_cmp_gt_f64_e64 s[4:5], 0, v[0:1]
	ds_read2_b64 v[10:13], v5 offset1:1
	v_xor_b32_e32 v21, 0x80000000, v1
	v_xor_b32_e32 v23, 0x80000000, v3
	v_mov_b32_e32 v20, v0
	v_mov_b32_e32 v22, v2
	s_waitcnt lgkmcnt(0)
	v_xor_b32_e32 v25, 0x80000000, v13
	v_cndmask_b32_e32 v23, v3, v23, vcc
	v_cndmask_b32_e64 v21, v1, v21, s[4:5]
	v_cmp_gt_f64_e32 vcc, 0, v[12:13]
	v_cmp_gt_f64_e64 s[4:5], 0, v[10:11]
	v_add_f64 v[20:21], v[20:21], v[22:23]
	v_xor_b32_e32 v23, 0x80000000, v11
	v_mov_b32_e32 v22, v10
	v_mov_b32_e32 v24, v12
	v_add_u32_e32 v5, 16, v5
	v_cndmask_b32_e32 v25, v13, v25, vcc
	v_cndmask_b32_e64 v23, v11, v23, s[4:5]
	v_add_f64 v[22:23], v[22:23], v[24:25]
	v_mov_b32_e32 v24, s16
	s_add_i32 s16, s16, 1
	s_cmp_lg_u32 s65, s16
	v_cmp_lt_f64_e32 vcc, v[20:21], v[22:23]
	v_cndmask_b32_e32 v1, v1, v11, vcc
	v_cndmask_b32_e32 v0, v0, v10, vcc
	;; [unrolled: 1-line block ×5, first 2 shown]
	s_cbranch_scc1 .LBB124_809
.LBB124_810:
	s_waitcnt lgkmcnt(0)
	v_cmp_eq_f64_e32 vcc, 0, v[0:1]
	v_cmp_eq_f64_e64 s[4:5], 0, v[2:3]
	s_and_b64 s[4:5], vcc, s[4:5]
	s_and_saveexec_b64 s[16:17], s[4:5]
	s_xor_b64 s[4:5], exec, s[16:17]
; %bb.811:
	v_cmp_ne_u32_e32 vcc, 0, v17
	v_cndmask_b32_e32 v17, 34, v17, vcc
; %bb.812:
	s_andn2_saveexec_b64 s[4:5], s[4:5]
	s_cbranch_execz .LBB124_818
; %bb.813:
	v_cmp_ngt_f64_e64 s[16:17], |v[0:1]|, |v[2:3]|
	s_and_saveexec_b64 s[18:19], s[16:17]
	s_xor_b64 s[18:19], exec, s[18:19]
	s_cbranch_execz .LBB124_815
; %bb.814:
	v_div_scale_f64 v[10:11], s[16:17], v[2:3], v[2:3], v[0:1]
	v_rcp_f64_e32 v[12:13], v[10:11]
	v_fma_f64 v[20:21], -v[10:11], v[12:13], 1.0
	v_fma_f64 v[12:13], v[12:13], v[20:21], v[12:13]
	v_div_scale_f64 v[20:21], vcc, v[0:1], v[2:3], v[0:1]
	v_fma_f64 v[22:23], -v[10:11], v[12:13], 1.0
	v_fma_f64 v[12:13], v[12:13], v[22:23], v[12:13]
	v_mul_f64 v[22:23], v[20:21], v[12:13]
	v_fma_f64 v[10:11], -v[10:11], v[22:23], v[20:21]
	v_div_fmas_f64 v[10:11], v[10:11], v[12:13], v[22:23]
	v_div_fixup_f64 v[10:11], v[10:11], v[2:3], v[0:1]
	v_fma_f64 v[0:1], v[0:1], v[10:11], v[2:3]
	v_div_scale_f64 v[2:3], s[16:17], v[0:1], v[0:1], 1.0
	v_div_scale_f64 v[22:23], vcc, 1.0, v[0:1], 1.0
	v_rcp_f64_e32 v[12:13], v[2:3]
	v_fma_f64 v[20:21], -v[2:3], v[12:13], 1.0
	v_fma_f64 v[12:13], v[12:13], v[20:21], v[12:13]
	v_fma_f64 v[20:21], -v[2:3], v[12:13], 1.0
	v_fma_f64 v[12:13], v[12:13], v[20:21], v[12:13]
	v_mul_f64 v[20:21], v[22:23], v[12:13]
	v_fma_f64 v[2:3], -v[2:3], v[20:21], v[22:23]
	v_div_fmas_f64 v[2:3], v[2:3], v[12:13], v[20:21]
	v_div_fixup_f64 v[2:3], v[2:3], v[0:1], 1.0
	v_mul_f64 v[0:1], v[10:11], v[2:3]
	v_xor_b32_e32 v3, 0x80000000, v3
.LBB124_815:
	s_andn2_saveexec_b64 s[18:19], s[18:19]
	s_cbranch_execz .LBB124_817
; %bb.816:
	v_div_scale_f64 v[10:11], s[16:17], v[0:1], v[0:1], v[2:3]
	v_rcp_f64_e32 v[12:13], v[10:11]
	v_fma_f64 v[20:21], -v[10:11], v[12:13], 1.0
	v_fma_f64 v[12:13], v[12:13], v[20:21], v[12:13]
	v_div_scale_f64 v[20:21], vcc, v[2:3], v[0:1], v[2:3]
	v_fma_f64 v[22:23], -v[10:11], v[12:13], 1.0
	v_fma_f64 v[12:13], v[12:13], v[22:23], v[12:13]
	v_mul_f64 v[22:23], v[20:21], v[12:13]
	v_fma_f64 v[10:11], -v[10:11], v[22:23], v[20:21]
	v_div_fmas_f64 v[10:11], v[10:11], v[12:13], v[22:23]
	v_div_fixup_f64 v[10:11], v[10:11], v[0:1], v[2:3]
	v_fma_f64 v[0:1], v[2:3], v[10:11], v[0:1]
	v_div_scale_f64 v[2:3], s[16:17], v[0:1], v[0:1], 1.0
	v_div_scale_f64 v[22:23], vcc, 1.0, v[0:1], 1.0
	v_rcp_f64_e32 v[12:13], v[2:3]
	v_fma_f64 v[20:21], -v[2:3], v[12:13], 1.0
	v_fma_f64 v[12:13], v[12:13], v[20:21], v[12:13]
	v_fma_f64 v[20:21], -v[2:3], v[12:13], 1.0
	v_fma_f64 v[12:13], v[12:13], v[20:21], v[12:13]
	v_mul_f64 v[20:21], v[22:23], v[12:13]
	v_fma_f64 v[2:3], -v[2:3], v[20:21], v[22:23]
	v_div_fmas_f64 v[2:3], v[2:3], v[12:13], v[20:21]
	v_div_fixup_f64 v[0:1], v[2:3], v[0:1], 1.0
	v_mul_f64 v[2:3], v[10:11], -v[0:1]
.LBB124_817:
	s_or_b64 exec, exec, s[18:19]
.LBB124_818:
	s_or_b64 exec, exec, s[4:5]
	v_cmp_ne_u32_e32 vcc, v19, v4
	s_and_saveexec_b64 s[4:5], vcc
	s_xor_b64 s[4:5], exec, s[4:5]
	s_cbranch_execz .LBB124_824
; %bb.819:
	v_cmp_eq_u32_e32 vcc, 33, v19
	s_and_saveexec_b64 s[18:19], vcc
	s_cbranch_execz .LBB124_823
; %bb.820:
	v_cmp_ne_u32_e32 vcc, 33, v4
	s_xor_b64 s[16:17], s[10:11], -1
	s_and_b64 s[16:17], s[16:17], vcc
	s_and_saveexec_b64 s[24:25], s[16:17]
	s_cbranch_execz .LBB124_822
; %bb.821:
	v_ashrrev_i32_e32 v5, 31, v4
	v_lshlrev_b64 v[10:11], 2, v[4:5]
	v_add_co_u32_e32 v10, vcc, v8, v10
	v_addc_co_u32_e32 v11, vcc, v9, v11, vcc
	global_load_dword v5, v[10:11], off
	global_load_dword v12, v[8:9], off offset:132
	s_waitcnt vmcnt(1)
	global_store_dword v[8:9], v5, off offset:132
	s_waitcnt vmcnt(1)
	global_store_dword v[10:11], v12, off
.LBB124_822:
	s_or_b64 exec, exec, s[24:25]
	v_mov_b32_e32 v19, v4
	v_mov_b32_e32 v18, v4
.LBB124_823:
	s_or_b64 exec, exec, s[18:19]
.LBB124_824:
	s_andn2_saveexec_b64 s[4:5], s[4:5]
	s_cbranch_execz .LBB124_826
; %bb.825:
	v_mov_b32_e32 v11, s54
	buffer_load_dword v4, v11, s[0:3], 0 offen
	buffer_load_dword v5, v11, s[0:3], 0 offen offset:4
	buffer_load_dword v10, v11, s[0:3], 0 offen offset:8
	s_nop 0
	buffer_load_dword v11, v11, s[0:3], 0 offen offset:12
	v_mov_b32_e32 v19, 33
	s_waitcnt vmcnt(0)
	ds_write2_b64 v16, v[4:5], v[10:11] offset0:68 offset1:69
	v_mov_b32_e32 v11, s53
	buffer_load_dword v4, v11, s[0:3], 0 offen
	buffer_load_dword v5, v11, s[0:3], 0 offen offset:4
	buffer_load_dword v10, v11, s[0:3], 0 offen offset:8
	s_nop 0
	buffer_load_dword v11, v11, s[0:3], 0 offen offset:12
	s_waitcnt vmcnt(0)
	ds_write2_b64 v16, v[4:5], v[10:11] offset0:70 offset1:71
	v_mov_b32_e32 v11, s52
	buffer_load_dword v4, v11, s[0:3], 0 offen
	buffer_load_dword v5, v11, s[0:3], 0 offen offset:4
	buffer_load_dword v10, v11, s[0:3], 0 offen offset:8
	s_nop 0
	buffer_load_dword v11, v11, s[0:3], 0 offen offset:12
	s_waitcnt vmcnt(0)
	ds_write2_b64 v16, v[4:5], v[10:11] offset0:72 offset1:73
	v_mov_b32_e32 v11, s51
	buffer_load_dword v4, v11, s[0:3], 0 offen
	buffer_load_dword v5, v11, s[0:3], 0 offen offset:4
	buffer_load_dword v10, v11, s[0:3], 0 offen offset:8
	s_nop 0
	buffer_load_dword v11, v11, s[0:3], 0 offen offset:12
	s_waitcnt vmcnt(0)
	ds_write2_b64 v16, v[4:5], v[10:11] offset0:74 offset1:75
	v_mov_b32_e32 v11, s50
	buffer_load_dword v4, v11, s[0:3], 0 offen
	buffer_load_dword v5, v11, s[0:3], 0 offen offset:4
	buffer_load_dword v10, v11, s[0:3], 0 offen offset:8
	s_nop 0
	buffer_load_dword v11, v11, s[0:3], 0 offen offset:12
	s_waitcnt vmcnt(0)
	ds_write2_b64 v16, v[4:5], v[10:11] offset0:76 offset1:77
	v_mov_b32_e32 v11, s49
	buffer_load_dword v4, v11, s[0:3], 0 offen
	buffer_load_dword v5, v11, s[0:3], 0 offen offset:4
	buffer_load_dword v10, v11, s[0:3], 0 offen offset:8
	s_nop 0
	buffer_load_dword v11, v11, s[0:3], 0 offen offset:12
	s_waitcnt vmcnt(0)
	ds_write2_b64 v16, v[4:5], v[10:11] offset0:78 offset1:79
	v_mov_b32_e32 v11, s47
	buffer_load_dword v4, v11, s[0:3], 0 offen
	buffer_load_dword v5, v11, s[0:3], 0 offen offset:4
	buffer_load_dword v10, v11, s[0:3], 0 offen offset:8
	s_nop 0
	buffer_load_dword v11, v11, s[0:3], 0 offen offset:12
	s_waitcnt vmcnt(0)
	ds_write2_b64 v16, v[4:5], v[10:11] offset0:80 offset1:81
	v_mov_b32_e32 v11, s46
	buffer_load_dword v4, v11, s[0:3], 0 offen
	buffer_load_dword v5, v11, s[0:3], 0 offen offset:4
	buffer_load_dword v10, v11, s[0:3], 0 offen offset:8
	s_nop 0
	buffer_load_dword v11, v11, s[0:3], 0 offen offset:12
	s_waitcnt vmcnt(0)
	ds_write2_b64 v16, v[4:5], v[10:11] offset0:82 offset1:83
	v_mov_b32_e32 v11, s45
	buffer_load_dword v4, v11, s[0:3], 0 offen
	buffer_load_dword v5, v11, s[0:3], 0 offen offset:4
	buffer_load_dword v10, v11, s[0:3], 0 offen offset:8
	s_nop 0
	buffer_load_dword v11, v11, s[0:3], 0 offen offset:12
	s_waitcnt vmcnt(0)
	ds_write2_b64 v16, v[4:5], v[10:11] offset0:84 offset1:85
	v_mov_b32_e32 v11, s44
	buffer_load_dword v4, v11, s[0:3], 0 offen
	buffer_load_dword v5, v11, s[0:3], 0 offen offset:4
	buffer_load_dword v10, v11, s[0:3], 0 offen offset:8
	s_nop 0
	buffer_load_dword v11, v11, s[0:3], 0 offen offset:12
	s_waitcnt vmcnt(0)
	ds_write2_b64 v16, v[4:5], v[10:11] offset0:86 offset1:87
	v_mov_b32_e32 v11, s43
	buffer_load_dword v4, v11, s[0:3], 0 offen
	buffer_load_dword v5, v11, s[0:3], 0 offen offset:4
	buffer_load_dword v10, v11, s[0:3], 0 offen offset:8
	s_nop 0
	buffer_load_dword v11, v11, s[0:3], 0 offen offset:12
	s_waitcnt vmcnt(0)
	ds_write2_b64 v16, v[4:5], v[10:11] offset0:88 offset1:89
	v_mov_b32_e32 v11, s42
	buffer_load_dword v4, v11, s[0:3], 0 offen
	buffer_load_dword v5, v11, s[0:3], 0 offen offset:4
	buffer_load_dword v10, v11, s[0:3], 0 offen offset:8
	s_nop 0
	buffer_load_dword v11, v11, s[0:3], 0 offen offset:12
	s_waitcnt vmcnt(0)
	ds_write2_b64 v16, v[4:5], v[10:11] offset0:90 offset1:91
	v_mov_b32_e32 v11, s41
	buffer_load_dword v4, v11, s[0:3], 0 offen
	buffer_load_dword v5, v11, s[0:3], 0 offen offset:4
	buffer_load_dword v10, v11, s[0:3], 0 offen offset:8
	s_nop 0
	buffer_load_dword v11, v11, s[0:3], 0 offen offset:12
	s_waitcnt vmcnt(0)
	ds_write2_b64 v16, v[4:5], v[10:11] offset0:92 offset1:93
	v_mov_b32_e32 v11, s40
	buffer_load_dword v4, v11, s[0:3], 0 offen
	buffer_load_dword v5, v11, s[0:3], 0 offen offset:4
	buffer_load_dword v10, v11, s[0:3], 0 offen offset:8
	s_nop 0
	buffer_load_dword v11, v11, s[0:3], 0 offen offset:12
	s_waitcnt vmcnt(0)
	ds_write2_b64 v16, v[4:5], v[10:11] offset0:94 offset1:95
	v_mov_b32_e32 v11, s39
	buffer_load_dword v4, v11, s[0:3], 0 offen
	buffer_load_dword v5, v11, s[0:3], 0 offen offset:4
	buffer_load_dword v10, v11, s[0:3], 0 offen offset:8
	s_nop 0
	buffer_load_dword v11, v11, s[0:3], 0 offen offset:12
	s_waitcnt vmcnt(0)
	ds_write2_b64 v16, v[4:5], v[10:11] offset0:96 offset1:97
	v_mov_b32_e32 v11, s38
	buffer_load_dword v4, v11, s[0:3], 0 offen
	buffer_load_dword v5, v11, s[0:3], 0 offen offset:4
	buffer_load_dword v10, v11, s[0:3], 0 offen offset:8
	s_nop 0
	buffer_load_dword v11, v11, s[0:3], 0 offen offset:12
	s_waitcnt vmcnt(0)
	ds_write2_b64 v16, v[4:5], v[10:11] offset0:98 offset1:99
	v_mov_b32_e32 v11, s37
	buffer_load_dword v4, v11, s[0:3], 0 offen
	buffer_load_dword v5, v11, s[0:3], 0 offen offset:4
	buffer_load_dword v10, v11, s[0:3], 0 offen offset:8
	s_nop 0
	buffer_load_dword v11, v11, s[0:3], 0 offen offset:12
	s_waitcnt vmcnt(0)
	ds_write2_b64 v16, v[4:5], v[10:11] offset0:100 offset1:101
	v_mov_b32_e32 v11, s36
	buffer_load_dword v4, v11, s[0:3], 0 offen
	buffer_load_dword v5, v11, s[0:3], 0 offen offset:4
	buffer_load_dword v10, v11, s[0:3], 0 offen offset:8
	s_nop 0
	buffer_load_dword v11, v11, s[0:3], 0 offen offset:12
	s_waitcnt vmcnt(0)
	ds_write2_b64 v16, v[4:5], v[10:11] offset0:102 offset1:103
	v_mov_b32_e32 v11, s35
	buffer_load_dword v4, v11, s[0:3], 0 offen
	buffer_load_dword v5, v11, s[0:3], 0 offen offset:4
	buffer_load_dword v10, v11, s[0:3], 0 offen offset:8
	s_nop 0
	buffer_load_dword v11, v11, s[0:3], 0 offen offset:12
	s_waitcnt vmcnt(0)
	ds_write2_b64 v16, v[4:5], v[10:11] offset0:104 offset1:105
	v_mov_b32_e32 v11, s34
	buffer_load_dword v4, v11, s[0:3], 0 offen
	buffer_load_dword v5, v11, s[0:3], 0 offen offset:4
	buffer_load_dword v10, v11, s[0:3], 0 offen offset:8
	s_nop 0
	buffer_load_dword v11, v11, s[0:3], 0 offen offset:12
	s_waitcnt vmcnt(0)
	ds_write2_b64 v16, v[4:5], v[10:11] offset0:106 offset1:107
	v_mov_b32_e32 v11, s33
	buffer_load_dword v4, v11, s[0:3], 0 offen
	buffer_load_dword v5, v11, s[0:3], 0 offen offset:4
	buffer_load_dword v10, v11, s[0:3], 0 offen offset:8
	s_nop 0
	buffer_load_dword v11, v11, s[0:3], 0 offen offset:12
	s_waitcnt vmcnt(0)
	ds_write2_b64 v16, v[4:5], v[10:11] offset0:108 offset1:109
	v_mov_b32_e32 v11, s31
	buffer_load_dword v4, v11, s[0:3], 0 offen
	buffer_load_dword v5, v11, s[0:3], 0 offen offset:4
	buffer_load_dword v10, v11, s[0:3], 0 offen offset:8
	s_nop 0
	buffer_load_dword v11, v11, s[0:3], 0 offen offset:12
	s_waitcnt vmcnt(0)
	ds_write2_b64 v16, v[4:5], v[10:11] offset0:110 offset1:111
	v_mov_b32_e32 v11, s30
	buffer_load_dword v4, v11, s[0:3], 0 offen
	buffer_load_dword v5, v11, s[0:3], 0 offen offset:4
	buffer_load_dword v10, v11, s[0:3], 0 offen offset:8
	s_nop 0
	buffer_load_dword v11, v11, s[0:3], 0 offen offset:12
	s_waitcnt vmcnt(0)
	ds_write2_b64 v16, v[4:5], v[10:11] offset0:112 offset1:113
	v_mov_b32_e32 v11, s29
	buffer_load_dword v4, v11, s[0:3], 0 offen
	buffer_load_dword v5, v11, s[0:3], 0 offen offset:4
	buffer_load_dword v10, v11, s[0:3], 0 offen offset:8
	s_nop 0
	buffer_load_dword v11, v11, s[0:3], 0 offen offset:12
	s_waitcnt vmcnt(0)
	ds_write2_b64 v16, v[4:5], v[10:11] offset0:114 offset1:115
	v_mov_b32_e32 v11, s28
	buffer_load_dword v4, v11, s[0:3], 0 offen
	buffer_load_dword v5, v11, s[0:3], 0 offen offset:4
	buffer_load_dword v10, v11, s[0:3], 0 offen offset:8
	s_nop 0
	buffer_load_dword v11, v11, s[0:3], 0 offen offset:12
	s_waitcnt vmcnt(0)
	ds_write2_b64 v16, v[4:5], v[10:11] offset0:116 offset1:117
	v_mov_b32_e32 v11, s27
	buffer_load_dword v4, v11, s[0:3], 0 offen
	buffer_load_dword v5, v11, s[0:3], 0 offen offset:4
	buffer_load_dword v10, v11, s[0:3], 0 offen offset:8
	s_nop 0
	buffer_load_dword v11, v11, s[0:3], 0 offen offset:12
	s_waitcnt vmcnt(0)
	ds_write2_b64 v16, v[4:5], v[10:11] offset0:118 offset1:119
	v_mov_b32_e32 v11, s26
	buffer_load_dword v4, v11, s[0:3], 0 offen
	buffer_load_dword v5, v11, s[0:3], 0 offen offset:4
	buffer_load_dword v10, v11, s[0:3], 0 offen offset:8
	s_nop 0
	buffer_load_dword v11, v11, s[0:3], 0 offen offset:12
	s_waitcnt vmcnt(0)
	ds_write2_b64 v16, v[4:5], v[10:11] offset0:120 offset1:121
	v_mov_b32_e32 v11, s20
	buffer_load_dword v4, v11, s[0:3], 0 offen
	buffer_load_dword v5, v11, s[0:3], 0 offen offset:4
	buffer_load_dword v10, v11, s[0:3], 0 offen offset:8
	s_nop 0
	buffer_load_dword v11, v11, s[0:3], 0 offen offset:12
	s_waitcnt vmcnt(0)
	ds_write2_b64 v16, v[4:5], v[10:11] offset0:122 offset1:123
	v_mov_b32_e32 v11, s7
	buffer_load_dword v4, v11, s[0:3], 0 offen
	buffer_load_dword v5, v11, s[0:3], 0 offen offset:4
	buffer_load_dword v10, v11, s[0:3], 0 offen offset:8
	s_nop 0
	buffer_load_dword v11, v11, s[0:3], 0 offen offset:12
	s_waitcnt vmcnt(0)
	ds_write2_b64 v16, v[4:5], v[10:11] offset0:124 offset1:125
.LBB124_826:
	s_or_b64 exec, exec, s[4:5]
	v_cmp_lt_i32_e32 vcc, 33, v19
	s_waitcnt vmcnt(0) lgkmcnt(0)
	s_barrier
	s_and_saveexec_b64 s[4:5], vcc
	s_cbranch_execz .LBB124_828
; %bb.827:
	buffer_load_dword v10, off, s[0:3], 0 offset:528
	buffer_load_dword v11, off, s[0:3], 0 offset:532
	;; [unrolled: 1-line block ×16, first 2 shown]
	s_waitcnt vmcnt(12)
	v_mul_f64 v[4:5], v[2:3], v[12:13]
	v_fma_f64 v[4:5], v[0:1], v[10:11], -v[4:5]
	v_mul_f64 v[0:1], v[0:1], v[12:13]
	v_fma_f64 v[10:11], v[2:3], v[10:11], v[0:1]
	buffer_store_dword v4, off, s[0:3], 0 offset:528
	buffer_store_dword v5, off, s[0:3], 0 offset:532
	buffer_store_dword v10, off, s[0:3], 0 offset:536
	buffer_store_dword v11, off, s[0:3], 0 offset:540
	ds_read2_b64 v[0:3], v16 offset0:68 offset1:69
	s_waitcnt lgkmcnt(0)
	v_mul_f64 v[12:13], v[2:3], v[10:11]
	v_fma_f64 v[12:13], v[0:1], v[4:5], -v[12:13]
	v_mul_f64 v[0:1], v[0:1], v[10:11]
	v_fma_f64 v[0:1], v[2:3], v[4:5], v[0:1]
	s_waitcnt vmcnt(14)
	v_add_f64 v[2:3], v[20:21], -v[12:13]
	s_waitcnt vmcnt(12)
	v_add_f64 v[0:1], v[22:23], -v[0:1]
	buffer_store_dword v2, off, s[0:3], 0 offset:544
	buffer_store_dword v3, off, s[0:3], 0 offset:548
	buffer_store_dword v0, off, s[0:3], 0 offset:552
	buffer_store_dword v1, off, s[0:3], 0 offset:556
	ds_read2_b64 v[0:3], v16 offset0:70 offset1:71
	s_waitcnt lgkmcnt(0)
	v_mul_f64 v[12:13], v[2:3], v[10:11]
	v_fma_f64 v[12:13], v[0:1], v[4:5], -v[12:13]
	v_mul_f64 v[0:1], v[0:1], v[10:11]
	v_fma_f64 v[0:1], v[2:3], v[4:5], v[0:1]
	s_waitcnt vmcnt(14)
	v_add_f64 v[2:3], v[24:25], -v[12:13]
	s_waitcnt vmcnt(12)
	v_add_f64 v[0:1], v[26:27], -v[0:1]
	;; [unrolled: 14-line block ×3, first 2 shown]
	buffer_store_dword v3, off, s[0:3], 0 offset:580
	buffer_store_dword v2, off, s[0:3], 0 offset:576
	buffer_store_dword v0, off, s[0:3], 0 offset:584
	buffer_store_dword v1, off, s[0:3], 0 offset:588
	ds_read2_b64 v[0:3], v16 offset0:74 offset1:75
	s_waitcnt lgkmcnt(0)
	v_mul_f64 v[12:13], v[2:3], v[10:11]
	v_fma_f64 v[12:13], v[0:1], v[4:5], -v[12:13]
	v_mul_f64 v[0:1], v[0:1], v[10:11]
	v_fma_f64 v[0:1], v[2:3], v[4:5], v[0:1]
	buffer_load_dword v2, off, s[0:3], 0 offset:592
	buffer_load_dword v3, off, s[0:3], 0 offset:596
	buffer_load_dword v20, off, s[0:3], 0 offset:600
	buffer_load_dword v21, off, s[0:3], 0 offset:604
	s_waitcnt vmcnt(2)
	v_add_f64 v[2:3], v[2:3], -v[12:13]
	s_waitcnt vmcnt(0)
	v_add_f64 v[0:1], v[20:21], -v[0:1]
	buffer_store_dword v3, off, s[0:3], 0 offset:596
	buffer_store_dword v2, off, s[0:3], 0 offset:592
	buffer_store_dword v1, off, s[0:3], 0 offset:604
	buffer_store_dword v0, off, s[0:3], 0 offset:600
	ds_read2_b64 v[0:3], v16 offset0:76 offset1:77
	s_waitcnt lgkmcnt(0)
	v_mul_f64 v[12:13], v[2:3], v[10:11]
	v_fma_f64 v[12:13], v[0:1], v[4:5], -v[12:13]
	v_mul_f64 v[0:1], v[0:1], v[10:11]
	v_fma_f64 v[0:1], v[2:3], v[4:5], v[0:1]
	buffer_load_dword v2, off, s[0:3], 0 offset:608
	buffer_load_dword v3, off, s[0:3], 0 offset:612
	buffer_load_dword v20, off, s[0:3], 0 offset:616
	buffer_load_dword v21, off, s[0:3], 0 offset:620
	s_waitcnt vmcnt(2)
	v_add_f64 v[2:3], v[2:3], -v[12:13]
	s_waitcnt vmcnt(0)
	v_add_f64 v[0:1], v[20:21], -v[0:1]
	;; [unrolled: 18-line block ×3, first 2 shown]
	buffer_store_dword v3, off, s[0:3], 0 offset:628
	buffer_store_dword v2, off, s[0:3], 0 offset:624
	;; [unrolled: 1-line block ×4, first 2 shown]
	ds_read2_b64 v[2:5], v16 offset0:80 offset1:81
	buffer_load_dword v0, off, s[0:3], 0 offset:528
	buffer_load_dword v1, off, s[0:3], 0 offset:532
	;; [unrolled: 1-line block ×4, first 2 shown]
	s_waitcnt vmcnt(0) lgkmcnt(0)
	v_mul_f64 v[12:13], v[4:5], v[10:11]
	v_fma_f64 v[12:13], v[2:3], v[0:1], -v[12:13]
	v_mul_f64 v[2:3], v[2:3], v[10:11]
	v_fma_f64 v[2:3], v[4:5], v[0:1], v[2:3]
	buffer_load_dword v5, off, s[0:3], 0 offset:644
	buffer_load_dword v4, off, s[0:3], 0 offset:640
	s_waitcnt vmcnt(0)
	v_add_f64 v[4:5], v[4:5], -v[12:13]
	buffer_load_dword v13, off, s[0:3], 0 offset:652
	buffer_load_dword v12, off, s[0:3], 0 offset:648
	s_waitcnt vmcnt(0)
	v_add_f64 v[2:3], v[12:13], -v[2:3]
	buffer_store_dword v5, off, s[0:3], 0 offset:644
	buffer_store_dword v4, off, s[0:3], 0 offset:640
	buffer_store_dword v3, off, s[0:3], 0 offset:652
	buffer_store_dword v2, off, s[0:3], 0 offset:648
	ds_read2_b64 v[2:5], v16 offset0:82 offset1:83
	s_waitcnt lgkmcnt(0)
	v_mul_f64 v[12:13], v[4:5], v[10:11]
	v_fma_f64 v[12:13], v[2:3], v[0:1], -v[12:13]
	v_mul_f64 v[2:3], v[2:3], v[10:11]
	v_fma_f64 v[2:3], v[4:5], v[0:1], v[2:3]
	buffer_load_dword v4, off, s[0:3], 0 offset:656
	buffer_load_dword v5, off, s[0:3], 0 offset:660
	buffer_load_dword v20, off, s[0:3], 0 offset:664
	buffer_load_dword v21, off, s[0:3], 0 offset:668
	s_waitcnt vmcnt(2)
	v_add_f64 v[4:5], v[4:5], -v[12:13]
	s_waitcnt vmcnt(0)
	v_add_f64 v[2:3], v[20:21], -v[2:3]
	buffer_store_dword v5, off, s[0:3], 0 offset:660
	buffer_store_dword v4, off, s[0:3], 0 offset:656
	buffer_store_dword v3, off, s[0:3], 0 offset:668
	buffer_store_dword v2, off, s[0:3], 0 offset:664
	ds_read2_b64 v[2:5], v16 offset0:84 offset1:85
	s_waitcnt lgkmcnt(0)
	v_mul_f64 v[12:13], v[4:5], v[10:11]
	v_fma_f64 v[12:13], v[2:3], v[0:1], -v[12:13]
	v_mul_f64 v[2:3], v[2:3], v[10:11]
	v_fma_f64 v[2:3], v[4:5], v[0:1], v[2:3]
	buffer_load_dword v4, off, s[0:3], 0 offset:672
	buffer_load_dword v5, off, s[0:3], 0 offset:676
	buffer_load_dword v20, off, s[0:3], 0 offset:680
	buffer_load_dword v21, off, s[0:3], 0 offset:684
	s_waitcnt vmcnt(2)
	v_add_f64 v[4:5], v[4:5], -v[12:13]
	;; [unrolled: 18-line block ×5, first 2 shown]
	s_waitcnt vmcnt(0)
	v_add_f64 v[0:1], v[4:5], -v[0:1]
	buffer_store_dword v3, off, s[0:3], 0 offset:724
	buffer_store_dword v2, off, s[0:3], 0 offset:720
	;; [unrolled: 1-line block ×4, first 2 shown]
	ds_read2_b64 v[0:3], v16 offset0:92 offset1:93
	buffer_load_dword v4, off, s[0:3], 0 offset:528
	buffer_load_dword v5, off, s[0:3], 0 offset:532
	buffer_load_dword v10, off, s[0:3], 0 offset:536
	buffer_load_dword v11, off, s[0:3], 0 offset:540
	s_waitcnt vmcnt(0) lgkmcnt(0)
	v_mul_f64 v[12:13], v[2:3], v[10:11]
	v_fma_f64 v[12:13], v[0:1], v[4:5], -v[12:13]
	v_mul_f64 v[0:1], v[0:1], v[10:11]
	v_fma_f64 v[0:1], v[2:3], v[4:5], v[0:1]
	buffer_load_dword v3, off, s[0:3], 0 offset:740
	buffer_load_dword v2, off, s[0:3], 0 offset:736
	s_waitcnt vmcnt(0)
	v_add_f64 v[2:3], v[2:3], -v[12:13]
	buffer_load_dword v13, off, s[0:3], 0 offset:748
	buffer_load_dword v12, off, s[0:3], 0 offset:744
	s_waitcnt vmcnt(0)
	v_add_f64 v[0:1], v[12:13], -v[0:1]
	buffer_store_dword v3, off, s[0:3], 0 offset:740
	buffer_store_dword v2, off, s[0:3], 0 offset:736
	buffer_store_dword v1, off, s[0:3], 0 offset:748
	buffer_store_dword v0, off, s[0:3], 0 offset:744
	ds_read2_b64 v[0:3], v16 offset0:94 offset1:95
	s_waitcnt lgkmcnt(0)
	v_mul_f64 v[12:13], v[2:3], v[10:11]
	v_fma_f64 v[12:13], v[0:1], v[4:5], -v[12:13]
	v_mul_f64 v[0:1], v[0:1], v[10:11]
	v_fma_f64 v[0:1], v[2:3], v[4:5], v[0:1]
	buffer_load_dword v2, off, s[0:3], 0 offset:752
	buffer_load_dword v3, off, s[0:3], 0 offset:756
	buffer_load_dword v20, off, s[0:3], 0 offset:760
	buffer_load_dword v21, off, s[0:3], 0 offset:764
	s_waitcnt vmcnt(2)
	v_add_f64 v[2:3], v[2:3], -v[12:13]
	s_waitcnt vmcnt(0)
	v_add_f64 v[0:1], v[20:21], -v[0:1]
	buffer_store_dword v3, off, s[0:3], 0 offset:756
	buffer_store_dword v2, off, s[0:3], 0 offset:752
	buffer_store_dword v1, off, s[0:3], 0 offset:764
	buffer_store_dword v0, off, s[0:3], 0 offset:760
	ds_read2_b64 v[0:3], v16 offset0:96 offset1:97
	s_waitcnt lgkmcnt(0)
	v_mul_f64 v[12:13], v[2:3], v[10:11]
	v_fma_f64 v[12:13], v[0:1], v[4:5], -v[12:13]
	v_mul_f64 v[0:1], v[0:1], v[10:11]
	v_fma_f64 v[0:1], v[2:3], v[4:5], v[0:1]
	buffer_load_dword v2, off, s[0:3], 0 offset:768
	buffer_load_dword v3, off, s[0:3], 0 offset:772
	buffer_load_dword v20, off, s[0:3], 0 offset:776
	buffer_load_dword v21, off, s[0:3], 0 offset:780
	s_waitcnt vmcnt(2)
	v_add_f64 v[2:3], v[2:3], -v[12:13]
	;; [unrolled: 18-line block ×5, first 2 shown]
	s_waitcnt vmcnt(0)
	v_add_f64 v[0:1], v[4:5], -v[0:1]
	buffer_store_dword v3, off, s[0:3], 0 offset:820
	buffer_store_dword v2, off, s[0:3], 0 offset:816
	;; [unrolled: 1-line block ×4, first 2 shown]
	ds_read2_b64 v[0:3], v16 offset0:104 offset1:105
	buffer_load_dword v4, off, s[0:3], 0 offset:528
	buffer_load_dword v5, off, s[0:3], 0 offset:532
	;; [unrolled: 1-line block ×4, first 2 shown]
	s_waitcnt vmcnt(0) lgkmcnt(0)
	v_mul_f64 v[12:13], v[2:3], v[10:11]
	v_fma_f64 v[12:13], v[0:1], v[4:5], -v[12:13]
	v_mul_f64 v[0:1], v[0:1], v[10:11]
	v_fma_f64 v[0:1], v[2:3], v[4:5], v[0:1]
	buffer_load_dword v3, off, s[0:3], 0 offset:836
	buffer_load_dword v2, off, s[0:3], 0 offset:832
	s_waitcnt vmcnt(0)
	v_add_f64 v[2:3], v[2:3], -v[12:13]
	buffer_load_dword v13, off, s[0:3], 0 offset:844
	buffer_load_dword v12, off, s[0:3], 0 offset:840
	s_waitcnt vmcnt(0)
	v_add_f64 v[0:1], v[12:13], -v[0:1]
	buffer_store_dword v3, off, s[0:3], 0 offset:836
	buffer_store_dword v2, off, s[0:3], 0 offset:832
	buffer_store_dword v1, off, s[0:3], 0 offset:844
	buffer_store_dword v0, off, s[0:3], 0 offset:840
	ds_read2_b64 v[0:3], v16 offset0:106 offset1:107
	s_waitcnt lgkmcnt(0)
	v_mul_f64 v[12:13], v[2:3], v[10:11]
	v_fma_f64 v[12:13], v[0:1], v[4:5], -v[12:13]
	v_mul_f64 v[0:1], v[0:1], v[10:11]
	v_fma_f64 v[0:1], v[2:3], v[4:5], v[0:1]
	buffer_load_dword v2, off, s[0:3], 0 offset:848
	buffer_load_dword v3, off, s[0:3], 0 offset:852
	buffer_load_dword v20, off, s[0:3], 0 offset:856
	buffer_load_dword v21, off, s[0:3], 0 offset:860
	s_waitcnt vmcnt(2)
	v_add_f64 v[2:3], v[2:3], -v[12:13]
	s_waitcnt vmcnt(0)
	v_add_f64 v[0:1], v[20:21], -v[0:1]
	buffer_store_dword v3, off, s[0:3], 0 offset:852
	buffer_store_dword v2, off, s[0:3], 0 offset:848
	buffer_store_dword v1, off, s[0:3], 0 offset:860
	buffer_store_dword v0, off, s[0:3], 0 offset:856
	ds_read2_b64 v[0:3], v16 offset0:108 offset1:109
	s_waitcnt lgkmcnt(0)
	v_mul_f64 v[12:13], v[2:3], v[10:11]
	v_fma_f64 v[12:13], v[0:1], v[4:5], -v[12:13]
	v_mul_f64 v[0:1], v[0:1], v[10:11]
	v_fma_f64 v[0:1], v[2:3], v[4:5], v[0:1]
	buffer_load_dword v2, off, s[0:3], 0 offset:864
	buffer_load_dword v3, off, s[0:3], 0 offset:868
	buffer_load_dword v20, off, s[0:3], 0 offset:872
	buffer_load_dword v21, off, s[0:3], 0 offset:876
	s_waitcnt vmcnt(2)
	v_add_f64 v[2:3], v[2:3], -v[12:13]
	;; [unrolled: 18-line block ×5, first 2 shown]
	s_waitcnt vmcnt(0)
	v_add_f64 v[0:1], v[4:5], -v[0:1]
	buffer_store_dword v3, off, s[0:3], 0 offset:916
	buffer_store_dword v2, off, s[0:3], 0 offset:912
	;; [unrolled: 1-line block ×4, first 2 shown]
	ds_read2_b64 v[0:3], v16 offset0:116 offset1:117
	buffer_load_dword v4, off, s[0:3], 0 offset:528
	buffer_load_dword v5, off, s[0:3], 0 offset:532
	buffer_load_dword v10, off, s[0:3], 0 offset:536
	buffer_load_dword v11, off, s[0:3], 0 offset:540
	s_waitcnt vmcnt(0) lgkmcnt(0)
	v_mul_f64 v[12:13], v[2:3], v[10:11]
	v_fma_f64 v[12:13], v[0:1], v[4:5], -v[12:13]
	v_mul_f64 v[0:1], v[0:1], v[10:11]
	v_fma_f64 v[0:1], v[2:3], v[4:5], v[0:1]
	buffer_load_dword v3, off, s[0:3], 0 offset:932
	buffer_load_dword v2, off, s[0:3], 0 offset:928
	s_waitcnt vmcnt(0)
	v_add_f64 v[2:3], v[2:3], -v[12:13]
	buffer_load_dword v13, off, s[0:3], 0 offset:940
	buffer_load_dword v12, off, s[0:3], 0 offset:936
	s_waitcnt vmcnt(0)
	v_add_f64 v[0:1], v[12:13], -v[0:1]
	buffer_store_dword v3, off, s[0:3], 0 offset:932
	buffer_store_dword v2, off, s[0:3], 0 offset:928
	buffer_store_dword v1, off, s[0:3], 0 offset:940
	buffer_store_dword v0, off, s[0:3], 0 offset:936
	ds_read2_b64 v[0:3], v16 offset0:118 offset1:119
	s_waitcnt lgkmcnt(0)
	v_mul_f64 v[12:13], v[2:3], v[10:11]
	v_fma_f64 v[12:13], v[0:1], v[4:5], -v[12:13]
	v_mul_f64 v[0:1], v[0:1], v[10:11]
	v_fma_f64 v[0:1], v[2:3], v[4:5], v[0:1]
	buffer_load_dword v2, off, s[0:3], 0 offset:944
	buffer_load_dword v3, off, s[0:3], 0 offset:948
	buffer_load_dword v20, off, s[0:3], 0 offset:952
	buffer_load_dword v21, off, s[0:3], 0 offset:956
	s_waitcnt vmcnt(2)
	v_add_f64 v[2:3], v[2:3], -v[12:13]
	s_waitcnt vmcnt(0)
	v_add_f64 v[0:1], v[20:21], -v[0:1]
	buffer_store_dword v3, off, s[0:3], 0 offset:948
	buffer_store_dword v2, off, s[0:3], 0 offset:944
	buffer_store_dword v1, off, s[0:3], 0 offset:956
	buffer_store_dword v0, off, s[0:3], 0 offset:952
	ds_read2_b64 v[0:3], v16 offset0:120 offset1:121
	s_waitcnt lgkmcnt(0)
	v_mul_f64 v[12:13], v[2:3], v[10:11]
	v_fma_f64 v[12:13], v[0:1], v[4:5], -v[12:13]
	v_mul_f64 v[0:1], v[0:1], v[10:11]
	v_fma_f64 v[0:1], v[2:3], v[4:5], v[0:1]
	buffer_load_dword v2, off, s[0:3], 0 offset:960
	buffer_load_dword v3, off, s[0:3], 0 offset:964
	buffer_load_dword v20, off, s[0:3], 0 offset:968
	buffer_load_dword v21, off, s[0:3], 0 offset:972
	s_waitcnt vmcnt(2)
	v_add_f64 v[2:3], v[2:3], -v[12:13]
	;; [unrolled: 18-line block ×4, first 2 shown]
	s_waitcnt vmcnt(0)
	v_add_f64 v[0:1], v[4:5], -v[0:1]
	buffer_store_dword v3, off, s[0:3], 0 offset:996
	buffer_store_dword v2, off, s[0:3], 0 offset:992
	;; [unrolled: 1-line block ×4, first 2 shown]
.LBB124_828:
	s_or_b64 exec, exec, s[4:5]
	v_mov_b32_e32 v3, s54
	s_waitcnt vmcnt(0)
	s_barrier
	buffer_load_dword v0, v3, s[0:3], 0 offen
	buffer_load_dword v1, v3, s[0:3], 0 offen offset:4
	buffer_load_dword v2, v3, s[0:3], 0 offen offset:8
	s_nop 0
	buffer_load_dword v3, v3, s[0:3], 0 offen offset:12
	v_lshl_add_u32 v4, v19, 4, v16
	s_cmp_lt_i32 s65, 36
	s_waitcnt vmcnt(0)
	ds_write2_b64 v4, v[0:1], v[2:3] offset1:1
	s_waitcnt lgkmcnt(0)
	s_barrier
	ds_read2_b64 v[0:3], v16 offset0:68 offset1:69
	v_mov_b32_e32 v4, 34
	s_cbranch_scc1 .LBB124_831
; %bb.829:
	v_add_u32_e32 v5, 0x230, v16
	s_mov_b32 s16, 35
	v_mov_b32_e32 v4, 34
.LBB124_830:                            ; =>This Inner Loop Header: Depth=1
	s_waitcnt lgkmcnt(0)
	v_cmp_gt_f64_e32 vcc, 0, v[2:3]
	v_cmp_gt_f64_e64 s[4:5], 0, v[0:1]
	ds_read2_b64 v[10:13], v5 offset1:1
	v_xor_b32_e32 v21, 0x80000000, v1
	v_xor_b32_e32 v23, 0x80000000, v3
	v_mov_b32_e32 v20, v0
	v_mov_b32_e32 v22, v2
	s_waitcnt lgkmcnt(0)
	v_xor_b32_e32 v25, 0x80000000, v13
	v_cndmask_b32_e32 v23, v3, v23, vcc
	v_cndmask_b32_e64 v21, v1, v21, s[4:5]
	v_cmp_gt_f64_e32 vcc, 0, v[12:13]
	v_cmp_gt_f64_e64 s[4:5], 0, v[10:11]
	v_add_f64 v[20:21], v[20:21], v[22:23]
	v_xor_b32_e32 v23, 0x80000000, v11
	v_mov_b32_e32 v22, v10
	v_mov_b32_e32 v24, v12
	v_add_u32_e32 v5, 16, v5
	v_cndmask_b32_e32 v25, v13, v25, vcc
	v_cndmask_b32_e64 v23, v11, v23, s[4:5]
	v_add_f64 v[22:23], v[22:23], v[24:25]
	v_mov_b32_e32 v24, s16
	s_add_i32 s16, s16, 1
	s_cmp_lg_u32 s65, s16
	v_cmp_lt_f64_e32 vcc, v[20:21], v[22:23]
	v_cndmask_b32_e32 v1, v1, v11, vcc
	v_cndmask_b32_e32 v0, v0, v10, vcc
	;; [unrolled: 1-line block ×5, first 2 shown]
	s_cbranch_scc1 .LBB124_830
.LBB124_831:
	s_waitcnt lgkmcnt(0)
	v_cmp_eq_f64_e32 vcc, 0, v[0:1]
	v_cmp_eq_f64_e64 s[4:5], 0, v[2:3]
	s_and_b64 s[4:5], vcc, s[4:5]
	s_and_saveexec_b64 s[16:17], s[4:5]
	s_xor_b64 s[4:5], exec, s[16:17]
; %bb.832:
	v_cmp_ne_u32_e32 vcc, 0, v17
	v_cndmask_b32_e32 v17, 35, v17, vcc
; %bb.833:
	s_andn2_saveexec_b64 s[4:5], s[4:5]
	s_cbranch_execz .LBB124_839
; %bb.834:
	v_cmp_ngt_f64_e64 s[16:17], |v[0:1]|, |v[2:3]|
	s_and_saveexec_b64 s[18:19], s[16:17]
	s_xor_b64 s[18:19], exec, s[18:19]
	s_cbranch_execz .LBB124_836
; %bb.835:
	v_div_scale_f64 v[10:11], s[16:17], v[2:3], v[2:3], v[0:1]
	v_rcp_f64_e32 v[12:13], v[10:11]
	v_fma_f64 v[20:21], -v[10:11], v[12:13], 1.0
	v_fma_f64 v[12:13], v[12:13], v[20:21], v[12:13]
	v_div_scale_f64 v[20:21], vcc, v[0:1], v[2:3], v[0:1]
	v_fma_f64 v[22:23], -v[10:11], v[12:13], 1.0
	v_fma_f64 v[12:13], v[12:13], v[22:23], v[12:13]
	v_mul_f64 v[22:23], v[20:21], v[12:13]
	v_fma_f64 v[10:11], -v[10:11], v[22:23], v[20:21]
	v_div_fmas_f64 v[10:11], v[10:11], v[12:13], v[22:23]
	v_div_fixup_f64 v[10:11], v[10:11], v[2:3], v[0:1]
	v_fma_f64 v[0:1], v[0:1], v[10:11], v[2:3]
	v_div_scale_f64 v[2:3], s[16:17], v[0:1], v[0:1], 1.0
	v_div_scale_f64 v[22:23], vcc, 1.0, v[0:1], 1.0
	v_rcp_f64_e32 v[12:13], v[2:3]
	v_fma_f64 v[20:21], -v[2:3], v[12:13], 1.0
	v_fma_f64 v[12:13], v[12:13], v[20:21], v[12:13]
	v_fma_f64 v[20:21], -v[2:3], v[12:13], 1.0
	v_fma_f64 v[12:13], v[12:13], v[20:21], v[12:13]
	v_mul_f64 v[20:21], v[22:23], v[12:13]
	v_fma_f64 v[2:3], -v[2:3], v[20:21], v[22:23]
	v_div_fmas_f64 v[2:3], v[2:3], v[12:13], v[20:21]
	v_div_fixup_f64 v[2:3], v[2:3], v[0:1], 1.0
	v_mul_f64 v[0:1], v[10:11], v[2:3]
	v_xor_b32_e32 v3, 0x80000000, v3
.LBB124_836:
	s_andn2_saveexec_b64 s[18:19], s[18:19]
	s_cbranch_execz .LBB124_838
; %bb.837:
	v_div_scale_f64 v[10:11], s[16:17], v[0:1], v[0:1], v[2:3]
	v_rcp_f64_e32 v[12:13], v[10:11]
	v_fma_f64 v[20:21], -v[10:11], v[12:13], 1.0
	v_fma_f64 v[12:13], v[12:13], v[20:21], v[12:13]
	v_div_scale_f64 v[20:21], vcc, v[2:3], v[0:1], v[2:3]
	v_fma_f64 v[22:23], -v[10:11], v[12:13], 1.0
	v_fma_f64 v[12:13], v[12:13], v[22:23], v[12:13]
	v_mul_f64 v[22:23], v[20:21], v[12:13]
	v_fma_f64 v[10:11], -v[10:11], v[22:23], v[20:21]
	v_div_fmas_f64 v[10:11], v[10:11], v[12:13], v[22:23]
	v_div_fixup_f64 v[10:11], v[10:11], v[0:1], v[2:3]
	v_fma_f64 v[0:1], v[2:3], v[10:11], v[0:1]
	v_div_scale_f64 v[2:3], s[16:17], v[0:1], v[0:1], 1.0
	v_div_scale_f64 v[22:23], vcc, 1.0, v[0:1], 1.0
	v_rcp_f64_e32 v[12:13], v[2:3]
	v_fma_f64 v[20:21], -v[2:3], v[12:13], 1.0
	v_fma_f64 v[12:13], v[12:13], v[20:21], v[12:13]
	v_fma_f64 v[20:21], -v[2:3], v[12:13], 1.0
	v_fma_f64 v[12:13], v[12:13], v[20:21], v[12:13]
	v_mul_f64 v[20:21], v[22:23], v[12:13]
	v_fma_f64 v[2:3], -v[2:3], v[20:21], v[22:23]
	v_div_fmas_f64 v[2:3], v[2:3], v[12:13], v[20:21]
	v_div_fixup_f64 v[0:1], v[2:3], v[0:1], 1.0
	v_mul_f64 v[2:3], v[10:11], -v[0:1]
.LBB124_838:
	s_or_b64 exec, exec, s[18:19]
.LBB124_839:
	s_or_b64 exec, exec, s[4:5]
	v_cmp_ne_u32_e32 vcc, v19, v4
	s_and_saveexec_b64 s[4:5], vcc
	s_xor_b64 s[4:5], exec, s[4:5]
	s_cbranch_execz .LBB124_845
; %bb.840:
	v_cmp_eq_u32_e32 vcc, 34, v19
	s_and_saveexec_b64 s[18:19], vcc
	s_cbranch_execz .LBB124_844
; %bb.841:
	v_cmp_ne_u32_e32 vcc, 34, v4
	s_xor_b64 s[16:17], s[10:11], -1
	s_and_b64 s[16:17], s[16:17], vcc
	s_and_saveexec_b64 s[24:25], s[16:17]
	s_cbranch_execz .LBB124_843
; %bb.842:
	v_ashrrev_i32_e32 v5, 31, v4
	v_lshlrev_b64 v[10:11], 2, v[4:5]
	v_add_co_u32_e32 v10, vcc, v8, v10
	v_addc_co_u32_e32 v11, vcc, v9, v11, vcc
	global_load_dword v5, v[10:11], off
	global_load_dword v12, v[8:9], off offset:136
	s_waitcnt vmcnt(1)
	global_store_dword v[8:9], v5, off offset:136
	s_waitcnt vmcnt(1)
	global_store_dword v[10:11], v12, off
.LBB124_843:
	s_or_b64 exec, exec, s[24:25]
	v_mov_b32_e32 v19, v4
	v_mov_b32_e32 v18, v4
.LBB124_844:
	s_or_b64 exec, exec, s[18:19]
.LBB124_845:
	s_andn2_saveexec_b64 s[4:5], s[4:5]
	s_cbranch_execz .LBB124_847
; %bb.846:
	v_mov_b32_e32 v11, s53
	buffer_load_dword v4, v11, s[0:3], 0 offen
	buffer_load_dword v5, v11, s[0:3], 0 offen offset:4
	buffer_load_dword v10, v11, s[0:3], 0 offen offset:8
	s_nop 0
	buffer_load_dword v11, v11, s[0:3], 0 offen offset:12
	v_mov_b32_e32 v19, 34
	s_waitcnt vmcnt(0)
	ds_write2_b64 v16, v[4:5], v[10:11] offset0:70 offset1:71
	v_mov_b32_e32 v11, s52
	buffer_load_dword v4, v11, s[0:3], 0 offen
	buffer_load_dword v5, v11, s[0:3], 0 offen offset:4
	buffer_load_dword v10, v11, s[0:3], 0 offen offset:8
	s_nop 0
	buffer_load_dword v11, v11, s[0:3], 0 offen offset:12
	s_waitcnt vmcnt(0)
	ds_write2_b64 v16, v[4:5], v[10:11] offset0:72 offset1:73
	v_mov_b32_e32 v11, s51
	buffer_load_dword v4, v11, s[0:3], 0 offen
	buffer_load_dword v5, v11, s[0:3], 0 offen offset:4
	buffer_load_dword v10, v11, s[0:3], 0 offen offset:8
	s_nop 0
	buffer_load_dword v11, v11, s[0:3], 0 offen offset:12
	;; [unrolled: 8-line block ×27, first 2 shown]
	s_waitcnt vmcnt(0)
	ds_write2_b64 v16, v[4:5], v[10:11] offset0:124 offset1:125
.LBB124_847:
	s_or_b64 exec, exec, s[4:5]
	v_cmp_lt_i32_e32 vcc, 34, v19
	s_waitcnt vmcnt(0) lgkmcnt(0)
	s_barrier
	s_and_saveexec_b64 s[4:5], vcc
	s_cbranch_execz .LBB124_849
; %bb.848:
	buffer_load_dword v4, off, s[0:3], 0 offset:544
	buffer_load_dword v5, off, s[0:3], 0 offset:548
	;; [unrolled: 1-line block ×16, first 2 shown]
	s_waitcnt vmcnt(12)
	v_mul_f64 v[30:31], v[2:3], v[10:11]
	v_fma_f64 v[30:31], v[0:1], v[4:5], -v[30:31]
	v_mul_f64 v[0:1], v[0:1], v[10:11]
	v_fma_f64 v[4:5], v[2:3], v[4:5], v[0:1]
	buffer_store_dword v30, off, s[0:3], 0 offset:544
	buffer_store_dword v31, off, s[0:3], 0 offset:548
	buffer_store_dword v4, off, s[0:3], 0 offset:552
	buffer_store_dword v5, off, s[0:3], 0 offset:556
	ds_read2_b64 v[0:3], v16 offset0:70 offset1:71
	s_waitcnt lgkmcnt(0)
	v_mul_f64 v[10:11], v[2:3], v[4:5]
	v_fma_f64 v[10:11], v[0:1], v[30:31], -v[10:11]
	v_mul_f64 v[0:1], v[0:1], v[4:5]
	v_fma_f64 v[0:1], v[2:3], v[30:31], v[0:1]
	s_waitcnt vmcnt(14)
	v_add_f64 v[2:3], v[12:13], -v[10:11]
	s_waitcnt vmcnt(12)
	v_add_f64 v[0:1], v[20:21], -v[0:1]
	buffer_store_dword v2, off, s[0:3], 0 offset:560
	buffer_store_dword v3, off, s[0:3], 0 offset:564
	buffer_store_dword v0, off, s[0:3], 0 offset:568
	buffer_store_dword v1, off, s[0:3], 0 offset:572
	ds_read2_b64 v[0:3], v16 offset0:72 offset1:73
	s_waitcnt lgkmcnt(0)
	v_mul_f64 v[10:11], v[2:3], v[4:5]
	v_fma_f64 v[10:11], v[0:1], v[30:31], -v[10:11]
	v_mul_f64 v[0:1], v[0:1], v[4:5]
	v_fma_f64 v[0:1], v[2:3], v[30:31], v[0:1]
	s_waitcnt vmcnt(14)
	v_add_f64 v[2:3], v[22:23], -v[10:11]
	s_waitcnt vmcnt(12)
	v_add_f64 v[0:1], v[24:25], -v[0:1]
	;; [unrolled: 14-line block ×3, first 2 shown]
	buffer_store_dword v3, off, s[0:3], 0 offset:596
	buffer_store_dword v2, off, s[0:3], 0 offset:592
	buffer_store_dword v0, off, s[0:3], 0 offset:600
	buffer_store_dword v1, off, s[0:3], 0 offset:604
	ds_read2_b64 v[0:3], v16 offset0:76 offset1:77
	s_waitcnt lgkmcnt(0)
	v_mul_f64 v[10:11], v[2:3], v[4:5]
	v_fma_f64 v[10:11], v[0:1], v[30:31], -v[10:11]
	v_mul_f64 v[0:1], v[0:1], v[4:5]
	v_fma_f64 v[0:1], v[2:3], v[30:31], v[0:1]
	buffer_load_dword v2, off, s[0:3], 0 offset:608
	buffer_load_dword v3, off, s[0:3], 0 offset:612
	buffer_load_dword v12, off, s[0:3], 0 offset:616
	buffer_load_dword v13, off, s[0:3], 0 offset:620
	s_waitcnt vmcnt(2)
	v_add_f64 v[2:3], v[2:3], -v[10:11]
	s_waitcnt vmcnt(0)
	v_add_f64 v[0:1], v[12:13], -v[0:1]
	buffer_store_dword v3, off, s[0:3], 0 offset:612
	buffer_store_dword v2, off, s[0:3], 0 offset:608
	buffer_store_dword v1, off, s[0:3], 0 offset:620
	buffer_store_dword v0, off, s[0:3], 0 offset:616
	ds_read2_b64 v[0:3], v16 offset0:78 offset1:79
	s_waitcnt lgkmcnt(0)
	v_mul_f64 v[10:11], v[2:3], v[4:5]
	v_fma_f64 v[10:11], v[0:1], v[30:31], -v[10:11]
	v_mul_f64 v[0:1], v[0:1], v[4:5]
	v_fma_f64 v[0:1], v[2:3], v[30:31], v[0:1]
	buffer_load_dword v2, off, s[0:3], 0 offset:624
	buffer_load_dword v3, off, s[0:3], 0 offset:628
	buffer_load_dword v12, off, s[0:3], 0 offset:632
	buffer_load_dword v13, off, s[0:3], 0 offset:636
	s_waitcnt vmcnt(2)
	v_add_f64 v[2:3], v[2:3], -v[10:11]
	s_waitcnt vmcnt(0)
	v_add_f64 v[0:1], v[12:13], -v[0:1]
	;; [unrolled: 18-line block ×3, first 2 shown]
	buffer_store_dword v3, off, s[0:3], 0 offset:644
	buffer_store_dword v2, off, s[0:3], 0 offset:640
	;; [unrolled: 1-line block ×4, first 2 shown]
	ds_read2_b64 v[2:5], v16 offset0:82 offset1:83
	buffer_load_dword v0, off, s[0:3], 0 offset:544
	buffer_load_dword v1, off, s[0:3], 0 offset:548
	;; [unrolled: 1-line block ×4, first 2 shown]
	s_waitcnt vmcnt(0) lgkmcnt(0)
	v_mul_f64 v[12:13], v[4:5], v[10:11]
	v_fma_f64 v[12:13], v[2:3], v[0:1], -v[12:13]
	v_mul_f64 v[2:3], v[2:3], v[10:11]
	v_fma_f64 v[2:3], v[4:5], v[0:1], v[2:3]
	buffer_load_dword v5, off, s[0:3], 0 offset:660
	buffer_load_dword v4, off, s[0:3], 0 offset:656
	s_waitcnt vmcnt(0)
	v_add_f64 v[4:5], v[4:5], -v[12:13]
	buffer_load_dword v13, off, s[0:3], 0 offset:668
	buffer_load_dword v12, off, s[0:3], 0 offset:664
	s_waitcnt vmcnt(0)
	v_add_f64 v[2:3], v[12:13], -v[2:3]
	buffer_store_dword v5, off, s[0:3], 0 offset:660
	buffer_store_dword v4, off, s[0:3], 0 offset:656
	buffer_store_dword v3, off, s[0:3], 0 offset:668
	buffer_store_dword v2, off, s[0:3], 0 offset:664
	ds_read2_b64 v[2:5], v16 offset0:84 offset1:85
	s_waitcnt lgkmcnt(0)
	v_mul_f64 v[12:13], v[4:5], v[10:11]
	v_fma_f64 v[12:13], v[2:3], v[0:1], -v[12:13]
	v_mul_f64 v[2:3], v[2:3], v[10:11]
	v_fma_f64 v[2:3], v[4:5], v[0:1], v[2:3]
	buffer_load_dword v4, off, s[0:3], 0 offset:672
	buffer_load_dword v5, off, s[0:3], 0 offset:676
	buffer_load_dword v20, off, s[0:3], 0 offset:680
	buffer_load_dword v21, off, s[0:3], 0 offset:684
	s_waitcnt vmcnt(2)
	v_add_f64 v[4:5], v[4:5], -v[12:13]
	s_waitcnt vmcnt(0)
	v_add_f64 v[2:3], v[20:21], -v[2:3]
	buffer_store_dword v5, off, s[0:3], 0 offset:676
	buffer_store_dword v4, off, s[0:3], 0 offset:672
	buffer_store_dword v3, off, s[0:3], 0 offset:684
	buffer_store_dword v2, off, s[0:3], 0 offset:680
	ds_read2_b64 v[2:5], v16 offset0:86 offset1:87
	s_waitcnt lgkmcnt(0)
	v_mul_f64 v[12:13], v[4:5], v[10:11]
	v_fma_f64 v[12:13], v[2:3], v[0:1], -v[12:13]
	v_mul_f64 v[2:3], v[2:3], v[10:11]
	v_fma_f64 v[2:3], v[4:5], v[0:1], v[2:3]
	buffer_load_dword v4, off, s[0:3], 0 offset:688
	buffer_load_dword v5, off, s[0:3], 0 offset:692
	buffer_load_dword v20, off, s[0:3], 0 offset:696
	buffer_load_dword v21, off, s[0:3], 0 offset:700
	s_waitcnt vmcnt(2)
	v_add_f64 v[4:5], v[4:5], -v[12:13]
	;; [unrolled: 18-line block ×5, first 2 shown]
	s_waitcnt vmcnt(0)
	v_add_f64 v[0:1], v[4:5], -v[0:1]
	buffer_store_dword v3, off, s[0:3], 0 offset:740
	buffer_store_dword v2, off, s[0:3], 0 offset:736
	;; [unrolled: 1-line block ×4, first 2 shown]
	ds_read2_b64 v[0:3], v16 offset0:94 offset1:95
	buffer_load_dword v4, off, s[0:3], 0 offset:544
	buffer_load_dword v5, off, s[0:3], 0 offset:548
	;; [unrolled: 1-line block ×4, first 2 shown]
	s_waitcnt vmcnt(0) lgkmcnt(0)
	v_mul_f64 v[12:13], v[2:3], v[10:11]
	v_fma_f64 v[12:13], v[0:1], v[4:5], -v[12:13]
	v_mul_f64 v[0:1], v[0:1], v[10:11]
	v_fma_f64 v[0:1], v[2:3], v[4:5], v[0:1]
	buffer_load_dword v3, off, s[0:3], 0 offset:756
	buffer_load_dword v2, off, s[0:3], 0 offset:752
	s_waitcnt vmcnt(0)
	v_add_f64 v[2:3], v[2:3], -v[12:13]
	buffer_load_dword v13, off, s[0:3], 0 offset:764
	buffer_load_dword v12, off, s[0:3], 0 offset:760
	s_waitcnt vmcnt(0)
	v_add_f64 v[0:1], v[12:13], -v[0:1]
	buffer_store_dword v3, off, s[0:3], 0 offset:756
	buffer_store_dword v2, off, s[0:3], 0 offset:752
	buffer_store_dword v1, off, s[0:3], 0 offset:764
	buffer_store_dword v0, off, s[0:3], 0 offset:760
	ds_read2_b64 v[0:3], v16 offset0:96 offset1:97
	s_waitcnt lgkmcnt(0)
	v_mul_f64 v[12:13], v[2:3], v[10:11]
	v_fma_f64 v[12:13], v[0:1], v[4:5], -v[12:13]
	v_mul_f64 v[0:1], v[0:1], v[10:11]
	v_fma_f64 v[0:1], v[2:3], v[4:5], v[0:1]
	buffer_load_dword v2, off, s[0:3], 0 offset:768
	buffer_load_dword v3, off, s[0:3], 0 offset:772
	buffer_load_dword v20, off, s[0:3], 0 offset:776
	buffer_load_dword v21, off, s[0:3], 0 offset:780
	s_waitcnt vmcnt(2)
	v_add_f64 v[2:3], v[2:3], -v[12:13]
	s_waitcnt vmcnt(0)
	v_add_f64 v[0:1], v[20:21], -v[0:1]
	buffer_store_dword v3, off, s[0:3], 0 offset:772
	buffer_store_dword v2, off, s[0:3], 0 offset:768
	buffer_store_dword v1, off, s[0:3], 0 offset:780
	buffer_store_dword v0, off, s[0:3], 0 offset:776
	ds_read2_b64 v[0:3], v16 offset0:98 offset1:99
	s_waitcnt lgkmcnt(0)
	v_mul_f64 v[12:13], v[2:3], v[10:11]
	v_fma_f64 v[12:13], v[0:1], v[4:5], -v[12:13]
	v_mul_f64 v[0:1], v[0:1], v[10:11]
	v_fma_f64 v[0:1], v[2:3], v[4:5], v[0:1]
	buffer_load_dword v2, off, s[0:3], 0 offset:784
	buffer_load_dword v3, off, s[0:3], 0 offset:788
	buffer_load_dword v20, off, s[0:3], 0 offset:792
	buffer_load_dword v21, off, s[0:3], 0 offset:796
	s_waitcnt vmcnt(2)
	v_add_f64 v[2:3], v[2:3], -v[12:13]
	;; [unrolled: 18-line block ×5, first 2 shown]
	s_waitcnt vmcnt(0)
	v_add_f64 v[0:1], v[4:5], -v[0:1]
	buffer_store_dword v3, off, s[0:3], 0 offset:836
	buffer_store_dword v2, off, s[0:3], 0 offset:832
	buffer_store_dword v1, off, s[0:3], 0 offset:844
	buffer_store_dword v0, off, s[0:3], 0 offset:840
	ds_read2_b64 v[0:3], v16 offset0:106 offset1:107
	buffer_load_dword v4, off, s[0:3], 0 offset:544
	buffer_load_dword v5, off, s[0:3], 0 offset:548
	buffer_load_dword v10, off, s[0:3], 0 offset:552
	buffer_load_dword v11, off, s[0:3], 0 offset:556
	s_waitcnt vmcnt(0) lgkmcnt(0)
	v_mul_f64 v[12:13], v[2:3], v[10:11]
	v_fma_f64 v[12:13], v[0:1], v[4:5], -v[12:13]
	v_mul_f64 v[0:1], v[0:1], v[10:11]
	v_fma_f64 v[0:1], v[2:3], v[4:5], v[0:1]
	buffer_load_dword v3, off, s[0:3], 0 offset:852
	buffer_load_dword v2, off, s[0:3], 0 offset:848
	s_waitcnt vmcnt(0)
	v_add_f64 v[2:3], v[2:3], -v[12:13]
	buffer_load_dword v13, off, s[0:3], 0 offset:860
	buffer_load_dword v12, off, s[0:3], 0 offset:856
	s_waitcnt vmcnt(0)
	v_add_f64 v[0:1], v[12:13], -v[0:1]
	buffer_store_dword v3, off, s[0:3], 0 offset:852
	buffer_store_dword v2, off, s[0:3], 0 offset:848
	buffer_store_dword v1, off, s[0:3], 0 offset:860
	buffer_store_dword v0, off, s[0:3], 0 offset:856
	ds_read2_b64 v[0:3], v16 offset0:108 offset1:109
	s_waitcnt lgkmcnt(0)
	v_mul_f64 v[12:13], v[2:3], v[10:11]
	v_fma_f64 v[12:13], v[0:1], v[4:5], -v[12:13]
	v_mul_f64 v[0:1], v[0:1], v[10:11]
	v_fma_f64 v[0:1], v[2:3], v[4:5], v[0:1]
	buffer_load_dword v2, off, s[0:3], 0 offset:864
	buffer_load_dword v3, off, s[0:3], 0 offset:868
	buffer_load_dword v20, off, s[0:3], 0 offset:872
	buffer_load_dword v21, off, s[0:3], 0 offset:876
	s_waitcnt vmcnt(2)
	v_add_f64 v[2:3], v[2:3], -v[12:13]
	s_waitcnt vmcnt(0)
	v_add_f64 v[0:1], v[20:21], -v[0:1]
	buffer_store_dword v3, off, s[0:3], 0 offset:868
	buffer_store_dword v2, off, s[0:3], 0 offset:864
	buffer_store_dword v1, off, s[0:3], 0 offset:876
	buffer_store_dword v0, off, s[0:3], 0 offset:872
	ds_read2_b64 v[0:3], v16 offset0:110 offset1:111
	s_waitcnt lgkmcnt(0)
	v_mul_f64 v[12:13], v[2:3], v[10:11]
	v_fma_f64 v[12:13], v[0:1], v[4:5], -v[12:13]
	v_mul_f64 v[0:1], v[0:1], v[10:11]
	v_fma_f64 v[0:1], v[2:3], v[4:5], v[0:1]
	buffer_load_dword v2, off, s[0:3], 0 offset:880
	buffer_load_dword v3, off, s[0:3], 0 offset:884
	buffer_load_dword v20, off, s[0:3], 0 offset:888
	buffer_load_dword v21, off, s[0:3], 0 offset:892
	s_waitcnt vmcnt(2)
	v_add_f64 v[2:3], v[2:3], -v[12:13]
	;; [unrolled: 18-line block ×5, first 2 shown]
	s_waitcnt vmcnt(0)
	v_add_f64 v[0:1], v[4:5], -v[0:1]
	buffer_store_dword v3, off, s[0:3], 0 offset:932
	buffer_store_dword v2, off, s[0:3], 0 offset:928
	buffer_store_dword v1, off, s[0:3], 0 offset:940
	buffer_store_dword v0, off, s[0:3], 0 offset:936
	ds_read2_b64 v[0:3], v16 offset0:118 offset1:119
	buffer_load_dword v4, off, s[0:3], 0 offset:544
	buffer_load_dword v5, off, s[0:3], 0 offset:548
	buffer_load_dword v10, off, s[0:3], 0 offset:552
	buffer_load_dword v11, off, s[0:3], 0 offset:556
	s_waitcnt vmcnt(0) lgkmcnt(0)
	v_mul_f64 v[12:13], v[2:3], v[10:11]
	v_fma_f64 v[12:13], v[0:1], v[4:5], -v[12:13]
	v_mul_f64 v[0:1], v[0:1], v[10:11]
	v_fma_f64 v[0:1], v[2:3], v[4:5], v[0:1]
	buffer_load_dword v3, off, s[0:3], 0 offset:948
	buffer_load_dword v2, off, s[0:3], 0 offset:944
	s_waitcnt vmcnt(0)
	v_add_f64 v[2:3], v[2:3], -v[12:13]
	buffer_load_dword v13, off, s[0:3], 0 offset:956
	buffer_load_dword v12, off, s[0:3], 0 offset:952
	s_waitcnt vmcnt(0)
	v_add_f64 v[0:1], v[12:13], -v[0:1]
	buffer_store_dword v3, off, s[0:3], 0 offset:948
	buffer_store_dword v2, off, s[0:3], 0 offset:944
	buffer_store_dword v1, off, s[0:3], 0 offset:956
	buffer_store_dword v0, off, s[0:3], 0 offset:952
	ds_read2_b64 v[0:3], v16 offset0:120 offset1:121
	s_waitcnt lgkmcnt(0)
	v_mul_f64 v[12:13], v[2:3], v[10:11]
	v_fma_f64 v[12:13], v[0:1], v[4:5], -v[12:13]
	v_mul_f64 v[0:1], v[0:1], v[10:11]
	v_fma_f64 v[0:1], v[2:3], v[4:5], v[0:1]
	buffer_load_dword v2, off, s[0:3], 0 offset:960
	buffer_load_dword v3, off, s[0:3], 0 offset:964
	buffer_load_dword v20, off, s[0:3], 0 offset:968
	buffer_load_dword v21, off, s[0:3], 0 offset:972
	s_waitcnt vmcnt(2)
	v_add_f64 v[2:3], v[2:3], -v[12:13]
	s_waitcnt vmcnt(0)
	v_add_f64 v[0:1], v[20:21], -v[0:1]
	buffer_store_dword v3, off, s[0:3], 0 offset:964
	buffer_store_dword v2, off, s[0:3], 0 offset:960
	buffer_store_dword v1, off, s[0:3], 0 offset:972
	buffer_store_dword v0, off, s[0:3], 0 offset:968
	ds_read2_b64 v[0:3], v16 offset0:122 offset1:123
	s_waitcnt lgkmcnt(0)
	v_mul_f64 v[12:13], v[2:3], v[10:11]
	v_fma_f64 v[12:13], v[0:1], v[4:5], -v[12:13]
	v_mul_f64 v[0:1], v[0:1], v[10:11]
	v_fma_f64 v[0:1], v[2:3], v[4:5], v[0:1]
	buffer_load_dword v2, off, s[0:3], 0 offset:976
	buffer_load_dword v3, off, s[0:3], 0 offset:980
	buffer_load_dword v20, off, s[0:3], 0 offset:984
	buffer_load_dword v21, off, s[0:3], 0 offset:988
	s_waitcnt vmcnt(2)
	v_add_f64 v[2:3], v[2:3], -v[12:13]
	;; [unrolled: 18-line block ×3, first 2 shown]
	s_waitcnt vmcnt(0)
	v_add_f64 v[0:1], v[4:5], -v[0:1]
	buffer_store_dword v3, off, s[0:3], 0 offset:996
	buffer_store_dword v2, off, s[0:3], 0 offset:992
	buffer_store_dword v1, off, s[0:3], 0 offset:1004
	buffer_store_dword v0, off, s[0:3], 0 offset:1000
.LBB124_849:
	s_or_b64 exec, exec, s[4:5]
	v_mov_b32_e32 v3, s53
	s_waitcnt vmcnt(0)
	s_barrier
	buffer_load_dword v0, v3, s[0:3], 0 offen
	buffer_load_dword v1, v3, s[0:3], 0 offen offset:4
	buffer_load_dword v2, v3, s[0:3], 0 offen offset:8
	s_nop 0
	buffer_load_dword v3, v3, s[0:3], 0 offen offset:12
	v_lshl_add_u32 v4, v19, 4, v16
	s_cmp_lt_i32 s65, 37
	s_waitcnt vmcnt(0)
	ds_write2_b64 v4, v[0:1], v[2:3] offset1:1
	s_waitcnt lgkmcnt(0)
	s_barrier
	ds_read2_b64 v[0:3], v16 offset0:70 offset1:71
	v_mov_b32_e32 v4, 35
	s_cbranch_scc1 .LBB124_852
; %bb.850:
	v_add_u32_e32 v5, 0x240, v16
	s_mov_b32 s16, 36
	v_mov_b32_e32 v4, 35
.LBB124_851:                            ; =>This Inner Loop Header: Depth=1
	s_waitcnt lgkmcnt(0)
	v_cmp_gt_f64_e32 vcc, 0, v[2:3]
	v_cmp_gt_f64_e64 s[4:5], 0, v[0:1]
	ds_read2_b64 v[10:13], v5 offset1:1
	v_xor_b32_e32 v21, 0x80000000, v1
	v_xor_b32_e32 v23, 0x80000000, v3
	v_mov_b32_e32 v20, v0
	v_mov_b32_e32 v22, v2
	s_waitcnt lgkmcnt(0)
	v_xor_b32_e32 v25, 0x80000000, v13
	v_cndmask_b32_e32 v23, v3, v23, vcc
	v_cndmask_b32_e64 v21, v1, v21, s[4:5]
	v_cmp_gt_f64_e32 vcc, 0, v[12:13]
	v_cmp_gt_f64_e64 s[4:5], 0, v[10:11]
	v_add_f64 v[20:21], v[20:21], v[22:23]
	v_xor_b32_e32 v23, 0x80000000, v11
	v_mov_b32_e32 v22, v10
	v_mov_b32_e32 v24, v12
	v_add_u32_e32 v5, 16, v5
	v_cndmask_b32_e32 v25, v13, v25, vcc
	v_cndmask_b32_e64 v23, v11, v23, s[4:5]
	v_add_f64 v[22:23], v[22:23], v[24:25]
	v_mov_b32_e32 v24, s16
	s_add_i32 s16, s16, 1
	s_cmp_lg_u32 s65, s16
	v_cmp_lt_f64_e32 vcc, v[20:21], v[22:23]
	v_cndmask_b32_e32 v1, v1, v11, vcc
	v_cndmask_b32_e32 v0, v0, v10, vcc
	;; [unrolled: 1-line block ×5, first 2 shown]
	s_cbranch_scc1 .LBB124_851
.LBB124_852:
	s_waitcnt lgkmcnt(0)
	v_cmp_eq_f64_e32 vcc, 0, v[0:1]
	v_cmp_eq_f64_e64 s[4:5], 0, v[2:3]
	s_and_b64 s[4:5], vcc, s[4:5]
	s_and_saveexec_b64 s[16:17], s[4:5]
	s_xor_b64 s[4:5], exec, s[16:17]
; %bb.853:
	v_cmp_ne_u32_e32 vcc, 0, v17
	v_cndmask_b32_e32 v17, 36, v17, vcc
; %bb.854:
	s_andn2_saveexec_b64 s[4:5], s[4:5]
	s_cbranch_execz .LBB124_860
; %bb.855:
	v_cmp_ngt_f64_e64 s[16:17], |v[0:1]|, |v[2:3]|
	s_and_saveexec_b64 s[18:19], s[16:17]
	s_xor_b64 s[18:19], exec, s[18:19]
	s_cbranch_execz .LBB124_857
; %bb.856:
	v_div_scale_f64 v[10:11], s[16:17], v[2:3], v[2:3], v[0:1]
	v_rcp_f64_e32 v[12:13], v[10:11]
	v_fma_f64 v[20:21], -v[10:11], v[12:13], 1.0
	v_fma_f64 v[12:13], v[12:13], v[20:21], v[12:13]
	v_div_scale_f64 v[20:21], vcc, v[0:1], v[2:3], v[0:1]
	v_fma_f64 v[22:23], -v[10:11], v[12:13], 1.0
	v_fma_f64 v[12:13], v[12:13], v[22:23], v[12:13]
	v_mul_f64 v[22:23], v[20:21], v[12:13]
	v_fma_f64 v[10:11], -v[10:11], v[22:23], v[20:21]
	v_div_fmas_f64 v[10:11], v[10:11], v[12:13], v[22:23]
	v_div_fixup_f64 v[10:11], v[10:11], v[2:3], v[0:1]
	v_fma_f64 v[0:1], v[0:1], v[10:11], v[2:3]
	v_div_scale_f64 v[2:3], s[16:17], v[0:1], v[0:1], 1.0
	v_div_scale_f64 v[22:23], vcc, 1.0, v[0:1], 1.0
	v_rcp_f64_e32 v[12:13], v[2:3]
	v_fma_f64 v[20:21], -v[2:3], v[12:13], 1.0
	v_fma_f64 v[12:13], v[12:13], v[20:21], v[12:13]
	v_fma_f64 v[20:21], -v[2:3], v[12:13], 1.0
	v_fma_f64 v[12:13], v[12:13], v[20:21], v[12:13]
	v_mul_f64 v[20:21], v[22:23], v[12:13]
	v_fma_f64 v[2:3], -v[2:3], v[20:21], v[22:23]
	v_div_fmas_f64 v[2:3], v[2:3], v[12:13], v[20:21]
	v_div_fixup_f64 v[2:3], v[2:3], v[0:1], 1.0
	v_mul_f64 v[0:1], v[10:11], v[2:3]
	v_xor_b32_e32 v3, 0x80000000, v3
.LBB124_857:
	s_andn2_saveexec_b64 s[18:19], s[18:19]
	s_cbranch_execz .LBB124_859
; %bb.858:
	v_div_scale_f64 v[10:11], s[16:17], v[0:1], v[0:1], v[2:3]
	v_rcp_f64_e32 v[12:13], v[10:11]
	v_fma_f64 v[20:21], -v[10:11], v[12:13], 1.0
	v_fma_f64 v[12:13], v[12:13], v[20:21], v[12:13]
	v_div_scale_f64 v[20:21], vcc, v[2:3], v[0:1], v[2:3]
	v_fma_f64 v[22:23], -v[10:11], v[12:13], 1.0
	v_fma_f64 v[12:13], v[12:13], v[22:23], v[12:13]
	v_mul_f64 v[22:23], v[20:21], v[12:13]
	v_fma_f64 v[10:11], -v[10:11], v[22:23], v[20:21]
	v_div_fmas_f64 v[10:11], v[10:11], v[12:13], v[22:23]
	v_div_fixup_f64 v[10:11], v[10:11], v[0:1], v[2:3]
	v_fma_f64 v[0:1], v[2:3], v[10:11], v[0:1]
	v_div_scale_f64 v[2:3], s[16:17], v[0:1], v[0:1], 1.0
	v_div_scale_f64 v[22:23], vcc, 1.0, v[0:1], 1.0
	v_rcp_f64_e32 v[12:13], v[2:3]
	v_fma_f64 v[20:21], -v[2:3], v[12:13], 1.0
	v_fma_f64 v[12:13], v[12:13], v[20:21], v[12:13]
	v_fma_f64 v[20:21], -v[2:3], v[12:13], 1.0
	v_fma_f64 v[12:13], v[12:13], v[20:21], v[12:13]
	v_mul_f64 v[20:21], v[22:23], v[12:13]
	v_fma_f64 v[2:3], -v[2:3], v[20:21], v[22:23]
	v_div_fmas_f64 v[2:3], v[2:3], v[12:13], v[20:21]
	v_div_fixup_f64 v[0:1], v[2:3], v[0:1], 1.0
	v_mul_f64 v[2:3], v[10:11], -v[0:1]
.LBB124_859:
	s_or_b64 exec, exec, s[18:19]
.LBB124_860:
	s_or_b64 exec, exec, s[4:5]
	v_cmp_ne_u32_e32 vcc, v19, v4
	s_and_saveexec_b64 s[4:5], vcc
	s_xor_b64 s[4:5], exec, s[4:5]
	s_cbranch_execz .LBB124_866
; %bb.861:
	v_cmp_eq_u32_e32 vcc, 35, v19
	s_and_saveexec_b64 s[18:19], vcc
	s_cbranch_execz .LBB124_865
; %bb.862:
	v_cmp_ne_u32_e32 vcc, 35, v4
	s_xor_b64 s[16:17], s[10:11], -1
	s_and_b64 s[16:17], s[16:17], vcc
	s_and_saveexec_b64 s[24:25], s[16:17]
	s_cbranch_execz .LBB124_864
; %bb.863:
	v_ashrrev_i32_e32 v5, 31, v4
	v_lshlrev_b64 v[10:11], 2, v[4:5]
	v_add_co_u32_e32 v10, vcc, v8, v10
	v_addc_co_u32_e32 v11, vcc, v9, v11, vcc
	global_load_dword v5, v[10:11], off
	global_load_dword v12, v[8:9], off offset:140
	s_waitcnt vmcnt(1)
	global_store_dword v[8:9], v5, off offset:140
	s_waitcnt vmcnt(1)
	global_store_dword v[10:11], v12, off
.LBB124_864:
	s_or_b64 exec, exec, s[24:25]
	v_mov_b32_e32 v19, v4
	v_mov_b32_e32 v18, v4
.LBB124_865:
	s_or_b64 exec, exec, s[18:19]
.LBB124_866:
	s_andn2_saveexec_b64 s[4:5], s[4:5]
	s_cbranch_execz .LBB124_868
; %bb.867:
	v_mov_b32_e32 v11, s52
	buffer_load_dword v4, v11, s[0:3], 0 offen
	buffer_load_dword v5, v11, s[0:3], 0 offen offset:4
	buffer_load_dword v10, v11, s[0:3], 0 offen offset:8
	s_nop 0
	buffer_load_dword v11, v11, s[0:3], 0 offen offset:12
	v_mov_b32_e32 v19, 35
	s_waitcnt vmcnt(0)
	ds_write2_b64 v16, v[4:5], v[10:11] offset0:72 offset1:73
	v_mov_b32_e32 v11, s51
	buffer_load_dword v4, v11, s[0:3], 0 offen
	buffer_load_dword v5, v11, s[0:3], 0 offen offset:4
	buffer_load_dword v10, v11, s[0:3], 0 offen offset:8
	s_nop 0
	buffer_load_dword v11, v11, s[0:3], 0 offen offset:12
	s_waitcnt vmcnt(0)
	ds_write2_b64 v16, v[4:5], v[10:11] offset0:74 offset1:75
	v_mov_b32_e32 v11, s50
	buffer_load_dword v4, v11, s[0:3], 0 offen
	buffer_load_dword v5, v11, s[0:3], 0 offen offset:4
	buffer_load_dword v10, v11, s[0:3], 0 offen offset:8
	s_nop 0
	buffer_load_dword v11, v11, s[0:3], 0 offen offset:12
	;; [unrolled: 8-line block ×26, first 2 shown]
	s_waitcnt vmcnt(0)
	ds_write2_b64 v16, v[4:5], v[10:11] offset0:124 offset1:125
.LBB124_868:
	s_or_b64 exec, exec, s[4:5]
	v_cmp_lt_i32_e32 vcc, 35, v19
	s_waitcnt vmcnt(0) lgkmcnt(0)
	s_barrier
	s_and_saveexec_b64 s[4:5], vcc
	s_cbranch_execz .LBB124_870
; %bb.869:
	buffer_load_dword v4, off, s[0:3], 0 offset:560
	buffer_load_dword v5, off, s[0:3], 0 offset:564
	;; [unrolled: 1-line block ×16, first 2 shown]
	s_waitcnt vmcnt(12)
	v_mul_f64 v[30:31], v[2:3], v[10:11]
	v_fma_f64 v[30:31], v[0:1], v[4:5], -v[30:31]
	v_mul_f64 v[0:1], v[0:1], v[10:11]
	v_fma_f64 v[4:5], v[2:3], v[4:5], v[0:1]
	buffer_store_dword v30, off, s[0:3], 0 offset:560
	buffer_store_dword v31, off, s[0:3], 0 offset:564
	buffer_store_dword v4, off, s[0:3], 0 offset:568
	buffer_store_dword v5, off, s[0:3], 0 offset:572
	ds_read2_b64 v[0:3], v16 offset0:72 offset1:73
	s_waitcnt lgkmcnt(0)
	v_mul_f64 v[10:11], v[2:3], v[4:5]
	v_fma_f64 v[10:11], v[0:1], v[30:31], -v[10:11]
	v_mul_f64 v[0:1], v[0:1], v[4:5]
	v_fma_f64 v[0:1], v[2:3], v[30:31], v[0:1]
	s_waitcnt vmcnt(14)
	v_add_f64 v[2:3], v[12:13], -v[10:11]
	s_waitcnt vmcnt(12)
	v_add_f64 v[0:1], v[20:21], -v[0:1]
	buffer_store_dword v2, off, s[0:3], 0 offset:576
	buffer_store_dword v3, off, s[0:3], 0 offset:580
	buffer_store_dword v0, off, s[0:3], 0 offset:584
	buffer_store_dword v1, off, s[0:3], 0 offset:588
	ds_read2_b64 v[0:3], v16 offset0:74 offset1:75
	s_waitcnt lgkmcnt(0)
	v_mul_f64 v[10:11], v[2:3], v[4:5]
	v_fma_f64 v[10:11], v[0:1], v[30:31], -v[10:11]
	v_mul_f64 v[0:1], v[0:1], v[4:5]
	v_fma_f64 v[0:1], v[2:3], v[30:31], v[0:1]
	s_waitcnt vmcnt(14)
	v_add_f64 v[2:3], v[22:23], -v[10:11]
	s_waitcnt vmcnt(12)
	v_add_f64 v[0:1], v[24:25], -v[0:1]
	buffer_store_dword v2, off, s[0:3], 0 offset:592
	buffer_store_dword v3, off, s[0:3], 0 offset:596
	buffer_store_dword v0, off, s[0:3], 0 offset:600
	buffer_store_dword v1, off, s[0:3], 0 offset:604
	ds_read2_b64 v[0:3], v16 offset0:76 offset1:77
	s_waitcnt lgkmcnt(0)
	v_mul_f64 v[10:11], v[2:3], v[4:5]
	v_fma_f64 v[10:11], v[0:1], v[30:31], -v[10:11]
	v_mul_f64 v[0:1], v[0:1], v[4:5]
	v_fma_f64 v[0:1], v[2:3], v[30:31], v[0:1]
	s_waitcnt vmcnt(14)
	v_add_f64 v[2:3], v[26:27], -v[10:11]
	s_waitcnt vmcnt(12)
	v_add_f64 v[0:1], v[28:29], -v[0:1]
	buffer_store_dword v3, off, s[0:3], 0 offset:612
	buffer_store_dword v2, off, s[0:3], 0 offset:608
	buffer_store_dword v0, off, s[0:3], 0 offset:616
	buffer_store_dword v1, off, s[0:3], 0 offset:620
	ds_read2_b64 v[0:3], v16 offset0:78 offset1:79
	s_waitcnt lgkmcnt(0)
	v_mul_f64 v[10:11], v[2:3], v[4:5]
	v_fma_f64 v[10:11], v[0:1], v[30:31], -v[10:11]
	v_mul_f64 v[0:1], v[0:1], v[4:5]
	v_fma_f64 v[0:1], v[2:3], v[30:31], v[0:1]
	buffer_load_dword v2, off, s[0:3], 0 offset:624
	buffer_load_dword v3, off, s[0:3], 0 offset:628
	buffer_load_dword v12, off, s[0:3], 0 offset:632
	buffer_load_dword v13, off, s[0:3], 0 offset:636
	s_waitcnt vmcnt(2)
	v_add_f64 v[2:3], v[2:3], -v[10:11]
	s_waitcnt vmcnt(0)
	v_add_f64 v[0:1], v[12:13], -v[0:1]
	buffer_store_dword v3, off, s[0:3], 0 offset:628
	buffer_store_dword v2, off, s[0:3], 0 offset:624
	buffer_store_dword v1, off, s[0:3], 0 offset:636
	buffer_store_dword v0, off, s[0:3], 0 offset:632
	ds_read2_b64 v[0:3], v16 offset0:80 offset1:81
	s_waitcnt lgkmcnt(0)
	v_mul_f64 v[10:11], v[2:3], v[4:5]
	v_fma_f64 v[10:11], v[0:1], v[30:31], -v[10:11]
	v_mul_f64 v[0:1], v[0:1], v[4:5]
	v_fma_f64 v[0:1], v[2:3], v[30:31], v[0:1]
	buffer_load_dword v2, off, s[0:3], 0 offset:640
	buffer_load_dword v3, off, s[0:3], 0 offset:644
	buffer_load_dword v12, off, s[0:3], 0 offset:648
	buffer_load_dword v13, off, s[0:3], 0 offset:652
	s_waitcnt vmcnt(2)
	v_add_f64 v[2:3], v[2:3], -v[10:11]
	s_waitcnt vmcnt(0)
	v_add_f64 v[0:1], v[12:13], -v[0:1]
	;; [unrolled: 18-line block ×3, first 2 shown]
	buffer_store_dword v3, off, s[0:3], 0 offset:660
	buffer_store_dword v2, off, s[0:3], 0 offset:656
	;; [unrolled: 1-line block ×4, first 2 shown]
	ds_read2_b64 v[2:5], v16 offset0:84 offset1:85
	buffer_load_dword v0, off, s[0:3], 0 offset:560
	buffer_load_dword v1, off, s[0:3], 0 offset:564
	;; [unrolled: 1-line block ×4, first 2 shown]
	s_waitcnt vmcnt(0) lgkmcnt(0)
	v_mul_f64 v[12:13], v[4:5], v[10:11]
	v_fma_f64 v[12:13], v[2:3], v[0:1], -v[12:13]
	v_mul_f64 v[2:3], v[2:3], v[10:11]
	v_fma_f64 v[2:3], v[4:5], v[0:1], v[2:3]
	buffer_load_dword v5, off, s[0:3], 0 offset:676
	buffer_load_dword v4, off, s[0:3], 0 offset:672
	s_waitcnt vmcnt(0)
	v_add_f64 v[4:5], v[4:5], -v[12:13]
	buffer_load_dword v13, off, s[0:3], 0 offset:684
	buffer_load_dword v12, off, s[0:3], 0 offset:680
	s_waitcnt vmcnt(0)
	v_add_f64 v[2:3], v[12:13], -v[2:3]
	buffer_store_dword v5, off, s[0:3], 0 offset:676
	buffer_store_dword v4, off, s[0:3], 0 offset:672
	buffer_store_dword v3, off, s[0:3], 0 offset:684
	buffer_store_dword v2, off, s[0:3], 0 offset:680
	ds_read2_b64 v[2:5], v16 offset0:86 offset1:87
	s_waitcnt lgkmcnt(0)
	v_mul_f64 v[12:13], v[4:5], v[10:11]
	v_fma_f64 v[12:13], v[2:3], v[0:1], -v[12:13]
	v_mul_f64 v[2:3], v[2:3], v[10:11]
	v_fma_f64 v[2:3], v[4:5], v[0:1], v[2:3]
	buffer_load_dword v4, off, s[0:3], 0 offset:688
	buffer_load_dword v5, off, s[0:3], 0 offset:692
	buffer_load_dword v20, off, s[0:3], 0 offset:696
	buffer_load_dword v21, off, s[0:3], 0 offset:700
	s_waitcnt vmcnt(2)
	v_add_f64 v[4:5], v[4:5], -v[12:13]
	s_waitcnt vmcnt(0)
	v_add_f64 v[2:3], v[20:21], -v[2:3]
	buffer_store_dword v5, off, s[0:3], 0 offset:692
	buffer_store_dword v4, off, s[0:3], 0 offset:688
	buffer_store_dword v3, off, s[0:3], 0 offset:700
	buffer_store_dword v2, off, s[0:3], 0 offset:696
	ds_read2_b64 v[2:5], v16 offset0:88 offset1:89
	s_waitcnt lgkmcnt(0)
	v_mul_f64 v[12:13], v[4:5], v[10:11]
	v_fma_f64 v[12:13], v[2:3], v[0:1], -v[12:13]
	v_mul_f64 v[2:3], v[2:3], v[10:11]
	v_fma_f64 v[2:3], v[4:5], v[0:1], v[2:3]
	buffer_load_dword v4, off, s[0:3], 0 offset:704
	buffer_load_dword v5, off, s[0:3], 0 offset:708
	buffer_load_dword v20, off, s[0:3], 0 offset:712
	buffer_load_dword v21, off, s[0:3], 0 offset:716
	s_waitcnt vmcnt(2)
	v_add_f64 v[4:5], v[4:5], -v[12:13]
	;; [unrolled: 18-line block ×5, first 2 shown]
	s_waitcnt vmcnt(0)
	v_add_f64 v[0:1], v[4:5], -v[0:1]
	buffer_store_dword v3, off, s[0:3], 0 offset:756
	buffer_store_dword v2, off, s[0:3], 0 offset:752
	;; [unrolled: 1-line block ×4, first 2 shown]
	ds_read2_b64 v[0:3], v16 offset0:96 offset1:97
	buffer_load_dword v4, off, s[0:3], 0 offset:560
	buffer_load_dword v5, off, s[0:3], 0 offset:564
	;; [unrolled: 1-line block ×4, first 2 shown]
	s_waitcnt vmcnt(0) lgkmcnt(0)
	v_mul_f64 v[12:13], v[2:3], v[10:11]
	v_fma_f64 v[12:13], v[0:1], v[4:5], -v[12:13]
	v_mul_f64 v[0:1], v[0:1], v[10:11]
	v_fma_f64 v[0:1], v[2:3], v[4:5], v[0:1]
	buffer_load_dword v3, off, s[0:3], 0 offset:772
	buffer_load_dword v2, off, s[0:3], 0 offset:768
	s_waitcnt vmcnt(0)
	v_add_f64 v[2:3], v[2:3], -v[12:13]
	buffer_load_dword v13, off, s[0:3], 0 offset:780
	buffer_load_dword v12, off, s[0:3], 0 offset:776
	s_waitcnt vmcnt(0)
	v_add_f64 v[0:1], v[12:13], -v[0:1]
	buffer_store_dword v3, off, s[0:3], 0 offset:772
	buffer_store_dword v2, off, s[0:3], 0 offset:768
	buffer_store_dword v1, off, s[0:3], 0 offset:780
	buffer_store_dword v0, off, s[0:3], 0 offset:776
	ds_read2_b64 v[0:3], v16 offset0:98 offset1:99
	s_waitcnt lgkmcnt(0)
	v_mul_f64 v[12:13], v[2:3], v[10:11]
	v_fma_f64 v[12:13], v[0:1], v[4:5], -v[12:13]
	v_mul_f64 v[0:1], v[0:1], v[10:11]
	v_fma_f64 v[0:1], v[2:3], v[4:5], v[0:1]
	buffer_load_dword v2, off, s[0:3], 0 offset:784
	buffer_load_dword v3, off, s[0:3], 0 offset:788
	buffer_load_dword v20, off, s[0:3], 0 offset:792
	buffer_load_dword v21, off, s[0:3], 0 offset:796
	s_waitcnt vmcnt(2)
	v_add_f64 v[2:3], v[2:3], -v[12:13]
	s_waitcnt vmcnt(0)
	v_add_f64 v[0:1], v[20:21], -v[0:1]
	buffer_store_dword v3, off, s[0:3], 0 offset:788
	buffer_store_dword v2, off, s[0:3], 0 offset:784
	buffer_store_dword v1, off, s[0:3], 0 offset:796
	buffer_store_dword v0, off, s[0:3], 0 offset:792
	ds_read2_b64 v[0:3], v16 offset0:100 offset1:101
	s_waitcnt lgkmcnt(0)
	v_mul_f64 v[12:13], v[2:3], v[10:11]
	v_fma_f64 v[12:13], v[0:1], v[4:5], -v[12:13]
	v_mul_f64 v[0:1], v[0:1], v[10:11]
	v_fma_f64 v[0:1], v[2:3], v[4:5], v[0:1]
	buffer_load_dword v2, off, s[0:3], 0 offset:800
	buffer_load_dword v3, off, s[0:3], 0 offset:804
	buffer_load_dword v20, off, s[0:3], 0 offset:808
	buffer_load_dword v21, off, s[0:3], 0 offset:812
	s_waitcnt vmcnt(2)
	v_add_f64 v[2:3], v[2:3], -v[12:13]
	;; [unrolled: 18-line block ×5, first 2 shown]
	s_waitcnt vmcnt(0)
	v_add_f64 v[0:1], v[4:5], -v[0:1]
	buffer_store_dword v3, off, s[0:3], 0 offset:852
	buffer_store_dword v2, off, s[0:3], 0 offset:848
	buffer_store_dword v1, off, s[0:3], 0 offset:860
	buffer_store_dword v0, off, s[0:3], 0 offset:856
	ds_read2_b64 v[0:3], v16 offset0:108 offset1:109
	buffer_load_dword v4, off, s[0:3], 0 offset:560
	buffer_load_dword v5, off, s[0:3], 0 offset:564
	;; [unrolled: 1-line block ×4, first 2 shown]
	s_waitcnt vmcnt(0) lgkmcnt(0)
	v_mul_f64 v[12:13], v[2:3], v[10:11]
	v_fma_f64 v[12:13], v[0:1], v[4:5], -v[12:13]
	v_mul_f64 v[0:1], v[0:1], v[10:11]
	v_fma_f64 v[0:1], v[2:3], v[4:5], v[0:1]
	buffer_load_dword v3, off, s[0:3], 0 offset:868
	buffer_load_dword v2, off, s[0:3], 0 offset:864
	s_waitcnt vmcnt(0)
	v_add_f64 v[2:3], v[2:3], -v[12:13]
	buffer_load_dword v13, off, s[0:3], 0 offset:876
	buffer_load_dword v12, off, s[0:3], 0 offset:872
	s_waitcnt vmcnt(0)
	v_add_f64 v[0:1], v[12:13], -v[0:1]
	buffer_store_dword v3, off, s[0:3], 0 offset:868
	buffer_store_dword v2, off, s[0:3], 0 offset:864
	buffer_store_dword v1, off, s[0:3], 0 offset:876
	buffer_store_dword v0, off, s[0:3], 0 offset:872
	ds_read2_b64 v[0:3], v16 offset0:110 offset1:111
	s_waitcnt lgkmcnt(0)
	v_mul_f64 v[12:13], v[2:3], v[10:11]
	v_fma_f64 v[12:13], v[0:1], v[4:5], -v[12:13]
	v_mul_f64 v[0:1], v[0:1], v[10:11]
	v_fma_f64 v[0:1], v[2:3], v[4:5], v[0:1]
	buffer_load_dword v2, off, s[0:3], 0 offset:880
	buffer_load_dword v3, off, s[0:3], 0 offset:884
	buffer_load_dword v20, off, s[0:3], 0 offset:888
	buffer_load_dword v21, off, s[0:3], 0 offset:892
	s_waitcnt vmcnt(2)
	v_add_f64 v[2:3], v[2:3], -v[12:13]
	s_waitcnt vmcnt(0)
	v_add_f64 v[0:1], v[20:21], -v[0:1]
	buffer_store_dword v3, off, s[0:3], 0 offset:884
	buffer_store_dword v2, off, s[0:3], 0 offset:880
	buffer_store_dword v1, off, s[0:3], 0 offset:892
	buffer_store_dword v0, off, s[0:3], 0 offset:888
	ds_read2_b64 v[0:3], v16 offset0:112 offset1:113
	s_waitcnt lgkmcnt(0)
	v_mul_f64 v[12:13], v[2:3], v[10:11]
	v_fma_f64 v[12:13], v[0:1], v[4:5], -v[12:13]
	v_mul_f64 v[0:1], v[0:1], v[10:11]
	v_fma_f64 v[0:1], v[2:3], v[4:5], v[0:1]
	buffer_load_dword v2, off, s[0:3], 0 offset:896
	buffer_load_dword v3, off, s[0:3], 0 offset:900
	buffer_load_dword v20, off, s[0:3], 0 offset:904
	buffer_load_dword v21, off, s[0:3], 0 offset:908
	s_waitcnt vmcnt(2)
	v_add_f64 v[2:3], v[2:3], -v[12:13]
	;; [unrolled: 18-line block ×5, first 2 shown]
	s_waitcnt vmcnt(0)
	v_add_f64 v[0:1], v[4:5], -v[0:1]
	buffer_store_dword v3, off, s[0:3], 0 offset:948
	buffer_store_dword v2, off, s[0:3], 0 offset:944
	;; [unrolled: 1-line block ×4, first 2 shown]
	ds_read2_b64 v[0:3], v16 offset0:120 offset1:121
	buffer_load_dword v4, off, s[0:3], 0 offset:560
	buffer_load_dword v5, off, s[0:3], 0 offset:564
	;; [unrolled: 1-line block ×4, first 2 shown]
	s_waitcnt vmcnt(0) lgkmcnt(0)
	v_mul_f64 v[12:13], v[2:3], v[10:11]
	v_fma_f64 v[12:13], v[0:1], v[4:5], -v[12:13]
	v_mul_f64 v[0:1], v[0:1], v[10:11]
	v_fma_f64 v[0:1], v[2:3], v[4:5], v[0:1]
	buffer_load_dword v3, off, s[0:3], 0 offset:964
	buffer_load_dword v2, off, s[0:3], 0 offset:960
	s_waitcnt vmcnt(0)
	v_add_f64 v[2:3], v[2:3], -v[12:13]
	buffer_load_dword v13, off, s[0:3], 0 offset:972
	buffer_load_dword v12, off, s[0:3], 0 offset:968
	s_waitcnt vmcnt(0)
	v_add_f64 v[0:1], v[12:13], -v[0:1]
	buffer_store_dword v3, off, s[0:3], 0 offset:964
	buffer_store_dword v2, off, s[0:3], 0 offset:960
	;; [unrolled: 1-line block ×4, first 2 shown]
	ds_read2_b64 v[0:3], v16 offset0:122 offset1:123
	s_waitcnt lgkmcnt(0)
	v_mul_f64 v[12:13], v[2:3], v[10:11]
	v_fma_f64 v[12:13], v[0:1], v[4:5], -v[12:13]
	v_mul_f64 v[0:1], v[0:1], v[10:11]
	v_fma_f64 v[0:1], v[2:3], v[4:5], v[0:1]
	buffer_load_dword v2, off, s[0:3], 0 offset:976
	buffer_load_dword v3, off, s[0:3], 0 offset:980
	;; [unrolled: 1-line block ×4, first 2 shown]
	s_waitcnt vmcnt(2)
	v_add_f64 v[2:3], v[2:3], -v[12:13]
	s_waitcnt vmcnt(0)
	v_add_f64 v[0:1], v[20:21], -v[0:1]
	buffer_store_dword v3, off, s[0:3], 0 offset:980
	buffer_store_dword v2, off, s[0:3], 0 offset:976
	;; [unrolled: 1-line block ×4, first 2 shown]
	ds_read2_b64 v[0:3], v16 offset0:124 offset1:125
	s_waitcnt lgkmcnt(0)
	v_mul_f64 v[12:13], v[2:3], v[10:11]
	v_fma_f64 v[12:13], v[0:1], v[4:5], -v[12:13]
	v_mul_f64 v[0:1], v[0:1], v[10:11]
	v_fma_f64 v[0:1], v[2:3], v[4:5], v[0:1]
	buffer_load_dword v2, off, s[0:3], 0 offset:992
	buffer_load_dword v3, off, s[0:3], 0 offset:996
	;; [unrolled: 1-line block ×4, first 2 shown]
	s_waitcnt vmcnt(2)
	v_add_f64 v[2:3], v[2:3], -v[12:13]
	s_waitcnt vmcnt(0)
	v_add_f64 v[0:1], v[4:5], -v[0:1]
	buffer_store_dword v3, off, s[0:3], 0 offset:996
	buffer_store_dword v2, off, s[0:3], 0 offset:992
	;; [unrolled: 1-line block ×4, first 2 shown]
.LBB124_870:
	s_or_b64 exec, exec, s[4:5]
	v_mov_b32_e32 v3, s52
	s_waitcnt vmcnt(0)
	s_barrier
	buffer_load_dword v0, v3, s[0:3], 0 offen
	buffer_load_dword v1, v3, s[0:3], 0 offen offset:4
	buffer_load_dword v2, v3, s[0:3], 0 offen offset:8
	s_nop 0
	buffer_load_dword v3, v3, s[0:3], 0 offen offset:12
	v_lshl_add_u32 v4, v19, 4, v16
	s_cmp_lt_i32 s65, 38
	s_waitcnt vmcnt(0)
	ds_write2_b64 v4, v[0:1], v[2:3] offset1:1
	s_waitcnt lgkmcnt(0)
	s_barrier
	ds_read2_b64 v[0:3], v16 offset0:72 offset1:73
	v_mov_b32_e32 v4, 36
	s_cbranch_scc1 .LBB124_873
; %bb.871:
	v_add_u32_e32 v5, 0x250, v16
	s_mov_b32 s16, 37
	v_mov_b32_e32 v4, 36
.LBB124_872:                            ; =>This Inner Loop Header: Depth=1
	s_waitcnt lgkmcnt(0)
	v_cmp_gt_f64_e32 vcc, 0, v[2:3]
	v_cmp_gt_f64_e64 s[4:5], 0, v[0:1]
	ds_read2_b64 v[10:13], v5 offset1:1
	v_xor_b32_e32 v21, 0x80000000, v1
	v_xor_b32_e32 v23, 0x80000000, v3
	v_mov_b32_e32 v20, v0
	v_mov_b32_e32 v22, v2
	s_waitcnt lgkmcnt(0)
	v_xor_b32_e32 v25, 0x80000000, v13
	v_cndmask_b32_e32 v23, v3, v23, vcc
	v_cndmask_b32_e64 v21, v1, v21, s[4:5]
	v_cmp_gt_f64_e32 vcc, 0, v[12:13]
	v_cmp_gt_f64_e64 s[4:5], 0, v[10:11]
	v_add_f64 v[20:21], v[20:21], v[22:23]
	v_xor_b32_e32 v23, 0x80000000, v11
	v_mov_b32_e32 v22, v10
	v_mov_b32_e32 v24, v12
	v_add_u32_e32 v5, 16, v5
	v_cndmask_b32_e32 v25, v13, v25, vcc
	v_cndmask_b32_e64 v23, v11, v23, s[4:5]
	v_add_f64 v[22:23], v[22:23], v[24:25]
	v_mov_b32_e32 v24, s16
	s_add_i32 s16, s16, 1
	s_cmp_lg_u32 s65, s16
	v_cmp_lt_f64_e32 vcc, v[20:21], v[22:23]
	v_cndmask_b32_e32 v1, v1, v11, vcc
	v_cndmask_b32_e32 v0, v0, v10, vcc
	;; [unrolled: 1-line block ×5, first 2 shown]
	s_cbranch_scc1 .LBB124_872
.LBB124_873:
	s_waitcnt lgkmcnt(0)
	v_cmp_eq_f64_e32 vcc, 0, v[0:1]
	v_cmp_eq_f64_e64 s[4:5], 0, v[2:3]
	s_and_b64 s[4:5], vcc, s[4:5]
	s_and_saveexec_b64 s[16:17], s[4:5]
	s_xor_b64 s[4:5], exec, s[16:17]
; %bb.874:
	v_cmp_ne_u32_e32 vcc, 0, v17
	v_cndmask_b32_e32 v17, 37, v17, vcc
; %bb.875:
	s_andn2_saveexec_b64 s[4:5], s[4:5]
	s_cbranch_execz .LBB124_881
; %bb.876:
	v_cmp_ngt_f64_e64 s[16:17], |v[0:1]|, |v[2:3]|
	s_and_saveexec_b64 s[18:19], s[16:17]
	s_xor_b64 s[18:19], exec, s[18:19]
	s_cbranch_execz .LBB124_878
; %bb.877:
	v_div_scale_f64 v[10:11], s[16:17], v[2:3], v[2:3], v[0:1]
	v_rcp_f64_e32 v[12:13], v[10:11]
	v_fma_f64 v[20:21], -v[10:11], v[12:13], 1.0
	v_fma_f64 v[12:13], v[12:13], v[20:21], v[12:13]
	v_div_scale_f64 v[20:21], vcc, v[0:1], v[2:3], v[0:1]
	v_fma_f64 v[22:23], -v[10:11], v[12:13], 1.0
	v_fma_f64 v[12:13], v[12:13], v[22:23], v[12:13]
	v_mul_f64 v[22:23], v[20:21], v[12:13]
	v_fma_f64 v[10:11], -v[10:11], v[22:23], v[20:21]
	v_div_fmas_f64 v[10:11], v[10:11], v[12:13], v[22:23]
	v_div_fixup_f64 v[10:11], v[10:11], v[2:3], v[0:1]
	v_fma_f64 v[0:1], v[0:1], v[10:11], v[2:3]
	v_div_scale_f64 v[2:3], s[16:17], v[0:1], v[0:1], 1.0
	v_div_scale_f64 v[22:23], vcc, 1.0, v[0:1], 1.0
	v_rcp_f64_e32 v[12:13], v[2:3]
	v_fma_f64 v[20:21], -v[2:3], v[12:13], 1.0
	v_fma_f64 v[12:13], v[12:13], v[20:21], v[12:13]
	v_fma_f64 v[20:21], -v[2:3], v[12:13], 1.0
	v_fma_f64 v[12:13], v[12:13], v[20:21], v[12:13]
	v_mul_f64 v[20:21], v[22:23], v[12:13]
	v_fma_f64 v[2:3], -v[2:3], v[20:21], v[22:23]
	v_div_fmas_f64 v[2:3], v[2:3], v[12:13], v[20:21]
	v_div_fixup_f64 v[2:3], v[2:3], v[0:1], 1.0
	v_mul_f64 v[0:1], v[10:11], v[2:3]
	v_xor_b32_e32 v3, 0x80000000, v3
.LBB124_878:
	s_andn2_saveexec_b64 s[18:19], s[18:19]
	s_cbranch_execz .LBB124_880
; %bb.879:
	v_div_scale_f64 v[10:11], s[16:17], v[0:1], v[0:1], v[2:3]
	v_rcp_f64_e32 v[12:13], v[10:11]
	v_fma_f64 v[20:21], -v[10:11], v[12:13], 1.0
	v_fma_f64 v[12:13], v[12:13], v[20:21], v[12:13]
	v_div_scale_f64 v[20:21], vcc, v[2:3], v[0:1], v[2:3]
	v_fma_f64 v[22:23], -v[10:11], v[12:13], 1.0
	v_fma_f64 v[12:13], v[12:13], v[22:23], v[12:13]
	v_mul_f64 v[22:23], v[20:21], v[12:13]
	v_fma_f64 v[10:11], -v[10:11], v[22:23], v[20:21]
	v_div_fmas_f64 v[10:11], v[10:11], v[12:13], v[22:23]
	v_div_fixup_f64 v[10:11], v[10:11], v[0:1], v[2:3]
	v_fma_f64 v[0:1], v[2:3], v[10:11], v[0:1]
	v_div_scale_f64 v[2:3], s[16:17], v[0:1], v[0:1], 1.0
	v_div_scale_f64 v[22:23], vcc, 1.0, v[0:1], 1.0
	v_rcp_f64_e32 v[12:13], v[2:3]
	v_fma_f64 v[20:21], -v[2:3], v[12:13], 1.0
	v_fma_f64 v[12:13], v[12:13], v[20:21], v[12:13]
	v_fma_f64 v[20:21], -v[2:3], v[12:13], 1.0
	v_fma_f64 v[12:13], v[12:13], v[20:21], v[12:13]
	v_mul_f64 v[20:21], v[22:23], v[12:13]
	v_fma_f64 v[2:3], -v[2:3], v[20:21], v[22:23]
	v_div_fmas_f64 v[2:3], v[2:3], v[12:13], v[20:21]
	v_div_fixup_f64 v[0:1], v[2:3], v[0:1], 1.0
	v_mul_f64 v[2:3], v[10:11], -v[0:1]
.LBB124_880:
	s_or_b64 exec, exec, s[18:19]
.LBB124_881:
	s_or_b64 exec, exec, s[4:5]
	v_cmp_ne_u32_e32 vcc, v19, v4
	s_and_saveexec_b64 s[4:5], vcc
	s_xor_b64 s[4:5], exec, s[4:5]
	s_cbranch_execz .LBB124_887
; %bb.882:
	v_cmp_eq_u32_e32 vcc, 36, v19
	s_and_saveexec_b64 s[18:19], vcc
	s_cbranch_execz .LBB124_886
; %bb.883:
	v_cmp_ne_u32_e32 vcc, 36, v4
	s_xor_b64 s[16:17], s[10:11], -1
	s_and_b64 s[16:17], s[16:17], vcc
	s_and_saveexec_b64 s[24:25], s[16:17]
	s_cbranch_execz .LBB124_885
; %bb.884:
	v_ashrrev_i32_e32 v5, 31, v4
	v_lshlrev_b64 v[10:11], 2, v[4:5]
	v_add_co_u32_e32 v10, vcc, v8, v10
	v_addc_co_u32_e32 v11, vcc, v9, v11, vcc
	global_load_dword v5, v[10:11], off
	global_load_dword v12, v[8:9], off offset:144
	s_waitcnt vmcnt(1)
	global_store_dword v[8:9], v5, off offset:144
	s_waitcnt vmcnt(1)
	global_store_dword v[10:11], v12, off
.LBB124_885:
	s_or_b64 exec, exec, s[24:25]
	v_mov_b32_e32 v19, v4
	v_mov_b32_e32 v18, v4
.LBB124_886:
	s_or_b64 exec, exec, s[18:19]
.LBB124_887:
	s_andn2_saveexec_b64 s[4:5], s[4:5]
	s_cbranch_execz .LBB124_889
; %bb.888:
	v_mov_b32_e32 v11, s51
	buffer_load_dword v4, v11, s[0:3], 0 offen
	buffer_load_dword v5, v11, s[0:3], 0 offen offset:4
	buffer_load_dword v10, v11, s[0:3], 0 offen offset:8
	s_nop 0
	buffer_load_dword v11, v11, s[0:3], 0 offen offset:12
	v_mov_b32_e32 v19, 36
	s_waitcnt vmcnt(0)
	ds_write2_b64 v16, v[4:5], v[10:11] offset0:74 offset1:75
	v_mov_b32_e32 v11, s50
	buffer_load_dword v4, v11, s[0:3], 0 offen
	buffer_load_dword v5, v11, s[0:3], 0 offen offset:4
	buffer_load_dword v10, v11, s[0:3], 0 offen offset:8
	s_nop 0
	buffer_load_dword v11, v11, s[0:3], 0 offen offset:12
	s_waitcnt vmcnt(0)
	ds_write2_b64 v16, v[4:5], v[10:11] offset0:76 offset1:77
	v_mov_b32_e32 v11, s49
	buffer_load_dword v4, v11, s[0:3], 0 offen
	buffer_load_dword v5, v11, s[0:3], 0 offen offset:4
	buffer_load_dword v10, v11, s[0:3], 0 offen offset:8
	s_nop 0
	buffer_load_dword v11, v11, s[0:3], 0 offen offset:12
	;; [unrolled: 8-line block ×25, first 2 shown]
	s_waitcnt vmcnt(0)
	ds_write2_b64 v16, v[4:5], v[10:11] offset0:124 offset1:125
.LBB124_889:
	s_or_b64 exec, exec, s[4:5]
	v_cmp_lt_i32_e32 vcc, 36, v19
	s_waitcnt vmcnt(0) lgkmcnt(0)
	s_barrier
	s_and_saveexec_b64 s[4:5], vcc
	s_cbranch_execz .LBB124_891
; %bb.890:
	buffer_load_dword v10, off, s[0:3], 0 offset:576
	buffer_load_dword v11, off, s[0:3], 0 offset:580
	;; [unrolled: 1-line block ×16, first 2 shown]
	s_waitcnt vmcnt(12)
	v_mul_f64 v[4:5], v[2:3], v[12:13]
	v_fma_f64 v[4:5], v[0:1], v[10:11], -v[4:5]
	v_mul_f64 v[0:1], v[0:1], v[12:13]
	v_fma_f64 v[0:1], v[2:3], v[10:11], v[0:1]
	buffer_store_dword v4, off, s[0:3], 0 offset:576
	buffer_store_dword v5, off, s[0:3], 0 offset:580
	buffer_store_dword v0, off, s[0:3], 0 offset:584
	buffer_store_dword v1, off, s[0:3], 0 offset:588
	ds_read2_b64 v[10:13], v16 offset0:74 offset1:75
	s_waitcnt lgkmcnt(0)
	v_mul_f64 v[2:3], v[12:13], v[0:1]
	v_fma_f64 v[2:3], v[10:11], v[4:5], -v[2:3]
	v_mul_f64 v[10:11], v[10:11], v[0:1]
	s_waitcnt vmcnt(14)
	v_add_f64 v[2:3], v[20:21], -v[2:3]
	v_fma_f64 v[10:11], v[12:13], v[4:5], v[10:11]
	s_waitcnt vmcnt(12)
	v_add_f64 v[10:11], v[22:23], -v[10:11]
	buffer_store_dword v2, off, s[0:3], 0 offset:592
	buffer_store_dword v3, off, s[0:3], 0 offset:596
	buffer_store_dword v10, off, s[0:3], 0 offset:600
	buffer_store_dword v11, off, s[0:3], 0 offset:604
	ds_read2_b64 v[10:13], v16 offset0:76 offset1:77
	s_waitcnt lgkmcnt(0)
	v_mul_f64 v[2:3], v[12:13], v[0:1]
	v_fma_f64 v[2:3], v[10:11], v[4:5], -v[2:3]
	v_mul_f64 v[10:11], v[10:11], v[0:1]
	s_waitcnt vmcnt(14)
	v_add_f64 v[2:3], v[24:25], -v[2:3]
	v_fma_f64 v[10:11], v[12:13], v[4:5], v[10:11]
	s_waitcnt vmcnt(12)
	v_add_f64 v[10:11], v[26:27], -v[10:11]
	;; [unrolled: 14-line block ×3, first 2 shown]
	buffer_store_dword v3, off, s[0:3], 0 offset:628
	buffer_store_dword v2, off, s[0:3], 0 offset:624
	;; [unrolled: 1-line block ×4, first 2 shown]
	ds_read2_b64 v[10:13], v16 offset0:80 offset1:81
	s_waitcnt lgkmcnt(0)
	v_mul_f64 v[2:3], v[12:13], v[0:1]
	v_fma_f64 v[2:3], v[10:11], v[4:5], -v[2:3]
	v_mul_f64 v[10:11], v[10:11], v[0:1]
	v_fma_f64 v[10:11], v[12:13], v[4:5], v[10:11]
	buffer_load_dword v12, off, s[0:3], 0 offset:640
	buffer_load_dword v13, off, s[0:3], 0 offset:644
	;; [unrolled: 1-line block ×4, first 2 shown]
	s_waitcnt vmcnt(2)
	v_add_f64 v[2:3], v[12:13], -v[2:3]
	s_waitcnt vmcnt(0)
	v_add_f64 v[10:11], v[20:21], -v[10:11]
	buffer_store_dword v3, off, s[0:3], 0 offset:644
	buffer_store_dword v2, off, s[0:3], 0 offset:640
	;; [unrolled: 1-line block ×4, first 2 shown]
	ds_read2_b64 v[10:13], v16 offset0:82 offset1:83
	s_waitcnt lgkmcnt(0)
	v_mul_f64 v[2:3], v[12:13], v[0:1]
	v_fma_f64 v[2:3], v[10:11], v[4:5], -v[2:3]
	v_mul_f64 v[10:11], v[10:11], v[0:1]
	v_fma_f64 v[10:11], v[12:13], v[4:5], v[10:11]
	buffer_load_dword v12, off, s[0:3], 0 offset:656
	buffer_load_dword v13, off, s[0:3], 0 offset:660
	;; [unrolled: 1-line block ×4, first 2 shown]
	s_waitcnt vmcnt(2)
	v_add_f64 v[2:3], v[12:13], -v[2:3]
	s_waitcnt vmcnt(0)
	v_add_f64 v[10:11], v[20:21], -v[10:11]
	buffer_store_dword v3, off, s[0:3], 0 offset:660
	buffer_store_dword v2, off, s[0:3], 0 offset:656
	;; [unrolled: 1-line block ×4, first 2 shown]
	ds_read2_b64 v[10:13], v16 offset0:84 offset1:85
	s_waitcnt lgkmcnt(0)
	v_mul_f64 v[2:3], v[12:13], v[0:1]
	v_mul_f64 v[0:1], v[10:11], v[0:1]
	v_fma_f64 v[2:3], v[10:11], v[4:5], -v[2:3]
	v_fma_f64 v[0:1], v[12:13], v[4:5], v[0:1]
	buffer_load_dword v4, off, s[0:3], 0 offset:672
	buffer_load_dword v5, off, s[0:3], 0 offset:676
	;; [unrolled: 1-line block ×4, first 2 shown]
	s_waitcnt vmcnt(2)
	v_add_f64 v[2:3], v[4:5], -v[2:3]
	s_waitcnt vmcnt(0)
	v_add_f64 v[0:1], v[10:11], -v[0:1]
	buffer_store_dword v3, off, s[0:3], 0 offset:676
	buffer_store_dword v2, off, s[0:3], 0 offset:672
	buffer_store_dword v1, off, s[0:3], 0 offset:684
	buffer_store_dword v0, off, s[0:3], 0 offset:680
	ds_read2_b64 v[0:3], v16 offset0:86 offset1:87
	buffer_load_dword v4, off, s[0:3], 0 offset:576
	buffer_load_dword v5, off, s[0:3], 0 offset:580
	;; [unrolled: 1-line block ×4, first 2 shown]
	s_waitcnt vmcnt(0) lgkmcnt(0)
	v_mul_f64 v[12:13], v[2:3], v[10:11]
	v_fma_f64 v[12:13], v[0:1], v[4:5], -v[12:13]
	v_mul_f64 v[0:1], v[0:1], v[10:11]
	v_fma_f64 v[0:1], v[2:3], v[4:5], v[0:1]
	buffer_load_dword v3, off, s[0:3], 0 offset:692
	buffer_load_dword v2, off, s[0:3], 0 offset:688
	s_waitcnt vmcnt(0)
	v_add_f64 v[2:3], v[2:3], -v[12:13]
	buffer_load_dword v13, off, s[0:3], 0 offset:700
	buffer_load_dword v12, off, s[0:3], 0 offset:696
	s_waitcnt vmcnt(0)
	v_add_f64 v[0:1], v[12:13], -v[0:1]
	buffer_store_dword v3, off, s[0:3], 0 offset:692
	buffer_store_dword v2, off, s[0:3], 0 offset:688
	buffer_store_dword v1, off, s[0:3], 0 offset:700
	buffer_store_dword v0, off, s[0:3], 0 offset:696
	ds_read2_b64 v[0:3], v16 offset0:88 offset1:89
	s_waitcnt lgkmcnt(0)
	v_mul_f64 v[12:13], v[2:3], v[10:11]
	v_fma_f64 v[12:13], v[0:1], v[4:5], -v[12:13]
	v_mul_f64 v[0:1], v[0:1], v[10:11]
	v_fma_f64 v[0:1], v[2:3], v[4:5], v[0:1]
	buffer_load_dword v2, off, s[0:3], 0 offset:704
	buffer_load_dword v3, off, s[0:3], 0 offset:708
	buffer_load_dword v20, off, s[0:3], 0 offset:712
	buffer_load_dword v21, off, s[0:3], 0 offset:716
	s_waitcnt vmcnt(2)
	v_add_f64 v[2:3], v[2:3], -v[12:13]
	s_waitcnt vmcnt(0)
	v_add_f64 v[0:1], v[20:21], -v[0:1]
	buffer_store_dword v3, off, s[0:3], 0 offset:708
	buffer_store_dword v2, off, s[0:3], 0 offset:704
	buffer_store_dword v1, off, s[0:3], 0 offset:716
	buffer_store_dword v0, off, s[0:3], 0 offset:712
	ds_read2_b64 v[0:3], v16 offset0:90 offset1:91
	s_waitcnt lgkmcnt(0)
	v_mul_f64 v[12:13], v[2:3], v[10:11]
	v_fma_f64 v[12:13], v[0:1], v[4:5], -v[12:13]
	v_mul_f64 v[0:1], v[0:1], v[10:11]
	v_fma_f64 v[0:1], v[2:3], v[4:5], v[0:1]
	buffer_load_dword v2, off, s[0:3], 0 offset:720
	buffer_load_dword v3, off, s[0:3], 0 offset:724
	buffer_load_dword v20, off, s[0:3], 0 offset:728
	buffer_load_dword v21, off, s[0:3], 0 offset:732
	s_waitcnt vmcnt(2)
	v_add_f64 v[2:3], v[2:3], -v[12:13]
	;; [unrolled: 18-line block ×5, first 2 shown]
	s_waitcnt vmcnt(0)
	v_add_f64 v[0:1], v[4:5], -v[0:1]
	buffer_store_dword v3, off, s[0:3], 0 offset:772
	buffer_store_dword v2, off, s[0:3], 0 offset:768
	;; [unrolled: 1-line block ×4, first 2 shown]
	ds_read2_b64 v[0:3], v16 offset0:98 offset1:99
	buffer_load_dword v4, off, s[0:3], 0 offset:576
	buffer_load_dword v5, off, s[0:3], 0 offset:580
	;; [unrolled: 1-line block ×4, first 2 shown]
	s_waitcnt vmcnt(0) lgkmcnt(0)
	v_mul_f64 v[12:13], v[2:3], v[10:11]
	v_fma_f64 v[12:13], v[0:1], v[4:5], -v[12:13]
	v_mul_f64 v[0:1], v[0:1], v[10:11]
	v_fma_f64 v[0:1], v[2:3], v[4:5], v[0:1]
	buffer_load_dword v3, off, s[0:3], 0 offset:788
	buffer_load_dword v2, off, s[0:3], 0 offset:784
	s_waitcnt vmcnt(0)
	v_add_f64 v[2:3], v[2:3], -v[12:13]
	buffer_load_dword v13, off, s[0:3], 0 offset:796
	buffer_load_dword v12, off, s[0:3], 0 offset:792
	s_waitcnt vmcnt(0)
	v_add_f64 v[0:1], v[12:13], -v[0:1]
	buffer_store_dword v3, off, s[0:3], 0 offset:788
	buffer_store_dword v2, off, s[0:3], 0 offset:784
	buffer_store_dword v1, off, s[0:3], 0 offset:796
	buffer_store_dword v0, off, s[0:3], 0 offset:792
	ds_read2_b64 v[0:3], v16 offset0:100 offset1:101
	s_waitcnt lgkmcnt(0)
	v_mul_f64 v[12:13], v[2:3], v[10:11]
	v_fma_f64 v[12:13], v[0:1], v[4:5], -v[12:13]
	v_mul_f64 v[0:1], v[0:1], v[10:11]
	v_fma_f64 v[0:1], v[2:3], v[4:5], v[0:1]
	buffer_load_dword v2, off, s[0:3], 0 offset:800
	buffer_load_dword v3, off, s[0:3], 0 offset:804
	buffer_load_dword v20, off, s[0:3], 0 offset:808
	buffer_load_dword v21, off, s[0:3], 0 offset:812
	s_waitcnt vmcnt(2)
	v_add_f64 v[2:3], v[2:3], -v[12:13]
	s_waitcnt vmcnt(0)
	v_add_f64 v[0:1], v[20:21], -v[0:1]
	buffer_store_dword v3, off, s[0:3], 0 offset:804
	buffer_store_dword v2, off, s[0:3], 0 offset:800
	buffer_store_dword v1, off, s[0:3], 0 offset:812
	buffer_store_dword v0, off, s[0:3], 0 offset:808
	ds_read2_b64 v[0:3], v16 offset0:102 offset1:103
	s_waitcnt lgkmcnt(0)
	v_mul_f64 v[12:13], v[2:3], v[10:11]
	v_fma_f64 v[12:13], v[0:1], v[4:5], -v[12:13]
	v_mul_f64 v[0:1], v[0:1], v[10:11]
	v_fma_f64 v[0:1], v[2:3], v[4:5], v[0:1]
	buffer_load_dword v2, off, s[0:3], 0 offset:816
	buffer_load_dword v3, off, s[0:3], 0 offset:820
	buffer_load_dword v20, off, s[0:3], 0 offset:824
	buffer_load_dword v21, off, s[0:3], 0 offset:828
	s_waitcnt vmcnt(2)
	v_add_f64 v[2:3], v[2:3], -v[12:13]
	;; [unrolled: 18-line block ×5, first 2 shown]
	s_waitcnt vmcnt(0)
	v_add_f64 v[0:1], v[4:5], -v[0:1]
	buffer_store_dword v3, off, s[0:3], 0 offset:868
	buffer_store_dword v2, off, s[0:3], 0 offset:864
	buffer_store_dword v1, off, s[0:3], 0 offset:876
	buffer_store_dword v0, off, s[0:3], 0 offset:872
	ds_read2_b64 v[2:5], v16 offset0:110 offset1:111
	buffer_load_dword v0, off, s[0:3], 0 offset:576
	buffer_load_dword v1, off, s[0:3], 0 offset:580
	;; [unrolled: 1-line block ×4, first 2 shown]
	s_waitcnt vmcnt(0) lgkmcnt(0)
	v_mul_f64 v[12:13], v[4:5], v[10:11]
	v_fma_f64 v[12:13], v[2:3], v[0:1], -v[12:13]
	v_mul_f64 v[2:3], v[2:3], v[10:11]
	v_fma_f64 v[2:3], v[4:5], v[0:1], v[2:3]
	buffer_load_dword v5, off, s[0:3], 0 offset:884
	buffer_load_dword v4, off, s[0:3], 0 offset:880
	s_waitcnt vmcnt(0)
	v_add_f64 v[4:5], v[4:5], -v[12:13]
	buffer_load_dword v13, off, s[0:3], 0 offset:892
	buffer_load_dword v12, off, s[0:3], 0 offset:888
	s_waitcnt vmcnt(0)
	v_add_f64 v[2:3], v[12:13], -v[2:3]
	buffer_store_dword v5, off, s[0:3], 0 offset:884
	buffer_store_dword v4, off, s[0:3], 0 offset:880
	buffer_store_dword v3, off, s[0:3], 0 offset:892
	buffer_store_dword v2, off, s[0:3], 0 offset:888
	ds_read2_b64 v[2:5], v16 offset0:112 offset1:113
	s_waitcnt lgkmcnt(0)
	v_mul_f64 v[12:13], v[4:5], v[10:11]
	v_fma_f64 v[12:13], v[2:3], v[0:1], -v[12:13]
	v_mul_f64 v[2:3], v[2:3], v[10:11]
	v_fma_f64 v[2:3], v[4:5], v[0:1], v[2:3]
	buffer_load_dword v4, off, s[0:3], 0 offset:896
	buffer_load_dword v5, off, s[0:3], 0 offset:900
	buffer_load_dword v20, off, s[0:3], 0 offset:904
	buffer_load_dword v21, off, s[0:3], 0 offset:908
	s_waitcnt vmcnt(2)
	v_add_f64 v[4:5], v[4:5], -v[12:13]
	s_waitcnt vmcnt(0)
	v_add_f64 v[2:3], v[20:21], -v[2:3]
	buffer_store_dword v5, off, s[0:3], 0 offset:900
	buffer_store_dword v4, off, s[0:3], 0 offset:896
	buffer_store_dword v3, off, s[0:3], 0 offset:908
	buffer_store_dword v2, off, s[0:3], 0 offset:904
	ds_read2_b64 v[2:5], v16 offset0:114 offset1:115
	s_waitcnt lgkmcnt(0)
	v_mul_f64 v[12:13], v[4:5], v[10:11]
	v_fma_f64 v[12:13], v[2:3], v[0:1], -v[12:13]
	v_mul_f64 v[2:3], v[2:3], v[10:11]
	v_fma_f64 v[2:3], v[4:5], v[0:1], v[2:3]
	buffer_load_dword v4, off, s[0:3], 0 offset:912
	buffer_load_dword v5, off, s[0:3], 0 offset:916
	buffer_load_dword v20, off, s[0:3], 0 offset:920
	buffer_load_dword v21, off, s[0:3], 0 offset:924
	s_waitcnt vmcnt(2)
	v_add_f64 v[4:5], v[4:5], -v[12:13]
	;; [unrolled: 18-line block ×5, first 2 shown]
	s_waitcnt vmcnt(0)
	v_add_f64 v[0:1], v[4:5], -v[0:1]
	buffer_store_dword v3, off, s[0:3], 0 offset:964
	buffer_store_dword v2, off, s[0:3], 0 offset:960
	;; [unrolled: 1-line block ×4, first 2 shown]
	ds_read2_b64 v[20:23], v16 offset0:122 offset1:123
	buffer_load_dword v0, off, s[0:3], 0 offset:576
	buffer_load_dword v1, off, s[0:3], 0 offset:580
	;; [unrolled: 1-line block ×6, first 2 shown]
	s_waitcnt vmcnt(2) lgkmcnt(0)
	v_mul_f64 v[4:5], v[22:23], v[2:3]
	v_fma_f64 v[10:11], v[20:21], v[0:1], -v[4:5]
	v_mul_f64 v[4:5], v[20:21], v[2:3]
	s_waitcnt vmcnt(0)
	v_add_f64 v[10:11], v[12:13], -v[10:11]
	buffer_load_dword v13, off, s[0:3], 0 offset:988
	buffer_load_dword v12, off, s[0:3], 0 offset:984
	v_fma_f64 v[4:5], v[22:23], v[0:1], v[4:5]
	s_waitcnt vmcnt(0)
	v_add_f64 v[4:5], v[12:13], -v[4:5]
	buffer_store_dword v11, off, s[0:3], 0 offset:980
	buffer_store_dword v10, off, s[0:3], 0 offset:976
	;; [unrolled: 1-line block ×4, first 2 shown]
	ds_read2_b64 v[10:13], v16 offset0:124 offset1:125
	s_waitcnt lgkmcnt(0)
	v_mul_f64 v[4:5], v[12:13], v[2:3]
	v_mul_f64 v[2:3], v[10:11], v[2:3]
	v_fma_f64 v[4:5], v[10:11], v[0:1], -v[4:5]
	v_fma_f64 v[0:1], v[12:13], v[0:1], v[2:3]
	buffer_load_dword v2, off, s[0:3], 0 offset:992
	buffer_load_dword v3, off, s[0:3], 0 offset:996
	;; [unrolled: 1-line block ×4, first 2 shown]
	s_waitcnt vmcnt(2)
	v_add_f64 v[2:3], v[2:3], -v[4:5]
	s_waitcnt vmcnt(0)
	v_add_f64 v[0:1], v[10:11], -v[0:1]
	buffer_store_dword v3, off, s[0:3], 0 offset:996
	buffer_store_dword v2, off, s[0:3], 0 offset:992
	;; [unrolled: 1-line block ×4, first 2 shown]
.LBB124_891:
	s_or_b64 exec, exec, s[4:5]
	v_mov_b32_e32 v3, s51
	s_waitcnt vmcnt(0)
	s_barrier
	buffer_load_dword v0, v3, s[0:3], 0 offen
	buffer_load_dword v1, v3, s[0:3], 0 offen offset:4
	buffer_load_dword v2, v3, s[0:3], 0 offen offset:8
	s_nop 0
	buffer_load_dword v3, v3, s[0:3], 0 offen offset:12
	v_lshl_add_u32 v4, v19, 4, v16
	s_cmp_lt_i32 s65, 39
	s_waitcnt vmcnt(0)
	ds_write2_b64 v4, v[0:1], v[2:3] offset1:1
	s_waitcnt lgkmcnt(0)
	s_barrier
	ds_read2_b64 v[0:3], v16 offset0:74 offset1:75
	v_mov_b32_e32 v4, 37
	s_cbranch_scc1 .LBB124_894
; %bb.892:
	v_add_u32_e32 v5, 0x260, v16
	s_mov_b32 s16, 38
	v_mov_b32_e32 v4, 37
.LBB124_893:                            ; =>This Inner Loop Header: Depth=1
	s_waitcnt lgkmcnt(0)
	v_cmp_gt_f64_e32 vcc, 0, v[2:3]
	v_cmp_gt_f64_e64 s[4:5], 0, v[0:1]
	ds_read2_b64 v[10:13], v5 offset1:1
	v_xor_b32_e32 v21, 0x80000000, v1
	v_xor_b32_e32 v23, 0x80000000, v3
	v_mov_b32_e32 v20, v0
	v_mov_b32_e32 v22, v2
	s_waitcnt lgkmcnt(0)
	v_xor_b32_e32 v25, 0x80000000, v13
	v_cndmask_b32_e32 v23, v3, v23, vcc
	v_cndmask_b32_e64 v21, v1, v21, s[4:5]
	v_cmp_gt_f64_e32 vcc, 0, v[12:13]
	v_cmp_gt_f64_e64 s[4:5], 0, v[10:11]
	v_add_f64 v[20:21], v[20:21], v[22:23]
	v_xor_b32_e32 v23, 0x80000000, v11
	v_mov_b32_e32 v22, v10
	v_mov_b32_e32 v24, v12
	v_add_u32_e32 v5, 16, v5
	v_cndmask_b32_e32 v25, v13, v25, vcc
	v_cndmask_b32_e64 v23, v11, v23, s[4:5]
	v_add_f64 v[22:23], v[22:23], v[24:25]
	v_mov_b32_e32 v24, s16
	s_add_i32 s16, s16, 1
	s_cmp_lg_u32 s65, s16
	v_cmp_lt_f64_e32 vcc, v[20:21], v[22:23]
	v_cndmask_b32_e32 v1, v1, v11, vcc
	v_cndmask_b32_e32 v0, v0, v10, vcc
	;; [unrolled: 1-line block ×5, first 2 shown]
	s_cbranch_scc1 .LBB124_893
.LBB124_894:
	s_waitcnt lgkmcnt(0)
	v_cmp_eq_f64_e32 vcc, 0, v[0:1]
	v_cmp_eq_f64_e64 s[4:5], 0, v[2:3]
	s_and_b64 s[4:5], vcc, s[4:5]
	s_and_saveexec_b64 s[16:17], s[4:5]
	s_xor_b64 s[4:5], exec, s[16:17]
; %bb.895:
	v_cmp_ne_u32_e32 vcc, 0, v17
	v_cndmask_b32_e32 v17, 38, v17, vcc
; %bb.896:
	s_andn2_saveexec_b64 s[4:5], s[4:5]
	s_cbranch_execz .LBB124_902
; %bb.897:
	v_cmp_ngt_f64_e64 s[16:17], |v[0:1]|, |v[2:3]|
	s_and_saveexec_b64 s[18:19], s[16:17]
	s_xor_b64 s[18:19], exec, s[18:19]
	s_cbranch_execz .LBB124_899
; %bb.898:
	v_div_scale_f64 v[10:11], s[16:17], v[2:3], v[2:3], v[0:1]
	v_rcp_f64_e32 v[12:13], v[10:11]
	v_fma_f64 v[20:21], -v[10:11], v[12:13], 1.0
	v_fma_f64 v[12:13], v[12:13], v[20:21], v[12:13]
	v_div_scale_f64 v[20:21], vcc, v[0:1], v[2:3], v[0:1]
	v_fma_f64 v[22:23], -v[10:11], v[12:13], 1.0
	v_fma_f64 v[12:13], v[12:13], v[22:23], v[12:13]
	v_mul_f64 v[22:23], v[20:21], v[12:13]
	v_fma_f64 v[10:11], -v[10:11], v[22:23], v[20:21]
	v_div_fmas_f64 v[10:11], v[10:11], v[12:13], v[22:23]
	v_div_fixup_f64 v[10:11], v[10:11], v[2:3], v[0:1]
	v_fma_f64 v[0:1], v[0:1], v[10:11], v[2:3]
	v_div_scale_f64 v[2:3], s[16:17], v[0:1], v[0:1], 1.0
	v_div_scale_f64 v[22:23], vcc, 1.0, v[0:1], 1.0
	v_rcp_f64_e32 v[12:13], v[2:3]
	v_fma_f64 v[20:21], -v[2:3], v[12:13], 1.0
	v_fma_f64 v[12:13], v[12:13], v[20:21], v[12:13]
	v_fma_f64 v[20:21], -v[2:3], v[12:13], 1.0
	v_fma_f64 v[12:13], v[12:13], v[20:21], v[12:13]
	v_mul_f64 v[20:21], v[22:23], v[12:13]
	v_fma_f64 v[2:3], -v[2:3], v[20:21], v[22:23]
	v_div_fmas_f64 v[2:3], v[2:3], v[12:13], v[20:21]
	v_div_fixup_f64 v[2:3], v[2:3], v[0:1], 1.0
	v_mul_f64 v[0:1], v[10:11], v[2:3]
	v_xor_b32_e32 v3, 0x80000000, v3
.LBB124_899:
	s_andn2_saveexec_b64 s[18:19], s[18:19]
	s_cbranch_execz .LBB124_901
; %bb.900:
	v_div_scale_f64 v[10:11], s[16:17], v[0:1], v[0:1], v[2:3]
	v_rcp_f64_e32 v[12:13], v[10:11]
	v_fma_f64 v[20:21], -v[10:11], v[12:13], 1.0
	v_fma_f64 v[12:13], v[12:13], v[20:21], v[12:13]
	v_div_scale_f64 v[20:21], vcc, v[2:3], v[0:1], v[2:3]
	v_fma_f64 v[22:23], -v[10:11], v[12:13], 1.0
	v_fma_f64 v[12:13], v[12:13], v[22:23], v[12:13]
	v_mul_f64 v[22:23], v[20:21], v[12:13]
	v_fma_f64 v[10:11], -v[10:11], v[22:23], v[20:21]
	v_div_fmas_f64 v[10:11], v[10:11], v[12:13], v[22:23]
	v_div_fixup_f64 v[10:11], v[10:11], v[0:1], v[2:3]
	v_fma_f64 v[0:1], v[2:3], v[10:11], v[0:1]
	v_div_scale_f64 v[2:3], s[16:17], v[0:1], v[0:1], 1.0
	v_div_scale_f64 v[22:23], vcc, 1.0, v[0:1], 1.0
	v_rcp_f64_e32 v[12:13], v[2:3]
	v_fma_f64 v[20:21], -v[2:3], v[12:13], 1.0
	v_fma_f64 v[12:13], v[12:13], v[20:21], v[12:13]
	v_fma_f64 v[20:21], -v[2:3], v[12:13], 1.0
	v_fma_f64 v[12:13], v[12:13], v[20:21], v[12:13]
	v_mul_f64 v[20:21], v[22:23], v[12:13]
	v_fma_f64 v[2:3], -v[2:3], v[20:21], v[22:23]
	v_div_fmas_f64 v[2:3], v[2:3], v[12:13], v[20:21]
	v_div_fixup_f64 v[0:1], v[2:3], v[0:1], 1.0
	v_mul_f64 v[2:3], v[10:11], -v[0:1]
.LBB124_901:
	s_or_b64 exec, exec, s[18:19]
.LBB124_902:
	s_or_b64 exec, exec, s[4:5]
	v_cmp_ne_u32_e32 vcc, v19, v4
	s_and_saveexec_b64 s[4:5], vcc
	s_xor_b64 s[4:5], exec, s[4:5]
	s_cbranch_execz .LBB124_908
; %bb.903:
	v_cmp_eq_u32_e32 vcc, 37, v19
	s_and_saveexec_b64 s[18:19], vcc
	s_cbranch_execz .LBB124_907
; %bb.904:
	v_cmp_ne_u32_e32 vcc, 37, v4
	s_xor_b64 s[16:17], s[10:11], -1
	s_and_b64 s[16:17], s[16:17], vcc
	s_and_saveexec_b64 s[24:25], s[16:17]
	s_cbranch_execz .LBB124_906
; %bb.905:
	v_ashrrev_i32_e32 v5, 31, v4
	v_lshlrev_b64 v[10:11], 2, v[4:5]
	v_add_co_u32_e32 v10, vcc, v8, v10
	v_addc_co_u32_e32 v11, vcc, v9, v11, vcc
	global_load_dword v5, v[10:11], off
	global_load_dword v12, v[8:9], off offset:148
	s_waitcnt vmcnt(1)
	global_store_dword v[8:9], v5, off offset:148
	s_waitcnt vmcnt(1)
	global_store_dword v[10:11], v12, off
.LBB124_906:
	s_or_b64 exec, exec, s[24:25]
	v_mov_b32_e32 v19, v4
	v_mov_b32_e32 v18, v4
.LBB124_907:
	s_or_b64 exec, exec, s[18:19]
.LBB124_908:
	s_andn2_saveexec_b64 s[4:5], s[4:5]
	s_cbranch_execz .LBB124_910
; %bb.909:
	v_mov_b32_e32 v11, s50
	buffer_load_dword v4, v11, s[0:3], 0 offen
	buffer_load_dword v5, v11, s[0:3], 0 offen offset:4
	buffer_load_dword v10, v11, s[0:3], 0 offen offset:8
	s_nop 0
	buffer_load_dword v11, v11, s[0:3], 0 offen offset:12
	v_mov_b32_e32 v19, 37
	s_waitcnt vmcnt(0)
	ds_write2_b64 v16, v[4:5], v[10:11] offset0:76 offset1:77
	v_mov_b32_e32 v11, s49
	buffer_load_dword v4, v11, s[0:3], 0 offen
	buffer_load_dword v5, v11, s[0:3], 0 offen offset:4
	buffer_load_dword v10, v11, s[0:3], 0 offen offset:8
	s_nop 0
	buffer_load_dword v11, v11, s[0:3], 0 offen offset:12
	s_waitcnt vmcnt(0)
	ds_write2_b64 v16, v[4:5], v[10:11] offset0:78 offset1:79
	v_mov_b32_e32 v11, s47
	buffer_load_dword v4, v11, s[0:3], 0 offen
	buffer_load_dword v5, v11, s[0:3], 0 offen offset:4
	buffer_load_dword v10, v11, s[0:3], 0 offen offset:8
	s_nop 0
	buffer_load_dword v11, v11, s[0:3], 0 offen offset:12
	;; [unrolled: 8-line block ×24, first 2 shown]
	s_waitcnt vmcnt(0)
	ds_write2_b64 v16, v[4:5], v[10:11] offset0:124 offset1:125
.LBB124_910:
	s_or_b64 exec, exec, s[4:5]
	v_cmp_lt_i32_e32 vcc, 37, v19
	s_waitcnt vmcnt(0) lgkmcnt(0)
	s_barrier
	s_and_saveexec_b64 s[4:5], vcc
	s_cbranch_execz .LBB124_912
; %bb.911:
	buffer_load_dword v10, off, s[0:3], 0 offset:592
	buffer_load_dword v11, off, s[0:3], 0 offset:596
	;; [unrolled: 1-line block ×16, first 2 shown]
	s_waitcnt vmcnt(12)
	v_mul_f64 v[4:5], v[2:3], v[12:13]
	v_fma_f64 v[4:5], v[0:1], v[10:11], -v[4:5]
	v_mul_f64 v[0:1], v[0:1], v[12:13]
	v_fma_f64 v[10:11], v[2:3], v[10:11], v[0:1]
	buffer_store_dword v4, off, s[0:3], 0 offset:592
	buffer_store_dword v5, off, s[0:3], 0 offset:596
	buffer_store_dword v10, off, s[0:3], 0 offset:600
	buffer_store_dword v11, off, s[0:3], 0 offset:604
	ds_read2_b64 v[0:3], v16 offset0:76 offset1:77
	s_waitcnt lgkmcnt(0)
	v_mul_f64 v[12:13], v[2:3], v[10:11]
	v_fma_f64 v[12:13], v[0:1], v[4:5], -v[12:13]
	v_mul_f64 v[0:1], v[0:1], v[10:11]
	v_fma_f64 v[0:1], v[2:3], v[4:5], v[0:1]
	s_waitcnt vmcnt(14)
	v_add_f64 v[2:3], v[20:21], -v[12:13]
	s_waitcnt vmcnt(12)
	v_add_f64 v[0:1], v[22:23], -v[0:1]
	buffer_store_dword v2, off, s[0:3], 0 offset:608
	buffer_store_dword v3, off, s[0:3], 0 offset:612
	buffer_store_dword v0, off, s[0:3], 0 offset:616
	buffer_store_dword v1, off, s[0:3], 0 offset:620
	ds_read2_b64 v[0:3], v16 offset0:78 offset1:79
	s_waitcnt lgkmcnt(0)
	v_mul_f64 v[12:13], v[2:3], v[10:11]
	v_fma_f64 v[12:13], v[0:1], v[4:5], -v[12:13]
	v_mul_f64 v[0:1], v[0:1], v[10:11]
	v_fma_f64 v[0:1], v[2:3], v[4:5], v[0:1]
	s_waitcnt vmcnt(14)
	v_add_f64 v[2:3], v[24:25], -v[12:13]
	s_waitcnt vmcnt(12)
	v_add_f64 v[0:1], v[26:27], -v[0:1]
	;; [unrolled: 14-line block ×3, first 2 shown]
	buffer_store_dword v3, off, s[0:3], 0 offset:644
	buffer_store_dword v2, off, s[0:3], 0 offset:640
	buffer_store_dword v0, off, s[0:3], 0 offset:648
	buffer_store_dword v1, off, s[0:3], 0 offset:652
	ds_read2_b64 v[0:3], v16 offset0:82 offset1:83
	s_waitcnt lgkmcnt(0)
	v_mul_f64 v[12:13], v[2:3], v[10:11]
	v_fma_f64 v[12:13], v[0:1], v[4:5], -v[12:13]
	v_mul_f64 v[0:1], v[0:1], v[10:11]
	v_fma_f64 v[0:1], v[2:3], v[4:5], v[0:1]
	buffer_load_dword v2, off, s[0:3], 0 offset:656
	buffer_load_dword v3, off, s[0:3], 0 offset:660
	buffer_load_dword v20, off, s[0:3], 0 offset:664
	buffer_load_dword v21, off, s[0:3], 0 offset:668
	s_waitcnt vmcnt(2)
	v_add_f64 v[2:3], v[2:3], -v[12:13]
	s_waitcnt vmcnt(0)
	v_add_f64 v[0:1], v[20:21], -v[0:1]
	buffer_store_dword v3, off, s[0:3], 0 offset:660
	buffer_store_dword v2, off, s[0:3], 0 offset:656
	buffer_store_dword v1, off, s[0:3], 0 offset:668
	buffer_store_dword v0, off, s[0:3], 0 offset:664
	ds_read2_b64 v[0:3], v16 offset0:84 offset1:85
	s_waitcnt lgkmcnt(0)
	v_mul_f64 v[12:13], v[2:3], v[10:11]
	v_fma_f64 v[12:13], v[0:1], v[4:5], -v[12:13]
	v_mul_f64 v[0:1], v[0:1], v[10:11]
	v_fma_f64 v[0:1], v[2:3], v[4:5], v[0:1]
	buffer_load_dword v2, off, s[0:3], 0 offset:672
	buffer_load_dword v3, off, s[0:3], 0 offset:676
	buffer_load_dword v20, off, s[0:3], 0 offset:680
	buffer_load_dword v21, off, s[0:3], 0 offset:684
	s_waitcnt vmcnt(2)
	v_add_f64 v[2:3], v[2:3], -v[12:13]
	s_waitcnt vmcnt(0)
	v_add_f64 v[0:1], v[20:21], -v[0:1]
	;; [unrolled: 18-line block ×3, first 2 shown]
	buffer_store_dword v3, off, s[0:3], 0 offset:692
	buffer_store_dword v2, off, s[0:3], 0 offset:688
	;; [unrolled: 1-line block ×4, first 2 shown]
	ds_read2_b64 v[2:5], v16 offset0:88 offset1:89
	buffer_load_dword v0, off, s[0:3], 0 offset:592
	buffer_load_dword v1, off, s[0:3], 0 offset:596
	;; [unrolled: 1-line block ×4, first 2 shown]
	s_waitcnt vmcnt(0) lgkmcnt(0)
	v_mul_f64 v[12:13], v[4:5], v[10:11]
	v_fma_f64 v[12:13], v[2:3], v[0:1], -v[12:13]
	v_mul_f64 v[2:3], v[2:3], v[10:11]
	v_fma_f64 v[2:3], v[4:5], v[0:1], v[2:3]
	buffer_load_dword v5, off, s[0:3], 0 offset:708
	buffer_load_dword v4, off, s[0:3], 0 offset:704
	s_waitcnt vmcnt(0)
	v_add_f64 v[4:5], v[4:5], -v[12:13]
	buffer_load_dword v13, off, s[0:3], 0 offset:716
	buffer_load_dword v12, off, s[0:3], 0 offset:712
	s_waitcnt vmcnt(0)
	v_add_f64 v[2:3], v[12:13], -v[2:3]
	buffer_store_dword v5, off, s[0:3], 0 offset:708
	buffer_store_dword v4, off, s[0:3], 0 offset:704
	buffer_store_dword v3, off, s[0:3], 0 offset:716
	buffer_store_dword v2, off, s[0:3], 0 offset:712
	ds_read2_b64 v[2:5], v16 offset0:90 offset1:91
	s_waitcnt lgkmcnt(0)
	v_mul_f64 v[12:13], v[4:5], v[10:11]
	v_fma_f64 v[12:13], v[2:3], v[0:1], -v[12:13]
	v_mul_f64 v[2:3], v[2:3], v[10:11]
	v_fma_f64 v[2:3], v[4:5], v[0:1], v[2:3]
	buffer_load_dword v4, off, s[0:3], 0 offset:720
	buffer_load_dword v5, off, s[0:3], 0 offset:724
	buffer_load_dword v20, off, s[0:3], 0 offset:728
	buffer_load_dword v21, off, s[0:3], 0 offset:732
	s_waitcnt vmcnt(2)
	v_add_f64 v[4:5], v[4:5], -v[12:13]
	s_waitcnt vmcnt(0)
	v_add_f64 v[2:3], v[20:21], -v[2:3]
	buffer_store_dword v5, off, s[0:3], 0 offset:724
	buffer_store_dword v4, off, s[0:3], 0 offset:720
	buffer_store_dword v3, off, s[0:3], 0 offset:732
	buffer_store_dword v2, off, s[0:3], 0 offset:728
	ds_read2_b64 v[2:5], v16 offset0:92 offset1:93
	s_waitcnt lgkmcnt(0)
	v_mul_f64 v[12:13], v[4:5], v[10:11]
	v_fma_f64 v[12:13], v[2:3], v[0:1], -v[12:13]
	v_mul_f64 v[2:3], v[2:3], v[10:11]
	v_fma_f64 v[2:3], v[4:5], v[0:1], v[2:3]
	buffer_load_dword v4, off, s[0:3], 0 offset:736
	buffer_load_dword v5, off, s[0:3], 0 offset:740
	buffer_load_dword v20, off, s[0:3], 0 offset:744
	buffer_load_dword v21, off, s[0:3], 0 offset:748
	s_waitcnt vmcnt(2)
	v_add_f64 v[4:5], v[4:5], -v[12:13]
	;; [unrolled: 18-line block ×5, first 2 shown]
	s_waitcnt vmcnt(0)
	v_add_f64 v[0:1], v[4:5], -v[0:1]
	buffer_store_dword v3, off, s[0:3], 0 offset:788
	buffer_store_dword v2, off, s[0:3], 0 offset:784
	buffer_store_dword v1, off, s[0:3], 0 offset:796
	buffer_store_dword v0, off, s[0:3], 0 offset:792
	ds_read2_b64 v[0:3], v16 offset0:100 offset1:101
	buffer_load_dword v4, off, s[0:3], 0 offset:592
	buffer_load_dword v5, off, s[0:3], 0 offset:596
	;; [unrolled: 1-line block ×4, first 2 shown]
	s_waitcnt vmcnt(0) lgkmcnt(0)
	v_mul_f64 v[12:13], v[2:3], v[10:11]
	v_fma_f64 v[12:13], v[0:1], v[4:5], -v[12:13]
	v_mul_f64 v[0:1], v[0:1], v[10:11]
	v_fma_f64 v[0:1], v[2:3], v[4:5], v[0:1]
	buffer_load_dword v3, off, s[0:3], 0 offset:804
	buffer_load_dword v2, off, s[0:3], 0 offset:800
	s_waitcnt vmcnt(0)
	v_add_f64 v[2:3], v[2:3], -v[12:13]
	buffer_load_dword v13, off, s[0:3], 0 offset:812
	buffer_load_dword v12, off, s[0:3], 0 offset:808
	s_waitcnt vmcnt(0)
	v_add_f64 v[0:1], v[12:13], -v[0:1]
	buffer_store_dword v3, off, s[0:3], 0 offset:804
	buffer_store_dword v2, off, s[0:3], 0 offset:800
	buffer_store_dword v1, off, s[0:3], 0 offset:812
	buffer_store_dword v0, off, s[0:3], 0 offset:808
	ds_read2_b64 v[0:3], v16 offset0:102 offset1:103
	s_waitcnt lgkmcnt(0)
	v_mul_f64 v[12:13], v[2:3], v[10:11]
	v_fma_f64 v[12:13], v[0:1], v[4:5], -v[12:13]
	v_mul_f64 v[0:1], v[0:1], v[10:11]
	v_fma_f64 v[0:1], v[2:3], v[4:5], v[0:1]
	buffer_load_dword v2, off, s[0:3], 0 offset:816
	buffer_load_dword v3, off, s[0:3], 0 offset:820
	buffer_load_dword v20, off, s[0:3], 0 offset:824
	buffer_load_dword v21, off, s[0:3], 0 offset:828
	s_waitcnt vmcnt(2)
	v_add_f64 v[2:3], v[2:3], -v[12:13]
	s_waitcnt vmcnt(0)
	v_add_f64 v[0:1], v[20:21], -v[0:1]
	buffer_store_dword v3, off, s[0:3], 0 offset:820
	buffer_store_dword v2, off, s[0:3], 0 offset:816
	buffer_store_dword v1, off, s[0:3], 0 offset:828
	buffer_store_dword v0, off, s[0:3], 0 offset:824
	ds_read2_b64 v[0:3], v16 offset0:104 offset1:105
	s_waitcnt lgkmcnt(0)
	v_mul_f64 v[12:13], v[2:3], v[10:11]
	v_fma_f64 v[12:13], v[0:1], v[4:5], -v[12:13]
	v_mul_f64 v[0:1], v[0:1], v[10:11]
	v_fma_f64 v[0:1], v[2:3], v[4:5], v[0:1]
	buffer_load_dword v2, off, s[0:3], 0 offset:832
	buffer_load_dword v3, off, s[0:3], 0 offset:836
	buffer_load_dword v20, off, s[0:3], 0 offset:840
	buffer_load_dword v21, off, s[0:3], 0 offset:844
	s_waitcnt vmcnt(2)
	v_add_f64 v[2:3], v[2:3], -v[12:13]
	;; [unrolled: 18-line block ×5, first 2 shown]
	s_waitcnt vmcnt(0)
	v_add_f64 v[0:1], v[4:5], -v[0:1]
	buffer_store_dword v3, off, s[0:3], 0 offset:884
	buffer_store_dword v2, off, s[0:3], 0 offset:880
	;; [unrolled: 1-line block ×4, first 2 shown]
	ds_read2_b64 v[0:3], v16 offset0:112 offset1:113
	buffer_load_dword v4, off, s[0:3], 0 offset:592
	buffer_load_dword v5, off, s[0:3], 0 offset:596
	;; [unrolled: 1-line block ×4, first 2 shown]
	s_waitcnt vmcnt(0) lgkmcnt(0)
	v_mul_f64 v[12:13], v[2:3], v[10:11]
	v_fma_f64 v[12:13], v[0:1], v[4:5], -v[12:13]
	v_mul_f64 v[0:1], v[0:1], v[10:11]
	v_fma_f64 v[0:1], v[2:3], v[4:5], v[0:1]
	buffer_load_dword v3, off, s[0:3], 0 offset:900
	buffer_load_dword v2, off, s[0:3], 0 offset:896
	s_waitcnt vmcnt(0)
	v_add_f64 v[2:3], v[2:3], -v[12:13]
	buffer_load_dword v13, off, s[0:3], 0 offset:908
	buffer_load_dword v12, off, s[0:3], 0 offset:904
	s_waitcnt vmcnt(0)
	v_add_f64 v[0:1], v[12:13], -v[0:1]
	buffer_store_dword v3, off, s[0:3], 0 offset:900
	buffer_store_dword v2, off, s[0:3], 0 offset:896
	buffer_store_dword v1, off, s[0:3], 0 offset:908
	buffer_store_dword v0, off, s[0:3], 0 offset:904
	ds_read2_b64 v[0:3], v16 offset0:114 offset1:115
	s_waitcnt lgkmcnt(0)
	v_mul_f64 v[12:13], v[2:3], v[10:11]
	v_fma_f64 v[12:13], v[0:1], v[4:5], -v[12:13]
	v_mul_f64 v[0:1], v[0:1], v[10:11]
	v_fma_f64 v[0:1], v[2:3], v[4:5], v[0:1]
	buffer_load_dword v2, off, s[0:3], 0 offset:912
	buffer_load_dword v3, off, s[0:3], 0 offset:916
	buffer_load_dword v20, off, s[0:3], 0 offset:920
	buffer_load_dword v21, off, s[0:3], 0 offset:924
	s_waitcnt vmcnt(2)
	v_add_f64 v[2:3], v[2:3], -v[12:13]
	s_waitcnt vmcnt(0)
	v_add_f64 v[0:1], v[20:21], -v[0:1]
	buffer_store_dword v3, off, s[0:3], 0 offset:916
	buffer_store_dword v2, off, s[0:3], 0 offset:912
	buffer_store_dword v1, off, s[0:3], 0 offset:924
	buffer_store_dword v0, off, s[0:3], 0 offset:920
	ds_read2_b64 v[0:3], v16 offset0:116 offset1:117
	s_waitcnt lgkmcnt(0)
	v_mul_f64 v[12:13], v[2:3], v[10:11]
	v_fma_f64 v[12:13], v[0:1], v[4:5], -v[12:13]
	v_mul_f64 v[0:1], v[0:1], v[10:11]
	v_fma_f64 v[0:1], v[2:3], v[4:5], v[0:1]
	buffer_load_dword v2, off, s[0:3], 0 offset:928
	buffer_load_dword v3, off, s[0:3], 0 offset:932
	buffer_load_dword v20, off, s[0:3], 0 offset:936
	buffer_load_dword v21, off, s[0:3], 0 offset:940
	s_waitcnt vmcnt(2)
	v_add_f64 v[2:3], v[2:3], -v[12:13]
	;; [unrolled: 18-line block ×5, first 2 shown]
	s_waitcnt vmcnt(0)
	v_add_f64 v[0:1], v[4:5], -v[0:1]
	buffer_store_dword v3, off, s[0:3], 0 offset:980
	buffer_store_dword v2, off, s[0:3], 0 offset:976
	;; [unrolled: 1-line block ×4, first 2 shown]
	ds_read2_b64 v[0:3], v16 offset0:124 offset1:125
	buffer_load_dword v10, off, s[0:3], 0 offset:592
	buffer_load_dword v11, off, s[0:3], 0 offset:596
	;; [unrolled: 1-line block ×4, first 2 shown]
	s_waitcnt vmcnt(0) lgkmcnt(0)
	v_mul_f64 v[4:5], v[2:3], v[12:13]
	v_fma_f64 v[4:5], v[0:1], v[10:11], -v[4:5]
	v_mul_f64 v[0:1], v[0:1], v[12:13]
	v_fma_f64 v[0:1], v[2:3], v[10:11], v[0:1]
	buffer_load_dword v3, off, s[0:3], 0 offset:996
	buffer_load_dword v2, off, s[0:3], 0 offset:992
	s_waitcnt vmcnt(0)
	v_add_f64 v[2:3], v[2:3], -v[4:5]
	buffer_load_dword v5, off, s[0:3], 0 offset:1004
	buffer_load_dword v4, off, s[0:3], 0 offset:1000
	s_waitcnt vmcnt(0)
	v_add_f64 v[0:1], v[4:5], -v[0:1]
	buffer_store_dword v3, off, s[0:3], 0 offset:996
	buffer_store_dword v2, off, s[0:3], 0 offset:992
	;; [unrolled: 1-line block ×4, first 2 shown]
.LBB124_912:
	s_or_b64 exec, exec, s[4:5]
	v_mov_b32_e32 v3, s50
	s_waitcnt vmcnt(0)
	s_barrier
	buffer_load_dword v0, v3, s[0:3], 0 offen
	buffer_load_dword v1, v3, s[0:3], 0 offen offset:4
	buffer_load_dword v2, v3, s[0:3], 0 offen offset:8
	s_nop 0
	buffer_load_dword v3, v3, s[0:3], 0 offen offset:12
	v_lshl_add_u32 v4, v19, 4, v16
	s_cmp_lt_i32 s65, 40
	s_waitcnt vmcnt(0)
	ds_write2_b64 v4, v[0:1], v[2:3] offset1:1
	s_waitcnt lgkmcnt(0)
	s_barrier
	ds_read2_b64 v[0:3], v16 offset0:76 offset1:77
	v_mov_b32_e32 v4, 38
	s_cbranch_scc1 .LBB124_915
; %bb.913:
	v_add_u32_e32 v5, 0x270, v16
	s_mov_b32 s16, 39
	v_mov_b32_e32 v4, 38
.LBB124_914:                            ; =>This Inner Loop Header: Depth=1
	s_waitcnt lgkmcnt(0)
	v_cmp_gt_f64_e32 vcc, 0, v[2:3]
	v_cmp_gt_f64_e64 s[4:5], 0, v[0:1]
	ds_read2_b64 v[10:13], v5 offset1:1
	v_xor_b32_e32 v21, 0x80000000, v1
	v_xor_b32_e32 v23, 0x80000000, v3
	v_mov_b32_e32 v20, v0
	v_mov_b32_e32 v22, v2
	s_waitcnt lgkmcnt(0)
	v_xor_b32_e32 v25, 0x80000000, v13
	v_cndmask_b32_e32 v23, v3, v23, vcc
	v_cndmask_b32_e64 v21, v1, v21, s[4:5]
	v_cmp_gt_f64_e32 vcc, 0, v[12:13]
	v_cmp_gt_f64_e64 s[4:5], 0, v[10:11]
	v_add_f64 v[20:21], v[20:21], v[22:23]
	v_xor_b32_e32 v23, 0x80000000, v11
	v_mov_b32_e32 v22, v10
	v_mov_b32_e32 v24, v12
	v_add_u32_e32 v5, 16, v5
	v_cndmask_b32_e32 v25, v13, v25, vcc
	v_cndmask_b32_e64 v23, v11, v23, s[4:5]
	v_add_f64 v[22:23], v[22:23], v[24:25]
	v_mov_b32_e32 v24, s16
	s_add_i32 s16, s16, 1
	s_cmp_lg_u32 s65, s16
	v_cmp_lt_f64_e32 vcc, v[20:21], v[22:23]
	v_cndmask_b32_e32 v1, v1, v11, vcc
	v_cndmask_b32_e32 v0, v0, v10, vcc
	;; [unrolled: 1-line block ×5, first 2 shown]
	s_cbranch_scc1 .LBB124_914
.LBB124_915:
	s_waitcnt lgkmcnt(0)
	v_cmp_eq_f64_e32 vcc, 0, v[0:1]
	v_cmp_eq_f64_e64 s[4:5], 0, v[2:3]
	s_and_b64 s[4:5], vcc, s[4:5]
	s_and_saveexec_b64 s[16:17], s[4:5]
	s_xor_b64 s[4:5], exec, s[16:17]
; %bb.916:
	v_cmp_ne_u32_e32 vcc, 0, v17
	v_cndmask_b32_e32 v17, 39, v17, vcc
; %bb.917:
	s_andn2_saveexec_b64 s[4:5], s[4:5]
	s_cbranch_execz .LBB124_923
; %bb.918:
	v_cmp_ngt_f64_e64 s[16:17], |v[0:1]|, |v[2:3]|
	s_and_saveexec_b64 s[18:19], s[16:17]
	s_xor_b64 s[18:19], exec, s[18:19]
	s_cbranch_execz .LBB124_920
; %bb.919:
	v_div_scale_f64 v[10:11], s[16:17], v[2:3], v[2:3], v[0:1]
	v_rcp_f64_e32 v[12:13], v[10:11]
	v_fma_f64 v[20:21], -v[10:11], v[12:13], 1.0
	v_fma_f64 v[12:13], v[12:13], v[20:21], v[12:13]
	v_div_scale_f64 v[20:21], vcc, v[0:1], v[2:3], v[0:1]
	v_fma_f64 v[22:23], -v[10:11], v[12:13], 1.0
	v_fma_f64 v[12:13], v[12:13], v[22:23], v[12:13]
	v_mul_f64 v[22:23], v[20:21], v[12:13]
	v_fma_f64 v[10:11], -v[10:11], v[22:23], v[20:21]
	v_div_fmas_f64 v[10:11], v[10:11], v[12:13], v[22:23]
	v_div_fixup_f64 v[10:11], v[10:11], v[2:3], v[0:1]
	v_fma_f64 v[0:1], v[0:1], v[10:11], v[2:3]
	v_div_scale_f64 v[2:3], s[16:17], v[0:1], v[0:1], 1.0
	v_div_scale_f64 v[22:23], vcc, 1.0, v[0:1], 1.0
	v_rcp_f64_e32 v[12:13], v[2:3]
	v_fma_f64 v[20:21], -v[2:3], v[12:13], 1.0
	v_fma_f64 v[12:13], v[12:13], v[20:21], v[12:13]
	v_fma_f64 v[20:21], -v[2:3], v[12:13], 1.0
	v_fma_f64 v[12:13], v[12:13], v[20:21], v[12:13]
	v_mul_f64 v[20:21], v[22:23], v[12:13]
	v_fma_f64 v[2:3], -v[2:3], v[20:21], v[22:23]
	v_div_fmas_f64 v[2:3], v[2:3], v[12:13], v[20:21]
	v_div_fixup_f64 v[2:3], v[2:3], v[0:1], 1.0
	v_mul_f64 v[0:1], v[10:11], v[2:3]
	v_xor_b32_e32 v3, 0x80000000, v3
.LBB124_920:
	s_andn2_saveexec_b64 s[18:19], s[18:19]
	s_cbranch_execz .LBB124_922
; %bb.921:
	v_div_scale_f64 v[10:11], s[16:17], v[0:1], v[0:1], v[2:3]
	v_rcp_f64_e32 v[12:13], v[10:11]
	v_fma_f64 v[20:21], -v[10:11], v[12:13], 1.0
	v_fma_f64 v[12:13], v[12:13], v[20:21], v[12:13]
	v_div_scale_f64 v[20:21], vcc, v[2:3], v[0:1], v[2:3]
	v_fma_f64 v[22:23], -v[10:11], v[12:13], 1.0
	v_fma_f64 v[12:13], v[12:13], v[22:23], v[12:13]
	v_mul_f64 v[22:23], v[20:21], v[12:13]
	v_fma_f64 v[10:11], -v[10:11], v[22:23], v[20:21]
	v_div_fmas_f64 v[10:11], v[10:11], v[12:13], v[22:23]
	v_div_fixup_f64 v[10:11], v[10:11], v[0:1], v[2:3]
	v_fma_f64 v[0:1], v[2:3], v[10:11], v[0:1]
	v_div_scale_f64 v[2:3], s[16:17], v[0:1], v[0:1], 1.0
	v_div_scale_f64 v[22:23], vcc, 1.0, v[0:1], 1.0
	v_rcp_f64_e32 v[12:13], v[2:3]
	v_fma_f64 v[20:21], -v[2:3], v[12:13], 1.0
	v_fma_f64 v[12:13], v[12:13], v[20:21], v[12:13]
	v_fma_f64 v[20:21], -v[2:3], v[12:13], 1.0
	v_fma_f64 v[12:13], v[12:13], v[20:21], v[12:13]
	v_mul_f64 v[20:21], v[22:23], v[12:13]
	v_fma_f64 v[2:3], -v[2:3], v[20:21], v[22:23]
	v_div_fmas_f64 v[2:3], v[2:3], v[12:13], v[20:21]
	v_div_fixup_f64 v[0:1], v[2:3], v[0:1], 1.0
	v_mul_f64 v[2:3], v[10:11], -v[0:1]
.LBB124_922:
	s_or_b64 exec, exec, s[18:19]
.LBB124_923:
	s_or_b64 exec, exec, s[4:5]
	v_cmp_ne_u32_e32 vcc, v19, v4
	s_and_saveexec_b64 s[4:5], vcc
	s_xor_b64 s[4:5], exec, s[4:5]
	s_cbranch_execz .LBB124_929
; %bb.924:
	v_cmp_eq_u32_e32 vcc, 38, v19
	s_and_saveexec_b64 s[18:19], vcc
	s_cbranch_execz .LBB124_928
; %bb.925:
	v_cmp_ne_u32_e32 vcc, 38, v4
	s_xor_b64 s[16:17], s[10:11], -1
	s_and_b64 s[16:17], s[16:17], vcc
	s_and_saveexec_b64 s[24:25], s[16:17]
	s_cbranch_execz .LBB124_927
; %bb.926:
	v_ashrrev_i32_e32 v5, 31, v4
	v_lshlrev_b64 v[10:11], 2, v[4:5]
	v_add_co_u32_e32 v10, vcc, v8, v10
	v_addc_co_u32_e32 v11, vcc, v9, v11, vcc
	global_load_dword v5, v[10:11], off
	global_load_dword v12, v[8:9], off offset:152
	s_waitcnt vmcnt(1)
	global_store_dword v[8:9], v5, off offset:152
	s_waitcnt vmcnt(1)
	global_store_dword v[10:11], v12, off
.LBB124_927:
	s_or_b64 exec, exec, s[24:25]
	v_mov_b32_e32 v19, v4
	v_mov_b32_e32 v18, v4
.LBB124_928:
	s_or_b64 exec, exec, s[18:19]
.LBB124_929:
	s_andn2_saveexec_b64 s[4:5], s[4:5]
	s_cbranch_execz .LBB124_931
; %bb.930:
	v_mov_b32_e32 v11, s49
	buffer_load_dword v4, v11, s[0:3], 0 offen
	buffer_load_dword v5, v11, s[0:3], 0 offen offset:4
	buffer_load_dword v10, v11, s[0:3], 0 offen offset:8
	s_nop 0
	buffer_load_dword v11, v11, s[0:3], 0 offen offset:12
	v_mov_b32_e32 v19, 38
	s_waitcnt vmcnt(0)
	ds_write2_b64 v16, v[4:5], v[10:11] offset0:78 offset1:79
	v_mov_b32_e32 v11, s47
	buffer_load_dword v4, v11, s[0:3], 0 offen
	buffer_load_dword v5, v11, s[0:3], 0 offen offset:4
	buffer_load_dword v10, v11, s[0:3], 0 offen offset:8
	s_nop 0
	buffer_load_dword v11, v11, s[0:3], 0 offen offset:12
	s_waitcnt vmcnt(0)
	ds_write2_b64 v16, v[4:5], v[10:11] offset0:80 offset1:81
	v_mov_b32_e32 v11, s46
	buffer_load_dword v4, v11, s[0:3], 0 offen
	buffer_load_dword v5, v11, s[0:3], 0 offen offset:4
	buffer_load_dword v10, v11, s[0:3], 0 offen offset:8
	s_nop 0
	buffer_load_dword v11, v11, s[0:3], 0 offen offset:12
	;; [unrolled: 8-line block ×23, first 2 shown]
	s_waitcnt vmcnt(0)
	ds_write2_b64 v16, v[4:5], v[10:11] offset0:124 offset1:125
.LBB124_931:
	s_or_b64 exec, exec, s[4:5]
	v_cmp_lt_i32_e32 vcc, 38, v19
	s_waitcnt vmcnt(0) lgkmcnt(0)
	s_barrier
	s_and_saveexec_b64 s[4:5], vcc
	s_cbranch_execz .LBB124_933
; %bb.932:
	buffer_load_dword v4, off, s[0:3], 0 offset:608
	buffer_load_dword v5, off, s[0:3], 0 offset:612
	;; [unrolled: 1-line block ×16, first 2 shown]
	s_waitcnt vmcnt(12)
	v_mul_f64 v[30:31], v[2:3], v[10:11]
	v_fma_f64 v[30:31], v[0:1], v[4:5], -v[30:31]
	v_mul_f64 v[0:1], v[0:1], v[10:11]
	v_fma_f64 v[4:5], v[2:3], v[4:5], v[0:1]
	buffer_store_dword v30, off, s[0:3], 0 offset:608
	buffer_store_dword v31, off, s[0:3], 0 offset:612
	buffer_store_dword v4, off, s[0:3], 0 offset:616
	buffer_store_dword v5, off, s[0:3], 0 offset:620
	ds_read2_b64 v[0:3], v16 offset0:78 offset1:79
	s_waitcnt lgkmcnt(0)
	v_mul_f64 v[10:11], v[2:3], v[4:5]
	v_fma_f64 v[10:11], v[0:1], v[30:31], -v[10:11]
	v_mul_f64 v[0:1], v[0:1], v[4:5]
	v_fma_f64 v[0:1], v[2:3], v[30:31], v[0:1]
	s_waitcnt vmcnt(14)
	v_add_f64 v[2:3], v[12:13], -v[10:11]
	s_waitcnt vmcnt(12)
	v_add_f64 v[0:1], v[20:21], -v[0:1]
	buffer_store_dword v2, off, s[0:3], 0 offset:624
	buffer_store_dword v3, off, s[0:3], 0 offset:628
	buffer_store_dword v0, off, s[0:3], 0 offset:632
	buffer_store_dword v1, off, s[0:3], 0 offset:636
	ds_read2_b64 v[0:3], v16 offset0:80 offset1:81
	s_waitcnt lgkmcnt(0)
	v_mul_f64 v[10:11], v[2:3], v[4:5]
	v_fma_f64 v[10:11], v[0:1], v[30:31], -v[10:11]
	v_mul_f64 v[0:1], v[0:1], v[4:5]
	v_fma_f64 v[0:1], v[2:3], v[30:31], v[0:1]
	s_waitcnt vmcnt(14)
	v_add_f64 v[2:3], v[22:23], -v[10:11]
	s_waitcnt vmcnt(12)
	v_add_f64 v[0:1], v[24:25], -v[0:1]
	buffer_store_dword v2, off, s[0:3], 0 offset:640
	buffer_store_dword v3, off, s[0:3], 0 offset:644
	buffer_store_dword v0, off, s[0:3], 0 offset:648
	buffer_store_dword v1, off, s[0:3], 0 offset:652
	ds_read2_b64 v[0:3], v16 offset0:82 offset1:83
	s_waitcnt lgkmcnt(0)
	v_mul_f64 v[10:11], v[2:3], v[4:5]
	v_fma_f64 v[10:11], v[0:1], v[30:31], -v[10:11]
	v_mul_f64 v[0:1], v[0:1], v[4:5]
	v_fma_f64 v[0:1], v[2:3], v[30:31], v[0:1]
	s_waitcnt vmcnt(14)
	v_add_f64 v[2:3], v[26:27], -v[10:11]
	s_waitcnt vmcnt(12)
	v_add_f64 v[0:1], v[28:29], -v[0:1]
	buffer_store_dword v3, off, s[0:3], 0 offset:660
	buffer_store_dword v2, off, s[0:3], 0 offset:656
	buffer_store_dword v0, off, s[0:3], 0 offset:664
	buffer_store_dword v1, off, s[0:3], 0 offset:668
	ds_read2_b64 v[0:3], v16 offset0:84 offset1:85
	s_waitcnt lgkmcnt(0)
	v_mul_f64 v[10:11], v[2:3], v[4:5]
	v_fma_f64 v[10:11], v[0:1], v[30:31], -v[10:11]
	v_mul_f64 v[0:1], v[0:1], v[4:5]
	v_fma_f64 v[0:1], v[2:3], v[30:31], v[0:1]
	buffer_load_dword v2, off, s[0:3], 0 offset:672
	buffer_load_dword v3, off, s[0:3], 0 offset:676
	buffer_load_dword v12, off, s[0:3], 0 offset:680
	buffer_load_dword v13, off, s[0:3], 0 offset:684
	s_waitcnt vmcnt(2)
	v_add_f64 v[2:3], v[2:3], -v[10:11]
	s_waitcnt vmcnt(0)
	v_add_f64 v[0:1], v[12:13], -v[0:1]
	buffer_store_dword v3, off, s[0:3], 0 offset:676
	buffer_store_dword v2, off, s[0:3], 0 offset:672
	buffer_store_dword v1, off, s[0:3], 0 offset:684
	buffer_store_dword v0, off, s[0:3], 0 offset:680
	ds_read2_b64 v[0:3], v16 offset0:86 offset1:87
	s_waitcnt lgkmcnt(0)
	v_mul_f64 v[10:11], v[2:3], v[4:5]
	v_fma_f64 v[10:11], v[0:1], v[30:31], -v[10:11]
	v_mul_f64 v[0:1], v[0:1], v[4:5]
	v_fma_f64 v[0:1], v[2:3], v[30:31], v[0:1]
	buffer_load_dword v2, off, s[0:3], 0 offset:688
	buffer_load_dword v3, off, s[0:3], 0 offset:692
	buffer_load_dword v12, off, s[0:3], 0 offset:696
	buffer_load_dword v13, off, s[0:3], 0 offset:700
	s_waitcnt vmcnt(2)
	v_add_f64 v[2:3], v[2:3], -v[10:11]
	s_waitcnt vmcnt(0)
	v_add_f64 v[0:1], v[12:13], -v[0:1]
	;; [unrolled: 18-line block ×3, first 2 shown]
	buffer_store_dword v3, off, s[0:3], 0 offset:708
	buffer_store_dword v2, off, s[0:3], 0 offset:704
	;; [unrolled: 1-line block ×4, first 2 shown]
	ds_read2_b64 v[0:3], v16 offset0:90 offset1:91
	buffer_load_dword v4, off, s[0:3], 0 offset:608
	buffer_load_dword v5, off, s[0:3], 0 offset:612
	;; [unrolled: 1-line block ×4, first 2 shown]
	s_waitcnt vmcnt(0) lgkmcnt(0)
	v_mul_f64 v[12:13], v[2:3], v[10:11]
	v_fma_f64 v[12:13], v[0:1], v[4:5], -v[12:13]
	v_mul_f64 v[0:1], v[0:1], v[10:11]
	v_fma_f64 v[0:1], v[2:3], v[4:5], v[0:1]
	buffer_load_dword v3, off, s[0:3], 0 offset:724
	buffer_load_dword v2, off, s[0:3], 0 offset:720
	s_waitcnt vmcnt(0)
	v_add_f64 v[2:3], v[2:3], -v[12:13]
	buffer_load_dword v13, off, s[0:3], 0 offset:732
	buffer_load_dword v12, off, s[0:3], 0 offset:728
	s_waitcnt vmcnt(0)
	v_add_f64 v[0:1], v[12:13], -v[0:1]
	buffer_store_dword v3, off, s[0:3], 0 offset:724
	buffer_store_dword v2, off, s[0:3], 0 offset:720
	buffer_store_dword v1, off, s[0:3], 0 offset:732
	buffer_store_dword v0, off, s[0:3], 0 offset:728
	ds_read2_b64 v[0:3], v16 offset0:92 offset1:93
	s_waitcnt lgkmcnt(0)
	v_mul_f64 v[12:13], v[2:3], v[10:11]
	v_fma_f64 v[12:13], v[0:1], v[4:5], -v[12:13]
	v_mul_f64 v[0:1], v[0:1], v[10:11]
	v_fma_f64 v[0:1], v[2:3], v[4:5], v[0:1]
	buffer_load_dword v2, off, s[0:3], 0 offset:736
	buffer_load_dword v3, off, s[0:3], 0 offset:740
	buffer_load_dword v20, off, s[0:3], 0 offset:744
	buffer_load_dword v21, off, s[0:3], 0 offset:748
	s_waitcnt vmcnt(2)
	v_add_f64 v[2:3], v[2:3], -v[12:13]
	s_waitcnt vmcnt(0)
	v_add_f64 v[0:1], v[20:21], -v[0:1]
	buffer_store_dword v3, off, s[0:3], 0 offset:740
	buffer_store_dword v2, off, s[0:3], 0 offset:736
	buffer_store_dword v1, off, s[0:3], 0 offset:748
	buffer_store_dword v0, off, s[0:3], 0 offset:744
	ds_read2_b64 v[0:3], v16 offset0:94 offset1:95
	s_waitcnt lgkmcnt(0)
	v_mul_f64 v[12:13], v[2:3], v[10:11]
	v_fma_f64 v[12:13], v[0:1], v[4:5], -v[12:13]
	v_mul_f64 v[0:1], v[0:1], v[10:11]
	v_fma_f64 v[0:1], v[2:3], v[4:5], v[0:1]
	buffer_load_dword v2, off, s[0:3], 0 offset:752
	buffer_load_dword v3, off, s[0:3], 0 offset:756
	buffer_load_dword v20, off, s[0:3], 0 offset:760
	buffer_load_dword v21, off, s[0:3], 0 offset:764
	s_waitcnt vmcnt(2)
	v_add_f64 v[2:3], v[2:3], -v[12:13]
	;; [unrolled: 18-line block ×5, first 2 shown]
	s_waitcnt vmcnt(0)
	v_add_f64 v[0:1], v[4:5], -v[0:1]
	buffer_store_dword v3, off, s[0:3], 0 offset:804
	buffer_store_dword v2, off, s[0:3], 0 offset:800
	;; [unrolled: 1-line block ×4, first 2 shown]
	ds_read2_b64 v[0:3], v16 offset0:102 offset1:103
	buffer_load_dword v4, off, s[0:3], 0 offset:608
	buffer_load_dword v5, off, s[0:3], 0 offset:612
	;; [unrolled: 1-line block ×4, first 2 shown]
	s_waitcnt vmcnt(0) lgkmcnt(0)
	v_mul_f64 v[12:13], v[2:3], v[10:11]
	v_fma_f64 v[12:13], v[0:1], v[4:5], -v[12:13]
	v_mul_f64 v[0:1], v[0:1], v[10:11]
	v_fma_f64 v[0:1], v[2:3], v[4:5], v[0:1]
	buffer_load_dword v3, off, s[0:3], 0 offset:820
	buffer_load_dword v2, off, s[0:3], 0 offset:816
	s_waitcnt vmcnt(0)
	v_add_f64 v[2:3], v[2:3], -v[12:13]
	buffer_load_dword v13, off, s[0:3], 0 offset:828
	buffer_load_dword v12, off, s[0:3], 0 offset:824
	s_waitcnt vmcnt(0)
	v_add_f64 v[0:1], v[12:13], -v[0:1]
	buffer_store_dword v3, off, s[0:3], 0 offset:820
	buffer_store_dword v2, off, s[0:3], 0 offset:816
	buffer_store_dword v1, off, s[0:3], 0 offset:828
	buffer_store_dword v0, off, s[0:3], 0 offset:824
	ds_read2_b64 v[0:3], v16 offset0:104 offset1:105
	s_waitcnt lgkmcnt(0)
	v_mul_f64 v[12:13], v[2:3], v[10:11]
	v_fma_f64 v[12:13], v[0:1], v[4:5], -v[12:13]
	v_mul_f64 v[0:1], v[0:1], v[10:11]
	v_fma_f64 v[0:1], v[2:3], v[4:5], v[0:1]
	buffer_load_dword v2, off, s[0:3], 0 offset:832
	buffer_load_dword v3, off, s[0:3], 0 offset:836
	buffer_load_dword v20, off, s[0:3], 0 offset:840
	buffer_load_dword v21, off, s[0:3], 0 offset:844
	s_waitcnt vmcnt(2)
	v_add_f64 v[2:3], v[2:3], -v[12:13]
	s_waitcnt vmcnt(0)
	v_add_f64 v[0:1], v[20:21], -v[0:1]
	buffer_store_dword v3, off, s[0:3], 0 offset:836
	buffer_store_dword v2, off, s[0:3], 0 offset:832
	buffer_store_dword v1, off, s[0:3], 0 offset:844
	buffer_store_dword v0, off, s[0:3], 0 offset:840
	ds_read2_b64 v[0:3], v16 offset0:106 offset1:107
	s_waitcnt lgkmcnt(0)
	v_mul_f64 v[12:13], v[2:3], v[10:11]
	v_fma_f64 v[12:13], v[0:1], v[4:5], -v[12:13]
	v_mul_f64 v[0:1], v[0:1], v[10:11]
	v_fma_f64 v[0:1], v[2:3], v[4:5], v[0:1]
	buffer_load_dword v2, off, s[0:3], 0 offset:848
	buffer_load_dword v3, off, s[0:3], 0 offset:852
	buffer_load_dword v20, off, s[0:3], 0 offset:856
	buffer_load_dword v21, off, s[0:3], 0 offset:860
	s_waitcnt vmcnt(2)
	v_add_f64 v[2:3], v[2:3], -v[12:13]
	;; [unrolled: 18-line block ×5, first 2 shown]
	s_waitcnt vmcnt(0)
	v_add_f64 v[0:1], v[4:5], -v[0:1]
	buffer_store_dword v3, off, s[0:3], 0 offset:900
	buffer_store_dword v2, off, s[0:3], 0 offset:896
	buffer_store_dword v1, off, s[0:3], 0 offset:908
	buffer_store_dword v0, off, s[0:3], 0 offset:904
	ds_read2_b64 v[0:3], v16 offset0:114 offset1:115
	buffer_load_dword v4, off, s[0:3], 0 offset:608
	buffer_load_dword v5, off, s[0:3], 0 offset:612
	;; [unrolled: 1-line block ×4, first 2 shown]
	s_waitcnt vmcnt(0) lgkmcnt(0)
	v_mul_f64 v[12:13], v[2:3], v[10:11]
	v_fma_f64 v[12:13], v[0:1], v[4:5], -v[12:13]
	v_mul_f64 v[0:1], v[0:1], v[10:11]
	v_fma_f64 v[0:1], v[2:3], v[4:5], v[0:1]
	buffer_load_dword v3, off, s[0:3], 0 offset:916
	buffer_load_dword v2, off, s[0:3], 0 offset:912
	s_waitcnt vmcnt(0)
	v_add_f64 v[2:3], v[2:3], -v[12:13]
	buffer_load_dword v13, off, s[0:3], 0 offset:924
	buffer_load_dword v12, off, s[0:3], 0 offset:920
	s_waitcnt vmcnt(0)
	v_add_f64 v[0:1], v[12:13], -v[0:1]
	buffer_store_dword v3, off, s[0:3], 0 offset:916
	buffer_store_dword v2, off, s[0:3], 0 offset:912
	buffer_store_dword v1, off, s[0:3], 0 offset:924
	buffer_store_dword v0, off, s[0:3], 0 offset:920
	ds_read2_b64 v[0:3], v16 offset0:116 offset1:117
	s_waitcnt lgkmcnt(0)
	v_mul_f64 v[12:13], v[2:3], v[10:11]
	v_fma_f64 v[12:13], v[0:1], v[4:5], -v[12:13]
	v_mul_f64 v[0:1], v[0:1], v[10:11]
	v_fma_f64 v[0:1], v[2:3], v[4:5], v[0:1]
	buffer_load_dword v2, off, s[0:3], 0 offset:928
	buffer_load_dword v3, off, s[0:3], 0 offset:932
	buffer_load_dword v20, off, s[0:3], 0 offset:936
	buffer_load_dword v21, off, s[0:3], 0 offset:940
	s_waitcnt vmcnt(2)
	v_add_f64 v[2:3], v[2:3], -v[12:13]
	s_waitcnt vmcnt(0)
	v_add_f64 v[0:1], v[20:21], -v[0:1]
	buffer_store_dword v3, off, s[0:3], 0 offset:932
	buffer_store_dword v2, off, s[0:3], 0 offset:928
	buffer_store_dword v1, off, s[0:3], 0 offset:940
	buffer_store_dword v0, off, s[0:3], 0 offset:936
	ds_read2_b64 v[0:3], v16 offset0:118 offset1:119
	s_waitcnt lgkmcnt(0)
	v_mul_f64 v[12:13], v[2:3], v[10:11]
	v_fma_f64 v[12:13], v[0:1], v[4:5], -v[12:13]
	v_mul_f64 v[0:1], v[0:1], v[10:11]
	v_fma_f64 v[0:1], v[2:3], v[4:5], v[0:1]
	buffer_load_dword v2, off, s[0:3], 0 offset:944
	buffer_load_dword v3, off, s[0:3], 0 offset:948
	buffer_load_dword v20, off, s[0:3], 0 offset:952
	buffer_load_dword v21, off, s[0:3], 0 offset:956
	s_waitcnt vmcnt(2)
	v_add_f64 v[2:3], v[2:3], -v[12:13]
	s_waitcnt vmcnt(0)
	v_add_f64 v[0:1], v[20:21], -v[0:1]
	buffer_store_dword v3, off, s[0:3], 0 offset:948
	buffer_store_dword v2, off, s[0:3], 0 offset:944
	buffer_store_dword v1, off, s[0:3], 0 offset:956
	buffer_store_dword v0, off, s[0:3], 0 offset:952
	ds_read2_b64 v[0:3], v16 offset0:120 offset1:121
	s_waitcnt lgkmcnt(0)
	v_mul_f64 v[12:13], v[2:3], v[10:11]
	v_fma_f64 v[12:13], v[0:1], v[4:5], -v[12:13]
	v_mul_f64 v[0:1], v[0:1], v[10:11]
	v_fma_f64 v[0:1], v[2:3], v[4:5], v[0:1]
	buffer_load_dword v2, off, s[0:3], 0 offset:960
	buffer_load_dword v3, off, s[0:3], 0 offset:964
	buffer_load_dword v20, off, s[0:3], 0 offset:968
	buffer_load_dword v21, off, s[0:3], 0 offset:972
	s_waitcnt vmcnt(2)
	v_add_f64 v[2:3], v[2:3], -v[12:13]
	s_waitcnt vmcnt(0)
	v_add_f64 v[0:1], v[20:21], -v[0:1]
	buffer_store_dword v3, off, s[0:3], 0 offset:964
	buffer_store_dword v2, off, s[0:3], 0 offset:960
	buffer_store_dword v1, off, s[0:3], 0 offset:972
	buffer_store_dword v0, off, s[0:3], 0 offset:968
	ds_read2_b64 v[0:3], v16 offset0:122 offset1:123
	s_waitcnt lgkmcnt(0)
	v_mul_f64 v[12:13], v[2:3], v[10:11]
	v_fma_f64 v[12:13], v[0:1], v[4:5], -v[12:13]
	v_mul_f64 v[0:1], v[0:1], v[10:11]
	v_fma_f64 v[0:1], v[2:3], v[4:5], v[0:1]
	buffer_load_dword v2, off, s[0:3], 0 offset:976
	buffer_load_dword v3, off, s[0:3], 0 offset:980
	buffer_load_dword v20, off, s[0:3], 0 offset:984
	buffer_load_dword v21, off, s[0:3], 0 offset:988
	s_waitcnt vmcnt(2)
	v_add_f64 v[2:3], v[2:3], -v[12:13]
	s_waitcnt vmcnt(0)
	v_add_f64 v[0:1], v[20:21], -v[0:1]
	buffer_store_dword v3, off, s[0:3], 0 offset:980
	buffer_store_dword v2, off, s[0:3], 0 offset:976
	buffer_store_dword v1, off, s[0:3], 0 offset:988
	buffer_store_dword v0, off, s[0:3], 0 offset:984
	ds_read2_b64 v[0:3], v16 offset0:124 offset1:125
	s_waitcnt lgkmcnt(0)
	v_mul_f64 v[12:13], v[2:3], v[10:11]
	v_fma_f64 v[12:13], v[0:1], v[4:5], -v[12:13]
	v_mul_f64 v[0:1], v[0:1], v[10:11]
	v_fma_f64 v[0:1], v[2:3], v[4:5], v[0:1]
	buffer_load_dword v2, off, s[0:3], 0 offset:992
	buffer_load_dword v3, off, s[0:3], 0 offset:996
	buffer_load_dword v4, off, s[0:3], 0 offset:1000
	buffer_load_dword v5, off, s[0:3], 0 offset:1004
	s_waitcnt vmcnt(2)
	v_add_f64 v[2:3], v[2:3], -v[12:13]
	s_waitcnt vmcnt(0)
	v_add_f64 v[0:1], v[4:5], -v[0:1]
	buffer_store_dword v3, off, s[0:3], 0 offset:996
	buffer_store_dword v2, off, s[0:3], 0 offset:992
	;; [unrolled: 1-line block ×4, first 2 shown]
.LBB124_933:
	s_or_b64 exec, exec, s[4:5]
	v_mov_b32_e32 v3, s49
	s_waitcnt vmcnt(0)
	s_barrier
	buffer_load_dword v0, v3, s[0:3], 0 offen
	buffer_load_dword v1, v3, s[0:3], 0 offen offset:4
	buffer_load_dword v2, v3, s[0:3], 0 offen offset:8
	s_nop 0
	buffer_load_dword v3, v3, s[0:3], 0 offen offset:12
	v_lshl_add_u32 v4, v19, 4, v16
	s_cmp_lt_i32 s65, 41
	s_waitcnt vmcnt(0)
	ds_write2_b64 v4, v[0:1], v[2:3] offset1:1
	s_waitcnt lgkmcnt(0)
	s_barrier
	ds_read2_b64 v[0:3], v16 offset0:78 offset1:79
	v_mov_b32_e32 v4, 39
	s_cbranch_scc1 .LBB124_936
; %bb.934:
	v_add_u32_e32 v5, 0x280, v16
	s_mov_b32 s16, 40
	v_mov_b32_e32 v4, 39
.LBB124_935:                            ; =>This Inner Loop Header: Depth=1
	s_waitcnt lgkmcnt(0)
	v_cmp_gt_f64_e32 vcc, 0, v[2:3]
	v_cmp_gt_f64_e64 s[4:5], 0, v[0:1]
	ds_read2_b64 v[10:13], v5 offset1:1
	v_xor_b32_e32 v21, 0x80000000, v1
	v_xor_b32_e32 v23, 0x80000000, v3
	v_mov_b32_e32 v20, v0
	v_mov_b32_e32 v22, v2
	s_waitcnt lgkmcnt(0)
	v_xor_b32_e32 v25, 0x80000000, v13
	v_cndmask_b32_e32 v23, v3, v23, vcc
	v_cndmask_b32_e64 v21, v1, v21, s[4:5]
	v_cmp_gt_f64_e32 vcc, 0, v[12:13]
	v_cmp_gt_f64_e64 s[4:5], 0, v[10:11]
	v_add_f64 v[20:21], v[20:21], v[22:23]
	v_xor_b32_e32 v23, 0x80000000, v11
	v_mov_b32_e32 v22, v10
	v_mov_b32_e32 v24, v12
	v_add_u32_e32 v5, 16, v5
	v_cndmask_b32_e32 v25, v13, v25, vcc
	v_cndmask_b32_e64 v23, v11, v23, s[4:5]
	v_add_f64 v[22:23], v[22:23], v[24:25]
	v_mov_b32_e32 v24, s16
	s_add_i32 s16, s16, 1
	s_cmp_lg_u32 s65, s16
	v_cmp_lt_f64_e32 vcc, v[20:21], v[22:23]
	v_cndmask_b32_e32 v1, v1, v11, vcc
	v_cndmask_b32_e32 v0, v0, v10, vcc
	;; [unrolled: 1-line block ×5, first 2 shown]
	s_cbranch_scc1 .LBB124_935
.LBB124_936:
	s_waitcnt lgkmcnt(0)
	v_cmp_eq_f64_e32 vcc, 0, v[0:1]
	v_cmp_eq_f64_e64 s[4:5], 0, v[2:3]
	s_and_b64 s[4:5], vcc, s[4:5]
	s_and_saveexec_b64 s[16:17], s[4:5]
	s_xor_b64 s[4:5], exec, s[16:17]
; %bb.937:
	v_cmp_ne_u32_e32 vcc, 0, v17
	v_cndmask_b32_e32 v17, 40, v17, vcc
; %bb.938:
	s_andn2_saveexec_b64 s[4:5], s[4:5]
	s_cbranch_execz .LBB124_944
; %bb.939:
	v_cmp_ngt_f64_e64 s[16:17], |v[0:1]|, |v[2:3]|
	s_and_saveexec_b64 s[18:19], s[16:17]
	s_xor_b64 s[18:19], exec, s[18:19]
	s_cbranch_execz .LBB124_941
; %bb.940:
	v_div_scale_f64 v[10:11], s[16:17], v[2:3], v[2:3], v[0:1]
	v_rcp_f64_e32 v[12:13], v[10:11]
	v_fma_f64 v[20:21], -v[10:11], v[12:13], 1.0
	v_fma_f64 v[12:13], v[12:13], v[20:21], v[12:13]
	v_div_scale_f64 v[20:21], vcc, v[0:1], v[2:3], v[0:1]
	v_fma_f64 v[22:23], -v[10:11], v[12:13], 1.0
	v_fma_f64 v[12:13], v[12:13], v[22:23], v[12:13]
	v_mul_f64 v[22:23], v[20:21], v[12:13]
	v_fma_f64 v[10:11], -v[10:11], v[22:23], v[20:21]
	v_div_fmas_f64 v[10:11], v[10:11], v[12:13], v[22:23]
	v_div_fixup_f64 v[10:11], v[10:11], v[2:3], v[0:1]
	v_fma_f64 v[0:1], v[0:1], v[10:11], v[2:3]
	v_div_scale_f64 v[2:3], s[16:17], v[0:1], v[0:1], 1.0
	v_div_scale_f64 v[22:23], vcc, 1.0, v[0:1], 1.0
	v_rcp_f64_e32 v[12:13], v[2:3]
	v_fma_f64 v[20:21], -v[2:3], v[12:13], 1.0
	v_fma_f64 v[12:13], v[12:13], v[20:21], v[12:13]
	v_fma_f64 v[20:21], -v[2:3], v[12:13], 1.0
	v_fma_f64 v[12:13], v[12:13], v[20:21], v[12:13]
	v_mul_f64 v[20:21], v[22:23], v[12:13]
	v_fma_f64 v[2:3], -v[2:3], v[20:21], v[22:23]
	v_div_fmas_f64 v[2:3], v[2:3], v[12:13], v[20:21]
	v_div_fixup_f64 v[2:3], v[2:3], v[0:1], 1.0
	v_mul_f64 v[0:1], v[10:11], v[2:3]
	v_xor_b32_e32 v3, 0x80000000, v3
.LBB124_941:
	s_andn2_saveexec_b64 s[18:19], s[18:19]
	s_cbranch_execz .LBB124_943
; %bb.942:
	v_div_scale_f64 v[10:11], s[16:17], v[0:1], v[0:1], v[2:3]
	v_rcp_f64_e32 v[12:13], v[10:11]
	v_fma_f64 v[20:21], -v[10:11], v[12:13], 1.0
	v_fma_f64 v[12:13], v[12:13], v[20:21], v[12:13]
	v_div_scale_f64 v[20:21], vcc, v[2:3], v[0:1], v[2:3]
	v_fma_f64 v[22:23], -v[10:11], v[12:13], 1.0
	v_fma_f64 v[12:13], v[12:13], v[22:23], v[12:13]
	v_mul_f64 v[22:23], v[20:21], v[12:13]
	v_fma_f64 v[10:11], -v[10:11], v[22:23], v[20:21]
	v_div_fmas_f64 v[10:11], v[10:11], v[12:13], v[22:23]
	v_div_fixup_f64 v[10:11], v[10:11], v[0:1], v[2:3]
	v_fma_f64 v[0:1], v[2:3], v[10:11], v[0:1]
	v_div_scale_f64 v[2:3], s[16:17], v[0:1], v[0:1], 1.0
	v_div_scale_f64 v[22:23], vcc, 1.0, v[0:1], 1.0
	v_rcp_f64_e32 v[12:13], v[2:3]
	v_fma_f64 v[20:21], -v[2:3], v[12:13], 1.0
	v_fma_f64 v[12:13], v[12:13], v[20:21], v[12:13]
	v_fma_f64 v[20:21], -v[2:3], v[12:13], 1.0
	v_fma_f64 v[12:13], v[12:13], v[20:21], v[12:13]
	v_mul_f64 v[20:21], v[22:23], v[12:13]
	v_fma_f64 v[2:3], -v[2:3], v[20:21], v[22:23]
	v_div_fmas_f64 v[2:3], v[2:3], v[12:13], v[20:21]
	v_div_fixup_f64 v[0:1], v[2:3], v[0:1], 1.0
	v_mul_f64 v[2:3], v[10:11], -v[0:1]
.LBB124_943:
	s_or_b64 exec, exec, s[18:19]
.LBB124_944:
	s_or_b64 exec, exec, s[4:5]
	v_cmp_ne_u32_e32 vcc, v19, v4
	s_and_saveexec_b64 s[4:5], vcc
	s_xor_b64 s[4:5], exec, s[4:5]
	s_cbranch_execz .LBB124_950
; %bb.945:
	v_cmp_eq_u32_e32 vcc, 39, v19
	s_and_saveexec_b64 s[18:19], vcc
	s_cbranch_execz .LBB124_949
; %bb.946:
	v_cmp_ne_u32_e32 vcc, 39, v4
	s_xor_b64 s[16:17], s[10:11], -1
	s_and_b64 s[16:17], s[16:17], vcc
	s_and_saveexec_b64 s[24:25], s[16:17]
	s_cbranch_execz .LBB124_948
; %bb.947:
	v_ashrrev_i32_e32 v5, 31, v4
	v_lshlrev_b64 v[10:11], 2, v[4:5]
	v_add_co_u32_e32 v10, vcc, v8, v10
	v_addc_co_u32_e32 v11, vcc, v9, v11, vcc
	global_load_dword v5, v[10:11], off
	global_load_dword v12, v[8:9], off offset:156
	s_waitcnt vmcnt(1)
	global_store_dword v[8:9], v5, off offset:156
	s_waitcnt vmcnt(1)
	global_store_dword v[10:11], v12, off
.LBB124_948:
	s_or_b64 exec, exec, s[24:25]
	v_mov_b32_e32 v19, v4
	v_mov_b32_e32 v18, v4
.LBB124_949:
	s_or_b64 exec, exec, s[18:19]
.LBB124_950:
	s_andn2_saveexec_b64 s[4:5], s[4:5]
	s_cbranch_execz .LBB124_952
; %bb.951:
	v_mov_b32_e32 v11, s47
	buffer_load_dword v4, v11, s[0:3], 0 offen
	buffer_load_dword v5, v11, s[0:3], 0 offen offset:4
	buffer_load_dword v10, v11, s[0:3], 0 offen offset:8
	s_nop 0
	buffer_load_dword v11, v11, s[0:3], 0 offen offset:12
	v_mov_b32_e32 v19, 39
	s_waitcnt vmcnt(0)
	ds_write2_b64 v16, v[4:5], v[10:11] offset0:80 offset1:81
	v_mov_b32_e32 v11, s46
	buffer_load_dword v4, v11, s[0:3], 0 offen
	buffer_load_dword v5, v11, s[0:3], 0 offen offset:4
	buffer_load_dword v10, v11, s[0:3], 0 offen offset:8
	s_nop 0
	buffer_load_dword v11, v11, s[0:3], 0 offen offset:12
	s_waitcnt vmcnt(0)
	ds_write2_b64 v16, v[4:5], v[10:11] offset0:82 offset1:83
	v_mov_b32_e32 v11, s45
	buffer_load_dword v4, v11, s[0:3], 0 offen
	buffer_load_dword v5, v11, s[0:3], 0 offen offset:4
	buffer_load_dword v10, v11, s[0:3], 0 offen offset:8
	s_nop 0
	buffer_load_dword v11, v11, s[0:3], 0 offen offset:12
	;; [unrolled: 8-line block ×22, first 2 shown]
	s_waitcnt vmcnt(0)
	ds_write2_b64 v16, v[4:5], v[10:11] offset0:124 offset1:125
.LBB124_952:
	s_or_b64 exec, exec, s[4:5]
	v_cmp_lt_i32_e32 vcc, 39, v19
	s_waitcnt vmcnt(0) lgkmcnt(0)
	s_barrier
	s_and_saveexec_b64 s[4:5], vcc
	s_cbranch_execz .LBB124_954
; %bb.953:
	buffer_load_dword v4, off, s[0:3], 0 offset:624
	buffer_load_dword v5, off, s[0:3], 0 offset:628
	;; [unrolled: 1-line block ×16, first 2 shown]
	s_waitcnt vmcnt(12)
	v_mul_f64 v[30:31], v[2:3], v[10:11]
	v_fma_f64 v[30:31], v[0:1], v[4:5], -v[30:31]
	v_mul_f64 v[0:1], v[0:1], v[10:11]
	v_fma_f64 v[4:5], v[2:3], v[4:5], v[0:1]
	buffer_store_dword v30, off, s[0:3], 0 offset:624
	buffer_store_dword v31, off, s[0:3], 0 offset:628
	buffer_store_dword v4, off, s[0:3], 0 offset:632
	buffer_store_dword v5, off, s[0:3], 0 offset:636
	ds_read2_b64 v[0:3], v16 offset0:80 offset1:81
	s_waitcnt lgkmcnt(0)
	v_mul_f64 v[10:11], v[2:3], v[4:5]
	v_fma_f64 v[10:11], v[0:1], v[30:31], -v[10:11]
	v_mul_f64 v[0:1], v[0:1], v[4:5]
	v_fma_f64 v[0:1], v[2:3], v[30:31], v[0:1]
	s_waitcnt vmcnt(14)
	v_add_f64 v[2:3], v[12:13], -v[10:11]
	s_waitcnt vmcnt(12)
	v_add_f64 v[0:1], v[20:21], -v[0:1]
	buffer_store_dword v2, off, s[0:3], 0 offset:640
	buffer_store_dword v3, off, s[0:3], 0 offset:644
	buffer_store_dword v0, off, s[0:3], 0 offset:648
	buffer_store_dword v1, off, s[0:3], 0 offset:652
	ds_read2_b64 v[0:3], v16 offset0:82 offset1:83
	s_waitcnt lgkmcnt(0)
	v_mul_f64 v[10:11], v[2:3], v[4:5]
	v_fma_f64 v[10:11], v[0:1], v[30:31], -v[10:11]
	v_mul_f64 v[0:1], v[0:1], v[4:5]
	v_fma_f64 v[0:1], v[2:3], v[30:31], v[0:1]
	s_waitcnt vmcnt(14)
	v_add_f64 v[2:3], v[22:23], -v[10:11]
	s_waitcnt vmcnt(12)
	v_add_f64 v[0:1], v[24:25], -v[0:1]
	;; [unrolled: 14-line block ×3, first 2 shown]
	buffer_store_dword v3, off, s[0:3], 0 offset:676
	buffer_store_dword v2, off, s[0:3], 0 offset:672
	buffer_store_dword v0, off, s[0:3], 0 offset:680
	buffer_store_dword v1, off, s[0:3], 0 offset:684
	ds_read2_b64 v[0:3], v16 offset0:86 offset1:87
	s_waitcnt lgkmcnt(0)
	v_mul_f64 v[10:11], v[2:3], v[4:5]
	v_fma_f64 v[10:11], v[0:1], v[30:31], -v[10:11]
	v_mul_f64 v[0:1], v[0:1], v[4:5]
	v_fma_f64 v[0:1], v[2:3], v[30:31], v[0:1]
	buffer_load_dword v2, off, s[0:3], 0 offset:688
	buffer_load_dword v3, off, s[0:3], 0 offset:692
	buffer_load_dword v12, off, s[0:3], 0 offset:696
	buffer_load_dword v13, off, s[0:3], 0 offset:700
	s_waitcnt vmcnt(2)
	v_add_f64 v[2:3], v[2:3], -v[10:11]
	s_waitcnt vmcnt(0)
	v_add_f64 v[0:1], v[12:13], -v[0:1]
	buffer_store_dword v3, off, s[0:3], 0 offset:692
	buffer_store_dword v2, off, s[0:3], 0 offset:688
	buffer_store_dword v1, off, s[0:3], 0 offset:700
	buffer_store_dword v0, off, s[0:3], 0 offset:696
	ds_read2_b64 v[0:3], v16 offset0:88 offset1:89
	s_waitcnt lgkmcnt(0)
	v_mul_f64 v[10:11], v[2:3], v[4:5]
	v_fma_f64 v[10:11], v[0:1], v[30:31], -v[10:11]
	v_mul_f64 v[0:1], v[0:1], v[4:5]
	v_fma_f64 v[0:1], v[2:3], v[30:31], v[0:1]
	buffer_load_dword v2, off, s[0:3], 0 offset:704
	buffer_load_dword v3, off, s[0:3], 0 offset:708
	buffer_load_dword v12, off, s[0:3], 0 offset:712
	buffer_load_dword v13, off, s[0:3], 0 offset:716
	s_waitcnt vmcnt(2)
	v_add_f64 v[2:3], v[2:3], -v[10:11]
	s_waitcnt vmcnt(0)
	v_add_f64 v[0:1], v[12:13], -v[0:1]
	;; [unrolled: 18-line block ×3, first 2 shown]
	buffer_store_dword v3, off, s[0:3], 0 offset:724
	buffer_store_dword v2, off, s[0:3], 0 offset:720
	;; [unrolled: 1-line block ×4, first 2 shown]
	ds_read2_b64 v[0:3], v16 offset0:92 offset1:93
	buffer_load_dword v4, off, s[0:3], 0 offset:624
	buffer_load_dword v5, off, s[0:3], 0 offset:628
	;; [unrolled: 1-line block ×4, first 2 shown]
	s_waitcnt vmcnt(0) lgkmcnt(0)
	v_mul_f64 v[12:13], v[2:3], v[10:11]
	v_fma_f64 v[12:13], v[0:1], v[4:5], -v[12:13]
	v_mul_f64 v[0:1], v[0:1], v[10:11]
	v_fma_f64 v[0:1], v[2:3], v[4:5], v[0:1]
	buffer_load_dword v3, off, s[0:3], 0 offset:740
	buffer_load_dword v2, off, s[0:3], 0 offset:736
	s_waitcnt vmcnt(0)
	v_add_f64 v[2:3], v[2:3], -v[12:13]
	buffer_load_dword v13, off, s[0:3], 0 offset:748
	buffer_load_dword v12, off, s[0:3], 0 offset:744
	s_waitcnt vmcnt(0)
	v_add_f64 v[0:1], v[12:13], -v[0:1]
	buffer_store_dword v3, off, s[0:3], 0 offset:740
	buffer_store_dword v2, off, s[0:3], 0 offset:736
	buffer_store_dword v1, off, s[0:3], 0 offset:748
	buffer_store_dword v0, off, s[0:3], 0 offset:744
	ds_read2_b64 v[0:3], v16 offset0:94 offset1:95
	s_waitcnt lgkmcnt(0)
	v_mul_f64 v[12:13], v[2:3], v[10:11]
	v_fma_f64 v[12:13], v[0:1], v[4:5], -v[12:13]
	v_mul_f64 v[0:1], v[0:1], v[10:11]
	v_fma_f64 v[0:1], v[2:3], v[4:5], v[0:1]
	buffer_load_dword v2, off, s[0:3], 0 offset:752
	buffer_load_dword v3, off, s[0:3], 0 offset:756
	buffer_load_dword v20, off, s[0:3], 0 offset:760
	buffer_load_dword v21, off, s[0:3], 0 offset:764
	s_waitcnt vmcnt(2)
	v_add_f64 v[2:3], v[2:3], -v[12:13]
	s_waitcnt vmcnt(0)
	v_add_f64 v[0:1], v[20:21], -v[0:1]
	buffer_store_dword v3, off, s[0:3], 0 offset:756
	buffer_store_dword v2, off, s[0:3], 0 offset:752
	buffer_store_dword v1, off, s[0:3], 0 offset:764
	buffer_store_dword v0, off, s[0:3], 0 offset:760
	ds_read2_b64 v[0:3], v16 offset0:96 offset1:97
	s_waitcnt lgkmcnt(0)
	v_mul_f64 v[12:13], v[2:3], v[10:11]
	v_fma_f64 v[12:13], v[0:1], v[4:5], -v[12:13]
	v_mul_f64 v[0:1], v[0:1], v[10:11]
	v_fma_f64 v[0:1], v[2:3], v[4:5], v[0:1]
	buffer_load_dword v2, off, s[0:3], 0 offset:768
	buffer_load_dword v3, off, s[0:3], 0 offset:772
	buffer_load_dword v20, off, s[0:3], 0 offset:776
	buffer_load_dword v21, off, s[0:3], 0 offset:780
	s_waitcnt vmcnt(2)
	v_add_f64 v[2:3], v[2:3], -v[12:13]
	;; [unrolled: 18-line block ×5, first 2 shown]
	s_waitcnt vmcnt(0)
	v_add_f64 v[0:1], v[4:5], -v[0:1]
	buffer_store_dword v3, off, s[0:3], 0 offset:820
	buffer_store_dword v2, off, s[0:3], 0 offset:816
	;; [unrolled: 1-line block ×4, first 2 shown]
	ds_read2_b64 v[0:3], v16 offset0:104 offset1:105
	buffer_load_dword v4, off, s[0:3], 0 offset:624
	buffer_load_dword v5, off, s[0:3], 0 offset:628
	;; [unrolled: 1-line block ×4, first 2 shown]
	s_waitcnt vmcnt(0) lgkmcnt(0)
	v_mul_f64 v[12:13], v[2:3], v[10:11]
	v_fma_f64 v[12:13], v[0:1], v[4:5], -v[12:13]
	v_mul_f64 v[0:1], v[0:1], v[10:11]
	v_fma_f64 v[0:1], v[2:3], v[4:5], v[0:1]
	buffer_load_dword v3, off, s[0:3], 0 offset:836
	buffer_load_dword v2, off, s[0:3], 0 offset:832
	s_waitcnt vmcnt(0)
	v_add_f64 v[2:3], v[2:3], -v[12:13]
	buffer_load_dword v13, off, s[0:3], 0 offset:844
	buffer_load_dword v12, off, s[0:3], 0 offset:840
	s_waitcnt vmcnt(0)
	v_add_f64 v[0:1], v[12:13], -v[0:1]
	buffer_store_dword v3, off, s[0:3], 0 offset:836
	buffer_store_dword v2, off, s[0:3], 0 offset:832
	buffer_store_dword v1, off, s[0:3], 0 offset:844
	buffer_store_dword v0, off, s[0:3], 0 offset:840
	ds_read2_b64 v[0:3], v16 offset0:106 offset1:107
	s_waitcnt lgkmcnt(0)
	v_mul_f64 v[12:13], v[2:3], v[10:11]
	v_fma_f64 v[12:13], v[0:1], v[4:5], -v[12:13]
	v_mul_f64 v[0:1], v[0:1], v[10:11]
	v_fma_f64 v[0:1], v[2:3], v[4:5], v[0:1]
	buffer_load_dword v2, off, s[0:3], 0 offset:848
	buffer_load_dword v3, off, s[0:3], 0 offset:852
	buffer_load_dword v20, off, s[0:3], 0 offset:856
	buffer_load_dword v21, off, s[0:3], 0 offset:860
	s_waitcnt vmcnt(2)
	v_add_f64 v[2:3], v[2:3], -v[12:13]
	s_waitcnt vmcnt(0)
	v_add_f64 v[0:1], v[20:21], -v[0:1]
	buffer_store_dword v3, off, s[0:3], 0 offset:852
	buffer_store_dword v2, off, s[0:3], 0 offset:848
	buffer_store_dword v1, off, s[0:3], 0 offset:860
	buffer_store_dword v0, off, s[0:3], 0 offset:856
	ds_read2_b64 v[0:3], v16 offset0:108 offset1:109
	s_waitcnt lgkmcnt(0)
	v_mul_f64 v[12:13], v[2:3], v[10:11]
	v_fma_f64 v[12:13], v[0:1], v[4:5], -v[12:13]
	v_mul_f64 v[0:1], v[0:1], v[10:11]
	v_fma_f64 v[0:1], v[2:3], v[4:5], v[0:1]
	buffer_load_dword v2, off, s[0:3], 0 offset:864
	buffer_load_dword v3, off, s[0:3], 0 offset:868
	buffer_load_dword v20, off, s[0:3], 0 offset:872
	buffer_load_dword v21, off, s[0:3], 0 offset:876
	s_waitcnt vmcnt(2)
	v_add_f64 v[2:3], v[2:3], -v[12:13]
	;; [unrolled: 18-line block ×5, first 2 shown]
	s_waitcnt vmcnt(0)
	v_add_f64 v[0:1], v[4:5], -v[0:1]
	buffer_store_dword v3, off, s[0:3], 0 offset:916
	buffer_store_dword v2, off, s[0:3], 0 offset:912
	;; [unrolled: 1-line block ×4, first 2 shown]
	ds_read2_b64 v[0:3], v16 offset0:116 offset1:117
	buffer_load_dword v4, off, s[0:3], 0 offset:624
	buffer_load_dword v5, off, s[0:3], 0 offset:628
	;; [unrolled: 1-line block ×4, first 2 shown]
	s_waitcnt vmcnt(0) lgkmcnt(0)
	v_mul_f64 v[12:13], v[2:3], v[10:11]
	v_fma_f64 v[12:13], v[0:1], v[4:5], -v[12:13]
	v_mul_f64 v[0:1], v[0:1], v[10:11]
	v_fma_f64 v[0:1], v[2:3], v[4:5], v[0:1]
	buffer_load_dword v3, off, s[0:3], 0 offset:932
	buffer_load_dword v2, off, s[0:3], 0 offset:928
	s_waitcnt vmcnt(0)
	v_add_f64 v[2:3], v[2:3], -v[12:13]
	buffer_load_dword v13, off, s[0:3], 0 offset:940
	buffer_load_dword v12, off, s[0:3], 0 offset:936
	s_waitcnt vmcnt(0)
	v_add_f64 v[0:1], v[12:13], -v[0:1]
	buffer_store_dword v3, off, s[0:3], 0 offset:932
	buffer_store_dword v2, off, s[0:3], 0 offset:928
	buffer_store_dword v1, off, s[0:3], 0 offset:940
	buffer_store_dword v0, off, s[0:3], 0 offset:936
	ds_read2_b64 v[0:3], v16 offset0:118 offset1:119
	s_waitcnt lgkmcnt(0)
	v_mul_f64 v[12:13], v[2:3], v[10:11]
	v_fma_f64 v[12:13], v[0:1], v[4:5], -v[12:13]
	v_mul_f64 v[0:1], v[0:1], v[10:11]
	v_fma_f64 v[0:1], v[2:3], v[4:5], v[0:1]
	buffer_load_dword v2, off, s[0:3], 0 offset:944
	buffer_load_dword v3, off, s[0:3], 0 offset:948
	buffer_load_dword v20, off, s[0:3], 0 offset:952
	buffer_load_dword v21, off, s[0:3], 0 offset:956
	s_waitcnt vmcnt(2)
	v_add_f64 v[2:3], v[2:3], -v[12:13]
	s_waitcnt vmcnt(0)
	v_add_f64 v[0:1], v[20:21], -v[0:1]
	buffer_store_dword v3, off, s[0:3], 0 offset:948
	buffer_store_dword v2, off, s[0:3], 0 offset:944
	buffer_store_dword v1, off, s[0:3], 0 offset:956
	buffer_store_dword v0, off, s[0:3], 0 offset:952
	ds_read2_b64 v[0:3], v16 offset0:120 offset1:121
	s_waitcnt lgkmcnt(0)
	v_mul_f64 v[12:13], v[2:3], v[10:11]
	v_fma_f64 v[12:13], v[0:1], v[4:5], -v[12:13]
	v_mul_f64 v[0:1], v[0:1], v[10:11]
	v_fma_f64 v[0:1], v[2:3], v[4:5], v[0:1]
	buffer_load_dword v2, off, s[0:3], 0 offset:960
	buffer_load_dword v3, off, s[0:3], 0 offset:964
	buffer_load_dword v20, off, s[0:3], 0 offset:968
	buffer_load_dword v21, off, s[0:3], 0 offset:972
	s_waitcnt vmcnt(2)
	v_add_f64 v[2:3], v[2:3], -v[12:13]
	;; [unrolled: 18-line block ×4, first 2 shown]
	s_waitcnt vmcnt(0)
	v_add_f64 v[0:1], v[4:5], -v[0:1]
	buffer_store_dword v3, off, s[0:3], 0 offset:996
	buffer_store_dword v2, off, s[0:3], 0 offset:992
	;; [unrolled: 1-line block ×4, first 2 shown]
.LBB124_954:
	s_or_b64 exec, exec, s[4:5]
	v_mov_b32_e32 v3, s47
	s_waitcnt vmcnt(0)
	s_barrier
	buffer_load_dword v0, v3, s[0:3], 0 offen
	buffer_load_dword v1, v3, s[0:3], 0 offen offset:4
	buffer_load_dword v2, v3, s[0:3], 0 offen offset:8
	s_nop 0
	buffer_load_dword v3, v3, s[0:3], 0 offen offset:12
	v_lshl_add_u32 v4, v19, 4, v16
	s_cmp_lt_i32 s65, 42
	s_waitcnt vmcnt(0)
	ds_write2_b64 v4, v[0:1], v[2:3] offset1:1
	s_waitcnt lgkmcnt(0)
	s_barrier
	ds_read2_b64 v[0:3], v16 offset0:80 offset1:81
	v_mov_b32_e32 v4, 40
	s_cbranch_scc1 .LBB124_957
; %bb.955:
	v_add_u32_e32 v5, 0x290, v16
	s_mov_b32 s16, 41
	v_mov_b32_e32 v4, 40
.LBB124_956:                            ; =>This Inner Loop Header: Depth=1
	s_waitcnt lgkmcnt(0)
	v_cmp_gt_f64_e32 vcc, 0, v[2:3]
	v_cmp_gt_f64_e64 s[4:5], 0, v[0:1]
	ds_read2_b64 v[10:13], v5 offset1:1
	v_xor_b32_e32 v21, 0x80000000, v1
	v_xor_b32_e32 v23, 0x80000000, v3
	v_mov_b32_e32 v20, v0
	v_mov_b32_e32 v22, v2
	s_waitcnt lgkmcnt(0)
	v_xor_b32_e32 v25, 0x80000000, v13
	v_cndmask_b32_e32 v23, v3, v23, vcc
	v_cndmask_b32_e64 v21, v1, v21, s[4:5]
	v_cmp_gt_f64_e32 vcc, 0, v[12:13]
	v_cmp_gt_f64_e64 s[4:5], 0, v[10:11]
	v_add_f64 v[20:21], v[20:21], v[22:23]
	v_xor_b32_e32 v23, 0x80000000, v11
	v_mov_b32_e32 v22, v10
	v_mov_b32_e32 v24, v12
	v_add_u32_e32 v5, 16, v5
	v_cndmask_b32_e32 v25, v13, v25, vcc
	v_cndmask_b32_e64 v23, v11, v23, s[4:5]
	v_add_f64 v[22:23], v[22:23], v[24:25]
	v_mov_b32_e32 v24, s16
	s_add_i32 s16, s16, 1
	s_cmp_lg_u32 s65, s16
	v_cmp_lt_f64_e32 vcc, v[20:21], v[22:23]
	v_cndmask_b32_e32 v1, v1, v11, vcc
	v_cndmask_b32_e32 v0, v0, v10, vcc
	;; [unrolled: 1-line block ×5, first 2 shown]
	s_cbranch_scc1 .LBB124_956
.LBB124_957:
	s_waitcnt lgkmcnt(0)
	v_cmp_eq_f64_e32 vcc, 0, v[0:1]
	v_cmp_eq_f64_e64 s[4:5], 0, v[2:3]
	s_and_b64 s[4:5], vcc, s[4:5]
	s_and_saveexec_b64 s[16:17], s[4:5]
	s_xor_b64 s[4:5], exec, s[16:17]
; %bb.958:
	v_cmp_ne_u32_e32 vcc, 0, v17
	v_cndmask_b32_e32 v17, 41, v17, vcc
; %bb.959:
	s_andn2_saveexec_b64 s[4:5], s[4:5]
	s_cbranch_execz .LBB124_965
; %bb.960:
	v_cmp_ngt_f64_e64 s[16:17], |v[0:1]|, |v[2:3]|
	s_and_saveexec_b64 s[18:19], s[16:17]
	s_xor_b64 s[18:19], exec, s[18:19]
	s_cbranch_execz .LBB124_962
; %bb.961:
	v_div_scale_f64 v[10:11], s[16:17], v[2:3], v[2:3], v[0:1]
	v_rcp_f64_e32 v[12:13], v[10:11]
	v_fma_f64 v[20:21], -v[10:11], v[12:13], 1.0
	v_fma_f64 v[12:13], v[12:13], v[20:21], v[12:13]
	v_div_scale_f64 v[20:21], vcc, v[0:1], v[2:3], v[0:1]
	v_fma_f64 v[22:23], -v[10:11], v[12:13], 1.0
	v_fma_f64 v[12:13], v[12:13], v[22:23], v[12:13]
	v_mul_f64 v[22:23], v[20:21], v[12:13]
	v_fma_f64 v[10:11], -v[10:11], v[22:23], v[20:21]
	v_div_fmas_f64 v[10:11], v[10:11], v[12:13], v[22:23]
	v_div_fixup_f64 v[10:11], v[10:11], v[2:3], v[0:1]
	v_fma_f64 v[0:1], v[0:1], v[10:11], v[2:3]
	v_div_scale_f64 v[2:3], s[16:17], v[0:1], v[0:1], 1.0
	v_div_scale_f64 v[22:23], vcc, 1.0, v[0:1], 1.0
	v_rcp_f64_e32 v[12:13], v[2:3]
	v_fma_f64 v[20:21], -v[2:3], v[12:13], 1.0
	v_fma_f64 v[12:13], v[12:13], v[20:21], v[12:13]
	v_fma_f64 v[20:21], -v[2:3], v[12:13], 1.0
	v_fma_f64 v[12:13], v[12:13], v[20:21], v[12:13]
	v_mul_f64 v[20:21], v[22:23], v[12:13]
	v_fma_f64 v[2:3], -v[2:3], v[20:21], v[22:23]
	v_div_fmas_f64 v[2:3], v[2:3], v[12:13], v[20:21]
	v_div_fixup_f64 v[2:3], v[2:3], v[0:1], 1.0
	v_mul_f64 v[0:1], v[10:11], v[2:3]
	v_xor_b32_e32 v3, 0x80000000, v3
.LBB124_962:
	s_andn2_saveexec_b64 s[18:19], s[18:19]
	s_cbranch_execz .LBB124_964
; %bb.963:
	v_div_scale_f64 v[10:11], s[16:17], v[0:1], v[0:1], v[2:3]
	v_rcp_f64_e32 v[12:13], v[10:11]
	v_fma_f64 v[20:21], -v[10:11], v[12:13], 1.0
	v_fma_f64 v[12:13], v[12:13], v[20:21], v[12:13]
	v_div_scale_f64 v[20:21], vcc, v[2:3], v[0:1], v[2:3]
	v_fma_f64 v[22:23], -v[10:11], v[12:13], 1.0
	v_fma_f64 v[12:13], v[12:13], v[22:23], v[12:13]
	v_mul_f64 v[22:23], v[20:21], v[12:13]
	v_fma_f64 v[10:11], -v[10:11], v[22:23], v[20:21]
	v_div_fmas_f64 v[10:11], v[10:11], v[12:13], v[22:23]
	v_div_fixup_f64 v[10:11], v[10:11], v[0:1], v[2:3]
	v_fma_f64 v[0:1], v[2:3], v[10:11], v[0:1]
	v_div_scale_f64 v[2:3], s[16:17], v[0:1], v[0:1], 1.0
	v_div_scale_f64 v[22:23], vcc, 1.0, v[0:1], 1.0
	v_rcp_f64_e32 v[12:13], v[2:3]
	v_fma_f64 v[20:21], -v[2:3], v[12:13], 1.0
	v_fma_f64 v[12:13], v[12:13], v[20:21], v[12:13]
	v_fma_f64 v[20:21], -v[2:3], v[12:13], 1.0
	v_fma_f64 v[12:13], v[12:13], v[20:21], v[12:13]
	v_mul_f64 v[20:21], v[22:23], v[12:13]
	v_fma_f64 v[2:3], -v[2:3], v[20:21], v[22:23]
	v_div_fmas_f64 v[2:3], v[2:3], v[12:13], v[20:21]
	v_div_fixup_f64 v[0:1], v[2:3], v[0:1], 1.0
	v_mul_f64 v[2:3], v[10:11], -v[0:1]
.LBB124_964:
	s_or_b64 exec, exec, s[18:19]
.LBB124_965:
	s_or_b64 exec, exec, s[4:5]
	v_cmp_ne_u32_e32 vcc, v19, v4
	s_and_saveexec_b64 s[4:5], vcc
	s_xor_b64 s[4:5], exec, s[4:5]
	s_cbranch_execz .LBB124_971
; %bb.966:
	v_cmp_eq_u32_e32 vcc, 40, v19
	s_and_saveexec_b64 s[18:19], vcc
	s_cbranch_execz .LBB124_970
; %bb.967:
	v_cmp_ne_u32_e32 vcc, 40, v4
	s_xor_b64 s[16:17], s[10:11], -1
	s_and_b64 s[16:17], s[16:17], vcc
	s_and_saveexec_b64 s[24:25], s[16:17]
	s_cbranch_execz .LBB124_969
; %bb.968:
	v_ashrrev_i32_e32 v5, 31, v4
	v_lshlrev_b64 v[10:11], 2, v[4:5]
	v_add_co_u32_e32 v10, vcc, v8, v10
	v_addc_co_u32_e32 v11, vcc, v9, v11, vcc
	global_load_dword v5, v[10:11], off
	global_load_dword v12, v[8:9], off offset:160
	s_waitcnt vmcnt(1)
	global_store_dword v[8:9], v5, off offset:160
	s_waitcnt vmcnt(1)
	global_store_dword v[10:11], v12, off
.LBB124_969:
	s_or_b64 exec, exec, s[24:25]
	v_mov_b32_e32 v19, v4
	v_mov_b32_e32 v18, v4
.LBB124_970:
	s_or_b64 exec, exec, s[18:19]
.LBB124_971:
	s_andn2_saveexec_b64 s[4:5], s[4:5]
	s_cbranch_execz .LBB124_973
; %bb.972:
	v_mov_b32_e32 v11, s46
	buffer_load_dword v4, v11, s[0:3], 0 offen
	buffer_load_dword v5, v11, s[0:3], 0 offen offset:4
	buffer_load_dword v10, v11, s[0:3], 0 offen offset:8
	s_nop 0
	buffer_load_dword v11, v11, s[0:3], 0 offen offset:12
	v_mov_b32_e32 v19, 40
	s_waitcnt vmcnt(0)
	ds_write2_b64 v16, v[4:5], v[10:11] offset0:82 offset1:83
	v_mov_b32_e32 v11, s45
	buffer_load_dword v4, v11, s[0:3], 0 offen
	buffer_load_dword v5, v11, s[0:3], 0 offen offset:4
	buffer_load_dword v10, v11, s[0:3], 0 offen offset:8
	s_nop 0
	buffer_load_dword v11, v11, s[0:3], 0 offen offset:12
	s_waitcnt vmcnt(0)
	ds_write2_b64 v16, v[4:5], v[10:11] offset0:84 offset1:85
	v_mov_b32_e32 v11, s44
	buffer_load_dword v4, v11, s[0:3], 0 offen
	buffer_load_dword v5, v11, s[0:3], 0 offen offset:4
	buffer_load_dword v10, v11, s[0:3], 0 offen offset:8
	s_nop 0
	buffer_load_dword v11, v11, s[0:3], 0 offen offset:12
	;; [unrolled: 8-line block ×21, first 2 shown]
	s_waitcnt vmcnt(0)
	ds_write2_b64 v16, v[4:5], v[10:11] offset0:124 offset1:125
.LBB124_973:
	s_or_b64 exec, exec, s[4:5]
	v_cmp_lt_i32_e32 vcc, 40, v19
	s_waitcnt vmcnt(0) lgkmcnt(0)
	s_barrier
	s_and_saveexec_b64 s[4:5], vcc
	s_cbranch_execz .LBB124_975
; %bb.974:
	buffer_load_dword v4, off, s[0:3], 0 offset:640
	buffer_load_dword v5, off, s[0:3], 0 offset:644
	;; [unrolled: 1-line block ×16, first 2 shown]
	s_waitcnt vmcnt(12)
	v_mul_f64 v[30:31], v[2:3], v[10:11]
	v_fma_f64 v[30:31], v[0:1], v[4:5], -v[30:31]
	v_mul_f64 v[0:1], v[0:1], v[10:11]
	v_fma_f64 v[4:5], v[2:3], v[4:5], v[0:1]
	buffer_store_dword v30, off, s[0:3], 0 offset:640
	buffer_store_dword v31, off, s[0:3], 0 offset:644
	buffer_store_dword v4, off, s[0:3], 0 offset:648
	buffer_store_dword v5, off, s[0:3], 0 offset:652
	ds_read2_b64 v[0:3], v16 offset0:82 offset1:83
	s_waitcnt lgkmcnt(0)
	v_mul_f64 v[10:11], v[2:3], v[4:5]
	v_fma_f64 v[10:11], v[0:1], v[30:31], -v[10:11]
	v_mul_f64 v[0:1], v[0:1], v[4:5]
	v_fma_f64 v[0:1], v[2:3], v[30:31], v[0:1]
	s_waitcnt vmcnt(14)
	v_add_f64 v[2:3], v[12:13], -v[10:11]
	s_waitcnt vmcnt(12)
	v_add_f64 v[0:1], v[20:21], -v[0:1]
	buffer_store_dword v2, off, s[0:3], 0 offset:656
	buffer_store_dword v3, off, s[0:3], 0 offset:660
	buffer_store_dword v0, off, s[0:3], 0 offset:664
	buffer_store_dword v1, off, s[0:3], 0 offset:668
	ds_read2_b64 v[0:3], v16 offset0:84 offset1:85
	s_waitcnt lgkmcnt(0)
	v_mul_f64 v[10:11], v[2:3], v[4:5]
	v_fma_f64 v[10:11], v[0:1], v[30:31], -v[10:11]
	v_mul_f64 v[0:1], v[0:1], v[4:5]
	v_fma_f64 v[0:1], v[2:3], v[30:31], v[0:1]
	s_waitcnt vmcnt(14)
	v_add_f64 v[2:3], v[22:23], -v[10:11]
	s_waitcnt vmcnt(12)
	v_add_f64 v[0:1], v[24:25], -v[0:1]
	;; [unrolled: 14-line block ×3, first 2 shown]
	buffer_store_dword v3, off, s[0:3], 0 offset:692
	buffer_store_dword v2, off, s[0:3], 0 offset:688
	buffer_store_dword v0, off, s[0:3], 0 offset:696
	buffer_store_dword v1, off, s[0:3], 0 offset:700
	ds_read2_b64 v[0:3], v16 offset0:88 offset1:89
	s_waitcnt lgkmcnt(0)
	v_mul_f64 v[10:11], v[2:3], v[4:5]
	v_fma_f64 v[10:11], v[0:1], v[30:31], -v[10:11]
	v_mul_f64 v[0:1], v[0:1], v[4:5]
	v_fma_f64 v[0:1], v[2:3], v[30:31], v[0:1]
	buffer_load_dword v2, off, s[0:3], 0 offset:704
	buffer_load_dword v3, off, s[0:3], 0 offset:708
	buffer_load_dword v12, off, s[0:3], 0 offset:712
	buffer_load_dword v13, off, s[0:3], 0 offset:716
	s_waitcnt vmcnt(2)
	v_add_f64 v[2:3], v[2:3], -v[10:11]
	s_waitcnt vmcnt(0)
	v_add_f64 v[0:1], v[12:13], -v[0:1]
	buffer_store_dword v3, off, s[0:3], 0 offset:708
	buffer_store_dword v2, off, s[0:3], 0 offset:704
	buffer_store_dword v1, off, s[0:3], 0 offset:716
	buffer_store_dword v0, off, s[0:3], 0 offset:712
	ds_read2_b64 v[0:3], v16 offset0:90 offset1:91
	s_waitcnt lgkmcnt(0)
	v_mul_f64 v[10:11], v[2:3], v[4:5]
	v_fma_f64 v[10:11], v[0:1], v[30:31], -v[10:11]
	v_mul_f64 v[0:1], v[0:1], v[4:5]
	v_fma_f64 v[0:1], v[2:3], v[30:31], v[0:1]
	buffer_load_dword v2, off, s[0:3], 0 offset:720
	buffer_load_dword v3, off, s[0:3], 0 offset:724
	buffer_load_dword v12, off, s[0:3], 0 offset:728
	buffer_load_dword v13, off, s[0:3], 0 offset:732
	s_waitcnt vmcnt(2)
	v_add_f64 v[2:3], v[2:3], -v[10:11]
	s_waitcnt vmcnt(0)
	v_add_f64 v[0:1], v[12:13], -v[0:1]
	;; [unrolled: 18-line block ×3, first 2 shown]
	buffer_store_dword v3, off, s[0:3], 0 offset:740
	buffer_store_dword v2, off, s[0:3], 0 offset:736
	;; [unrolled: 1-line block ×4, first 2 shown]
	ds_read2_b64 v[0:3], v16 offset0:94 offset1:95
	buffer_load_dword v4, off, s[0:3], 0 offset:640
	buffer_load_dword v5, off, s[0:3], 0 offset:644
	;; [unrolled: 1-line block ×4, first 2 shown]
	s_waitcnt vmcnt(0) lgkmcnt(0)
	v_mul_f64 v[12:13], v[2:3], v[10:11]
	v_fma_f64 v[12:13], v[0:1], v[4:5], -v[12:13]
	v_mul_f64 v[0:1], v[0:1], v[10:11]
	v_fma_f64 v[0:1], v[2:3], v[4:5], v[0:1]
	buffer_load_dword v3, off, s[0:3], 0 offset:756
	buffer_load_dword v2, off, s[0:3], 0 offset:752
	s_waitcnt vmcnt(0)
	v_add_f64 v[2:3], v[2:3], -v[12:13]
	buffer_load_dword v13, off, s[0:3], 0 offset:764
	buffer_load_dword v12, off, s[0:3], 0 offset:760
	s_waitcnt vmcnt(0)
	v_add_f64 v[0:1], v[12:13], -v[0:1]
	buffer_store_dword v3, off, s[0:3], 0 offset:756
	buffer_store_dword v2, off, s[0:3], 0 offset:752
	buffer_store_dword v1, off, s[0:3], 0 offset:764
	buffer_store_dword v0, off, s[0:3], 0 offset:760
	ds_read2_b64 v[0:3], v16 offset0:96 offset1:97
	s_waitcnt lgkmcnt(0)
	v_mul_f64 v[12:13], v[2:3], v[10:11]
	v_fma_f64 v[12:13], v[0:1], v[4:5], -v[12:13]
	v_mul_f64 v[0:1], v[0:1], v[10:11]
	v_fma_f64 v[0:1], v[2:3], v[4:5], v[0:1]
	buffer_load_dword v2, off, s[0:3], 0 offset:768
	buffer_load_dword v3, off, s[0:3], 0 offset:772
	buffer_load_dword v20, off, s[0:3], 0 offset:776
	buffer_load_dword v21, off, s[0:3], 0 offset:780
	s_waitcnt vmcnt(2)
	v_add_f64 v[2:3], v[2:3], -v[12:13]
	s_waitcnt vmcnt(0)
	v_add_f64 v[0:1], v[20:21], -v[0:1]
	buffer_store_dword v3, off, s[0:3], 0 offset:772
	buffer_store_dword v2, off, s[0:3], 0 offset:768
	buffer_store_dword v1, off, s[0:3], 0 offset:780
	buffer_store_dword v0, off, s[0:3], 0 offset:776
	ds_read2_b64 v[0:3], v16 offset0:98 offset1:99
	s_waitcnt lgkmcnt(0)
	v_mul_f64 v[12:13], v[2:3], v[10:11]
	v_fma_f64 v[12:13], v[0:1], v[4:5], -v[12:13]
	v_mul_f64 v[0:1], v[0:1], v[10:11]
	v_fma_f64 v[0:1], v[2:3], v[4:5], v[0:1]
	buffer_load_dword v2, off, s[0:3], 0 offset:784
	buffer_load_dword v3, off, s[0:3], 0 offset:788
	buffer_load_dword v20, off, s[0:3], 0 offset:792
	buffer_load_dword v21, off, s[0:3], 0 offset:796
	s_waitcnt vmcnt(2)
	v_add_f64 v[2:3], v[2:3], -v[12:13]
	;; [unrolled: 18-line block ×5, first 2 shown]
	s_waitcnt vmcnt(0)
	v_add_f64 v[0:1], v[4:5], -v[0:1]
	buffer_store_dword v3, off, s[0:3], 0 offset:836
	buffer_store_dword v2, off, s[0:3], 0 offset:832
	;; [unrolled: 1-line block ×4, first 2 shown]
	ds_read2_b64 v[0:3], v16 offset0:106 offset1:107
	buffer_load_dword v4, off, s[0:3], 0 offset:640
	buffer_load_dword v5, off, s[0:3], 0 offset:644
	;; [unrolled: 1-line block ×4, first 2 shown]
	s_waitcnt vmcnt(0) lgkmcnt(0)
	v_mul_f64 v[12:13], v[2:3], v[10:11]
	v_fma_f64 v[12:13], v[0:1], v[4:5], -v[12:13]
	v_mul_f64 v[0:1], v[0:1], v[10:11]
	v_fma_f64 v[0:1], v[2:3], v[4:5], v[0:1]
	buffer_load_dword v3, off, s[0:3], 0 offset:852
	buffer_load_dword v2, off, s[0:3], 0 offset:848
	s_waitcnt vmcnt(0)
	v_add_f64 v[2:3], v[2:3], -v[12:13]
	buffer_load_dword v13, off, s[0:3], 0 offset:860
	buffer_load_dword v12, off, s[0:3], 0 offset:856
	s_waitcnt vmcnt(0)
	v_add_f64 v[0:1], v[12:13], -v[0:1]
	buffer_store_dword v3, off, s[0:3], 0 offset:852
	buffer_store_dword v2, off, s[0:3], 0 offset:848
	buffer_store_dword v1, off, s[0:3], 0 offset:860
	buffer_store_dword v0, off, s[0:3], 0 offset:856
	ds_read2_b64 v[0:3], v16 offset0:108 offset1:109
	s_waitcnt lgkmcnt(0)
	v_mul_f64 v[12:13], v[2:3], v[10:11]
	v_fma_f64 v[12:13], v[0:1], v[4:5], -v[12:13]
	v_mul_f64 v[0:1], v[0:1], v[10:11]
	v_fma_f64 v[0:1], v[2:3], v[4:5], v[0:1]
	buffer_load_dword v2, off, s[0:3], 0 offset:864
	buffer_load_dword v3, off, s[0:3], 0 offset:868
	buffer_load_dword v20, off, s[0:3], 0 offset:872
	buffer_load_dword v21, off, s[0:3], 0 offset:876
	s_waitcnt vmcnt(2)
	v_add_f64 v[2:3], v[2:3], -v[12:13]
	s_waitcnt vmcnt(0)
	v_add_f64 v[0:1], v[20:21], -v[0:1]
	buffer_store_dword v3, off, s[0:3], 0 offset:868
	buffer_store_dword v2, off, s[0:3], 0 offset:864
	buffer_store_dword v1, off, s[0:3], 0 offset:876
	buffer_store_dword v0, off, s[0:3], 0 offset:872
	ds_read2_b64 v[0:3], v16 offset0:110 offset1:111
	s_waitcnt lgkmcnt(0)
	v_mul_f64 v[12:13], v[2:3], v[10:11]
	v_fma_f64 v[12:13], v[0:1], v[4:5], -v[12:13]
	v_mul_f64 v[0:1], v[0:1], v[10:11]
	v_fma_f64 v[0:1], v[2:3], v[4:5], v[0:1]
	buffer_load_dword v2, off, s[0:3], 0 offset:880
	buffer_load_dword v3, off, s[0:3], 0 offset:884
	buffer_load_dword v20, off, s[0:3], 0 offset:888
	buffer_load_dword v21, off, s[0:3], 0 offset:892
	s_waitcnt vmcnt(2)
	v_add_f64 v[2:3], v[2:3], -v[12:13]
	;; [unrolled: 18-line block ×5, first 2 shown]
	s_waitcnt vmcnt(0)
	v_add_f64 v[0:1], v[4:5], -v[0:1]
	buffer_store_dword v3, off, s[0:3], 0 offset:932
	buffer_store_dword v2, off, s[0:3], 0 offset:928
	;; [unrolled: 1-line block ×4, first 2 shown]
	ds_read2_b64 v[0:3], v16 offset0:118 offset1:119
	buffer_load_dword v4, off, s[0:3], 0 offset:640
	buffer_load_dword v5, off, s[0:3], 0 offset:644
	buffer_load_dword v10, off, s[0:3], 0 offset:648
	buffer_load_dword v11, off, s[0:3], 0 offset:652
	s_waitcnt vmcnt(0) lgkmcnt(0)
	v_mul_f64 v[12:13], v[2:3], v[10:11]
	v_fma_f64 v[12:13], v[0:1], v[4:5], -v[12:13]
	v_mul_f64 v[0:1], v[0:1], v[10:11]
	v_fma_f64 v[0:1], v[2:3], v[4:5], v[0:1]
	buffer_load_dword v3, off, s[0:3], 0 offset:948
	buffer_load_dword v2, off, s[0:3], 0 offset:944
	s_waitcnt vmcnt(0)
	v_add_f64 v[2:3], v[2:3], -v[12:13]
	buffer_load_dword v13, off, s[0:3], 0 offset:956
	buffer_load_dword v12, off, s[0:3], 0 offset:952
	s_waitcnt vmcnt(0)
	v_add_f64 v[0:1], v[12:13], -v[0:1]
	buffer_store_dword v3, off, s[0:3], 0 offset:948
	buffer_store_dword v2, off, s[0:3], 0 offset:944
	buffer_store_dword v1, off, s[0:3], 0 offset:956
	buffer_store_dword v0, off, s[0:3], 0 offset:952
	ds_read2_b64 v[0:3], v16 offset0:120 offset1:121
	s_waitcnt lgkmcnt(0)
	v_mul_f64 v[12:13], v[2:3], v[10:11]
	v_fma_f64 v[12:13], v[0:1], v[4:5], -v[12:13]
	v_mul_f64 v[0:1], v[0:1], v[10:11]
	v_fma_f64 v[0:1], v[2:3], v[4:5], v[0:1]
	buffer_load_dword v2, off, s[0:3], 0 offset:960
	buffer_load_dword v3, off, s[0:3], 0 offset:964
	buffer_load_dword v20, off, s[0:3], 0 offset:968
	buffer_load_dword v21, off, s[0:3], 0 offset:972
	s_waitcnt vmcnt(2)
	v_add_f64 v[2:3], v[2:3], -v[12:13]
	s_waitcnt vmcnt(0)
	v_add_f64 v[0:1], v[20:21], -v[0:1]
	buffer_store_dword v3, off, s[0:3], 0 offset:964
	buffer_store_dword v2, off, s[0:3], 0 offset:960
	buffer_store_dword v1, off, s[0:3], 0 offset:972
	buffer_store_dword v0, off, s[0:3], 0 offset:968
	ds_read2_b64 v[0:3], v16 offset0:122 offset1:123
	s_waitcnt lgkmcnt(0)
	v_mul_f64 v[12:13], v[2:3], v[10:11]
	v_fma_f64 v[12:13], v[0:1], v[4:5], -v[12:13]
	v_mul_f64 v[0:1], v[0:1], v[10:11]
	v_fma_f64 v[0:1], v[2:3], v[4:5], v[0:1]
	buffer_load_dword v2, off, s[0:3], 0 offset:976
	buffer_load_dword v3, off, s[0:3], 0 offset:980
	buffer_load_dword v20, off, s[0:3], 0 offset:984
	buffer_load_dword v21, off, s[0:3], 0 offset:988
	s_waitcnt vmcnt(2)
	v_add_f64 v[2:3], v[2:3], -v[12:13]
	;; [unrolled: 18-line block ×3, first 2 shown]
	s_waitcnt vmcnt(0)
	v_add_f64 v[0:1], v[4:5], -v[0:1]
	buffer_store_dword v3, off, s[0:3], 0 offset:996
	buffer_store_dword v2, off, s[0:3], 0 offset:992
	;; [unrolled: 1-line block ×4, first 2 shown]
.LBB124_975:
	s_or_b64 exec, exec, s[4:5]
	v_mov_b32_e32 v3, s46
	s_waitcnt vmcnt(0)
	s_barrier
	buffer_load_dword v0, v3, s[0:3], 0 offen
	buffer_load_dword v1, v3, s[0:3], 0 offen offset:4
	buffer_load_dword v2, v3, s[0:3], 0 offen offset:8
	s_nop 0
	buffer_load_dword v3, v3, s[0:3], 0 offen offset:12
	v_lshl_add_u32 v4, v19, 4, v16
	s_cmp_lt_i32 s65, 43
	s_waitcnt vmcnt(0)
	ds_write2_b64 v4, v[0:1], v[2:3] offset1:1
	s_waitcnt lgkmcnt(0)
	s_barrier
	ds_read2_b64 v[0:3], v16 offset0:82 offset1:83
	v_mov_b32_e32 v4, 41
	s_cbranch_scc1 .LBB124_978
; %bb.976:
	v_add_u32_e32 v5, 0x2a0, v16
	s_mov_b32 s16, 42
	v_mov_b32_e32 v4, 41
.LBB124_977:                            ; =>This Inner Loop Header: Depth=1
	s_waitcnt lgkmcnt(0)
	v_cmp_gt_f64_e32 vcc, 0, v[2:3]
	v_cmp_gt_f64_e64 s[4:5], 0, v[0:1]
	ds_read2_b64 v[10:13], v5 offset1:1
	v_xor_b32_e32 v21, 0x80000000, v1
	v_xor_b32_e32 v23, 0x80000000, v3
	v_mov_b32_e32 v20, v0
	v_mov_b32_e32 v22, v2
	s_waitcnt lgkmcnt(0)
	v_xor_b32_e32 v25, 0x80000000, v13
	v_cndmask_b32_e32 v23, v3, v23, vcc
	v_cndmask_b32_e64 v21, v1, v21, s[4:5]
	v_cmp_gt_f64_e32 vcc, 0, v[12:13]
	v_cmp_gt_f64_e64 s[4:5], 0, v[10:11]
	v_add_f64 v[20:21], v[20:21], v[22:23]
	v_xor_b32_e32 v23, 0x80000000, v11
	v_mov_b32_e32 v22, v10
	v_mov_b32_e32 v24, v12
	v_add_u32_e32 v5, 16, v5
	v_cndmask_b32_e32 v25, v13, v25, vcc
	v_cndmask_b32_e64 v23, v11, v23, s[4:5]
	v_add_f64 v[22:23], v[22:23], v[24:25]
	v_mov_b32_e32 v24, s16
	s_add_i32 s16, s16, 1
	s_cmp_lg_u32 s65, s16
	v_cmp_lt_f64_e32 vcc, v[20:21], v[22:23]
	v_cndmask_b32_e32 v1, v1, v11, vcc
	v_cndmask_b32_e32 v0, v0, v10, vcc
	;; [unrolled: 1-line block ×5, first 2 shown]
	s_cbranch_scc1 .LBB124_977
.LBB124_978:
	s_waitcnt lgkmcnt(0)
	v_cmp_eq_f64_e32 vcc, 0, v[0:1]
	v_cmp_eq_f64_e64 s[4:5], 0, v[2:3]
	s_and_b64 s[4:5], vcc, s[4:5]
	s_and_saveexec_b64 s[16:17], s[4:5]
	s_xor_b64 s[4:5], exec, s[16:17]
; %bb.979:
	v_cmp_ne_u32_e32 vcc, 0, v17
	v_cndmask_b32_e32 v17, 42, v17, vcc
; %bb.980:
	s_andn2_saveexec_b64 s[4:5], s[4:5]
	s_cbranch_execz .LBB124_986
; %bb.981:
	v_cmp_ngt_f64_e64 s[16:17], |v[0:1]|, |v[2:3]|
	s_and_saveexec_b64 s[18:19], s[16:17]
	s_xor_b64 s[18:19], exec, s[18:19]
	s_cbranch_execz .LBB124_983
; %bb.982:
	v_div_scale_f64 v[10:11], s[16:17], v[2:3], v[2:3], v[0:1]
	v_rcp_f64_e32 v[12:13], v[10:11]
	v_fma_f64 v[20:21], -v[10:11], v[12:13], 1.0
	v_fma_f64 v[12:13], v[12:13], v[20:21], v[12:13]
	v_div_scale_f64 v[20:21], vcc, v[0:1], v[2:3], v[0:1]
	v_fma_f64 v[22:23], -v[10:11], v[12:13], 1.0
	v_fma_f64 v[12:13], v[12:13], v[22:23], v[12:13]
	v_mul_f64 v[22:23], v[20:21], v[12:13]
	v_fma_f64 v[10:11], -v[10:11], v[22:23], v[20:21]
	v_div_fmas_f64 v[10:11], v[10:11], v[12:13], v[22:23]
	v_div_fixup_f64 v[10:11], v[10:11], v[2:3], v[0:1]
	v_fma_f64 v[0:1], v[0:1], v[10:11], v[2:3]
	v_div_scale_f64 v[2:3], s[16:17], v[0:1], v[0:1], 1.0
	v_div_scale_f64 v[22:23], vcc, 1.0, v[0:1], 1.0
	v_rcp_f64_e32 v[12:13], v[2:3]
	v_fma_f64 v[20:21], -v[2:3], v[12:13], 1.0
	v_fma_f64 v[12:13], v[12:13], v[20:21], v[12:13]
	v_fma_f64 v[20:21], -v[2:3], v[12:13], 1.0
	v_fma_f64 v[12:13], v[12:13], v[20:21], v[12:13]
	v_mul_f64 v[20:21], v[22:23], v[12:13]
	v_fma_f64 v[2:3], -v[2:3], v[20:21], v[22:23]
	v_div_fmas_f64 v[2:3], v[2:3], v[12:13], v[20:21]
	v_div_fixup_f64 v[2:3], v[2:3], v[0:1], 1.0
	v_mul_f64 v[0:1], v[10:11], v[2:3]
	v_xor_b32_e32 v3, 0x80000000, v3
.LBB124_983:
	s_andn2_saveexec_b64 s[18:19], s[18:19]
	s_cbranch_execz .LBB124_985
; %bb.984:
	v_div_scale_f64 v[10:11], s[16:17], v[0:1], v[0:1], v[2:3]
	v_rcp_f64_e32 v[12:13], v[10:11]
	v_fma_f64 v[20:21], -v[10:11], v[12:13], 1.0
	v_fma_f64 v[12:13], v[12:13], v[20:21], v[12:13]
	v_div_scale_f64 v[20:21], vcc, v[2:3], v[0:1], v[2:3]
	v_fma_f64 v[22:23], -v[10:11], v[12:13], 1.0
	v_fma_f64 v[12:13], v[12:13], v[22:23], v[12:13]
	v_mul_f64 v[22:23], v[20:21], v[12:13]
	v_fma_f64 v[10:11], -v[10:11], v[22:23], v[20:21]
	v_div_fmas_f64 v[10:11], v[10:11], v[12:13], v[22:23]
	v_div_fixup_f64 v[10:11], v[10:11], v[0:1], v[2:3]
	v_fma_f64 v[0:1], v[2:3], v[10:11], v[0:1]
	v_div_scale_f64 v[2:3], s[16:17], v[0:1], v[0:1], 1.0
	v_div_scale_f64 v[22:23], vcc, 1.0, v[0:1], 1.0
	v_rcp_f64_e32 v[12:13], v[2:3]
	v_fma_f64 v[20:21], -v[2:3], v[12:13], 1.0
	v_fma_f64 v[12:13], v[12:13], v[20:21], v[12:13]
	v_fma_f64 v[20:21], -v[2:3], v[12:13], 1.0
	v_fma_f64 v[12:13], v[12:13], v[20:21], v[12:13]
	v_mul_f64 v[20:21], v[22:23], v[12:13]
	v_fma_f64 v[2:3], -v[2:3], v[20:21], v[22:23]
	v_div_fmas_f64 v[2:3], v[2:3], v[12:13], v[20:21]
	v_div_fixup_f64 v[0:1], v[2:3], v[0:1], 1.0
	v_mul_f64 v[2:3], v[10:11], -v[0:1]
.LBB124_985:
	s_or_b64 exec, exec, s[18:19]
.LBB124_986:
	s_or_b64 exec, exec, s[4:5]
	v_cmp_ne_u32_e32 vcc, v19, v4
	s_and_saveexec_b64 s[4:5], vcc
	s_xor_b64 s[4:5], exec, s[4:5]
	s_cbranch_execz .LBB124_992
; %bb.987:
	v_cmp_eq_u32_e32 vcc, 41, v19
	s_and_saveexec_b64 s[18:19], vcc
	s_cbranch_execz .LBB124_991
; %bb.988:
	v_cmp_ne_u32_e32 vcc, 41, v4
	s_xor_b64 s[16:17], s[10:11], -1
	s_and_b64 s[16:17], s[16:17], vcc
	s_and_saveexec_b64 s[24:25], s[16:17]
	s_cbranch_execz .LBB124_990
; %bb.989:
	v_ashrrev_i32_e32 v5, 31, v4
	v_lshlrev_b64 v[10:11], 2, v[4:5]
	v_add_co_u32_e32 v10, vcc, v8, v10
	v_addc_co_u32_e32 v11, vcc, v9, v11, vcc
	global_load_dword v5, v[10:11], off
	global_load_dword v12, v[8:9], off offset:164
	s_waitcnt vmcnt(1)
	global_store_dword v[8:9], v5, off offset:164
	s_waitcnt vmcnt(1)
	global_store_dword v[10:11], v12, off
.LBB124_990:
	s_or_b64 exec, exec, s[24:25]
	v_mov_b32_e32 v19, v4
	v_mov_b32_e32 v18, v4
.LBB124_991:
	s_or_b64 exec, exec, s[18:19]
.LBB124_992:
	s_andn2_saveexec_b64 s[4:5], s[4:5]
	s_cbranch_execz .LBB124_994
; %bb.993:
	v_mov_b32_e32 v11, s45
	buffer_load_dword v4, v11, s[0:3], 0 offen
	buffer_load_dword v5, v11, s[0:3], 0 offen offset:4
	buffer_load_dword v10, v11, s[0:3], 0 offen offset:8
	s_nop 0
	buffer_load_dword v11, v11, s[0:3], 0 offen offset:12
	v_mov_b32_e32 v19, 41
	s_waitcnt vmcnt(0)
	ds_write2_b64 v16, v[4:5], v[10:11] offset0:84 offset1:85
	v_mov_b32_e32 v11, s44
	buffer_load_dword v4, v11, s[0:3], 0 offen
	buffer_load_dword v5, v11, s[0:3], 0 offen offset:4
	buffer_load_dword v10, v11, s[0:3], 0 offen offset:8
	s_nop 0
	buffer_load_dword v11, v11, s[0:3], 0 offen offset:12
	s_waitcnt vmcnt(0)
	ds_write2_b64 v16, v[4:5], v[10:11] offset0:86 offset1:87
	v_mov_b32_e32 v11, s43
	buffer_load_dword v4, v11, s[0:3], 0 offen
	buffer_load_dword v5, v11, s[0:3], 0 offen offset:4
	buffer_load_dword v10, v11, s[0:3], 0 offen offset:8
	s_nop 0
	buffer_load_dword v11, v11, s[0:3], 0 offen offset:12
	;; [unrolled: 8-line block ×20, first 2 shown]
	s_waitcnt vmcnt(0)
	ds_write2_b64 v16, v[4:5], v[10:11] offset0:124 offset1:125
.LBB124_994:
	s_or_b64 exec, exec, s[4:5]
	v_cmp_lt_i32_e32 vcc, 41, v19
	s_waitcnt vmcnt(0) lgkmcnt(0)
	s_barrier
	s_and_saveexec_b64 s[4:5], vcc
	s_cbranch_execz .LBB124_996
; %bb.995:
	buffer_load_dword v4, off, s[0:3], 0 offset:656
	buffer_load_dword v5, off, s[0:3], 0 offset:660
	;; [unrolled: 1-line block ×16, first 2 shown]
	s_waitcnt vmcnt(12)
	v_mul_f64 v[30:31], v[2:3], v[10:11]
	v_fma_f64 v[30:31], v[0:1], v[4:5], -v[30:31]
	v_mul_f64 v[0:1], v[0:1], v[10:11]
	v_fma_f64 v[4:5], v[2:3], v[4:5], v[0:1]
	buffer_store_dword v30, off, s[0:3], 0 offset:656
	buffer_store_dword v31, off, s[0:3], 0 offset:660
	buffer_store_dword v4, off, s[0:3], 0 offset:664
	buffer_store_dword v5, off, s[0:3], 0 offset:668
	ds_read2_b64 v[0:3], v16 offset0:84 offset1:85
	s_waitcnt lgkmcnt(0)
	v_mul_f64 v[10:11], v[2:3], v[4:5]
	v_fma_f64 v[10:11], v[0:1], v[30:31], -v[10:11]
	v_mul_f64 v[0:1], v[0:1], v[4:5]
	v_fma_f64 v[0:1], v[2:3], v[30:31], v[0:1]
	s_waitcnt vmcnt(14)
	v_add_f64 v[2:3], v[12:13], -v[10:11]
	s_waitcnt vmcnt(12)
	v_add_f64 v[0:1], v[20:21], -v[0:1]
	buffer_store_dword v2, off, s[0:3], 0 offset:672
	buffer_store_dword v3, off, s[0:3], 0 offset:676
	buffer_store_dword v0, off, s[0:3], 0 offset:680
	buffer_store_dword v1, off, s[0:3], 0 offset:684
	ds_read2_b64 v[0:3], v16 offset0:86 offset1:87
	s_waitcnt lgkmcnt(0)
	v_mul_f64 v[10:11], v[2:3], v[4:5]
	v_fma_f64 v[10:11], v[0:1], v[30:31], -v[10:11]
	v_mul_f64 v[0:1], v[0:1], v[4:5]
	v_fma_f64 v[0:1], v[2:3], v[30:31], v[0:1]
	s_waitcnt vmcnt(14)
	v_add_f64 v[2:3], v[22:23], -v[10:11]
	s_waitcnt vmcnt(12)
	v_add_f64 v[0:1], v[24:25], -v[0:1]
	;; [unrolled: 14-line block ×3, first 2 shown]
	buffer_store_dword v3, off, s[0:3], 0 offset:708
	buffer_store_dword v2, off, s[0:3], 0 offset:704
	buffer_store_dword v0, off, s[0:3], 0 offset:712
	buffer_store_dword v1, off, s[0:3], 0 offset:716
	ds_read2_b64 v[0:3], v16 offset0:90 offset1:91
	s_waitcnt lgkmcnt(0)
	v_mul_f64 v[10:11], v[2:3], v[4:5]
	v_fma_f64 v[10:11], v[0:1], v[30:31], -v[10:11]
	v_mul_f64 v[0:1], v[0:1], v[4:5]
	v_fma_f64 v[0:1], v[2:3], v[30:31], v[0:1]
	buffer_load_dword v2, off, s[0:3], 0 offset:720
	buffer_load_dword v3, off, s[0:3], 0 offset:724
	buffer_load_dword v12, off, s[0:3], 0 offset:728
	buffer_load_dword v13, off, s[0:3], 0 offset:732
	s_waitcnt vmcnt(2)
	v_add_f64 v[2:3], v[2:3], -v[10:11]
	s_waitcnt vmcnt(0)
	v_add_f64 v[0:1], v[12:13], -v[0:1]
	buffer_store_dword v3, off, s[0:3], 0 offset:724
	buffer_store_dword v2, off, s[0:3], 0 offset:720
	buffer_store_dword v1, off, s[0:3], 0 offset:732
	buffer_store_dword v0, off, s[0:3], 0 offset:728
	ds_read2_b64 v[0:3], v16 offset0:92 offset1:93
	s_waitcnt lgkmcnt(0)
	v_mul_f64 v[10:11], v[2:3], v[4:5]
	v_fma_f64 v[10:11], v[0:1], v[30:31], -v[10:11]
	v_mul_f64 v[0:1], v[0:1], v[4:5]
	v_fma_f64 v[0:1], v[2:3], v[30:31], v[0:1]
	buffer_load_dword v2, off, s[0:3], 0 offset:736
	buffer_load_dword v3, off, s[0:3], 0 offset:740
	buffer_load_dword v12, off, s[0:3], 0 offset:744
	buffer_load_dword v13, off, s[0:3], 0 offset:748
	s_waitcnt vmcnt(2)
	v_add_f64 v[2:3], v[2:3], -v[10:11]
	s_waitcnt vmcnt(0)
	v_add_f64 v[0:1], v[12:13], -v[0:1]
	;; [unrolled: 18-line block ×3, first 2 shown]
	buffer_store_dword v3, off, s[0:3], 0 offset:756
	buffer_store_dword v2, off, s[0:3], 0 offset:752
	;; [unrolled: 1-line block ×4, first 2 shown]
	ds_read2_b64 v[0:3], v16 offset0:96 offset1:97
	buffer_load_dword v4, off, s[0:3], 0 offset:656
	buffer_load_dword v5, off, s[0:3], 0 offset:660
	;; [unrolled: 1-line block ×4, first 2 shown]
	s_waitcnt vmcnt(0) lgkmcnt(0)
	v_mul_f64 v[12:13], v[2:3], v[10:11]
	v_fma_f64 v[12:13], v[0:1], v[4:5], -v[12:13]
	v_mul_f64 v[0:1], v[0:1], v[10:11]
	v_fma_f64 v[0:1], v[2:3], v[4:5], v[0:1]
	buffer_load_dword v3, off, s[0:3], 0 offset:772
	buffer_load_dword v2, off, s[0:3], 0 offset:768
	s_waitcnt vmcnt(0)
	v_add_f64 v[2:3], v[2:3], -v[12:13]
	buffer_load_dword v13, off, s[0:3], 0 offset:780
	buffer_load_dword v12, off, s[0:3], 0 offset:776
	s_waitcnt vmcnt(0)
	v_add_f64 v[0:1], v[12:13], -v[0:1]
	buffer_store_dword v3, off, s[0:3], 0 offset:772
	buffer_store_dword v2, off, s[0:3], 0 offset:768
	buffer_store_dword v1, off, s[0:3], 0 offset:780
	buffer_store_dword v0, off, s[0:3], 0 offset:776
	ds_read2_b64 v[0:3], v16 offset0:98 offset1:99
	s_waitcnt lgkmcnt(0)
	v_mul_f64 v[12:13], v[2:3], v[10:11]
	v_fma_f64 v[12:13], v[0:1], v[4:5], -v[12:13]
	v_mul_f64 v[0:1], v[0:1], v[10:11]
	v_fma_f64 v[0:1], v[2:3], v[4:5], v[0:1]
	buffer_load_dword v2, off, s[0:3], 0 offset:784
	buffer_load_dword v3, off, s[0:3], 0 offset:788
	buffer_load_dword v20, off, s[0:3], 0 offset:792
	buffer_load_dword v21, off, s[0:3], 0 offset:796
	s_waitcnt vmcnt(2)
	v_add_f64 v[2:3], v[2:3], -v[12:13]
	s_waitcnt vmcnt(0)
	v_add_f64 v[0:1], v[20:21], -v[0:1]
	buffer_store_dword v3, off, s[0:3], 0 offset:788
	buffer_store_dword v2, off, s[0:3], 0 offset:784
	buffer_store_dword v1, off, s[0:3], 0 offset:796
	buffer_store_dword v0, off, s[0:3], 0 offset:792
	ds_read2_b64 v[0:3], v16 offset0:100 offset1:101
	s_waitcnt lgkmcnt(0)
	v_mul_f64 v[12:13], v[2:3], v[10:11]
	v_fma_f64 v[12:13], v[0:1], v[4:5], -v[12:13]
	v_mul_f64 v[0:1], v[0:1], v[10:11]
	v_fma_f64 v[0:1], v[2:3], v[4:5], v[0:1]
	buffer_load_dword v2, off, s[0:3], 0 offset:800
	buffer_load_dword v3, off, s[0:3], 0 offset:804
	buffer_load_dword v20, off, s[0:3], 0 offset:808
	buffer_load_dword v21, off, s[0:3], 0 offset:812
	s_waitcnt vmcnt(2)
	v_add_f64 v[2:3], v[2:3], -v[12:13]
	;; [unrolled: 18-line block ×5, first 2 shown]
	s_waitcnt vmcnt(0)
	v_add_f64 v[0:1], v[4:5], -v[0:1]
	buffer_store_dword v3, off, s[0:3], 0 offset:852
	buffer_store_dword v2, off, s[0:3], 0 offset:848
	;; [unrolled: 1-line block ×4, first 2 shown]
	ds_read2_b64 v[0:3], v16 offset0:108 offset1:109
	buffer_load_dword v4, off, s[0:3], 0 offset:656
	buffer_load_dword v5, off, s[0:3], 0 offset:660
	;; [unrolled: 1-line block ×4, first 2 shown]
	s_waitcnt vmcnt(0) lgkmcnt(0)
	v_mul_f64 v[12:13], v[2:3], v[10:11]
	v_fma_f64 v[12:13], v[0:1], v[4:5], -v[12:13]
	v_mul_f64 v[0:1], v[0:1], v[10:11]
	v_fma_f64 v[0:1], v[2:3], v[4:5], v[0:1]
	buffer_load_dword v3, off, s[0:3], 0 offset:868
	buffer_load_dword v2, off, s[0:3], 0 offset:864
	s_waitcnt vmcnt(0)
	v_add_f64 v[2:3], v[2:3], -v[12:13]
	buffer_load_dword v13, off, s[0:3], 0 offset:876
	buffer_load_dword v12, off, s[0:3], 0 offset:872
	s_waitcnt vmcnt(0)
	v_add_f64 v[0:1], v[12:13], -v[0:1]
	buffer_store_dword v3, off, s[0:3], 0 offset:868
	buffer_store_dword v2, off, s[0:3], 0 offset:864
	buffer_store_dword v1, off, s[0:3], 0 offset:876
	buffer_store_dword v0, off, s[0:3], 0 offset:872
	ds_read2_b64 v[0:3], v16 offset0:110 offset1:111
	s_waitcnt lgkmcnt(0)
	v_mul_f64 v[12:13], v[2:3], v[10:11]
	v_fma_f64 v[12:13], v[0:1], v[4:5], -v[12:13]
	v_mul_f64 v[0:1], v[0:1], v[10:11]
	v_fma_f64 v[0:1], v[2:3], v[4:5], v[0:1]
	buffer_load_dword v2, off, s[0:3], 0 offset:880
	buffer_load_dword v3, off, s[0:3], 0 offset:884
	buffer_load_dword v20, off, s[0:3], 0 offset:888
	buffer_load_dword v21, off, s[0:3], 0 offset:892
	s_waitcnt vmcnt(2)
	v_add_f64 v[2:3], v[2:3], -v[12:13]
	s_waitcnt vmcnt(0)
	v_add_f64 v[0:1], v[20:21], -v[0:1]
	buffer_store_dword v3, off, s[0:3], 0 offset:884
	buffer_store_dword v2, off, s[0:3], 0 offset:880
	buffer_store_dword v1, off, s[0:3], 0 offset:892
	buffer_store_dword v0, off, s[0:3], 0 offset:888
	ds_read2_b64 v[0:3], v16 offset0:112 offset1:113
	s_waitcnt lgkmcnt(0)
	v_mul_f64 v[12:13], v[2:3], v[10:11]
	v_fma_f64 v[12:13], v[0:1], v[4:5], -v[12:13]
	v_mul_f64 v[0:1], v[0:1], v[10:11]
	v_fma_f64 v[0:1], v[2:3], v[4:5], v[0:1]
	buffer_load_dword v2, off, s[0:3], 0 offset:896
	buffer_load_dword v3, off, s[0:3], 0 offset:900
	buffer_load_dword v20, off, s[0:3], 0 offset:904
	buffer_load_dword v21, off, s[0:3], 0 offset:908
	s_waitcnt vmcnt(2)
	v_add_f64 v[2:3], v[2:3], -v[12:13]
	;; [unrolled: 18-line block ×5, first 2 shown]
	s_waitcnt vmcnt(0)
	v_add_f64 v[0:1], v[4:5], -v[0:1]
	buffer_store_dword v3, off, s[0:3], 0 offset:948
	buffer_store_dword v2, off, s[0:3], 0 offset:944
	;; [unrolled: 1-line block ×4, first 2 shown]
	ds_read2_b64 v[0:3], v16 offset0:120 offset1:121
	buffer_load_dword v4, off, s[0:3], 0 offset:656
	buffer_load_dword v5, off, s[0:3], 0 offset:660
	;; [unrolled: 1-line block ×4, first 2 shown]
	s_waitcnt vmcnt(0) lgkmcnt(0)
	v_mul_f64 v[12:13], v[2:3], v[10:11]
	v_fma_f64 v[12:13], v[0:1], v[4:5], -v[12:13]
	v_mul_f64 v[0:1], v[0:1], v[10:11]
	v_fma_f64 v[0:1], v[2:3], v[4:5], v[0:1]
	buffer_load_dword v3, off, s[0:3], 0 offset:964
	buffer_load_dword v2, off, s[0:3], 0 offset:960
	s_waitcnt vmcnt(0)
	v_add_f64 v[2:3], v[2:3], -v[12:13]
	buffer_load_dword v13, off, s[0:3], 0 offset:972
	buffer_load_dword v12, off, s[0:3], 0 offset:968
	s_waitcnt vmcnt(0)
	v_add_f64 v[0:1], v[12:13], -v[0:1]
	buffer_store_dword v3, off, s[0:3], 0 offset:964
	buffer_store_dword v2, off, s[0:3], 0 offset:960
	;; [unrolled: 1-line block ×4, first 2 shown]
	ds_read2_b64 v[0:3], v16 offset0:122 offset1:123
	s_waitcnt lgkmcnt(0)
	v_mul_f64 v[12:13], v[2:3], v[10:11]
	v_fma_f64 v[12:13], v[0:1], v[4:5], -v[12:13]
	v_mul_f64 v[0:1], v[0:1], v[10:11]
	v_fma_f64 v[0:1], v[2:3], v[4:5], v[0:1]
	buffer_load_dword v2, off, s[0:3], 0 offset:976
	buffer_load_dword v3, off, s[0:3], 0 offset:980
	buffer_load_dword v20, off, s[0:3], 0 offset:984
	buffer_load_dword v21, off, s[0:3], 0 offset:988
	s_waitcnt vmcnt(2)
	v_add_f64 v[2:3], v[2:3], -v[12:13]
	s_waitcnt vmcnt(0)
	v_add_f64 v[0:1], v[20:21], -v[0:1]
	buffer_store_dword v3, off, s[0:3], 0 offset:980
	buffer_store_dword v2, off, s[0:3], 0 offset:976
	buffer_store_dword v1, off, s[0:3], 0 offset:988
	buffer_store_dword v0, off, s[0:3], 0 offset:984
	ds_read2_b64 v[0:3], v16 offset0:124 offset1:125
	s_waitcnt lgkmcnt(0)
	v_mul_f64 v[12:13], v[2:3], v[10:11]
	v_fma_f64 v[12:13], v[0:1], v[4:5], -v[12:13]
	v_mul_f64 v[0:1], v[0:1], v[10:11]
	v_fma_f64 v[0:1], v[2:3], v[4:5], v[0:1]
	buffer_load_dword v2, off, s[0:3], 0 offset:992
	buffer_load_dword v3, off, s[0:3], 0 offset:996
	;; [unrolled: 1-line block ×4, first 2 shown]
	s_waitcnt vmcnt(2)
	v_add_f64 v[2:3], v[2:3], -v[12:13]
	s_waitcnt vmcnt(0)
	v_add_f64 v[0:1], v[4:5], -v[0:1]
	buffer_store_dword v3, off, s[0:3], 0 offset:996
	buffer_store_dword v2, off, s[0:3], 0 offset:992
	;; [unrolled: 1-line block ×4, first 2 shown]
.LBB124_996:
	s_or_b64 exec, exec, s[4:5]
	v_mov_b32_e32 v3, s45
	s_waitcnt vmcnt(0)
	s_barrier
	buffer_load_dword v0, v3, s[0:3], 0 offen
	buffer_load_dword v1, v3, s[0:3], 0 offen offset:4
	buffer_load_dword v2, v3, s[0:3], 0 offen offset:8
	s_nop 0
	buffer_load_dword v3, v3, s[0:3], 0 offen offset:12
	v_lshl_add_u32 v4, v19, 4, v16
	s_cmp_lt_i32 s65, 44
	s_waitcnt vmcnt(0)
	ds_write2_b64 v4, v[0:1], v[2:3] offset1:1
	s_waitcnt lgkmcnt(0)
	s_barrier
	ds_read2_b64 v[0:3], v16 offset0:84 offset1:85
	v_mov_b32_e32 v4, 42
	s_cbranch_scc1 .LBB124_999
; %bb.997:
	v_add_u32_e32 v5, 0x2b0, v16
	s_mov_b32 s16, 43
	v_mov_b32_e32 v4, 42
.LBB124_998:                            ; =>This Inner Loop Header: Depth=1
	s_waitcnt lgkmcnt(0)
	v_cmp_gt_f64_e32 vcc, 0, v[2:3]
	v_cmp_gt_f64_e64 s[4:5], 0, v[0:1]
	ds_read2_b64 v[10:13], v5 offset1:1
	v_xor_b32_e32 v21, 0x80000000, v1
	v_xor_b32_e32 v23, 0x80000000, v3
	v_mov_b32_e32 v20, v0
	v_mov_b32_e32 v22, v2
	s_waitcnt lgkmcnt(0)
	v_xor_b32_e32 v25, 0x80000000, v13
	v_cndmask_b32_e32 v23, v3, v23, vcc
	v_cndmask_b32_e64 v21, v1, v21, s[4:5]
	v_cmp_gt_f64_e32 vcc, 0, v[12:13]
	v_cmp_gt_f64_e64 s[4:5], 0, v[10:11]
	v_add_f64 v[20:21], v[20:21], v[22:23]
	v_xor_b32_e32 v23, 0x80000000, v11
	v_mov_b32_e32 v22, v10
	v_mov_b32_e32 v24, v12
	v_add_u32_e32 v5, 16, v5
	v_cndmask_b32_e32 v25, v13, v25, vcc
	v_cndmask_b32_e64 v23, v11, v23, s[4:5]
	v_add_f64 v[22:23], v[22:23], v[24:25]
	v_mov_b32_e32 v24, s16
	s_add_i32 s16, s16, 1
	s_cmp_lg_u32 s65, s16
	v_cmp_lt_f64_e32 vcc, v[20:21], v[22:23]
	v_cndmask_b32_e32 v1, v1, v11, vcc
	v_cndmask_b32_e32 v0, v0, v10, vcc
	;; [unrolled: 1-line block ×5, first 2 shown]
	s_cbranch_scc1 .LBB124_998
.LBB124_999:
	s_waitcnt lgkmcnt(0)
	v_cmp_eq_f64_e32 vcc, 0, v[0:1]
	v_cmp_eq_f64_e64 s[4:5], 0, v[2:3]
	s_and_b64 s[4:5], vcc, s[4:5]
	s_and_saveexec_b64 s[16:17], s[4:5]
	s_xor_b64 s[4:5], exec, s[16:17]
; %bb.1000:
	v_cmp_ne_u32_e32 vcc, 0, v17
	v_cndmask_b32_e32 v17, 43, v17, vcc
; %bb.1001:
	s_andn2_saveexec_b64 s[4:5], s[4:5]
	s_cbranch_execz .LBB124_1007
; %bb.1002:
	v_cmp_ngt_f64_e64 s[16:17], |v[0:1]|, |v[2:3]|
	s_and_saveexec_b64 s[18:19], s[16:17]
	s_xor_b64 s[18:19], exec, s[18:19]
	s_cbranch_execz .LBB124_1004
; %bb.1003:
	v_div_scale_f64 v[10:11], s[16:17], v[2:3], v[2:3], v[0:1]
	v_rcp_f64_e32 v[12:13], v[10:11]
	v_fma_f64 v[20:21], -v[10:11], v[12:13], 1.0
	v_fma_f64 v[12:13], v[12:13], v[20:21], v[12:13]
	v_div_scale_f64 v[20:21], vcc, v[0:1], v[2:3], v[0:1]
	v_fma_f64 v[22:23], -v[10:11], v[12:13], 1.0
	v_fma_f64 v[12:13], v[12:13], v[22:23], v[12:13]
	v_mul_f64 v[22:23], v[20:21], v[12:13]
	v_fma_f64 v[10:11], -v[10:11], v[22:23], v[20:21]
	v_div_fmas_f64 v[10:11], v[10:11], v[12:13], v[22:23]
	v_div_fixup_f64 v[10:11], v[10:11], v[2:3], v[0:1]
	v_fma_f64 v[0:1], v[0:1], v[10:11], v[2:3]
	v_div_scale_f64 v[2:3], s[16:17], v[0:1], v[0:1], 1.0
	v_div_scale_f64 v[22:23], vcc, 1.0, v[0:1], 1.0
	v_rcp_f64_e32 v[12:13], v[2:3]
	v_fma_f64 v[20:21], -v[2:3], v[12:13], 1.0
	v_fma_f64 v[12:13], v[12:13], v[20:21], v[12:13]
	v_fma_f64 v[20:21], -v[2:3], v[12:13], 1.0
	v_fma_f64 v[12:13], v[12:13], v[20:21], v[12:13]
	v_mul_f64 v[20:21], v[22:23], v[12:13]
	v_fma_f64 v[2:3], -v[2:3], v[20:21], v[22:23]
	v_div_fmas_f64 v[2:3], v[2:3], v[12:13], v[20:21]
	v_div_fixup_f64 v[2:3], v[2:3], v[0:1], 1.0
	v_mul_f64 v[0:1], v[10:11], v[2:3]
	v_xor_b32_e32 v3, 0x80000000, v3
.LBB124_1004:
	s_andn2_saveexec_b64 s[18:19], s[18:19]
	s_cbranch_execz .LBB124_1006
; %bb.1005:
	v_div_scale_f64 v[10:11], s[16:17], v[0:1], v[0:1], v[2:3]
	v_rcp_f64_e32 v[12:13], v[10:11]
	v_fma_f64 v[20:21], -v[10:11], v[12:13], 1.0
	v_fma_f64 v[12:13], v[12:13], v[20:21], v[12:13]
	v_div_scale_f64 v[20:21], vcc, v[2:3], v[0:1], v[2:3]
	v_fma_f64 v[22:23], -v[10:11], v[12:13], 1.0
	v_fma_f64 v[12:13], v[12:13], v[22:23], v[12:13]
	v_mul_f64 v[22:23], v[20:21], v[12:13]
	v_fma_f64 v[10:11], -v[10:11], v[22:23], v[20:21]
	v_div_fmas_f64 v[10:11], v[10:11], v[12:13], v[22:23]
	v_div_fixup_f64 v[10:11], v[10:11], v[0:1], v[2:3]
	v_fma_f64 v[0:1], v[2:3], v[10:11], v[0:1]
	v_div_scale_f64 v[2:3], s[16:17], v[0:1], v[0:1], 1.0
	v_div_scale_f64 v[22:23], vcc, 1.0, v[0:1], 1.0
	v_rcp_f64_e32 v[12:13], v[2:3]
	v_fma_f64 v[20:21], -v[2:3], v[12:13], 1.0
	v_fma_f64 v[12:13], v[12:13], v[20:21], v[12:13]
	v_fma_f64 v[20:21], -v[2:3], v[12:13], 1.0
	v_fma_f64 v[12:13], v[12:13], v[20:21], v[12:13]
	v_mul_f64 v[20:21], v[22:23], v[12:13]
	v_fma_f64 v[2:3], -v[2:3], v[20:21], v[22:23]
	v_div_fmas_f64 v[2:3], v[2:3], v[12:13], v[20:21]
	v_div_fixup_f64 v[0:1], v[2:3], v[0:1], 1.0
	v_mul_f64 v[2:3], v[10:11], -v[0:1]
.LBB124_1006:
	s_or_b64 exec, exec, s[18:19]
.LBB124_1007:
	s_or_b64 exec, exec, s[4:5]
	v_cmp_ne_u32_e32 vcc, v19, v4
	s_and_saveexec_b64 s[4:5], vcc
	s_xor_b64 s[4:5], exec, s[4:5]
	s_cbranch_execz .LBB124_1013
; %bb.1008:
	v_cmp_eq_u32_e32 vcc, 42, v19
	s_and_saveexec_b64 s[18:19], vcc
	s_cbranch_execz .LBB124_1012
; %bb.1009:
	v_cmp_ne_u32_e32 vcc, 42, v4
	s_xor_b64 s[16:17], s[10:11], -1
	s_and_b64 s[16:17], s[16:17], vcc
	s_and_saveexec_b64 s[24:25], s[16:17]
	s_cbranch_execz .LBB124_1011
; %bb.1010:
	v_ashrrev_i32_e32 v5, 31, v4
	v_lshlrev_b64 v[10:11], 2, v[4:5]
	v_add_co_u32_e32 v10, vcc, v8, v10
	v_addc_co_u32_e32 v11, vcc, v9, v11, vcc
	global_load_dword v5, v[10:11], off
	global_load_dword v12, v[8:9], off offset:168
	s_waitcnt vmcnt(1)
	global_store_dword v[8:9], v5, off offset:168
	s_waitcnt vmcnt(1)
	global_store_dword v[10:11], v12, off
.LBB124_1011:
	s_or_b64 exec, exec, s[24:25]
	v_mov_b32_e32 v19, v4
	v_mov_b32_e32 v18, v4
.LBB124_1012:
	s_or_b64 exec, exec, s[18:19]
.LBB124_1013:
	s_andn2_saveexec_b64 s[4:5], s[4:5]
	s_cbranch_execz .LBB124_1015
; %bb.1014:
	v_mov_b32_e32 v11, s44
	buffer_load_dword v4, v11, s[0:3], 0 offen
	buffer_load_dword v5, v11, s[0:3], 0 offen offset:4
	buffer_load_dword v10, v11, s[0:3], 0 offen offset:8
	s_nop 0
	buffer_load_dword v11, v11, s[0:3], 0 offen offset:12
	v_mov_b32_e32 v19, 42
	s_waitcnt vmcnt(0)
	ds_write2_b64 v16, v[4:5], v[10:11] offset0:86 offset1:87
	v_mov_b32_e32 v11, s43
	buffer_load_dword v4, v11, s[0:3], 0 offen
	buffer_load_dword v5, v11, s[0:3], 0 offen offset:4
	buffer_load_dword v10, v11, s[0:3], 0 offen offset:8
	s_nop 0
	buffer_load_dword v11, v11, s[0:3], 0 offen offset:12
	s_waitcnt vmcnt(0)
	ds_write2_b64 v16, v[4:5], v[10:11] offset0:88 offset1:89
	v_mov_b32_e32 v11, s42
	buffer_load_dword v4, v11, s[0:3], 0 offen
	buffer_load_dword v5, v11, s[0:3], 0 offen offset:4
	buffer_load_dword v10, v11, s[0:3], 0 offen offset:8
	s_nop 0
	buffer_load_dword v11, v11, s[0:3], 0 offen offset:12
	;; [unrolled: 8-line block ×19, first 2 shown]
	s_waitcnt vmcnt(0)
	ds_write2_b64 v16, v[4:5], v[10:11] offset0:124 offset1:125
.LBB124_1015:
	s_or_b64 exec, exec, s[4:5]
	v_cmp_lt_i32_e32 vcc, 42, v19
	s_waitcnt vmcnt(0) lgkmcnt(0)
	s_barrier
	s_and_saveexec_b64 s[4:5], vcc
	s_cbranch_execz .LBB124_1017
; %bb.1016:
	buffer_load_dword v4, off, s[0:3], 0 offset:672
	buffer_load_dword v5, off, s[0:3], 0 offset:676
	;; [unrolled: 1-line block ×16, first 2 shown]
	s_waitcnt vmcnt(12)
	v_mul_f64 v[30:31], v[2:3], v[10:11]
	v_fma_f64 v[30:31], v[0:1], v[4:5], -v[30:31]
	v_mul_f64 v[0:1], v[0:1], v[10:11]
	v_fma_f64 v[4:5], v[2:3], v[4:5], v[0:1]
	buffer_store_dword v30, off, s[0:3], 0 offset:672
	buffer_store_dword v31, off, s[0:3], 0 offset:676
	buffer_store_dword v4, off, s[0:3], 0 offset:680
	buffer_store_dword v5, off, s[0:3], 0 offset:684
	ds_read2_b64 v[0:3], v16 offset0:86 offset1:87
	s_waitcnt lgkmcnt(0)
	v_mul_f64 v[10:11], v[2:3], v[4:5]
	v_fma_f64 v[10:11], v[0:1], v[30:31], -v[10:11]
	v_mul_f64 v[0:1], v[0:1], v[4:5]
	v_fma_f64 v[0:1], v[2:3], v[30:31], v[0:1]
	s_waitcnt vmcnt(14)
	v_add_f64 v[2:3], v[12:13], -v[10:11]
	s_waitcnt vmcnt(12)
	v_add_f64 v[0:1], v[20:21], -v[0:1]
	buffer_store_dword v2, off, s[0:3], 0 offset:688
	buffer_store_dword v3, off, s[0:3], 0 offset:692
	buffer_store_dword v0, off, s[0:3], 0 offset:696
	buffer_store_dword v1, off, s[0:3], 0 offset:700
	ds_read2_b64 v[0:3], v16 offset0:88 offset1:89
	s_waitcnt lgkmcnt(0)
	v_mul_f64 v[10:11], v[2:3], v[4:5]
	v_fma_f64 v[10:11], v[0:1], v[30:31], -v[10:11]
	v_mul_f64 v[0:1], v[0:1], v[4:5]
	v_fma_f64 v[0:1], v[2:3], v[30:31], v[0:1]
	s_waitcnt vmcnt(14)
	v_add_f64 v[2:3], v[22:23], -v[10:11]
	s_waitcnt vmcnt(12)
	v_add_f64 v[0:1], v[24:25], -v[0:1]
	;; [unrolled: 14-line block ×3, first 2 shown]
	buffer_store_dword v3, off, s[0:3], 0 offset:724
	buffer_store_dword v2, off, s[0:3], 0 offset:720
	buffer_store_dword v0, off, s[0:3], 0 offset:728
	buffer_store_dword v1, off, s[0:3], 0 offset:732
	ds_read2_b64 v[0:3], v16 offset0:92 offset1:93
	s_waitcnt lgkmcnt(0)
	v_mul_f64 v[10:11], v[2:3], v[4:5]
	v_fma_f64 v[10:11], v[0:1], v[30:31], -v[10:11]
	v_mul_f64 v[0:1], v[0:1], v[4:5]
	v_fma_f64 v[0:1], v[2:3], v[30:31], v[0:1]
	buffer_load_dword v2, off, s[0:3], 0 offset:736
	buffer_load_dword v3, off, s[0:3], 0 offset:740
	buffer_load_dword v12, off, s[0:3], 0 offset:744
	buffer_load_dword v13, off, s[0:3], 0 offset:748
	s_waitcnt vmcnt(2)
	v_add_f64 v[2:3], v[2:3], -v[10:11]
	s_waitcnt vmcnt(0)
	v_add_f64 v[0:1], v[12:13], -v[0:1]
	buffer_store_dword v3, off, s[0:3], 0 offset:740
	buffer_store_dword v2, off, s[0:3], 0 offset:736
	buffer_store_dword v1, off, s[0:3], 0 offset:748
	buffer_store_dword v0, off, s[0:3], 0 offset:744
	ds_read2_b64 v[0:3], v16 offset0:94 offset1:95
	s_waitcnt lgkmcnt(0)
	v_mul_f64 v[10:11], v[2:3], v[4:5]
	v_fma_f64 v[10:11], v[0:1], v[30:31], -v[10:11]
	v_mul_f64 v[0:1], v[0:1], v[4:5]
	v_fma_f64 v[0:1], v[2:3], v[30:31], v[0:1]
	buffer_load_dword v2, off, s[0:3], 0 offset:752
	buffer_load_dword v3, off, s[0:3], 0 offset:756
	buffer_load_dword v12, off, s[0:3], 0 offset:760
	buffer_load_dword v13, off, s[0:3], 0 offset:764
	s_waitcnt vmcnt(2)
	v_add_f64 v[2:3], v[2:3], -v[10:11]
	s_waitcnt vmcnt(0)
	v_add_f64 v[0:1], v[12:13], -v[0:1]
	;; [unrolled: 18-line block ×3, first 2 shown]
	buffer_store_dword v3, off, s[0:3], 0 offset:772
	buffer_store_dword v2, off, s[0:3], 0 offset:768
	;; [unrolled: 1-line block ×4, first 2 shown]
	ds_read2_b64 v[0:3], v16 offset0:98 offset1:99
	buffer_load_dword v4, off, s[0:3], 0 offset:672
	buffer_load_dword v5, off, s[0:3], 0 offset:676
	;; [unrolled: 1-line block ×4, first 2 shown]
	s_waitcnt vmcnt(0) lgkmcnt(0)
	v_mul_f64 v[12:13], v[2:3], v[10:11]
	v_fma_f64 v[12:13], v[0:1], v[4:5], -v[12:13]
	v_mul_f64 v[0:1], v[0:1], v[10:11]
	v_fma_f64 v[0:1], v[2:3], v[4:5], v[0:1]
	buffer_load_dword v3, off, s[0:3], 0 offset:788
	buffer_load_dword v2, off, s[0:3], 0 offset:784
	s_waitcnt vmcnt(0)
	v_add_f64 v[2:3], v[2:3], -v[12:13]
	buffer_load_dword v13, off, s[0:3], 0 offset:796
	buffer_load_dword v12, off, s[0:3], 0 offset:792
	s_waitcnt vmcnt(0)
	v_add_f64 v[0:1], v[12:13], -v[0:1]
	buffer_store_dword v3, off, s[0:3], 0 offset:788
	buffer_store_dword v2, off, s[0:3], 0 offset:784
	buffer_store_dword v1, off, s[0:3], 0 offset:796
	buffer_store_dword v0, off, s[0:3], 0 offset:792
	ds_read2_b64 v[0:3], v16 offset0:100 offset1:101
	s_waitcnt lgkmcnt(0)
	v_mul_f64 v[12:13], v[2:3], v[10:11]
	v_fma_f64 v[12:13], v[0:1], v[4:5], -v[12:13]
	v_mul_f64 v[0:1], v[0:1], v[10:11]
	v_fma_f64 v[0:1], v[2:3], v[4:5], v[0:1]
	buffer_load_dword v2, off, s[0:3], 0 offset:800
	buffer_load_dword v3, off, s[0:3], 0 offset:804
	buffer_load_dword v20, off, s[0:3], 0 offset:808
	buffer_load_dword v21, off, s[0:3], 0 offset:812
	s_waitcnt vmcnt(2)
	v_add_f64 v[2:3], v[2:3], -v[12:13]
	s_waitcnt vmcnt(0)
	v_add_f64 v[0:1], v[20:21], -v[0:1]
	buffer_store_dword v3, off, s[0:3], 0 offset:804
	buffer_store_dword v2, off, s[0:3], 0 offset:800
	buffer_store_dword v1, off, s[0:3], 0 offset:812
	buffer_store_dword v0, off, s[0:3], 0 offset:808
	ds_read2_b64 v[0:3], v16 offset0:102 offset1:103
	s_waitcnt lgkmcnt(0)
	v_mul_f64 v[12:13], v[2:3], v[10:11]
	v_fma_f64 v[12:13], v[0:1], v[4:5], -v[12:13]
	v_mul_f64 v[0:1], v[0:1], v[10:11]
	v_fma_f64 v[0:1], v[2:3], v[4:5], v[0:1]
	buffer_load_dword v2, off, s[0:3], 0 offset:816
	buffer_load_dword v3, off, s[0:3], 0 offset:820
	buffer_load_dword v20, off, s[0:3], 0 offset:824
	buffer_load_dword v21, off, s[0:3], 0 offset:828
	s_waitcnt vmcnt(2)
	v_add_f64 v[2:3], v[2:3], -v[12:13]
	s_waitcnt vmcnt(0)
	v_add_f64 v[0:1], v[20:21], -v[0:1]
	buffer_store_dword v3, off, s[0:3], 0 offset:820
	buffer_store_dword v2, off, s[0:3], 0 offset:816
	buffer_store_dword v1, off, s[0:3], 0 offset:828
	buffer_store_dword v0, off, s[0:3], 0 offset:824
	ds_read2_b64 v[0:3], v16 offset0:104 offset1:105
	s_waitcnt lgkmcnt(0)
	v_mul_f64 v[12:13], v[2:3], v[10:11]
	v_fma_f64 v[12:13], v[0:1], v[4:5], -v[12:13]
	v_mul_f64 v[0:1], v[0:1], v[10:11]
	v_fma_f64 v[0:1], v[2:3], v[4:5], v[0:1]
	buffer_load_dword v2, off, s[0:3], 0 offset:832
	buffer_load_dword v3, off, s[0:3], 0 offset:836
	buffer_load_dword v20, off, s[0:3], 0 offset:840
	buffer_load_dword v21, off, s[0:3], 0 offset:844
	s_waitcnt vmcnt(2)
	v_add_f64 v[2:3], v[2:3], -v[12:13]
	s_waitcnt vmcnt(0)
	v_add_f64 v[0:1], v[20:21], -v[0:1]
	buffer_store_dword v3, off, s[0:3], 0 offset:836
	buffer_store_dword v2, off, s[0:3], 0 offset:832
	buffer_store_dword v1, off, s[0:3], 0 offset:844
	buffer_store_dword v0, off, s[0:3], 0 offset:840
	ds_read2_b64 v[0:3], v16 offset0:106 offset1:107
	s_waitcnt lgkmcnt(0)
	v_mul_f64 v[12:13], v[2:3], v[10:11]
	v_fma_f64 v[12:13], v[0:1], v[4:5], -v[12:13]
	v_mul_f64 v[0:1], v[0:1], v[10:11]
	v_fma_f64 v[0:1], v[2:3], v[4:5], v[0:1]
	buffer_load_dword v2, off, s[0:3], 0 offset:848
	buffer_load_dword v3, off, s[0:3], 0 offset:852
	buffer_load_dword v20, off, s[0:3], 0 offset:856
	buffer_load_dword v21, off, s[0:3], 0 offset:860
	s_waitcnt vmcnt(2)
	v_add_f64 v[2:3], v[2:3], -v[12:13]
	s_waitcnt vmcnt(0)
	v_add_f64 v[0:1], v[20:21], -v[0:1]
	buffer_store_dword v3, off, s[0:3], 0 offset:852
	buffer_store_dword v2, off, s[0:3], 0 offset:848
	buffer_store_dword v1, off, s[0:3], 0 offset:860
	buffer_store_dword v0, off, s[0:3], 0 offset:856
	ds_read2_b64 v[0:3], v16 offset0:108 offset1:109
	s_waitcnt lgkmcnt(0)
	v_mul_f64 v[12:13], v[2:3], v[10:11]
	v_fma_f64 v[12:13], v[0:1], v[4:5], -v[12:13]
	v_mul_f64 v[0:1], v[0:1], v[10:11]
	v_fma_f64 v[0:1], v[2:3], v[4:5], v[0:1]
	buffer_load_dword v2, off, s[0:3], 0 offset:864
	buffer_load_dword v3, off, s[0:3], 0 offset:868
	buffer_load_dword v4, off, s[0:3], 0 offset:872
	buffer_load_dword v5, off, s[0:3], 0 offset:876
	s_waitcnt vmcnt(2)
	v_add_f64 v[2:3], v[2:3], -v[12:13]
	s_waitcnt vmcnt(0)
	v_add_f64 v[0:1], v[4:5], -v[0:1]
	buffer_store_dword v3, off, s[0:3], 0 offset:868
	buffer_store_dword v2, off, s[0:3], 0 offset:864
	;; [unrolled: 1-line block ×4, first 2 shown]
	ds_read2_b64 v[0:3], v16 offset0:110 offset1:111
	buffer_load_dword v4, off, s[0:3], 0 offset:672
	buffer_load_dword v5, off, s[0:3], 0 offset:676
	;; [unrolled: 1-line block ×4, first 2 shown]
	s_waitcnt vmcnt(0) lgkmcnt(0)
	v_mul_f64 v[12:13], v[2:3], v[10:11]
	v_fma_f64 v[12:13], v[0:1], v[4:5], -v[12:13]
	v_mul_f64 v[0:1], v[0:1], v[10:11]
	v_fma_f64 v[0:1], v[2:3], v[4:5], v[0:1]
	buffer_load_dword v3, off, s[0:3], 0 offset:884
	buffer_load_dword v2, off, s[0:3], 0 offset:880
	s_waitcnt vmcnt(0)
	v_add_f64 v[2:3], v[2:3], -v[12:13]
	buffer_load_dword v13, off, s[0:3], 0 offset:892
	buffer_load_dword v12, off, s[0:3], 0 offset:888
	s_waitcnt vmcnt(0)
	v_add_f64 v[0:1], v[12:13], -v[0:1]
	buffer_store_dword v3, off, s[0:3], 0 offset:884
	buffer_store_dword v2, off, s[0:3], 0 offset:880
	buffer_store_dword v1, off, s[0:3], 0 offset:892
	buffer_store_dword v0, off, s[0:3], 0 offset:888
	ds_read2_b64 v[0:3], v16 offset0:112 offset1:113
	s_waitcnt lgkmcnt(0)
	v_mul_f64 v[12:13], v[2:3], v[10:11]
	v_fma_f64 v[12:13], v[0:1], v[4:5], -v[12:13]
	v_mul_f64 v[0:1], v[0:1], v[10:11]
	v_fma_f64 v[0:1], v[2:3], v[4:5], v[0:1]
	buffer_load_dword v2, off, s[0:3], 0 offset:896
	buffer_load_dword v3, off, s[0:3], 0 offset:900
	buffer_load_dword v20, off, s[0:3], 0 offset:904
	buffer_load_dword v21, off, s[0:3], 0 offset:908
	s_waitcnt vmcnt(2)
	v_add_f64 v[2:3], v[2:3], -v[12:13]
	s_waitcnt vmcnt(0)
	v_add_f64 v[0:1], v[20:21], -v[0:1]
	buffer_store_dword v3, off, s[0:3], 0 offset:900
	buffer_store_dword v2, off, s[0:3], 0 offset:896
	buffer_store_dword v1, off, s[0:3], 0 offset:908
	buffer_store_dword v0, off, s[0:3], 0 offset:904
	ds_read2_b64 v[0:3], v16 offset0:114 offset1:115
	s_waitcnt lgkmcnt(0)
	v_mul_f64 v[12:13], v[2:3], v[10:11]
	v_fma_f64 v[12:13], v[0:1], v[4:5], -v[12:13]
	v_mul_f64 v[0:1], v[0:1], v[10:11]
	v_fma_f64 v[0:1], v[2:3], v[4:5], v[0:1]
	buffer_load_dword v2, off, s[0:3], 0 offset:912
	buffer_load_dword v3, off, s[0:3], 0 offset:916
	buffer_load_dword v20, off, s[0:3], 0 offset:920
	buffer_load_dword v21, off, s[0:3], 0 offset:924
	s_waitcnt vmcnt(2)
	v_add_f64 v[2:3], v[2:3], -v[12:13]
	;; [unrolled: 18-line block ×5, first 2 shown]
	s_waitcnt vmcnt(0)
	v_add_f64 v[0:1], v[4:5], -v[0:1]
	buffer_store_dword v3, off, s[0:3], 0 offset:964
	buffer_store_dword v2, off, s[0:3], 0 offset:960
	;; [unrolled: 1-line block ×4, first 2 shown]
	ds_read2_b64 v[0:3], v16 offset0:122 offset1:123
	buffer_load_dword v4, off, s[0:3], 0 offset:672
	buffer_load_dword v5, off, s[0:3], 0 offset:676
	;; [unrolled: 1-line block ×4, first 2 shown]
	s_waitcnt vmcnt(0) lgkmcnt(0)
	v_mul_f64 v[12:13], v[2:3], v[10:11]
	v_fma_f64 v[12:13], v[0:1], v[4:5], -v[12:13]
	v_mul_f64 v[0:1], v[0:1], v[10:11]
	v_fma_f64 v[0:1], v[2:3], v[4:5], v[0:1]
	buffer_load_dword v3, off, s[0:3], 0 offset:980
	buffer_load_dword v2, off, s[0:3], 0 offset:976
	s_waitcnt vmcnt(0)
	v_add_f64 v[2:3], v[2:3], -v[12:13]
	buffer_load_dword v13, off, s[0:3], 0 offset:988
	buffer_load_dword v12, off, s[0:3], 0 offset:984
	s_waitcnt vmcnt(0)
	v_add_f64 v[0:1], v[12:13], -v[0:1]
	buffer_store_dword v3, off, s[0:3], 0 offset:980
	buffer_store_dword v2, off, s[0:3], 0 offset:976
	;; [unrolled: 1-line block ×4, first 2 shown]
	ds_read2_b64 v[0:3], v16 offset0:124 offset1:125
	s_waitcnt lgkmcnt(0)
	v_mul_f64 v[12:13], v[2:3], v[10:11]
	v_fma_f64 v[12:13], v[0:1], v[4:5], -v[12:13]
	v_mul_f64 v[0:1], v[0:1], v[10:11]
	v_fma_f64 v[0:1], v[2:3], v[4:5], v[0:1]
	buffer_load_dword v2, off, s[0:3], 0 offset:992
	buffer_load_dword v3, off, s[0:3], 0 offset:996
	;; [unrolled: 1-line block ×4, first 2 shown]
	s_waitcnt vmcnt(2)
	v_add_f64 v[2:3], v[2:3], -v[12:13]
	s_waitcnt vmcnt(0)
	v_add_f64 v[0:1], v[4:5], -v[0:1]
	buffer_store_dword v3, off, s[0:3], 0 offset:996
	buffer_store_dword v2, off, s[0:3], 0 offset:992
	;; [unrolled: 1-line block ×4, first 2 shown]
.LBB124_1017:
	s_or_b64 exec, exec, s[4:5]
	v_mov_b32_e32 v3, s44
	s_waitcnt vmcnt(0)
	s_barrier
	buffer_load_dword v0, v3, s[0:3], 0 offen
	buffer_load_dword v1, v3, s[0:3], 0 offen offset:4
	buffer_load_dword v2, v3, s[0:3], 0 offen offset:8
	s_nop 0
	buffer_load_dword v3, v3, s[0:3], 0 offen offset:12
	v_lshl_add_u32 v4, v19, 4, v16
	s_cmp_lt_i32 s65, 45
	s_waitcnt vmcnt(0)
	ds_write2_b64 v4, v[0:1], v[2:3] offset1:1
	s_waitcnt lgkmcnt(0)
	s_barrier
	ds_read2_b64 v[0:3], v16 offset0:86 offset1:87
	v_mov_b32_e32 v4, 43
	s_cbranch_scc1 .LBB124_1020
; %bb.1018:
	v_add_u32_e32 v5, 0x2c0, v16
	s_mov_b32 s16, 44
	v_mov_b32_e32 v4, 43
.LBB124_1019:                           ; =>This Inner Loop Header: Depth=1
	s_waitcnt lgkmcnt(0)
	v_cmp_gt_f64_e32 vcc, 0, v[2:3]
	v_cmp_gt_f64_e64 s[4:5], 0, v[0:1]
	ds_read2_b64 v[10:13], v5 offset1:1
	v_xor_b32_e32 v21, 0x80000000, v1
	v_xor_b32_e32 v23, 0x80000000, v3
	v_mov_b32_e32 v20, v0
	v_mov_b32_e32 v22, v2
	s_waitcnt lgkmcnt(0)
	v_xor_b32_e32 v25, 0x80000000, v13
	v_cndmask_b32_e32 v23, v3, v23, vcc
	v_cndmask_b32_e64 v21, v1, v21, s[4:5]
	v_cmp_gt_f64_e32 vcc, 0, v[12:13]
	v_cmp_gt_f64_e64 s[4:5], 0, v[10:11]
	v_add_f64 v[20:21], v[20:21], v[22:23]
	v_xor_b32_e32 v23, 0x80000000, v11
	v_mov_b32_e32 v22, v10
	v_mov_b32_e32 v24, v12
	v_add_u32_e32 v5, 16, v5
	v_cndmask_b32_e32 v25, v13, v25, vcc
	v_cndmask_b32_e64 v23, v11, v23, s[4:5]
	v_add_f64 v[22:23], v[22:23], v[24:25]
	v_mov_b32_e32 v24, s16
	s_add_i32 s16, s16, 1
	s_cmp_lg_u32 s65, s16
	v_cmp_lt_f64_e32 vcc, v[20:21], v[22:23]
	v_cndmask_b32_e32 v1, v1, v11, vcc
	v_cndmask_b32_e32 v0, v0, v10, vcc
	;; [unrolled: 1-line block ×5, first 2 shown]
	s_cbranch_scc1 .LBB124_1019
.LBB124_1020:
	s_waitcnt lgkmcnt(0)
	v_cmp_eq_f64_e32 vcc, 0, v[0:1]
	v_cmp_eq_f64_e64 s[4:5], 0, v[2:3]
	s_and_b64 s[4:5], vcc, s[4:5]
	s_and_saveexec_b64 s[16:17], s[4:5]
	s_xor_b64 s[4:5], exec, s[16:17]
; %bb.1021:
	v_cmp_ne_u32_e32 vcc, 0, v17
	v_cndmask_b32_e32 v17, 44, v17, vcc
; %bb.1022:
	s_andn2_saveexec_b64 s[4:5], s[4:5]
	s_cbranch_execz .LBB124_1028
; %bb.1023:
	v_cmp_ngt_f64_e64 s[16:17], |v[0:1]|, |v[2:3]|
	s_and_saveexec_b64 s[18:19], s[16:17]
	s_xor_b64 s[18:19], exec, s[18:19]
	s_cbranch_execz .LBB124_1025
; %bb.1024:
	v_div_scale_f64 v[10:11], s[16:17], v[2:3], v[2:3], v[0:1]
	v_rcp_f64_e32 v[12:13], v[10:11]
	v_fma_f64 v[20:21], -v[10:11], v[12:13], 1.0
	v_fma_f64 v[12:13], v[12:13], v[20:21], v[12:13]
	v_div_scale_f64 v[20:21], vcc, v[0:1], v[2:3], v[0:1]
	v_fma_f64 v[22:23], -v[10:11], v[12:13], 1.0
	v_fma_f64 v[12:13], v[12:13], v[22:23], v[12:13]
	v_mul_f64 v[22:23], v[20:21], v[12:13]
	v_fma_f64 v[10:11], -v[10:11], v[22:23], v[20:21]
	v_div_fmas_f64 v[10:11], v[10:11], v[12:13], v[22:23]
	v_div_fixup_f64 v[10:11], v[10:11], v[2:3], v[0:1]
	v_fma_f64 v[0:1], v[0:1], v[10:11], v[2:3]
	v_div_scale_f64 v[2:3], s[16:17], v[0:1], v[0:1], 1.0
	v_div_scale_f64 v[22:23], vcc, 1.0, v[0:1], 1.0
	v_rcp_f64_e32 v[12:13], v[2:3]
	v_fma_f64 v[20:21], -v[2:3], v[12:13], 1.0
	v_fma_f64 v[12:13], v[12:13], v[20:21], v[12:13]
	v_fma_f64 v[20:21], -v[2:3], v[12:13], 1.0
	v_fma_f64 v[12:13], v[12:13], v[20:21], v[12:13]
	v_mul_f64 v[20:21], v[22:23], v[12:13]
	v_fma_f64 v[2:3], -v[2:3], v[20:21], v[22:23]
	v_div_fmas_f64 v[2:3], v[2:3], v[12:13], v[20:21]
	v_div_fixup_f64 v[2:3], v[2:3], v[0:1], 1.0
	v_mul_f64 v[0:1], v[10:11], v[2:3]
	v_xor_b32_e32 v3, 0x80000000, v3
.LBB124_1025:
	s_andn2_saveexec_b64 s[18:19], s[18:19]
	s_cbranch_execz .LBB124_1027
; %bb.1026:
	v_div_scale_f64 v[10:11], s[16:17], v[0:1], v[0:1], v[2:3]
	v_rcp_f64_e32 v[12:13], v[10:11]
	v_fma_f64 v[20:21], -v[10:11], v[12:13], 1.0
	v_fma_f64 v[12:13], v[12:13], v[20:21], v[12:13]
	v_div_scale_f64 v[20:21], vcc, v[2:3], v[0:1], v[2:3]
	v_fma_f64 v[22:23], -v[10:11], v[12:13], 1.0
	v_fma_f64 v[12:13], v[12:13], v[22:23], v[12:13]
	v_mul_f64 v[22:23], v[20:21], v[12:13]
	v_fma_f64 v[10:11], -v[10:11], v[22:23], v[20:21]
	v_div_fmas_f64 v[10:11], v[10:11], v[12:13], v[22:23]
	v_div_fixup_f64 v[10:11], v[10:11], v[0:1], v[2:3]
	v_fma_f64 v[0:1], v[2:3], v[10:11], v[0:1]
	v_div_scale_f64 v[2:3], s[16:17], v[0:1], v[0:1], 1.0
	v_div_scale_f64 v[22:23], vcc, 1.0, v[0:1], 1.0
	v_rcp_f64_e32 v[12:13], v[2:3]
	v_fma_f64 v[20:21], -v[2:3], v[12:13], 1.0
	v_fma_f64 v[12:13], v[12:13], v[20:21], v[12:13]
	v_fma_f64 v[20:21], -v[2:3], v[12:13], 1.0
	v_fma_f64 v[12:13], v[12:13], v[20:21], v[12:13]
	v_mul_f64 v[20:21], v[22:23], v[12:13]
	v_fma_f64 v[2:3], -v[2:3], v[20:21], v[22:23]
	v_div_fmas_f64 v[2:3], v[2:3], v[12:13], v[20:21]
	v_div_fixup_f64 v[0:1], v[2:3], v[0:1], 1.0
	v_mul_f64 v[2:3], v[10:11], -v[0:1]
.LBB124_1027:
	s_or_b64 exec, exec, s[18:19]
.LBB124_1028:
	s_or_b64 exec, exec, s[4:5]
	v_cmp_ne_u32_e32 vcc, v19, v4
	s_and_saveexec_b64 s[4:5], vcc
	s_xor_b64 s[4:5], exec, s[4:5]
	s_cbranch_execz .LBB124_1034
; %bb.1029:
	v_cmp_eq_u32_e32 vcc, 43, v19
	s_and_saveexec_b64 s[18:19], vcc
	s_cbranch_execz .LBB124_1033
; %bb.1030:
	v_cmp_ne_u32_e32 vcc, 43, v4
	s_xor_b64 s[16:17], s[10:11], -1
	s_and_b64 s[16:17], s[16:17], vcc
	s_and_saveexec_b64 s[24:25], s[16:17]
	s_cbranch_execz .LBB124_1032
; %bb.1031:
	v_ashrrev_i32_e32 v5, 31, v4
	v_lshlrev_b64 v[10:11], 2, v[4:5]
	v_add_co_u32_e32 v10, vcc, v8, v10
	v_addc_co_u32_e32 v11, vcc, v9, v11, vcc
	global_load_dword v5, v[10:11], off
	global_load_dword v12, v[8:9], off offset:172
	s_waitcnt vmcnt(1)
	global_store_dword v[8:9], v5, off offset:172
	s_waitcnt vmcnt(1)
	global_store_dword v[10:11], v12, off
.LBB124_1032:
	s_or_b64 exec, exec, s[24:25]
	v_mov_b32_e32 v19, v4
	v_mov_b32_e32 v18, v4
.LBB124_1033:
	s_or_b64 exec, exec, s[18:19]
.LBB124_1034:
	s_andn2_saveexec_b64 s[4:5], s[4:5]
	s_cbranch_execz .LBB124_1036
; %bb.1035:
	v_mov_b32_e32 v11, s43
	buffer_load_dword v4, v11, s[0:3], 0 offen
	buffer_load_dword v5, v11, s[0:3], 0 offen offset:4
	buffer_load_dword v10, v11, s[0:3], 0 offen offset:8
	s_nop 0
	buffer_load_dword v11, v11, s[0:3], 0 offen offset:12
	v_mov_b32_e32 v19, 43
	s_waitcnt vmcnt(0)
	ds_write2_b64 v16, v[4:5], v[10:11] offset0:88 offset1:89
	v_mov_b32_e32 v11, s42
	buffer_load_dword v4, v11, s[0:3], 0 offen
	buffer_load_dword v5, v11, s[0:3], 0 offen offset:4
	buffer_load_dword v10, v11, s[0:3], 0 offen offset:8
	s_nop 0
	buffer_load_dword v11, v11, s[0:3], 0 offen offset:12
	s_waitcnt vmcnt(0)
	ds_write2_b64 v16, v[4:5], v[10:11] offset0:90 offset1:91
	v_mov_b32_e32 v11, s41
	buffer_load_dword v4, v11, s[0:3], 0 offen
	buffer_load_dword v5, v11, s[0:3], 0 offen offset:4
	buffer_load_dword v10, v11, s[0:3], 0 offen offset:8
	s_nop 0
	buffer_load_dword v11, v11, s[0:3], 0 offen offset:12
	;; [unrolled: 8-line block ×18, first 2 shown]
	s_waitcnt vmcnt(0)
	ds_write2_b64 v16, v[4:5], v[10:11] offset0:124 offset1:125
.LBB124_1036:
	s_or_b64 exec, exec, s[4:5]
	v_cmp_lt_i32_e32 vcc, 43, v19
	s_waitcnt vmcnt(0) lgkmcnt(0)
	s_barrier
	s_and_saveexec_b64 s[4:5], vcc
	s_cbranch_execz .LBB124_1038
; %bb.1037:
	buffer_load_dword v4, off, s[0:3], 0 offset:688
	buffer_load_dword v5, off, s[0:3], 0 offset:692
	;; [unrolled: 1-line block ×16, first 2 shown]
	s_waitcnt vmcnt(12)
	v_mul_f64 v[30:31], v[2:3], v[10:11]
	v_fma_f64 v[30:31], v[0:1], v[4:5], -v[30:31]
	v_mul_f64 v[0:1], v[0:1], v[10:11]
	v_fma_f64 v[4:5], v[2:3], v[4:5], v[0:1]
	buffer_store_dword v30, off, s[0:3], 0 offset:688
	buffer_store_dword v31, off, s[0:3], 0 offset:692
	buffer_store_dword v4, off, s[0:3], 0 offset:696
	buffer_store_dword v5, off, s[0:3], 0 offset:700
	ds_read2_b64 v[0:3], v16 offset0:88 offset1:89
	s_waitcnt lgkmcnt(0)
	v_mul_f64 v[10:11], v[2:3], v[4:5]
	v_fma_f64 v[10:11], v[0:1], v[30:31], -v[10:11]
	v_mul_f64 v[0:1], v[0:1], v[4:5]
	v_fma_f64 v[0:1], v[2:3], v[30:31], v[0:1]
	s_waitcnt vmcnt(14)
	v_add_f64 v[2:3], v[12:13], -v[10:11]
	s_waitcnt vmcnt(12)
	v_add_f64 v[0:1], v[20:21], -v[0:1]
	buffer_store_dword v2, off, s[0:3], 0 offset:704
	buffer_store_dword v3, off, s[0:3], 0 offset:708
	buffer_store_dword v0, off, s[0:3], 0 offset:712
	buffer_store_dword v1, off, s[0:3], 0 offset:716
	ds_read2_b64 v[0:3], v16 offset0:90 offset1:91
	s_waitcnt lgkmcnt(0)
	v_mul_f64 v[10:11], v[2:3], v[4:5]
	v_fma_f64 v[10:11], v[0:1], v[30:31], -v[10:11]
	v_mul_f64 v[0:1], v[0:1], v[4:5]
	v_fma_f64 v[0:1], v[2:3], v[30:31], v[0:1]
	s_waitcnt vmcnt(14)
	v_add_f64 v[2:3], v[22:23], -v[10:11]
	s_waitcnt vmcnt(12)
	v_add_f64 v[0:1], v[24:25], -v[0:1]
	;; [unrolled: 14-line block ×3, first 2 shown]
	buffer_store_dword v3, off, s[0:3], 0 offset:740
	buffer_store_dword v2, off, s[0:3], 0 offset:736
	buffer_store_dword v0, off, s[0:3], 0 offset:744
	buffer_store_dword v1, off, s[0:3], 0 offset:748
	ds_read2_b64 v[0:3], v16 offset0:94 offset1:95
	s_waitcnt lgkmcnt(0)
	v_mul_f64 v[10:11], v[2:3], v[4:5]
	v_fma_f64 v[10:11], v[0:1], v[30:31], -v[10:11]
	v_mul_f64 v[0:1], v[0:1], v[4:5]
	v_fma_f64 v[0:1], v[2:3], v[30:31], v[0:1]
	buffer_load_dword v2, off, s[0:3], 0 offset:752
	buffer_load_dword v3, off, s[0:3], 0 offset:756
	buffer_load_dword v12, off, s[0:3], 0 offset:760
	buffer_load_dword v13, off, s[0:3], 0 offset:764
	s_waitcnt vmcnt(2)
	v_add_f64 v[2:3], v[2:3], -v[10:11]
	s_waitcnt vmcnt(0)
	v_add_f64 v[0:1], v[12:13], -v[0:1]
	buffer_store_dword v3, off, s[0:3], 0 offset:756
	buffer_store_dword v2, off, s[0:3], 0 offset:752
	buffer_store_dword v1, off, s[0:3], 0 offset:764
	buffer_store_dword v0, off, s[0:3], 0 offset:760
	ds_read2_b64 v[0:3], v16 offset0:96 offset1:97
	s_waitcnt lgkmcnt(0)
	v_mul_f64 v[10:11], v[2:3], v[4:5]
	v_fma_f64 v[10:11], v[0:1], v[30:31], -v[10:11]
	v_mul_f64 v[0:1], v[0:1], v[4:5]
	v_fma_f64 v[0:1], v[2:3], v[30:31], v[0:1]
	buffer_load_dword v2, off, s[0:3], 0 offset:768
	buffer_load_dword v3, off, s[0:3], 0 offset:772
	buffer_load_dword v12, off, s[0:3], 0 offset:776
	buffer_load_dword v13, off, s[0:3], 0 offset:780
	s_waitcnt vmcnt(2)
	v_add_f64 v[2:3], v[2:3], -v[10:11]
	s_waitcnt vmcnt(0)
	v_add_f64 v[0:1], v[12:13], -v[0:1]
	;; [unrolled: 18-line block ×3, first 2 shown]
	buffer_store_dword v3, off, s[0:3], 0 offset:788
	buffer_store_dword v2, off, s[0:3], 0 offset:784
	;; [unrolled: 1-line block ×4, first 2 shown]
	ds_read2_b64 v[0:3], v16 offset0:100 offset1:101
	buffer_load_dword v4, off, s[0:3], 0 offset:688
	buffer_load_dword v5, off, s[0:3], 0 offset:692
	;; [unrolled: 1-line block ×4, first 2 shown]
	s_waitcnt vmcnt(0) lgkmcnt(0)
	v_mul_f64 v[12:13], v[2:3], v[10:11]
	v_fma_f64 v[12:13], v[0:1], v[4:5], -v[12:13]
	v_mul_f64 v[0:1], v[0:1], v[10:11]
	v_fma_f64 v[0:1], v[2:3], v[4:5], v[0:1]
	buffer_load_dword v3, off, s[0:3], 0 offset:804
	buffer_load_dword v2, off, s[0:3], 0 offset:800
	s_waitcnt vmcnt(0)
	v_add_f64 v[2:3], v[2:3], -v[12:13]
	buffer_load_dword v13, off, s[0:3], 0 offset:812
	buffer_load_dword v12, off, s[0:3], 0 offset:808
	s_waitcnt vmcnt(0)
	v_add_f64 v[0:1], v[12:13], -v[0:1]
	buffer_store_dword v3, off, s[0:3], 0 offset:804
	buffer_store_dword v2, off, s[0:3], 0 offset:800
	buffer_store_dword v1, off, s[0:3], 0 offset:812
	buffer_store_dword v0, off, s[0:3], 0 offset:808
	ds_read2_b64 v[0:3], v16 offset0:102 offset1:103
	s_waitcnt lgkmcnt(0)
	v_mul_f64 v[12:13], v[2:3], v[10:11]
	v_fma_f64 v[12:13], v[0:1], v[4:5], -v[12:13]
	v_mul_f64 v[0:1], v[0:1], v[10:11]
	v_fma_f64 v[0:1], v[2:3], v[4:5], v[0:1]
	buffer_load_dword v2, off, s[0:3], 0 offset:816
	buffer_load_dword v3, off, s[0:3], 0 offset:820
	buffer_load_dword v20, off, s[0:3], 0 offset:824
	buffer_load_dword v21, off, s[0:3], 0 offset:828
	s_waitcnt vmcnt(2)
	v_add_f64 v[2:3], v[2:3], -v[12:13]
	s_waitcnt vmcnt(0)
	v_add_f64 v[0:1], v[20:21], -v[0:1]
	buffer_store_dword v3, off, s[0:3], 0 offset:820
	buffer_store_dword v2, off, s[0:3], 0 offset:816
	buffer_store_dword v1, off, s[0:3], 0 offset:828
	buffer_store_dword v0, off, s[0:3], 0 offset:824
	ds_read2_b64 v[0:3], v16 offset0:104 offset1:105
	s_waitcnt lgkmcnt(0)
	v_mul_f64 v[12:13], v[2:3], v[10:11]
	v_fma_f64 v[12:13], v[0:1], v[4:5], -v[12:13]
	v_mul_f64 v[0:1], v[0:1], v[10:11]
	v_fma_f64 v[0:1], v[2:3], v[4:5], v[0:1]
	buffer_load_dword v2, off, s[0:3], 0 offset:832
	buffer_load_dword v3, off, s[0:3], 0 offset:836
	buffer_load_dword v20, off, s[0:3], 0 offset:840
	buffer_load_dword v21, off, s[0:3], 0 offset:844
	s_waitcnt vmcnt(2)
	v_add_f64 v[2:3], v[2:3], -v[12:13]
	;; [unrolled: 18-line block ×5, first 2 shown]
	s_waitcnt vmcnt(0)
	v_add_f64 v[0:1], v[4:5], -v[0:1]
	buffer_store_dword v3, off, s[0:3], 0 offset:884
	buffer_store_dword v2, off, s[0:3], 0 offset:880
	;; [unrolled: 1-line block ×4, first 2 shown]
	ds_read2_b64 v[0:3], v16 offset0:112 offset1:113
	buffer_load_dword v4, off, s[0:3], 0 offset:688
	buffer_load_dword v5, off, s[0:3], 0 offset:692
	;; [unrolled: 1-line block ×4, first 2 shown]
	s_waitcnt vmcnt(0) lgkmcnt(0)
	v_mul_f64 v[12:13], v[2:3], v[10:11]
	v_fma_f64 v[12:13], v[0:1], v[4:5], -v[12:13]
	v_mul_f64 v[0:1], v[0:1], v[10:11]
	v_fma_f64 v[0:1], v[2:3], v[4:5], v[0:1]
	buffer_load_dword v3, off, s[0:3], 0 offset:900
	buffer_load_dword v2, off, s[0:3], 0 offset:896
	s_waitcnt vmcnt(0)
	v_add_f64 v[2:3], v[2:3], -v[12:13]
	buffer_load_dword v13, off, s[0:3], 0 offset:908
	buffer_load_dword v12, off, s[0:3], 0 offset:904
	s_waitcnt vmcnt(0)
	v_add_f64 v[0:1], v[12:13], -v[0:1]
	buffer_store_dword v3, off, s[0:3], 0 offset:900
	buffer_store_dword v2, off, s[0:3], 0 offset:896
	buffer_store_dword v1, off, s[0:3], 0 offset:908
	buffer_store_dword v0, off, s[0:3], 0 offset:904
	ds_read2_b64 v[0:3], v16 offset0:114 offset1:115
	s_waitcnt lgkmcnt(0)
	v_mul_f64 v[12:13], v[2:3], v[10:11]
	v_fma_f64 v[12:13], v[0:1], v[4:5], -v[12:13]
	v_mul_f64 v[0:1], v[0:1], v[10:11]
	v_fma_f64 v[0:1], v[2:3], v[4:5], v[0:1]
	buffer_load_dword v2, off, s[0:3], 0 offset:912
	buffer_load_dword v3, off, s[0:3], 0 offset:916
	buffer_load_dword v20, off, s[0:3], 0 offset:920
	buffer_load_dword v21, off, s[0:3], 0 offset:924
	s_waitcnt vmcnt(2)
	v_add_f64 v[2:3], v[2:3], -v[12:13]
	s_waitcnt vmcnt(0)
	v_add_f64 v[0:1], v[20:21], -v[0:1]
	buffer_store_dword v3, off, s[0:3], 0 offset:916
	buffer_store_dword v2, off, s[0:3], 0 offset:912
	buffer_store_dword v1, off, s[0:3], 0 offset:924
	buffer_store_dword v0, off, s[0:3], 0 offset:920
	ds_read2_b64 v[0:3], v16 offset0:116 offset1:117
	s_waitcnt lgkmcnt(0)
	v_mul_f64 v[12:13], v[2:3], v[10:11]
	v_fma_f64 v[12:13], v[0:1], v[4:5], -v[12:13]
	v_mul_f64 v[0:1], v[0:1], v[10:11]
	v_fma_f64 v[0:1], v[2:3], v[4:5], v[0:1]
	buffer_load_dword v2, off, s[0:3], 0 offset:928
	buffer_load_dword v3, off, s[0:3], 0 offset:932
	buffer_load_dword v20, off, s[0:3], 0 offset:936
	buffer_load_dword v21, off, s[0:3], 0 offset:940
	s_waitcnt vmcnt(2)
	v_add_f64 v[2:3], v[2:3], -v[12:13]
	s_waitcnt vmcnt(0)
	v_add_f64 v[0:1], v[20:21], -v[0:1]
	buffer_store_dword v3, off, s[0:3], 0 offset:932
	buffer_store_dword v2, off, s[0:3], 0 offset:928
	buffer_store_dword v1, off, s[0:3], 0 offset:940
	buffer_store_dword v0, off, s[0:3], 0 offset:936
	ds_read2_b64 v[0:3], v16 offset0:118 offset1:119
	s_waitcnt lgkmcnt(0)
	v_mul_f64 v[12:13], v[2:3], v[10:11]
	v_fma_f64 v[12:13], v[0:1], v[4:5], -v[12:13]
	v_mul_f64 v[0:1], v[0:1], v[10:11]
	v_fma_f64 v[0:1], v[2:3], v[4:5], v[0:1]
	buffer_load_dword v2, off, s[0:3], 0 offset:944
	buffer_load_dword v3, off, s[0:3], 0 offset:948
	buffer_load_dword v20, off, s[0:3], 0 offset:952
	buffer_load_dword v21, off, s[0:3], 0 offset:956
	s_waitcnt vmcnt(2)
	v_add_f64 v[2:3], v[2:3], -v[12:13]
	s_waitcnt vmcnt(0)
	v_add_f64 v[0:1], v[20:21], -v[0:1]
	buffer_store_dword v3, off, s[0:3], 0 offset:948
	buffer_store_dword v2, off, s[0:3], 0 offset:944
	buffer_store_dword v1, off, s[0:3], 0 offset:956
	buffer_store_dword v0, off, s[0:3], 0 offset:952
	ds_read2_b64 v[0:3], v16 offset0:120 offset1:121
	s_waitcnt lgkmcnt(0)
	v_mul_f64 v[12:13], v[2:3], v[10:11]
	v_fma_f64 v[12:13], v[0:1], v[4:5], -v[12:13]
	v_mul_f64 v[0:1], v[0:1], v[10:11]
	v_fma_f64 v[0:1], v[2:3], v[4:5], v[0:1]
	buffer_load_dword v2, off, s[0:3], 0 offset:960
	buffer_load_dword v3, off, s[0:3], 0 offset:964
	buffer_load_dword v20, off, s[0:3], 0 offset:968
	buffer_load_dword v21, off, s[0:3], 0 offset:972
	s_waitcnt vmcnt(2)
	v_add_f64 v[2:3], v[2:3], -v[12:13]
	s_waitcnt vmcnt(0)
	v_add_f64 v[0:1], v[20:21], -v[0:1]
	buffer_store_dword v3, off, s[0:3], 0 offset:964
	buffer_store_dword v2, off, s[0:3], 0 offset:960
	buffer_store_dword v1, off, s[0:3], 0 offset:972
	buffer_store_dword v0, off, s[0:3], 0 offset:968
	ds_read2_b64 v[0:3], v16 offset0:122 offset1:123
	s_waitcnt lgkmcnt(0)
	v_mul_f64 v[12:13], v[2:3], v[10:11]
	v_fma_f64 v[12:13], v[0:1], v[4:5], -v[12:13]
	v_mul_f64 v[0:1], v[0:1], v[10:11]
	v_fma_f64 v[0:1], v[2:3], v[4:5], v[0:1]
	buffer_load_dword v2, off, s[0:3], 0 offset:976
	buffer_load_dword v3, off, s[0:3], 0 offset:980
	buffer_load_dword v4, off, s[0:3], 0 offset:984
	buffer_load_dword v5, off, s[0:3], 0 offset:988
	s_waitcnt vmcnt(2)
	v_add_f64 v[2:3], v[2:3], -v[12:13]
	s_waitcnt vmcnt(0)
	v_add_f64 v[0:1], v[4:5], -v[0:1]
	buffer_store_dword v3, off, s[0:3], 0 offset:980
	buffer_store_dword v2, off, s[0:3], 0 offset:976
	;; [unrolled: 1-line block ×4, first 2 shown]
	ds_read2_b64 v[0:3], v16 offset0:124 offset1:125
	buffer_load_dword v4, off, s[0:3], 0 offset:688
	buffer_load_dword v5, off, s[0:3], 0 offset:692
	;; [unrolled: 1-line block ×4, first 2 shown]
	s_waitcnt vmcnt(0) lgkmcnt(0)
	v_mul_f64 v[12:13], v[2:3], v[10:11]
	v_fma_f64 v[12:13], v[0:1], v[4:5], -v[12:13]
	v_mul_f64 v[0:1], v[0:1], v[10:11]
	v_fma_f64 v[0:1], v[2:3], v[4:5], v[0:1]
	buffer_load_dword v3, off, s[0:3], 0 offset:996
	buffer_load_dword v2, off, s[0:3], 0 offset:992
	buffer_load_dword v5, off, s[0:3], 0 offset:1004
	buffer_load_dword v4, off, s[0:3], 0 offset:1000
	s_waitcnt vmcnt(2)
	v_add_f64 v[2:3], v[2:3], -v[12:13]
	s_waitcnt vmcnt(0)
	v_add_f64 v[0:1], v[4:5], -v[0:1]
	buffer_store_dword v3, off, s[0:3], 0 offset:996
	buffer_store_dword v2, off, s[0:3], 0 offset:992
	;; [unrolled: 1-line block ×4, first 2 shown]
.LBB124_1038:
	s_or_b64 exec, exec, s[4:5]
	v_mov_b32_e32 v3, s43
	s_waitcnt vmcnt(0)
	s_barrier
	buffer_load_dword v0, v3, s[0:3], 0 offen
	buffer_load_dword v1, v3, s[0:3], 0 offen offset:4
	buffer_load_dword v2, v3, s[0:3], 0 offen offset:8
	s_nop 0
	buffer_load_dword v3, v3, s[0:3], 0 offen offset:12
	v_lshl_add_u32 v4, v19, 4, v16
	s_cmp_lt_i32 s65, 46
	s_waitcnt vmcnt(0)
	ds_write2_b64 v4, v[0:1], v[2:3] offset1:1
	s_waitcnt lgkmcnt(0)
	s_barrier
	ds_read2_b64 v[0:3], v16 offset0:88 offset1:89
	v_mov_b32_e32 v4, 44
	s_cbranch_scc1 .LBB124_1041
; %bb.1039:
	v_add_u32_e32 v5, 0x2d0, v16
	s_mov_b32 s16, 45
	v_mov_b32_e32 v4, 44
.LBB124_1040:                           ; =>This Inner Loop Header: Depth=1
	s_waitcnt lgkmcnt(0)
	v_cmp_gt_f64_e32 vcc, 0, v[2:3]
	v_cmp_gt_f64_e64 s[4:5], 0, v[0:1]
	ds_read2_b64 v[10:13], v5 offset1:1
	v_xor_b32_e32 v21, 0x80000000, v1
	v_xor_b32_e32 v23, 0x80000000, v3
	v_mov_b32_e32 v20, v0
	v_mov_b32_e32 v22, v2
	s_waitcnt lgkmcnt(0)
	v_xor_b32_e32 v25, 0x80000000, v13
	v_cndmask_b32_e32 v23, v3, v23, vcc
	v_cndmask_b32_e64 v21, v1, v21, s[4:5]
	v_cmp_gt_f64_e32 vcc, 0, v[12:13]
	v_cmp_gt_f64_e64 s[4:5], 0, v[10:11]
	v_add_f64 v[20:21], v[20:21], v[22:23]
	v_xor_b32_e32 v23, 0x80000000, v11
	v_mov_b32_e32 v22, v10
	v_mov_b32_e32 v24, v12
	v_add_u32_e32 v5, 16, v5
	v_cndmask_b32_e32 v25, v13, v25, vcc
	v_cndmask_b32_e64 v23, v11, v23, s[4:5]
	v_add_f64 v[22:23], v[22:23], v[24:25]
	v_mov_b32_e32 v24, s16
	s_add_i32 s16, s16, 1
	s_cmp_lg_u32 s65, s16
	v_cmp_lt_f64_e32 vcc, v[20:21], v[22:23]
	v_cndmask_b32_e32 v1, v1, v11, vcc
	v_cndmask_b32_e32 v0, v0, v10, vcc
	v_cndmask_b32_e32 v3, v3, v13, vcc
	v_cndmask_b32_e32 v2, v2, v12, vcc
	v_cndmask_b32_e32 v4, v4, v24, vcc
	s_cbranch_scc1 .LBB124_1040
.LBB124_1041:
	s_waitcnt lgkmcnt(0)
	v_cmp_eq_f64_e32 vcc, 0, v[0:1]
	v_cmp_eq_f64_e64 s[4:5], 0, v[2:3]
	s_and_b64 s[4:5], vcc, s[4:5]
	s_and_saveexec_b64 s[16:17], s[4:5]
	s_xor_b64 s[4:5], exec, s[16:17]
; %bb.1042:
	v_cmp_ne_u32_e32 vcc, 0, v17
	v_cndmask_b32_e32 v17, 45, v17, vcc
; %bb.1043:
	s_andn2_saveexec_b64 s[4:5], s[4:5]
	s_cbranch_execz .LBB124_1049
; %bb.1044:
	v_cmp_ngt_f64_e64 s[16:17], |v[0:1]|, |v[2:3]|
	s_and_saveexec_b64 s[18:19], s[16:17]
	s_xor_b64 s[18:19], exec, s[18:19]
	s_cbranch_execz .LBB124_1046
; %bb.1045:
	v_div_scale_f64 v[10:11], s[16:17], v[2:3], v[2:3], v[0:1]
	v_rcp_f64_e32 v[12:13], v[10:11]
	v_fma_f64 v[20:21], -v[10:11], v[12:13], 1.0
	v_fma_f64 v[12:13], v[12:13], v[20:21], v[12:13]
	v_div_scale_f64 v[20:21], vcc, v[0:1], v[2:3], v[0:1]
	v_fma_f64 v[22:23], -v[10:11], v[12:13], 1.0
	v_fma_f64 v[12:13], v[12:13], v[22:23], v[12:13]
	v_mul_f64 v[22:23], v[20:21], v[12:13]
	v_fma_f64 v[10:11], -v[10:11], v[22:23], v[20:21]
	v_div_fmas_f64 v[10:11], v[10:11], v[12:13], v[22:23]
	v_div_fixup_f64 v[10:11], v[10:11], v[2:3], v[0:1]
	v_fma_f64 v[0:1], v[0:1], v[10:11], v[2:3]
	v_div_scale_f64 v[2:3], s[16:17], v[0:1], v[0:1], 1.0
	v_div_scale_f64 v[22:23], vcc, 1.0, v[0:1], 1.0
	v_rcp_f64_e32 v[12:13], v[2:3]
	v_fma_f64 v[20:21], -v[2:3], v[12:13], 1.0
	v_fma_f64 v[12:13], v[12:13], v[20:21], v[12:13]
	v_fma_f64 v[20:21], -v[2:3], v[12:13], 1.0
	v_fma_f64 v[12:13], v[12:13], v[20:21], v[12:13]
	v_mul_f64 v[20:21], v[22:23], v[12:13]
	v_fma_f64 v[2:3], -v[2:3], v[20:21], v[22:23]
	v_div_fmas_f64 v[2:3], v[2:3], v[12:13], v[20:21]
	v_div_fixup_f64 v[2:3], v[2:3], v[0:1], 1.0
	v_mul_f64 v[0:1], v[10:11], v[2:3]
	v_xor_b32_e32 v3, 0x80000000, v3
.LBB124_1046:
	s_andn2_saveexec_b64 s[18:19], s[18:19]
	s_cbranch_execz .LBB124_1048
; %bb.1047:
	v_div_scale_f64 v[10:11], s[16:17], v[0:1], v[0:1], v[2:3]
	v_rcp_f64_e32 v[12:13], v[10:11]
	v_fma_f64 v[20:21], -v[10:11], v[12:13], 1.0
	v_fma_f64 v[12:13], v[12:13], v[20:21], v[12:13]
	v_div_scale_f64 v[20:21], vcc, v[2:3], v[0:1], v[2:3]
	v_fma_f64 v[22:23], -v[10:11], v[12:13], 1.0
	v_fma_f64 v[12:13], v[12:13], v[22:23], v[12:13]
	v_mul_f64 v[22:23], v[20:21], v[12:13]
	v_fma_f64 v[10:11], -v[10:11], v[22:23], v[20:21]
	v_div_fmas_f64 v[10:11], v[10:11], v[12:13], v[22:23]
	v_div_fixup_f64 v[10:11], v[10:11], v[0:1], v[2:3]
	v_fma_f64 v[0:1], v[2:3], v[10:11], v[0:1]
	v_div_scale_f64 v[2:3], s[16:17], v[0:1], v[0:1], 1.0
	v_div_scale_f64 v[22:23], vcc, 1.0, v[0:1], 1.0
	v_rcp_f64_e32 v[12:13], v[2:3]
	v_fma_f64 v[20:21], -v[2:3], v[12:13], 1.0
	v_fma_f64 v[12:13], v[12:13], v[20:21], v[12:13]
	v_fma_f64 v[20:21], -v[2:3], v[12:13], 1.0
	v_fma_f64 v[12:13], v[12:13], v[20:21], v[12:13]
	v_mul_f64 v[20:21], v[22:23], v[12:13]
	v_fma_f64 v[2:3], -v[2:3], v[20:21], v[22:23]
	v_div_fmas_f64 v[2:3], v[2:3], v[12:13], v[20:21]
	v_div_fixup_f64 v[0:1], v[2:3], v[0:1], 1.0
	v_mul_f64 v[2:3], v[10:11], -v[0:1]
.LBB124_1048:
	s_or_b64 exec, exec, s[18:19]
.LBB124_1049:
	s_or_b64 exec, exec, s[4:5]
	v_cmp_ne_u32_e32 vcc, v19, v4
	s_and_saveexec_b64 s[4:5], vcc
	s_xor_b64 s[4:5], exec, s[4:5]
	s_cbranch_execz .LBB124_1055
; %bb.1050:
	v_cmp_eq_u32_e32 vcc, 44, v19
	s_and_saveexec_b64 s[18:19], vcc
	s_cbranch_execz .LBB124_1054
; %bb.1051:
	v_cmp_ne_u32_e32 vcc, 44, v4
	s_xor_b64 s[16:17], s[10:11], -1
	s_and_b64 s[16:17], s[16:17], vcc
	s_and_saveexec_b64 s[24:25], s[16:17]
	s_cbranch_execz .LBB124_1053
; %bb.1052:
	v_ashrrev_i32_e32 v5, 31, v4
	v_lshlrev_b64 v[10:11], 2, v[4:5]
	v_add_co_u32_e32 v10, vcc, v8, v10
	v_addc_co_u32_e32 v11, vcc, v9, v11, vcc
	global_load_dword v5, v[10:11], off
	global_load_dword v12, v[8:9], off offset:176
	s_waitcnt vmcnt(1)
	global_store_dword v[8:9], v5, off offset:176
	s_waitcnt vmcnt(1)
	global_store_dword v[10:11], v12, off
.LBB124_1053:
	s_or_b64 exec, exec, s[24:25]
	v_mov_b32_e32 v19, v4
	v_mov_b32_e32 v18, v4
.LBB124_1054:
	s_or_b64 exec, exec, s[18:19]
.LBB124_1055:
	s_andn2_saveexec_b64 s[4:5], s[4:5]
	s_cbranch_execz .LBB124_1057
; %bb.1056:
	v_mov_b32_e32 v11, s42
	buffer_load_dword v4, v11, s[0:3], 0 offen
	buffer_load_dword v5, v11, s[0:3], 0 offen offset:4
	buffer_load_dword v10, v11, s[0:3], 0 offen offset:8
	s_nop 0
	buffer_load_dword v11, v11, s[0:3], 0 offen offset:12
	v_mov_b32_e32 v19, 44
	s_waitcnt vmcnt(0)
	ds_write2_b64 v16, v[4:5], v[10:11] offset0:90 offset1:91
	v_mov_b32_e32 v11, s41
	buffer_load_dword v4, v11, s[0:3], 0 offen
	buffer_load_dword v5, v11, s[0:3], 0 offen offset:4
	buffer_load_dword v10, v11, s[0:3], 0 offen offset:8
	s_nop 0
	buffer_load_dword v11, v11, s[0:3], 0 offen offset:12
	s_waitcnt vmcnt(0)
	ds_write2_b64 v16, v[4:5], v[10:11] offset0:92 offset1:93
	v_mov_b32_e32 v11, s40
	buffer_load_dword v4, v11, s[0:3], 0 offen
	buffer_load_dword v5, v11, s[0:3], 0 offen offset:4
	buffer_load_dword v10, v11, s[0:3], 0 offen offset:8
	s_nop 0
	buffer_load_dword v11, v11, s[0:3], 0 offen offset:12
	;; [unrolled: 8-line block ×17, first 2 shown]
	s_waitcnt vmcnt(0)
	ds_write2_b64 v16, v[4:5], v[10:11] offset0:124 offset1:125
.LBB124_1057:
	s_or_b64 exec, exec, s[4:5]
	v_cmp_lt_i32_e32 vcc, 44, v19
	s_waitcnt vmcnt(0) lgkmcnt(0)
	s_barrier
	s_and_saveexec_b64 s[4:5], vcc
	s_cbranch_execz .LBB124_1059
; %bb.1058:
	buffer_load_dword v4, off, s[0:3], 0 offset:704
	buffer_load_dword v5, off, s[0:3], 0 offset:708
	;; [unrolled: 1-line block ×16, first 2 shown]
	s_waitcnt vmcnt(12)
	v_mul_f64 v[30:31], v[2:3], v[10:11]
	v_fma_f64 v[30:31], v[0:1], v[4:5], -v[30:31]
	v_mul_f64 v[0:1], v[0:1], v[10:11]
	v_fma_f64 v[4:5], v[2:3], v[4:5], v[0:1]
	buffer_store_dword v30, off, s[0:3], 0 offset:704
	buffer_store_dword v31, off, s[0:3], 0 offset:708
	buffer_store_dword v4, off, s[0:3], 0 offset:712
	buffer_store_dword v5, off, s[0:3], 0 offset:716
	ds_read2_b64 v[0:3], v16 offset0:90 offset1:91
	s_waitcnt lgkmcnt(0)
	v_mul_f64 v[10:11], v[2:3], v[4:5]
	v_fma_f64 v[10:11], v[0:1], v[30:31], -v[10:11]
	v_mul_f64 v[0:1], v[0:1], v[4:5]
	v_fma_f64 v[0:1], v[2:3], v[30:31], v[0:1]
	s_waitcnt vmcnt(14)
	v_add_f64 v[2:3], v[12:13], -v[10:11]
	s_waitcnt vmcnt(12)
	v_add_f64 v[0:1], v[20:21], -v[0:1]
	buffer_store_dword v2, off, s[0:3], 0 offset:720
	buffer_store_dword v3, off, s[0:3], 0 offset:724
	buffer_store_dword v0, off, s[0:3], 0 offset:728
	buffer_store_dword v1, off, s[0:3], 0 offset:732
	ds_read2_b64 v[0:3], v16 offset0:92 offset1:93
	s_waitcnt lgkmcnt(0)
	v_mul_f64 v[10:11], v[2:3], v[4:5]
	v_fma_f64 v[10:11], v[0:1], v[30:31], -v[10:11]
	v_mul_f64 v[0:1], v[0:1], v[4:5]
	v_fma_f64 v[0:1], v[2:3], v[30:31], v[0:1]
	s_waitcnt vmcnt(14)
	v_add_f64 v[2:3], v[22:23], -v[10:11]
	s_waitcnt vmcnt(12)
	v_add_f64 v[0:1], v[24:25], -v[0:1]
	;; [unrolled: 14-line block ×3, first 2 shown]
	buffer_store_dword v3, off, s[0:3], 0 offset:756
	buffer_store_dword v2, off, s[0:3], 0 offset:752
	buffer_store_dword v0, off, s[0:3], 0 offset:760
	buffer_store_dword v1, off, s[0:3], 0 offset:764
	ds_read2_b64 v[0:3], v16 offset0:96 offset1:97
	s_waitcnt lgkmcnt(0)
	v_mul_f64 v[10:11], v[2:3], v[4:5]
	v_fma_f64 v[10:11], v[0:1], v[30:31], -v[10:11]
	v_mul_f64 v[0:1], v[0:1], v[4:5]
	v_fma_f64 v[0:1], v[2:3], v[30:31], v[0:1]
	buffer_load_dword v2, off, s[0:3], 0 offset:768
	buffer_load_dword v3, off, s[0:3], 0 offset:772
	buffer_load_dword v12, off, s[0:3], 0 offset:776
	buffer_load_dword v13, off, s[0:3], 0 offset:780
	s_waitcnt vmcnt(2)
	v_add_f64 v[2:3], v[2:3], -v[10:11]
	s_waitcnt vmcnt(0)
	v_add_f64 v[0:1], v[12:13], -v[0:1]
	buffer_store_dword v3, off, s[0:3], 0 offset:772
	buffer_store_dword v2, off, s[0:3], 0 offset:768
	buffer_store_dword v1, off, s[0:3], 0 offset:780
	buffer_store_dword v0, off, s[0:3], 0 offset:776
	ds_read2_b64 v[0:3], v16 offset0:98 offset1:99
	s_waitcnt lgkmcnt(0)
	v_mul_f64 v[10:11], v[2:3], v[4:5]
	v_fma_f64 v[10:11], v[0:1], v[30:31], -v[10:11]
	v_mul_f64 v[0:1], v[0:1], v[4:5]
	v_fma_f64 v[0:1], v[2:3], v[30:31], v[0:1]
	buffer_load_dword v2, off, s[0:3], 0 offset:784
	buffer_load_dword v3, off, s[0:3], 0 offset:788
	buffer_load_dword v12, off, s[0:3], 0 offset:792
	buffer_load_dword v13, off, s[0:3], 0 offset:796
	s_waitcnt vmcnt(2)
	v_add_f64 v[2:3], v[2:3], -v[10:11]
	s_waitcnt vmcnt(0)
	v_add_f64 v[0:1], v[12:13], -v[0:1]
	;; [unrolled: 18-line block ×3, first 2 shown]
	buffer_store_dword v3, off, s[0:3], 0 offset:804
	buffer_store_dword v2, off, s[0:3], 0 offset:800
	;; [unrolled: 1-line block ×4, first 2 shown]
	ds_read2_b64 v[10:13], v16 offset0:102 offset1:103
	buffer_load_dword v0, off, s[0:3], 0 offset:704
	buffer_load_dword v1, off, s[0:3], 0 offset:708
	;; [unrolled: 1-line block ×4, first 2 shown]
	s_waitcnt vmcnt(0) lgkmcnt(0)
	v_mul_f64 v[4:5], v[12:13], v[2:3]
	v_fma_f64 v[4:5], v[10:11], v[0:1], -v[4:5]
	v_mul_f64 v[10:11], v[10:11], v[2:3]
	v_fma_f64 v[10:11], v[12:13], v[0:1], v[10:11]
	buffer_load_dword v13, off, s[0:3], 0 offset:820
	buffer_load_dword v12, off, s[0:3], 0 offset:816
	s_waitcnt vmcnt(0)
	v_add_f64 v[4:5], v[12:13], -v[4:5]
	buffer_load_dword v13, off, s[0:3], 0 offset:828
	buffer_load_dword v12, off, s[0:3], 0 offset:824
	s_waitcnt vmcnt(0)
	v_add_f64 v[10:11], v[12:13], -v[10:11]
	buffer_store_dword v5, off, s[0:3], 0 offset:820
	buffer_store_dword v4, off, s[0:3], 0 offset:816
	buffer_store_dword v11, off, s[0:3], 0 offset:828
	buffer_store_dword v10, off, s[0:3], 0 offset:824
	ds_read2_b64 v[10:13], v16 offset0:104 offset1:105
	s_waitcnt lgkmcnt(0)
	v_mul_f64 v[4:5], v[12:13], v[2:3]
	v_fma_f64 v[4:5], v[10:11], v[0:1], -v[4:5]
	v_mul_f64 v[10:11], v[10:11], v[2:3]
	v_fma_f64 v[10:11], v[12:13], v[0:1], v[10:11]
	buffer_load_dword v12, off, s[0:3], 0 offset:832
	buffer_load_dword v13, off, s[0:3], 0 offset:836
	buffer_load_dword v20, off, s[0:3], 0 offset:840
	buffer_load_dword v21, off, s[0:3], 0 offset:844
	s_waitcnt vmcnt(2)
	v_add_f64 v[4:5], v[12:13], -v[4:5]
	s_waitcnt vmcnt(0)
	v_add_f64 v[10:11], v[20:21], -v[10:11]
	buffer_store_dword v5, off, s[0:3], 0 offset:836
	buffer_store_dword v4, off, s[0:3], 0 offset:832
	buffer_store_dword v11, off, s[0:3], 0 offset:844
	buffer_store_dword v10, off, s[0:3], 0 offset:840
	ds_read2_b64 v[10:13], v16 offset0:106 offset1:107
	s_waitcnt lgkmcnt(0)
	v_mul_f64 v[4:5], v[12:13], v[2:3]
	v_fma_f64 v[4:5], v[10:11], v[0:1], -v[4:5]
	v_mul_f64 v[10:11], v[10:11], v[2:3]
	v_fma_f64 v[10:11], v[12:13], v[0:1], v[10:11]
	buffer_load_dword v12, off, s[0:3], 0 offset:848
	buffer_load_dword v13, off, s[0:3], 0 offset:852
	buffer_load_dword v20, off, s[0:3], 0 offset:856
	buffer_load_dword v21, off, s[0:3], 0 offset:860
	s_waitcnt vmcnt(2)
	v_add_f64 v[4:5], v[12:13], -v[4:5]
	;; [unrolled: 18-line block ×4, first 2 shown]
	s_waitcnt vmcnt(0)
	v_add_f64 v[10:11], v[20:21], -v[10:11]
	buffer_store_dword v5, off, s[0:3], 0 offset:884
	buffer_store_dword v4, off, s[0:3], 0 offset:880
	;; [unrolled: 1-line block ×4, first 2 shown]
	ds_read2_b64 v[10:13], v16 offset0:112 offset1:113
	s_waitcnt lgkmcnt(0)
	v_mul_f64 v[4:5], v[12:13], v[2:3]
	v_mul_f64 v[2:3], v[10:11], v[2:3]
	v_fma_f64 v[4:5], v[10:11], v[0:1], -v[4:5]
	v_fma_f64 v[0:1], v[12:13], v[0:1], v[2:3]
	buffer_load_dword v2, off, s[0:3], 0 offset:896
	buffer_load_dword v3, off, s[0:3], 0 offset:900
	;; [unrolled: 1-line block ×4, first 2 shown]
	s_waitcnt vmcnt(2)
	v_add_f64 v[2:3], v[2:3], -v[4:5]
	s_waitcnt vmcnt(0)
	v_add_f64 v[0:1], v[10:11], -v[0:1]
	buffer_store_dword v3, off, s[0:3], 0 offset:900
	buffer_store_dword v2, off, s[0:3], 0 offset:896
	;; [unrolled: 1-line block ×4, first 2 shown]
	ds_read2_b64 v[10:13], v16 offset0:114 offset1:115
	buffer_load_dword v0, off, s[0:3], 0 offset:704
	buffer_load_dword v1, off, s[0:3], 0 offset:708
	buffer_load_dword v2, off, s[0:3], 0 offset:712
	buffer_load_dword v3, off, s[0:3], 0 offset:716
	s_waitcnt vmcnt(0) lgkmcnt(0)
	v_mul_f64 v[4:5], v[12:13], v[2:3]
	v_fma_f64 v[4:5], v[10:11], v[0:1], -v[4:5]
	v_mul_f64 v[10:11], v[10:11], v[2:3]
	v_fma_f64 v[10:11], v[12:13], v[0:1], v[10:11]
	buffer_load_dword v13, off, s[0:3], 0 offset:916
	buffer_load_dword v12, off, s[0:3], 0 offset:912
	s_waitcnt vmcnt(0)
	v_add_f64 v[4:5], v[12:13], -v[4:5]
	buffer_load_dword v13, off, s[0:3], 0 offset:924
	buffer_load_dword v12, off, s[0:3], 0 offset:920
	s_waitcnt vmcnt(0)
	v_add_f64 v[10:11], v[12:13], -v[10:11]
	buffer_store_dword v5, off, s[0:3], 0 offset:916
	buffer_store_dword v4, off, s[0:3], 0 offset:912
	buffer_store_dword v11, off, s[0:3], 0 offset:924
	buffer_store_dword v10, off, s[0:3], 0 offset:920
	ds_read2_b64 v[10:13], v16 offset0:116 offset1:117
	s_waitcnt lgkmcnt(0)
	v_mul_f64 v[4:5], v[12:13], v[2:3]
	v_fma_f64 v[4:5], v[10:11], v[0:1], -v[4:5]
	v_mul_f64 v[10:11], v[10:11], v[2:3]
	v_fma_f64 v[10:11], v[12:13], v[0:1], v[10:11]
	buffer_load_dword v12, off, s[0:3], 0 offset:928
	buffer_load_dword v13, off, s[0:3], 0 offset:932
	buffer_load_dword v20, off, s[0:3], 0 offset:936
	buffer_load_dword v21, off, s[0:3], 0 offset:940
	s_waitcnt vmcnt(2)
	v_add_f64 v[4:5], v[12:13], -v[4:5]
	s_waitcnt vmcnt(0)
	v_add_f64 v[10:11], v[20:21], -v[10:11]
	buffer_store_dword v5, off, s[0:3], 0 offset:932
	buffer_store_dword v4, off, s[0:3], 0 offset:928
	buffer_store_dword v11, off, s[0:3], 0 offset:940
	buffer_store_dword v10, off, s[0:3], 0 offset:936
	ds_read2_b64 v[10:13], v16 offset0:118 offset1:119
	s_waitcnt lgkmcnt(0)
	v_mul_f64 v[4:5], v[12:13], v[2:3]
	v_fma_f64 v[4:5], v[10:11], v[0:1], -v[4:5]
	v_mul_f64 v[10:11], v[10:11], v[2:3]
	v_fma_f64 v[10:11], v[12:13], v[0:1], v[10:11]
	buffer_load_dword v12, off, s[0:3], 0 offset:944
	buffer_load_dword v13, off, s[0:3], 0 offset:948
	buffer_load_dword v20, off, s[0:3], 0 offset:952
	buffer_load_dword v21, off, s[0:3], 0 offset:956
	s_waitcnt vmcnt(2)
	v_add_f64 v[4:5], v[12:13], -v[4:5]
	;; [unrolled: 18-line block ×4, first 2 shown]
	s_waitcnt vmcnt(0)
	v_add_f64 v[10:11], v[20:21], -v[10:11]
	buffer_store_dword v5, off, s[0:3], 0 offset:980
	buffer_store_dword v4, off, s[0:3], 0 offset:976
	;; [unrolled: 1-line block ×4, first 2 shown]
	ds_read2_b64 v[10:13], v16 offset0:124 offset1:125
	s_waitcnt lgkmcnt(0)
	v_mul_f64 v[4:5], v[12:13], v[2:3]
	v_mul_f64 v[2:3], v[10:11], v[2:3]
	v_fma_f64 v[4:5], v[10:11], v[0:1], -v[4:5]
	v_fma_f64 v[0:1], v[12:13], v[0:1], v[2:3]
	buffer_load_dword v2, off, s[0:3], 0 offset:992
	buffer_load_dword v3, off, s[0:3], 0 offset:996
	;; [unrolled: 1-line block ×4, first 2 shown]
	s_waitcnt vmcnt(2)
	v_add_f64 v[2:3], v[2:3], -v[4:5]
	s_waitcnt vmcnt(0)
	v_add_f64 v[0:1], v[10:11], -v[0:1]
	buffer_store_dword v3, off, s[0:3], 0 offset:996
	buffer_store_dword v2, off, s[0:3], 0 offset:992
	;; [unrolled: 1-line block ×4, first 2 shown]
.LBB124_1059:
	s_or_b64 exec, exec, s[4:5]
	v_mov_b32_e32 v3, s42
	s_waitcnt vmcnt(0)
	s_barrier
	buffer_load_dword v0, v3, s[0:3], 0 offen
	buffer_load_dword v1, v3, s[0:3], 0 offen offset:4
	buffer_load_dword v2, v3, s[0:3], 0 offen offset:8
	s_nop 0
	buffer_load_dword v3, v3, s[0:3], 0 offen offset:12
	v_lshl_add_u32 v4, v19, 4, v16
	s_cmp_lt_i32 s65, 47
	s_waitcnt vmcnt(0)
	ds_write2_b64 v4, v[0:1], v[2:3] offset1:1
	s_waitcnt lgkmcnt(0)
	s_barrier
	ds_read2_b64 v[0:3], v16 offset0:90 offset1:91
	v_mov_b32_e32 v4, 45
	s_cbranch_scc1 .LBB124_1062
; %bb.1060:
	v_add_u32_e32 v5, 0x2e0, v16
	s_mov_b32 s16, 46
	v_mov_b32_e32 v4, 45
.LBB124_1061:                           ; =>This Inner Loop Header: Depth=1
	s_waitcnt lgkmcnt(0)
	v_cmp_gt_f64_e32 vcc, 0, v[2:3]
	v_cmp_gt_f64_e64 s[4:5], 0, v[0:1]
	ds_read2_b64 v[10:13], v5 offset1:1
	v_xor_b32_e32 v21, 0x80000000, v1
	v_xor_b32_e32 v23, 0x80000000, v3
	v_mov_b32_e32 v20, v0
	v_mov_b32_e32 v22, v2
	s_waitcnt lgkmcnt(0)
	v_xor_b32_e32 v25, 0x80000000, v13
	v_cndmask_b32_e32 v23, v3, v23, vcc
	v_cndmask_b32_e64 v21, v1, v21, s[4:5]
	v_cmp_gt_f64_e32 vcc, 0, v[12:13]
	v_cmp_gt_f64_e64 s[4:5], 0, v[10:11]
	v_add_f64 v[20:21], v[20:21], v[22:23]
	v_xor_b32_e32 v23, 0x80000000, v11
	v_mov_b32_e32 v22, v10
	v_mov_b32_e32 v24, v12
	v_add_u32_e32 v5, 16, v5
	v_cndmask_b32_e32 v25, v13, v25, vcc
	v_cndmask_b32_e64 v23, v11, v23, s[4:5]
	v_add_f64 v[22:23], v[22:23], v[24:25]
	v_mov_b32_e32 v24, s16
	s_add_i32 s16, s16, 1
	s_cmp_lg_u32 s65, s16
	v_cmp_lt_f64_e32 vcc, v[20:21], v[22:23]
	v_cndmask_b32_e32 v1, v1, v11, vcc
	v_cndmask_b32_e32 v0, v0, v10, vcc
	;; [unrolled: 1-line block ×5, first 2 shown]
	s_cbranch_scc1 .LBB124_1061
.LBB124_1062:
	s_waitcnt lgkmcnt(0)
	v_cmp_eq_f64_e32 vcc, 0, v[0:1]
	v_cmp_eq_f64_e64 s[4:5], 0, v[2:3]
	s_and_b64 s[4:5], vcc, s[4:5]
	s_and_saveexec_b64 s[16:17], s[4:5]
	s_xor_b64 s[4:5], exec, s[16:17]
; %bb.1063:
	v_cmp_ne_u32_e32 vcc, 0, v17
	v_cndmask_b32_e32 v17, 46, v17, vcc
; %bb.1064:
	s_andn2_saveexec_b64 s[4:5], s[4:5]
	s_cbranch_execz .LBB124_1070
; %bb.1065:
	v_cmp_ngt_f64_e64 s[16:17], |v[0:1]|, |v[2:3]|
	s_and_saveexec_b64 s[18:19], s[16:17]
	s_xor_b64 s[18:19], exec, s[18:19]
	s_cbranch_execz .LBB124_1067
; %bb.1066:
	v_div_scale_f64 v[10:11], s[16:17], v[2:3], v[2:3], v[0:1]
	v_rcp_f64_e32 v[12:13], v[10:11]
	v_fma_f64 v[20:21], -v[10:11], v[12:13], 1.0
	v_fma_f64 v[12:13], v[12:13], v[20:21], v[12:13]
	v_div_scale_f64 v[20:21], vcc, v[0:1], v[2:3], v[0:1]
	v_fma_f64 v[22:23], -v[10:11], v[12:13], 1.0
	v_fma_f64 v[12:13], v[12:13], v[22:23], v[12:13]
	v_mul_f64 v[22:23], v[20:21], v[12:13]
	v_fma_f64 v[10:11], -v[10:11], v[22:23], v[20:21]
	v_div_fmas_f64 v[10:11], v[10:11], v[12:13], v[22:23]
	v_div_fixup_f64 v[10:11], v[10:11], v[2:3], v[0:1]
	v_fma_f64 v[0:1], v[0:1], v[10:11], v[2:3]
	v_div_scale_f64 v[2:3], s[16:17], v[0:1], v[0:1], 1.0
	v_div_scale_f64 v[22:23], vcc, 1.0, v[0:1], 1.0
	v_rcp_f64_e32 v[12:13], v[2:3]
	v_fma_f64 v[20:21], -v[2:3], v[12:13], 1.0
	v_fma_f64 v[12:13], v[12:13], v[20:21], v[12:13]
	v_fma_f64 v[20:21], -v[2:3], v[12:13], 1.0
	v_fma_f64 v[12:13], v[12:13], v[20:21], v[12:13]
	v_mul_f64 v[20:21], v[22:23], v[12:13]
	v_fma_f64 v[2:3], -v[2:3], v[20:21], v[22:23]
	v_div_fmas_f64 v[2:3], v[2:3], v[12:13], v[20:21]
	v_div_fixup_f64 v[2:3], v[2:3], v[0:1], 1.0
	v_mul_f64 v[0:1], v[10:11], v[2:3]
	v_xor_b32_e32 v3, 0x80000000, v3
.LBB124_1067:
	s_andn2_saveexec_b64 s[18:19], s[18:19]
	s_cbranch_execz .LBB124_1069
; %bb.1068:
	v_div_scale_f64 v[10:11], s[16:17], v[0:1], v[0:1], v[2:3]
	v_rcp_f64_e32 v[12:13], v[10:11]
	v_fma_f64 v[20:21], -v[10:11], v[12:13], 1.0
	v_fma_f64 v[12:13], v[12:13], v[20:21], v[12:13]
	v_div_scale_f64 v[20:21], vcc, v[2:3], v[0:1], v[2:3]
	v_fma_f64 v[22:23], -v[10:11], v[12:13], 1.0
	v_fma_f64 v[12:13], v[12:13], v[22:23], v[12:13]
	v_mul_f64 v[22:23], v[20:21], v[12:13]
	v_fma_f64 v[10:11], -v[10:11], v[22:23], v[20:21]
	v_div_fmas_f64 v[10:11], v[10:11], v[12:13], v[22:23]
	v_div_fixup_f64 v[10:11], v[10:11], v[0:1], v[2:3]
	v_fma_f64 v[0:1], v[2:3], v[10:11], v[0:1]
	v_div_scale_f64 v[2:3], s[16:17], v[0:1], v[0:1], 1.0
	v_div_scale_f64 v[22:23], vcc, 1.0, v[0:1], 1.0
	v_rcp_f64_e32 v[12:13], v[2:3]
	v_fma_f64 v[20:21], -v[2:3], v[12:13], 1.0
	v_fma_f64 v[12:13], v[12:13], v[20:21], v[12:13]
	v_fma_f64 v[20:21], -v[2:3], v[12:13], 1.0
	v_fma_f64 v[12:13], v[12:13], v[20:21], v[12:13]
	v_mul_f64 v[20:21], v[22:23], v[12:13]
	v_fma_f64 v[2:3], -v[2:3], v[20:21], v[22:23]
	v_div_fmas_f64 v[2:3], v[2:3], v[12:13], v[20:21]
	v_div_fixup_f64 v[0:1], v[2:3], v[0:1], 1.0
	v_mul_f64 v[2:3], v[10:11], -v[0:1]
.LBB124_1069:
	s_or_b64 exec, exec, s[18:19]
.LBB124_1070:
	s_or_b64 exec, exec, s[4:5]
	v_cmp_ne_u32_e32 vcc, v19, v4
	s_and_saveexec_b64 s[4:5], vcc
	s_xor_b64 s[4:5], exec, s[4:5]
	s_cbranch_execz .LBB124_1076
; %bb.1071:
	v_cmp_eq_u32_e32 vcc, 45, v19
	s_and_saveexec_b64 s[18:19], vcc
	s_cbranch_execz .LBB124_1075
; %bb.1072:
	v_cmp_ne_u32_e32 vcc, 45, v4
	s_xor_b64 s[16:17], s[10:11], -1
	s_and_b64 s[16:17], s[16:17], vcc
	s_and_saveexec_b64 s[24:25], s[16:17]
	s_cbranch_execz .LBB124_1074
; %bb.1073:
	v_ashrrev_i32_e32 v5, 31, v4
	v_lshlrev_b64 v[10:11], 2, v[4:5]
	v_add_co_u32_e32 v10, vcc, v8, v10
	v_addc_co_u32_e32 v11, vcc, v9, v11, vcc
	global_load_dword v5, v[10:11], off
	global_load_dword v12, v[8:9], off offset:180
	s_waitcnt vmcnt(1)
	global_store_dword v[8:9], v5, off offset:180
	s_waitcnt vmcnt(1)
	global_store_dword v[10:11], v12, off
.LBB124_1074:
	s_or_b64 exec, exec, s[24:25]
	v_mov_b32_e32 v19, v4
	v_mov_b32_e32 v18, v4
.LBB124_1075:
	s_or_b64 exec, exec, s[18:19]
.LBB124_1076:
	s_andn2_saveexec_b64 s[4:5], s[4:5]
	s_cbranch_execz .LBB124_1078
; %bb.1077:
	v_mov_b32_e32 v11, s41
	buffer_load_dword v4, v11, s[0:3], 0 offen
	buffer_load_dword v5, v11, s[0:3], 0 offen offset:4
	buffer_load_dword v10, v11, s[0:3], 0 offen offset:8
	s_nop 0
	buffer_load_dword v11, v11, s[0:3], 0 offen offset:12
	v_mov_b32_e32 v19, 45
	s_waitcnt vmcnt(0)
	ds_write2_b64 v16, v[4:5], v[10:11] offset0:92 offset1:93
	v_mov_b32_e32 v11, s40
	buffer_load_dword v4, v11, s[0:3], 0 offen
	buffer_load_dword v5, v11, s[0:3], 0 offen offset:4
	buffer_load_dword v10, v11, s[0:3], 0 offen offset:8
	s_nop 0
	buffer_load_dword v11, v11, s[0:3], 0 offen offset:12
	s_waitcnt vmcnt(0)
	ds_write2_b64 v16, v[4:5], v[10:11] offset0:94 offset1:95
	v_mov_b32_e32 v11, s39
	buffer_load_dword v4, v11, s[0:3], 0 offen
	buffer_load_dword v5, v11, s[0:3], 0 offen offset:4
	buffer_load_dword v10, v11, s[0:3], 0 offen offset:8
	s_nop 0
	buffer_load_dword v11, v11, s[0:3], 0 offen offset:12
	s_waitcnt vmcnt(0)
	ds_write2_b64 v16, v[4:5], v[10:11] offset0:96 offset1:97
	v_mov_b32_e32 v11, s38
	buffer_load_dword v4, v11, s[0:3], 0 offen
	buffer_load_dword v5, v11, s[0:3], 0 offen offset:4
	buffer_load_dword v10, v11, s[0:3], 0 offen offset:8
	s_nop 0
	buffer_load_dword v11, v11, s[0:3], 0 offen offset:12
	s_waitcnt vmcnt(0)
	ds_write2_b64 v16, v[4:5], v[10:11] offset0:98 offset1:99
	v_mov_b32_e32 v11, s37
	buffer_load_dword v4, v11, s[0:3], 0 offen
	buffer_load_dword v5, v11, s[0:3], 0 offen offset:4
	buffer_load_dword v10, v11, s[0:3], 0 offen offset:8
	s_nop 0
	buffer_load_dword v11, v11, s[0:3], 0 offen offset:12
	s_waitcnt vmcnt(0)
	ds_write2_b64 v16, v[4:5], v[10:11] offset0:100 offset1:101
	v_mov_b32_e32 v11, s36
	buffer_load_dword v4, v11, s[0:3], 0 offen
	buffer_load_dword v5, v11, s[0:3], 0 offen offset:4
	buffer_load_dword v10, v11, s[0:3], 0 offen offset:8
	s_nop 0
	buffer_load_dword v11, v11, s[0:3], 0 offen offset:12
	s_waitcnt vmcnt(0)
	ds_write2_b64 v16, v[4:5], v[10:11] offset0:102 offset1:103
	v_mov_b32_e32 v11, s35
	buffer_load_dword v4, v11, s[0:3], 0 offen
	buffer_load_dword v5, v11, s[0:3], 0 offen offset:4
	buffer_load_dword v10, v11, s[0:3], 0 offen offset:8
	s_nop 0
	buffer_load_dword v11, v11, s[0:3], 0 offen offset:12
	s_waitcnt vmcnt(0)
	ds_write2_b64 v16, v[4:5], v[10:11] offset0:104 offset1:105
	v_mov_b32_e32 v11, s34
	buffer_load_dword v4, v11, s[0:3], 0 offen
	buffer_load_dword v5, v11, s[0:3], 0 offen offset:4
	buffer_load_dword v10, v11, s[0:3], 0 offen offset:8
	s_nop 0
	buffer_load_dword v11, v11, s[0:3], 0 offen offset:12
	s_waitcnt vmcnt(0)
	ds_write2_b64 v16, v[4:5], v[10:11] offset0:106 offset1:107
	v_mov_b32_e32 v11, s33
	buffer_load_dword v4, v11, s[0:3], 0 offen
	buffer_load_dword v5, v11, s[0:3], 0 offen offset:4
	buffer_load_dword v10, v11, s[0:3], 0 offen offset:8
	s_nop 0
	buffer_load_dword v11, v11, s[0:3], 0 offen offset:12
	s_waitcnt vmcnt(0)
	ds_write2_b64 v16, v[4:5], v[10:11] offset0:108 offset1:109
	v_mov_b32_e32 v11, s31
	buffer_load_dword v4, v11, s[0:3], 0 offen
	buffer_load_dword v5, v11, s[0:3], 0 offen offset:4
	buffer_load_dword v10, v11, s[0:3], 0 offen offset:8
	s_nop 0
	buffer_load_dword v11, v11, s[0:3], 0 offen offset:12
	s_waitcnt vmcnt(0)
	ds_write2_b64 v16, v[4:5], v[10:11] offset0:110 offset1:111
	v_mov_b32_e32 v11, s30
	buffer_load_dword v4, v11, s[0:3], 0 offen
	buffer_load_dword v5, v11, s[0:3], 0 offen offset:4
	buffer_load_dword v10, v11, s[0:3], 0 offen offset:8
	s_nop 0
	buffer_load_dword v11, v11, s[0:3], 0 offen offset:12
	s_waitcnt vmcnt(0)
	ds_write2_b64 v16, v[4:5], v[10:11] offset0:112 offset1:113
	v_mov_b32_e32 v11, s29
	buffer_load_dword v4, v11, s[0:3], 0 offen
	buffer_load_dword v5, v11, s[0:3], 0 offen offset:4
	buffer_load_dword v10, v11, s[0:3], 0 offen offset:8
	s_nop 0
	buffer_load_dword v11, v11, s[0:3], 0 offen offset:12
	s_waitcnt vmcnt(0)
	ds_write2_b64 v16, v[4:5], v[10:11] offset0:114 offset1:115
	v_mov_b32_e32 v11, s28
	buffer_load_dword v4, v11, s[0:3], 0 offen
	buffer_load_dword v5, v11, s[0:3], 0 offen offset:4
	buffer_load_dword v10, v11, s[0:3], 0 offen offset:8
	s_nop 0
	buffer_load_dword v11, v11, s[0:3], 0 offen offset:12
	s_waitcnt vmcnt(0)
	ds_write2_b64 v16, v[4:5], v[10:11] offset0:116 offset1:117
	v_mov_b32_e32 v11, s27
	buffer_load_dword v4, v11, s[0:3], 0 offen
	buffer_load_dword v5, v11, s[0:3], 0 offen offset:4
	buffer_load_dword v10, v11, s[0:3], 0 offen offset:8
	s_nop 0
	buffer_load_dword v11, v11, s[0:3], 0 offen offset:12
	s_waitcnt vmcnt(0)
	ds_write2_b64 v16, v[4:5], v[10:11] offset0:118 offset1:119
	v_mov_b32_e32 v11, s26
	buffer_load_dword v4, v11, s[0:3], 0 offen
	buffer_load_dword v5, v11, s[0:3], 0 offen offset:4
	buffer_load_dword v10, v11, s[0:3], 0 offen offset:8
	s_nop 0
	buffer_load_dword v11, v11, s[0:3], 0 offen offset:12
	s_waitcnt vmcnt(0)
	ds_write2_b64 v16, v[4:5], v[10:11] offset0:120 offset1:121
	v_mov_b32_e32 v11, s20
	buffer_load_dword v4, v11, s[0:3], 0 offen
	buffer_load_dword v5, v11, s[0:3], 0 offen offset:4
	buffer_load_dword v10, v11, s[0:3], 0 offen offset:8
	s_nop 0
	buffer_load_dword v11, v11, s[0:3], 0 offen offset:12
	s_waitcnt vmcnt(0)
	ds_write2_b64 v16, v[4:5], v[10:11] offset0:122 offset1:123
	v_mov_b32_e32 v11, s7
	buffer_load_dword v4, v11, s[0:3], 0 offen
	buffer_load_dword v5, v11, s[0:3], 0 offen offset:4
	buffer_load_dword v10, v11, s[0:3], 0 offen offset:8
	s_nop 0
	buffer_load_dword v11, v11, s[0:3], 0 offen offset:12
	s_waitcnt vmcnt(0)
	ds_write2_b64 v16, v[4:5], v[10:11] offset0:124 offset1:125
.LBB124_1078:
	s_or_b64 exec, exec, s[4:5]
	v_cmp_lt_i32_e32 vcc, 45, v19
	s_waitcnt vmcnt(0) lgkmcnt(0)
	s_barrier
	s_and_saveexec_b64 s[4:5], vcc
	s_cbranch_execz .LBB124_1080
; %bb.1079:
	buffer_load_dword v10, off, s[0:3], 0 offset:720
	buffer_load_dword v11, off, s[0:3], 0 offset:724
	;; [unrolled: 1-line block ×16, first 2 shown]
	s_waitcnt vmcnt(12)
	v_mul_f64 v[4:5], v[2:3], v[12:13]
	v_fma_f64 v[4:5], v[0:1], v[10:11], -v[4:5]
	v_mul_f64 v[0:1], v[0:1], v[12:13]
	v_fma_f64 v[10:11], v[2:3], v[10:11], v[0:1]
	buffer_store_dword v4, off, s[0:3], 0 offset:720
	buffer_store_dword v5, off, s[0:3], 0 offset:724
	buffer_store_dword v10, off, s[0:3], 0 offset:728
	buffer_store_dword v11, off, s[0:3], 0 offset:732
	ds_read2_b64 v[0:3], v16 offset0:92 offset1:93
	s_waitcnt lgkmcnt(0)
	v_mul_f64 v[12:13], v[2:3], v[10:11]
	v_fma_f64 v[12:13], v[0:1], v[4:5], -v[12:13]
	v_mul_f64 v[0:1], v[0:1], v[10:11]
	v_fma_f64 v[0:1], v[2:3], v[4:5], v[0:1]
	s_waitcnt vmcnt(14)
	v_add_f64 v[2:3], v[20:21], -v[12:13]
	s_waitcnt vmcnt(12)
	v_add_f64 v[0:1], v[22:23], -v[0:1]
	buffer_store_dword v2, off, s[0:3], 0 offset:736
	buffer_store_dword v3, off, s[0:3], 0 offset:740
	buffer_store_dword v0, off, s[0:3], 0 offset:744
	buffer_store_dword v1, off, s[0:3], 0 offset:748
	ds_read2_b64 v[0:3], v16 offset0:94 offset1:95
	s_waitcnt lgkmcnt(0)
	v_mul_f64 v[12:13], v[2:3], v[10:11]
	v_fma_f64 v[12:13], v[0:1], v[4:5], -v[12:13]
	v_mul_f64 v[0:1], v[0:1], v[10:11]
	v_fma_f64 v[0:1], v[2:3], v[4:5], v[0:1]
	s_waitcnt vmcnt(14)
	v_add_f64 v[2:3], v[24:25], -v[12:13]
	s_waitcnt vmcnt(12)
	v_add_f64 v[0:1], v[26:27], -v[0:1]
	;; [unrolled: 14-line block ×3, first 2 shown]
	buffer_store_dword v3, off, s[0:3], 0 offset:772
	buffer_store_dword v2, off, s[0:3], 0 offset:768
	buffer_store_dword v0, off, s[0:3], 0 offset:776
	buffer_store_dword v1, off, s[0:3], 0 offset:780
	ds_read2_b64 v[0:3], v16 offset0:98 offset1:99
	s_waitcnt lgkmcnt(0)
	v_mul_f64 v[12:13], v[2:3], v[10:11]
	v_fma_f64 v[12:13], v[0:1], v[4:5], -v[12:13]
	v_mul_f64 v[0:1], v[0:1], v[10:11]
	v_fma_f64 v[0:1], v[2:3], v[4:5], v[0:1]
	buffer_load_dword v2, off, s[0:3], 0 offset:784
	buffer_load_dword v3, off, s[0:3], 0 offset:788
	buffer_load_dword v20, off, s[0:3], 0 offset:792
	buffer_load_dword v21, off, s[0:3], 0 offset:796
	s_waitcnt vmcnt(2)
	v_add_f64 v[2:3], v[2:3], -v[12:13]
	s_waitcnt vmcnt(0)
	v_add_f64 v[0:1], v[20:21], -v[0:1]
	buffer_store_dword v3, off, s[0:3], 0 offset:788
	buffer_store_dword v2, off, s[0:3], 0 offset:784
	buffer_store_dword v1, off, s[0:3], 0 offset:796
	buffer_store_dword v0, off, s[0:3], 0 offset:792
	ds_read2_b64 v[0:3], v16 offset0:100 offset1:101
	s_waitcnt lgkmcnt(0)
	v_mul_f64 v[12:13], v[2:3], v[10:11]
	v_fma_f64 v[12:13], v[0:1], v[4:5], -v[12:13]
	v_mul_f64 v[0:1], v[0:1], v[10:11]
	v_fma_f64 v[0:1], v[2:3], v[4:5], v[0:1]
	buffer_load_dword v2, off, s[0:3], 0 offset:800
	buffer_load_dword v3, off, s[0:3], 0 offset:804
	buffer_load_dword v20, off, s[0:3], 0 offset:808
	buffer_load_dword v21, off, s[0:3], 0 offset:812
	s_waitcnt vmcnt(2)
	v_add_f64 v[2:3], v[2:3], -v[12:13]
	s_waitcnt vmcnt(0)
	v_add_f64 v[0:1], v[20:21], -v[0:1]
	buffer_store_dword v3, off, s[0:3], 0 offset:804
	buffer_store_dword v2, off, s[0:3], 0 offset:800
	buffer_store_dword v1, off, s[0:3], 0 offset:812
	buffer_store_dword v0, off, s[0:3], 0 offset:808
	ds_read2_b64 v[0:3], v16 offset0:102 offset1:103
	s_waitcnt lgkmcnt(0)
	v_mul_f64 v[12:13], v[2:3], v[10:11]
	v_fma_f64 v[12:13], v[0:1], v[4:5], -v[12:13]
	v_mul_f64 v[0:1], v[0:1], v[10:11]
	v_fma_f64 v[0:1], v[2:3], v[4:5], v[0:1]
	buffer_load_dword v2, off, s[0:3], 0 offset:816
	buffer_load_dword v3, off, s[0:3], 0 offset:820
	buffer_load_dword v4, off, s[0:3], 0 offset:824
	buffer_load_dword v5, off, s[0:3], 0 offset:828
	s_waitcnt vmcnt(2)
	v_add_f64 v[2:3], v[2:3], -v[12:13]
	s_waitcnt vmcnt(0)
	v_add_f64 v[0:1], v[4:5], -v[0:1]
	buffer_store_dword v3, off, s[0:3], 0 offset:820
	buffer_store_dword v2, off, s[0:3], 0 offset:816
	;; [unrolled: 1-line block ×4, first 2 shown]
	ds_read2_b64 v[2:5], v16 offset0:104 offset1:105
	buffer_load_dword v0, off, s[0:3], 0 offset:720
	buffer_load_dword v1, off, s[0:3], 0 offset:724
	;; [unrolled: 1-line block ×4, first 2 shown]
	s_waitcnt vmcnt(0) lgkmcnt(0)
	v_mul_f64 v[12:13], v[4:5], v[10:11]
	v_fma_f64 v[12:13], v[2:3], v[0:1], -v[12:13]
	v_mul_f64 v[2:3], v[2:3], v[10:11]
	v_fma_f64 v[2:3], v[4:5], v[0:1], v[2:3]
	buffer_load_dword v5, off, s[0:3], 0 offset:836
	buffer_load_dword v4, off, s[0:3], 0 offset:832
	s_waitcnt vmcnt(0)
	v_add_f64 v[4:5], v[4:5], -v[12:13]
	buffer_load_dword v13, off, s[0:3], 0 offset:844
	buffer_load_dword v12, off, s[0:3], 0 offset:840
	s_waitcnt vmcnt(0)
	v_add_f64 v[2:3], v[12:13], -v[2:3]
	buffer_store_dword v5, off, s[0:3], 0 offset:836
	buffer_store_dword v4, off, s[0:3], 0 offset:832
	buffer_store_dword v3, off, s[0:3], 0 offset:844
	buffer_store_dword v2, off, s[0:3], 0 offset:840
	ds_read2_b64 v[2:5], v16 offset0:106 offset1:107
	s_waitcnt lgkmcnt(0)
	v_mul_f64 v[12:13], v[4:5], v[10:11]
	v_fma_f64 v[12:13], v[2:3], v[0:1], -v[12:13]
	v_mul_f64 v[2:3], v[2:3], v[10:11]
	v_fma_f64 v[2:3], v[4:5], v[0:1], v[2:3]
	buffer_load_dword v4, off, s[0:3], 0 offset:848
	buffer_load_dword v5, off, s[0:3], 0 offset:852
	buffer_load_dword v20, off, s[0:3], 0 offset:856
	buffer_load_dword v21, off, s[0:3], 0 offset:860
	s_waitcnt vmcnt(2)
	v_add_f64 v[4:5], v[4:5], -v[12:13]
	s_waitcnt vmcnt(0)
	v_add_f64 v[2:3], v[20:21], -v[2:3]
	buffer_store_dword v5, off, s[0:3], 0 offset:852
	buffer_store_dword v4, off, s[0:3], 0 offset:848
	buffer_store_dword v3, off, s[0:3], 0 offset:860
	buffer_store_dword v2, off, s[0:3], 0 offset:856
	ds_read2_b64 v[2:5], v16 offset0:108 offset1:109
	s_waitcnt lgkmcnt(0)
	v_mul_f64 v[12:13], v[4:5], v[10:11]
	v_fma_f64 v[12:13], v[2:3], v[0:1], -v[12:13]
	v_mul_f64 v[2:3], v[2:3], v[10:11]
	v_fma_f64 v[2:3], v[4:5], v[0:1], v[2:3]
	buffer_load_dword v4, off, s[0:3], 0 offset:864
	buffer_load_dword v5, off, s[0:3], 0 offset:868
	buffer_load_dword v20, off, s[0:3], 0 offset:872
	buffer_load_dword v21, off, s[0:3], 0 offset:876
	s_waitcnt vmcnt(2)
	v_add_f64 v[4:5], v[4:5], -v[12:13]
	;; [unrolled: 18-line block ×5, first 2 shown]
	s_waitcnt vmcnt(0)
	v_add_f64 v[0:1], v[4:5], -v[0:1]
	buffer_store_dword v3, off, s[0:3], 0 offset:916
	buffer_store_dword v2, off, s[0:3], 0 offset:912
	;; [unrolled: 1-line block ×4, first 2 shown]
	ds_read2_b64 v[10:13], v16 offset0:116 offset1:117
	buffer_load_dword v0, off, s[0:3], 0 offset:720
	buffer_load_dword v1, off, s[0:3], 0 offset:724
	buffer_load_dword v2, off, s[0:3], 0 offset:728
	buffer_load_dword v3, off, s[0:3], 0 offset:732
	s_waitcnt vmcnt(0) lgkmcnt(0)
	v_mul_f64 v[4:5], v[12:13], v[2:3]
	v_fma_f64 v[4:5], v[10:11], v[0:1], -v[4:5]
	v_mul_f64 v[10:11], v[10:11], v[2:3]
	v_fma_f64 v[10:11], v[12:13], v[0:1], v[10:11]
	buffer_load_dword v13, off, s[0:3], 0 offset:932
	buffer_load_dword v12, off, s[0:3], 0 offset:928
	s_waitcnt vmcnt(0)
	v_add_f64 v[4:5], v[12:13], -v[4:5]
	buffer_load_dword v13, off, s[0:3], 0 offset:940
	buffer_load_dword v12, off, s[0:3], 0 offset:936
	s_waitcnt vmcnt(0)
	v_add_f64 v[10:11], v[12:13], -v[10:11]
	buffer_store_dword v5, off, s[0:3], 0 offset:932
	buffer_store_dword v4, off, s[0:3], 0 offset:928
	buffer_store_dword v11, off, s[0:3], 0 offset:940
	buffer_store_dword v10, off, s[0:3], 0 offset:936
	ds_read2_b64 v[10:13], v16 offset0:118 offset1:119
	s_waitcnt lgkmcnt(0)
	v_mul_f64 v[4:5], v[12:13], v[2:3]
	v_fma_f64 v[4:5], v[10:11], v[0:1], -v[4:5]
	v_mul_f64 v[10:11], v[10:11], v[2:3]
	v_fma_f64 v[10:11], v[12:13], v[0:1], v[10:11]
	buffer_load_dword v12, off, s[0:3], 0 offset:944
	buffer_load_dword v13, off, s[0:3], 0 offset:948
	buffer_load_dword v20, off, s[0:3], 0 offset:952
	buffer_load_dword v21, off, s[0:3], 0 offset:956
	s_waitcnt vmcnt(2)
	v_add_f64 v[4:5], v[12:13], -v[4:5]
	s_waitcnt vmcnt(0)
	v_add_f64 v[10:11], v[20:21], -v[10:11]
	buffer_store_dword v5, off, s[0:3], 0 offset:948
	buffer_store_dword v4, off, s[0:3], 0 offset:944
	buffer_store_dword v11, off, s[0:3], 0 offset:956
	buffer_store_dword v10, off, s[0:3], 0 offset:952
	ds_read2_b64 v[10:13], v16 offset0:120 offset1:121
	s_waitcnt lgkmcnt(0)
	v_mul_f64 v[4:5], v[12:13], v[2:3]
	v_fma_f64 v[4:5], v[10:11], v[0:1], -v[4:5]
	v_mul_f64 v[10:11], v[10:11], v[2:3]
	v_fma_f64 v[10:11], v[12:13], v[0:1], v[10:11]
	buffer_load_dword v12, off, s[0:3], 0 offset:960
	buffer_load_dword v13, off, s[0:3], 0 offset:964
	buffer_load_dword v20, off, s[0:3], 0 offset:968
	buffer_load_dword v21, off, s[0:3], 0 offset:972
	s_waitcnt vmcnt(2)
	v_add_f64 v[4:5], v[12:13], -v[4:5]
	;; [unrolled: 18-line block ×3, first 2 shown]
	s_waitcnt vmcnt(0)
	v_add_f64 v[10:11], v[20:21], -v[10:11]
	buffer_store_dword v5, off, s[0:3], 0 offset:980
	buffer_store_dword v4, off, s[0:3], 0 offset:976
	buffer_store_dword v11, off, s[0:3], 0 offset:988
	buffer_store_dword v10, off, s[0:3], 0 offset:984
	ds_read2_b64 v[10:13], v16 offset0:124 offset1:125
	s_waitcnt lgkmcnt(0)
	v_mul_f64 v[4:5], v[12:13], v[2:3]
	v_mul_f64 v[2:3], v[10:11], v[2:3]
	v_fma_f64 v[4:5], v[10:11], v[0:1], -v[4:5]
	v_fma_f64 v[0:1], v[12:13], v[0:1], v[2:3]
	buffer_load_dword v2, off, s[0:3], 0 offset:992
	buffer_load_dword v3, off, s[0:3], 0 offset:996
	;; [unrolled: 1-line block ×4, first 2 shown]
	s_waitcnt vmcnt(2)
	v_add_f64 v[2:3], v[2:3], -v[4:5]
	s_waitcnt vmcnt(0)
	v_add_f64 v[0:1], v[10:11], -v[0:1]
	buffer_store_dword v3, off, s[0:3], 0 offset:996
	buffer_store_dword v2, off, s[0:3], 0 offset:992
	;; [unrolled: 1-line block ×4, first 2 shown]
.LBB124_1080:
	s_or_b64 exec, exec, s[4:5]
	v_mov_b32_e32 v3, s41
	s_waitcnt vmcnt(0)
	s_barrier
	buffer_load_dword v0, v3, s[0:3], 0 offen
	buffer_load_dword v1, v3, s[0:3], 0 offen offset:4
	buffer_load_dword v2, v3, s[0:3], 0 offen offset:8
	s_nop 0
	buffer_load_dword v3, v3, s[0:3], 0 offen offset:12
	v_lshl_add_u32 v4, v19, 4, v16
	s_cmp_lt_i32 s65, 48
	s_waitcnt vmcnt(0)
	ds_write2_b64 v4, v[0:1], v[2:3] offset1:1
	s_waitcnt lgkmcnt(0)
	s_barrier
	ds_read2_b64 v[0:3], v16 offset0:92 offset1:93
	v_mov_b32_e32 v4, 46
	s_cbranch_scc1 .LBB124_1083
; %bb.1081:
	v_add_u32_e32 v5, 0x2f0, v16
	s_mov_b32 s16, 47
	v_mov_b32_e32 v4, 46
.LBB124_1082:                           ; =>This Inner Loop Header: Depth=1
	s_waitcnt lgkmcnt(0)
	v_cmp_gt_f64_e32 vcc, 0, v[2:3]
	v_cmp_gt_f64_e64 s[4:5], 0, v[0:1]
	ds_read2_b64 v[10:13], v5 offset1:1
	v_xor_b32_e32 v21, 0x80000000, v1
	v_xor_b32_e32 v23, 0x80000000, v3
	v_mov_b32_e32 v20, v0
	v_mov_b32_e32 v22, v2
	s_waitcnt lgkmcnt(0)
	v_xor_b32_e32 v25, 0x80000000, v13
	v_cndmask_b32_e32 v23, v3, v23, vcc
	v_cndmask_b32_e64 v21, v1, v21, s[4:5]
	v_cmp_gt_f64_e32 vcc, 0, v[12:13]
	v_cmp_gt_f64_e64 s[4:5], 0, v[10:11]
	v_add_f64 v[20:21], v[20:21], v[22:23]
	v_xor_b32_e32 v23, 0x80000000, v11
	v_mov_b32_e32 v22, v10
	v_mov_b32_e32 v24, v12
	v_add_u32_e32 v5, 16, v5
	v_cndmask_b32_e32 v25, v13, v25, vcc
	v_cndmask_b32_e64 v23, v11, v23, s[4:5]
	v_add_f64 v[22:23], v[22:23], v[24:25]
	v_mov_b32_e32 v24, s16
	s_add_i32 s16, s16, 1
	s_cmp_lg_u32 s65, s16
	v_cmp_lt_f64_e32 vcc, v[20:21], v[22:23]
	v_cndmask_b32_e32 v1, v1, v11, vcc
	v_cndmask_b32_e32 v0, v0, v10, vcc
	;; [unrolled: 1-line block ×5, first 2 shown]
	s_cbranch_scc1 .LBB124_1082
.LBB124_1083:
	s_waitcnt lgkmcnt(0)
	v_cmp_eq_f64_e32 vcc, 0, v[0:1]
	v_cmp_eq_f64_e64 s[4:5], 0, v[2:3]
	s_and_b64 s[4:5], vcc, s[4:5]
	s_and_saveexec_b64 s[16:17], s[4:5]
	s_xor_b64 s[4:5], exec, s[16:17]
; %bb.1084:
	v_cmp_ne_u32_e32 vcc, 0, v17
	v_cndmask_b32_e32 v17, 47, v17, vcc
; %bb.1085:
	s_andn2_saveexec_b64 s[4:5], s[4:5]
	s_cbranch_execz .LBB124_1091
; %bb.1086:
	v_cmp_ngt_f64_e64 s[16:17], |v[0:1]|, |v[2:3]|
	s_and_saveexec_b64 s[18:19], s[16:17]
	s_xor_b64 s[18:19], exec, s[18:19]
	s_cbranch_execz .LBB124_1088
; %bb.1087:
	v_div_scale_f64 v[10:11], s[16:17], v[2:3], v[2:3], v[0:1]
	v_rcp_f64_e32 v[12:13], v[10:11]
	v_fma_f64 v[20:21], -v[10:11], v[12:13], 1.0
	v_fma_f64 v[12:13], v[12:13], v[20:21], v[12:13]
	v_div_scale_f64 v[20:21], vcc, v[0:1], v[2:3], v[0:1]
	v_fma_f64 v[22:23], -v[10:11], v[12:13], 1.0
	v_fma_f64 v[12:13], v[12:13], v[22:23], v[12:13]
	v_mul_f64 v[22:23], v[20:21], v[12:13]
	v_fma_f64 v[10:11], -v[10:11], v[22:23], v[20:21]
	v_div_fmas_f64 v[10:11], v[10:11], v[12:13], v[22:23]
	v_div_fixup_f64 v[10:11], v[10:11], v[2:3], v[0:1]
	v_fma_f64 v[0:1], v[0:1], v[10:11], v[2:3]
	v_div_scale_f64 v[2:3], s[16:17], v[0:1], v[0:1], 1.0
	v_div_scale_f64 v[22:23], vcc, 1.0, v[0:1], 1.0
	v_rcp_f64_e32 v[12:13], v[2:3]
	v_fma_f64 v[20:21], -v[2:3], v[12:13], 1.0
	v_fma_f64 v[12:13], v[12:13], v[20:21], v[12:13]
	v_fma_f64 v[20:21], -v[2:3], v[12:13], 1.0
	v_fma_f64 v[12:13], v[12:13], v[20:21], v[12:13]
	v_mul_f64 v[20:21], v[22:23], v[12:13]
	v_fma_f64 v[2:3], -v[2:3], v[20:21], v[22:23]
	v_div_fmas_f64 v[2:3], v[2:3], v[12:13], v[20:21]
	v_div_fixup_f64 v[2:3], v[2:3], v[0:1], 1.0
	v_mul_f64 v[0:1], v[10:11], v[2:3]
	v_xor_b32_e32 v3, 0x80000000, v3
.LBB124_1088:
	s_andn2_saveexec_b64 s[18:19], s[18:19]
	s_cbranch_execz .LBB124_1090
; %bb.1089:
	v_div_scale_f64 v[10:11], s[16:17], v[0:1], v[0:1], v[2:3]
	v_rcp_f64_e32 v[12:13], v[10:11]
	v_fma_f64 v[20:21], -v[10:11], v[12:13], 1.0
	v_fma_f64 v[12:13], v[12:13], v[20:21], v[12:13]
	v_div_scale_f64 v[20:21], vcc, v[2:3], v[0:1], v[2:3]
	v_fma_f64 v[22:23], -v[10:11], v[12:13], 1.0
	v_fma_f64 v[12:13], v[12:13], v[22:23], v[12:13]
	v_mul_f64 v[22:23], v[20:21], v[12:13]
	v_fma_f64 v[10:11], -v[10:11], v[22:23], v[20:21]
	v_div_fmas_f64 v[10:11], v[10:11], v[12:13], v[22:23]
	v_div_fixup_f64 v[10:11], v[10:11], v[0:1], v[2:3]
	v_fma_f64 v[0:1], v[2:3], v[10:11], v[0:1]
	v_div_scale_f64 v[2:3], s[16:17], v[0:1], v[0:1], 1.0
	v_div_scale_f64 v[22:23], vcc, 1.0, v[0:1], 1.0
	v_rcp_f64_e32 v[12:13], v[2:3]
	v_fma_f64 v[20:21], -v[2:3], v[12:13], 1.0
	v_fma_f64 v[12:13], v[12:13], v[20:21], v[12:13]
	v_fma_f64 v[20:21], -v[2:3], v[12:13], 1.0
	v_fma_f64 v[12:13], v[12:13], v[20:21], v[12:13]
	v_mul_f64 v[20:21], v[22:23], v[12:13]
	v_fma_f64 v[2:3], -v[2:3], v[20:21], v[22:23]
	v_div_fmas_f64 v[2:3], v[2:3], v[12:13], v[20:21]
	v_div_fixup_f64 v[0:1], v[2:3], v[0:1], 1.0
	v_mul_f64 v[2:3], v[10:11], -v[0:1]
.LBB124_1090:
	s_or_b64 exec, exec, s[18:19]
.LBB124_1091:
	s_or_b64 exec, exec, s[4:5]
	v_cmp_ne_u32_e32 vcc, v19, v4
	s_and_saveexec_b64 s[4:5], vcc
	s_xor_b64 s[4:5], exec, s[4:5]
	s_cbranch_execz .LBB124_1097
; %bb.1092:
	v_cmp_eq_u32_e32 vcc, 46, v19
	s_and_saveexec_b64 s[18:19], vcc
	s_cbranch_execz .LBB124_1096
; %bb.1093:
	v_cmp_ne_u32_e32 vcc, 46, v4
	s_xor_b64 s[16:17], s[10:11], -1
	s_and_b64 s[16:17], s[16:17], vcc
	s_and_saveexec_b64 s[24:25], s[16:17]
	s_cbranch_execz .LBB124_1095
; %bb.1094:
	v_ashrrev_i32_e32 v5, 31, v4
	v_lshlrev_b64 v[10:11], 2, v[4:5]
	v_add_co_u32_e32 v10, vcc, v8, v10
	v_addc_co_u32_e32 v11, vcc, v9, v11, vcc
	global_load_dword v5, v[10:11], off
	global_load_dword v12, v[8:9], off offset:184
	s_waitcnt vmcnt(1)
	global_store_dword v[8:9], v5, off offset:184
	s_waitcnt vmcnt(1)
	global_store_dword v[10:11], v12, off
.LBB124_1095:
	s_or_b64 exec, exec, s[24:25]
	v_mov_b32_e32 v19, v4
	v_mov_b32_e32 v18, v4
.LBB124_1096:
	s_or_b64 exec, exec, s[18:19]
.LBB124_1097:
	s_andn2_saveexec_b64 s[4:5], s[4:5]
	s_cbranch_execz .LBB124_1099
; %bb.1098:
	v_mov_b32_e32 v11, s40
	buffer_load_dword v4, v11, s[0:3], 0 offen
	buffer_load_dword v5, v11, s[0:3], 0 offen offset:4
	buffer_load_dword v10, v11, s[0:3], 0 offen offset:8
	s_nop 0
	buffer_load_dword v11, v11, s[0:3], 0 offen offset:12
	v_mov_b32_e32 v19, 46
	s_waitcnt vmcnt(0)
	ds_write2_b64 v16, v[4:5], v[10:11] offset0:94 offset1:95
	v_mov_b32_e32 v11, s39
	buffer_load_dword v4, v11, s[0:3], 0 offen
	buffer_load_dword v5, v11, s[0:3], 0 offen offset:4
	buffer_load_dword v10, v11, s[0:3], 0 offen offset:8
	s_nop 0
	buffer_load_dword v11, v11, s[0:3], 0 offen offset:12
	s_waitcnt vmcnt(0)
	ds_write2_b64 v16, v[4:5], v[10:11] offset0:96 offset1:97
	v_mov_b32_e32 v11, s38
	buffer_load_dword v4, v11, s[0:3], 0 offen
	buffer_load_dword v5, v11, s[0:3], 0 offen offset:4
	buffer_load_dword v10, v11, s[0:3], 0 offen offset:8
	s_nop 0
	buffer_load_dword v11, v11, s[0:3], 0 offen offset:12
	;; [unrolled: 8-line block ×15, first 2 shown]
	s_waitcnt vmcnt(0)
	ds_write2_b64 v16, v[4:5], v[10:11] offset0:124 offset1:125
.LBB124_1099:
	s_or_b64 exec, exec, s[4:5]
	v_cmp_lt_i32_e32 vcc, 46, v19
	s_waitcnt vmcnt(0) lgkmcnt(0)
	s_barrier
	s_and_saveexec_b64 s[4:5], vcc
	s_cbranch_execz .LBB124_1101
; %bb.1100:
	buffer_load_dword v10, off, s[0:3], 0 offset:736
	buffer_load_dword v11, off, s[0:3], 0 offset:740
	;; [unrolled: 1-line block ×16, first 2 shown]
	s_waitcnt vmcnt(12)
	v_mul_f64 v[4:5], v[2:3], v[12:13]
	v_fma_f64 v[4:5], v[0:1], v[10:11], -v[4:5]
	v_mul_f64 v[0:1], v[0:1], v[12:13]
	v_fma_f64 v[10:11], v[2:3], v[10:11], v[0:1]
	buffer_store_dword v4, off, s[0:3], 0 offset:736
	buffer_store_dword v5, off, s[0:3], 0 offset:740
	buffer_store_dword v10, off, s[0:3], 0 offset:744
	buffer_store_dword v11, off, s[0:3], 0 offset:748
	ds_read2_b64 v[0:3], v16 offset0:94 offset1:95
	s_waitcnt lgkmcnt(0)
	v_mul_f64 v[12:13], v[2:3], v[10:11]
	v_fma_f64 v[12:13], v[0:1], v[4:5], -v[12:13]
	v_mul_f64 v[0:1], v[0:1], v[10:11]
	v_fma_f64 v[0:1], v[2:3], v[4:5], v[0:1]
	s_waitcnt vmcnt(14)
	v_add_f64 v[2:3], v[20:21], -v[12:13]
	s_waitcnt vmcnt(12)
	v_add_f64 v[0:1], v[22:23], -v[0:1]
	buffer_store_dword v2, off, s[0:3], 0 offset:752
	buffer_store_dword v3, off, s[0:3], 0 offset:756
	buffer_store_dword v0, off, s[0:3], 0 offset:760
	buffer_store_dword v1, off, s[0:3], 0 offset:764
	ds_read2_b64 v[0:3], v16 offset0:96 offset1:97
	s_waitcnt lgkmcnt(0)
	v_mul_f64 v[12:13], v[2:3], v[10:11]
	v_fma_f64 v[12:13], v[0:1], v[4:5], -v[12:13]
	v_mul_f64 v[0:1], v[0:1], v[10:11]
	v_fma_f64 v[0:1], v[2:3], v[4:5], v[0:1]
	s_waitcnt vmcnt(14)
	v_add_f64 v[2:3], v[24:25], -v[12:13]
	s_waitcnt vmcnt(12)
	v_add_f64 v[0:1], v[26:27], -v[0:1]
	buffer_store_dword v2, off, s[0:3], 0 offset:768
	buffer_store_dword v3, off, s[0:3], 0 offset:772
	buffer_store_dword v0, off, s[0:3], 0 offset:776
	buffer_store_dword v1, off, s[0:3], 0 offset:780
	ds_read2_b64 v[0:3], v16 offset0:98 offset1:99
	s_waitcnt lgkmcnt(0)
	v_mul_f64 v[12:13], v[2:3], v[10:11]
	v_fma_f64 v[12:13], v[0:1], v[4:5], -v[12:13]
	v_mul_f64 v[0:1], v[0:1], v[10:11]
	v_fma_f64 v[0:1], v[2:3], v[4:5], v[0:1]
	s_waitcnt vmcnt(14)
	v_add_f64 v[2:3], v[28:29], -v[12:13]
	s_waitcnt vmcnt(12)
	v_add_f64 v[0:1], v[30:31], -v[0:1]
	buffer_store_dword v3, off, s[0:3], 0 offset:788
	buffer_store_dword v2, off, s[0:3], 0 offset:784
	buffer_store_dword v0, off, s[0:3], 0 offset:792
	buffer_store_dword v1, off, s[0:3], 0 offset:796
	ds_read2_b64 v[0:3], v16 offset0:100 offset1:101
	s_waitcnt lgkmcnt(0)
	v_mul_f64 v[12:13], v[2:3], v[10:11]
	v_fma_f64 v[12:13], v[0:1], v[4:5], -v[12:13]
	v_mul_f64 v[0:1], v[0:1], v[10:11]
	v_fma_f64 v[0:1], v[2:3], v[4:5], v[0:1]
	buffer_load_dword v2, off, s[0:3], 0 offset:800
	buffer_load_dword v3, off, s[0:3], 0 offset:804
	buffer_load_dword v20, off, s[0:3], 0 offset:808
	buffer_load_dword v21, off, s[0:3], 0 offset:812
	s_waitcnt vmcnt(2)
	v_add_f64 v[2:3], v[2:3], -v[12:13]
	s_waitcnt vmcnt(0)
	v_add_f64 v[0:1], v[20:21], -v[0:1]
	buffer_store_dword v3, off, s[0:3], 0 offset:804
	buffer_store_dword v2, off, s[0:3], 0 offset:800
	buffer_store_dword v1, off, s[0:3], 0 offset:812
	buffer_store_dword v0, off, s[0:3], 0 offset:808
	ds_read2_b64 v[0:3], v16 offset0:102 offset1:103
	s_waitcnt lgkmcnt(0)
	v_mul_f64 v[12:13], v[2:3], v[10:11]
	v_fma_f64 v[12:13], v[0:1], v[4:5], -v[12:13]
	v_mul_f64 v[0:1], v[0:1], v[10:11]
	v_fma_f64 v[0:1], v[2:3], v[4:5], v[0:1]
	buffer_load_dword v2, off, s[0:3], 0 offset:816
	buffer_load_dword v3, off, s[0:3], 0 offset:820
	buffer_load_dword v20, off, s[0:3], 0 offset:824
	buffer_load_dword v21, off, s[0:3], 0 offset:828
	s_waitcnt vmcnt(2)
	v_add_f64 v[2:3], v[2:3], -v[12:13]
	s_waitcnt vmcnt(0)
	v_add_f64 v[0:1], v[20:21], -v[0:1]
	;; [unrolled: 18-line block ×3, first 2 shown]
	buffer_store_dword v3, off, s[0:3], 0 offset:836
	buffer_store_dword v2, off, s[0:3], 0 offset:832
	;; [unrolled: 1-line block ×4, first 2 shown]
	ds_read2_b64 v[2:5], v16 offset0:106 offset1:107
	buffer_load_dword v0, off, s[0:3], 0 offset:736
	buffer_load_dword v1, off, s[0:3], 0 offset:740
	;; [unrolled: 1-line block ×4, first 2 shown]
	s_waitcnt vmcnt(0) lgkmcnt(0)
	v_mul_f64 v[12:13], v[4:5], v[10:11]
	v_fma_f64 v[12:13], v[2:3], v[0:1], -v[12:13]
	v_mul_f64 v[2:3], v[2:3], v[10:11]
	v_fma_f64 v[2:3], v[4:5], v[0:1], v[2:3]
	buffer_load_dword v5, off, s[0:3], 0 offset:852
	buffer_load_dword v4, off, s[0:3], 0 offset:848
	s_waitcnt vmcnt(0)
	v_add_f64 v[4:5], v[4:5], -v[12:13]
	buffer_load_dword v13, off, s[0:3], 0 offset:860
	buffer_load_dword v12, off, s[0:3], 0 offset:856
	s_waitcnt vmcnt(0)
	v_add_f64 v[2:3], v[12:13], -v[2:3]
	buffer_store_dword v5, off, s[0:3], 0 offset:852
	buffer_store_dword v4, off, s[0:3], 0 offset:848
	buffer_store_dword v3, off, s[0:3], 0 offset:860
	buffer_store_dword v2, off, s[0:3], 0 offset:856
	ds_read2_b64 v[2:5], v16 offset0:108 offset1:109
	s_waitcnt lgkmcnt(0)
	v_mul_f64 v[12:13], v[4:5], v[10:11]
	v_fma_f64 v[12:13], v[2:3], v[0:1], -v[12:13]
	v_mul_f64 v[2:3], v[2:3], v[10:11]
	v_fma_f64 v[2:3], v[4:5], v[0:1], v[2:3]
	buffer_load_dword v4, off, s[0:3], 0 offset:864
	buffer_load_dword v5, off, s[0:3], 0 offset:868
	buffer_load_dword v20, off, s[0:3], 0 offset:872
	buffer_load_dword v21, off, s[0:3], 0 offset:876
	s_waitcnt vmcnt(2)
	v_add_f64 v[4:5], v[4:5], -v[12:13]
	s_waitcnt vmcnt(0)
	v_add_f64 v[2:3], v[20:21], -v[2:3]
	buffer_store_dword v5, off, s[0:3], 0 offset:868
	buffer_store_dword v4, off, s[0:3], 0 offset:864
	buffer_store_dword v3, off, s[0:3], 0 offset:876
	buffer_store_dword v2, off, s[0:3], 0 offset:872
	ds_read2_b64 v[2:5], v16 offset0:110 offset1:111
	s_waitcnt lgkmcnt(0)
	v_mul_f64 v[12:13], v[4:5], v[10:11]
	v_fma_f64 v[12:13], v[2:3], v[0:1], -v[12:13]
	v_mul_f64 v[2:3], v[2:3], v[10:11]
	v_fma_f64 v[2:3], v[4:5], v[0:1], v[2:3]
	buffer_load_dword v4, off, s[0:3], 0 offset:880
	buffer_load_dword v5, off, s[0:3], 0 offset:884
	buffer_load_dword v20, off, s[0:3], 0 offset:888
	buffer_load_dword v21, off, s[0:3], 0 offset:892
	s_waitcnt vmcnt(2)
	v_add_f64 v[4:5], v[4:5], -v[12:13]
	;; [unrolled: 18-line block ×5, first 2 shown]
	s_waitcnt vmcnt(0)
	v_add_f64 v[0:1], v[4:5], -v[0:1]
	buffer_store_dword v3, off, s[0:3], 0 offset:932
	buffer_store_dword v2, off, s[0:3], 0 offset:928
	;; [unrolled: 1-line block ×4, first 2 shown]
	ds_read2_b64 v[10:13], v16 offset0:118 offset1:119
	buffer_load_dword v0, off, s[0:3], 0 offset:736
	buffer_load_dword v1, off, s[0:3], 0 offset:740
	;; [unrolled: 1-line block ×4, first 2 shown]
	s_waitcnt vmcnt(0) lgkmcnt(0)
	v_mul_f64 v[4:5], v[12:13], v[2:3]
	v_fma_f64 v[4:5], v[10:11], v[0:1], -v[4:5]
	v_mul_f64 v[10:11], v[10:11], v[2:3]
	v_fma_f64 v[10:11], v[12:13], v[0:1], v[10:11]
	buffer_load_dword v13, off, s[0:3], 0 offset:948
	buffer_load_dword v12, off, s[0:3], 0 offset:944
	s_waitcnt vmcnt(0)
	v_add_f64 v[4:5], v[12:13], -v[4:5]
	buffer_load_dword v13, off, s[0:3], 0 offset:956
	buffer_load_dword v12, off, s[0:3], 0 offset:952
	s_waitcnt vmcnt(0)
	v_add_f64 v[10:11], v[12:13], -v[10:11]
	buffer_store_dword v5, off, s[0:3], 0 offset:948
	buffer_store_dword v4, off, s[0:3], 0 offset:944
	;; [unrolled: 1-line block ×4, first 2 shown]
	ds_read2_b64 v[10:13], v16 offset0:120 offset1:121
	s_waitcnt lgkmcnt(0)
	v_mul_f64 v[4:5], v[12:13], v[2:3]
	v_fma_f64 v[4:5], v[10:11], v[0:1], -v[4:5]
	v_mul_f64 v[10:11], v[10:11], v[2:3]
	v_fma_f64 v[10:11], v[12:13], v[0:1], v[10:11]
	buffer_load_dword v12, off, s[0:3], 0 offset:960
	buffer_load_dword v13, off, s[0:3], 0 offset:964
	;; [unrolled: 1-line block ×4, first 2 shown]
	s_waitcnt vmcnt(2)
	v_add_f64 v[4:5], v[12:13], -v[4:5]
	s_waitcnt vmcnt(0)
	v_add_f64 v[10:11], v[20:21], -v[10:11]
	buffer_store_dword v5, off, s[0:3], 0 offset:964
	buffer_store_dword v4, off, s[0:3], 0 offset:960
	;; [unrolled: 1-line block ×4, first 2 shown]
	ds_read2_b64 v[10:13], v16 offset0:122 offset1:123
	s_waitcnt lgkmcnt(0)
	v_mul_f64 v[4:5], v[12:13], v[2:3]
	v_fma_f64 v[4:5], v[10:11], v[0:1], -v[4:5]
	v_mul_f64 v[10:11], v[10:11], v[2:3]
	v_fma_f64 v[10:11], v[12:13], v[0:1], v[10:11]
	buffer_load_dword v12, off, s[0:3], 0 offset:976
	buffer_load_dword v13, off, s[0:3], 0 offset:980
	;; [unrolled: 1-line block ×4, first 2 shown]
	s_waitcnt vmcnt(2)
	v_add_f64 v[4:5], v[12:13], -v[4:5]
	s_waitcnt vmcnt(0)
	v_add_f64 v[10:11], v[20:21], -v[10:11]
	buffer_store_dword v5, off, s[0:3], 0 offset:980
	buffer_store_dword v4, off, s[0:3], 0 offset:976
	;; [unrolled: 1-line block ×4, first 2 shown]
	ds_read2_b64 v[10:13], v16 offset0:124 offset1:125
	s_waitcnt lgkmcnt(0)
	v_mul_f64 v[4:5], v[12:13], v[2:3]
	v_mul_f64 v[2:3], v[10:11], v[2:3]
	v_fma_f64 v[4:5], v[10:11], v[0:1], -v[4:5]
	v_fma_f64 v[0:1], v[12:13], v[0:1], v[2:3]
	buffer_load_dword v2, off, s[0:3], 0 offset:992
	buffer_load_dword v3, off, s[0:3], 0 offset:996
	;; [unrolled: 1-line block ×4, first 2 shown]
	s_waitcnt vmcnt(2)
	v_add_f64 v[2:3], v[2:3], -v[4:5]
	s_waitcnt vmcnt(0)
	v_add_f64 v[0:1], v[10:11], -v[0:1]
	buffer_store_dword v3, off, s[0:3], 0 offset:996
	buffer_store_dword v2, off, s[0:3], 0 offset:992
	;; [unrolled: 1-line block ×4, first 2 shown]
.LBB124_1101:
	s_or_b64 exec, exec, s[4:5]
	v_mov_b32_e32 v3, s40
	s_waitcnt vmcnt(0)
	s_barrier
	buffer_load_dword v0, v3, s[0:3], 0 offen
	buffer_load_dword v1, v3, s[0:3], 0 offen offset:4
	buffer_load_dword v2, v3, s[0:3], 0 offen offset:8
	s_nop 0
	buffer_load_dword v3, v3, s[0:3], 0 offen offset:12
	v_lshl_add_u32 v4, v19, 4, v16
	s_cmp_lt_i32 s65, 49
	s_waitcnt vmcnt(0)
	ds_write2_b64 v4, v[0:1], v[2:3] offset1:1
	s_waitcnt lgkmcnt(0)
	s_barrier
	ds_read2_b64 v[0:3], v16 offset0:94 offset1:95
	v_mov_b32_e32 v4, 47
	s_cbranch_scc1 .LBB124_1104
; %bb.1102:
	v_add_u32_e32 v5, 0x300, v16
	s_mov_b32 s16, 48
	v_mov_b32_e32 v4, 47
.LBB124_1103:                           ; =>This Inner Loop Header: Depth=1
	s_waitcnt lgkmcnt(0)
	v_cmp_gt_f64_e32 vcc, 0, v[2:3]
	v_cmp_gt_f64_e64 s[4:5], 0, v[0:1]
	ds_read2_b64 v[10:13], v5 offset1:1
	v_xor_b32_e32 v21, 0x80000000, v1
	v_xor_b32_e32 v23, 0x80000000, v3
	v_mov_b32_e32 v20, v0
	v_mov_b32_e32 v22, v2
	s_waitcnt lgkmcnt(0)
	v_xor_b32_e32 v25, 0x80000000, v13
	v_cndmask_b32_e32 v23, v3, v23, vcc
	v_cndmask_b32_e64 v21, v1, v21, s[4:5]
	v_cmp_gt_f64_e32 vcc, 0, v[12:13]
	v_cmp_gt_f64_e64 s[4:5], 0, v[10:11]
	v_add_f64 v[20:21], v[20:21], v[22:23]
	v_xor_b32_e32 v23, 0x80000000, v11
	v_mov_b32_e32 v22, v10
	v_mov_b32_e32 v24, v12
	v_add_u32_e32 v5, 16, v5
	v_cndmask_b32_e32 v25, v13, v25, vcc
	v_cndmask_b32_e64 v23, v11, v23, s[4:5]
	v_add_f64 v[22:23], v[22:23], v[24:25]
	v_mov_b32_e32 v24, s16
	s_add_i32 s16, s16, 1
	s_cmp_lg_u32 s65, s16
	v_cmp_lt_f64_e32 vcc, v[20:21], v[22:23]
	v_cndmask_b32_e32 v1, v1, v11, vcc
	v_cndmask_b32_e32 v0, v0, v10, vcc
	;; [unrolled: 1-line block ×5, first 2 shown]
	s_cbranch_scc1 .LBB124_1103
.LBB124_1104:
	s_waitcnt lgkmcnt(0)
	v_cmp_eq_f64_e32 vcc, 0, v[0:1]
	v_cmp_eq_f64_e64 s[4:5], 0, v[2:3]
	s_and_b64 s[4:5], vcc, s[4:5]
	s_and_saveexec_b64 s[16:17], s[4:5]
	s_xor_b64 s[4:5], exec, s[16:17]
; %bb.1105:
	v_cmp_ne_u32_e32 vcc, 0, v17
	v_cndmask_b32_e32 v17, 48, v17, vcc
; %bb.1106:
	s_andn2_saveexec_b64 s[4:5], s[4:5]
	s_cbranch_execz .LBB124_1112
; %bb.1107:
	v_cmp_ngt_f64_e64 s[16:17], |v[0:1]|, |v[2:3]|
	s_and_saveexec_b64 s[18:19], s[16:17]
	s_xor_b64 s[18:19], exec, s[18:19]
	s_cbranch_execz .LBB124_1109
; %bb.1108:
	v_div_scale_f64 v[10:11], s[16:17], v[2:3], v[2:3], v[0:1]
	v_rcp_f64_e32 v[12:13], v[10:11]
	v_fma_f64 v[20:21], -v[10:11], v[12:13], 1.0
	v_fma_f64 v[12:13], v[12:13], v[20:21], v[12:13]
	v_div_scale_f64 v[20:21], vcc, v[0:1], v[2:3], v[0:1]
	v_fma_f64 v[22:23], -v[10:11], v[12:13], 1.0
	v_fma_f64 v[12:13], v[12:13], v[22:23], v[12:13]
	v_mul_f64 v[22:23], v[20:21], v[12:13]
	v_fma_f64 v[10:11], -v[10:11], v[22:23], v[20:21]
	v_div_fmas_f64 v[10:11], v[10:11], v[12:13], v[22:23]
	v_div_fixup_f64 v[10:11], v[10:11], v[2:3], v[0:1]
	v_fma_f64 v[0:1], v[0:1], v[10:11], v[2:3]
	v_div_scale_f64 v[2:3], s[16:17], v[0:1], v[0:1], 1.0
	v_div_scale_f64 v[22:23], vcc, 1.0, v[0:1], 1.0
	v_rcp_f64_e32 v[12:13], v[2:3]
	v_fma_f64 v[20:21], -v[2:3], v[12:13], 1.0
	v_fma_f64 v[12:13], v[12:13], v[20:21], v[12:13]
	v_fma_f64 v[20:21], -v[2:3], v[12:13], 1.0
	v_fma_f64 v[12:13], v[12:13], v[20:21], v[12:13]
	v_mul_f64 v[20:21], v[22:23], v[12:13]
	v_fma_f64 v[2:3], -v[2:3], v[20:21], v[22:23]
	v_div_fmas_f64 v[2:3], v[2:3], v[12:13], v[20:21]
	v_div_fixup_f64 v[2:3], v[2:3], v[0:1], 1.0
	v_mul_f64 v[0:1], v[10:11], v[2:3]
	v_xor_b32_e32 v3, 0x80000000, v3
.LBB124_1109:
	s_andn2_saveexec_b64 s[18:19], s[18:19]
	s_cbranch_execz .LBB124_1111
; %bb.1110:
	v_div_scale_f64 v[10:11], s[16:17], v[0:1], v[0:1], v[2:3]
	v_rcp_f64_e32 v[12:13], v[10:11]
	v_fma_f64 v[20:21], -v[10:11], v[12:13], 1.0
	v_fma_f64 v[12:13], v[12:13], v[20:21], v[12:13]
	v_div_scale_f64 v[20:21], vcc, v[2:3], v[0:1], v[2:3]
	v_fma_f64 v[22:23], -v[10:11], v[12:13], 1.0
	v_fma_f64 v[12:13], v[12:13], v[22:23], v[12:13]
	v_mul_f64 v[22:23], v[20:21], v[12:13]
	v_fma_f64 v[10:11], -v[10:11], v[22:23], v[20:21]
	v_div_fmas_f64 v[10:11], v[10:11], v[12:13], v[22:23]
	v_div_fixup_f64 v[10:11], v[10:11], v[0:1], v[2:3]
	v_fma_f64 v[0:1], v[2:3], v[10:11], v[0:1]
	v_div_scale_f64 v[2:3], s[16:17], v[0:1], v[0:1], 1.0
	v_div_scale_f64 v[22:23], vcc, 1.0, v[0:1], 1.0
	v_rcp_f64_e32 v[12:13], v[2:3]
	v_fma_f64 v[20:21], -v[2:3], v[12:13], 1.0
	v_fma_f64 v[12:13], v[12:13], v[20:21], v[12:13]
	v_fma_f64 v[20:21], -v[2:3], v[12:13], 1.0
	v_fma_f64 v[12:13], v[12:13], v[20:21], v[12:13]
	v_mul_f64 v[20:21], v[22:23], v[12:13]
	v_fma_f64 v[2:3], -v[2:3], v[20:21], v[22:23]
	v_div_fmas_f64 v[2:3], v[2:3], v[12:13], v[20:21]
	v_div_fixup_f64 v[0:1], v[2:3], v[0:1], 1.0
	v_mul_f64 v[2:3], v[10:11], -v[0:1]
.LBB124_1111:
	s_or_b64 exec, exec, s[18:19]
.LBB124_1112:
	s_or_b64 exec, exec, s[4:5]
	v_cmp_ne_u32_e32 vcc, v19, v4
	s_and_saveexec_b64 s[4:5], vcc
	s_xor_b64 s[4:5], exec, s[4:5]
	s_cbranch_execz .LBB124_1118
; %bb.1113:
	v_cmp_eq_u32_e32 vcc, 47, v19
	s_and_saveexec_b64 s[18:19], vcc
	s_cbranch_execz .LBB124_1117
; %bb.1114:
	v_cmp_ne_u32_e32 vcc, 47, v4
	s_xor_b64 s[16:17], s[10:11], -1
	s_and_b64 s[16:17], s[16:17], vcc
	s_and_saveexec_b64 s[24:25], s[16:17]
	s_cbranch_execz .LBB124_1116
; %bb.1115:
	v_ashrrev_i32_e32 v5, 31, v4
	v_lshlrev_b64 v[10:11], 2, v[4:5]
	v_add_co_u32_e32 v10, vcc, v8, v10
	v_addc_co_u32_e32 v11, vcc, v9, v11, vcc
	global_load_dword v5, v[10:11], off
	global_load_dword v12, v[8:9], off offset:188
	s_waitcnt vmcnt(1)
	global_store_dword v[8:9], v5, off offset:188
	s_waitcnt vmcnt(1)
	global_store_dword v[10:11], v12, off
.LBB124_1116:
	s_or_b64 exec, exec, s[24:25]
	v_mov_b32_e32 v19, v4
	v_mov_b32_e32 v18, v4
.LBB124_1117:
	s_or_b64 exec, exec, s[18:19]
.LBB124_1118:
	s_andn2_saveexec_b64 s[4:5], s[4:5]
	s_cbranch_execz .LBB124_1120
; %bb.1119:
	v_mov_b32_e32 v11, s39
	buffer_load_dword v4, v11, s[0:3], 0 offen
	buffer_load_dword v5, v11, s[0:3], 0 offen offset:4
	buffer_load_dword v10, v11, s[0:3], 0 offen offset:8
	s_nop 0
	buffer_load_dword v11, v11, s[0:3], 0 offen offset:12
	v_mov_b32_e32 v19, 47
	s_waitcnt vmcnt(0)
	ds_write2_b64 v16, v[4:5], v[10:11] offset0:96 offset1:97
	v_mov_b32_e32 v11, s38
	buffer_load_dword v4, v11, s[0:3], 0 offen
	buffer_load_dword v5, v11, s[0:3], 0 offen offset:4
	buffer_load_dword v10, v11, s[0:3], 0 offen offset:8
	s_nop 0
	buffer_load_dword v11, v11, s[0:3], 0 offen offset:12
	s_waitcnt vmcnt(0)
	ds_write2_b64 v16, v[4:5], v[10:11] offset0:98 offset1:99
	v_mov_b32_e32 v11, s37
	buffer_load_dword v4, v11, s[0:3], 0 offen
	buffer_load_dword v5, v11, s[0:3], 0 offen offset:4
	buffer_load_dword v10, v11, s[0:3], 0 offen offset:8
	s_nop 0
	buffer_load_dword v11, v11, s[0:3], 0 offen offset:12
	;; [unrolled: 8-line block ×14, first 2 shown]
	s_waitcnt vmcnt(0)
	ds_write2_b64 v16, v[4:5], v[10:11] offset0:124 offset1:125
.LBB124_1120:
	s_or_b64 exec, exec, s[4:5]
	v_cmp_lt_i32_e32 vcc, 47, v19
	s_waitcnt vmcnt(0) lgkmcnt(0)
	s_barrier
	s_and_saveexec_b64 s[4:5], vcc
	s_cbranch_execz .LBB124_1122
; %bb.1121:
	buffer_load_dword v4, off, s[0:3], 0 offset:752
	buffer_load_dword v5, off, s[0:3], 0 offset:756
	;; [unrolled: 1-line block ×16, first 2 shown]
	s_waitcnt vmcnt(12)
	v_mul_f64 v[30:31], v[2:3], v[10:11]
	v_fma_f64 v[30:31], v[0:1], v[4:5], -v[30:31]
	v_mul_f64 v[0:1], v[0:1], v[10:11]
	v_fma_f64 v[4:5], v[2:3], v[4:5], v[0:1]
	buffer_store_dword v30, off, s[0:3], 0 offset:752
	buffer_store_dword v31, off, s[0:3], 0 offset:756
	buffer_store_dword v4, off, s[0:3], 0 offset:760
	buffer_store_dword v5, off, s[0:3], 0 offset:764
	ds_read2_b64 v[0:3], v16 offset0:96 offset1:97
	s_waitcnt lgkmcnt(0)
	v_mul_f64 v[10:11], v[2:3], v[4:5]
	v_fma_f64 v[10:11], v[0:1], v[30:31], -v[10:11]
	v_mul_f64 v[0:1], v[0:1], v[4:5]
	v_fma_f64 v[0:1], v[2:3], v[30:31], v[0:1]
	s_waitcnt vmcnt(14)
	v_add_f64 v[2:3], v[12:13], -v[10:11]
	s_waitcnt vmcnt(12)
	v_add_f64 v[0:1], v[20:21], -v[0:1]
	buffer_store_dword v2, off, s[0:3], 0 offset:768
	buffer_store_dword v3, off, s[0:3], 0 offset:772
	buffer_store_dword v0, off, s[0:3], 0 offset:776
	buffer_store_dword v1, off, s[0:3], 0 offset:780
	ds_read2_b64 v[0:3], v16 offset0:98 offset1:99
	s_waitcnt lgkmcnt(0)
	v_mul_f64 v[10:11], v[2:3], v[4:5]
	v_fma_f64 v[10:11], v[0:1], v[30:31], -v[10:11]
	v_mul_f64 v[0:1], v[0:1], v[4:5]
	v_fma_f64 v[0:1], v[2:3], v[30:31], v[0:1]
	s_waitcnt vmcnt(14)
	v_add_f64 v[2:3], v[22:23], -v[10:11]
	s_waitcnt vmcnt(12)
	v_add_f64 v[0:1], v[24:25], -v[0:1]
	buffer_store_dword v2, off, s[0:3], 0 offset:784
	buffer_store_dword v3, off, s[0:3], 0 offset:788
	buffer_store_dword v0, off, s[0:3], 0 offset:792
	buffer_store_dword v1, off, s[0:3], 0 offset:796
	ds_read2_b64 v[0:3], v16 offset0:100 offset1:101
	s_waitcnt lgkmcnt(0)
	v_mul_f64 v[10:11], v[2:3], v[4:5]
	v_fma_f64 v[10:11], v[0:1], v[30:31], -v[10:11]
	v_mul_f64 v[0:1], v[0:1], v[4:5]
	v_fma_f64 v[0:1], v[2:3], v[30:31], v[0:1]
	s_waitcnt vmcnt(14)
	v_add_f64 v[2:3], v[26:27], -v[10:11]
	s_waitcnt vmcnt(12)
	v_add_f64 v[0:1], v[28:29], -v[0:1]
	buffer_store_dword v3, off, s[0:3], 0 offset:804
	buffer_store_dword v2, off, s[0:3], 0 offset:800
	buffer_store_dword v0, off, s[0:3], 0 offset:808
	buffer_store_dword v1, off, s[0:3], 0 offset:812
	ds_read2_b64 v[0:3], v16 offset0:102 offset1:103
	s_waitcnt lgkmcnt(0)
	v_mul_f64 v[10:11], v[2:3], v[4:5]
	v_fma_f64 v[10:11], v[0:1], v[30:31], -v[10:11]
	v_mul_f64 v[0:1], v[0:1], v[4:5]
	v_fma_f64 v[0:1], v[2:3], v[30:31], v[0:1]
	buffer_load_dword v2, off, s[0:3], 0 offset:816
	buffer_load_dword v3, off, s[0:3], 0 offset:820
	buffer_load_dword v12, off, s[0:3], 0 offset:824
	buffer_load_dword v13, off, s[0:3], 0 offset:828
	s_waitcnt vmcnt(2)
	v_add_f64 v[2:3], v[2:3], -v[10:11]
	s_waitcnt vmcnt(0)
	v_add_f64 v[0:1], v[12:13], -v[0:1]
	buffer_store_dword v3, off, s[0:3], 0 offset:820
	buffer_store_dword v2, off, s[0:3], 0 offset:816
	buffer_store_dword v1, off, s[0:3], 0 offset:828
	buffer_store_dword v0, off, s[0:3], 0 offset:824
	ds_read2_b64 v[0:3], v16 offset0:104 offset1:105
	s_waitcnt lgkmcnt(0)
	v_mul_f64 v[10:11], v[2:3], v[4:5]
	v_fma_f64 v[10:11], v[0:1], v[30:31], -v[10:11]
	v_mul_f64 v[0:1], v[0:1], v[4:5]
	v_fma_f64 v[0:1], v[2:3], v[30:31], v[0:1]
	buffer_load_dword v2, off, s[0:3], 0 offset:832
	buffer_load_dword v3, off, s[0:3], 0 offset:836
	buffer_load_dword v12, off, s[0:3], 0 offset:840
	buffer_load_dword v13, off, s[0:3], 0 offset:844
	s_waitcnt vmcnt(2)
	v_add_f64 v[2:3], v[2:3], -v[10:11]
	s_waitcnt vmcnt(0)
	v_add_f64 v[0:1], v[12:13], -v[0:1]
	;; [unrolled: 18-line block ×3, first 2 shown]
	buffer_store_dword v3, off, s[0:3], 0 offset:852
	buffer_store_dword v2, off, s[0:3], 0 offset:848
	;; [unrolled: 1-line block ×4, first 2 shown]
	ds_read2_b64 v[10:13], v16 offset0:108 offset1:109
	buffer_load_dword v0, off, s[0:3], 0 offset:752
	buffer_load_dword v1, off, s[0:3], 0 offset:756
	;; [unrolled: 1-line block ×4, first 2 shown]
	s_waitcnt vmcnt(0) lgkmcnt(0)
	v_mul_f64 v[4:5], v[12:13], v[2:3]
	v_fma_f64 v[4:5], v[10:11], v[0:1], -v[4:5]
	v_mul_f64 v[10:11], v[10:11], v[2:3]
	v_fma_f64 v[10:11], v[12:13], v[0:1], v[10:11]
	buffer_load_dword v13, off, s[0:3], 0 offset:868
	buffer_load_dword v12, off, s[0:3], 0 offset:864
	s_waitcnt vmcnt(0)
	v_add_f64 v[4:5], v[12:13], -v[4:5]
	buffer_load_dword v13, off, s[0:3], 0 offset:876
	buffer_load_dword v12, off, s[0:3], 0 offset:872
	s_waitcnt vmcnt(0)
	v_add_f64 v[10:11], v[12:13], -v[10:11]
	buffer_store_dword v5, off, s[0:3], 0 offset:868
	buffer_store_dword v4, off, s[0:3], 0 offset:864
	buffer_store_dword v11, off, s[0:3], 0 offset:876
	buffer_store_dword v10, off, s[0:3], 0 offset:872
	ds_read2_b64 v[10:13], v16 offset0:110 offset1:111
	s_waitcnt lgkmcnt(0)
	v_mul_f64 v[4:5], v[12:13], v[2:3]
	v_fma_f64 v[4:5], v[10:11], v[0:1], -v[4:5]
	v_mul_f64 v[10:11], v[10:11], v[2:3]
	v_fma_f64 v[10:11], v[12:13], v[0:1], v[10:11]
	buffer_load_dword v12, off, s[0:3], 0 offset:880
	buffer_load_dword v13, off, s[0:3], 0 offset:884
	buffer_load_dword v20, off, s[0:3], 0 offset:888
	buffer_load_dword v21, off, s[0:3], 0 offset:892
	s_waitcnt vmcnt(2)
	v_add_f64 v[4:5], v[12:13], -v[4:5]
	s_waitcnt vmcnt(0)
	v_add_f64 v[10:11], v[20:21], -v[10:11]
	buffer_store_dword v5, off, s[0:3], 0 offset:884
	buffer_store_dword v4, off, s[0:3], 0 offset:880
	buffer_store_dword v11, off, s[0:3], 0 offset:892
	buffer_store_dword v10, off, s[0:3], 0 offset:888
	ds_read2_b64 v[10:13], v16 offset0:112 offset1:113
	s_waitcnt lgkmcnt(0)
	v_mul_f64 v[4:5], v[12:13], v[2:3]
	v_fma_f64 v[4:5], v[10:11], v[0:1], -v[4:5]
	v_mul_f64 v[10:11], v[10:11], v[2:3]
	v_fma_f64 v[10:11], v[12:13], v[0:1], v[10:11]
	buffer_load_dword v12, off, s[0:3], 0 offset:896
	buffer_load_dword v13, off, s[0:3], 0 offset:900
	buffer_load_dword v20, off, s[0:3], 0 offset:904
	buffer_load_dword v21, off, s[0:3], 0 offset:908
	s_waitcnt vmcnt(2)
	v_add_f64 v[4:5], v[12:13], -v[4:5]
	;; [unrolled: 18-line block ×4, first 2 shown]
	s_waitcnt vmcnt(0)
	v_add_f64 v[10:11], v[20:21], -v[10:11]
	buffer_store_dword v5, off, s[0:3], 0 offset:932
	buffer_store_dword v4, off, s[0:3], 0 offset:928
	;; [unrolled: 1-line block ×4, first 2 shown]
	ds_read2_b64 v[10:13], v16 offset0:118 offset1:119
	s_waitcnt lgkmcnt(0)
	v_mul_f64 v[4:5], v[12:13], v[2:3]
	v_mul_f64 v[2:3], v[10:11], v[2:3]
	v_fma_f64 v[4:5], v[10:11], v[0:1], -v[4:5]
	v_fma_f64 v[0:1], v[12:13], v[0:1], v[2:3]
	buffer_load_dword v2, off, s[0:3], 0 offset:944
	buffer_load_dword v3, off, s[0:3], 0 offset:948
	;; [unrolled: 1-line block ×4, first 2 shown]
	s_waitcnt vmcnt(2)
	v_add_f64 v[2:3], v[2:3], -v[4:5]
	s_waitcnt vmcnt(0)
	v_add_f64 v[0:1], v[10:11], -v[0:1]
	buffer_store_dword v3, off, s[0:3], 0 offset:948
	buffer_store_dword v2, off, s[0:3], 0 offset:944
	;; [unrolled: 1-line block ×4, first 2 shown]
	ds_read2_b64 v[10:13], v16 offset0:120 offset1:121
	buffer_load_dword v0, off, s[0:3], 0 offset:752
	buffer_load_dword v1, off, s[0:3], 0 offset:756
	;; [unrolled: 1-line block ×4, first 2 shown]
	s_waitcnt vmcnt(0) lgkmcnt(0)
	v_mul_f64 v[4:5], v[12:13], v[2:3]
	v_fma_f64 v[4:5], v[10:11], v[0:1], -v[4:5]
	v_mul_f64 v[10:11], v[10:11], v[2:3]
	v_fma_f64 v[10:11], v[12:13], v[0:1], v[10:11]
	buffer_load_dword v13, off, s[0:3], 0 offset:964
	buffer_load_dword v12, off, s[0:3], 0 offset:960
	s_waitcnt vmcnt(0)
	v_add_f64 v[4:5], v[12:13], -v[4:5]
	buffer_load_dword v13, off, s[0:3], 0 offset:972
	buffer_load_dword v12, off, s[0:3], 0 offset:968
	s_waitcnt vmcnt(0)
	v_add_f64 v[10:11], v[12:13], -v[10:11]
	buffer_store_dword v5, off, s[0:3], 0 offset:964
	buffer_store_dword v4, off, s[0:3], 0 offset:960
	;; [unrolled: 1-line block ×4, first 2 shown]
	ds_read2_b64 v[10:13], v16 offset0:122 offset1:123
	s_waitcnt lgkmcnt(0)
	v_mul_f64 v[4:5], v[12:13], v[2:3]
	v_fma_f64 v[4:5], v[10:11], v[0:1], -v[4:5]
	v_mul_f64 v[10:11], v[10:11], v[2:3]
	v_fma_f64 v[10:11], v[12:13], v[0:1], v[10:11]
	buffer_load_dword v12, off, s[0:3], 0 offset:976
	buffer_load_dword v13, off, s[0:3], 0 offset:980
	;; [unrolled: 1-line block ×4, first 2 shown]
	s_waitcnt vmcnt(2)
	v_add_f64 v[4:5], v[12:13], -v[4:5]
	s_waitcnt vmcnt(0)
	v_add_f64 v[10:11], v[20:21], -v[10:11]
	buffer_store_dword v5, off, s[0:3], 0 offset:980
	buffer_store_dword v4, off, s[0:3], 0 offset:976
	;; [unrolled: 1-line block ×4, first 2 shown]
	ds_read2_b64 v[10:13], v16 offset0:124 offset1:125
	s_waitcnt lgkmcnt(0)
	v_mul_f64 v[4:5], v[12:13], v[2:3]
	v_mul_f64 v[2:3], v[10:11], v[2:3]
	v_fma_f64 v[4:5], v[10:11], v[0:1], -v[4:5]
	v_fma_f64 v[0:1], v[12:13], v[0:1], v[2:3]
	buffer_load_dword v2, off, s[0:3], 0 offset:992
	buffer_load_dword v3, off, s[0:3], 0 offset:996
	;; [unrolled: 1-line block ×4, first 2 shown]
	s_waitcnt vmcnt(2)
	v_add_f64 v[2:3], v[2:3], -v[4:5]
	s_waitcnt vmcnt(0)
	v_add_f64 v[0:1], v[10:11], -v[0:1]
	buffer_store_dword v3, off, s[0:3], 0 offset:996
	buffer_store_dword v2, off, s[0:3], 0 offset:992
	;; [unrolled: 1-line block ×4, first 2 shown]
.LBB124_1122:
	s_or_b64 exec, exec, s[4:5]
	v_mov_b32_e32 v3, s39
	s_waitcnt vmcnt(0)
	s_barrier
	buffer_load_dword v0, v3, s[0:3], 0 offen
	buffer_load_dword v1, v3, s[0:3], 0 offen offset:4
	buffer_load_dword v2, v3, s[0:3], 0 offen offset:8
	s_nop 0
	buffer_load_dword v3, v3, s[0:3], 0 offen offset:12
	v_lshl_add_u32 v4, v19, 4, v16
	s_cmp_lt_i32 s65, 50
	s_waitcnt vmcnt(0)
	ds_write2_b64 v4, v[0:1], v[2:3] offset1:1
	s_waitcnt lgkmcnt(0)
	s_barrier
	ds_read2_b64 v[0:3], v16 offset0:96 offset1:97
	v_mov_b32_e32 v4, 48
	s_cbranch_scc1 .LBB124_1125
; %bb.1123:
	v_add_u32_e32 v5, 0x310, v16
	s_mov_b32 s16, 49
	v_mov_b32_e32 v4, 48
.LBB124_1124:                           ; =>This Inner Loop Header: Depth=1
	s_waitcnt lgkmcnt(0)
	v_cmp_gt_f64_e32 vcc, 0, v[2:3]
	v_cmp_gt_f64_e64 s[4:5], 0, v[0:1]
	ds_read2_b64 v[10:13], v5 offset1:1
	v_xor_b32_e32 v21, 0x80000000, v1
	v_xor_b32_e32 v23, 0x80000000, v3
	v_mov_b32_e32 v20, v0
	v_mov_b32_e32 v22, v2
	s_waitcnt lgkmcnt(0)
	v_xor_b32_e32 v25, 0x80000000, v13
	v_cndmask_b32_e32 v23, v3, v23, vcc
	v_cndmask_b32_e64 v21, v1, v21, s[4:5]
	v_cmp_gt_f64_e32 vcc, 0, v[12:13]
	v_cmp_gt_f64_e64 s[4:5], 0, v[10:11]
	v_add_f64 v[20:21], v[20:21], v[22:23]
	v_xor_b32_e32 v23, 0x80000000, v11
	v_mov_b32_e32 v22, v10
	v_mov_b32_e32 v24, v12
	v_add_u32_e32 v5, 16, v5
	v_cndmask_b32_e32 v25, v13, v25, vcc
	v_cndmask_b32_e64 v23, v11, v23, s[4:5]
	v_add_f64 v[22:23], v[22:23], v[24:25]
	v_mov_b32_e32 v24, s16
	s_add_i32 s16, s16, 1
	s_cmp_lg_u32 s65, s16
	v_cmp_lt_f64_e32 vcc, v[20:21], v[22:23]
	v_cndmask_b32_e32 v1, v1, v11, vcc
	v_cndmask_b32_e32 v0, v0, v10, vcc
	;; [unrolled: 1-line block ×5, first 2 shown]
	s_cbranch_scc1 .LBB124_1124
.LBB124_1125:
	s_waitcnt lgkmcnt(0)
	v_cmp_eq_f64_e32 vcc, 0, v[0:1]
	v_cmp_eq_f64_e64 s[4:5], 0, v[2:3]
	s_and_b64 s[4:5], vcc, s[4:5]
	s_and_saveexec_b64 s[16:17], s[4:5]
	s_xor_b64 s[4:5], exec, s[16:17]
; %bb.1126:
	v_cmp_ne_u32_e32 vcc, 0, v17
	v_cndmask_b32_e32 v17, 49, v17, vcc
; %bb.1127:
	s_andn2_saveexec_b64 s[4:5], s[4:5]
	s_cbranch_execz .LBB124_1133
; %bb.1128:
	v_cmp_ngt_f64_e64 s[16:17], |v[0:1]|, |v[2:3]|
	s_and_saveexec_b64 s[18:19], s[16:17]
	s_xor_b64 s[18:19], exec, s[18:19]
	s_cbranch_execz .LBB124_1130
; %bb.1129:
	v_div_scale_f64 v[10:11], s[16:17], v[2:3], v[2:3], v[0:1]
	v_rcp_f64_e32 v[12:13], v[10:11]
	v_fma_f64 v[20:21], -v[10:11], v[12:13], 1.0
	v_fma_f64 v[12:13], v[12:13], v[20:21], v[12:13]
	v_div_scale_f64 v[20:21], vcc, v[0:1], v[2:3], v[0:1]
	v_fma_f64 v[22:23], -v[10:11], v[12:13], 1.0
	v_fma_f64 v[12:13], v[12:13], v[22:23], v[12:13]
	v_mul_f64 v[22:23], v[20:21], v[12:13]
	v_fma_f64 v[10:11], -v[10:11], v[22:23], v[20:21]
	v_div_fmas_f64 v[10:11], v[10:11], v[12:13], v[22:23]
	v_div_fixup_f64 v[10:11], v[10:11], v[2:3], v[0:1]
	v_fma_f64 v[0:1], v[0:1], v[10:11], v[2:3]
	v_div_scale_f64 v[2:3], s[16:17], v[0:1], v[0:1], 1.0
	v_div_scale_f64 v[22:23], vcc, 1.0, v[0:1], 1.0
	v_rcp_f64_e32 v[12:13], v[2:3]
	v_fma_f64 v[20:21], -v[2:3], v[12:13], 1.0
	v_fma_f64 v[12:13], v[12:13], v[20:21], v[12:13]
	v_fma_f64 v[20:21], -v[2:3], v[12:13], 1.0
	v_fma_f64 v[12:13], v[12:13], v[20:21], v[12:13]
	v_mul_f64 v[20:21], v[22:23], v[12:13]
	v_fma_f64 v[2:3], -v[2:3], v[20:21], v[22:23]
	v_div_fmas_f64 v[2:3], v[2:3], v[12:13], v[20:21]
	v_div_fixup_f64 v[2:3], v[2:3], v[0:1], 1.0
	v_mul_f64 v[0:1], v[10:11], v[2:3]
	v_xor_b32_e32 v3, 0x80000000, v3
.LBB124_1130:
	s_andn2_saveexec_b64 s[18:19], s[18:19]
	s_cbranch_execz .LBB124_1132
; %bb.1131:
	v_div_scale_f64 v[10:11], s[16:17], v[0:1], v[0:1], v[2:3]
	v_rcp_f64_e32 v[12:13], v[10:11]
	v_fma_f64 v[20:21], -v[10:11], v[12:13], 1.0
	v_fma_f64 v[12:13], v[12:13], v[20:21], v[12:13]
	v_div_scale_f64 v[20:21], vcc, v[2:3], v[0:1], v[2:3]
	v_fma_f64 v[22:23], -v[10:11], v[12:13], 1.0
	v_fma_f64 v[12:13], v[12:13], v[22:23], v[12:13]
	v_mul_f64 v[22:23], v[20:21], v[12:13]
	v_fma_f64 v[10:11], -v[10:11], v[22:23], v[20:21]
	v_div_fmas_f64 v[10:11], v[10:11], v[12:13], v[22:23]
	v_div_fixup_f64 v[10:11], v[10:11], v[0:1], v[2:3]
	v_fma_f64 v[0:1], v[2:3], v[10:11], v[0:1]
	v_div_scale_f64 v[2:3], s[16:17], v[0:1], v[0:1], 1.0
	v_div_scale_f64 v[22:23], vcc, 1.0, v[0:1], 1.0
	v_rcp_f64_e32 v[12:13], v[2:3]
	v_fma_f64 v[20:21], -v[2:3], v[12:13], 1.0
	v_fma_f64 v[12:13], v[12:13], v[20:21], v[12:13]
	v_fma_f64 v[20:21], -v[2:3], v[12:13], 1.0
	v_fma_f64 v[12:13], v[12:13], v[20:21], v[12:13]
	v_mul_f64 v[20:21], v[22:23], v[12:13]
	v_fma_f64 v[2:3], -v[2:3], v[20:21], v[22:23]
	v_div_fmas_f64 v[2:3], v[2:3], v[12:13], v[20:21]
	v_div_fixup_f64 v[0:1], v[2:3], v[0:1], 1.0
	v_mul_f64 v[2:3], v[10:11], -v[0:1]
.LBB124_1132:
	s_or_b64 exec, exec, s[18:19]
.LBB124_1133:
	s_or_b64 exec, exec, s[4:5]
	v_cmp_ne_u32_e32 vcc, v19, v4
	s_and_saveexec_b64 s[4:5], vcc
	s_xor_b64 s[4:5], exec, s[4:5]
	s_cbranch_execz .LBB124_1139
; %bb.1134:
	v_cmp_eq_u32_e32 vcc, 48, v19
	s_and_saveexec_b64 s[18:19], vcc
	s_cbranch_execz .LBB124_1138
; %bb.1135:
	v_cmp_ne_u32_e32 vcc, 48, v4
	s_xor_b64 s[16:17], s[10:11], -1
	s_and_b64 s[16:17], s[16:17], vcc
	s_and_saveexec_b64 s[24:25], s[16:17]
	s_cbranch_execz .LBB124_1137
; %bb.1136:
	v_ashrrev_i32_e32 v5, 31, v4
	v_lshlrev_b64 v[10:11], 2, v[4:5]
	v_add_co_u32_e32 v10, vcc, v8, v10
	v_addc_co_u32_e32 v11, vcc, v9, v11, vcc
	global_load_dword v5, v[10:11], off
	global_load_dword v12, v[8:9], off offset:192
	s_waitcnt vmcnt(1)
	global_store_dword v[8:9], v5, off offset:192
	s_waitcnt vmcnt(1)
	global_store_dword v[10:11], v12, off
.LBB124_1137:
	s_or_b64 exec, exec, s[24:25]
	v_mov_b32_e32 v19, v4
	v_mov_b32_e32 v18, v4
.LBB124_1138:
	s_or_b64 exec, exec, s[18:19]
.LBB124_1139:
	s_andn2_saveexec_b64 s[4:5], s[4:5]
	s_cbranch_execz .LBB124_1141
; %bb.1140:
	v_mov_b32_e32 v11, s38
	buffer_load_dword v4, v11, s[0:3], 0 offen
	buffer_load_dword v5, v11, s[0:3], 0 offen offset:4
	buffer_load_dword v10, v11, s[0:3], 0 offen offset:8
	s_nop 0
	buffer_load_dword v11, v11, s[0:3], 0 offen offset:12
	v_mov_b32_e32 v19, 48
	s_waitcnt vmcnt(0)
	ds_write2_b64 v16, v[4:5], v[10:11] offset0:98 offset1:99
	v_mov_b32_e32 v11, s37
	buffer_load_dword v4, v11, s[0:3], 0 offen
	buffer_load_dword v5, v11, s[0:3], 0 offen offset:4
	buffer_load_dword v10, v11, s[0:3], 0 offen offset:8
	s_nop 0
	buffer_load_dword v11, v11, s[0:3], 0 offen offset:12
	s_waitcnt vmcnt(0)
	ds_write2_b64 v16, v[4:5], v[10:11] offset0:100 offset1:101
	v_mov_b32_e32 v11, s36
	buffer_load_dword v4, v11, s[0:3], 0 offen
	buffer_load_dword v5, v11, s[0:3], 0 offen offset:4
	buffer_load_dword v10, v11, s[0:3], 0 offen offset:8
	s_nop 0
	buffer_load_dword v11, v11, s[0:3], 0 offen offset:12
	;; [unrolled: 8-line block ×13, first 2 shown]
	s_waitcnt vmcnt(0)
	ds_write2_b64 v16, v[4:5], v[10:11] offset0:124 offset1:125
.LBB124_1141:
	s_or_b64 exec, exec, s[4:5]
	v_cmp_lt_i32_e32 vcc, 48, v19
	s_waitcnt vmcnt(0) lgkmcnt(0)
	s_barrier
	s_and_saveexec_b64 s[4:5], vcc
	s_cbranch_execz .LBB124_1143
; %bb.1142:
	buffer_load_dword v4, off, s[0:3], 0 offset:768
	buffer_load_dword v5, off, s[0:3], 0 offset:772
	;; [unrolled: 1-line block ×16, first 2 shown]
	s_waitcnt vmcnt(12)
	v_mul_f64 v[30:31], v[2:3], v[10:11]
	v_fma_f64 v[30:31], v[0:1], v[4:5], -v[30:31]
	v_mul_f64 v[0:1], v[0:1], v[10:11]
	v_fma_f64 v[4:5], v[2:3], v[4:5], v[0:1]
	buffer_store_dword v30, off, s[0:3], 0 offset:768
	buffer_store_dword v31, off, s[0:3], 0 offset:772
	buffer_store_dword v4, off, s[0:3], 0 offset:776
	buffer_store_dword v5, off, s[0:3], 0 offset:780
	ds_read2_b64 v[0:3], v16 offset0:98 offset1:99
	s_waitcnt lgkmcnt(0)
	v_mul_f64 v[10:11], v[2:3], v[4:5]
	v_fma_f64 v[10:11], v[0:1], v[30:31], -v[10:11]
	v_mul_f64 v[0:1], v[0:1], v[4:5]
	v_fma_f64 v[0:1], v[2:3], v[30:31], v[0:1]
	s_waitcnt vmcnt(14)
	v_add_f64 v[2:3], v[12:13], -v[10:11]
	s_waitcnt vmcnt(12)
	v_add_f64 v[0:1], v[20:21], -v[0:1]
	buffer_store_dword v2, off, s[0:3], 0 offset:784
	buffer_store_dword v3, off, s[0:3], 0 offset:788
	buffer_store_dword v0, off, s[0:3], 0 offset:792
	buffer_store_dword v1, off, s[0:3], 0 offset:796
	ds_read2_b64 v[0:3], v16 offset0:100 offset1:101
	s_waitcnt lgkmcnt(0)
	v_mul_f64 v[10:11], v[2:3], v[4:5]
	v_fma_f64 v[10:11], v[0:1], v[30:31], -v[10:11]
	v_mul_f64 v[0:1], v[0:1], v[4:5]
	v_fma_f64 v[0:1], v[2:3], v[30:31], v[0:1]
	s_waitcnt vmcnt(14)
	v_add_f64 v[2:3], v[22:23], -v[10:11]
	s_waitcnt vmcnt(12)
	v_add_f64 v[0:1], v[24:25], -v[0:1]
	;; [unrolled: 14-line block ×3, first 2 shown]
	buffer_store_dword v3, off, s[0:3], 0 offset:820
	buffer_store_dword v2, off, s[0:3], 0 offset:816
	buffer_store_dword v0, off, s[0:3], 0 offset:824
	buffer_store_dword v1, off, s[0:3], 0 offset:828
	ds_read2_b64 v[0:3], v16 offset0:104 offset1:105
	s_waitcnt lgkmcnt(0)
	v_mul_f64 v[10:11], v[2:3], v[4:5]
	v_fma_f64 v[10:11], v[0:1], v[30:31], -v[10:11]
	v_mul_f64 v[0:1], v[0:1], v[4:5]
	v_fma_f64 v[0:1], v[2:3], v[30:31], v[0:1]
	buffer_load_dword v2, off, s[0:3], 0 offset:832
	buffer_load_dword v3, off, s[0:3], 0 offset:836
	buffer_load_dword v12, off, s[0:3], 0 offset:840
	buffer_load_dword v13, off, s[0:3], 0 offset:844
	s_waitcnt vmcnt(2)
	v_add_f64 v[2:3], v[2:3], -v[10:11]
	s_waitcnt vmcnt(0)
	v_add_f64 v[0:1], v[12:13], -v[0:1]
	buffer_store_dword v3, off, s[0:3], 0 offset:836
	buffer_store_dword v2, off, s[0:3], 0 offset:832
	buffer_store_dword v1, off, s[0:3], 0 offset:844
	buffer_store_dword v0, off, s[0:3], 0 offset:840
	ds_read2_b64 v[0:3], v16 offset0:106 offset1:107
	s_waitcnt lgkmcnt(0)
	v_mul_f64 v[10:11], v[2:3], v[4:5]
	v_fma_f64 v[10:11], v[0:1], v[30:31], -v[10:11]
	v_mul_f64 v[0:1], v[0:1], v[4:5]
	v_fma_f64 v[0:1], v[2:3], v[30:31], v[0:1]
	buffer_load_dword v2, off, s[0:3], 0 offset:848
	buffer_load_dword v3, off, s[0:3], 0 offset:852
	buffer_load_dword v12, off, s[0:3], 0 offset:856
	buffer_load_dword v13, off, s[0:3], 0 offset:860
	s_waitcnt vmcnt(2)
	v_add_f64 v[2:3], v[2:3], -v[10:11]
	s_waitcnt vmcnt(0)
	v_add_f64 v[0:1], v[12:13], -v[0:1]
	;; [unrolled: 18-line block ×3, first 2 shown]
	buffer_store_dword v3, off, s[0:3], 0 offset:868
	buffer_store_dword v2, off, s[0:3], 0 offset:864
	;; [unrolled: 1-line block ×4, first 2 shown]
	ds_read2_b64 v[10:13], v16 offset0:110 offset1:111
	buffer_load_dword v0, off, s[0:3], 0 offset:768
	buffer_load_dword v1, off, s[0:3], 0 offset:772
	;; [unrolled: 1-line block ×4, first 2 shown]
	s_waitcnt vmcnt(0) lgkmcnt(0)
	v_mul_f64 v[4:5], v[12:13], v[2:3]
	v_fma_f64 v[4:5], v[10:11], v[0:1], -v[4:5]
	v_mul_f64 v[10:11], v[10:11], v[2:3]
	v_fma_f64 v[10:11], v[12:13], v[0:1], v[10:11]
	buffer_load_dword v13, off, s[0:3], 0 offset:884
	buffer_load_dword v12, off, s[0:3], 0 offset:880
	s_waitcnt vmcnt(0)
	v_add_f64 v[4:5], v[12:13], -v[4:5]
	buffer_load_dword v13, off, s[0:3], 0 offset:892
	buffer_load_dword v12, off, s[0:3], 0 offset:888
	s_waitcnt vmcnt(0)
	v_add_f64 v[10:11], v[12:13], -v[10:11]
	buffer_store_dword v5, off, s[0:3], 0 offset:884
	buffer_store_dword v4, off, s[0:3], 0 offset:880
	buffer_store_dword v11, off, s[0:3], 0 offset:892
	buffer_store_dword v10, off, s[0:3], 0 offset:888
	ds_read2_b64 v[10:13], v16 offset0:112 offset1:113
	s_waitcnt lgkmcnt(0)
	v_mul_f64 v[4:5], v[12:13], v[2:3]
	v_fma_f64 v[4:5], v[10:11], v[0:1], -v[4:5]
	v_mul_f64 v[10:11], v[10:11], v[2:3]
	v_fma_f64 v[10:11], v[12:13], v[0:1], v[10:11]
	buffer_load_dword v12, off, s[0:3], 0 offset:896
	buffer_load_dword v13, off, s[0:3], 0 offset:900
	buffer_load_dword v20, off, s[0:3], 0 offset:904
	buffer_load_dword v21, off, s[0:3], 0 offset:908
	s_waitcnt vmcnt(2)
	v_add_f64 v[4:5], v[12:13], -v[4:5]
	s_waitcnt vmcnt(0)
	v_add_f64 v[10:11], v[20:21], -v[10:11]
	buffer_store_dword v5, off, s[0:3], 0 offset:900
	buffer_store_dword v4, off, s[0:3], 0 offset:896
	buffer_store_dword v11, off, s[0:3], 0 offset:908
	buffer_store_dword v10, off, s[0:3], 0 offset:904
	ds_read2_b64 v[10:13], v16 offset0:114 offset1:115
	s_waitcnt lgkmcnt(0)
	v_mul_f64 v[4:5], v[12:13], v[2:3]
	v_fma_f64 v[4:5], v[10:11], v[0:1], -v[4:5]
	v_mul_f64 v[10:11], v[10:11], v[2:3]
	v_fma_f64 v[10:11], v[12:13], v[0:1], v[10:11]
	buffer_load_dword v12, off, s[0:3], 0 offset:912
	buffer_load_dword v13, off, s[0:3], 0 offset:916
	buffer_load_dword v20, off, s[0:3], 0 offset:920
	buffer_load_dword v21, off, s[0:3], 0 offset:924
	s_waitcnt vmcnt(2)
	v_add_f64 v[4:5], v[12:13], -v[4:5]
	s_waitcnt vmcnt(0)
	v_add_f64 v[10:11], v[20:21], -v[10:11]
	buffer_store_dword v5, off, s[0:3], 0 offset:916
	buffer_store_dword v4, off, s[0:3], 0 offset:912
	buffer_store_dword v11, off, s[0:3], 0 offset:924
	buffer_store_dword v10, off, s[0:3], 0 offset:920
	ds_read2_b64 v[10:13], v16 offset0:116 offset1:117
	s_waitcnt lgkmcnt(0)
	v_mul_f64 v[4:5], v[12:13], v[2:3]
	v_fma_f64 v[4:5], v[10:11], v[0:1], -v[4:5]
	v_mul_f64 v[10:11], v[10:11], v[2:3]
	v_fma_f64 v[10:11], v[12:13], v[0:1], v[10:11]
	buffer_load_dword v12, off, s[0:3], 0 offset:928
	buffer_load_dword v13, off, s[0:3], 0 offset:932
	buffer_load_dword v20, off, s[0:3], 0 offset:936
	buffer_load_dword v21, off, s[0:3], 0 offset:940
	s_waitcnt vmcnt(2)
	v_add_f64 v[4:5], v[12:13], -v[4:5]
	s_waitcnt vmcnt(0)
	v_add_f64 v[10:11], v[20:21], -v[10:11]
	buffer_store_dword v5, off, s[0:3], 0 offset:932
	buffer_store_dword v4, off, s[0:3], 0 offset:928
	buffer_store_dword v11, off, s[0:3], 0 offset:940
	buffer_store_dword v10, off, s[0:3], 0 offset:936
	ds_read2_b64 v[10:13], v16 offset0:118 offset1:119
	s_waitcnt lgkmcnt(0)
	v_mul_f64 v[4:5], v[12:13], v[2:3]
	v_fma_f64 v[4:5], v[10:11], v[0:1], -v[4:5]
	v_mul_f64 v[10:11], v[10:11], v[2:3]
	v_fma_f64 v[10:11], v[12:13], v[0:1], v[10:11]
	buffer_load_dword v12, off, s[0:3], 0 offset:944
	buffer_load_dword v13, off, s[0:3], 0 offset:948
	buffer_load_dword v20, off, s[0:3], 0 offset:952
	buffer_load_dword v21, off, s[0:3], 0 offset:956
	s_waitcnt vmcnt(2)
	v_add_f64 v[4:5], v[12:13], -v[4:5]
	s_waitcnt vmcnt(0)
	v_add_f64 v[10:11], v[20:21], -v[10:11]
	buffer_store_dword v5, off, s[0:3], 0 offset:948
	buffer_store_dword v4, off, s[0:3], 0 offset:944
	;; [unrolled: 1-line block ×4, first 2 shown]
	ds_read2_b64 v[10:13], v16 offset0:120 offset1:121
	s_waitcnt lgkmcnt(0)
	v_mul_f64 v[4:5], v[12:13], v[2:3]
	v_mul_f64 v[2:3], v[10:11], v[2:3]
	v_fma_f64 v[4:5], v[10:11], v[0:1], -v[4:5]
	v_fma_f64 v[0:1], v[12:13], v[0:1], v[2:3]
	buffer_load_dword v2, off, s[0:3], 0 offset:960
	buffer_load_dword v3, off, s[0:3], 0 offset:964
	;; [unrolled: 1-line block ×4, first 2 shown]
	s_waitcnt vmcnt(2)
	v_add_f64 v[2:3], v[2:3], -v[4:5]
	s_waitcnt vmcnt(0)
	v_add_f64 v[0:1], v[10:11], -v[0:1]
	buffer_store_dword v3, off, s[0:3], 0 offset:964
	buffer_store_dword v2, off, s[0:3], 0 offset:960
	;; [unrolled: 1-line block ×4, first 2 shown]
	ds_read2_b64 v[0:3], v16 offset0:122 offset1:123
	buffer_load_dword v4, off, s[0:3], 0 offset:768
	buffer_load_dword v5, off, s[0:3], 0 offset:772
	;; [unrolled: 1-line block ×4, first 2 shown]
	s_waitcnt vmcnt(0) lgkmcnt(0)
	v_mul_f64 v[12:13], v[2:3], v[10:11]
	v_fma_f64 v[12:13], v[0:1], v[4:5], -v[12:13]
	v_mul_f64 v[0:1], v[0:1], v[10:11]
	v_fma_f64 v[0:1], v[2:3], v[4:5], v[0:1]
	buffer_load_dword v3, off, s[0:3], 0 offset:980
	buffer_load_dword v2, off, s[0:3], 0 offset:976
	s_waitcnt vmcnt(0)
	v_add_f64 v[2:3], v[2:3], -v[12:13]
	buffer_load_dword v13, off, s[0:3], 0 offset:988
	buffer_load_dword v12, off, s[0:3], 0 offset:984
	s_waitcnt vmcnt(0)
	v_add_f64 v[0:1], v[12:13], -v[0:1]
	buffer_store_dword v3, off, s[0:3], 0 offset:980
	buffer_store_dword v2, off, s[0:3], 0 offset:976
	;; [unrolled: 1-line block ×4, first 2 shown]
	ds_read2_b64 v[0:3], v16 offset0:124 offset1:125
	s_waitcnt lgkmcnt(0)
	v_mul_f64 v[12:13], v[2:3], v[10:11]
	v_fma_f64 v[12:13], v[0:1], v[4:5], -v[12:13]
	v_mul_f64 v[0:1], v[0:1], v[10:11]
	v_fma_f64 v[0:1], v[2:3], v[4:5], v[0:1]
	buffer_load_dword v2, off, s[0:3], 0 offset:992
	buffer_load_dword v3, off, s[0:3], 0 offset:996
	;; [unrolled: 1-line block ×4, first 2 shown]
	s_waitcnt vmcnt(2)
	v_add_f64 v[2:3], v[2:3], -v[12:13]
	s_waitcnt vmcnt(0)
	v_add_f64 v[0:1], v[4:5], -v[0:1]
	buffer_store_dword v3, off, s[0:3], 0 offset:996
	buffer_store_dword v2, off, s[0:3], 0 offset:992
	;; [unrolled: 1-line block ×4, first 2 shown]
.LBB124_1143:
	s_or_b64 exec, exec, s[4:5]
	v_mov_b32_e32 v3, s38
	s_waitcnt vmcnt(0)
	s_barrier
	buffer_load_dword v0, v3, s[0:3], 0 offen
	buffer_load_dword v1, v3, s[0:3], 0 offen offset:4
	buffer_load_dword v2, v3, s[0:3], 0 offen offset:8
	s_nop 0
	buffer_load_dword v3, v3, s[0:3], 0 offen offset:12
	v_lshl_add_u32 v4, v19, 4, v16
	s_cmp_lt_i32 s65, 51
	s_waitcnt vmcnt(0)
	ds_write2_b64 v4, v[0:1], v[2:3] offset1:1
	s_waitcnt lgkmcnt(0)
	s_barrier
	ds_read2_b64 v[0:3], v16 offset0:98 offset1:99
	v_mov_b32_e32 v4, 49
	s_cbranch_scc1 .LBB124_1146
; %bb.1144:
	v_add_u32_e32 v5, 0x320, v16
	s_mov_b32 s16, 50
	v_mov_b32_e32 v4, 49
.LBB124_1145:                           ; =>This Inner Loop Header: Depth=1
	s_waitcnt lgkmcnt(0)
	v_cmp_gt_f64_e32 vcc, 0, v[2:3]
	v_cmp_gt_f64_e64 s[4:5], 0, v[0:1]
	ds_read2_b64 v[10:13], v5 offset1:1
	v_xor_b32_e32 v21, 0x80000000, v1
	v_xor_b32_e32 v23, 0x80000000, v3
	v_mov_b32_e32 v20, v0
	v_mov_b32_e32 v22, v2
	s_waitcnt lgkmcnt(0)
	v_xor_b32_e32 v25, 0x80000000, v13
	v_cndmask_b32_e32 v23, v3, v23, vcc
	v_cndmask_b32_e64 v21, v1, v21, s[4:5]
	v_cmp_gt_f64_e32 vcc, 0, v[12:13]
	v_cmp_gt_f64_e64 s[4:5], 0, v[10:11]
	v_add_f64 v[20:21], v[20:21], v[22:23]
	v_xor_b32_e32 v23, 0x80000000, v11
	v_mov_b32_e32 v22, v10
	v_mov_b32_e32 v24, v12
	v_add_u32_e32 v5, 16, v5
	v_cndmask_b32_e32 v25, v13, v25, vcc
	v_cndmask_b32_e64 v23, v11, v23, s[4:5]
	v_add_f64 v[22:23], v[22:23], v[24:25]
	v_mov_b32_e32 v24, s16
	s_add_i32 s16, s16, 1
	s_cmp_lg_u32 s65, s16
	v_cmp_lt_f64_e32 vcc, v[20:21], v[22:23]
	v_cndmask_b32_e32 v1, v1, v11, vcc
	v_cndmask_b32_e32 v0, v0, v10, vcc
	;; [unrolled: 1-line block ×5, first 2 shown]
	s_cbranch_scc1 .LBB124_1145
.LBB124_1146:
	s_waitcnt lgkmcnt(0)
	v_cmp_eq_f64_e32 vcc, 0, v[0:1]
	v_cmp_eq_f64_e64 s[4:5], 0, v[2:3]
	s_and_b64 s[4:5], vcc, s[4:5]
	s_and_saveexec_b64 s[16:17], s[4:5]
	s_xor_b64 s[4:5], exec, s[16:17]
; %bb.1147:
	v_cmp_ne_u32_e32 vcc, 0, v17
	v_cndmask_b32_e32 v17, 50, v17, vcc
; %bb.1148:
	s_andn2_saveexec_b64 s[4:5], s[4:5]
	s_cbranch_execz .LBB124_1154
; %bb.1149:
	v_cmp_ngt_f64_e64 s[16:17], |v[0:1]|, |v[2:3]|
	s_and_saveexec_b64 s[18:19], s[16:17]
	s_xor_b64 s[18:19], exec, s[18:19]
	s_cbranch_execz .LBB124_1151
; %bb.1150:
	v_div_scale_f64 v[10:11], s[16:17], v[2:3], v[2:3], v[0:1]
	v_rcp_f64_e32 v[12:13], v[10:11]
	v_fma_f64 v[20:21], -v[10:11], v[12:13], 1.0
	v_fma_f64 v[12:13], v[12:13], v[20:21], v[12:13]
	v_div_scale_f64 v[20:21], vcc, v[0:1], v[2:3], v[0:1]
	v_fma_f64 v[22:23], -v[10:11], v[12:13], 1.0
	v_fma_f64 v[12:13], v[12:13], v[22:23], v[12:13]
	v_mul_f64 v[22:23], v[20:21], v[12:13]
	v_fma_f64 v[10:11], -v[10:11], v[22:23], v[20:21]
	v_div_fmas_f64 v[10:11], v[10:11], v[12:13], v[22:23]
	v_div_fixup_f64 v[10:11], v[10:11], v[2:3], v[0:1]
	v_fma_f64 v[0:1], v[0:1], v[10:11], v[2:3]
	v_div_scale_f64 v[2:3], s[16:17], v[0:1], v[0:1], 1.0
	v_div_scale_f64 v[22:23], vcc, 1.0, v[0:1], 1.0
	v_rcp_f64_e32 v[12:13], v[2:3]
	v_fma_f64 v[20:21], -v[2:3], v[12:13], 1.0
	v_fma_f64 v[12:13], v[12:13], v[20:21], v[12:13]
	v_fma_f64 v[20:21], -v[2:3], v[12:13], 1.0
	v_fma_f64 v[12:13], v[12:13], v[20:21], v[12:13]
	v_mul_f64 v[20:21], v[22:23], v[12:13]
	v_fma_f64 v[2:3], -v[2:3], v[20:21], v[22:23]
	v_div_fmas_f64 v[2:3], v[2:3], v[12:13], v[20:21]
	v_div_fixup_f64 v[2:3], v[2:3], v[0:1], 1.0
	v_mul_f64 v[0:1], v[10:11], v[2:3]
	v_xor_b32_e32 v3, 0x80000000, v3
.LBB124_1151:
	s_andn2_saveexec_b64 s[18:19], s[18:19]
	s_cbranch_execz .LBB124_1153
; %bb.1152:
	v_div_scale_f64 v[10:11], s[16:17], v[0:1], v[0:1], v[2:3]
	v_rcp_f64_e32 v[12:13], v[10:11]
	v_fma_f64 v[20:21], -v[10:11], v[12:13], 1.0
	v_fma_f64 v[12:13], v[12:13], v[20:21], v[12:13]
	v_div_scale_f64 v[20:21], vcc, v[2:3], v[0:1], v[2:3]
	v_fma_f64 v[22:23], -v[10:11], v[12:13], 1.0
	v_fma_f64 v[12:13], v[12:13], v[22:23], v[12:13]
	v_mul_f64 v[22:23], v[20:21], v[12:13]
	v_fma_f64 v[10:11], -v[10:11], v[22:23], v[20:21]
	v_div_fmas_f64 v[10:11], v[10:11], v[12:13], v[22:23]
	v_div_fixup_f64 v[10:11], v[10:11], v[0:1], v[2:3]
	v_fma_f64 v[0:1], v[2:3], v[10:11], v[0:1]
	v_div_scale_f64 v[2:3], s[16:17], v[0:1], v[0:1], 1.0
	v_div_scale_f64 v[22:23], vcc, 1.0, v[0:1], 1.0
	v_rcp_f64_e32 v[12:13], v[2:3]
	v_fma_f64 v[20:21], -v[2:3], v[12:13], 1.0
	v_fma_f64 v[12:13], v[12:13], v[20:21], v[12:13]
	v_fma_f64 v[20:21], -v[2:3], v[12:13], 1.0
	v_fma_f64 v[12:13], v[12:13], v[20:21], v[12:13]
	v_mul_f64 v[20:21], v[22:23], v[12:13]
	v_fma_f64 v[2:3], -v[2:3], v[20:21], v[22:23]
	v_div_fmas_f64 v[2:3], v[2:3], v[12:13], v[20:21]
	v_div_fixup_f64 v[0:1], v[2:3], v[0:1], 1.0
	v_mul_f64 v[2:3], v[10:11], -v[0:1]
.LBB124_1153:
	s_or_b64 exec, exec, s[18:19]
.LBB124_1154:
	s_or_b64 exec, exec, s[4:5]
	v_cmp_ne_u32_e32 vcc, v19, v4
	s_and_saveexec_b64 s[4:5], vcc
	s_xor_b64 s[4:5], exec, s[4:5]
	s_cbranch_execz .LBB124_1160
; %bb.1155:
	v_cmp_eq_u32_e32 vcc, 49, v19
	s_and_saveexec_b64 s[18:19], vcc
	s_cbranch_execz .LBB124_1159
; %bb.1156:
	v_cmp_ne_u32_e32 vcc, 49, v4
	s_xor_b64 s[16:17], s[10:11], -1
	s_and_b64 s[16:17], s[16:17], vcc
	s_and_saveexec_b64 s[24:25], s[16:17]
	s_cbranch_execz .LBB124_1158
; %bb.1157:
	v_ashrrev_i32_e32 v5, 31, v4
	v_lshlrev_b64 v[10:11], 2, v[4:5]
	v_add_co_u32_e32 v10, vcc, v8, v10
	v_addc_co_u32_e32 v11, vcc, v9, v11, vcc
	global_load_dword v5, v[10:11], off
	global_load_dword v12, v[8:9], off offset:196
	s_waitcnt vmcnt(1)
	global_store_dword v[8:9], v5, off offset:196
	s_waitcnt vmcnt(1)
	global_store_dword v[10:11], v12, off
.LBB124_1158:
	s_or_b64 exec, exec, s[24:25]
	v_mov_b32_e32 v19, v4
	v_mov_b32_e32 v18, v4
.LBB124_1159:
	s_or_b64 exec, exec, s[18:19]
.LBB124_1160:
	s_andn2_saveexec_b64 s[4:5], s[4:5]
	s_cbranch_execz .LBB124_1162
; %bb.1161:
	v_mov_b32_e32 v11, s37
	buffer_load_dword v4, v11, s[0:3], 0 offen
	buffer_load_dword v5, v11, s[0:3], 0 offen offset:4
	buffer_load_dword v10, v11, s[0:3], 0 offen offset:8
	s_nop 0
	buffer_load_dword v11, v11, s[0:3], 0 offen offset:12
	v_mov_b32_e32 v19, 49
	s_waitcnt vmcnt(0)
	ds_write2_b64 v16, v[4:5], v[10:11] offset0:100 offset1:101
	v_mov_b32_e32 v11, s36
	buffer_load_dword v4, v11, s[0:3], 0 offen
	buffer_load_dword v5, v11, s[0:3], 0 offen offset:4
	buffer_load_dword v10, v11, s[0:3], 0 offen offset:8
	s_nop 0
	buffer_load_dword v11, v11, s[0:3], 0 offen offset:12
	s_waitcnt vmcnt(0)
	ds_write2_b64 v16, v[4:5], v[10:11] offset0:102 offset1:103
	v_mov_b32_e32 v11, s35
	buffer_load_dword v4, v11, s[0:3], 0 offen
	buffer_load_dword v5, v11, s[0:3], 0 offen offset:4
	buffer_load_dword v10, v11, s[0:3], 0 offen offset:8
	s_nop 0
	buffer_load_dword v11, v11, s[0:3], 0 offen offset:12
	;; [unrolled: 8-line block ×12, first 2 shown]
	s_waitcnt vmcnt(0)
	ds_write2_b64 v16, v[4:5], v[10:11] offset0:124 offset1:125
.LBB124_1162:
	s_or_b64 exec, exec, s[4:5]
	v_cmp_lt_i32_e32 vcc, 49, v19
	s_waitcnt vmcnt(0) lgkmcnt(0)
	s_barrier
	s_and_saveexec_b64 s[4:5], vcc
	s_cbranch_execz .LBB124_1164
; %bb.1163:
	buffer_load_dword v10, off, s[0:3], 0 offset:784
	buffer_load_dword v11, off, s[0:3], 0 offset:788
	;; [unrolled: 1-line block ×16, first 2 shown]
	s_waitcnt vmcnt(12)
	v_mul_f64 v[4:5], v[2:3], v[12:13]
	v_fma_f64 v[4:5], v[0:1], v[10:11], -v[4:5]
	v_mul_f64 v[0:1], v[0:1], v[12:13]
	v_fma_f64 v[10:11], v[2:3], v[10:11], v[0:1]
	buffer_store_dword v4, off, s[0:3], 0 offset:784
	buffer_store_dword v5, off, s[0:3], 0 offset:788
	buffer_store_dword v10, off, s[0:3], 0 offset:792
	buffer_store_dword v11, off, s[0:3], 0 offset:796
	ds_read2_b64 v[0:3], v16 offset0:100 offset1:101
	s_waitcnt lgkmcnt(0)
	v_mul_f64 v[12:13], v[2:3], v[10:11]
	v_fma_f64 v[12:13], v[0:1], v[4:5], -v[12:13]
	v_mul_f64 v[0:1], v[0:1], v[10:11]
	v_fma_f64 v[0:1], v[2:3], v[4:5], v[0:1]
	s_waitcnt vmcnt(14)
	v_add_f64 v[2:3], v[20:21], -v[12:13]
	s_waitcnt vmcnt(12)
	v_add_f64 v[0:1], v[22:23], -v[0:1]
	buffer_store_dword v2, off, s[0:3], 0 offset:800
	buffer_store_dword v3, off, s[0:3], 0 offset:804
	buffer_store_dword v0, off, s[0:3], 0 offset:808
	buffer_store_dword v1, off, s[0:3], 0 offset:812
	ds_read2_b64 v[0:3], v16 offset0:102 offset1:103
	s_waitcnt lgkmcnt(0)
	v_mul_f64 v[12:13], v[2:3], v[10:11]
	v_fma_f64 v[12:13], v[0:1], v[4:5], -v[12:13]
	v_mul_f64 v[0:1], v[0:1], v[10:11]
	v_fma_f64 v[0:1], v[2:3], v[4:5], v[0:1]
	s_waitcnt vmcnt(14)
	v_add_f64 v[2:3], v[24:25], -v[12:13]
	s_waitcnt vmcnt(12)
	v_add_f64 v[0:1], v[26:27], -v[0:1]
	;; [unrolled: 14-line block ×3, first 2 shown]
	buffer_store_dword v3, off, s[0:3], 0 offset:836
	buffer_store_dword v2, off, s[0:3], 0 offset:832
	buffer_store_dword v0, off, s[0:3], 0 offset:840
	buffer_store_dword v1, off, s[0:3], 0 offset:844
	ds_read2_b64 v[0:3], v16 offset0:106 offset1:107
	s_waitcnt lgkmcnt(0)
	v_mul_f64 v[12:13], v[2:3], v[10:11]
	v_fma_f64 v[12:13], v[0:1], v[4:5], -v[12:13]
	v_mul_f64 v[0:1], v[0:1], v[10:11]
	v_fma_f64 v[0:1], v[2:3], v[4:5], v[0:1]
	buffer_load_dword v2, off, s[0:3], 0 offset:848
	buffer_load_dword v3, off, s[0:3], 0 offset:852
	buffer_load_dword v20, off, s[0:3], 0 offset:856
	buffer_load_dword v21, off, s[0:3], 0 offset:860
	s_waitcnt vmcnt(2)
	v_add_f64 v[2:3], v[2:3], -v[12:13]
	s_waitcnt vmcnt(0)
	v_add_f64 v[0:1], v[20:21], -v[0:1]
	buffer_store_dword v3, off, s[0:3], 0 offset:852
	buffer_store_dword v2, off, s[0:3], 0 offset:848
	buffer_store_dword v1, off, s[0:3], 0 offset:860
	buffer_store_dword v0, off, s[0:3], 0 offset:856
	ds_read2_b64 v[0:3], v16 offset0:108 offset1:109
	s_waitcnt lgkmcnt(0)
	v_mul_f64 v[12:13], v[2:3], v[10:11]
	v_fma_f64 v[12:13], v[0:1], v[4:5], -v[12:13]
	v_mul_f64 v[0:1], v[0:1], v[10:11]
	v_fma_f64 v[0:1], v[2:3], v[4:5], v[0:1]
	buffer_load_dword v2, off, s[0:3], 0 offset:864
	buffer_load_dword v3, off, s[0:3], 0 offset:868
	buffer_load_dword v20, off, s[0:3], 0 offset:872
	buffer_load_dword v21, off, s[0:3], 0 offset:876
	s_waitcnt vmcnt(2)
	v_add_f64 v[2:3], v[2:3], -v[12:13]
	s_waitcnt vmcnt(0)
	v_add_f64 v[0:1], v[20:21], -v[0:1]
	;; [unrolled: 18-line block ×3, first 2 shown]
	buffer_store_dword v3, off, s[0:3], 0 offset:884
	buffer_store_dword v2, off, s[0:3], 0 offset:880
	;; [unrolled: 1-line block ×4, first 2 shown]
	ds_read2_b64 v[0:3], v16 offset0:112 offset1:113
	buffer_load_dword v4, off, s[0:3], 0 offset:784
	buffer_load_dword v5, off, s[0:3], 0 offset:788
	;; [unrolled: 1-line block ×4, first 2 shown]
	s_waitcnt vmcnt(0) lgkmcnt(0)
	v_mul_f64 v[12:13], v[2:3], v[10:11]
	v_fma_f64 v[12:13], v[0:1], v[4:5], -v[12:13]
	v_mul_f64 v[0:1], v[0:1], v[10:11]
	v_fma_f64 v[0:1], v[2:3], v[4:5], v[0:1]
	buffer_load_dword v3, off, s[0:3], 0 offset:900
	buffer_load_dword v2, off, s[0:3], 0 offset:896
	s_waitcnt vmcnt(0)
	v_add_f64 v[2:3], v[2:3], -v[12:13]
	buffer_load_dword v13, off, s[0:3], 0 offset:908
	buffer_load_dword v12, off, s[0:3], 0 offset:904
	s_waitcnt vmcnt(0)
	v_add_f64 v[0:1], v[12:13], -v[0:1]
	buffer_store_dword v3, off, s[0:3], 0 offset:900
	buffer_store_dword v2, off, s[0:3], 0 offset:896
	buffer_store_dword v1, off, s[0:3], 0 offset:908
	buffer_store_dword v0, off, s[0:3], 0 offset:904
	ds_read2_b64 v[0:3], v16 offset0:114 offset1:115
	s_waitcnt lgkmcnt(0)
	v_mul_f64 v[12:13], v[2:3], v[10:11]
	v_fma_f64 v[12:13], v[0:1], v[4:5], -v[12:13]
	v_mul_f64 v[0:1], v[0:1], v[10:11]
	v_fma_f64 v[0:1], v[2:3], v[4:5], v[0:1]
	buffer_load_dword v2, off, s[0:3], 0 offset:912
	buffer_load_dword v3, off, s[0:3], 0 offset:916
	buffer_load_dword v20, off, s[0:3], 0 offset:920
	buffer_load_dword v21, off, s[0:3], 0 offset:924
	s_waitcnt vmcnt(2)
	v_add_f64 v[2:3], v[2:3], -v[12:13]
	s_waitcnt vmcnt(0)
	v_add_f64 v[0:1], v[20:21], -v[0:1]
	buffer_store_dword v3, off, s[0:3], 0 offset:916
	buffer_store_dword v2, off, s[0:3], 0 offset:912
	buffer_store_dword v1, off, s[0:3], 0 offset:924
	buffer_store_dword v0, off, s[0:3], 0 offset:920
	ds_read2_b64 v[0:3], v16 offset0:116 offset1:117
	s_waitcnt lgkmcnt(0)
	v_mul_f64 v[12:13], v[2:3], v[10:11]
	v_fma_f64 v[12:13], v[0:1], v[4:5], -v[12:13]
	v_mul_f64 v[0:1], v[0:1], v[10:11]
	v_fma_f64 v[0:1], v[2:3], v[4:5], v[0:1]
	buffer_load_dword v2, off, s[0:3], 0 offset:928
	buffer_load_dword v3, off, s[0:3], 0 offset:932
	buffer_load_dword v20, off, s[0:3], 0 offset:936
	buffer_load_dword v21, off, s[0:3], 0 offset:940
	s_waitcnt vmcnt(2)
	v_add_f64 v[2:3], v[2:3], -v[12:13]
	;; [unrolled: 18-line block ×5, first 2 shown]
	s_waitcnt vmcnt(0)
	v_add_f64 v[0:1], v[4:5], -v[0:1]
	buffer_store_dword v3, off, s[0:3], 0 offset:980
	buffer_store_dword v2, off, s[0:3], 0 offset:976
	;; [unrolled: 1-line block ×4, first 2 shown]
	ds_read2_b64 v[0:3], v16 offset0:124 offset1:125
	buffer_load_dword v4, off, s[0:3], 0 offset:784
	buffer_load_dword v5, off, s[0:3], 0 offset:788
	;; [unrolled: 1-line block ×4, first 2 shown]
	s_waitcnt vmcnt(0) lgkmcnt(0)
	v_mul_f64 v[12:13], v[2:3], v[10:11]
	v_fma_f64 v[12:13], v[0:1], v[4:5], -v[12:13]
	v_mul_f64 v[0:1], v[0:1], v[10:11]
	v_fma_f64 v[0:1], v[2:3], v[4:5], v[0:1]
	buffer_load_dword v3, off, s[0:3], 0 offset:996
	buffer_load_dword v2, off, s[0:3], 0 offset:992
	buffer_load_dword v5, off, s[0:3], 0 offset:1004
	buffer_load_dword v4, off, s[0:3], 0 offset:1000
	s_waitcnt vmcnt(2)
	v_add_f64 v[2:3], v[2:3], -v[12:13]
	s_waitcnt vmcnt(0)
	v_add_f64 v[0:1], v[4:5], -v[0:1]
	buffer_store_dword v3, off, s[0:3], 0 offset:996
	buffer_store_dword v2, off, s[0:3], 0 offset:992
	;; [unrolled: 1-line block ×4, first 2 shown]
.LBB124_1164:
	s_or_b64 exec, exec, s[4:5]
	v_mov_b32_e32 v3, s37
	s_waitcnt vmcnt(0)
	s_barrier
	buffer_load_dword v0, v3, s[0:3], 0 offen
	buffer_load_dword v1, v3, s[0:3], 0 offen offset:4
	buffer_load_dword v2, v3, s[0:3], 0 offen offset:8
	s_nop 0
	buffer_load_dword v3, v3, s[0:3], 0 offen offset:12
	v_lshl_add_u32 v4, v19, 4, v16
	s_cmp_lt_i32 s65, 52
	s_waitcnt vmcnt(0)
	ds_write2_b64 v4, v[0:1], v[2:3] offset1:1
	s_waitcnt lgkmcnt(0)
	s_barrier
	ds_read2_b64 v[0:3], v16 offset0:100 offset1:101
	v_mov_b32_e32 v4, 50
	s_cbranch_scc1 .LBB124_1167
; %bb.1165:
	v_add_u32_e32 v5, 0x330, v16
	s_mov_b32 s16, 51
	v_mov_b32_e32 v4, 50
.LBB124_1166:                           ; =>This Inner Loop Header: Depth=1
	s_waitcnt lgkmcnt(0)
	v_cmp_gt_f64_e32 vcc, 0, v[2:3]
	v_cmp_gt_f64_e64 s[4:5], 0, v[0:1]
	ds_read2_b64 v[10:13], v5 offset1:1
	v_xor_b32_e32 v21, 0x80000000, v1
	v_xor_b32_e32 v23, 0x80000000, v3
	v_mov_b32_e32 v20, v0
	v_mov_b32_e32 v22, v2
	s_waitcnt lgkmcnt(0)
	v_xor_b32_e32 v25, 0x80000000, v13
	v_cndmask_b32_e32 v23, v3, v23, vcc
	v_cndmask_b32_e64 v21, v1, v21, s[4:5]
	v_cmp_gt_f64_e32 vcc, 0, v[12:13]
	v_cmp_gt_f64_e64 s[4:5], 0, v[10:11]
	v_add_f64 v[20:21], v[20:21], v[22:23]
	v_xor_b32_e32 v23, 0x80000000, v11
	v_mov_b32_e32 v22, v10
	v_mov_b32_e32 v24, v12
	v_add_u32_e32 v5, 16, v5
	v_cndmask_b32_e32 v25, v13, v25, vcc
	v_cndmask_b32_e64 v23, v11, v23, s[4:5]
	v_add_f64 v[22:23], v[22:23], v[24:25]
	v_mov_b32_e32 v24, s16
	s_add_i32 s16, s16, 1
	s_cmp_lg_u32 s65, s16
	v_cmp_lt_f64_e32 vcc, v[20:21], v[22:23]
	v_cndmask_b32_e32 v1, v1, v11, vcc
	v_cndmask_b32_e32 v0, v0, v10, vcc
	;; [unrolled: 1-line block ×5, first 2 shown]
	s_cbranch_scc1 .LBB124_1166
.LBB124_1167:
	s_waitcnt lgkmcnt(0)
	v_cmp_eq_f64_e32 vcc, 0, v[0:1]
	v_cmp_eq_f64_e64 s[4:5], 0, v[2:3]
	s_and_b64 s[4:5], vcc, s[4:5]
	s_and_saveexec_b64 s[16:17], s[4:5]
	s_xor_b64 s[4:5], exec, s[16:17]
; %bb.1168:
	v_cmp_ne_u32_e32 vcc, 0, v17
	v_cndmask_b32_e32 v17, 51, v17, vcc
; %bb.1169:
	s_andn2_saveexec_b64 s[4:5], s[4:5]
	s_cbranch_execz .LBB124_1175
; %bb.1170:
	v_cmp_ngt_f64_e64 s[16:17], |v[0:1]|, |v[2:3]|
	s_and_saveexec_b64 s[18:19], s[16:17]
	s_xor_b64 s[18:19], exec, s[18:19]
	s_cbranch_execz .LBB124_1172
; %bb.1171:
	v_div_scale_f64 v[10:11], s[16:17], v[2:3], v[2:3], v[0:1]
	v_rcp_f64_e32 v[12:13], v[10:11]
	v_fma_f64 v[20:21], -v[10:11], v[12:13], 1.0
	v_fma_f64 v[12:13], v[12:13], v[20:21], v[12:13]
	v_div_scale_f64 v[20:21], vcc, v[0:1], v[2:3], v[0:1]
	v_fma_f64 v[22:23], -v[10:11], v[12:13], 1.0
	v_fma_f64 v[12:13], v[12:13], v[22:23], v[12:13]
	v_mul_f64 v[22:23], v[20:21], v[12:13]
	v_fma_f64 v[10:11], -v[10:11], v[22:23], v[20:21]
	v_div_fmas_f64 v[10:11], v[10:11], v[12:13], v[22:23]
	v_div_fixup_f64 v[10:11], v[10:11], v[2:3], v[0:1]
	v_fma_f64 v[0:1], v[0:1], v[10:11], v[2:3]
	v_div_scale_f64 v[2:3], s[16:17], v[0:1], v[0:1], 1.0
	v_div_scale_f64 v[22:23], vcc, 1.0, v[0:1], 1.0
	v_rcp_f64_e32 v[12:13], v[2:3]
	v_fma_f64 v[20:21], -v[2:3], v[12:13], 1.0
	v_fma_f64 v[12:13], v[12:13], v[20:21], v[12:13]
	v_fma_f64 v[20:21], -v[2:3], v[12:13], 1.0
	v_fma_f64 v[12:13], v[12:13], v[20:21], v[12:13]
	v_mul_f64 v[20:21], v[22:23], v[12:13]
	v_fma_f64 v[2:3], -v[2:3], v[20:21], v[22:23]
	v_div_fmas_f64 v[2:3], v[2:3], v[12:13], v[20:21]
	v_div_fixup_f64 v[2:3], v[2:3], v[0:1], 1.0
	v_mul_f64 v[0:1], v[10:11], v[2:3]
	v_xor_b32_e32 v3, 0x80000000, v3
.LBB124_1172:
	s_andn2_saveexec_b64 s[18:19], s[18:19]
	s_cbranch_execz .LBB124_1174
; %bb.1173:
	v_div_scale_f64 v[10:11], s[16:17], v[0:1], v[0:1], v[2:3]
	v_rcp_f64_e32 v[12:13], v[10:11]
	v_fma_f64 v[20:21], -v[10:11], v[12:13], 1.0
	v_fma_f64 v[12:13], v[12:13], v[20:21], v[12:13]
	v_div_scale_f64 v[20:21], vcc, v[2:3], v[0:1], v[2:3]
	v_fma_f64 v[22:23], -v[10:11], v[12:13], 1.0
	v_fma_f64 v[12:13], v[12:13], v[22:23], v[12:13]
	v_mul_f64 v[22:23], v[20:21], v[12:13]
	v_fma_f64 v[10:11], -v[10:11], v[22:23], v[20:21]
	v_div_fmas_f64 v[10:11], v[10:11], v[12:13], v[22:23]
	v_div_fixup_f64 v[10:11], v[10:11], v[0:1], v[2:3]
	v_fma_f64 v[0:1], v[2:3], v[10:11], v[0:1]
	v_div_scale_f64 v[2:3], s[16:17], v[0:1], v[0:1], 1.0
	v_div_scale_f64 v[22:23], vcc, 1.0, v[0:1], 1.0
	v_rcp_f64_e32 v[12:13], v[2:3]
	v_fma_f64 v[20:21], -v[2:3], v[12:13], 1.0
	v_fma_f64 v[12:13], v[12:13], v[20:21], v[12:13]
	v_fma_f64 v[20:21], -v[2:3], v[12:13], 1.0
	v_fma_f64 v[12:13], v[12:13], v[20:21], v[12:13]
	v_mul_f64 v[20:21], v[22:23], v[12:13]
	v_fma_f64 v[2:3], -v[2:3], v[20:21], v[22:23]
	v_div_fmas_f64 v[2:3], v[2:3], v[12:13], v[20:21]
	v_div_fixup_f64 v[0:1], v[2:3], v[0:1], 1.0
	v_mul_f64 v[2:3], v[10:11], -v[0:1]
.LBB124_1174:
	s_or_b64 exec, exec, s[18:19]
.LBB124_1175:
	s_or_b64 exec, exec, s[4:5]
	v_cmp_ne_u32_e32 vcc, v19, v4
	s_and_saveexec_b64 s[4:5], vcc
	s_xor_b64 s[4:5], exec, s[4:5]
	s_cbranch_execz .LBB124_1181
; %bb.1176:
	v_cmp_eq_u32_e32 vcc, 50, v19
	s_and_saveexec_b64 s[18:19], vcc
	s_cbranch_execz .LBB124_1180
; %bb.1177:
	v_cmp_ne_u32_e32 vcc, 50, v4
	s_xor_b64 s[16:17], s[10:11], -1
	s_and_b64 s[16:17], s[16:17], vcc
	s_and_saveexec_b64 s[24:25], s[16:17]
	s_cbranch_execz .LBB124_1179
; %bb.1178:
	v_ashrrev_i32_e32 v5, 31, v4
	v_lshlrev_b64 v[10:11], 2, v[4:5]
	v_add_co_u32_e32 v10, vcc, v8, v10
	v_addc_co_u32_e32 v11, vcc, v9, v11, vcc
	global_load_dword v5, v[10:11], off
	global_load_dword v12, v[8:9], off offset:200
	s_waitcnt vmcnt(1)
	global_store_dword v[8:9], v5, off offset:200
	s_waitcnt vmcnt(1)
	global_store_dword v[10:11], v12, off
.LBB124_1179:
	s_or_b64 exec, exec, s[24:25]
	v_mov_b32_e32 v19, v4
	v_mov_b32_e32 v18, v4
.LBB124_1180:
	s_or_b64 exec, exec, s[18:19]
.LBB124_1181:
	s_andn2_saveexec_b64 s[4:5], s[4:5]
	s_cbranch_execz .LBB124_1183
; %bb.1182:
	v_mov_b32_e32 v11, s36
	v_mov_b32_e32 v20, s35
	;; [unrolled: 1-line block ×12, first 2 shown]
	buffer_load_dword v4, v11, s[0:3], 0 offen
	buffer_load_dword v5, v11, s[0:3], 0 offen offset:4
	buffer_load_dword v10, v11, s[0:3], 0 offen offset:8
	s_nop 0
	buffer_load_dword v11, v11, s[0:3], 0 offen offset:12
	s_nop 0
	buffer_load_dword v12, v20, s[0:3], 0 offen
	buffer_load_dword v13, v20, s[0:3], 0 offen offset:4
	buffer_load_dword v19, v20, s[0:3], 0 offen offset:8
	s_nop 0
	buffer_load_dword v20, v20, s[0:3], 0 offen offset:12
	s_nop 0
	;; [unrolled: 6-line block ×11, first 2 shown]
	buffer_load_dword v57, v60, s[0:3], 0 offen
	buffer_load_dword v58, v60, s[0:3], 0 offen offset:4
	buffer_load_dword v59, v60, s[0:3], 0 offen offset:8
	s_nop 0
	buffer_load_dword v60, v60, s[0:3], 0 offen offset:12
	s_waitcnt vmcnt(44)
	ds_write2_b64 v16, v[4:5], v[10:11] offset0:102 offset1:103
	s_waitcnt vmcnt(40)
	ds_write2_b64 v16, v[12:13], v[19:20] offset0:104 offset1:105
	;; [unrolled: 2-line block ×12, first 2 shown]
	v_mov_b32_e32 v19, 50
.LBB124_1183:
	s_or_b64 exec, exec, s[4:5]
	v_cmp_lt_i32_e32 vcc, 50, v19
	s_waitcnt vmcnt(0) lgkmcnt(0)
	s_barrier
	s_and_saveexec_b64 s[4:5], vcc
	s_cbranch_execz .LBB124_1185
; %bb.1184:
	buffer_load_dword v4, off, s[0:3], 0 offset:800
	buffer_load_dword v5, off, s[0:3], 0 offset:804
	;; [unrolled: 1-line block ×16, first 2 shown]
	s_waitcnt vmcnt(12)
	v_mul_f64 v[30:31], v[2:3], v[10:11]
	v_fma_f64 v[30:31], v[0:1], v[4:5], -v[30:31]
	v_mul_f64 v[0:1], v[0:1], v[10:11]
	v_fma_f64 v[4:5], v[2:3], v[4:5], v[0:1]
	buffer_store_dword v30, off, s[0:3], 0 offset:800
	buffer_store_dword v31, off, s[0:3], 0 offset:804
	buffer_store_dword v4, off, s[0:3], 0 offset:808
	buffer_store_dword v5, off, s[0:3], 0 offset:812
	ds_read2_b64 v[0:3], v16 offset0:102 offset1:103
	s_waitcnt lgkmcnt(0)
	v_mul_f64 v[10:11], v[2:3], v[4:5]
	v_fma_f64 v[10:11], v[0:1], v[30:31], -v[10:11]
	v_mul_f64 v[0:1], v[0:1], v[4:5]
	v_fma_f64 v[0:1], v[2:3], v[30:31], v[0:1]
	s_waitcnt vmcnt(14)
	v_add_f64 v[2:3], v[12:13], -v[10:11]
	s_waitcnt vmcnt(12)
	v_add_f64 v[0:1], v[20:21], -v[0:1]
	buffer_store_dword v2, off, s[0:3], 0 offset:816
	buffer_store_dword v3, off, s[0:3], 0 offset:820
	buffer_store_dword v0, off, s[0:3], 0 offset:824
	buffer_store_dword v1, off, s[0:3], 0 offset:828
	ds_read2_b64 v[0:3], v16 offset0:104 offset1:105
	s_waitcnt lgkmcnt(0)
	v_mul_f64 v[10:11], v[2:3], v[4:5]
	v_fma_f64 v[10:11], v[0:1], v[30:31], -v[10:11]
	v_mul_f64 v[0:1], v[0:1], v[4:5]
	v_fma_f64 v[0:1], v[2:3], v[30:31], v[0:1]
	s_waitcnt vmcnt(14)
	v_add_f64 v[2:3], v[22:23], -v[10:11]
	s_waitcnt vmcnt(12)
	v_add_f64 v[0:1], v[24:25], -v[0:1]
	;; [unrolled: 14-line block ×3, first 2 shown]
	buffer_store_dword v3, off, s[0:3], 0 offset:852
	buffer_store_dword v2, off, s[0:3], 0 offset:848
	buffer_store_dword v0, off, s[0:3], 0 offset:856
	buffer_store_dword v1, off, s[0:3], 0 offset:860
	ds_read2_b64 v[0:3], v16 offset0:108 offset1:109
	s_waitcnt lgkmcnt(0)
	v_mul_f64 v[10:11], v[2:3], v[4:5]
	v_fma_f64 v[10:11], v[0:1], v[30:31], -v[10:11]
	v_mul_f64 v[0:1], v[0:1], v[4:5]
	v_fma_f64 v[0:1], v[2:3], v[30:31], v[0:1]
	buffer_load_dword v2, off, s[0:3], 0 offset:864
	buffer_load_dword v3, off, s[0:3], 0 offset:868
	buffer_load_dword v12, off, s[0:3], 0 offset:872
	buffer_load_dword v13, off, s[0:3], 0 offset:876
	s_waitcnt vmcnt(2)
	v_add_f64 v[2:3], v[2:3], -v[10:11]
	s_waitcnt vmcnt(0)
	v_add_f64 v[0:1], v[12:13], -v[0:1]
	buffer_store_dword v3, off, s[0:3], 0 offset:868
	buffer_store_dword v2, off, s[0:3], 0 offset:864
	buffer_store_dword v1, off, s[0:3], 0 offset:876
	buffer_store_dword v0, off, s[0:3], 0 offset:872
	ds_read2_b64 v[0:3], v16 offset0:110 offset1:111
	s_waitcnt lgkmcnt(0)
	v_mul_f64 v[10:11], v[2:3], v[4:5]
	v_fma_f64 v[10:11], v[0:1], v[30:31], -v[10:11]
	v_mul_f64 v[0:1], v[0:1], v[4:5]
	v_fma_f64 v[0:1], v[2:3], v[30:31], v[0:1]
	buffer_load_dword v2, off, s[0:3], 0 offset:880
	buffer_load_dword v3, off, s[0:3], 0 offset:884
	buffer_load_dword v12, off, s[0:3], 0 offset:888
	buffer_load_dword v13, off, s[0:3], 0 offset:892
	s_waitcnt vmcnt(2)
	v_add_f64 v[2:3], v[2:3], -v[10:11]
	s_waitcnt vmcnt(0)
	v_add_f64 v[0:1], v[12:13], -v[0:1]
	;; [unrolled: 18-line block ×3, first 2 shown]
	buffer_store_dword v3, off, s[0:3], 0 offset:900
	buffer_store_dword v2, off, s[0:3], 0 offset:896
	buffer_store_dword v1, off, s[0:3], 0 offset:908
	buffer_store_dword v0, off, s[0:3], 0 offset:904
	ds_read2_b64 v[10:13], v16 offset0:114 offset1:115
	buffer_load_dword v0, off, s[0:3], 0 offset:800
	buffer_load_dword v1, off, s[0:3], 0 offset:804
	;; [unrolled: 1-line block ×4, first 2 shown]
	s_waitcnt vmcnt(0) lgkmcnt(0)
	v_mul_f64 v[4:5], v[12:13], v[2:3]
	v_fma_f64 v[4:5], v[10:11], v[0:1], -v[4:5]
	v_mul_f64 v[10:11], v[10:11], v[2:3]
	v_fma_f64 v[10:11], v[12:13], v[0:1], v[10:11]
	buffer_load_dword v13, off, s[0:3], 0 offset:916
	buffer_load_dword v12, off, s[0:3], 0 offset:912
	s_waitcnt vmcnt(0)
	v_add_f64 v[4:5], v[12:13], -v[4:5]
	buffer_load_dword v13, off, s[0:3], 0 offset:924
	buffer_load_dword v12, off, s[0:3], 0 offset:920
	s_waitcnt vmcnt(0)
	v_add_f64 v[10:11], v[12:13], -v[10:11]
	buffer_store_dword v5, off, s[0:3], 0 offset:916
	buffer_store_dword v4, off, s[0:3], 0 offset:912
	buffer_store_dword v11, off, s[0:3], 0 offset:924
	buffer_store_dword v10, off, s[0:3], 0 offset:920
	ds_read2_b64 v[10:13], v16 offset0:116 offset1:117
	s_waitcnt lgkmcnt(0)
	v_mul_f64 v[4:5], v[12:13], v[2:3]
	v_fma_f64 v[4:5], v[10:11], v[0:1], -v[4:5]
	v_mul_f64 v[10:11], v[10:11], v[2:3]
	v_fma_f64 v[10:11], v[12:13], v[0:1], v[10:11]
	buffer_load_dword v12, off, s[0:3], 0 offset:928
	buffer_load_dword v13, off, s[0:3], 0 offset:932
	buffer_load_dword v20, off, s[0:3], 0 offset:936
	buffer_load_dword v21, off, s[0:3], 0 offset:940
	s_waitcnt vmcnt(2)
	v_add_f64 v[4:5], v[12:13], -v[4:5]
	s_waitcnt vmcnt(0)
	v_add_f64 v[10:11], v[20:21], -v[10:11]
	buffer_store_dword v5, off, s[0:3], 0 offset:932
	buffer_store_dword v4, off, s[0:3], 0 offset:928
	buffer_store_dword v11, off, s[0:3], 0 offset:940
	buffer_store_dword v10, off, s[0:3], 0 offset:936
	ds_read2_b64 v[10:13], v16 offset0:118 offset1:119
	s_waitcnt lgkmcnt(0)
	v_mul_f64 v[4:5], v[12:13], v[2:3]
	v_fma_f64 v[4:5], v[10:11], v[0:1], -v[4:5]
	v_mul_f64 v[10:11], v[10:11], v[2:3]
	v_fma_f64 v[10:11], v[12:13], v[0:1], v[10:11]
	buffer_load_dword v12, off, s[0:3], 0 offset:944
	buffer_load_dword v13, off, s[0:3], 0 offset:948
	buffer_load_dword v20, off, s[0:3], 0 offset:952
	buffer_load_dword v21, off, s[0:3], 0 offset:956
	s_waitcnt vmcnt(2)
	v_add_f64 v[4:5], v[12:13], -v[4:5]
	;; [unrolled: 18-line block ×4, first 2 shown]
	s_waitcnt vmcnt(0)
	v_add_f64 v[10:11], v[20:21], -v[10:11]
	buffer_store_dword v5, off, s[0:3], 0 offset:980
	buffer_store_dword v4, off, s[0:3], 0 offset:976
	;; [unrolled: 1-line block ×4, first 2 shown]
	ds_read2_b64 v[10:13], v16 offset0:124 offset1:125
	s_waitcnt lgkmcnt(0)
	v_mul_f64 v[4:5], v[12:13], v[2:3]
	v_mul_f64 v[2:3], v[10:11], v[2:3]
	v_fma_f64 v[4:5], v[10:11], v[0:1], -v[4:5]
	v_fma_f64 v[0:1], v[12:13], v[0:1], v[2:3]
	buffer_load_dword v2, off, s[0:3], 0 offset:992
	buffer_load_dword v3, off, s[0:3], 0 offset:996
	;; [unrolled: 1-line block ×4, first 2 shown]
	s_waitcnt vmcnt(2)
	v_add_f64 v[2:3], v[2:3], -v[4:5]
	s_waitcnt vmcnt(0)
	v_add_f64 v[0:1], v[10:11], -v[0:1]
	buffer_store_dword v3, off, s[0:3], 0 offset:996
	buffer_store_dword v2, off, s[0:3], 0 offset:992
	;; [unrolled: 1-line block ×4, first 2 shown]
.LBB124_1185:
	s_or_b64 exec, exec, s[4:5]
	v_mov_b32_e32 v3, s36
	s_waitcnt vmcnt(0)
	s_barrier
	buffer_load_dword v0, v3, s[0:3], 0 offen
	buffer_load_dword v1, v3, s[0:3], 0 offen offset:4
	buffer_load_dword v2, v3, s[0:3], 0 offen offset:8
	s_nop 0
	buffer_load_dword v3, v3, s[0:3], 0 offen offset:12
	v_lshl_add_u32 v4, v19, 4, v16
	s_cmp_lt_i32 s65, 53
	s_waitcnt vmcnt(0)
	ds_write2_b64 v4, v[0:1], v[2:3] offset1:1
	s_waitcnt lgkmcnt(0)
	s_barrier
	ds_read2_b64 v[0:3], v16 offset0:102 offset1:103
	v_mov_b32_e32 v4, 51
	s_cbranch_scc1 .LBB124_1188
; %bb.1186:
	v_add_u32_e32 v5, 0x340, v16
	s_mov_b32 s16, 52
	v_mov_b32_e32 v4, 51
.LBB124_1187:                           ; =>This Inner Loop Header: Depth=1
	s_waitcnt lgkmcnt(0)
	v_cmp_gt_f64_e32 vcc, 0, v[2:3]
	v_cmp_gt_f64_e64 s[4:5], 0, v[0:1]
	ds_read2_b64 v[10:13], v5 offset1:1
	v_xor_b32_e32 v21, 0x80000000, v1
	v_xor_b32_e32 v23, 0x80000000, v3
	v_mov_b32_e32 v20, v0
	v_mov_b32_e32 v22, v2
	s_waitcnt lgkmcnt(0)
	v_xor_b32_e32 v25, 0x80000000, v13
	v_cndmask_b32_e32 v23, v3, v23, vcc
	v_cndmask_b32_e64 v21, v1, v21, s[4:5]
	v_cmp_gt_f64_e32 vcc, 0, v[12:13]
	v_cmp_gt_f64_e64 s[4:5], 0, v[10:11]
	v_add_f64 v[20:21], v[20:21], v[22:23]
	v_xor_b32_e32 v23, 0x80000000, v11
	v_mov_b32_e32 v22, v10
	v_mov_b32_e32 v24, v12
	v_add_u32_e32 v5, 16, v5
	v_cndmask_b32_e32 v25, v13, v25, vcc
	v_cndmask_b32_e64 v23, v11, v23, s[4:5]
	v_add_f64 v[22:23], v[22:23], v[24:25]
	v_mov_b32_e32 v24, s16
	s_add_i32 s16, s16, 1
	s_cmp_lg_u32 s65, s16
	v_cmp_lt_f64_e32 vcc, v[20:21], v[22:23]
	v_cndmask_b32_e32 v1, v1, v11, vcc
	v_cndmask_b32_e32 v0, v0, v10, vcc
	;; [unrolled: 1-line block ×5, first 2 shown]
	s_cbranch_scc1 .LBB124_1187
.LBB124_1188:
	s_waitcnt lgkmcnt(0)
	v_cmp_eq_f64_e32 vcc, 0, v[0:1]
	v_cmp_eq_f64_e64 s[4:5], 0, v[2:3]
	s_and_b64 s[4:5], vcc, s[4:5]
	s_and_saveexec_b64 s[16:17], s[4:5]
	s_xor_b64 s[4:5], exec, s[16:17]
; %bb.1189:
	v_cmp_ne_u32_e32 vcc, 0, v17
	v_cndmask_b32_e32 v17, 52, v17, vcc
; %bb.1190:
	s_andn2_saveexec_b64 s[4:5], s[4:5]
	s_cbranch_execz .LBB124_1196
; %bb.1191:
	v_cmp_ngt_f64_e64 s[16:17], |v[0:1]|, |v[2:3]|
	s_and_saveexec_b64 s[18:19], s[16:17]
	s_xor_b64 s[18:19], exec, s[18:19]
	s_cbranch_execz .LBB124_1193
; %bb.1192:
	v_div_scale_f64 v[10:11], s[16:17], v[2:3], v[2:3], v[0:1]
	v_rcp_f64_e32 v[12:13], v[10:11]
	v_fma_f64 v[20:21], -v[10:11], v[12:13], 1.0
	v_fma_f64 v[12:13], v[12:13], v[20:21], v[12:13]
	v_div_scale_f64 v[20:21], vcc, v[0:1], v[2:3], v[0:1]
	v_fma_f64 v[22:23], -v[10:11], v[12:13], 1.0
	v_fma_f64 v[12:13], v[12:13], v[22:23], v[12:13]
	v_mul_f64 v[22:23], v[20:21], v[12:13]
	v_fma_f64 v[10:11], -v[10:11], v[22:23], v[20:21]
	v_div_fmas_f64 v[10:11], v[10:11], v[12:13], v[22:23]
	v_div_fixup_f64 v[10:11], v[10:11], v[2:3], v[0:1]
	v_fma_f64 v[0:1], v[0:1], v[10:11], v[2:3]
	v_div_scale_f64 v[2:3], s[16:17], v[0:1], v[0:1], 1.0
	v_div_scale_f64 v[22:23], vcc, 1.0, v[0:1], 1.0
	v_rcp_f64_e32 v[12:13], v[2:3]
	v_fma_f64 v[20:21], -v[2:3], v[12:13], 1.0
	v_fma_f64 v[12:13], v[12:13], v[20:21], v[12:13]
	v_fma_f64 v[20:21], -v[2:3], v[12:13], 1.0
	v_fma_f64 v[12:13], v[12:13], v[20:21], v[12:13]
	v_mul_f64 v[20:21], v[22:23], v[12:13]
	v_fma_f64 v[2:3], -v[2:3], v[20:21], v[22:23]
	v_div_fmas_f64 v[2:3], v[2:3], v[12:13], v[20:21]
	v_div_fixup_f64 v[2:3], v[2:3], v[0:1], 1.0
	v_mul_f64 v[0:1], v[10:11], v[2:3]
	v_xor_b32_e32 v3, 0x80000000, v3
.LBB124_1193:
	s_andn2_saveexec_b64 s[18:19], s[18:19]
	s_cbranch_execz .LBB124_1195
; %bb.1194:
	v_div_scale_f64 v[10:11], s[16:17], v[0:1], v[0:1], v[2:3]
	v_rcp_f64_e32 v[12:13], v[10:11]
	v_fma_f64 v[20:21], -v[10:11], v[12:13], 1.0
	v_fma_f64 v[12:13], v[12:13], v[20:21], v[12:13]
	v_div_scale_f64 v[20:21], vcc, v[2:3], v[0:1], v[2:3]
	v_fma_f64 v[22:23], -v[10:11], v[12:13], 1.0
	v_fma_f64 v[12:13], v[12:13], v[22:23], v[12:13]
	v_mul_f64 v[22:23], v[20:21], v[12:13]
	v_fma_f64 v[10:11], -v[10:11], v[22:23], v[20:21]
	v_div_fmas_f64 v[10:11], v[10:11], v[12:13], v[22:23]
	v_div_fixup_f64 v[10:11], v[10:11], v[0:1], v[2:3]
	v_fma_f64 v[0:1], v[2:3], v[10:11], v[0:1]
	v_div_scale_f64 v[2:3], s[16:17], v[0:1], v[0:1], 1.0
	v_div_scale_f64 v[22:23], vcc, 1.0, v[0:1], 1.0
	v_rcp_f64_e32 v[12:13], v[2:3]
	v_fma_f64 v[20:21], -v[2:3], v[12:13], 1.0
	v_fma_f64 v[12:13], v[12:13], v[20:21], v[12:13]
	v_fma_f64 v[20:21], -v[2:3], v[12:13], 1.0
	v_fma_f64 v[12:13], v[12:13], v[20:21], v[12:13]
	v_mul_f64 v[20:21], v[22:23], v[12:13]
	v_fma_f64 v[2:3], -v[2:3], v[20:21], v[22:23]
	v_div_fmas_f64 v[2:3], v[2:3], v[12:13], v[20:21]
	v_div_fixup_f64 v[0:1], v[2:3], v[0:1], 1.0
	v_mul_f64 v[2:3], v[10:11], -v[0:1]
.LBB124_1195:
	s_or_b64 exec, exec, s[18:19]
.LBB124_1196:
	s_or_b64 exec, exec, s[4:5]
	v_cmp_ne_u32_e32 vcc, v19, v4
	s_and_saveexec_b64 s[4:5], vcc
	s_xor_b64 s[4:5], exec, s[4:5]
	s_cbranch_execz .LBB124_1202
; %bb.1197:
	v_cmp_eq_u32_e32 vcc, 51, v19
	s_and_saveexec_b64 s[18:19], vcc
	s_cbranch_execz .LBB124_1201
; %bb.1198:
	v_cmp_ne_u32_e32 vcc, 51, v4
	s_xor_b64 s[16:17], s[10:11], -1
	s_and_b64 s[16:17], s[16:17], vcc
	s_and_saveexec_b64 s[24:25], s[16:17]
	s_cbranch_execz .LBB124_1200
; %bb.1199:
	v_ashrrev_i32_e32 v5, 31, v4
	v_lshlrev_b64 v[10:11], 2, v[4:5]
	v_add_co_u32_e32 v10, vcc, v8, v10
	v_addc_co_u32_e32 v11, vcc, v9, v11, vcc
	global_load_dword v5, v[10:11], off
	global_load_dword v12, v[8:9], off offset:204
	s_waitcnt vmcnt(1)
	global_store_dword v[8:9], v5, off offset:204
	s_waitcnt vmcnt(1)
	global_store_dword v[10:11], v12, off
.LBB124_1200:
	s_or_b64 exec, exec, s[24:25]
	v_mov_b32_e32 v19, v4
	v_mov_b32_e32 v18, v4
.LBB124_1201:
	s_or_b64 exec, exec, s[18:19]
.LBB124_1202:
	s_andn2_saveexec_b64 s[4:5], s[4:5]
	s_cbranch_execz .LBB124_1204
; %bb.1203:
	v_mov_b32_e32 v11, s35
	v_mov_b32_e32 v20, s34
	;; [unrolled: 1-line block ×11, first 2 shown]
	buffer_load_dword v4, v11, s[0:3], 0 offen
	buffer_load_dword v5, v11, s[0:3], 0 offen offset:4
	buffer_load_dword v10, v11, s[0:3], 0 offen offset:8
	s_nop 0
	buffer_load_dword v11, v11, s[0:3], 0 offen offset:12
	s_nop 0
	buffer_load_dword v12, v20, s[0:3], 0 offen
	buffer_load_dword v13, v20, s[0:3], 0 offen offset:4
	buffer_load_dword v19, v20, s[0:3], 0 offen offset:8
	s_nop 0
	buffer_load_dword v20, v20, s[0:3], 0 offen offset:12
	s_nop 0
	buffer_load_dword v21, v24, s[0:3], 0 offen
	buffer_load_dword v22, v24, s[0:3], 0 offen offset:4
	buffer_load_dword v23, v24, s[0:3], 0 offen offset:8
	s_nop 0
	buffer_load_dword v24, v24, s[0:3], 0 offen offset:12
	s_nop 0
	buffer_load_dword v25, v28, s[0:3], 0 offen
	buffer_load_dword v26, v28, s[0:3], 0 offen offset:4
	buffer_load_dword v27, v28, s[0:3], 0 offen offset:8
	s_nop 0
	buffer_load_dword v28, v28, s[0:3], 0 offen offset:12
	s_nop 0
	buffer_load_dword v29, v32, s[0:3], 0 offen
	buffer_load_dword v30, v32, s[0:3], 0 offen offset:4
	buffer_load_dword v31, v32, s[0:3], 0 offen offset:8
	s_nop 0
	buffer_load_dword v32, v32, s[0:3], 0 offen offset:12
	s_nop 0
	buffer_load_dword v33, v36, s[0:3], 0 offen
	buffer_load_dword v34, v36, s[0:3], 0 offen offset:4
	buffer_load_dword v35, v36, s[0:3], 0 offen offset:8
	s_nop 0
	buffer_load_dword v36, v36, s[0:3], 0 offen offset:12
	s_nop 0
	buffer_load_dword v37, v40, s[0:3], 0 offen
	buffer_load_dword v38, v40, s[0:3], 0 offen offset:4
	buffer_load_dword v39, v40, s[0:3], 0 offen offset:8
	s_nop 0
	buffer_load_dword v40, v40, s[0:3], 0 offen offset:12
	s_nop 0
	buffer_load_dword v41, v44, s[0:3], 0 offen
	buffer_load_dword v42, v44, s[0:3], 0 offen offset:4
	buffer_load_dword v43, v44, s[0:3], 0 offen offset:8
	s_nop 0
	buffer_load_dword v44, v44, s[0:3], 0 offen offset:12
	s_nop 0
	buffer_load_dword v45, v48, s[0:3], 0 offen
	buffer_load_dword v46, v48, s[0:3], 0 offen offset:4
	buffer_load_dword v47, v48, s[0:3], 0 offen offset:8
	s_nop 0
	buffer_load_dword v48, v48, s[0:3], 0 offen offset:12
	s_nop 0
	buffer_load_dword v49, v52, s[0:3], 0 offen
	buffer_load_dword v50, v52, s[0:3], 0 offen offset:4
	buffer_load_dword v51, v52, s[0:3], 0 offen offset:8
	s_nop 0
	buffer_load_dword v52, v52, s[0:3], 0 offen offset:12
	s_nop 0
	buffer_load_dword v53, v56, s[0:3], 0 offen
	buffer_load_dword v54, v56, s[0:3], 0 offen offset:4
	buffer_load_dword v55, v56, s[0:3], 0 offen offset:8
	s_nop 0
	buffer_load_dword v56, v56, s[0:3], 0 offen offset:12
	s_waitcnt vmcnt(40)
	ds_write2_b64 v16, v[4:5], v[10:11] offset0:104 offset1:105
	s_waitcnt vmcnt(36)
	ds_write2_b64 v16, v[12:13], v[19:20] offset0:106 offset1:107
	;; [unrolled: 2-line block ×11, first 2 shown]
	v_mov_b32_e32 v19, 51
.LBB124_1204:
	s_or_b64 exec, exec, s[4:5]
	v_cmp_lt_i32_e32 vcc, 51, v19
	s_waitcnt vmcnt(0) lgkmcnt(0)
	s_barrier
	s_and_saveexec_b64 s[4:5], vcc
	s_cbranch_execz .LBB124_1206
; %bb.1205:
	buffer_load_dword v4, off, s[0:3], 0 offset:816
	buffer_load_dword v5, off, s[0:3], 0 offset:820
	buffer_load_dword v10, off, s[0:3], 0 offset:824
	buffer_load_dword v11, off, s[0:3], 0 offset:828
	buffer_load_dword v12, off, s[0:3], 0 offset:832
	buffer_load_dword v13, off, s[0:3], 0 offset:836
	buffer_load_dword v20, off, s[0:3], 0 offset:840
	buffer_load_dword v21, off, s[0:3], 0 offset:844
	buffer_load_dword v22, off, s[0:3], 0 offset:848
	buffer_load_dword v23, off, s[0:3], 0 offset:852
	buffer_load_dword v24, off, s[0:3], 0 offset:856
	buffer_load_dword v25, off, s[0:3], 0 offset:860
	buffer_load_dword v26, off, s[0:3], 0 offset:864
	buffer_load_dword v27, off, s[0:3], 0 offset:868
	buffer_load_dword v28, off, s[0:3], 0 offset:872
	buffer_load_dword v29, off, s[0:3], 0 offset:876
	s_waitcnt vmcnt(12)
	v_mul_f64 v[30:31], v[2:3], v[10:11]
	v_fma_f64 v[30:31], v[0:1], v[4:5], -v[30:31]
	v_mul_f64 v[0:1], v[0:1], v[10:11]
	v_fma_f64 v[4:5], v[2:3], v[4:5], v[0:1]
	buffer_store_dword v30, off, s[0:3], 0 offset:816
	buffer_store_dword v31, off, s[0:3], 0 offset:820
	buffer_store_dword v4, off, s[0:3], 0 offset:824
	buffer_store_dword v5, off, s[0:3], 0 offset:828
	ds_read2_b64 v[0:3], v16 offset0:104 offset1:105
	s_waitcnt lgkmcnt(0)
	v_mul_f64 v[10:11], v[2:3], v[4:5]
	v_fma_f64 v[10:11], v[0:1], v[30:31], -v[10:11]
	v_mul_f64 v[0:1], v[0:1], v[4:5]
	v_fma_f64 v[0:1], v[2:3], v[30:31], v[0:1]
	s_waitcnt vmcnt(14)
	v_add_f64 v[2:3], v[12:13], -v[10:11]
	s_waitcnt vmcnt(12)
	v_add_f64 v[0:1], v[20:21], -v[0:1]
	buffer_store_dword v2, off, s[0:3], 0 offset:832
	buffer_store_dword v3, off, s[0:3], 0 offset:836
	buffer_store_dword v0, off, s[0:3], 0 offset:840
	buffer_store_dword v1, off, s[0:3], 0 offset:844
	ds_read2_b64 v[0:3], v16 offset0:106 offset1:107
	s_waitcnt lgkmcnt(0)
	v_mul_f64 v[10:11], v[2:3], v[4:5]
	v_fma_f64 v[10:11], v[0:1], v[30:31], -v[10:11]
	v_mul_f64 v[0:1], v[0:1], v[4:5]
	v_fma_f64 v[0:1], v[2:3], v[30:31], v[0:1]
	s_waitcnt vmcnt(14)
	v_add_f64 v[2:3], v[22:23], -v[10:11]
	s_waitcnt vmcnt(12)
	v_add_f64 v[0:1], v[24:25], -v[0:1]
	;; [unrolled: 14-line block ×3, first 2 shown]
	buffer_store_dword v3, off, s[0:3], 0 offset:868
	buffer_store_dword v2, off, s[0:3], 0 offset:864
	buffer_store_dword v0, off, s[0:3], 0 offset:872
	buffer_store_dword v1, off, s[0:3], 0 offset:876
	ds_read2_b64 v[0:3], v16 offset0:110 offset1:111
	s_waitcnt lgkmcnt(0)
	v_mul_f64 v[10:11], v[2:3], v[4:5]
	v_fma_f64 v[10:11], v[0:1], v[30:31], -v[10:11]
	v_mul_f64 v[0:1], v[0:1], v[4:5]
	v_fma_f64 v[0:1], v[2:3], v[30:31], v[0:1]
	buffer_load_dword v2, off, s[0:3], 0 offset:880
	buffer_load_dword v3, off, s[0:3], 0 offset:884
	buffer_load_dword v12, off, s[0:3], 0 offset:888
	buffer_load_dword v13, off, s[0:3], 0 offset:892
	s_waitcnt vmcnt(2)
	v_add_f64 v[2:3], v[2:3], -v[10:11]
	s_waitcnt vmcnt(0)
	v_add_f64 v[0:1], v[12:13], -v[0:1]
	buffer_store_dword v3, off, s[0:3], 0 offset:884
	buffer_store_dword v2, off, s[0:3], 0 offset:880
	buffer_store_dword v1, off, s[0:3], 0 offset:892
	buffer_store_dword v0, off, s[0:3], 0 offset:888
	ds_read2_b64 v[0:3], v16 offset0:112 offset1:113
	s_waitcnt lgkmcnt(0)
	v_mul_f64 v[10:11], v[2:3], v[4:5]
	v_fma_f64 v[10:11], v[0:1], v[30:31], -v[10:11]
	v_mul_f64 v[0:1], v[0:1], v[4:5]
	v_fma_f64 v[0:1], v[2:3], v[30:31], v[0:1]
	buffer_load_dword v2, off, s[0:3], 0 offset:896
	buffer_load_dword v3, off, s[0:3], 0 offset:900
	buffer_load_dword v12, off, s[0:3], 0 offset:904
	buffer_load_dword v13, off, s[0:3], 0 offset:908
	s_waitcnt vmcnt(2)
	v_add_f64 v[2:3], v[2:3], -v[10:11]
	s_waitcnt vmcnt(0)
	v_add_f64 v[0:1], v[12:13], -v[0:1]
	buffer_store_dword v3, off, s[0:3], 0 offset:900
	buffer_store_dword v2, off, s[0:3], 0 offset:896
	buffer_store_dword v1, off, s[0:3], 0 offset:908
	buffer_store_dword v0, off, s[0:3], 0 offset:904
	ds_read2_b64 v[0:3], v16 offset0:114 offset1:115
	s_waitcnt lgkmcnt(0)
	v_mul_f64 v[10:11], v[2:3], v[4:5]
	v_fma_f64 v[10:11], v[0:1], v[30:31], -v[10:11]
	v_mul_f64 v[0:1], v[0:1], v[4:5]
	v_fma_f64 v[0:1], v[2:3], v[30:31], v[0:1]
	buffer_load_dword v2, off, s[0:3], 0 offset:912
	buffer_load_dword v3, off, s[0:3], 0 offset:916
	buffer_load_dword v4, off, s[0:3], 0 offset:920
	buffer_load_dword v5, off, s[0:3], 0 offset:924
	s_waitcnt vmcnt(2)
	v_add_f64 v[2:3], v[2:3], -v[10:11]
	s_waitcnt vmcnt(0)
	v_add_f64 v[0:1], v[4:5], -v[0:1]
	buffer_store_dword v3, off, s[0:3], 0 offset:916
	buffer_store_dword v2, off, s[0:3], 0 offset:912
	;; [unrolled: 1-line block ×4, first 2 shown]
	ds_read2_b64 v[0:3], v16 offset0:116 offset1:117
	buffer_load_dword v4, off, s[0:3], 0 offset:816
	buffer_load_dword v5, off, s[0:3], 0 offset:820
	;; [unrolled: 1-line block ×4, first 2 shown]
	s_waitcnt vmcnt(0) lgkmcnt(0)
	v_mul_f64 v[12:13], v[2:3], v[10:11]
	v_fma_f64 v[12:13], v[0:1], v[4:5], -v[12:13]
	v_mul_f64 v[0:1], v[0:1], v[10:11]
	v_fma_f64 v[0:1], v[2:3], v[4:5], v[0:1]
	buffer_load_dword v3, off, s[0:3], 0 offset:932
	buffer_load_dword v2, off, s[0:3], 0 offset:928
	s_waitcnt vmcnt(0)
	v_add_f64 v[2:3], v[2:3], -v[12:13]
	buffer_load_dword v13, off, s[0:3], 0 offset:940
	buffer_load_dword v12, off, s[0:3], 0 offset:936
	s_waitcnt vmcnt(0)
	v_add_f64 v[0:1], v[12:13], -v[0:1]
	buffer_store_dword v3, off, s[0:3], 0 offset:932
	buffer_store_dword v2, off, s[0:3], 0 offset:928
	buffer_store_dword v1, off, s[0:3], 0 offset:940
	buffer_store_dword v0, off, s[0:3], 0 offset:936
	ds_read2_b64 v[0:3], v16 offset0:118 offset1:119
	s_waitcnt lgkmcnt(0)
	v_mul_f64 v[12:13], v[2:3], v[10:11]
	v_fma_f64 v[12:13], v[0:1], v[4:5], -v[12:13]
	v_mul_f64 v[0:1], v[0:1], v[10:11]
	v_fma_f64 v[0:1], v[2:3], v[4:5], v[0:1]
	buffer_load_dword v2, off, s[0:3], 0 offset:944
	buffer_load_dword v3, off, s[0:3], 0 offset:948
	buffer_load_dword v20, off, s[0:3], 0 offset:952
	buffer_load_dword v21, off, s[0:3], 0 offset:956
	s_waitcnt vmcnt(2)
	v_add_f64 v[2:3], v[2:3], -v[12:13]
	s_waitcnt vmcnt(0)
	v_add_f64 v[0:1], v[20:21], -v[0:1]
	buffer_store_dword v3, off, s[0:3], 0 offset:948
	buffer_store_dword v2, off, s[0:3], 0 offset:944
	buffer_store_dword v1, off, s[0:3], 0 offset:956
	buffer_store_dword v0, off, s[0:3], 0 offset:952
	ds_read2_b64 v[0:3], v16 offset0:120 offset1:121
	s_waitcnt lgkmcnt(0)
	v_mul_f64 v[12:13], v[2:3], v[10:11]
	v_fma_f64 v[12:13], v[0:1], v[4:5], -v[12:13]
	v_mul_f64 v[0:1], v[0:1], v[10:11]
	v_fma_f64 v[0:1], v[2:3], v[4:5], v[0:1]
	buffer_load_dword v2, off, s[0:3], 0 offset:960
	buffer_load_dword v3, off, s[0:3], 0 offset:964
	buffer_load_dword v20, off, s[0:3], 0 offset:968
	buffer_load_dword v21, off, s[0:3], 0 offset:972
	s_waitcnt vmcnt(2)
	v_add_f64 v[2:3], v[2:3], -v[12:13]
	s_waitcnt vmcnt(0)
	v_add_f64 v[0:1], v[20:21], -v[0:1]
	buffer_store_dword v3, off, s[0:3], 0 offset:964
	buffer_store_dword v2, off, s[0:3], 0 offset:960
	buffer_store_dword v1, off, s[0:3], 0 offset:972
	buffer_store_dword v0, off, s[0:3], 0 offset:968
	ds_read2_b64 v[0:3], v16 offset0:122 offset1:123
	s_waitcnt lgkmcnt(0)
	v_mul_f64 v[12:13], v[2:3], v[10:11]
	v_fma_f64 v[12:13], v[0:1], v[4:5], -v[12:13]
	v_mul_f64 v[0:1], v[0:1], v[10:11]
	v_fma_f64 v[0:1], v[2:3], v[4:5], v[0:1]
	buffer_load_dword v2, off, s[0:3], 0 offset:976
	buffer_load_dword v3, off, s[0:3], 0 offset:980
	buffer_load_dword v20, off, s[0:3], 0 offset:984
	buffer_load_dword v21, off, s[0:3], 0 offset:988
	s_waitcnt vmcnt(2)
	v_add_f64 v[2:3], v[2:3], -v[12:13]
	s_waitcnt vmcnt(0)
	v_add_f64 v[0:1], v[20:21], -v[0:1]
	buffer_store_dword v3, off, s[0:3], 0 offset:980
	buffer_store_dword v2, off, s[0:3], 0 offset:976
	buffer_store_dword v1, off, s[0:3], 0 offset:988
	buffer_store_dword v0, off, s[0:3], 0 offset:984
	ds_read2_b64 v[0:3], v16 offset0:124 offset1:125
	s_waitcnt lgkmcnt(0)
	v_mul_f64 v[12:13], v[2:3], v[10:11]
	v_fma_f64 v[12:13], v[0:1], v[4:5], -v[12:13]
	v_mul_f64 v[0:1], v[0:1], v[10:11]
	v_fma_f64 v[0:1], v[2:3], v[4:5], v[0:1]
	buffer_load_dword v2, off, s[0:3], 0 offset:992
	buffer_load_dword v3, off, s[0:3], 0 offset:996
	buffer_load_dword v4, off, s[0:3], 0 offset:1000
	buffer_load_dword v5, off, s[0:3], 0 offset:1004
	s_waitcnt vmcnt(2)
	v_add_f64 v[2:3], v[2:3], -v[12:13]
	s_waitcnt vmcnt(0)
	v_add_f64 v[0:1], v[4:5], -v[0:1]
	buffer_store_dword v3, off, s[0:3], 0 offset:996
	buffer_store_dword v2, off, s[0:3], 0 offset:992
	;; [unrolled: 1-line block ×4, first 2 shown]
.LBB124_1206:
	s_or_b64 exec, exec, s[4:5]
	v_mov_b32_e32 v3, s35
	s_waitcnt vmcnt(0)
	s_barrier
	buffer_load_dword v0, v3, s[0:3], 0 offen
	buffer_load_dword v1, v3, s[0:3], 0 offen offset:4
	buffer_load_dword v2, v3, s[0:3], 0 offen offset:8
	s_nop 0
	buffer_load_dword v3, v3, s[0:3], 0 offen offset:12
	v_lshl_add_u32 v4, v19, 4, v16
	s_cmp_lt_i32 s65, 54
	s_waitcnt vmcnt(0)
	ds_write2_b64 v4, v[0:1], v[2:3] offset1:1
	s_waitcnt lgkmcnt(0)
	s_barrier
	ds_read2_b64 v[0:3], v16 offset0:104 offset1:105
	v_mov_b32_e32 v4, 52
	s_cbranch_scc1 .LBB124_1209
; %bb.1207:
	v_add_u32_e32 v5, 0x350, v16
	s_mov_b32 s16, 53
	v_mov_b32_e32 v4, 52
.LBB124_1208:                           ; =>This Inner Loop Header: Depth=1
	s_waitcnt lgkmcnt(0)
	v_cmp_gt_f64_e32 vcc, 0, v[2:3]
	v_cmp_gt_f64_e64 s[4:5], 0, v[0:1]
	ds_read2_b64 v[10:13], v5 offset1:1
	v_xor_b32_e32 v21, 0x80000000, v1
	v_xor_b32_e32 v23, 0x80000000, v3
	v_mov_b32_e32 v20, v0
	v_mov_b32_e32 v22, v2
	s_waitcnt lgkmcnt(0)
	v_xor_b32_e32 v25, 0x80000000, v13
	v_cndmask_b32_e32 v23, v3, v23, vcc
	v_cndmask_b32_e64 v21, v1, v21, s[4:5]
	v_cmp_gt_f64_e32 vcc, 0, v[12:13]
	v_cmp_gt_f64_e64 s[4:5], 0, v[10:11]
	v_add_f64 v[20:21], v[20:21], v[22:23]
	v_xor_b32_e32 v23, 0x80000000, v11
	v_mov_b32_e32 v22, v10
	v_mov_b32_e32 v24, v12
	v_add_u32_e32 v5, 16, v5
	v_cndmask_b32_e32 v25, v13, v25, vcc
	v_cndmask_b32_e64 v23, v11, v23, s[4:5]
	v_add_f64 v[22:23], v[22:23], v[24:25]
	v_mov_b32_e32 v24, s16
	s_add_i32 s16, s16, 1
	s_cmp_lg_u32 s65, s16
	v_cmp_lt_f64_e32 vcc, v[20:21], v[22:23]
	v_cndmask_b32_e32 v1, v1, v11, vcc
	v_cndmask_b32_e32 v0, v0, v10, vcc
	;; [unrolled: 1-line block ×5, first 2 shown]
	s_cbranch_scc1 .LBB124_1208
.LBB124_1209:
	s_waitcnt lgkmcnt(0)
	v_cmp_eq_f64_e32 vcc, 0, v[0:1]
	v_cmp_eq_f64_e64 s[4:5], 0, v[2:3]
	s_and_b64 s[4:5], vcc, s[4:5]
	s_and_saveexec_b64 s[16:17], s[4:5]
	s_xor_b64 s[4:5], exec, s[16:17]
; %bb.1210:
	v_cmp_ne_u32_e32 vcc, 0, v17
	v_cndmask_b32_e32 v17, 53, v17, vcc
; %bb.1211:
	s_andn2_saveexec_b64 s[4:5], s[4:5]
	s_cbranch_execz .LBB124_1217
; %bb.1212:
	v_cmp_ngt_f64_e64 s[16:17], |v[0:1]|, |v[2:3]|
	s_and_saveexec_b64 s[18:19], s[16:17]
	s_xor_b64 s[18:19], exec, s[18:19]
	s_cbranch_execz .LBB124_1214
; %bb.1213:
	v_div_scale_f64 v[10:11], s[16:17], v[2:3], v[2:3], v[0:1]
	v_rcp_f64_e32 v[12:13], v[10:11]
	v_fma_f64 v[20:21], -v[10:11], v[12:13], 1.0
	v_fma_f64 v[12:13], v[12:13], v[20:21], v[12:13]
	v_div_scale_f64 v[20:21], vcc, v[0:1], v[2:3], v[0:1]
	v_fma_f64 v[22:23], -v[10:11], v[12:13], 1.0
	v_fma_f64 v[12:13], v[12:13], v[22:23], v[12:13]
	v_mul_f64 v[22:23], v[20:21], v[12:13]
	v_fma_f64 v[10:11], -v[10:11], v[22:23], v[20:21]
	v_div_fmas_f64 v[10:11], v[10:11], v[12:13], v[22:23]
	v_div_fixup_f64 v[10:11], v[10:11], v[2:3], v[0:1]
	v_fma_f64 v[0:1], v[0:1], v[10:11], v[2:3]
	v_div_scale_f64 v[2:3], s[16:17], v[0:1], v[0:1], 1.0
	v_div_scale_f64 v[22:23], vcc, 1.0, v[0:1], 1.0
	v_rcp_f64_e32 v[12:13], v[2:3]
	v_fma_f64 v[20:21], -v[2:3], v[12:13], 1.0
	v_fma_f64 v[12:13], v[12:13], v[20:21], v[12:13]
	v_fma_f64 v[20:21], -v[2:3], v[12:13], 1.0
	v_fma_f64 v[12:13], v[12:13], v[20:21], v[12:13]
	v_mul_f64 v[20:21], v[22:23], v[12:13]
	v_fma_f64 v[2:3], -v[2:3], v[20:21], v[22:23]
	v_div_fmas_f64 v[2:3], v[2:3], v[12:13], v[20:21]
	v_div_fixup_f64 v[2:3], v[2:3], v[0:1], 1.0
	v_mul_f64 v[0:1], v[10:11], v[2:3]
	v_xor_b32_e32 v3, 0x80000000, v3
.LBB124_1214:
	s_andn2_saveexec_b64 s[18:19], s[18:19]
	s_cbranch_execz .LBB124_1216
; %bb.1215:
	v_div_scale_f64 v[10:11], s[16:17], v[0:1], v[0:1], v[2:3]
	v_rcp_f64_e32 v[12:13], v[10:11]
	v_fma_f64 v[20:21], -v[10:11], v[12:13], 1.0
	v_fma_f64 v[12:13], v[12:13], v[20:21], v[12:13]
	v_div_scale_f64 v[20:21], vcc, v[2:3], v[0:1], v[2:3]
	v_fma_f64 v[22:23], -v[10:11], v[12:13], 1.0
	v_fma_f64 v[12:13], v[12:13], v[22:23], v[12:13]
	v_mul_f64 v[22:23], v[20:21], v[12:13]
	v_fma_f64 v[10:11], -v[10:11], v[22:23], v[20:21]
	v_div_fmas_f64 v[10:11], v[10:11], v[12:13], v[22:23]
	v_div_fixup_f64 v[10:11], v[10:11], v[0:1], v[2:3]
	v_fma_f64 v[0:1], v[2:3], v[10:11], v[0:1]
	v_div_scale_f64 v[2:3], s[16:17], v[0:1], v[0:1], 1.0
	v_div_scale_f64 v[22:23], vcc, 1.0, v[0:1], 1.0
	v_rcp_f64_e32 v[12:13], v[2:3]
	v_fma_f64 v[20:21], -v[2:3], v[12:13], 1.0
	v_fma_f64 v[12:13], v[12:13], v[20:21], v[12:13]
	v_fma_f64 v[20:21], -v[2:3], v[12:13], 1.0
	v_fma_f64 v[12:13], v[12:13], v[20:21], v[12:13]
	v_mul_f64 v[20:21], v[22:23], v[12:13]
	v_fma_f64 v[2:3], -v[2:3], v[20:21], v[22:23]
	v_div_fmas_f64 v[2:3], v[2:3], v[12:13], v[20:21]
	v_div_fixup_f64 v[0:1], v[2:3], v[0:1], 1.0
	v_mul_f64 v[2:3], v[10:11], -v[0:1]
.LBB124_1216:
	s_or_b64 exec, exec, s[18:19]
.LBB124_1217:
	s_or_b64 exec, exec, s[4:5]
	v_cmp_ne_u32_e32 vcc, v19, v4
	s_and_saveexec_b64 s[4:5], vcc
	s_xor_b64 s[4:5], exec, s[4:5]
	s_cbranch_execz .LBB124_1223
; %bb.1218:
	v_cmp_eq_u32_e32 vcc, 52, v19
	s_and_saveexec_b64 s[18:19], vcc
	s_cbranch_execz .LBB124_1222
; %bb.1219:
	v_cmp_ne_u32_e32 vcc, 52, v4
	s_xor_b64 s[16:17], s[10:11], -1
	s_and_b64 s[16:17], s[16:17], vcc
	s_and_saveexec_b64 s[24:25], s[16:17]
	s_cbranch_execz .LBB124_1221
; %bb.1220:
	v_ashrrev_i32_e32 v5, 31, v4
	v_lshlrev_b64 v[10:11], 2, v[4:5]
	v_add_co_u32_e32 v10, vcc, v8, v10
	v_addc_co_u32_e32 v11, vcc, v9, v11, vcc
	global_load_dword v5, v[10:11], off
	global_load_dword v12, v[8:9], off offset:208
	s_waitcnt vmcnt(1)
	global_store_dword v[8:9], v5, off offset:208
	s_waitcnt vmcnt(1)
	global_store_dword v[10:11], v12, off
.LBB124_1221:
	s_or_b64 exec, exec, s[24:25]
	v_mov_b32_e32 v19, v4
	v_mov_b32_e32 v18, v4
.LBB124_1222:
	s_or_b64 exec, exec, s[18:19]
.LBB124_1223:
	s_andn2_saveexec_b64 s[4:5], s[4:5]
	s_cbranch_execz .LBB124_1225
; %bb.1224:
	v_mov_b32_e32 v11, s34
	v_mov_b32_e32 v20, s33
	;; [unrolled: 1-line block ×10, first 2 shown]
	buffer_load_dword v4, v11, s[0:3], 0 offen
	buffer_load_dword v5, v11, s[0:3], 0 offen offset:4
	buffer_load_dword v10, v11, s[0:3], 0 offen offset:8
	s_nop 0
	buffer_load_dword v11, v11, s[0:3], 0 offen offset:12
	s_nop 0
	buffer_load_dword v12, v20, s[0:3], 0 offen
	buffer_load_dword v13, v20, s[0:3], 0 offen offset:4
	buffer_load_dword v19, v20, s[0:3], 0 offen offset:8
	s_nop 0
	buffer_load_dword v20, v20, s[0:3], 0 offen offset:12
	s_nop 0
	buffer_load_dword v21, v24, s[0:3], 0 offen
	buffer_load_dword v22, v24, s[0:3], 0 offen offset:4
	buffer_load_dword v23, v24, s[0:3], 0 offen offset:8
	s_nop 0
	buffer_load_dword v24, v24, s[0:3], 0 offen offset:12
	s_nop 0
	buffer_load_dword v25, v28, s[0:3], 0 offen
	buffer_load_dword v26, v28, s[0:3], 0 offen offset:4
	buffer_load_dword v27, v28, s[0:3], 0 offen offset:8
	s_nop 0
	buffer_load_dword v28, v28, s[0:3], 0 offen offset:12
	s_nop 0
	buffer_load_dword v29, v32, s[0:3], 0 offen
	buffer_load_dword v30, v32, s[0:3], 0 offen offset:4
	buffer_load_dword v31, v32, s[0:3], 0 offen offset:8
	s_nop 0
	buffer_load_dword v32, v32, s[0:3], 0 offen offset:12
	s_nop 0
	buffer_load_dword v33, v36, s[0:3], 0 offen
	buffer_load_dword v34, v36, s[0:3], 0 offen offset:4
	buffer_load_dword v35, v36, s[0:3], 0 offen offset:8
	s_nop 0
	buffer_load_dword v36, v36, s[0:3], 0 offen offset:12
	s_nop 0
	buffer_load_dword v37, v40, s[0:3], 0 offen
	buffer_load_dword v38, v40, s[0:3], 0 offen offset:4
	buffer_load_dword v39, v40, s[0:3], 0 offen offset:8
	s_nop 0
	buffer_load_dword v40, v40, s[0:3], 0 offen offset:12
	s_nop 0
	buffer_load_dword v41, v44, s[0:3], 0 offen
	buffer_load_dword v42, v44, s[0:3], 0 offen offset:4
	buffer_load_dword v43, v44, s[0:3], 0 offen offset:8
	s_nop 0
	buffer_load_dword v44, v44, s[0:3], 0 offen offset:12
	s_nop 0
	buffer_load_dword v45, v48, s[0:3], 0 offen
	buffer_load_dword v46, v48, s[0:3], 0 offen offset:4
	buffer_load_dword v47, v48, s[0:3], 0 offen offset:8
	s_nop 0
	buffer_load_dword v48, v48, s[0:3], 0 offen offset:12
	s_nop 0
	buffer_load_dword v49, v52, s[0:3], 0 offen
	buffer_load_dword v50, v52, s[0:3], 0 offen offset:4
	buffer_load_dword v51, v52, s[0:3], 0 offen offset:8
	s_nop 0
	buffer_load_dword v52, v52, s[0:3], 0 offen offset:12
	s_waitcnt vmcnt(36)
	ds_write2_b64 v16, v[4:5], v[10:11] offset0:106 offset1:107
	s_waitcnt vmcnt(32)
	ds_write2_b64 v16, v[12:13], v[19:20] offset0:108 offset1:109
	;; [unrolled: 2-line block ×10, first 2 shown]
	v_mov_b32_e32 v19, 52
.LBB124_1225:
	s_or_b64 exec, exec, s[4:5]
	v_cmp_lt_i32_e32 vcc, 52, v19
	s_waitcnt vmcnt(0) lgkmcnt(0)
	s_barrier
	s_and_saveexec_b64 s[4:5], vcc
	s_cbranch_execz .LBB124_1227
; %bb.1226:
	buffer_load_dword v4, off, s[0:3], 0 offset:832
	buffer_load_dword v5, off, s[0:3], 0 offset:836
	;; [unrolled: 1-line block ×16, first 2 shown]
	s_waitcnt vmcnt(12)
	v_mul_f64 v[30:31], v[2:3], v[10:11]
	v_fma_f64 v[30:31], v[0:1], v[4:5], -v[30:31]
	v_mul_f64 v[0:1], v[0:1], v[10:11]
	v_fma_f64 v[4:5], v[2:3], v[4:5], v[0:1]
	buffer_store_dword v30, off, s[0:3], 0 offset:832
	buffer_store_dword v31, off, s[0:3], 0 offset:836
	buffer_store_dword v4, off, s[0:3], 0 offset:840
	buffer_store_dword v5, off, s[0:3], 0 offset:844
	ds_read2_b64 v[0:3], v16 offset0:106 offset1:107
	s_waitcnt lgkmcnt(0)
	v_mul_f64 v[10:11], v[2:3], v[4:5]
	v_fma_f64 v[10:11], v[0:1], v[30:31], -v[10:11]
	v_mul_f64 v[0:1], v[0:1], v[4:5]
	v_fma_f64 v[0:1], v[2:3], v[30:31], v[0:1]
	s_waitcnt vmcnt(14)
	v_add_f64 v[2:3], v[12:13], -v[10:11]
	s_waitcnt vmcnt(12)
	v_add_f64 v[0:1], v[20:21], -v[0:1]
	buffer_store_dword v2, off, s[0:3], 0 offset:848
	buffer_store_dword v3, off, s[0:3], 0 offset:852
	buffer_store_dword v0, off, s[0:3], 0 offset:856
	buffer_store_dword v1, off, s[0:3], 0 offset:860
	ds_read2_b64 v[0:3], v16 offset0:108 offset1:109
	s_waitcnt lgkmcnt(0)
	v_mul_f64 v[10:11], v[2:3], v[4:5]
	v_fma_f64 v[10:11], v[0:1], v[30:31], -v[10:11]
	v_mul_f64 v[0:1], v[0:1], v[4:5]
	v_fma_f64 v[0:1], v[2:3], v[30:31], v[0:1]
	s_waitcnt vmcnt(14)
	v_add_f64 v[2:3], v[22:23], -v[10:11]
	s_waitcnt vmcnt(12)
	v_add_f64 v[0:1], v[24:25], -v[0:1]
	;; [unrolled: 14-line block ×3, first 2 shown]
	buffer_store_dword v3, off, s[0:3], 0 offset:884
	buffer_store_dword v2, off, s[0:3], 0 offset:880
	buffer_store_dword v0, off, s[0:3], 0 offset:888
	buffer_store_dword v1, off, s[0:3], 0 offset:892
	ds_read2_b64 v[0:3], v16 offset0:112 offset1:113
	s_waitcnt lgkmcnt(0)
	v_mul_f64 v[10:11], v[2:3], v[4:5]
	v_fma_f64 v[10:11], v[0:1], v[30:31], -v[10:11]
	v_mul_f64 v[0:1], v[0:1], v[4:5]
	v_fma_f64 v[0:1], v[2:3], v[30:31], v[0:1]
	buffer_load_dword v2, off, s[0:3], 0 offset:896
	buffer_load_dword v3, off, s[0:3], 0 offset:900
	buffer_load_dword v12, off, s[0:3], 0 offset:904
	buffer_load_dword v13, off, s[0:3], 0 offset:908
	s_waitcnt vmcnt(2)
	v_add_f64 v[2:3], v[2:3], -v[10:11]
	s_waitcnt vmcnt(0)
	v_add_f64 v[0:1], v[12:13], -v[0:1]
	buffer_store_dword v3, off, s[0:3], 0 offset:900
	buffer_store_dword v2, off, s[0:3], 0 offset:896
	buffer_store_dword v1, off, s[0:3], 0 offset:908
	buffer_store_dword v0, off, s[0:3], 0 offset:904
	ds_read2_b64 v[0:3], v16 offset0:114 offset1:115
	s_waitcnt lgkmcnt(0)
	v_mul_f64 v[10:11], v[2:3], v[4:5]
	v_fma_f64 v[10:11], v[0:1], v[30:31], -v[10:11]
	v_mul_f64 v[0:1], v[0:1], v[4:5]
	v_fma_f64 v[0:1], v[2:3], v[30:31], v[0:1]
	buffer_load_dword v2, off, s[0:3], 0 offset:912
	buffer_load_dword v3, off, s[0:3], 0 offset:916
	buffer_load_dword v12, off, s[0:3], 0 offset:920
	buffer_load_dword v13, off, s[0:3], 0 offset:924
	s_waitcnt vmcnt(2)
	v_add_f64 v[2:3], v[2:3], -v[10:11]
	s_waitcnt vmcnt(0)
	v_add_f64 v[0:1], v[12:13], -v[0:1]
	;; [unrolled: 18-line block ×3, first 2 shown]
	buffer_store_dword v3, off, s[0:3], 0 offset:932
	buffer_store_dword v2, off, s[0:3], 0 offset:928
	;; [unrolled: 1-line block ×4, first 2 shown]
	ds_read2_b64 v[0:3], v16 offset0:118 offset1:119
	buffer_load_dword v4, off, s[0:3], 0 offset:832
	buffer_load_dword v5, off, s[0:3], 0 offset:836
	;; [unrolled: 1-line block ×4, first 2 shown]
	s_waitcnt vmcnt(0) lgkmcnt(0)
	v_mul_f64 v[12:13], v[2:3], v[10:11]
	v_fma_f64 v[12:13], v[0:1], v[4:5], -v[12:13]
	v_mul_f64 v[0:1], v[0:1], v[10:11]
	v_fma_f64 v[0:1], v[2:3], v[4:5], v[0:1]
	buffer_load_dword v3, off, s[0:3], 0 offset:948
	buffer_load_dword v2, off, s[0:3], 0 offset:944
	s_waitcnt vmcnt(0)
	v_add_f64 v[2:3], v[2:3], -v[12:13]
	buffer_load_dword v13, off, s[0:3], 0 offset:956
	buffer_load_dword v12, off, s[0:3], 0 offset:952
	s_waitcnt vmcnt(0)
	v_add_f64 v[0:1], v[12:13], -v[0:1]
	buffer_store_dword v3, off, s[0:3], 0 offset:948
	buffer_store_dword v2, off, s[0:3], 0 offset:944
	buffer_store_dword v1, off, s[0:3], 0 offset:956
	buffer_store_dword v0, off, s[0:3], 0 offset:952
	ds_read2_b64 v[0:3], v16 offset0:120 offset1:121
	s_waitcnt lgkmcnt(0)
	v_mul_f64 v[12:13], v[2:3], v[10:11]
	v_fma_f64 v[12:13], v[0:1], v[4:5], -v[12:13]
	v_mul_f64 v[0:1], v[0:1], v[10:11]
	v_fma_f64 v[0:1], v[2:3], v[4:5], v[0:1]
	buffer_load_dword v2, off, s[0:3], 0 offset:960
	buffer_load_dword v3, off, s[0:3], 0 offset:964
	buffer_load_dword v20, off, s[0:3], 0 offset:968
	buffer_load_dword v21, off, s[0:3], 0 offset:972
	s_waitcnt vmcnt(2)
	v_add_f64 v[2:3], v[2:3], -v[12:13]
	s_waitcnt vmcnt(0)
	v_add_f64 v[0:1], v[20:21], -v[0:1]
	buffer_store_dword v3, off, s[0:3], 0 offset:964
	buffer_store_dword v2, off, s[0:3], 0 offset:960
	buffer_store_dword v1, off, s[0:3], 0 offset:972
	buffer_store_dword v0, off, s[0:3], 0 offset:968
	ds_read2_b64 v[0:3], v16 offset0:122 offset1:123
	s_waitcnt lgkmcnt(0)
	v_mul_f64 v[12:13], v[2:3], v[10:11]
	v_fma_f64 v[12:13], v[0:1], v[4:5], -v[12:13]
	v_mul_f64 v[0:1], v[0:1], v[10:11]
	v_fma_f64 v[0:1], v[2:3], v[4:5], v[0:1]
	buffer_load_dword v2, off, s[0:3], 0 offset:976
	buffer_load_dword v3, off, s[0:3], 0 offset:980
	buffer_load_dword v20, off, s[0:3], 0 offset:984
	buffer_load_dword v21, off, s[0:3], 0 offset:988
	s_waitcnt vmcnt(2)
	v_add_f64 v[2:3], v[2:3], -v[12:13]
	;; [unrolled: 18-line block ×3, first 2 shown]
	s_waitcnt vmcnt(0)
	v_add_f64 v[0:1], v[4:5], -v[0:1]
	buffer_store_dword v3, off, s[0:3], 0 offset:996
	buffer_store_dword v2, off, s[0:3], 0 offset:992
	;; [unrolled: 1-line block ×4, first 2 shown]
.LBB124_1227:
	s_or_b64 exec, exec, s[4:5]
	v_mov_b32_e32 v3, s34
	s_waitcnt vmcnt(0)
	s_barrier
	buffer_load_dword v0, v3, s[0:3], 0 offen
	buffer_load_dword v1, v3, s[0:3], 0 offen offset:4
	buffer_load_dword v2, v3, s[0:3], 0 offen offset:8
	s_nop 0
	buffer_load_dword v3, v3, s[0:3], 0 offen offset:12
	v_lshl_add_u32 v4, v19, 4, v16
	s_cmp_lt_i32 s65, 55
	s_waitcnt vmcnt(0)
	ds_write2_b64 v4, v[0:1], v[2:3] offset1:1
	s_waitcnt lgkmcnt(0)
	s_barrier
	ds_read2_b64 v[0:3], v16 offset0:106 offset1:107
	v_mov_b32_e32 v4, 53
	s_cbranch_scc1 .LBB124_1230
; %bb.1228:
	v_add_u32_e32 v5, 0x360, v16
	s_mov_b32 s16, 54
	v_mov_b32_e32 v4, 53
.LBB124_1229:                           ; =>This Inner Loop Header: Depth=1
	s_waitcnt lgkmcnt(0)
	v_cmp_gt_f64_e32 vcc, 0, v[2:3]
	v_cmp_gt_f64_e64 s[4:5], 0, v[0:1]
	ds_read2_b64 v[10:13], v5 offset1:1
	v_xor_b32_e32 v21, 0x80000000, v1
	v_xor_b32_e32 v23, 0x80000000, v3
	v_mov_b32_e32 v20, v0
	v_mov_b32_e32 v22, v2
	s_waitcnt lgkmcnt(0)
	v_xor_b32_e32 v25, 0x80000000, v13
	v_cndmask_b32_e32 v23, v3, v23, vcc
	v_cndmask_b32_e64 v21, v1, v21, s[4:5]
	v_cmp_gt_f64_e32 vcc, 0, v[12:13]
	v_cmp_gt_f64_e64 s[4:5], 0, v[10:11]
	v_add_f64 v[20:21], v[20:21], v[22:23]
	v_xor_b32_e32 v23, 0x80000000, v11
	v_mov_b32_e32 v22, v10
	v_mov_b32_e32 v24, v12
	v_add_u32_e32 v5, 16, v5
	v_cndmask_b32_e32 v25, v13, v25, vcc
	v_cndmask_b32_e64 v23, v11, v23, s[4:5]
	v_add_f64 v[22:23], v[22:23], v[24:25]
	v_mov_b32_e32 v24, s16
	s_add_i32 s16, s16, 1
	s_cmp_lg_u32 s65, s16
	v_cmp_lt_f64_e32 vcc, v[20:21], v[22:23]
	v_cndmask_b32_e32 v1, v1, v11, vcc
	v_cndmask_b32_e32 v0, v0, v10, vcc
	;; [unrolled: 1-line block ×5, first 2 shown]
	s_cbranch_scc1 .LBB124_1229
.LBB124_1230:
	s_waitcnt lgkmcnt(0)
	v_cmp_eq_f64_e32 vcc, 0, v[0:1]
	v_cmp_eq_f64_e64 s[4:5], 0, v[2:3]
	s_and_b64 s[4:5], vcc, s[4:5]
	s_and_saveexec_b64 s[16:17], s[4:5]
	s_xor_b64 s[4:5], exec, s[16:17]
; %bb.1231:
	v_cmp_ne_u32_e32 vcc, 0, v17
	v_cndmask_b32_e32 v17, 54, v17, vcc
; %bb.1232:
	s_andn2_saveexec_b64 s[4:5], s[4:5]
	s_cbranch_execz .LBB124_1238
; %bb.1233:
	v_cmp_ngt_f64_e64 s[16:17], |v[0:1]|, |v[2:3]|
	s_and_saveexec_b64 s[18:19], s[16:17]
	s_xor_b64 s[18:19], exec, s[18:19]
	s_cbranch_execz .LBB124_1235
; %bb.1234:
	v_div_scale_f64 v[10:11], s[16:17], v[2:3], v[2:3], v[0:1]
	v_rcp_f64_e32 v[12:13], v[10:11]
	v_fma_f64 v[20:21], -v[10:11], v[12:13], 1.0
	v_fma_f64 v[12:13], v[12:13], v[20:21], v[12:13]
	v_div_scale_f64 v[20:21], vcc, v[0:1], v[2:3], v[0:1]
	v_fma_f64 v[22:23], -v[10:11], v[12:13], 1.0
	v_fma_f64 v[12:13], v[12:13], v[22:23], v[12:13]
	v_mul_f64 v[22:23], v[20:21], v[12:13]
	v_fma_f64 v[10:11], -v[10:11], v[22:23], v[20:21]
	v_div_fmas_f64 v[10:11], v[10:11], v[12:13], v[22:23]
	v_div_fixup_f64 v[10:11], v[10:11], v[2:3], v[0:1]
	v_fma_f64 v[0:1], v[0:1], v[10:11], v[2:3]
	v_div_scale_f64 v[2:3], s[16:17], v[0:1], v[0:1], 1.0
	v_div_scale_f64 v[22:23], vcc, 1.0, v[0:1], 1.0
	v_rcp_f64_e32 v[12:13], v[2:3]
	v_fma_f64 v[20:21], -v[2:3], v[12:13], 1.0
	v_fma_f64 v[12:13], v[12:13], v[20:21], v[12:13]
	v_fma_f64 v[20:21], -v[2:3], v[12:13], 1.0
	v_fma_f64 v[12:13], v[12:13], v[20:21], v[12:13]
	v_mul_f64 v[20:21], v[22:23], v[12:13]
	v_fma_f64 v[2:3], -v[2:3], v[20:21], v[22:23]
	v_div_fmas_f64 v[2:3], v[2:3], v[12:13], v[20:21]
	v_div_fixup_f64 v[2:3], v[2:3], v[0:1], 1.0
	v_mul_f64 v[0:1], v[10:11], v[2:3]
	v_xor_b32_e32 v3, 0x80000000, v3
.LBB124_1235:
	s_andn2_saveexec_b64 s[18:19], s[18:19]
	s_cbranch_execz .LBB124_1237
; %bb.1236:
	v_div_scale_f64 v[10:11], s[16:17], v[0:1], v[0:1], v[2:3]
	v_rcp_f64_e32 v[12:13], v[10:11]
	v_fma_f64 v[20:21], -v[10:11], v[12:13], 1.0
	v_fma_f64 v[12:13], v[12:13], v[20:21], v[12:13]
	v_div_scale_f64 v[20:21], vcc, v[2:3], v[0:1], v[2:3]
	v_fma_f64 v[22:23], -v[10:11], v[12:13], 1.0
	v_fma_f64 v[12:13], v[12:13], v[22:23], v[12:13]
	v_mul_f64 v[22:23], v[20:21], v[12:13]
	v_fma_f64 v[10:11], -v[10:11], v[22:23], v[20:21]
	v_div_fmas_f64 v[10:11], v[10:11], v[12:13], v[22:23]
	v_div_fixup_f64 v[10:11], v[10:11], v[0:1], v[2:3]
	v_fma_f64 v[0:1], v[2:3], v[10:11], v[0:1]
	v_div_scale_f64 v[2:3], s[16:17], v[0:1], v[0:1], 1.0
	v_div_scale_f64 v[22:23], vcc, 1.0, v[0:1], 1.0
	v_rcp_f64_e32 v[12:13], v[2:3]
	v_fma_f64 v[20:21], -v[2:3], v[12:13], 1.0
	v_fma_f64 v[12:13], v[12:13], v[20:21], v[12:13]
	v_fma_f64 v[20:21], -v[2:3], v[12:13], 1.0
	v_fma_f64 v[12:13], v[12:13], v[20:21], v[12:13]
	v_mul_f64 v[20:21], v[22:23], v[12:13]
	v_fma_f64 v[2:3], -v[2:3], v[20:21], v[22:23]
	v_div_fmas_f64 v[2:3], v[2:3], v[12:13], v[20:21]
	v_div_fixup_f64 v[0:1], v[2:3], v[0:1], 1.0
	v_mul_f64 v[2:3], v[10:11], -v[0:1]
.LBB124_1237:
	s_or_b64 exec, exec, s[18:19]
.LBB124_1238:
	s_or_b64 exec, exec, s[4:5]
	v_cmp_ne_u32_e32 vcc, v19, v4
	s_and_saveexec_b64 s[4:5], vcc
	s_xor_b64 s[4:5], exec, s[4:5]
	s_cbranch_execz .LBB124_1244
; %bb.1239:
	v_cmp_eq_u32_e32 vcc, 53, v19
	s_and_saveexec_b64 s[18:19], vcc
	s_cbranch_execz .LBB124_1243
; %bb.1240:
	v_cmp_ne_u32_e32 vcc, 53, v4
	s_xor_b64 s[16:17], s[10:11], -1
	s_and_b64 s[16:17], s[16:17], vcc
	s_and_saveexec_b64 s[24:25], s[16:17]
	s_cbranch_execz .LBB124_1242
; %bb.1241:
	v_ashrrev_i32_e32 v5, 31, v4
	v_lshlrev_b64 v[10:11], 2, v[4:5]
	v_add_co_u32_e32 v10, vcc, v8, v10
	v_addc_co_u32_e32 v11, vcc, v9, v11, vcc
	global_load_dword v5, v[10:11], off
	global_load_dword v12, v[8:9], off offset:212
	s_waitcnt vmcnt(1)
	global_store_dword v[8:9], v5, off offset:212
	s_waitcnt vmcnt(1)
	global_store_dword v[10:11], v12, off
.LBB124_1242:
	s_or_b64 exec, exec, s[24:25]
	v_mov_b32_e32 v19, v4
	v_mov_b32_e32 v18, v4
.LBB124_1243:
	s_or_b64 exec, exec, s[18:19]
.LBB124_1244:
	s_andn2_saveexec_b64 s[4:5], s[4:5]
	s_cbranch_execz .LBB124_1246
; %bb.1245:
	v_mov_b32_e32 v11, s33
	v_mov_b32_e32 v20, s31
	;; [unrolled: 1-line block ×9, first 2 shown]
	buffer_load_dword v4, v11, s[0:3], 0 offen
	buffer_load_dword v5, v11, s[0:3], 0 offen offset:4
	buffer_load_dword v10, v11, s[0:3], 0 offen offset:8
	s_nop 0
	buffer_load_dword v11, v11, s[0:3], 0 offen offset:12
	s_nop 0
	buffer_load_dword v12, v20, s[0:3], 0 offen
	buffer_load_dword v13, v20, s[0:3], 0 offen offset:4
	buffer_load_dword v19, v20, s[0:3], 0 offen offset:8
	s_nop 0
	buffer_load_dword v20, v20, s[0:3], 0 offen offset:12
	s_nop 0
	;; [unrolled: 6-line block ×8, first 2 shown]
	buffer_load_dword v45, v48, s[0:3], 0 offen
	buffer_load_dword v46, v48, s[0:3], 0 offen offset:4
	buffer_load_dword v47, v48, s[0:3], 0 offen offset:8
	s_nop 0
	buffer_load_dword v48, v48, s[0:3], 0 offen offset:12
	s_waitcnt vmcnt(32)
	ds_write2_b64 v16, v[4:5], v[10:11] offset0:108 offset1:109
	s_waitcnt vmcnt(28)
	ds_write2_b64 v16, v[12:13], v[19:20] offset0:110 offset1:111
	;; [unrolled: 2-line block ×9, first 2 shown]
	v_mov_b32_e32 v19, 53
.LBB124_1246:
	s_or_b64 exec, exec, s[4:5]
	v_cmp_lt_i32_e32 vcc, 53, v19
	s_waitcnt vmcnt(0) lgkmcnt(0)
	s_barrier
	s_and_saveexec_b64 s[4:5], vcc
	s_cbranch_execz .LBB124_1248
; %bb.1247:
	buffer_load_dword v4, off, s[0:3], 0 offset:848
	buffer_load_dword v5, off, s[0:3], 0 offset:852
	;; [unrolled: 1-line block ×16, first 2 shown]
	s_waitcnt vmcnt(12)
	v_mul_f64 v[30:31], v[2:3], v[10:11]
	v_fma_f64 v[30:31], v[0:1], v[4:5], -v[30:31]
	v_mul_f64 v[0:1], v[0:1], v[10:11]
	v_fma_f64 v[4:5], v[2:3], v[4:5], v[0:1]
	buffer_store_dword v30, off, s[0:3], 0 offset:848
	buffer_store_dword v31, off, s[0:3], 0 offset:852
	buffer_store_dword v4, off, s[0:3], 0 offset:856
	buffer_store_dword v5, off, s[0:3], 0 offset:860
	ds_read2_b64 v[0:3], v16 offset0:108 offset1:109
	s_waitcnt lgkmcnt(0)
	v_mul_f64 v[10:11], v[2:3], v[4:5]
	v_fma_f64 v[10:11], v[0:1], v[30:31], -v[10:11]
	v_mul_f64 v[0:1], v[0:1], v[4:5]
	v_fma_f64 v[0:1], v[2:3], v[30:31], v[0:1]
	s_waitcnt vmcnt(14)
	v_add_f64 v[2:3], v[12:13], -v[10:11]
	s_waitcnt vmcnt(12)
	v_add_f64 v[0:1], v[20:21], -v[0:1]
	buffer_store_dword v2, off, s[0:3], 0 offset:864
	buffer_store_dword v3, off, s[0:3], 0 offset:868
	buffer_store_dword v0, off, s[0:3], 0 offset:872
	buffer_store_dword v1, off, s[0:3], 0 offset:876
	ds_read2_b64 v[0:3], v16 offset0:110 offset1:111
	s_waitcnt lgkmcnt(0)
	v_mul_f64 v[10:11], v[2:3], v[4:5]
	v_fma_f64 v[10:11], v[0:1], v[30:31], -v[10:11]
	v_mul_f64 v[0:1], v[0:1], v[4:5]
	v_fma_f64 v[0:1], v[2:3], v[30:31], v[0:1]
	s_waitcnt vmcnt(14)
	v_add_f64 v[2:3], v[22:23], -v[10:11]
	s_waitcnt vmcnt(12)
	v_add_f64 v[0:1], v[24:25], -v[0:1]
	buffer_store_dword v2, off, s[0:3], 0 offset:880
	buffer_store_dword v3, off, s[0:3], 0 offset:884
	buffer_store_dword v0, off, s[0:3], 0 offset:888
	buffer_store_dword v1, off, s[0:3], 0 offset:892
	ds_read2_b64 v[0:3], v16 offset0:112 offset1:113
	s_waitcnt lgkmcnt(0)
	v_mul_f64 v[10:11], v[2:3], v[4:5]
	v_fma_f64 v[10:11], v[0:1], v[30:31], -v[10:11]
	v_mul_f64 v[0:1], v[0:1], v[4:5]
	v_fma_f64 v[0:1], v[2:3], v[30:31], v[0:1]
	s_waitcnt vmcnt(14)
	v_add_f64 v[2:3], v[26:27], -v[10:11]
	s_waitcnt vmcnt(12)
	v_add_f64 v[0:1], v[28:29], -v[0:1]
	buffer_store_dword v3, off, s[0:3], 0 offset:900
	buffer_store_dword v2, off, s[0:3], 0 offset:896
	buffer_store_dword v0, off, s[0:3], 0 offset:904
	buffer_store_dword v1, off, s[0:3], 0 offset:908
	ds_read2_b64 v[0:3], v16 offset0:114 offset1:115
	s_waitcnt lgkmcnt(0)
	v_mul_f64 v[10:11], v[2:3], v[4:5]
	v_fma_f64 v[10:11], v[0:1], v[30:31], -v[10:11]
	v_mul_f64 v[0:1], v[0:1], v[4:5]
	v_fma_f64 v[0:1], v[2:3], v[30:31], v[0:1]
	buffer_load_dword v2, off, s[0:3], 0 offset:912
	buffer_load_dword v3, off, s[0:3], 0 offset:916
	buffer_load_dword v12, off, s[0:3], 0 offset:920
	buffer_load_dword v13, off, s[0:3], 0 offset:924
	s_waitcnt vmcnt(2)
	v_add_f64 v[2:3], v[2:3], -v[10:11]
	s_waitcnt vmcnt(0)
	v_add_f64 v[0:1], v[12:13], -v[0:1]
	buffer_store_dword v3, off, s[0:3], 0 offset:916
	buffer_store_dword v2, off, s[0:3], 0 offset:912
	buffer_store_dword v1, off, s[0:3], 0 offset:924
	buffer_store_dword v0, off, s[0:3], 0 offset:920
	ds_read2_b64 v[0:3], v16 offset0:116 offset1:117
	s_waitcnt lgkmcnt(0)
	v_mul_f64 v[10:11], v[2:3], v[4:5]
	v_fma_f64 v[10:11], v[0:1], v[30:31], -v[10:11]
	v_mul_f64 v[0:1], v[0:1], v[4:5]
	v_fma_f64 v[0:1], v[2:3], v[30:31], v[0:1]
	buffer_load_dword v2, off, s[0:3], 0 offset:928
	buffer_load_dword v3, off, s[0:3], 0 offset:932
	buffer_load_dword v12, off, s[0:3], 0 offset:936
	buffer_load_dword v13, off, s[0:3], 0 offset:940
	s_waitcnt vmcnt(2)
	v_add_f64 v[2:3], v[2:3], -v[10:11]
	s_waitcnt vmcnt(0)
	v_add_f64 v[0:1], v[12:13], -v[0:1]
	buffer_store_dword v3, off, s[0:3], 0 offset:932
	buffer_store_dword v2, off, s[0:3], 0 offset:928
	buffer_store_dword v1, off, s[0:3], 0 offset:940
	buffer_store_dword v0, off, s[0:3], 0 offset:936
	ds_read2_b64 v[0:3], v16 offset0:118 offset1:119
	s_waitcnt lgkmcnt(0)
	v_mul_f64 v[10:11], v[2:3], v[4:5]
	v_fma_f64 v[10:11], v[0:1], v[30:31], -v[10:11]
	v_mul_f64 v[0:1], v[0:1], v[4:5]
	v_fma_f64 v[0:1], v[2:3], v[30:31], v[0:1]
	buffer_load_dword v2, off, s[0:3], 0 offset:944
	buffer_load_dword v3, off, s[0:3], 0 offset:948
	buffer_load_dword v4, off, s[0:3], 0 offset:952
	buffer_load_dword v5, off, s[0:3], 0 offset:956
	s_waitcnt vmcnt(2)
	v_add_f64 v[2:3], v[2:3], -v[10:11]
	s_waitcnt vmcnt(0)
	v_add_f64 v[0:1], v[4:5], -v[0:1]
	buffer_store_dword v3, off, s[0:3], 0 offset:948
	buffer_store_dword v2, off, s[0:3], 0 offset:944
	buffer_store_dword v1, off, s[0:3], 0 offset:956
	buffer_store_dword v0, off, s[0:3], 0 offset:952
	ds_read2_b64 v[0:3], v16 offset0:120 offset1:121
	buffer_load_dword v4, off, s[0:3], 0 offset:848
	buffer_load_dword v5, off, s[0:3], 0 offset:852
	;; [unrolled: 1-line block ×4, first 2 shown]
	s_waitcnt vmcnt(0) lgkmcnt(0)
	v_mul_f64 v[12:13], v[2:3], v[10:11]
	v_fma_f64 v[12:13], v[0:1], v[4:5], -v[12:13]
	v_mul_f64 v[0:1], v[0:1], v[10:11]
	v_fma_f64 v[0:1], v[2:3], v[4:5], v[0:1]
	buffer_load_dword v3, off, s[0:3], 0 offset:964
	buffer_load_dword v2, off, s[0:3], 0 offset:960
	s_waitcnt vmcnt(0)
	v_add_f64 v[2:3], v[2:3], -v[12:13]
	buffer_load_dword v13, off, s[0:3], 0 offset:972
	buffer_load_dword v12, off, s[0:3], 0 offset:968
	s_waitcnt vmcnt(0)
	v_add_f64 v[0:1], v[12:13], -v[0:1]
	buffer_store_dword v3, off, s[0:3], 0 offset:964
	buffer_store_dword v2, off, s[0:3], 0 offset:960
	;; [unrolled: 1-line block ×4, first 2 shown]
	ds_read2_b64 v[0:3], v16 offset0:122 offset1:123
	s_waitcnt lgkmcnt(0)
	v_mul_f64 v[12:13], v[2:3], v[10:11]
	v_fma_f64 v[12:13], v[0:1], v[4:5], -v[12:13]
	v_mul_f64 v[0:1], v[0:1], v[10:11]
	v_fma_f64 v[0:1], v[2:3], v[4:5], v[0:1]
	buffer_load_dword v2, off, s[0:3], 0 offset:976
	buffer_load_dword v3, off, s[0:3], 0 offset:980
	;; [unrolled: 1-line block ×4, first 2 shown]
	s_waitcnt vmcnt(2)
	v_add_f64 v[2:3], v[2:3], -v[12:13]
	s_waitcnt vmcnt(0)
	v_add_f64 v[0:1], v[20:21], -v[0:1]
	buffer_store_dword v3, off, s[0:3], 0 offset:980
	buffer_store_dword v2, off, s[0:3], 0 offset:976
	;; [unrolled: 1-line block ×4, first 2 shown]
	ds_read2_b64 v[0:3], v16 offset0:124 offset1:125
	s_waitcnt lgkmcnt(0)
	v_mul_f64 v[12:13], v[2:3], v[10:11]
	v_fma_f64 v[12:13], v[0:1], v[4:5], -v[12:13]
	v_mul_f64 v[0:1], v[0:1], v[10:11]
	v_fma_f64 v[0:1], v[2:3], v[4:5], v[0:1]
	buffer_load_dword v2, off, s[0:3], 0 offset:992
	buffer_load_dword v3, off, s[0:3], 0 offset:996
	;; [unrolled: 1-line block ×4, first 2 shown]
	s_waitcnt vmcnt(2)
	v_add_f64 v[2:3], v[2:3], -v[12:13]
	s_waitcnt vmcnt(0)
	v_add_f64 v[0:1], v[4:5], -v[0:1]
	buffer_store_dword v3, off, s[0:3], 0 offset:996
	buffer_store_dword v2, off, s[0:3], 0 offset:992
	buffer_store_dword v1, off, s[0:3], 0 offset:1004
	buffer_store_dword v0, off, s[0:3], 0 offset:1000
.LBB124_1248:
	s_or_b64 exec, exec, s[4:5]
	v_mov_b32_e32 v3, s33
	s_waitcnt vmcnt(0)
	s_barrier
	buffer_load_dword v0, v3, s[0:3], 0 offen
	buffer_load_dword v1, v3, s[0:3], 0 offen offset:4
	buffer_load_dword v2, v3, s[0:3], 0 offen offset:8
	s_nop 0
	buffer_load_dword v3, v3, s[0:3], 0 offen offset:12
	v_lshl_add_u32 v4, v19, 4, v16
	s_cmp_lt_i32 s65, 56
	s_waitcnt vmcnt(0)
	ds_write2_b64 v4, v[0:1], v[2:3] offset1:1
	s_waitcnt lgkmcnt(0)
	s_barrier
	ds_read2_b64 v[0:3], v16 offset0:108 offset1:109
	v_mov_b32_e32 v4, 54
	s_cbranch_scc1 .LBB124_1251
; %bb.1249:
	v_add_u32_e32 v5, 0x370, v16
	s_mov_b32 s16, 55
	v_mov_b32_e32 v4, 54
.LBB124_1250:                           ; =>This Inner Loop Header: Depth=1
	s_waitcnt lgkmcnt(0)
	v_cmp_gt_f64_e32 vcc, 0, v[2:3]
	v_cmp_gt_f64_e64 s[4:5], 0, v[0:1]
	ds_read2_b64 v[10:13], v5 offset1:1
	v_xor_b32_e32 v21, 0x80000000, v1
	v_xor_b32_e32 v23, 0x80000000, v3
	v_mov_b32_e32 v20, v0
	v_mov_b32_e32 v22, v2
	s_waitcnt lgkmcnt(0)
	v_xor_b32_e32 v25, 0x80000000, v13
	v_cndmask_b32_e32 v23, v3, v23, vcc
	v_cndmask_b32_e64 v21, v1, v21, s[4:5]
	v_cmp_gt_f64_e32 vcc, 0, v[12:13]
	v_cmp_gt_f64_e64 s[4:5], 0, v[10:11]
	v_add_f64 v[20:21], v[20:21], v[22:23]
	v_xor_b32_e32 v23, 0x80000000, v11
	v_mov_b32_e32 v22, v10
	v_mov_b32_e32 v24, v12
	v_add_u32_e32 v5, 16, v5
	v_cndmask_b32_e32 v25, v13, v25, vcc
	v_cndmask_b32_e64 v23, v11, v23, s[4:5]
	v_add_f64 v[22:23], v[22:23], v[24:25]
	v_mov_b32_e32 v24, s16
	s_add_i32 s16, s16, 1
	s_cmp_lg_u32 s65, s16
	v_cmp_lt_f64_e32 vcc, v[20:21], v[22:23]
	v_cndmask_b32_e32 v1, v1, v11, vcc
	v_cndmask_b32_e32 v0, v0, v10, vcc
	;; [unrolled: 1-line block ×5, first 2 shown]
	s_cbranch_scc1 .LBB124_1250
.LBB124_1251:
	s_waitcnt lgkmcnt(0)
	v_cmp_eq_f64_e32 vcc, 0, v[0:1]
	v_cmp_eq_f64_e64 s[4:5], 0, v[2:3]
	s_and_b64 s[4:5], vcc, s[4:5]
	s_and_saveexec_b64 s[16:17], s[4:5]
	s_xor_b64 s[4:5], exec, s[16:17]
; %bb.1252:
	v_cmp_ne_u32_e32 vcc, 0, v17
	v_cndmask_b32_e32 v17, 55, v17, vcc
; %bb.1253:
	s_andn2_saveexec_b64 s[4:5], s[4:5]
	s_cbranch_execz .LBB124_1259
; %bb.1254:
	v_cmp_ngt_f64_e64 s[16:17], |v[0:1]|, |v[2:3]|
	s_and_saveexec_b64 s[18:19], s[16:17]
	s_xor_b64 s[18:19], exec, s[18:19]
	s_cbranch_execz .LBB124_1256
; %bb.1255:
	v_div_scale_f64 v[10:11], s[16:17], v[2:3], v[2:3], v[0:1]
	v_rcp_f64_e32 v[12:13], v[10:11]
	v_fma_f64 v[20:21], -v[10:11], v[12:13], 1.0
	v_fma_f64 v[12:13], v[12:13], v[20:21], v[12:13]
	v_div_scale_f64 v[20:21], vcc, v[0:1], v[2:3], v[0:1]
	v_fma_f64 v[22:23], -v[10:11], v[12:13], 1.0
	v_fma_f64 v[12:13], v[12:13], v[22:23], v[12:13]
	v_mul_f64 v[22:23], v[20:21], v[12:13]
	v_fma_f64 v[10:11], -v[10:11], v[22:23], v[20:21]
	v_div_fmas_f64 v[10:11], v[10:11], v[12:13], v[22:23]
	v_div_fixup_f64 v[10:11], v[10:11], v[2:3], v[0:1]
	v_fma_f64 v[0:1], v[0:1], v[10:11], v[2:3]
	v_div_scale_f64 v[2:3], s[16:17], v[0:1], v[0:1], 1.0
	v_div_scale_f64 v[22:23], vcc, 1.0, v[0:1], 1.0
	v_rcp_f64_e32 v[12:13], v[2:3]
	v_fma_f64 v[20:21], -v[2:3], v[12:13], 1.0
	v_fma_f64 v[12:13], v[12:13], v[20:21], v[12:13]
	v_fma_f64 v[20:21], -v[2:3], v[12:13], 1.0
	v_fma_f64 v[12:13], v[12:13], v[20:21], v[12:13]
	v_mul_f64 v[20:21], v[22:23], v[12:13]
	v_fma_f64 v[2:3], -v[2:3], v[20:21], v[22:23]
	v_div_fmas_f64 v[2:3], v[2:3], v[12:13], v[20:21]
	v_div_fixup_f64 v[2:3], v[2:3], v[0:1], 1.0
	v_mul_f64 v[0:1], v[10:11], v[2:3]
	v_xor_b32_e32 v3, 0x80000000, v3
.LBB124_1256:
	s_andn2_saveexec_b64 s[18:19], s[18:19]
	s_cbranch_execz .LBB124_1258
; %bb.1257:
	v_div_scale_f64 v[10:11], s[16:17], v[0:1], v[0:1], v[2:3]
	v_rcp_f64_e32 v[12:13], v[10:11]
	v_fma_f64 v[20:21], -v[10:11], v[12:13], 1.0
	v_fma_f64 v[12:13], v[12:13], v[20:21], v[12:13]
	v_div_scale_f64 v[20:21], vcc, v[2:3], v[0:1], v[2:3]
	v_fma_f64 v[22:23], -v[10:11], v[12:13], 1.0
	v_fma_f64 v[12:13], v[12:13], v[22:23], v[12:13]
	v_mul_f64 v[22:23], v[20:21], v[12:13]
	v_fma_f64 v[10:11], -v[10:11], v[22:23], v[20:21]
	v_div_fmas_f64 v[10:11], v[10:11], v[12:13], v[22:23]
	v_div_fixup_f64 v[10:11], v[10:11], v[0:1], v[2:3]
	v_fma_f64 v[0:1], v[2:3], v[10:11], v[0:1]
	v_div_scale_f64 v[2:3], s[16:17], v[0:1], v[0:1], 1.0
	v_div_scale_f64 v[22:23], vcc, 1.0, v[0:1], 1.0
	v_rcp_f64_e32 v[12:13], v[2:3]
	v_fma_f64 v[20:21], -v[2:3], v[12:13], 1.0
	v_fma_f64 v[12:13], v[12:13], v[20:21], v[12:13]
	v_fma_f64 v[20:21], -v[2:3], v[12:13], 1.0
	v_fma_f64 v[12:13], v[12:13], v[20:21], v[12:13]
	v_mul_f64 v[20:21], v[22:23], v[12:13]
	v_fma_f64 v[2:3], -v[2:3], v[20:21], v[22:23]
	v_div_fmas_f64 v[2:3], v[2:3], v[12:13], v[20:21]
	v_div_fixup_f64 v[0:1], v[2:3], v[0:1], 1.0
	v_mul_f64 v[2:3], v[10:11], -v[0:1]
.LBB124_1258:
	s_or_b64 exec, exec, s[18:19]
.LBB124_1259:
	s_or_b64 exec, exec, s[4:5]
	v_cmp_ne_u32_e32 vcc, v19, v4
	s_and_saveexec_b64 s[4:5], vcc
	s_xor_b64 s[4:5], exec, s[4:5]
	s_cbranch_execz .LBB124_1265
; %bb.1260:
	v_cmp_eq_u32_e32 vcc, 54, v19
	s_and_saveexec_b64 s[18:19], vcc
	s_cbranch_execz .LBB124_1264
; %bb.1261:
	v_cmp_ne_u32_e32 vcc, 54, v4
	s_xor_b64 s[16:17], s[10:11], -1
	s_and_b64 s[16:17], s[16:17], vcc
	s_and_saveexec_b64 s[24:25], s[16:17]
	s_cbranch_execz .LBB124_1263
; %bb.1262:
	v_ashrrev_i32_e32 v5, 31, v4
	v_lshlrev_b64 v[10:11], 2, v[4:5]
	v_add_co_u32_e32 v10, vcc, v8, v10
	v_addc_co_u32_e32 v11, vcc, v9, v11, vcc
	global_load_dword v5, v[10:11], off
	global_load_dword v12, v[8:9], off offset:216
	s_waitcnt vmcnt(1)
	global_store_dword v[8:9], v5, off offset:216
	s_waitcnt vmcnt(1)
	global_store_dword v[10:11], v12, off
.LBB124_1263:
	s_or_b64 exec, exec, s[24:25]
	v_mov_b32_e32 v19, v4
	v_mov_b32_e32 v18, v4
.LBB124_1264:
	s_or_b64 exec, exec, s[18:19]
.LBB124_1265:
	s_andn2_saveexec_b64 s[4:5], s[4:5]
	s_cbranch_execz .LBB124_1267
; %bb.1266:
	v_mov_b32_e32 v11, s31
	v_mov_b32_e32 v20, s30
	;; [unrolled: 1-line block ×8, first 2 shown]
	buffer_load_dword v4, v11, s[0:3], 0 offen
	buffer_load_dword v5, v11, s[0:3], 0 offen offset:4
	buffer_load_dword v10, v11, s[0:3], 0 offen offset:8
	s_nop 0
	buffer_load_dword v11, v11, s[0:3], 0 offen offset:12
	s_nop 0
	buffer_load_dword v12, v20, s[0:3], 0 offen
	buffer_load_dword v13, v20, s[0:3], 0 offen offset:4
	buffer_load_dword v19, v20, s[0:3], 0 offen offset:8
	s_nop 0
	buffer_load_dword v20, v20, s[0:3], 0 offen offset:12
	s_nop 0
	;; [unrolled: 6-line block ×7, first 2 shown]
	buffer_load_dword v41, v44, s[0:3], 0 offen
	buffer_load_dword v42, v44, s[0:3], 0 offen offset:4
	buffer_load_dword v43, v44, s[0:3], 0 offen offset:8
	s_nop 0
	buffer_load_dword v44, v44, s[0:3], 0 offen offset:12
	s_waitcnt vmcnt(28)
	ds_write2_b64 v16, v[4:5], v[10:11] offset0:110 offset1:111
	s_waitcnt vmcnt(24)
	ds_write2_b64 v16, v[12:13], v[19:20] offset0:112 offset1:113
	s_waitcnt vmcnt(20)
	ds_write2_b64 v16, v[21:22], v[23:24] offset0:114 offset1:115
	s_waitcnt vmcnt(16)
	ds_write2_b64 v16, v[25:26], v[27:28] offset0:116 offset1:117
	s_waitcnt vmcnt(12)
	ds_write2_b64 v16, v[29:30], v[31:32] offset0:118 offset1:119
	s_waitcnt vmcnt(8)
	ds_write2_b64 v16, v[33:34], v[35:36] offset0:120 offset1:121
	s_waitcnt vmcnt(4)
	ds_write2_b64 v16, v[37:38], v[39:40] offset0:122 offset1:123
	s_waitcnt vmcnt(0)
	ds_write2_b64 v16, v[41:42], v[43:44] offset0:124 offset1:125
	v_mov_b32_e32 v19, 54
.LBB124_1267:
	s_or_b64 exec, exec, s[4:5]
	v_cmp_lt_i32_e32 vcc, 54, v19
	s_waitcnt vmcnt(0) lgkmcnt(0)
	s_barrier
	s_and_saveexec_b64 s[4:5], vcc
	s_cbranch_execz .LBB124_1269
; %bb.1268:
	buffer_load_dword v10, off, s[0:3], 0 offset:864
	buffer_load_dword v11, off, s[0:3], 0 offset:868
	;; [unrolled: 1-line block ×16, first 2 shown]
	s_waitcnt vmcnt(12)
	v_mul_f64 v[4:5], v[2:3], v[12:13]
	v_fma_f64 v[4:5], v[0:1], v[10:11], -v[4:5]
	v_mul_f64 v[0:1], v[0:1], v[12:13]
	v_fma_f64 v[0:1], v[2:3], v[10:11], v[0:1]
	buffer_store_dword v4, off, s[0:3], 0 offset:864
	buffer_store_dword v5, off, s[0:3], 0 offset:868
	buffer_store_dword v0, off, s[0:3], 0 offset:872
	buffer_store_dword v1, off, s[0:3], 0 offset:876
	ds_read2_b64 v[10:13], v16 offset0:110 offset1:111
	s_waitcnt lgkmcnt(0)
	v_mul_f64 v[2:3], v[12:13], v[0:1]
	v_fma_f64 v[2:3], v[10:11], v[4:5], -v[2:3]
	v_mul_f64 v[10:11], v[10:11], v[0:1]
	s_waitcnt vmcnt(14)
	v_add_f64 v[2:3], v[20:21], -v[2:3]
	v_fma_f64 v[10:11], v[12:13], v[4:5], v[10:11]
	s_waitcnt vmcnt(12)
	v_add_f64 v[10:11], v[22:23], -v[10:11]
	buffer_store_dword v2, off, s[0:3], 0 offset:880
	buffer_store_dword v3, off, s[0:3], 0 offset:884
	buffer_store_dword v10, off, s[0:3], 0 offset:888
	buffer_store_dword v11, off, s[0:3], 0 offset:892
	ds_read2_b64 v[10:13], v16 offset0:112 offset1:113
	s_waitcnt lgkmcnt(0)
	v_mul_f64 v[2:3], v[12:13], v[0:1]
	v_fma_f64 v[2:3], v[10:11], v[4:5], -v[2:3]
	v_mul_f64 v[10:11], v[10:11], v[0:1]
	s_waitcnt vmcnt(14)
	v_add_f64 v[2:3], v[24:25], -v[2:3]
	v_fma_f64 v[10:11], v[12:13], v[4:5], v[10:11]
	s_waitcnt vmcnt(12)
	v_add_f64 v[10:11], v[26:27], -v[10:11]
	;; [unrolled: 14-line block ×3, first 2 shown]
	buffer_store_dword v3, off, s[0:3], 0 offset:916
	buffer_store_dword v2, off, s[0:3], 0 offset:912
	;; [unrolled: 1-line block ×4, first 2 shown]
	ds_read2_b64 v[10:13], v16 offset0:116 offset1:117
	s_waitcnt lgkmcnt(0)
	v_mul_f64 v[2:3], v[12:13], v[0:1]
	v_fma_f64 v[2:3], v[10:11], v[4:5], -v[2:3]
	v_mul_f64 v[10:11], v[10:11], v[0:1]
	v_fma_f64 v[10:11], v[12:13], v[4:5], v[10:11]
	buffer_load_dword v12, off, s[0:3], 0 offset:928
	buffer_load_dword v13, off, s[0:3], 0 offset:932
	;; [unrolled: 1-line block ×4, first 2 shown]
	s_waitcnt vmcnt(2)
	v_add_f64 v[2:3], v[12:13], -v[2:3]
	s_waitcnt vmcnt(0)
	v_add_f64 v[10:11], v[20:21], -v[10:11]
	buffer_store_dword v3, off, s[0:3], 0 offset:932
	buffer_store_dword v2, off, s[0:3], 0 offset:928
	;; [unrolled: 1-line block ×4, first 2 shown]
	ds_read2_b64 v[10:13], v16 offset0:118 offset1:119
	s_waitcnt lgkmcnt(0)
	v_mul_f64 v[2:3], v[12:13], v[0:1]
	v_fma_f64 v[2:3], v[10:11], v[4:5], -v[2:3]
	v_mul_f64 v[10:11], v[10:11], v[0:1]
	v_fma_f64 v[10:11], v[12:13], v[4:5], v[10:11]
	buffer_load_dword v12, off, s[0:3], 0 offset:944
	buffer_load_dword v13, off, s[0:3], 0 offset:948
	buffer_load_dword v20, off, s[0:3], 0 offset:952
	buffer_load_dword v21, off, s[0:3], 0 offset:956
	s_waitcnt vmcnt(2)
	v_add_f64 v[2:3], v[12:13], -v[2:3]
	s_waitcnt vmcnt(0)
	v_add_f64 v[10:11], v[20:21], -v[10:11]
	buffer_store_dword v3, off, s[0:3], 0 offset:948
	buffer_store_dword v2, off, s[0:3], 0 offset:944
	;; [unrolled: 1-line block ×4, first 2 shown]
	ds_read2_b64 v[10:13], v16 offset0:120 offset1:121
	s_waitcnt lgkmcnt(0)
	v_mul_f64 v[2:3], v[12:13], v[0:1]
	v_mul_f64 v[0:1], v[10:11], v[0:1]
	v_fma_f64 v[2:3], v[10:11], v[4:5], -v[2:3]
	v_fma_f64 v[0:1], v[12:13], v[4:5], v[0:1]
	buffer_load_dword v4, off, s[0:3], 0 offset:960
	buffer_load_dword v5, off, s[0:3], 0 offset:964
	;; [unrolled: 1-line block ×4, first 2 shown]
	s_waitcnt vmcnt(2)
	v_add_f64 v[2:3], v[4:5], -v[2:3]
	s_waitcnt vmcnt(0)
	v_add_f64 v[0:1], v[10:11], -v[0:1]
	buffer_store_dword v3, off, s[0:3], 0 offset:964
	buffer_store_dword v2, off, s[0:3], 0 offset:960
	;; [unrolled: 1-line block ×4, first 2 shown]
	ds_read2_b64 v[0:3], v16 offset0:122 offset1:123
	buffer_load_dword v4, off, s[0:3], 0 offset:864
	buffer_load_dword v5, off, s[0:3], 0 offset:868
	buffer_load_dword v10, off, s[0:3], 0 offset:872
	buffer_load_dword v11, off, s[0:3], 0 offset:876
	s_waitcnt vmcnt(0) lgkmcnt(0)
	v_mul_f64 v[12:13], v[2:3], v[10:11]
	v_fma_f64 v[12:13], v[0:1], v[4:5], -v[12:13]
	v_mul_f64 v[0:1], v[0:1], v[10:11]
	v_fma_f64 v[0:1], v[2:3], v[4:5], v[0:1]
	buffer_load_dword v3, off, s[0:3], 0 offset:980
	buffer_load_dword v2, off, s[0:3], 0 offset:976
	s_waitcnt vmcnt(0)
	v_add_f64 v[2:3], v[2:3], -v[12:13]
	buffer_load_dword v13, off, s[0:3], 0 offset:988
	buffer_load_dword v12, off, s[0:3], 0 offset:984
	s_waitcnt vmcnt(0)
	v_add_f64 v[0:1], v[12:13], -v[0:1]
	buffer_store_dword v3, off, s[0:3], 0 offset:980
	buffer_store_dword v2, off, s[0:3], 0 offset:976
	;; [unrolled: 1-line block ×4, first 2 shown]
	ds_read2_b64 v[0:3], v16 offset0:124 offset1:125
	s_waitcnt lgkmcnt(0)
	v_mul_f64 v[12:13], v[2:3], v[10:11]
	v_fma_f64 v[12:13], v[0:1], v[4:5], -v[12:13]
	v_mul_f64 v[0:1], v[0:1], v[10:11]
	v_fma_f64 v[0:1], v[2:3], v[4:5], v[0:1]
	buffer_load_dword v2, off, s[0:3], 0 offset:992
	buffer_load_dword v3, off, s[0:3], 0 offset:996
	;; [unrolled: 1-line block ×4, first 2 shown]
	s_waitcnt vmcnt(2)
	v_add_f64 v[2:3], v[2:3], -v[12:13]
	s_waitcnt vmcnt(0)
	v_add_f64 v[0:1], v[4:5], -v[0:1]
	buffer_store_dword v3, off, s[0:3], 0 offset:996
	buffer_store_dword v2, off, s[0:3], 0 offset:992
	;; [unrolled: 1-line block ×4, first 2 shown]
.LBB124_1269:
	s_or_b64 exec, exec, s[4:5]
	v_mov_b32_e32 v3, s31
	s_waitcnt vmcnt(0)
	s_barrier
	buffer_load_dword v0, v3, s[0:3], 0 offen
	buffer_load_dword v1, v3, s[0:3], 0 offen offset:4
	buffer_load_dword v2, v3, s[0:3], 0 offen offset:8
	s_nop 0
	buffer_load_dword v3, v3, s[0:3], 0 offen offset:12
	v_lshl_add_u32 v4, v19, 4, v16
	s_cmp_lt_i32 s65, 57
	s_waitcnt vmcnt(0)
	ds_write2_b64 v4, v[0:1], v[2:3] offset1:1
	s_waitcnt lgkmcnt(0)
	s_barrier
	ds_read2_b64 v[0:3], v16 offset0:110 offset1:111
	v_mov_b32_e32 v4, 55
	s_cbranch_scc1 .LBB124_1272
; %bb.1270:
	v_add_u32_e32 v5, 0x380, v16
	s_mov_b32 s16, 56
	v_mov_b32_e32 v4, 55
.LBB124_1271:                           ; =>This Inner Loop Header: Depth=1
	s_waitcnt lgkmcnt(0)
	v_cmp_gt_f64_e32 vcc, 0, v[2:3]
	v_cmp_gt_f64_e64 s[4:5], 0, v[0:1]
	ds_read2_b64 v[10:13], v5 offset1:1
	v_xor_b32_e32 v21, 0x80000000, v1
	v_xor_b32_e32 v23, 0x80000000, v3
	v_mov_b32_e32 v20, v0
	v_mov_b32_e32 v22, v2
	s_waitcnt lgkmcnt(0)
	v_xor_b32_e32 v25, 0x80000000, v13
	v_cndmask_b32_e32 v23, v3, v23, vcc
	v_cndmask_b32_e64 v21, v1, v21, s[4:5]
	v_cmp_gt_f64_e32 vcc, 0, v[12:13]
	v_cmp_gt_f64_e64 s[4:5], 0, v[10:11]
	v_add_f64 v[20:21], v[20:21], v[22:23]
	v_xor_b32_e32 v23, 0x80000000, v11
	v_mov_b32_e32 v22, v10
	v_mov_b32_e32 v24, v12
	v_add_u32_e32 v5, 16, v5
	v_cndmask_b32_e32 v25, v13, v25, vcc
	v_cndmask_b32_e64 v23, v11, v23, s[4:5]
	v_add_f64 v[22:23], v[22:23], v[24:25]
	v_mov_b32_e32 v24, s16
	s_add_i32 s16, s16, 1
	s_cmp_lg_u32 s65, s16
	v_cmp_lt_f64_e32 vcc, v[20:21], v[22:23]
	v_cndmask_b32_e32 v1, v1, v11, vcc
	v_cndmask_b32_e32 v0, v0, v10, vcc
	;; [unrolled: 1-line block ×5, first 2 shown]
	s_cbranch_scc1 .LBB124_1271
.LBB124_1272:
	s_waitcnt lgkmcnt(0)
	v_cmp_eq_f64_e32 vcc, 0, v[0:1]
	v_cmp_eq_f64_e64 s[4:5], 0, v[2:3]
	s_and_b64 s[4:5], vcc, s[4:5]
	s_and_saveexec_b64 s[16:17], s[4:5]
	s_xor_b64 s[4:5], exec, s[16:17]
; %bb.1273:
	v_cmp_ne_u32_e32 vcc, 0, v17
	v_cndmask_b32_e32 v17, 56, v17, vcc
; %bb.1274:
	s_andn2_saveexec_b64 s[4:5], s[4:5]
	s_cbranch_execz .LBB124_1280
; %bb.1275:
	v_cmp_ngt_f64_e64 s[16:17], |v[0:1]|, |v[2:3]|
	s_and_saveexec_b64 s[18:19], s[16:17]
	s_xor_b64 s[18:19], exec, s[18:19]
	s_cbranch_execz .LBB124_1277
; %bb.1276:
	v_div_scale_f64 v[10:11], s[16:17], v[2:3], v[2:3], v[0:1]
	v_rcp_f64_e32 v[12:13], v[10:11]
	v_fma_f64 v[20:21], -v[10:11], v[12:13], 1.0
	v_fma_f64 v[12:13], v[12:13], v[20:21], v[12:13]
	v_div_scale_f64 v[20:21], vcc, v[0:1], v[2:3], v[0:1]
	v_fma_f64 v[22:23], -v[10:11], v[12:13], 1.0
	v_fma_f64 v[12:13], v[12:13], v[22:23], v[12:13]
	v_mul_f64 v[22:23], v[20:21], v[12:13]
	v_fma_f64 v[10:11], -v[10:11], v[22:23], v[20:21]
	v_div_fmas_f64 v[10:11], v[10:11], v[12:13], v[22:23]
	v_div_fixup_f64 v[10:11], v[10:11], v[2:3], v[0:1]
	v_fma_f64 v[0:1], v[0:1], v[10:11], v[2:3]
	v_div_scale_f64 v[2:3], s[16:17], v[0:1], v[0:1], 1.0
	v_div_scale_f64 v[22:23], vcc, 1.0, v[0:1], 1.0
	v_rcp_f64_e32 v[12:13], v[2:3]
	v_fma_f64 v[20:21], -v[2:3], v[12:13], 1.0
	v_fma_f64 v[12:13], v[12:13], v[20:21], v[12:13]
	v_fma_f64 v[20:21], -v[2:3], v[12:13], 1.0
	v_fma_f64 v[12:13], v[12:13], v[20:21], v[12:13]
	v_mul_f64 v[20:21], v[22:23], v[12:13]
	v_fma_f64 v[2:3], -v[2:3], v[20:21], v[22:23]
	v_div_fmas_f64 v[2:3], v[2:3], v[12:13], v[20:21]
	v_div_fixup_f64 v[2:3], v[2:3], v[0:1], 1.0
	v_mul_f64 v[0:1], v[10:11], v[2:3]
	v_xor_b32_e32 v3, 0x80000000, v3
.LBB124_1277:
	s_andn2_saveexec_b64 s[18:19], s[18:19]
	s_cbranch_execz .LBB124_1279
; %bb.1278:
	v_div_scale_f64 v[10:11], s[16:17], v[0:1], v[0:1], v[2:3]
	v_rcp_f64_e32 v[12:13], v[10:11]
	v_fma_f64 v[20:21], -v[10:11], v[12:13], 1.0
	v_fma_f64 v[12:13], v[12:13], v[20:21], v[12:13]
	v_div_scale_f64 v[20:21], vcc, v[2:3], v[0:1], v[2:3]
	v_fma_f64 v[22:23], -v[10:11], v[12:13], 1.0
	v_fma_f64 v[12:13], v[12:13], v[22:23], v[12:13]
	v_mul_f64 v[22:23], v[20:21], v[12:13]
	v_fma_f64 v[10:11], -v[10:11], v[22:23], v[20:21]
	v_div_fmas_f64 v[10:11], v[10:11], v[12:13], v[22:23]
	v_div_fixup_f64 v[10:11], v[10:11], v[0:1], v[2:3]
	v_fma_f64 v[0:1], v[2:3], v[10:11], v[0:1]
	v_div_scale_f64 v[2:3], s[16:17], v[0:1], v[0:1], 1.0
	v_div_scale_f64 v[22:23], vcc, 1.0, v[0:1], 1.0
	v_rcp_f64_e32 v[12:13], v[2:3]
	v_fma_f64 v[20:21], -v[2:3], v[12:13], 1.0
	v_fma_f64 v[12:13], v[12:13], v[20:21], v[12:13]
	v_fma_f64 v[20:21], -v[2:3], v[12:13], 1.0
	v_fma_f64 v[12:13], v[12:13], v[20:21], v[12:13]
	v_mul_f64 v[20:21], v[22:23], v[12:13]
	v_fma_f64 v[2:3], -v[2:3], v[20:21], v[22:23]
	v_div_fmas_f64 v[2:3], v[2:3], v[12:13], v[20:21]
	v_div_fixup_f64 v[0:1], v[2:3], v[0:1], 1.0
	v_mul_f64 v[2:3], v[10:11], -v[0:1]
.LBB124_1279:
	s_or_b64 exec, exec, s[18:19]
.LBB124_1280:
	s_or_b64 exec, exec, s[4:5]
	v_cmp_ne_u32_e32 vcc, v19, v4
	s_and_saveexec_b64 s[4:5], vcc
	s_xor_b64 s[4:5], exec, s[4:5]
	s_cbranch_execz .LBB124_1286
; %bb.1281:
	v_cmp_eq_u32_e32 vcc, 55, v19
	s_and_saveexec_b64 s[18:19], vcc
	s_cbranch_execz .LBB124_1285
; %bb.1282:
	v_cmp_ne_u32_e32 vcc, 55, v4
	s_xor_b64 s[16:17], s[10:11], -1
	s_and_b64 s[16:17], s[16:17], vcc
	s_and_saveexec_b64 s[24:25], s[16:17]
	s_cbranch_execz .LBB124_1284
; %bb.1283:
	v_ashrrev_i32_e32 v5, 31, v4
	v_lshlrev_b64 v[10:11], 2, v[4:5]
	v_add_co_u32_e32 v10, vcc, v8, v10
	v_addc_co_u32_e32 v11, vcc, v9, v11, vcc
	global_load_dword v5, v[10:11], off
	global_load_dword v12, v[8:9], off offset:220
	s_waitcnt vmcnt(1)
	global_store_dword v[8:9], v5, off offset:220
	s_waitcnt vmcnt(1)
	global_store_dword v[10:11], v12, off
.LBB124_1284:
	s_or_b64 exec, exec, s[24:25]
	v_mov_b32_e32 v19, v4
	v_mov_b32_e32 v18, v4
.LBB124_1285:
	s_or_b64 exec, exec, s[18:19]
.LBB124_1286:
	s_andn2_saveexec_b64 s[4:5], s[4:5]
	s_cbranch_execz .LBB124_1288
; %bb.1287:
	v_mov_b32_e32 v11, s30
	v_mov_b32_e32 v20, s29
	v_mov_b32_e32 v24, s28
	v_mov_b32_e32 v28, s27
	v_mov_b32_e32 v32, s26
	v_mov_b32_e32 v36, s20
	v_mov_b32_e32 v40, s7
	buffer_load_dword v4, v11, s[0:3], 0 offen
	buffer_load_dword v5, v11, s[0:3], 0 offen offset:4
	buffer_load_dword v10, v11, s[0:3], 0 offen offset:8
	s_nop 0
	buffer_load_dword v11, v11, s[0:3], 0 offen offset:12
	s_nop 0
	buffer_load_dword v12, v20, s[0:3], 0 offen
	buffer_load_dword v13, v20, s[0:3], 0 offen offset:4
	buffer_load_dword v19, v20, s[0:3], 0 offen offset:8
	s_nop 0
	buffer_load_dword v20, v20, s[0:3], 0 offen offset:12
	s_nop 0
	;; [unrolled: 6-line block ×6, first 2 shown]
	buffer_load_dword v37, v40, s[0:3], 0 offen
	buffer_load_dword v38, v40, s[0:3], 0 offen offset:4
	buffer_load_dword v39, v40, s[0:3], 0 offen offset:8
	s_nop 0
	buffer_load_dword v40, v40, s[0:3], 0 offen offset:12
	s_waitcnt vmcnt(24)
	ds_write2_b64 v16, v[4:5], v[10:11] offset0:112 offset1:113
	s_waitcnt vmcnt(20)
	ds_write2_b64 v16, v[12:13], v[19:20] offset0:114 offset1:115
	;; [unrolled: 2-line block ×7, first 2 shown]
	v_mov_b32_e32 v19, 55
.LBB124_1288:
	s_or_b64 exec, exec, s[4:5]
	v_cmp_lt_i32_e32 vcc, 55, v19
	s_waitcnt vmcnt(0) lgkmcnt(0)
	s_barrier
	s_and_saveexec_b64 s[4:5], vcc
	s_cbranch_execz .LBB124_1290
; %bb.1289:
	buffer_load_dword v10, off, s[0:3], 0 offset:880
	buffer_load_dword v11, off, s[0:3], 0 offset:884
	;; [unrolled: 1-line block ×16, first 2 shown]
	s_waitcnt vmcnt(12)
	v_mul_f64 v[4:5], v[2:3], v[12:13]
	v_fma_f64 v[4:5], v[0:1], v[10:11], -v[4:5]
	v_mul_f64 v[0:1], v[0:1], v[12:13]
	v_fma_f64 v[0:1], v[2:3], v[10:11], v[0:1]
	buffer_store_dword v4, off, s[0:3], 0 offset:880
	buffer_store_dword v5, off, s[0:3], 0 offset:884
	buffer_store_dword v0, off, s[0:3], 0 offset:888
	buffer_store_dword v1, off, s[0:3], 0 offset:892
	ds_read2_b64 v[10:13], v16 offset0:112 offset1:113
	s_waitcnt lgkmcnt(0)
	v_mul_f64 v[2:3], v[12:13], v[0:1]
	v_fma_f64 v[2:3], v[10:11], v[4:5], -v[2:3]
	v_mul_f64 v[10:11], v[10:11], v[0:1]
	s_waitcnt vmcnt(14)
	v_add_f64 v[2:3], v[20:21], -v[2:3]
	v_fma_f64 v[10:11], v[12:13], v[4:5], v[10:11]
	s_waitcnt vmcnt(12)
	v_add_f64 v[10:11], v[22:23], -v[10:11]
	buffer_store_dword v2, off, s[0:3], 0 offset:896
	buffer_store_dword v3, off, s[0:3], 0 offset:900
	buffer_store_dword v10, off, s[0:3], 0 offset:904
	buffer_store_dword v11, off, s[0:3], 0 offset:908
	ds_read2_b64 v[10:13], v16 offset0:114 offset1:115
	s_waitcnt lgkmcnt(0)
	v_mul_f64 v[2:3], v[12:13], v[0:1]
	v_fma_f64 v[2:3], v[10:11], v[4:5], -v[2:3]
	v_mul_f64 v[10:11], v[10:11], v[0:1]
	s_waitcnt vmcnt(14)
	v_add_f64 v[2:3], v[24:25], -v[2:3]
	v_fma_f64 v[10:11], v[12:13], v[4:5], v[10:11]
	s_waitcnt vmcnt(12)
	v_add_f64 v[10:11], v[26:27], -v[10:11]
	buffer_store_dword v2, off, s[0:3], 0 offset:912
	buffer_store_dword v3, off, s[0:3], 0 offset:916
	buffer_store_dword v10, off, s[0:3], 0 offset:920
	buffer_store_dword v11, off, s[0:3], 0 offset:924
	ds_read2_b64 v[10:13], v16 offset0:116 offset1:117
	s_waitcnt lgkmcnt(0)
	v_mul_f64 v[2:3], v[12:13], v[0:1]
	v_fma_f64 v[2:3], v[10:11], v[4:5], -v[2:3]
	v_mul_f64 v[10:11], v[10:11], v[0:1]
	s_waitcnt vmcnt(14)
	v_add_f64 v[2:3], v[28:29], -v[2:3]
	v_fma_f64 v[10:11], v[12:13], v[4:5], v[10:11]
	s_waitcnt vmcnt(12)
	v_add_f64 v[10:11], v[30:31], -v[10:11]
	buffer_store_dword v3, off, s[0:3], 0 offset:932
	buffer_store_dword v2, off, s[0:3], 0 offset:928
	;; [unrolled: 1-line block ×4, first 2 shown]
	ds_read2_b64 v[10:13], v16 offset0:118 offset1:119
	s_waitcnt lgkmcnt(0)
	v_mul_f64 v[2:3], v[12:13], v[0:1]
	v_fma_f64 v[2:3], v[10:11], v[4:5], -v[2:3]
	v_mul_f64 v[10:11], v[10:11], v[0:1]
	v_fma_f64 v[10:11], v[12:13], v[4:5], v[10:11]
	buffer_load_dword v12, off, s[0:3], 0 offset:944
	buffer_load_dword v13, off, s[0:3], 0 offset:948
	;; [unrolled: 1-line block ×4, first 2 shown]
	s_waitcnt vmcnt(2)
	v_add_f64 v[2:3], v[12:13], -v[2:3]
	s_waitcnt vmcnt(0)
	v_add_f64 v[10:11], v[20:21], -v[10:11]
	buffer_store_dword v3, off, s[0:3], 0 offset:948
	buffer_store_dword v2, off, s[0:3], 0 offset:944
	buffer_store_dword v11, off, s[0:3], 0 offset:956
	buffer_store_dword v10, off, s[0:3], 0 offset:952
	ds_read2_b64 v[10:13], v16 offset0:120 offset1:121
	s_waitcnt lgkmcnt(0)
	v_mul_f64 v[2:3], v[12:13], v[0:1]
	v_fma_f64 v[2:3], v[10:11], v[4:5], -v[2:3]
	v_mul_f64 v[10:11], v[10:11], v[0:1]
	v_fma_f64 v[10:11], v[12:13], v[4:5], v[10:11]
	buffer_load_dword v12, off, s[0:3], 0 offset:960
	buffer_load_dword v13, off, s[0:3], 0 offset:964
	;; [unrolled: 1-line block ×4, first 2 shown]
	s_waitcnt vmcnt(2)
	v_add_f64 v[2:3], v[12:13], -v[2:3]
	s_waitcnt vmcnt(0)
	v_add_f64 v[10:11], v[20:21], -v[10:11]
	buffer_store_dword v3, off, s[0:3], 0 offset:964
	buffer_store_dword v2, off, s[0:3], 0 offset:960
	;; [unrolled: 1-line block ×4, first 2 shown]
	ds_read2_b64 v[10:13], v16 offset0:122 offset1:123
	s_waitcnt lgkmcnt(0)
	v_mul_f64 v[2:3], v[12:13], v[0:1]
	v_mul_f64 v[0:1], v[10:11], v[0:1]
	v_fma_f64 v[2:3], v[10:11], v[4:5], -v[2:3]
	v_fma_f64 v[0:1], v[12:13], v[4:5], v[0:1]
	buffer_load_dword v4, off, s[0:3], 0 offset:976
	buffer_load_dword v5, off, s[0:3], 0 offset:980
	;; [unrolled: 1-line block ×4, first 2 shown]
	s_waitcnt vmcnt(2)
	v_add_f64 v[2:3], v[4:5], -v[2:3]
	s_waitcnt vmcnt(0)
	v_add_f64 v[0:1], v[10:11], -v[0:1]
	buffer_store_dword v3, off, s[0:3], 0 offset:980
	buffer_store_dword v2, off, s[0:3], 0 offset:976
	;; [unrolled: 1-line block ×4, first 2 shown]
	ds_read2_b64 v[0:3], v16 offset0:124 offset1:125
	buffer_load_dword v4, off, s[0:3], 0 offset:880
	buffer_load_dword v5, off, s[0:3], 0 offset:884
	;; [unrolled: 1-line block ×4, first 2 shown]
	s_waitcnt vmcnt(0) lgkmcnt(0)
	v_mul_f64 v[12:13], v[2:3], v[10:11]
	v_fma_f64 v[12:13], v[0:1], v[4:5], -v[12:13]
	v_mul_f64 v[0:1], v[0:1], v[10:11]
	v_fma_f64 v[0:1], v[2:3], v[4:5], v[0:1]
	buffer_load_dword v3, off, s[0:3], 0 offset:996
	buffer_load_dword v2, off, s[0:3], 0 offset:992
	;; [unrolled: 1-line block ×4, first 2 shown]
	s_waitcnt vmcnt(2)
	v_add_f64 v[2:3], v[2:3], -v[12:13]
	s_waitcnt vmcnt(0)
	v_add_f64 v[0:1], v[4:5], -v[0:1]
	buffer_store_dword v3, off, s[0:3], 0 offset:996
	buffer_store_dword v2, off, s[0:3], 0 offset:992
	;; [unrolled: 1-line block ×4, first 2 shown]
.LBB124_1290:
	s_or_b64 exec, exec, s[4:5]
	v_mov_b32_e32 v3, s30
	s_waitcnt vmcnt(0)
	s_barrier
	buffer_load_dword v0, v3, s[0:3], 0 offen
	buffer_load_dword v1, v3, s[0:3], 0 offen offset:4
	buffer_load_dword v2, v3, s[0:3], 0 offen offset:8
	s_nop 0
	buffer_load_dword v3, v3, s[0:3], 0 offen offset:12
	v_lshl_add_u32 v4, v19, 4, v16
	s_cmp_lt_i32 s65, 58
	s_waitcnt vmcnt(0)
	ds_write2_b64 v4, v[0:1], v[2:3] offset1:1
	s_waitcnt lgkmcnt(0)
	s_barrier
	ds_read2_b64 v[0:3], v16 offset0:112 offset1:113
	v_mov_b32_e32 v4, 56
	s_cbranch_scc1 .LBB124_1293
; %bb.1291:
	v_add_u32_e32 v5, 0x390, v16
	s_mov_b32 s16, 57
	v_mov_b32_e32 v4, 56
.LBB124_1292:                           ; =>This Inner Loop Header: Depth=1
	s_waitcnt lgkmcnt(0)
	v_cmp_gt_f64_e32 vcc, 0, v[2:3]
	v_cmp_gt_f64_e64 s[4:5], 0, v[0:1]
	ds_read2_b64 v[10:13], v5 offset1:1
	v_xor_b32_e32 v21, 0x80000000, v1
	v_xor_b32_e32 v23, 0x80000000, v3
	v_mov_b32_e32 v20, v0
	v_mov_b32_e32 v22, v2
	s_waitcnt lgkmcnt(0)
	v_xor_b32_e32 v25, 0x80000000, v13
	v_cndmask_b32_e32 v23, v3, v23, vcc
	v_cndmask_b32_e64 v21, v1, v21, s[4:5]
	v_cmp_gt_f64_e32 vcc, 0, v[12:13]
	v_cmp_gt_f64_e64 s[4:5], 0, v[10:11]
	v_add_f64 v[20:21], v[20:21], v[22:23]
	v_xor_b32_e32 v23, 0x80000000, v11
	v_mov_b32_e32 v22, v10
	v_mov_b32_e32 v24, v12
	v_add_u32_e32 v5, 16, v5
	v_cndmask_b32_e32 v25, v13, v25, vcc
	v_cndmask_b32_e64 v23, v11, v23, s[4:5]
	v_add_f64 v[22:23], v[22:23], v[24:25]
	v_mov_b32_e32 v24, s16
	s_add_i32 s16, s16, 1
	s_cmp_lg_u32 s65, s16
	v_cmp_lt_f64_e32 vcc, v[20:21], v[22:23]
	v_cndmask_b32_e32 v1, v1, v11, vcc
	v_cndmask_b32_e32 v0, v0, v10, vcc
	;; [unrolled: 1-line block ×5, first 2 shown]
	s_cbranch_scc1 .LBB124_1292
.LBB124_1293:
	s_waitcnt lgkmcnt(0)
	v_cmp_eq_f64_e32 vcc, 0, v[0:1]
	v_cmp_eq_f64_e64 s[4:5], 0, v[2:3]
	s_and_b64 s[4:5], vcc, s[4:5]
	s_and_saveexec_b64 s[16:17], s[4:5]
	s_xor_b64 s[4:5], exec, s[16:17]
; %bb.1294:
	v_cmp_ne_u32_e32 vcc, 0, v17
	v_cndmask_b32_e32 v17, 57, v17, vcc
; %bb.1295:
	s_andn2_saveexec_b64 s[4:5], s[4:5]
	s_cbranch_execz .LBB124_1301
; %bb.1296:
	v_cmp_ngt_f64_e64 s[16:17], |v[0:1]|, |v[2:3]|
	s_and_saveexec_b64 s[18:19], s[16:17]
	s_xor_b64 s[18:19], exec, s[18:19]
	s_cbranch_execz .LBB124_1298
; %bb.1297:
	v_div_scale_f64 v[10:11], s[16:17], v[2:3], v[2:3], v[0:1]
	v_rcp_f64_e32 v[12:13], v[10:11]
	v_fma_f64 v[20:21], -v[10:11], v[12:13], 1.0
	v_fma_f64 v[12:13], v[12:13], v[20:21], v[12:13]
	v_div_scale_f64 v[20:21], vcc, v[0:1], v[2:3], v[0:1]
	v_fma_f64 v[22:23], -v[10:11], v[12:13], 1.0
	v_fma_f64 v[12:13], v[12:13], v[22:23], v[12:13]
	v_mul_f64 v[22:23], v[20:21], v[12:13]
	v_fma_f64 v[10:11], -v[10:11], v[22:23], v[20:21]
	v_div_fmas_f64 v[10:11], v[10:11], v[12:13], v[22:23]
	v_div_fixup_f64 v[10:11], v[10:11], v[2:3], v[0:1]
	v_fma_f64 v[0:1], v[0:1], v[10:11], v[2:3]
	v_div_scale_f64 v[2:3], s[16:17], v[0:1], v[0:1], 1.0
	v_div_scale_f64 v[22:23], vcc, 1.0, v[0:1], 1.0
	v_rcp_f64_e32 v[12:13], v[2:3]
	v_fma_f64 v[20:21], -v[2:3], v[12:13], 1.0
	v_fma_f64 v[12:13], v[12:13], v[20:21], v[12:13]
	v_fma_f64 v[20:21], -v[2:3], v[12:13], 1.0
	v_fma_f64 v[12:13], v[12:13], v[20:21], v[12:13]
	v_mul_f64 v[20:21], v[22:23], v[12:13]
	v_fma_f64 v[2:3], -v[2:3], v[20:21], v[22:23]
	v_div_fmas_f64 v[2:3], v[2:3], v[12:13], v[20:21]
	v_div_fixup_f64 v[2:3], v[2:3], v[0:1], 1.0
	v_mul_f64 v[0:1], v[10:11], v[2:3]
	v_xor_b32_e32 v3, 0x80000000, v3
.LBB124_1298:
	s_andn2_saveexec_b64 s[18:19], s[18:19]
	s_cbranch_execz .LBB124_1300
; %bb.1299:
	v_div_scale_f64 v[10:11], s[16:17], v[0:1], v[0:1], v[2:3]
	v_rcp_f64_e32 v[12:13], v[10:11]
	v_fma_f64 v[20:21], -v[10:11], v[12:13], 1.0
	v_fma_f64 v[12:13], v[12:13], v[20:21], v[12:13]
	v_div_scale_f64 v[20:21], vcc, v[2:3], v[0:1], v[2:3]
	v_fma_f64 v[22:23], -v[10:11], v[12:13], 1.0
	v_fma_f64 v[12:13], v[12:13], v[22:23], v[12:13]
	v_mul_f64 v[22:23], v[20:21], v[12:13]
	v_fma_f64 v[10:11], -v[10:11], v[22:23], v[20:21]
	v_div_fmas_f64 v[10:11], v[10:11], v[12:13], v[22:23]
	v_div_fixup_f64 v[10:11], v[10:11], v[0:1], v[2:3]
	v_fma_f64 v[0:1], v[2:3], v[10:11], v[0:1]
	v_div_scale_f64 v[2:3], s[16:17], v[0:1], v[0:1], 1.0
	v_div_scale_f64 v[22:23], vcc, 1.0, v[0:1], 1.0
	v_rcp_f64_e32 v[12:13], v[2:3]
	v_fma_f64 v[20:21], -v[2:3], v[12:13], 1.0
	v_fma_f64 v[12:13], v[12:13], v[20:21], v[12:13]
	v_fma_f64 v[20:21], -v[2:3], v[12:13], 1.0
	v_fma_f64 v[12:13], v[12:13], v[20:21], v[12:13]
	v_mul_f64 v[20:21], v[22:23], v[12:13]
	v_fma_f64 v[2:3], -v[2:3], v[20:21], v[22:23]
	v_div_fmas_f64 v[2:3], v[2:3], v[12:13], v[20:21]
	v_div_fixup_f64 v[0:1], v[2:3], v[0:1], 1.0
	v_mul_f64 v[2:3], v[10:11], -v[0:1]
.LBB124_1300:
	s_or_b64 exec, exec, s[18:19]
.LBB124_1301:
	s_or_b64 exec, exec, s[4:5]
	v_cmp_ne_u32_e32 vcc, v19, v4
	s_and_saveexec_b64 s[4:5], vcc
	s_xor_b64 s[4:5], exec, s[4:5]
	s_cbranch_execz .LBB124_1307
; %bb.1302:
	v_cmp_eq_u32_e32 vcc, 56, v19
	s_and_saveexec_b64 s[18:19], vcc
	s_cbranch_execz .LBB124_1306
; %bb.1303:
	v_cmp_ne_u32_e32 vcc, 56, v4
	s_xor_b64 s[16:17], s[10:11], -1
	s_and_b64 s[16:17], s[16:17], vcc
	s_and_saveexec_b64 s[24:25], s[16:17]
	s_cbranch_execz .LBB124_1305
; %bb.1304:
	v_ashrrev_i32_e32 v5, 31, v4
	v_lshlrev_b64 v[10:11], 2, v[4:5]
	v_add_co_u32_e32 v10, vcc, v8, v10
	v_addc_co_u32_e32 v11, vcc, v9, v11, vcc
	global_load_dword v5, v[10:11], off
	global_load_dword v12, v[8:9], off offset:224
	s_waitcnt vmcnt(1)
	global_store_dword v[8:9], v5, off offset:224
	s_waitcnt vmcnt(1)
	global_store_dword v[10:11], v12, off
.LBB124_1305:
	s_or_b64 exec, exec, s[24:25]
	v_mov_b32_e32 v19, v4
	v_mov_b32_e32 v18, v4
.LBB124_1306:
	s_or_b64 exec, exec, s[18:19]
.LBB124_1307:
	s_andn2_saveexec_b64 s[4:5], s[4:5]
	s_cbranch_execz .LBB124_1309
; %bb.1308:
	v_mov_b32_e32 v11, s29
	v_mov_b32_e32 v20, s28
	;; [unrolled: 1-line block ×6, first 2 shown]
	buffer_load_dword v4, v11, s[0:3], 0 offen
	buffer_load_dword v5, v11, s[0:3], 0 offen offset:4
	buffer_load_dword v10, v11, s[0:3], 0 offen offset:8
	s_nop 0
	buffer_load_dword v11, v11, s[0:3], 0 offen offset:12
	s_nop 0
	buffer_load_dword v12, v20, s[0:3], 0 offen
	buffer_load_dword v13, v20, s[0:3], 0 offen offset:4
	buffer_load_dword v19, v20, s[0:3], 0 offen offset:8
	s_nop 0
	buffer_load_dword v20, v20, s[0:3], 0 offen offset:12
	s_nop 0
	;; [unrolled: 6-line block ×5, first 2 shown]
	buffer_load_dword v33, v36, s[0:3], 0 offen
	buffer_load_dword v34, v36, s[0:3], 0 offen offset:4
	buffer_load_dword v35, v36, s[0:3], 0 offen offset:8
	s_nop 0
	buffer_load_dword v36, v36, s[0:3], 0 offen offset:12
	s_waitcnt vmcnt(20)
	ds_write2_b64 v16, v[4:5], v[10:11] offset0:114 offset1:115
	s_waitcnt vmcnt(16)
	ds_write2_b64 v16, v[12:13], v[19:20] offset0:116 offset1:117
	;; [unrolled: 2-line block ×6, first 2 shown]
	v_mov_b32_e32 v19, 56
.LBB124_1309:
	s_or_b64 exec, exec, s[4:5]
	v_cmp_lt_i32_e32 vcc, 56, v19
	s_waitcnt vmcnt(0) lgkmcnt(0)
	s_barrier
	s_and_saveexec_b64 s[4:5], vcc
	s_cbranch_execz .LBB124_1311
; %bb.1310:
	buffer_load_dword v4, off, s[0:3], 0 offset:896
	buffer_load_dword v5, off, s[0:3], 0 offset:900
	buffer_load_dword v10, off, s[0:3], 0 offset:904
	buffer_load_dword v11, off, s[0:3], 0 offset:908
	buffer_load_dword v12, off, s[0:3], 0 offset:912
	buffer_load_dword v13, off, s[0:3], 0 offset:916
	buffer_load_dword v20, off, s[0:3], 0 offset:920
	buffer_load_dword v21, off, s[0:3], 0 offset:924
	buffer_load_dword v22, off, s[0:3], 0 offset:928
	buffer_load_dword v23, off, s[0:3], 0 offset:932
	buffer_load_dword v24, off, s[0:3], 0 offset:936
	buffer_load_dword v25, off, s[0:3], 0 offset:940
	buffer_load_dword v26, off, s[0:3], 0 offset:944
	buffer_load_dword v27, off, s[0:3], 0 offset:948
	buffer_load_dword v28, off, s[0:3], 0 offset:952
	buffer_load_dword v29, off, s[0:3], 0 offset:956
	s_waitcnt vmcnt(12)
	v_mul_f64 v[30:31], v[2:3], v[10:11]
	v_fma_f64 v[30:31], v[0:1], v[4:5], -v[30:31]
	v_mul_f64 v[0:1], v[0:1], v[10:11]
	v_fma_f64 v[4:5], v[2:3], v[4:5], v[0:1]
	buffer_store_dword v30, off, s[0:3], 0 offset:896
	buffer_store_dword v31, off, s[0:3], 0 offset:900
	buffer_store_dword v4, off, s[0:3], 0 offset:904
	buffer_store_dword v5, off, s[0:3], 0 offset:908
	ds_read2_b64 v[0:3], v16 offset0:114 offset1:115
	s_waitcnt lgkmcnt(0)
	v_mul_f64 v[10:11], v[2:3], v[4:5]
	v_fma_f64 v[10:11], v[0:1], v[30:31], -v[10:11]
	v_mul_f64 v[0:1], v[0:1], v[4:5]
	v_fma_f64 v[0:1], v[2:3], v[30:31], v[0:1]
	s_waitcnt vmcnt(14)
	v_add_f64 v[2:3], v[12:13], -v[10:11]
	s_waitcnt vmcnt(12)
	v_add_f64 v[0:1], v[20:21], -v[0:1]
	buffer_store_dword v2, off, s[0:3], 0 offset:912
	buffer_store_dword v3, off, s[0:3], 0 offset:916
	buffer_store_dword v0, off, s[0:3], 0 offset:920
	buffer_store_dword v1, off, s[0:3], 0 offset:924
	ds_read2_b64 v[0:3], v16 offset0:116 offset1:117
	s_waitcnt lgkmcnt(0)
	v_mul_f64 v[10:11], v[2:3], v[4:5]
	v_fma_f64 v[10:11], v[0:1], v[30:31], -v[10:11]
	v_mul_f64 v[0:1], v[0:1], v[4:5]
	v_fma_f64 v[0:1], v[2:3], v[30:31], v[0:1]
	s_waitcnt vmcnt(14)
	v_add_f64 v[2:3], v[22:23], -v[10:11]
	s_waitcnt vmcnt(12)
	v_add_f64 v[0:1], v[24:25], -v[0:1]
	;; [unrolled: 14-line block ×3, first 2 shown]
	buffer_store_dword v3, off, s[0:3], 0 offset:948
	buffer_store_dword v2, off, s[0:3], 0 offset:944
	buffer_store_dword v0, off, s[0:3], 0 offset:952
	buffer_store_dword v1, off, s[0:3], 0 offset:956
	ds_read2_b64 v[0:3], v16 offset0:120 offset1:121
	s_waitcnt lgkmcnt(0)
	v_mul_f64 v[10:11], v[2:3], v[4:5]
	v_fma_f64 v[10:11], v[0:1], v[30:31], -v[10:11]
	v_mul_f64 v[0:1], v[0:1], v[4:5]
	v_fma_f64 v[0:1], v[2:3], v[30:31], v[0:1]
	buffer_load_dword v2, off, s[0:3], 0 offset:960
	buffer_load_dword v3, off, s[0:3], 0 offset:964
	buffer_load_dword v12, off, s[0:3], 0 offset:968
	buffer_load_dword v13, off, s[0:3], 0 offset:972
	s_waitcnt vmcnt(2)
	v_add_f64 v[2:3], v[2:3], -v[10:11]
	s_waitcnt vmcnt(0)
	v_add_f64 v[0:1], v[12:13], -v[0:1]
	buffer_store_dword v3, off, s[0:3], 0 offset:964
	buffer_store_dword v2, off, s[0:3], 0 offset:960
	buffer_store_dword v1, off, s[0:3], 0 offset:972
	buffer_store_dword v0, off, s[0:3], 0 offset:968
	ds_read2_b64 v[0:3], v16 offset0:122 offset1:123
	s_waitcnt lgkmcnt(0)
	v_mul_f64 v[10:11], v[2:3], v[4:5]
	v_fma_f64 v[10:11], v[0:1], v[30:31], -v[10:11]
	v_mul_f64 v[0:1], v[0:1], v[4:5]
	v_fma_f64 v[0:1], v[2:3], v[30:31], v[0:1]
	buffer_load_dword v2, off, s[0:3], 0 offset:976
	buffer_load_dword v3, off, s[0:3], 0 offset:980
	buffer_load_dword v12, off, s[0:3], 0 offset:984
	buffer_load_dword v13, off, s[0:3], 0 offset:988
	s_waitcnt vmcnt(2)
	v_add_f64 v[2:3], v[2:3], -v[10:11]
	s_waitcnt vmcnt(0)
	v_add_f64 v[0:1], v[12:13], -v[0:1]
	;; [unrolled: 18-line block ×3, first 2 shown]
	buffer_store_dword v3, off, s[0:3], 0 offset:996
	buffer_store_dword v2, off, s[0:3], 0 offset:992
	;; [unrolled: 1-line block ×4, first 2 shown]
.LBB124_1311:
	s_or_b64 exec, exec, s[4:5]
	v_mov_b32_e32 v3, s29
	s_waitcnt vmcnt(0)
	s_barrier
	buffer_load_dword v0, v3, s[0:3], 0 offen
	buffer_load_dword v1, v3, s[0:3], 0 offen offset:4
	buffer_load_dword v2, v3, s[0:3], 0 offen offset:8
	s_nop 0
	buffer_load_dword v3, v3, s[0:3], 0 offen offset:12
	v_lshl_add_u32 v4, v19, 4, v16
	s_cmp_lt_i32 s65, 59
	s_waitcnt vmcnt(0)
	ds_write2_b64 v4, v[0:1], v[2:3] offset1:1
	s_waitcnt lgkmcnt(0)
	s_barrier
	ds_read2_b64 v[0:3], v16 offset0:114 offset1:115
	v_mov_b32_e32 v4, 57
	s_cbranch_scc1 .LBB124_1314
; %bb.1312:
	v_add_u32_e32 v5, 0x3a0, v16
	s_mov_b32 s16, 58
	v_mov_b32_e32 v4, 57
.LBB124_1313:                           ; =>This Inner Loop Header: Depth=1
	s_waitcnt lgkmcnt(0)
	v_cmp_gt_f64_e32 vcc, 0, v[2:3]
	v_cmp_gt_f64_e64 s[4:5], 0, v[0:1]
	ds_read2_b64 v[10:13], v5 offset1:1
	v_xor_b32_e32 v21, 0x80000000, v1
	v_xor_b32_e32 v23, 0x80000000, v3
	v_mov_b32_e32 v20, v0
	v_mov_b32_e32 v22, v2
	s_waitcnt lgkmcnt(0)
	v_xor_b32_e32 v25, 0x80000000, v13
	v_cndmask_b32_e32 v23, v3, v23, vcc
	v_cndmask_b32_e64 v21, v1, v21, s[4:5]
	v_cmp_gt_f64_e32 vcc, 0, v[12:13]
	v_cmp_gt_f64_e64 s[4:5], 0, v[10:11]
	v_add_f64 v[20:21], v[20:21], v[22:23]
	v_xor_b32_e32 v23, 0x80000000, v11
	v_mov_b32_e32 v22, v10
	v_mov_b32_e32 v24, v12
	v_add_u32_e32 v5, 16, v5
	v_cndmask_b32_e32 v25, v13, v25, vcc
	v_cndmask_b32_e64 v23, v11, v23, s[4:5]
	v_add_f64 v[22:23], v[22:23], v[24:25]
	v_mov_b32_e32 v24, s16
	s_add_i32 s16, s16, 1
	s_cmp_lg_u32 s65, s16
	v_cmp_lt_f64_e32 vcc, v[20:21], v[22:23]
	v_cndmask_b32_e32 v1, v1, v11, vcc
	v_cndmask_b32_e32 v0, v0, v10, vcc
	;; [unrolled: 1-line block ×5, first 2 shown]
	s_cbranch_scc1 .LBB124_1313
.LBB124_1314:
	s_waitcnt lgkmcnt(0)
	v_cmp_eq_f64_e32 vcc, 0, v[0:1]
	v_cmp_eq_f64_e64 s[4:5], 0, v[2:3]
	s_and_b64 s[4:5], vcc, s[4:5]
	s_and_saveexec_b64 s[16:17], s[4:5]
	s_xor_b64 s[4:5], exec, s[16:17]
; %bb.1315:
	v_cmp_ne_u32_e32 vcc, 0, v17
	v_cndmask_b32_e32 v17, 58, v17, vcc
; %bb.1316:
	s_andn2_saveexec_b64 s[4:5], s[4:5]
	s_cbranch_execz .LBB124_1322
; %bb.1317:
	v_cmp_ngt_f64_e64 s[16:17], |v[0:1]|, |v[2:3]|
	s_and_saveexec_b64 s[18:19], s[16:17]
	s_xor_b64 s[18:19], exec, s[18:19]
	s_cbranch_execz .LBB124_1319
; %bb.1318:
	v_div_scale_f64 v[10:11], s[16:17], v[2:3], v[2:3], v[0:1]
	v_rcp_f64_e32 v[12:13], v[10:11]
	v_fma_f64 v[20:21], -v[10:11], v[12:13], 1.0
	v_fma_f64 v[12:13], v[12:13], v[20:21], v[12:13]
	v_div_scale_f64 v[20:21], vcc, v[0:1], v[2:3], v[0:1]
	v_fma_f64 v[22:23], -v[10:11], v[12:13], 1.0
	v_fma_f64 v[12:13], v[12:13], v[22:23], v[12:13]
	v_mul_f64 v[22:23], v[20:21], v[12:13]
	v_fma_f64 v[10:11], -v[10:11], v[22:23], v[20:21]
	v_div_fmas_f64 v[10:11], v[10:11], v[12:13], v[22:23]
	v_div_fixup_f64 v[10:11], v[10:11], v[2:3], v[0:1]
	v_fma_f64 v[0:1], v[0:1], v[10:11], v[2:3]
	v_div_scale_f64 v[2:3], s[16:17], v[0:1], v[0:1], 1.0
	v_div_scale_f64 v[22:23], vcc, 1.0, v[0:1], 1.0
	v_rcp_f64_e32 v[12:13], v[2:3]
	v_fma_f64 v[20:21], -v[2:3], v[12:13], 1.0
	v_fma_f64 v[12:13], v[12:13], v[20:21], v[12:13]
	v_fma_f64 v[20:21], -v[2:3], v[12:13], 1.0
	v_fma_f64 v[12:13], v[12:13], v[20:21], v[12:13]
	v_mul_f64 v[20:21], v[22:23], v[12:13]
	v_fma_f64 v[2:3], -v[2:3], v[20:21], v[22:23]
	v_div_fmas_f64 v[2:3], v[2:3], v[12:13], v[20:21]
	v_div_fixup_f64 v[2:3], v[2:3], v[0:1], 1.0
	v_mul_f64 v[0:1], v[10:11], v[2:3]
	v_xor_b32_e32 v3, 0x80000000, v3
.LBB124_1319:
	s_andn2_saveexec_b64 s[18:19], s[18:19]
	s_cbranch_execz .LBB124_1321
; %bb.1320:
	v_div_scale_f64 v[10:11], s[16:17], v[0:1], v[0:1], v[2:3]
	v_rcp_f64_e32 v[12:13], v[10:11]
	v_fma_f64 v[20:21], -v[10:11], v[12:13], 1.0
	v_fma_f64 v[12:13], v[12:13], v[20:21], v[12:13]
	v_div_scale_f64 v[20:21], vcc, v[2:3], v[0:1], v[2:3]
	v_fma_f64 v[22:23], -v[10:11], v[12:13], 1.0
	v_fma_f64 v[12:13], v[12:13], v[22:23], v[12:13]
	v_mul_f64 v[22:23], v[20:21], v[12:13]
	v_fma_f64 v[10:11], -v[10:11], v[22:23], v[20:21]
	v_div_fmas_f64 v[10:11], v[10:11], v[12:13], v[22:23]
	v_div_fixup_f64 v[10:11], v[10:11], v[0:1], v[2:3]
	v_fma_f64 v[0:1], v[2:3], v[10:11], v[0:1]
	v_div_scale_f64 v[2:3], s[16:17], v[0:1], v[0:1], 1.0
	v_div_scale_f64 v[22:23], vcc, 1.0, v[0:1], 1.0
	v_rcp_f64_e32 v[12:13], v[2:3]
	v_fma_f64 v[20:21], -v[2:3], v[12:13], 1.0
	v_fma_f64 v[12:13], v[12:13], v[20:21], v[12:13]
	v_fma_f64 v[20:21], -v[2:3], v[12:13], 1.0
	v_fma_f64 v[12:13], v[12:13], v[20:21], v[12:13]
	v_mul_f64 v[20:21], v[22:23], v[12:13]
	v_fma_f64 v[2:3], -v[2:3], v[20:21], v[22:23]
	v_div_fmas_f64 v[2:3], v[2:3], v[12:13], v[20:21]
	v_div_fixup_f64 v[0:1], v[2:3], v[0:1], 1.0
	v_mul_f64 v[2:3], v[10:11], -v[0:1]
.LBB124_1321:
	s_or_b64 exec, exec, s[18:19]
.LBB124_1322:
	s_or_b64 exec, exec, s[4:5]
	v_cmp_ne_u32_e32 vcc, v19, v4
	s_and_saveexec_b64 s[4:5], vcc
	s_xor_b64 s[4:5], exec, s[4:5]
	s_cbranch_execz .LBB124_1328
; %bb.1323:
	v_cmp_eq_u32_e32 vcc, 57, v19
	s_and_saveexec_b64 s[18:19], vcc
	s_cbranch_execz .LBB124_1327
; %bb.1324:
	v_cmp_ne_u32_e32 vcc, 57, v4
	s_xor_b64 s[16:17], s[10:11], -1
	s_and_b64 s[16:17], s[16:17], vcc
	s_and_saveexec_b64 s[24:25], s[16:17]
	s_cbranch_execz .LBB124_1326
; %bb.1325:
	v_ashrrev_i32_e32 v5, 31, v4
	v_lshlrev_b64 v[10:11], 2, v[4:5]
	v_add_co_u32_e32 v10, vcc, v8, v10
	v_addc_co_u32_e32 v11, vcc, v9, v11, vcc
	global_load_dword v5, v[10:11], off
	global_load_dword v12, v[8:9], off offset:228
	s_waitcnt vmcnt(1)
	global_store_dword v[8:9], v5, off offset:228
	s_waitcnt vmcnt(1)
	global_store_dword v[10:11], v12, off
.LBB124_1326:
	s_or_b64 exec, exec, s[24:25]
	v_mov_b32_e32 v19, v4
	v_mov_b32_e32 v18, v4
.LBB124_1327:
	s_or_b64 exec, exec, s[18:19]
.LBB124_1328:
	s_andn2_saveexec_b64 s[4:5], s[4:5]
	s_cbranch_execz .LBB124_1330
; %bb.1329:
	v_mov_b32_e32 v11, s28
	v_mov_b32_e32 v20, s27
	;; [unrolled: 1-line block ×5, first 2 shown]
	buffer_load_dword v4, v11, s[0:3], 0 offen
	buffer_load_dword v5, v11, s[0:3], 0 offen offset:4
	buffer_load_dword v10, v11, s[0:3], 0 offen offset:8
	s_nop 0
	buffer_load_dword v11, v11, s[0:3], 0 offen offset:12
	s_nop 0
	buffer_load_dword v12, v20, s[0:3], 0 offen
	buffer_load_dword v13, v20, s[0:3], 0 offen offset:4
	buffer_load_dword v19, v20, s[0:3], 0 offen offset:8
	s_nop 0
	buffer_load_dword v20, v20, s[0:3], 0 offen offset:12
	s_nop 0
	;; [unrolled: 6-line block ×4, first 2 shown]
	buffer_load_dword v29, v32, s[0:3], 0 offen
	buffer_load_dword v30, v32, s[0:3], 0 offen offset:4
	buffer_load_dword v31, v32, s[0:3], 0 offen offset:8
	s_nop 0
	buffer_load_dword v32, v32, s[0:3], 0 offen offset:12
	s_waitcnt vmcnt(16)
	ds_write2_b64 v16, v[4:5], v[10:11] offset0:116 offset1:117
	s_waitcnt vmcnt(12)
	ds_write2_b64 v16, v[12:13], v[19:20] offset0:118 offset1:119
	;; [unrolled: 2-line block ×5, first 2 shown]
	v_mov_b32_e32 v19, 57
.LBB124_1330:
	s_or_b64 exec, exec, s[4:5]
	v_cmp_lt_i32_e32 vcc, 57, v19
	s_waitcnt vmcnt(0) lgkmcnt(0)
	s_barrier
	s_and_saveexec_b64 s[4:5], vcc
	s_cbranch_execz .LBB124_1332
; %bb.1331:
	buffer_load_dword v4, off, s[0:3], 0 offset:912
	buffer_load_dword v5, off, s[0:3], 0 offset:916
	;; [unrolled: 1-line block ×16, first 2 shown]
	s_waitcnt vmcnt(12)
	v_mul_f64 v[30:31], v[2:3], v[10:11]
	v_fma_f64 v[30:31], v[0:1], v[4:5], -v[30:31]
	v_mul_f64 v[0:1], v[0:1], v[10:11]
	v_fma_f64 v[4:5], v[2:3], v[4:5], v[0:1]
	buffer_store_dword v30, off, s[0:3], 0 offset:912
	buffer_store_dword v31, off, s[0:3], 0 offset:916
	buffer_store_dword v4, off, s[0:3], 0 offset:920
	buffer_store_dword v5, off, s[0:3], 0 offset:924
	ds_read2_b64 v[0:3], v16 offset0:116 offset1:117
	s_waitcnt lgkmcnt(0)
	v_mul_f64 v[10:11], v[2:3], v[4:5]
	v_fma_f64 v[10:11], v[0:1], v[30:31], -v[10:11]
	v_mul_f64 v[0:1], v[0:1], v[4:5]
	v_fma_f64 v[0:1], v[2:3], v[30:31], v[0:1]
	s_waitcnt vmcnt(14)
	v_add_f64 v[2:3], v[12:13], -v[10:11]
	s_waitcnt vmcnt(12)
	v_add_f64 v[0:1], v[20:21], -v[0:1]
	buffer_store_dword v2, off, s[0:3], 0 offset:928
	buffer_store_dword v3, off, s[0:3], 0 offset:932
	buffer_store_dword v0, off, s[0:3], 0 offset:936
	buffer_store_dword v1, off, s[0:3], 0 offset:940
	ds_read2_b64 v[0:3], v16 offset0:118 offset1:119
	s_waitcnt lgkmcnt(0)
	v_mul_f64 v[10:11], v[2:3], v[4:5]
	v_fma_f64 v[10:11], v[0:1], v[30:31], -v[10:11]
	v_mul_f64 v[0:1], v[0:1], v[4:5]
	v_fma_f64 v[0:1], v[2:3], v[30:31], v[0:1]
	s_waitcnt vmcnt(14)
	v_add_f64 v[2:3], v[22:23], -v[10:11]
	s_waitcnt vmcnt(12)
	v_add_f64 v[0:1], v[24:25], -v[0:1]
	;; [unrolled: 14-line block ×3, first 2 shown]
	buffer_store_dword v3, off, s[0:3], 0 offset:964
	buffer_store_dword v2, off, s[0:3], 0 offset:960
	;; [unrolled: 1-line block ×4, first 2 shown]
	ds_read2_b64 v[0:3], v16 offset0:122 offset1:123
	s_waitcnt lgkmcnt(0)
	v_mul_f64 v[10:11], v[2:3], v[4:5]
	v_fma_f64 v[10:11], v[0:1], v[30:31], -v[10:11]
	v_mul_f64 v[0:1], v[0:1], v[4:5]
	v_fma_f64 v[0:1], v[2:3], v[30:31], v[0:1]
	buffer_load_dword v2, off, s[0:3], 0 offset:976
	buffer_load_dword v3, off, s[0:3], 0 offset:980
	;; [unrolled: 1-line block ×4, first 2 shown]
	s_waitcnt vmcnt(2)
	v_add_f64 v[2:3], v[2:3], -v[10:11]
	s_waitcnt vmcnt(0)
	v_add_f64 v[0:1], v[12:13], -v[0:1]
	buffer_store_dword v3, off, s[0:3], 0 offset:980
	buffer_store_dword v2, off, s[0:3], 0 offset:976
	;; [unrolled: 1-line block ×4, first 2 shown]
	ds_read2_b64 v[0:3], v16 offset0:124 offset1:125
	s_waitcnt lgkmcnt(0)
	v_mul_f64 v[10:11], v[2:3], v[4:5]
	v_fma_f64 v[10:11], v[0:1], v[30:31], -v[10:11]
	v_mul_f64 v[0:1], v[0:1], v[4:5]
	v_fma_f64 v[0:1], v[2:3], v[30:31], v[0:1]
	buffer_load_dword v2, off, s[0:3], 0 offset:992
	buffer_load_dword v3, off, s[0:3], 0 offset:996
	;; [unrolled: 1-line block ×4, first 2 shown]
	s_waitcnt vmcnt(2)
	v_add_f64 v[2:3], v[2:3], -v[10:11]
	s_waitcnt vmcnt(0)
	v_add_f64 v[0:1], v[4:5], -v[0:1]
	buffer_store_dword v3, off, s[0:3], 0 offset:996
	buffer_store_dword v2, off, s[0:3], 0 offset:992
	;; [unrolled: 1-line block ×4, first 2 shown]
.LBB124_1332:
	s_or_b64 exec, exec, s[4:5]
	v_mov_b32_e32 v3, s28
	s_waitcnt vmcnt(0)
	s_barrier
	buffer_load_dword v0, v3, s[0:3], 0 offen
	buffer_load_dword v1, v3, s[0:3], 0 offen offset:4
	buffer_load_dword v2, v3, s[0:3], 0 offen offset:8
	s_nop 0
	buffer_load_dword v3, v3, s[0:3], 0 offen offset:12
	v_lshl_add_u32 v4, v19, 4, v16
	s_cmp_lt_i32 s65, 60
	s_waitcnt vmcnt(0)
	ds_write2_b64 v4, v[0:1], v[2:3] offset1:1
	s_waitcnt lgkmcnt(0)
	s_barrier
	ds_read2_b64 v[0:3], v16 offset0:116 offset1:117
	v_mov_b32_e32 v4, 58
	s_cbranch_scc1 .LBB124_1335
; %bb.1333:
	v_add_u32_e32 v5, 0x3b0, v16
	s_mov_b32 s16, 59
	v_mov_b32_e32 v4, 58
.LBB124_1334:                           ; =>This Inner Loop Header: Depth=1
	s_waitcnt lgkmcnt(0)
	v_cmp_gt_f64_e32 vcc, 0, v[2:3]
	v_cmp_gt_f64_e64 s[4:5], 0, v[0:1]
	ds_read2_b64 v[10:13], v5 offset1:1
	v_xor_b32_e32 v21, 0x80000000, v1
	v_xor_b32_e32 v23, 0x80000000, v3
	v_mov_b32_e32 v20, v0
	v_mov_b32_e32 v22, v2
	s_waitcnt lgkmcnt(0)
	v_xor_b32_e32 v25, 0x80000000, v13
	v_cndmask_b32_e32 v23, v3, v23, vcc
	v_cndmask_b32_e64 v21, v1, v21, s[4:5]
	v_cmp_gt_f64_e32 vcc, 0, v[12:13]
	v_cmp_gt_f64_e64 s[4:5], 0, v[10:11]
	v_add_f64 v[20:21], v[20:21], v[22:23]
	v_xor_b32_e32 v23, 0x80000000, v11
	v_mov_b32_e32 v22, v10
	v_mov_b32_e32 v24, v12
	v_add_u32_e32 v5, 16, v5
	v_cndmask_b32_e32 v25, v13, v25, vcc
	v_cndmask_b32_e64 v23, v11, v23, s[4:5]
	v_add_f64 v[22:23], v[22:23], v[24:25]
	v_mov_b32_e32 v24, s16
	s_add_i32 s16, s16, 1
	s_cmp_lg_u32 s65, s16
	v_cmp_lt_f64_e32 vcc, v[20:21], v[22:23]
	v_cndmask_b32_e32 v1, v1, v11, vcc
	v_cndmask_b32_e32 v0, v0, v10, vcc
	;; [unrolled: 1-line block ×5, first 2 shown]
	s_cbranch_scc1 .LBB124_1334
.LBB124_1335:
	s_waitcnt lgkmcnt(0)
	v_cmp_eq_f64_e32 vcc, 0, v[0:1]
	v_cmp_eq_f64_e64 s[4:5], 0, v[2:3]
	s_and_b64 s[4:5], vcc, s[4:5]
	s_and_saveexec_b64 s[16:17], s[4:5]
	s_xor_b64 s[4:5], exec, s[16:17]
; %bb.1336:
	v_cmp_ne_u32_e32 vcc, 0, v17
	v_cndmask_b32_e32 v17, 59, v17, vcc
; %bb.1337:
	s_andn2_saveexec_b64 s[4:5], s[4:5]
	s_cbranch_execz .LBB124_1343
; %bb.1338:
	v_cmp_ngt_f64_e64 s[16:17], |v[0:1]|, |v[2:3]|
	s_and_saveexec_b64 s[18:19], s[16:17]
	s_xor_b64 s[18:19], exec, s[18:19]
	s_cbranch_execz .LBB124_1340
; %bb.1339:
	v_div_scale_f64 v[10:11], s[16:17], v[2:3], v[2:3], v[0:1]
	v_rcp_f64_e32 v[12:13], v[10:11]
	v_fma_f64 v[20:21], -v[10:11], v[12:13], 1.0
	v_fma_f64 v[12:13], v[12:13], v[20:21], v[12:13]
	v_div_scale_f64 v[20:21], vcc, v[0:1], v[2:3], v[0:1]
	v_fma_f64 v[22:23], -v[10:11], v[12:13], 1.0
	v_fma_f64 v[12:13], v[12:13], v[22:23], v[12:13]
	v_mul_f64 v[22:23], v[20:21], v[12:13]
	v_fma_f64 v[10:11], -v[10:11], v[22:23], v[20:21]
	v_div_fmas_f64 v[10:11], v[10:11], v[12:13], v[22:23]
	v_div_fixup_f64 v[10:11], v[10:11], v[2:3], v[0:1]
	v_fma_f64 v[0:1], v[0:1], v[10:11], v[2:3]
	v_div_scale_f64 v[2:3], s[16:17], v[0:1], v[0:1], 1.0
	v_div_scale_f64 v[22:23], vcc, 1.0, v[0:1], 1.0
	v_rcp_f64_e32 v[12:13], v[2:3]
	v_fma_f64 v[20:21], -v[2:3], v[12:13], 1.0
	v_fma_f64 v[12:13], v[12:13], v[20:21], v[12:13]
	v_fma_f64 v[20:21], -v[2:3], v[12:13], 1.0
	v_fma_f64 v[12:13], v[12:13], v[20:21], v[12:13]
	v_mul_f64 v[20:21], v[22:23], v[12:13]
	v_fma_f64 v[2:3], -v[2:3], v[20:21], v[22:23]
	v_div_fmas_f64 v[2:3], v[2:3], v[12:13], v[20:21]
	v_div_fixup_f64 v[2:3], v[2:3], v[0:1], 1.0
	v_mul_f64 v[0:1], v[10:11], v[2:3]
	v_xor_b32_e32 v3, 0x80000000, v3
.LBB124_1340:
	s_andn2_saveexec_b64 s[18:19], s[18:19]
	s_cbranch_execz .LBB124_1342
; %bb.1341:
	v_div_scale_f64 v[10:11], s[16:17], v[0:1], v[0:1], v[2:3]
	v_rcp_f64_e32 v[12:13], v[10:11]
	v_fma_f64 v[20:21], -v[10:11], v[12:13], 1.0
	v_fma_f64 v[12:13], v[12:13], v[20:21], v[12:13]
	v_div_scale_f64 v[20:21], vcc, v[2:3], v[0:1], v[2:3]
	v_fma_f64 v[22:23], -v[10:11], v[12:13], 1.0
	v_fma_f64 v[12:13], v[12:13], v[22:23], v[12:13]
	v_mul_f64 v[22:23], v[20:21], v[12:13]
	v_fma_f64 v[10:11], -v[10:11], v[22:23], v[20:21]
	v_div_fmas_f64 v[10:11], v[10:11], v[12:13], v[22:23]
	v_div_fixup_f64 v[10:11], v[10:11], v[0:1], v[2:3]
	v_fma_f64 v[0:1], v[2:3], v[10:11], v[0:1]
	v_div_scale_f64 v[2:3], s[16:17], v[0:1], v[0:1], 1.0
	v_div_scale_f64 v[22:23], vcc, 1.0, v[0:1], 1.0
	v_rcp_f64_e32 v[12:13], v[2:3]
	v_fma_f64 v[20:21], -v[2:3], v[12:13], 1.0
	v_fma_f64 v[12:13], v[12:13], v[20:21], v[12:13]
	v_fma_f64 v[20:21], -v[2:3], v[12:13], 1.0
	v_fma_f64 v[12:13], v[12:13], v[20:21], v[12:13]
	v_mul_f64 v[20:21], v[22:23], v[12:13]
	v_fma_f64 v[2:3], -v[2:3], v[20:21], v[22:23]
	v_div_fmas_f64 v[2:3], v[2:3], v[12:13], v[20:21]
	v_div_fixup_f64 v[0:1], v[2:3], v[0:1], 1.0
	v_mul_f64 v[2:3], v[10:11], -v[0:1]
.LBB124_1342:
	s_or_b64 exec, exec, s[18:19]
.LBB124_1343:
	s_or_b64 exec, exec, s[4:5]
	v_cmp_ne_u32_e32 vcc, v19, v4
	s_and_saveexec_b64 s[4:5], vcc
	s_xor_b64 s[4:5], exec, s[4:5]
	s_cbranch_execz .LBB124_1349
; %bb.1344:
	v_cmp_eq_u32_e32 vcc, 58, v19
	s_and_saveexec_b64 s[18:19], vcc
	s_cbranch_execz .LBB124_1348
; %bb.1345:
	v_cmp_ne_u32_e32 vcc, 58, v4
	s_xor_b64 s[16:17], s[10:11], -1
	s_and_b64 s[16:17], s[16:17], vcc
	s_and_saveexec_b64 s[24:25], s[16:17]
	s_cbranch_execz .LBB124_1347
; %bb.1346:
	v_ashrrev_i32_e32 v5, 31, v4
	v_lshlrev_b64 v[10:11], 2, v[4:5]
	v_add_co_u32_e32 v10, vcc, v8, v10
	v_addc_co_u32_e32 v11, vcc, v9, v11, vcc
	global_load_dword v5, v[10:11], off
	global_load_dword v12, v[8:9], off offset:232
	s_waitcnt vmcnt(1)
	global_store_dword v[8:9], v5, off offset:232
	s_waitcnt vmcnt(1)
	global_store_dword v[10:11], v12, off
.LBB124_1347:
	s_or_b64 exec, exec, s[24:25]
	v_mov_b32_e32 v19, v4
	v_mov_b32_e32 v18, v4
.LBB124_1348:
	s_or_b64 exec, exec, s[18:19]
.LBB124_1349:
	s_andn2_saveexec_b64 s[4:5], s[4:5]
	s_cbranch_execz .LBB124_1351
; %bb.1350:
	v_mov_b32_e32 v11, s27
	v_mov_b32_e32 v20, s26
	;; [unrolled: 1-line block ×4, first 2 shown]
	buffer_load_dword v4, v11, s[0:3], 0 offen
	buffer_load_dword v5, v11, s[0:3], 0 offen offset:4
	buffer_load_dword v10, v11, s[0:3], 0 offen offset:8
	s_nop 0
	buffer_load_dword v11, v11, s[0:3], 0 offen offset:12
	s_nop 0
	buffer_load_dword v12, v20, s[0:3], 0 offen
	buffer_load_dword v13, v20, s[0:3], 0 offen offset:4
	buffer_load_dword v19, v20, s[0:3], 0 offen offset:8
	s_nop 0
	buffer_load_dword v20, v20, s[0:3], 0 offen offset:12
	s_nop 0
	;; [unrolled: 6-line block ×3, first 2 shown]
	buffer_load_dword v25, v28, s[0:3], 0 offen
	buffer_load_dword v26, v28, s[0:3], 0 offen offset:4
	buffer_load_dword v27, v28, s[0:3], 0 offen offset:8
	s_nop 0
	buffer_load_dword v28, v28, s[0:3], 0 offen offset:12
	s_waitcnt vmcnt(12)
	ds_write2_b64 v16, v[4:5], v[10:11] offset0:118 offset1:119
	s_waitcnt vmcnt(8)
	ds_write2_b64 v16, v[12:13], v[19:20] offset0:120 offset1:121
	;; [unrolled: 2-line block ×4, first 2 shown]
	v_mov_b32_e32 v19, 58
.LBB124_1351:
	s_or_b64 exec, exec, s[4:5]
	v_cmp_lt_i32_e32 vcc, 58, v19
	s_waitcnt vmcnt(0) lgkmcnt(0)
	s_barrier
	s_and_saveexec_b64 s[4:5], vcc
	s_cbranch_execz .LBB124_1353
; %bb.1352:
	buffer_load_dword v4, off, s[0:3], 0 offset:936
	buffer_load_dword v5, off, s[0:3], 0 offset:940
	;; [unrolled: 1-line block ×20, first 2 shown]
	s_waitcnt vmcnt(18)
	v_mul_f64 v[12:13], v[2:3], v[4:5]
	v_mul_f64 v[4:5], v[0:1], v[4:5]
	s_waitcnt vmcnt(16)
	v_fma_f64 v[44:45], v[0:1], v[10:11], -v[12:13]
	v_fma_f64 v[4:5], v[2:3], v[10:11], v[4:5]
	ds_read2_b64 v[0:3], v16 offset0:118 offset1:119
	ds_read2_b64 v[10:13], v16 offset0:120 offset1:121
	;; [unrolled: 1-line block ×4, first 2 shown]
	buffer_store_dword v44, off, s[0:3], 0 offset:928
	buffer_store_dword v45, off, s[0:3], 0 offset:932
	;; [unrolled: 1-line block ×4, first 2 shown]
	s_waitcnt lgkmcnt(3)
	v_mul_f64 v[46:47], v[2:3], v[4:5]
	v_mul_f64 v[48:49], v[0:1], v[4:5]
	s_waitcnt lgkmcnt(2)
	v_mul_f64 v[50:51], v[12:13], v[4:5]
	v_mul_f64 v[52:53], v[10:11], v[4:5]
	;; [unrolled: 3-line block ×4, first 2 shown]
	v_fma_f64 v[0:1], v[0:1], v[44:45], -v[46:47]
	v_fma_f64 v[2:3], v[2:3], v[44:45], v[48:49]
	v_fma_f64 v[10:11], v[10:11], v[44:45], -v[50:51]
	v_fma_f64 v[12:13], v[12:13], v[44:45], v[52:53]
	;; [unrolled: 2-line block ×4, first 2 shown]
	s_waitcnt vmcnt(18)
	v_add_f64 v[0:1], v[28:29], -v[0:1]
	s_waitcnt vmcnt(16)
	v_add_f64 v[2:3], v[30:31], -v[2:3]
	;; [unrolled: 2-line block ×8, first 2 shown]
	buffer_store_dword v0, off, s[0:3], 0 offset:944
	buffer_store_dword v1, off, s[0:3], 0 offset:948
	;; [unrolled: 1-line block ×16, first 2 shown]
.LBB124_1353:
	s_or_b64 exec, exec, s[4:5]
	v_mov_b32_e32 v3, s27
	s_waitcnt vmcnt(0)
	s_barrier
	buffer_load_dword v0, v3, s[0:3], 0 offen
	buffer_load_dword v1, v3, s[0:3], 0 offen offset:4
	buffer_load_dword v2, v3, s[0:3], 0 offen offset:8
	s_nop 0
	buffer_load_dword v3, v3, s[0:3], 0 offen offset:12
	v_lshl_add_u32 v4, v19, 4, v16
	s_cmp_lt_i32 s65, 61
	s_waitcnt vmcnt(0)
	ds_write2_b64 v4, v[0:1], v[2:3] offset1:1
	s_waitcnt lgkmcnt(0)
	s_barrier
	ds_read2_b64 v[0:3], v16 offset0:118 offset1:119
	v_mov_b32_e32 v4, 59
	s_cbranch_scc1 .LBB124_1356
; %bb.1354:
	v_add_u32_e32 v5, 0x3c0, v16
	s_mov_b32 s16, 60
	v_mov_b32_e32 v4, 59
.LBB124_1355:                           ; =>This Inner Loop Header: Depth=1
	s_waitcnt lgkmcnt(0)
	v_cmp_gt_f64_e32 vcc, 0, v[2:3]
	v_cmp_gt_f64_e64 s[4:5], 0, v[0:1]
	ds_read2_b64 v[10:13], v5 offset1:1
	v_xor_b32_e32 v21, 0x80000000, v1
	v_xor_b32_e32 v23, 0x80000000, v3
	v_mov_b32_e32 v20, v0
	v_mov_b32_e32 v22, v2
	s_waitcnt lgkmcnt(0)
	v_xor_b32_e32 v25, 0x80000000, v13
	v_cndmask_b32_e32 v23, v3, v23, vcc
	v_cndmask_b32_e64 v21, v1, v21, s[4:5]
	v_cmp_gt_f64_e32 vcc, 0, v[12:13]
	v_cmp_gt_f64_e64 s[4:5], 0, v[10:11]
	v_add_f64 v[20:21], v[20:21], v[22:23]
	v_xor_b32_e32 v23, 0x80000000, v11
	v_mov_b32_e32 v22, v10
	v_mov_b32_e32 v24, v12
	v_add_u32_e32 v5, 16, v5
	v_cndmask_b32_e32 v25, v13, v25, vcc
	v_cndmask_b32_e64 v23, v11, v23, s[4:5]
	v_add_f64 v[22:23], v[22:23], v[24:25]
	v_mov_b32_e32 v24, s16
	s_add_i32 s16, s16, 1
	s_cmp_lg_u32 s65, s16
	v_cmp_lt_f64_e32 vcc, v[20:21], v[22:23]
	v_cndmask_b32_e32 v1, v1, v11, vcc
	v_cndmask_b32_e32 v0, v0, v10, vcc
	v_cndmask_b32_e32 v3, v3, v13, vcc
	v_cndmask_b32_e32 v2, v2, v12, vcc
	v_cndmask_b32_e32 v4, v4, v24, vcc
	s_cbranch_scc1 .LBB124_1355
.LBB124_1356:
	s_waitcnt lgkmcnt(0)
	v_cmp_eq_f64_e32 vcc, 0, v[0:1]
	v_cmp_eq_f64_e64 s[4:5], 0, v[2:3]
	s_and_b64 s[4:5], vcc, s[4:5]
	s_and_saveexec_b64 s[16:17], s[4:5]
	s_xor_b64 s[4:5], exec, s[16:17]
; %bb.1357:
	v_cmp_ne_u32_e32 vcc, 0, v17
	v_cndmask_b32_e32 v17, 60, v17, vcc
; %bb.1358:
	s_andn2_saveexec_b64 s[4:5], s[4:5]
	s_cbranch_execz .LBB124_1364
; %bb.1359:
	v_cmp_ngt_f64_e64 s[16:17], |v[0:1]|, |v[2:3]|
	s_and_saveexec_b64 s[18:19], s[16:17]
	s_xor_b64 s[18:19], exec, s[18:19]
	s_cbranch_execz .LBB124_1361
; %bb.1360:
	v_div_scale_f64 v[10:11], s[16:17], v[2:3], v[2:3], v[0:1]
	v_rcp_f64_e32 v[12:13], v[10:11]
	v_fma_f64 v[20:21], -v[10:11], v[12:13], 1.0
	v_fma_f64 v[12:13], v[12:13], v[20:21], v[12:13]
	v_div_scale_f64 v[20:21], vcc, v[0:1], v[2:3], v[0:1]
	v_fma_f64 v[22:23], -v[10:11], v[12:13], 1.0
	v_fma_f64 v[12:13], v[12:13], v[22:23], v[12:13]
	v_mul_f64 v[22:23], v[20:21], v[12:13]
	v_fma_f64 v[10:11], -v[10:11], v[22:23], v[20:21]
	v_div_fmas_f64 v[10:11], v[10:11], v[12:13], v[22:23]
	v_div_fixup_f64 v[10:11], v[10:11], v[2:3], v[0:1]
	v_fma_f64 v[0:1], v[0:1], v[10:11], v[2:3]
	v_div_scale_f64 v[2:3], s[16:17], v[0:1], v[0:1], 1.0
	v_div_scale_f64 v[22:23], vcc, 1.0, v[0:1], 1.0
	v_rcp_f64_e32 v[12:13], v[2:3]
	v_fma_f64 v[20:21], -v[2:3], v[12:13], 1.0
	v_fma_f64 v[12:13], v[12:13], v[20:21], v[12:13]
	v_fma_f64 v[20:21], -v[2:3], v[12:13], 1.0
	v_fma_f64 v[12:13], v[12:13], v[20:21], v[12:13]
	v_mul_f64 v[20:21], v[22:23], v[12:13]
	v_fma_f64 v[2:3], -v[2:3], v[20:21], v[22:23]
	v_div_fmas_f64 v[2:3], v[2:3], v[12:13], v[20:21]
	v_div_fixup_f64 v[2:3], v[2:3], v[0:1], 1.0
	v_mul_f64 v[0:1], v[10:11], v[2:3]
	v_xor_b32_e32 v3, 0x80000000, v3
.LBB124_1361:
	s_andn2_saveexec_b64 s[18:19], s[18:19]
	s_cbranch_execz .LBB124_1363
; %bb.1362:
	v_div_scale_f64 v[10:11], s[16:17], v[0:1], v[0:1], v[2:3]
	v_rcp_f64_e32 v[12:13], v[10:11]
	v_fma_f64 v[20:21], -v[10:11], v[12:13], 1.0
	v_fma_f64 v[12:13], v[12:13], v[20:21], v[12:13]
	v_div_scale_f64 v[20:21], vcc, v[2:3], v[0:1], v[2:3]
	v_fma_f64 v[22:23], -v[10:11], v[12:13], 1.0
	v_fma_f64 v[12:13], v[12:13], v[22:23], v[12:13]
	v_mul_f64 v[22:23], v[20:21], v[12:13]
	v_fma_f64 v[10:11], -v[10:11], v[22:23], v[20:21]
	v_div_fmas_f64 v[10:11], v[10:11], v[12:13], v[22:23]
	v_div_fixup_f64 v[10:11], v[10:11], v[0:1], v[2:3]
	v_fma_f64 v[0:1], v[2:3], v[10:11], v[0:1]
	v_div_scale_f64 v[2:3], s[16:17], v[0:1], v[0:1], 1.0
	v_div_scale_f64 v[22:23], vcc, 1.0, v[0:1], 1.0
	v_rcp_f64_e32 v[12:13], v[2:3]
	v_fma_f64 v[20:21], -v[2:3], v[12:13], 1.0
	v_fma_f64 v[12:13], v[12:13], v[20:21], v[12:13]
	v_fma_f64 v[20:21], -v[2:3], v[12:13], 1.0
	v_fma_f64 v[12:13], v[12:13], v[20:21], v[12:13]
	v_mul_f64 v[20:21], v[22:23], v[12:13]
	v_fma_f64 v[2:3], -v[2:3], v[20:21], v[22:23]
	v_div_fmas_f64 v[2:3], v[2:3], v[12:13], v[20:21]
	v_div_fixup_f64 v[0:1], v[2:3], v[0:1], 1.0
	v_mul_f64 v[2:3], v[10:11], -v[0:1]
.LBB124_1363:
	s_or_b64 exec, exec, s[18:19]
.LBB124_1364:
	s_or_b64 exec, exec, s[4:5]
	v_cmp_ne_u32_e32 vcc, v19, v4
	s_and_saveexec_b64 s[4:5], vcc
	s_xor_b64 s[4:5], exec, s[4:5]
	s_cbranch_execz .LBB124_1370
; %bb.1365:
	v_cmp_eq_u32_e32 vcc, 59, v19
	s_and_saveexec_b64 s[18:19], vcc
	s_cbranch_execz .LBB124_1369
; %bb.1366:
	v_cmp_ne_u32_e32 vcc, 59, v4
	s_xor_b64 s[16:17], s[10:11], -1
	s_and_b64 s[16:17], s[16:17], vcc
	s_and_saveexec_b64 s[24:25], s[16:17]
	s_cbranch_execz .LBB124_1368
; %bb.1367:
	v_ashrrev_i32_e32 v5, 31, v4
	v_lshlrev_b64 v[10:11], 2, v[4:5]
	v_add_co_u32_e32 v10, vcc, v8, v10
	v_addc_co_u32_e32 v11, vcc, v9, v11, vcc
	global_load_dword v5, v[10:11], off
	global_load_dword v12, v[8:9], off offset:236
	s_waitcnt vmcnt(1)
	global_store_dword v[8:9], v5, off offset:236
	s_waitcnt vmcnt(1)
	global_store_dword v[10:11], v12, off
.LBB124_1368:
	s_or_b64 exec, exec, s[24:25]
	v_mov_b32_e32 v19, v4
	v_mov_b32_e32 v18, v4
.LBB124_1369:
	s_or_b64 exec, exec, s[18:19]
.LBB124_1370:
	s_andn2_saveexec_b64 s[4:5], s[4:5]
	s_cbranch_execz .LBB124_1372
; %bb.1371:
	v_mov_b32_e32 v11, s26
	v_mov_b32_e32 v20, s20
	;; [unrolled: 1-line block ×3, first 2 shown]
	buffer_load_dword v4, v11, s[0:3], 0 offen
	buffer_load_dword v5, v11, s[0:3], 0 offen offset:4
	buffer_load_dword v10, v11, s[0:3], 0 offen offset:8
	s_nop 0
	buffer_load_dword v11, v11, s[0:3], 0 offen offset:12
	s_nop 0
	buffer_load_dword v12, v20, s[0:3], 0 offen
	buffer_load_dword v13, v20, s[0:3], 0 offen offset:4
	buffer_load_dword v19, v20, s[0:3], 0 offen offset:8
	s_nop 0
	buffer_load_dword v20, v20, s[0:3], 0 offen offset:12
	s_nop 0
	buffer_load_dword v21, v24, s[0:3], 0 offen
	buffer_load_dword v22, v24, s[0:3], 0 offen offset:4
	buffer_load_dword v23, v24, s[0:3], 0 offen offset:8
	s_nop 0
	buffer_load_dword v24, v24, s[0:3], 0 offen offset:12
	s_waitcnt vmcnt(8)
	ds_write2_b64 v16, v[4:5], v[10:11] offset0:120 offset1:121
	s_waitcnt vmcnt(4)
	ds_write2_b64 v16, v[12:13], v[19:20] offset0:122 offset1:123
	;; [unrolled: 2-line block ×3, first 2 shown]
	v_mov_b32_e32 v19, 59
.LBB124_1372:
	s_or_b64 exec, exec, s[4:5]
	v_cmp_lt_i32_e32 vcc, 59, v19
	s_waitcnt vmcnt(0) lgkmcnt(0)
	s_barrier
	s_and_saveexec_b64 s[4:5], vcc
	s_cbranch_execz .LBB124_1374
; %bb.1373:
	buffer_load_dword v4, off, s[0:3], 0 offset:952
	buffer_load_dword v5, off, s[0:3], 0 offset:956
	;; [unrolled: 1-line block ×16, first 2 shown]
	s_waitcnt vmcnt(14)
	v_mul_f64 v[10:11], v[0:1], v[4:5]
	v_mul_f64 v[22:23], v[2:3], v[4:5]
	s_waitcnt vmcnt(12)
	v_fma_f64 v[36:37], v[2:3], v[20:21], v[10:11]
	ds_read2_b64 v[2:5], v16 offset0:120 offset1:121
	ds_read2_b64 v[10:13], v16 offset0:122 offset1:123
	v_fma_f64 v[0:1], v[0:1], v[20:21], -v[22:23]
	ds_read2_b64 v[20:23], v16 offset0:124 offset1:125
	s_waitcnt lgkmcnt(2)
	v_mul_f64 v[38:39], v[4:5], v[36:37]
	v_mul_f64 v[40:41], v[2:3], v[36:37]
	s_waitcnt lgkmcnt(1)
	v_mul_f64 v[42:43], v[12:13], v[36:37]
	v_mul_f64 v[44:45], v[10:11], v[36:37]
	;; [unrolled: 3-line block ×3, first 2 shown]
	buffer_store_dword v0, off, s[0:3], 0 offset:944
	buffer_store_dword v1, off, s[0:3], 0 offset:948
	v_fma_f64 v[2:3], v[2:3], v[0:1], -v[38:39]
	v_fma_f64 v[4:5], v[4:5], v[0:1], v[40:41]
	v_fma_f64 v[10:11], v[10:11], v[0:1], -v[42:43]
	v_fma_f64 v[12:13], v[12:13], v[0:1], v[44:45]
	v_fma_f64 v[20:21], v[20:21], v[0:1], -v[46:47]
	v_fma_f64 v[0:1], v[22:23], v[0:1], v[48:49]
	buffer_store_dword v36, off, s[0:3], 0 offset:952
	buffer_store_dword v37, off, s[0:3], 0 offset:956
	s_waitcnt vmcnt(14)
	v_add_f64 v[2:3], v[24:25], -v[2:3]
	s_waitcnt vmcnt(12)
	v_add_f64 v[4:5], v[26:27], -v[4:5]
	;; [unrolled: 2-line block ×6, first 2 shown]
	buffer_store_dword v2, off, s[0:3], 0 offset:960
	buffer_store_dword v3, off, s[0:3], 0 offset:964
	;; [unrolled: 1-line block ×12, first 2 shown]
.LBB124_1374:
	s_or_b64 exec, exec, s[4:5]
	v_mov_b32_e32 v3, s26
	s_waitcnt vmcnt(0)
	s_barrier
	buffer_load_dword v0, v3, s[0:3], 0 offen
	buffer_load_dword v1, v3, s[0:3], 0 offen offset:4
	buffer_load_dword v2, v3, s[0:3], 0 offen offset:8
	s_nop 0
	buffer_load_dword v3, v3, s[0:3], 0 offen offset:12
	v_lshl_add_u32 v4, v19, 4, v16
	s_cmp_lt_i32 s65, 62
	s_waitcnt vmcnt(0)
	ds_write2_b64 v4, v[0:1], v[2:3] offset1:1
	s_waitcnt lgkmcnt(0)
	s_barrier
	ds_read2_b64 v[0:3], v16 offset0:120 offset1:121
	v_mov_b32_e32 v4, 60
	s_cbranch_scc1 .LBB124_1377
; %bb.1375:
	v_add_u32_e32 v5, 0x3d0, v16
	s_mov_b32 s16, 61
	v_mov_b32_e32 v4, 60
.LBB124_1376:                           ; =>This Inner Loop Header: Depth=1
	s_waitcnt lgkmcnt(0)
	v_cmp_gt_f64_e32 vcc, 0, v[2:3]
	v_cmp_gt_f64_e64 s[4:5], 0, v[0:1]
	ds_read2_b64 v[10:13], v5 offset1:1
	v_xor_b32_e32 v21, 0x80000000, v1
	v_xor_b32_e32 v23, 0x80000000, v3
	v_mov_b32_e32 v20, v0
	v_mov_b32_e32 v22, v2
	s_waitcnt lgkmcnt(0)
	v_xor_b32_e32 v25, 0x80000000, v13
	v_cndmask_b32_e32 v23, v3, v23, vcc
	v_cndmask_b32_e64 v21, v1, v21, s[4:5]
	v_cmp_gt_f64_e32 vcc, 0, v[12:13]
	v_cmp_gt_f64_e64 s[4:5], 0, v[10:11]
	v_add_f64 v[20:21], v[20:21], v[22:23]
	v_xor_b32_e32 v23, 0x80000000, v11
	v_mov_b32_e32 v22, v10
	v_mov_b32_e32 v24, v12
	v_add_u32_e32 v5, 16, v5
	v_cndmask_b32_e32 v25, v13, v25, vcc
	v_cndmask_b32_e64 v23, v11, v23, s[4:5]
	v_add_f64 v[22:23], v[22:23], v[24:25]
	v_mov_b32_e32 v24, s16
	s_add_i32 s16, s16, 1
	s_cmp_lg_u32 s65, s16
	v_cmp_lt_f64_e32 vcc, v[20:21], v[22:23]
	v_cndmask_b32_e32 v1, v1, v11, vcc
	v_cndmask_b32_e32 v0, v0, v10, vcc
	;; [unrolled: 1-line block ×5, first 2 shown]
	s_cbranch_scc1 .LBB124_1376
.LBB124_1377:
	s_waitcnt lgkmcnt(0)
	v_cmp_eq_f64_e32 vcc, 0, v[0:1]
	v_cmp_eq_f64_e64 s[4:5], 0, v[2:3]
	s_and_b64 s[4:5], vcc, s[4:5]
	s_and_saveexec_b64 s[16:17], s[4:5]
	s_xor_b64 s[4:5], exec, s[16:17]
; %bb.1378:
	v_cmp_ne_u32_e32 vcc, 0, v17
	v_cndmask_b32_e32 v17, 61, v17, vcc
; %bb.1379:
	s_andn2_saveexec_b64 s[4:5], s[4:5]
	s_cbranch_execz .LBB124_1385
; %bb.1380:
	v_cmp_ngt_f64_e64 s[16:17], |v[0:1]|, |v[2:3]|
	s_and_saveexec_b64 s[18:19], s[16:17]
	s_xor_b64 s[18:19], exec, s[18:19]
	s_cbranch_execz .LBB124_1382
; %bb.1381:
	v_div_scale_f64 v[10:11], s[16:17], v[2:3], v[2:3], v[0:1]
	v_rcp_f64_e32 v[12:13], v[10:11]
	v_fma_f64 v[20:21], -v[10:11], v[12:13], 1.0
	v_fma_f64 v[12:13], v[12:13], v[20:21], v[12:13]
	v_div_scale_f64 v[20:21], vcc, v[0:1], v[2:3], v[0:1]
	v_fma_f64 v[22:23], -v[10:11], v[12:13], 1.0
	v_fma_f64 v[12:13], v[12:13], v[22:23], v[12:13]
	v_mul_f64 v[22:23], v[20:21], v[12:13]
	v_fma_f64 v[10:11], -v[10:11], v[22:23], v[20:21]
	v_div_fmas_f64 v[10:11], v[10:11], v[12:13], v[22:23]
	v_div_fixup_f64 v[10:11], v[10:11], v[2:3], v[0:1]
	v_fma_f64 v[0:1], v[0:1], v[10:11], v[2:3]
	v_div_scale_f64 v[2:3], s[16:17], v[0:1], v[0:1], 1.0
	v_div_scale_f64 v[22:23], vcc, 1.0, v[0:1], 1.0
	v_rcp_f64_e32 v[12:13], v[2:3]
	v_fma_f64 v[20:21], -v[2:3], v[12:13], 1.0
	v_fma_f64 v[12:13], v[12:13], v[20:21], v[12:13]
	v_fma_f64 v[20:21], -v[2:3], v[12:13], 1.0
	v_fma_f64 v[12:13], v[12:13], v[20:21], v[12:13]
	v_mul_f64 v[20:21], v[22:23], v[12:13]
	v_fma_f64 v[2:3], -v[2:3], v[20:21], v[22:23]
	v_div_fmas_f64 v[2:3], v[2:3], v[12:13], v[20:21]
	v_div_fixup_f64 v[2:3], v[2:3], v[0:1], 1.0
	v_mul_f64 v[0:1], v[10:11], v[2:3]
	v_xor_b32_e32 v3, 0x80000000, v3
.LBB124_1382:
	s_andn2_saveexec_b64 s[18:19], s[18:19]
	s_cbranch_execz .LBB124_1384
; %bb.1383:
	v_div_scale_f64 v[10:11], s[16:17], v[0:1], v[0:1], v[2:3]
	v_rcp_f64_e32 v[12:13], v[10:11]
	v_fma_f64 v[20:21], -v[10:11], v[12:13], 1.0
	v_fma_f64 v[12:13], v[12:13], v[20:21], v[12:13]
	v_div_scale_f64 v[20:21], vcc, v[2:3], v[0:1], v[2:3]
	v_fma_f64 v[22:23], -v[10:11], v[12:13], 1.0
	v_fma_f64 v[12:13], v[12:13], v[22:23], v[12:13]
	v_mul_f64 v[22:23], v[20:21], v[12:13]
	v_fma_f64 v[10:11], -v[10:11], v[22:23], v[20:21]
	v_div_fmas_f64 v[10:11], v[10:11], v[12:13], v[22:23]
	v_div_fixup_f64 v[10:11], v[10:11], v[0:1], v[2:3]
	v_fma_f64 v[0:1], v[2:3], v[10:11], v[0:1]
	v_div_scale_f64 v[2:3], s[16:17], v[0:1], v[0:1], 1.0
	v_div_scale_f64 v[22:23], vcc, 1.0, v[0:1], 1.0
	v_rcp_f64_e32 v[12:13], v[2:3]
	v_fma_f64 v[20:21], -v[2:3], v[12:13], 1.0
	v_fma_f64 v[12:13], v[12:13], v[20:21], v[12:13]
	v_fma_f64 v[20:21], -v[2:3], v[12:13], 1.0
	v_fma_f64 v[12:13], v[12:13], v[20:21], v[12:13]
	v_mul_f64 v[20:21], v[22:23], v[12:13]
	v_fma_f64 v[2:3], -v[2:3], v[20:21], v[22:23]
	v_div_fmas_f64 v[2:3], v[2:3], v[12:13], v[20:21]
	v_div_fixup_f64 v[0:1], v[2:3], v[0:1], 1.0
	v_mul_f64 v[2:3], v[10:11], -v[0:1]
.LBB124_1384:
	s_or_b64 exec, exec, s[18:19]
.LBB124_1385:
	s_or_b64 exec, exec, s[4:5]
	v_cmp_ne_u32_e32 vcc, v19, v4
	s_and_saveexec_b64 s[4:5], vcc
	s_xor_b64 s[4:5], exec, s[4:5]
	s_cbranch_execz .LBB124_1391
; %bb.1386:
	v_cmp_eq_u32_e32 vcc, 60, v19
	s_and_saveexec_b64 s[18:19], vcc
	s_cbranch_execz .LBB124_1390
; %bb.1387:
	v_cmp_ne_u32_e32 vcc, 60, v4
	s_xor_b64 s[16:17], s[10:11], -1
	s_and_b64 s[16:17], s[16:17], vcc
	s_and_saveexec_b64 s[24:25], s[16:17]
	s_cbranch_execz .LBB124_1389
; %bb.1388:
	v_ashrrev_i32_e32 v5, 31, v4
	v_lshlrev_b64 v[10:11], 2, v[4:5]
	v_add_co_u32_e32 v10, vcc, v8, v10
	v_addc_co_u32_e32 v11, vcc, v9, v11, vcc
	global_load_dword v5, v[10:11], off
	global_load_dword v12, v[8:9], off offset:240
	s_waitcnt vmcnt(1)
	global_store_dword v[8:9], v5, off offset:240
	s_waitcnt vmcnt(1)
	global_store_dword v[10:11], v12, off
.LBB124_1389:
	s_or_b64 exec, exec, s[24:25]
	v_mov_b32_e32 v19, v4
	v_mov_b32_e32 v18, v4
.LBB124_1390:
	s_or_b64 exec, exec, s[18:19]
.LBB124_1391:
	s_andn2_saveexec_b64 s[4:5], s[4:5]
	s_cbranch_execz .LBB124_1393
; %bb.1392:
	v_mov_b32_e32 v11, s20
	v_mov_b32_e32 v20, s7
	buffer_load_dword v4, v11, s[0:3], 0 offen
	buffer_load_dword v5, v11, s[0:3], 0 offen offset:4
	buffer_load_dword v10, v11, s[0:3], 0 offen offset:8
	s_nop 0
	buffer_load_dword v11, v11, s[0:3], 0 offen offset:12
	s_nop 0
	buffer_load_dword v12, v20, s[0:3], 0 offen
	buffer_load_dword v13, v20, s[0:3], 0 offen offset:4
	buffer_load_dword v19, v20, s[0:3], 0 offen offset:8
	s_nop 0
	buffer_load_dword v20, v20, s[0:3], 0 offen offset:12
	s_waitcnt vmcnt(4)
	ds_write2_b64 v16, v[4:5], v[10:11] offset0:122 offset1:123
	s_waitcnt vmcnt(0)
	ds_write2_b64 v16, v[12:13], v[19:20] offset0:124 offset1:125
	v_mov_b32_e32 v19, 60
.LBB124_1393:
	s_or_b64 exec, exec, s[4:5]
	v_cmp_lt_i32_e32 vcc, 60, v19
	s_waitcnt vmcnt(0) lgkmcnt(0)
	s_barrier
	s_and_saveexec_b64 s[4:5], vcc
	s_cbranch_execz .LBB124_1395
; %bb.1394:
	buffer_load_dword v4, off, s[0:3], 0 offset:968
	buffer_load_dword v5, off, s[0:3], 0 offset:972
	buffer_load_dword v20, off, s[0:3], 0 offset:960
	buffer_load_dword v21, off, s[0:3], 0 offset:964
	buffer_load_dword v22, off, s[0:3], 0 offset:976
	buffer_load_dword v23, off, s[0:3], 0 offset:980
	buffer_load_dword v24, off, s[0:3], 0 offset:984
	buffer_load_dword v25, off, s[0:3], 0 offset:988
	buffer_load_dword v26, off, s[0:3], 0 offset:992
	buffer_load_dword v27, off, s[0:3], 0 offset:996
	buffer_load_dword v28, off, s[0:3], 0 offset:1000
	buffer_load_dword v29, off, s[0:3], 0 offset:1004
	s_waitcnt vmcnt(10)
	v_mul_f64 v[10:11], v[0:1], v[4:5]
	v_mul_f64 v[30:31], v[2:3], v[4:5]
	s_waitcnt vmcnt(8)
	v_fma_f64 v[32:33], v[2:3], v[20:21], v[10:11]
	ds_read2_b64 v[2:5], v16 offset0:122 offset1:123
	ds_read2_b64 v[10:13], v16 offset0:124 offset1:125
	v_fma_f64 v[0:1], v[0:1], v[20:21], -v[30:31]
	s_waitcnt lgkmcnt(1)
	v_mul_f64 v[20:21], v[4:5], v[32:33]
	v_mul_f64 v[30:31], v[2:3], v[32:33]
	s_waitcnt lgkmcnt(0)
	v_mul_f64 v[34:35], v[12:13], v[32:33]
	v_mul_f64 v[36:37], v[10:11], v[32:33]
	buffer_store_dword v0, off, s[0:3], 0 offset:960
	buffer_store_dword v1, off, s[0:3], 0 offset:964
	;; [unrolled: 1-line block ×3, first 2 shown]
	v_fma_f64 v[2:3], v[2:3], v[0:1], -v[20:21]
	v_fma_f64 v[4:5], v[4:5], v[0:1], v[30:31]
	v_fma_f64 v[10:11], v[10:11], v[0:1], -v[34:35]
	v_fma_f64 v[12:13], v[12:13], v[0:1], v[36:37]
	s_waitcnt vmcnt(9)
	v_add_f64 v[2:3], v[22:23], -v[2:3]
	s_waitcnt vmcnt(7)
	v_add_f64 v[4:5], v[24:25], -v[4:5]
	;; [unrolled: 2-line block ×4, first 2 shown]
	buffer_store_dword v33, off, s[0:3], 0 offset:972
	buffer_store_dword v2, off, s[0:3], 0 offset:976
	;; [unrolled: 1-line block ×9, first 2 shown]
.LBB124_1395:
	s_or_b64 exec, exec, s[4:5]
	v_mov_b32_e32 v3, s20
	s_waitcnt vmcnt(0)
	s_barrier
	buffer_load_dword v0, v3, s[0:3], 0 offen
	buffer_load_dword v1, v3, s[0:3], 0 offen offset:4
	buffer_load_dword v2, v3, s[0:3], 0 offen offset:8
	s_nop 0
	buffer_load_dword v3, v3, s[0:3], 0 offen offset:12
	v_lshl_add_u32 v4, v19, 4, v16
	s_cmp_lt_i32 s65, 63
	s_waitcnt vmcnt(0)
	ds_write2_b64 v4, v[0:1], v[2:3] offset1:1
	s_waitcnt lgkmcnt(0)
	s_barrier
	ds_read2_b64 v[0:3], v16 offset0:122 offset1:123
	v_mov_b32_e32 v4, 61
	s_cbranch_scc1 .LBB124_1398
; %bb.1396:
	v_add_u32_e32 v5, 0x3e0, v16
	s_mov_b32 s16, 62
	v_mov_b32_e32 v4, 61
.LBB124_1397:                           ; =>This Inner Loop Header: Depth=1
	s_waitcnt lgkmcnt(0)
	v_cmp_gt_f64_e32 vcc, 0, v[2:3]
	v_cmp_gt_f64_e64 s[4:5], 0, v[0:1]
	ds_read2_b64 v[10:13], v5 offset1:1
	v_xor_b32_e32 v21, 0x80000000, v1
	v_xor_b32_e32 v23, 0x80000000, v3
	v_mov_b32_e32 v20, v0
	v_mov_b32_e32 v22, v2
	s_waitcnt lgkmcnt(0)
	v_xor_b32_e32 v25, 0x80000000, v13
	v_cndmask_b32_e32 v23, v3, v23, vcc
	v_cndmask_b32_e64 v21, v1, v21, s[4:5]
	v_cmp_gt_f64_e32 vcc, 0, v[12:13]
	v_cmp_gt_f64_e64 s[4:5], 0, v[10:11]
	v_add_f64 v[20:21], v[20:21], v[22:23]
	v_xor_b32_e32 v23, 0x80000000, v11
	v_mov_b32_e32 v22, v10
	v_mov_b32_e32 v24, v12
	v_add_u32_e32 v5, 16, v5
	v_cndmask_b32_e32 v25, v13, v25, vcc
	v_cndmask_b32_e64 v23, v11, v23, s[4:5]
	v_add_f64 v[22:23], v[22:23], v[24:25]
	v_mov_b32_e32 v24, s16
	s_add_i32 s16, s16, 1
	s_cmp_lg_u32 s65, s16
	v_cmp_lt_f64_e32 vcc, v[20:21], v[22:23]
	v_cndmask_b32_e32 v1, v1, v11, vcc
	v_cndmask_b32_e32 v0, v0, v10, vcc
	;; [unrolled: 1-line block ×5, first 2 shown]
	s_cbranch_scc1 .LBB124_1397
.LBB124_1398:
	s_waitcnt lgkmcnt(0)
	v_cmp_eq_f64_e32 vcc, 0, v[0:1]
	v_cmp_eq_f64_e64 s[4:5], 0, v[2:3]
	s_and_b64 s[4:5], vcc, s[4:5]
	s_and_saveexec_b64 s[16:17], s[4:5]
	s_xor_b64 s[4:5], exec, s[16:17]
; %bb.1399:
	v_cmp_ne_u32_e32 vcc, 0, v17
	v_cndmask_b32_e32 v17, 62, v17, vcc
; %bb.1400:
	s_andn2_saveexec_b64 s[4:5], s[4:5]
	s_cbranch_execz .LBB124_1406
; %bb.1401:
	v_cmp_ngt_f64_e64 s[16:17], |v[0:1]|, |v[2:3]|
	s_and_saveexec_b64 s[18:19], s[16:17]
	s_xor_b64 s[18:19], exec, s[18:19]
	s_cbranch_execz .LBB124_1403
; %bb.1402:
	v_div_scale_f64 v[10:11], s[16:17], v[2:3], v[2:3], v[0:1]
	v_rcp_f64_e32 v[12:13], v[10:11]
	v_fma_f64 v[20:21], -v[10:11], v[12:13], 1.0
	v_fma_f64 v[12:13], v[12:13], v[20:21], v[12:13]
	v_div_scale_f64 v[20:21], vcc, v[0:1], v[2:3], v[0:1]
	v_fma_f64 v[22:23], -v[10:11], v[12:13], 1.0
	v_fma_f64 v[12:13], v[12:13], v[22:23], v[12:13]
	v_mul_f64 v[22:23], v[20:21], v[12:13]
	v_fma_f64 v[10:11], -v[10:11], v[22:23], v[20:21]
	v_div_fmas_f64 v[10:11], v[10:11], v[12:13], v[22:23]
	v_div_fixup_f64 v[10:11], v[10:11], v[2:3], v[0:1]
	v_fma_f64 v[0:1], v[0:1], v[10:11], v[2:3]
	v_div_scale_f64 v[2:3], s[16:17], v[0:1], v[0:1], 1.0
	v_div_scale_f64 v[22:23], vcc, 1.0, v[0:1], 1.0
	v_rcp_f64_e32 v[12:13], v[2:3]
	v_fma_f64 v[20:21], -v[2:3], v[12:13], 1.0
	v_fma_f64 v[12:13], v[12:13], v[20:21], v[12:13]
	v_fma_f64 v[20:21], -v[2:3], v[12:13], 1.0
	v_fma_f64 v[12:13], v[12:13], v[20:21], v[12:13]
	v_mul_f64 v[20:21], v[22:23], v[12:13]
	v_fma_f64 v[2:3], -v[2:3], v[20:21], v[22:23]
	v_div_fmas_f64 v[2:3], v[2:3], v[12:13], v[20:21]
	v_div_fixup_f64 v[2:3], v[2:3], v[0:1], 1.0
	v_mul_f64 v[0:1], v[10:11], v[2:3]
	v_xor_b32_e32 v3, 0x80000000, v3
.LBB124_1403:
	s_andn2_saveexec_b64 s[18:19], s[18:19]
	s_cbranch_execz .LBB124_1405
; %bb.1404:
	v_div_scale_f64 v[10:11], s[16:17], v[0:1], v[0:1], v[2:3]
	v_rcp_f64_e32 v[12:13], v[10:11]
	v_fma_f64 v[20:21], -v[10:11], v[12:13], 1.0
	v_fma_f64 v[12:13], v[12:13], v[20:21], v[12:13]
	v_div_scale_f64 v[20:21], vcc, v[2:3], v[0:1], v[2:3]
	v_fma_f64 v[22:23], -v[10:11], v[12:13], 1.0
	v_fma_f64 v[12:13], v[12:13], v[22:23], v[12:13]
	v_mul_f64 v[22:23], v[20:21], v[12:13]
	v_fma_f64 v[10:11], -v[10:11], v[22:23], v[20:21]
	v_div_fmas_f64 v[10:11], v[10:11], v[12:13], v[22:23]
	v_div_fixup_f64 v[10:11], v[10:11], v[0:1], v[2:3]
	v_fma_f64 v[0:1], v[2:3], v[10:11], v[0:1]
	v_div_scale_f64 v[2:3], s[16:17], v[0:1], v[0:1], 1.0
	v_div_scale_f64 v[22:23], vcc, 1.0, v[0:1], 1.0
	v_rcp_f64_e32 v[12:13], v[2:3]
	v_fma_f64 v[20:21], -v[2:3], v[12:13], 1.0
	v_fma_f64 v[12:13], v[12:13], v[20:21], v[12:13]
	v_fma_f64 v[20:21], -v[2:3], v[12:13], 1.0
	v_fma_f64 v[12:13], v[12:13], v[20:21], v[12:13]
	v_mul_f64 v[20:21], v[22:23], v[12:13]
	v_fma_f64 v[2:3], -v[2:3], v[20:21], v[22:23]
	v_div_fmas_f64 v[2:3], v[2:3], v[12:13], v[20:21]
	v_div_fixup_f64 v[0:1], v[2:3], v[0:1], 1.0
	v_mul_f64 v[2:3], v[10:11], -v[0:1]
.LBB124_1405:
	s_or_b64 exec, exec, s[18:19]
.LBB124_1406:
	s_or_b64 exec, exec, s[4:5]
	v_cmp_ne_u32_e32 vcc, v19, v4
	s_and_saveexec_b64 s[4:5], vcc
	s_xor_b64 s[4:5], exec, s[4:5]
	s_cbranch_execz .LBB124_1412
; %bb.1407:
	v_cmp_eq_u32_e32 vcc, 61, v19
	s_and_saveexec_b64 s[18:19], vcc
	s_cbranch_execz .LBB124_1411
; %bb.1408:
	v_cmp_ne_u32_e32 vcc, 61, v4
	s_xor_b64 s[16:17], s[10:11], -1
	s_and_b64 s[16:17], s[16:17], vcc
	s_and_saveexec_b64 s[24:25], s[16:17]
	s_cbranch_execz .LBB124_1410
; %bb.1409:
	v_ashrrev_i32_e32 v5, 31, v4
	v_lshlrev_b64 v[10:11], 2, v[4:5]
	v_add_co_u32_e32 v10, vcc, v8, v10
	v_addc_co_u32_e32 v11, vcc, v9, v11, vcc
	global_load_dword v5, v[10:11], off
	global_load_dword v12, v[8:9], off offset:244
	s_waitcnt vmcnt(1)
	global_store_dword v[8:9], v5, off offset:244
	s_waitcnt vmcnt(1)
	global_store_dword v[10:11], v12, off
.LBB124_1410:
	s_or_b64 exec, exec, s[24:25]
	v_mov_b32_e32 v19, v4
	v_mov_b32_e32 v18, v4
.LBB124_1411:
	s_or_b64 exec, exec, s[18:19]
.LBB124_1412:
	s_andn2_saveexec_b64 s[4:5], s[4:5]
	s_cbranch_execz .LBB124_1414
; %bb.1413:
	v_mov_b32_e32 v11, s7
	buffer_load_dword v4, v11, s[0:3], 0 offen
	buffer_load_dword v5, v11, s[0:3], 0 offen offset:4
	buffer_load_dword v10, v11, s[0:3], 0 offen offset:8
	s_nop 0
	buffer_load_dword v11, v11, s[0:3], 0 offen offset:12
	v_mov_b32_e32 v19, 61
	s_waitcnt vmcnt(0)
	ds_write2_b64 v16, v[4:5], v[10:11] offset0:124 offset1:125
.LBB124_1414:
	s_or_b64 exec, exec, s[4:5]
	v_cmp_lt_i32_e32 vcc, 61, v19
	s_waitcnt vmcnt(0) lgkmcnt(0)
	s_barrier
	s_and_saveexec_b64 s[4:5], vcc
	s_cbranch_execz .LBB124_1416
; %bb.1415:
	buffer_load_dword v4, off, s[0:3], 0 offset:984
	buffer_load_dword v5, off, s[0:3], 0 offset:988
	;; [unrolled: 1-line block ×8, first 2 shown]
	s_waitcnt vmcnt(6)
	v_mul_f64 v[22:23], v[0:1], v[4:5]
	v_mul_f64 v[24:25], v[2:3], v[4:5]
	s_waitcnt vmcnt(4)
	v_fma_f64 v[22:23], v[2:3], v[10:11], v[22:23]
	ds_read2_b64 v[2:5], v16 offset0:124 offset1:125
	v_fma_f64 v[0:1], v[0:1], v[10:11], -v[24:25]
	s_waitcnt lgkmcnt(0)
	v_mul_f64 v[10:11], v[4:5], v[22:23]
	v_mul_f64 v[24:25], v[2:3], v[22:23]
	v_fma_f64 v[2:3], v[2:3], v[0:1], -v[10:11]
	v_fma_f64 v[4:5], v[4:5], v[0:1], v[24:25]
	s_waitcnt vmcnt(2)
	v_add_f64 v[2:3], v[12:13], -v[2:3]
	s_waitcnt vmcnt(0)
	v_add_f64 v[4:5], v[20:21], -v[4:5]
	buffer_store_dword v0, off, s[0:3], 0 offset:976
	buffer_store_dword v1, off, s[0:3], 0 offset:980
	;; [unrolled: 1-line block ×8, first 2 shown]
.LBB124_1416:
	s_or_b64 exec, exec, s[4:5]
	v_mov_b32_e32 v3, s7
	s_waitcnt vmcnt(0)
	s_barrier
	buffer_load_dword v0, v3, s[0:3], 0 offen
	buffer_load_dword v1, v3, s[0:3], 0 offen offset:4
	buffer_load_dword v2, v3, s[0:3], 0 offen offset:8
	s_nop 0
	buffer_load_dword v3, v3, s[0:3], 0 offen offset:12
	v_lshl_add_u32 v4, v19, 4, v16
	s_cmp_lt_i32 s65, 64
	s_waitcnt vmcnt(0)
	ds_write2_b64 v4, v[0:1], v[2:3] offset1:1
	s_waitcnt lgkmcnt(0)
	s_barrier
	ds_read2_b64 v[0:3], v16 offset0:124 offset1:125
	v_mov_b32_e32 v4, 62
	s_cbranch_scc1 .LBB124_1419
; %bb.1417:
	v_add_u32_e32 v5, 0x3f0, v16
	s_mov_b32 s16, 63
	v_mov_b32_e32 v4, 62
.LBB124_1418:                           ; =>This Inner Loop Header: Depth=1
	s_waitcnt lgkmcnt(0)
	v_cmp_gt_f64_e32 vcc, 0, v[2:3]
	v_cmp_gt_f64_e64 s[4:5], 0, v[0:1]
	ds_read2_b64 v[10:13], v5 offset1:1
	v_xor_b32_e32 v16, 0x80000000, v1
	v_xor_b32_e32 v23, 0x80000000, v3
	v_mov_b32_e32 v20, v0
	v_mov_b32_e32 v22, v2
	s_waitcnt lgkmcnt(0)
	v_xor_b32_e32 v25, 0x80000000, v13
	v_cndmask_b32_e32 v23, v3, v23, vcc
	v_cndmask_b32_e64 v21, v1, v16, s[4:5]
	v_cmp_gt_f64_e32 vcc, 0, v[12:13]
	v_cmp_gt_f64_e64 s[4:5], 0, v[10:11]
	v_xor_b32_e32 v16, 0x80000000, v11
	v_add_f64 v[20:21], v[20:21], v[22:23]
	v_mov_b32_e32 v22, v10
	v_mov_b32_e32 v24, v12
	v_add_u32_e32 v5, 16, v5
	v_cndmask_b32_e32 v25, v13, v25, vcc
	v_cndmask_b32_e64 v23, v11, v16, s[4:5]
	v_add_f64 v[22:23], v[22:23], v[24:25]
	v_mov_b32_e32 v16, s16
	s_add_i32 s16, s16, 1
	s_cmp_lg_u32 s65, s16
	v_cmp_lt_f64_e32 vcc, v[20:21], v[22:23]
	v_cndmask_b32_e32 v1, v1, v11, vcc
	v_cndmask_b32_e32 v0, v0, v10, vcc
	;; [unrolled: 1-line block ×5, first 2 shown]
	s_cbranch_scc1 .LBB124_1418
.LBB124_1419:
	s_waitcnt lgkmcnt(0)
	v_cmp_eq_f64_e32 vcc, 0, v[0:1]
	v_cmp_eq_f64_e64 s[4:5], 0, v[2:3]
	s_and_b64 s[4:5], vcc, s[4:5]
	s_and_saveexec_b64 s[16:17], s[4:5]
	s_xor_b64 s[4:5], exec, s[16:17]
; %bb.1420:
	v_cmp_ne_u32_e32 vcc, 0, v17
	v_cndmask_b32_e32 v17, 63, v17, vcc
; %bb.1421:
	s_andn2_saveexec_b64 s[4:5], s[4:5]
	s_cbranch_execz .LBB124_1427
; %bb.1422:
	v_cmp_ngt_f64_e64 s[16:17], |v[0:1]|, |v[2:3]|
	s_and_saveexec_b64 s[18:19], s[16:17]
	s_xor_b64 s[18:19], exec, s[18:19]
	s_cbranch_execz .LBB124_1424
; %bb.1423:
	v_div_scale_f64 v[10:11], s[16:17], v[2:3], v[2:3], v[0:1]
	v_rcp_f64_e32 v[12:13], v[10:11]
	v_fma_f64 v[20:21], -v[10:11], v[12:13], 1.0
	v_fma_f64 v[12:13], v[12:13], v[20:21], v[12:13]
	v_div_scale_f64 v[20:21], vcc, v[0:1], v[2:3], v[0:1]
	v_fma_f64 v[22:23], -v[10:11], v[12:13], 1.0
	v_fma_f64 v[12:13], v[12:13], v[22:23], v[12:13]
	v_mul_f64 v[22:23], v[20:21], v[12:13]
	v_fma_f64 v[10:11], -v[10:11], v[22:23], v[20:21]
	v_div_fmas_f64 v[10:11], v[10:11], v[12:13], v[22:23]
	v_div_fixup_f64 v[10:11], v[10:11], v[2:3], v[0:1]
	v_fma_f64 v[0:1], v[0:1], v[10:11], v[2:3]
	v_div_scale_f64 v[2:3], s[16:17], v[0:1], v[0:1], 1.0
	v_div_scale_f64 v[22:23], vcc, 1.0, v[0:1], 1.0
	v_rcp_f64_e32 v[12:13], v[2:3]
	v_fma_f64 v[20:21], -v[2:3], v[12:13], 1.0
	v_fma_f64 v[12:13], v[12:13], v[20:21], v[12:13]
	v_fma_f64 v[20:21], -v[2:3], v[12:13], 1.0
	v_fma_f64 v[12:13], v[12:13], v[20:21], v[12:13]
	v_mul_f64 v[20:21], v[22:23], v[12:13]
	v_fma_f64 v[2:3], -v[2:3], v[20:21], v[22:23]
	v_div_fmas_f64 v[2:3], v[2:3], v[12:13], v[20:21]
	v_div_fixup_f64 v[2:3], v[2:3], v[0:1], 1.0
	v_mul_f64 v[0:1], v[10:11], v[2:3]
	v_xor_b32_e32 v3, 0x80000000, v3
.LBB124_1424:
	s_andn2_saveexec_b64 s[18:19], s[18:19]
	s_cbranch_execz .LBB124_1426
; %bb.1425:
	v_div_scale_f64 v[10:11], s[16:17], v[0:1], v[0:1], v[2:3]
	v_rcp_f64_e32 v[12:13], v[10:11]
	v_fma_f64 v[20:21], -v[10:11], v[12:13], 1.0
	v_fma_f64 v[12:13], v[12:13], v[20:21], v[12:13]
	v_div_scale_f64 v[20:21], vcc, v[2:3], v[0:1], v[2:3]
	v_fma_f64 v[22:23], -v[10:11], v[12:13], 1.0
	v_fma_f64 v[12:13], v[12:13], v[22:23], v[12:13]
	v_mul_f64 v[22:23], v[20:21], v[12:13]
	v_fma_f64 v[10:11], -v[10:11], v[22:23], v[20:21]
	v_div_fmas_f64 v[10:11], v[10:11], v[12:13], v[22:23]
	v_div_fixup_f64 v[10:11], v[10:11], v[0:1], v[2:3]
	v_fma_f64 v[0:1], v[2:3], v[10:11], v[0:1]
	v_div_scale_f64 v[2:3], s[16:17], v[0:1], v[0:1], 1.0
	v_div_scale_f64 v[22:23], vcc, 1.0, v[0:1], 1.0
	v_rcp_f64_e32 v[12:13], v[2:3]
	v_fma_f64 v[20:21], -v[2:3], v[12:13], 1.0
	v_fma_f64 v[12:13], v[12:13], v[20:21], v[12:13]
	v_fma_f64 v[20:21], -v[2:3], v[12:13], 1.0
	v_fma_f64 v[12:13], v[12:13], v[20:21], v[12:13]
	v_mul_f64 v[20:21], v[22:23], v[12:13]
	v_fma_f64 v[2:3], -v[2:3], v[20:21], v[22:23]
	v_div_fmas_f64 v[2:3], v[2:3], v[12:13], v[20:21]
	v_div_fixup_f64 v[0:1], v[2:3], v[0:1], 1.0
	v_mul_f64 v[2:3], v[10:11], -v[0:1]
.LBB124_1426:
	s_or_b64 exec, exec, s[18:19]
.LBB124_1427:
	s_or_b64 exec, exec, s[4:5]
	v_cmp_ne_u32_e32 vcc, v19, v4
	v_mov_b32_e32 v10, 62
	s_and_saveexec_b64 s[4:5], vcc
	s_cbranch_execz .LBB124_1433
; %bb.1428:
	v_cmp_eq_u32_e32 vcc, 62, v19
	s_and_saveexec_b64 s[18:19], vcc
	s_cbranch_execz .LBB124_1432
; %bb.1429:
	v_cmp_ne_u32_e32 vcc, 62, v4
	s_xor_b64 s[16:17], s[10:11], -1
	s_and_b64 s[16:17], s[16:17], vcc
	s_and_saveexec_b64 s[22:23], s[16:17]
	s_cbranch_execz .LBB124_1431
; %bb.1430:
	v_ashrrev_i32_e32 v5, 31, v4
	v_lshlrev_b64 v[10:11], 2, v[4:5]
	v_add_co_u32_e32 v10, vcc, v8, v10
	v_addc_co_u32_e32 v11, vcc, v9, v11, vcc
	global_load_dword v5, v[10:11], off
	global_load_dword v12, v[8:9], off offset:248
	s_waitcnt vmcnt(1)
	global_store_dword v[8:9], v5, off offset:248
	s_waitcnt vmcnt(1)
	global_store_dword v[10:11], v12, off
.LBB124_1431:
	s_or_b64 exec, exec, s[22:23]
	v_mov_b32_e32 v19, v4
	v_mov_b32_e32 v18, v4
.LBB124_1432:
	s_or_b64 exec, exec, s[18:19]
	v_mov_b32_e32 v10, v19
.LBB124_1433:
	s_or_b64 exec, exec, s[4:5]
	v_cmp_lt_i32_e32 vcc, 62, v10
	s_waitcnt vmcnt(0)
	s_barrier
	s_and_saveexec_b64 s[4:5], vcc
	s_cbranch_execz .LBB124_1435
; %bb.1434:
	buffer_load_dword v4, off, s[0:3], 0 offset:1000
	buffer_load_dword v5, off, s[0:3], 0 offset:1004
	;; [unrolled: 1-line block ×4, first 2 shown]
	s_waitcnt vmcnt(2)
	v_mul_f64 v[11:12], v[2:3], v[4:5]
	v_mul_f64 v[4:5], v[0:1], v[4:5]
	s_waitcnt vmcnt(0)
	v_fma_f64 v[0:1], v[0:1], v[8:9], -v[11:12]
	v_fma_f64 v[2:3], v[2:3], v[8:9], v[4:5]
	buffer_store_dword v0, off, s[0:3], 0 offset:992
	buffer_store_dword v1, off, s[0:3], 0 offset:996
	;; [unrolled: 1-line block ×4, first 2 shown]
.LBB124_1435:
	s_or_b64 exec, exec, s[4:5]
	v_cmp_gt_i32_e32 vcc, 63, v10
	v_ashrrev_i32_e32 v11, 31, v10
	s_waitcnt vmcnt(0)
	s_barrier
	s_and_saveexec_b64 s[4:5], vcc
	s_cbranch_execz .LBB124_1437
; %bb.1436:
	v_readlane_b32 s12, v61, 2
	v_readlane_b32 s13, v61, 3
	;; [unrolled: 1-line block ×8, first 2 shown]
	s_mov_b64 s[10:11], s[14:15]
	s_mov_b64 s[12:13], s[16:17]
	;; [unrolled: 1-line block ×3, first 2 shown]
	v_mul_lo_u32 v2, s15, v6
	v_mul_lo_u32 v3, s14, v7
	v_mad_u64_u32 v[0:1], s[14:15], s14, v6, 0
	v_add3_u32 v1, v1, v3, v2
	v_lshlrev_b64 v[0:1], 2, v[0:1]
	v_mov_b32_e32 v2, s11
	v_add_co_u32_e32 v0, vcc, s10, v0
	v_addc_co_u32_e32 v1, vcc, v2, v1, vcc
	s_lshl_b64 s[10:11], s[12:13], 2
	v_mov_b32_e32 v2, s11
	v_add_co_u32_e32 v3, vcc, s10, v0
	v_addc_co_u32_e32 v2, vcc, v1, v2, vcc
	v_lshlrev_b64 v[0:1], 2, v[10:11]
	v_add_co_u32_e32 v0, vcc, v3, v0
	v_addc_co_u32_e32 v1, vcc, v2, v1, vcc
	v_add3_u32 v2, v18, s21, 1
	global_store_dword v[0:1], v2, off
.LBB124_1437:
	s_or_b64 exec, exec, s[4:5]
	v_cmp_eq_u32_e32 vcc, 0, v10
	s_and_saveexec_b64 s[10:11], vcc
	s_cbranch_execz .LBB124_1440
; %bb.1438:
	v_lshlrev_b64 v[0:1], 2, v[6:7]
	v_readlane_b32 s4, v61, 13
	v_readlane_b32 s5, v61, 14
	v_mov_b32_e32 v2, s5
	v_add_co_u32_e32 v0, vcc, s4, v0
	v_addc_co_u32_e32 v1, vcc, v2, v1, vcc
	global_load_dword v2, v[0:1], off
	v_cmp_ne_u32_e64 s[4:5], 0, v17
	s_waitcnt vmcnt(0)
	v_cmp_eq_u32_e32 vcc, 0, v2
	s_and_b64 s[4:5], vcc, s[4:5]
	s_and_b64 exec, exec, s[4:5]
	s_cbranch_execz .LBB124_1440
; %bb.1439:
	v_add_u32_e32 v2, s21, v17
	global_store_dword v[0:1], v2, off
.LBB124_1440:
	s_or_b64 exec, exec, s[10:11]
	v_mov_b32_e32 v7, s83
	v_mov_b32_e32 v8, s82
	buffer_load_dword v0, off, s[0:3], 0
	buffer_load_dword v1, off, s[0:3], 0 offset:4
	buffer_load_dword v2, off, s[0:3], 0 offset:8
	;; [unrolled: 1-line block ×3, first 2 shown]
	buffer_load_dword v4, v7, s[0:3], 0 offen
	buffer_load_dword v5, v7, s[0:3], 0 offen offset:4
	buffer_load_dword v6, v7, s[0:3], 0 offen offset:8
	s_nop 0
	buffer_load_dword v7, v7, s[0:3], 0 offen offset:12
	v_mov_b32_e32 v9, s88
	buffer_load_dword v16, v8, s[0:3], 0 offen
	buffer_load_dword v17, v8, s[0:3], 0 offen offset:4
	buffer_load_dword v18, v8, s[0:3], 0 offen offset:8
	;; [unrolled: 1-line block ×3, first 2 shown]
	buffer_load_dword v20, v9, s[0:3], 0 offen
	buffer_load_dword v21, v9, s[0:3], 0 offen offset:4
	buffer_load_dword v22, v9, s[0:3], 0 offen offset:8
	buffer_load_dword v23, v9, s[0:3], 0 offen offset:12
	v_mov_b32_e32 v8, s86
	buffer_load_dword v24, v8, s[0:3], 0 offen
	buffer_load_dword v25, v8, s[0:3], 0 offen offset:4
	buffer_load_dword v26, v8, s[0:3], 0 offen offset:8
	buffer_load_dword v27, v8, s[0:3], 0 offen offset:12
	v_mov_b32_e32 v8, s81
	;; [unrolled: 5-line block ×3, first 2 shown]
	buffer_load_dword v32, v8, s[0:3], 0 offen
	buffer_load_dword v33, v8, s[0:3], 0 offen offset:4
	buffer_load_dword v34, v8, s[0:3], 0 offen offset:8
	;; [unrolled: 1-line block ×3, first 2 shown]
	v_lshlrev_b64 v[12:13], 4, v[10:11]
	v_readlane_b32 s4, v61, 10
	v_mov_b32_e32 v11, s79
	v_mov_b32_e32 v39, s78
	;; [unrolled: 1-line block ×3, first 2 shown]
	v_add_u32_e32 v44, s4, v10
	buffer_load_dword v8, v11, s[0:3], 0 offen
	buffer_load_dword v9, v11, s[0:3], 0 offen offset:4
	buffer_load_dword v10, v11, s[0:3], 0 offen offset:8
	s_nop 0
	buffer_load_dword v11, v11, s[0:3], 0 offen offset:12
	s_nop 0
	buffer_load_dword v36, v39, s[0:3], 0 offen
	buffer_load_dword v37, v39, s[0:3], 0 offen offset:4
	buffer_load_dword v38, v39, s[0:3], 0 offen offset:8
	s_nop 0
	buffer_load_dword v39, v39, s[0:3], 0 offen offset:12
	s_nop 0
	buffer_load_dword v40, v43, s[0:3], 0 offen
	buffer_load_dword v41, v43, s[0:3], 0 offen offset:4
	buffer_load_dword v42, v43, s[0:3], 0 offen offset:8
	s_nop 0
	buffer_load_dword v43, v43, s[0:3], 0 offen offset:12
	v_readlane_b32 s10, v61, 11
	v_add_co_u32_e32 v12, vcc, v14, v12
	v_readlane_b32 s11, v61, 12
	v_ashrrev_i32_e32 v45, 31, v44
	v_addc_co_u32_e32 v13, vcc, v15, v13, vcc
	v_mov_b32_e32 v49, s11
	v_add_u32_e32 v46, s6, v44
	v_lshlrev_b64 v[44:45], 4, v[44:45]
	v_add_co_u32_e32 v50, vcc, s10, v12
	v_ashrrev_i32_e32 v47, 31, v46
	v_addc_co_u32_e32 v51, vcc, v13, v49, vcc
	v_add_u32_e32 v48, s6, v46
	v_lshlrev_b64 v[46:47], 4, v[46:47]
	v_add_co_u32_e32 v44, vcc, v14, v44
	v_addc_co_u32_e32 v45, vcc, v15, v45, vcc
	v_add_co_u32_e32 v46, vcc, v14, v46
	v_mov_b32_e32 v54, s9
	v_addc_co_u32_e32 v47, vcc, v15, v47, vcc
	v_ashrrev_i32_e32 v49, 31, v48
	v_lshlrev_b64 v[52:53], 4, v[48:49]
	s_waitcnt vmcnt(36)
	global_store_dwordx4 v[12:13], v[0:3], off
	s_waitcnt vmcnt(33)
	global_store_dwordx4 v[50:51], v[4:7], off
	;; [unrolled: 2-line block ×4, first 2 shown]
	buffer_load_dword v0, v54, s[0:3], 0 offen
	buffer_load_dword v1, v54, s[0:3], 0 offen offset:4
	buffer_load_dword v2, v54, s[0:3], 0 offen offset:8
	;; [unrolled: 1-line block ×3, first 2 shown]
	v_add_co_u32_e32 v4, vcc, v14, v52
	v_addc_co_u32_e32 v5, vcc, v15, v53, vcc
	s_waitcnt vmcnt(28)
	global_store_dwordx4 v[4:5], v[24:27], off
	v_add_u32_e32 v12, s6, v48
	v_mov_b32_e32 v7, s77
	v_ashrrev_i32_e32 v13, 31, v12
	buffer_load_dword v4, v7, s[0:3], 0 offen
	buffer_load_dword v5, v7, s[0:3], 0 offen offset:4
	buffer_load_dword v6, v7, s[0:3], 0 offen offset:8
	s_nop 0
	buffer_load_dword v7, v7, s[0:3], 0 offen offset:12
	v_lshlrev_b64 v[16:17], 4, v[12:13]
	v_add_u32_e32 v12, s6, v12
	v_add_co_u32_e32 v16, vcc, v14, v16
	v_addc_co_u32_e32 v17, vcc, v15, v17, vcc
	v_ashrrev_i32_e32 v13, 31, v12
	s_waitcnt vmcnt(29)
	global_store_dwordx4 v[16:17], v[28:31], off
	v_lshlrev_b64 v[20:21], 4, v[12:13]
	v_mov_b32_e32 v13, s76
	buffer_load_dword v16, v13, s[0:3], 0 offen
	buffer_load_dword v17, v13, s[0:3], 0 offen offset:4
	buffer_load_dword v18, v13, s[0:3], 0 offen offset:8
	;; [unrolled: 1-line block ×3, first 2 shown]
	v_add_co_u32_e32 v20, vcc, v14, v20
	v_add_u32_e32 v12, s6, v12
	v_addc_co_u32_e32 v21, vcc, v15, v21, vcc
	v_ashrrev_i32_e32 v13, 31, v12
	s_waitcnt vmcnt(30)
	global_store_dwordx4 v[20:21], v[32:35], off
	v_lshlrev_b64 v[24:25], 4, v[12:13]
	v_mov_b32_e32 v13, s75
	buffer_load_dword v20, v13, s[0:3], 0 offen
	buffer_load_dword v21, v13, s[0:3], 0 offen offset:4
	buffer_load_dword v22, v13, s[0:3], 0 offen offset:8
	;; [unrolled: 1-line block ×3, first 2 shown]
	v_add_co_u32_e32 v24, vcc, v14, v24
	v_addc_co_u32_e32 v25, vcc, v15, v25, vcc
	s_waitcnt vmcnt(31)
	global_store_dwordx4 v[24:25], v[8:11], off
	v_add_u32_e32 v12, s6, v12
	v_mov_b32_e32 v11, s74
	buffer_load_dword v8, v11, s[0:3], 0 offen
	buffer_load_dword v9, v11, s[0:3], 0 offen offset:4
	buffer_load_dword v10, v11, s[0:3], 0 offen offset:8
	s_nop 0
	buffer_load_dword v11, v11, s[0:3], 0 offen offset:12
	v_ashrrev_i32_e32 v13, 31, v12
	v_lshlrev_b64 v[24:25], 4, v[12:13]
	v_add_u32_e32 v12, s6, v12
	v_add_co_u32_e32 v24, vcc, v14, v24
	v_addc_co_u32_e32 v25, vcc, v15, v25, vcc
	v_ashrrev_i32_e32 v13, 31, v12
	s_waitcnt vmcnt(32)
	global_store_dwordx4 v[24:25], v[36:39], off
	v_lshlrev_b64 v[28:29], 4, v[12:13]
	v_mov_b32_e32 v13, s73
	buffer_load_dword v24, v13, s[0:3], 0 offen
	buffer_load_dword v25, v13, s[0:3], 0 offen offset:4
	buffer_load_dword v26, v13, s[0:3], 0 offen offset:8
	buffer_load_dword v27, v13, s[0:3], 0 offen offset:12
	v_add_co_u32_e32 v28, vcc, v14, v28
	v_add_u32_e32 v12, s6, v12
	v_addc_co_u32_e32 v29, vcc, v15, v29, vcc
	v_ashrrev_i32_e32 v13, 31, v12
	s_waitcnt vmcnt(33)
	global_store_dwordx4 v[28:29], v[40:43], off
	v_lshlrev_b64 v[32:33], 4, v[12:13]
	v_mov_b32_e32 v13, s72
	buffer_load_dword v28, v13, s[0:3], 0 offen
	buffer_load_dword v29, v13, s[0:3], 0 offen offset:4
	buffer_load_dword v30, v13, s[0:3], 0 offen offset:8
	buffer_load_dword v31, v13, s[0:3], 0 offen offset:12
	v_add_co_u32_e32 v32, vcc, v14, v32
	v_add_u32_e32 v12, s6, v12
	;; [unrolled: 12-line block ×17, first 2 shown]
	v_addc_co_u32_e32 v33, vcc, v15, v33, vcc
	v_ashrrev_i32_e32 v13, 31, v12
	s_waitcnt vmcnt(30)
	global_store_dwordx4 v[32:33], v[4:7], off
	v_lshlrev_b64 v[32:33], 4, v[12:13]
	v_mov_b32_e32 v13, s56
	buffer_load_dword v4, v13, s[0:3], 0 offen
	buffer_load_dword v5, v13, s[0:3], 0 offen offset:4
	buffer_load_dword v6, v13, s[0:3], 0 offen offset:8
	;; [unrolled: 1-line block ×3, first 2 shown]
	v_add_co_u32_e32 v32, vcc, v14, v32
	v_addc_co_u32_e32 v33, vcc, v15, v33, vcc
	v_mov_b32_e32 v13, s55
	v_add_u32_e32 v12, s6, v12
	s_waitcnt vmcnt(30)
	global_store_dwordx4 v[32:33], v[16:19], off
	buffer_load_dword v16, v13, s[0:3], 0 offen
	s_nop 0
	buffer_load_dword v17, v13, s[0:3], 0 offen offset:4
	buffer_load_dword v18, v13, s[0:3], 0 offen offset:8
	;; [unrolled: 1-line block ×3, first 2 shown]
	v_ashrrev_i32_e32 v13, 31, v12
	v_lshlrev_b64 v[32:33], 4, v[12:13]
	v_add_u32_e32 v12, s6, v12
	v_add_co_u32_e32 v32, vcc, v14, v32
	v_addc_co_u32_e32 v33, vcc, v15, v33, vcc
	v_mov_b32_e32 v13, s54
	s_waitcnt vmcnt(30)
	global_store_dwordx4 v[32:33], v[20:23], off
	buffer_load_dword v20, v13, s[0:3], 0 offen
	s_nop 0
	buffer_load_dword v21, v13, s[0:3], 0 offen offset:4
	buffer_load_dword v22, v13, s[0:3], 0 offen offset:8
	;; [unrolled: 1-line block ×3, first 2 shown]
	v_ashrrev_i32_e32 v13, 31, v12
	v_lshlrev_b64 v[32:33], 4, v[12:13]
	v_mov_b32_e32 v13, s53
	v_add_co_u32_e32 v32, vcc, v14, v32
	v_addc_co_u32_e32 v33, vcc, v15, v33, vcc
	v_add_u32_e32 v12, s6, v12
	s_waitcnt vmcnt(30)
	global_store_dwordx4 v[32:33], v[8:11], off
	buffer_load_dword v8, v13, s[0:3], 0 offen
	s_nop 0
	buffer_load_dword v9, v13, s[0:3], 0 offen offset:4
	buffer_load_dword v10, v13, s[0:3], 0 offen offset:8
	;; [unrolled: 1-line block ×3, first 2 shown]
	v_ashrrev_i32_e32 v13, 31, v12
	v_lshlrev_b64 v[32:33], 4, v[12:13]
	v_mov_b32_e32 v13, s52
	v_add_co_u32_e32 v32, vcc, v14, v32
	v_addc_co_u32_e32 v33, vcc, v15, v33, vcc
	v_add_u32_e32 v12, s6, v12
	s_waitcnt vmcnt(30)
	global_store_dwordx4 v[32:33], v[24:27], off
	buffer_load_dword v24, v13, s[0:3], 0 offen
	s_nop 0
	buffer_load_dword v25, v13, s[0:3], 0 offen offset:4
	buffer_load_dword v26, v13, s[0:3], 0 offen offset:8
	buffer_load_dword v27, v13, s[0:3], 0 offen offset:12
	v_ashrrev_i32_e32 v13, 31, v12
	v_lshlrev_b64 v[32:33], 4, v[12:13]
	v_add_u32_e32 v12, s6, v12
	v_add_co_u32_e32 v32, vcc, v14, v32
	v_addc_co_u32_e32 v33, vcc, v15, v33, vcc
	v_ashrrev_i32_e32 v13, 31, v12
	s_waitcnt vmcnt(30)
	global_store_dwordx4 v[32:33], v[28:31], off
	v_lshlrev_b64 v[32:33], 4, v[12:13]
	v_mov_b32_e32 v13, s51
	buffer_load_dword v28, v13, s[0:3], 0 offen
	buffer_load_dword v29, v13, s[0:3], 0 offen offset:4
	buffer_load_dword v30, v13, s[0:3], 0 offen offset:8
	;; [unrolled: 1-line block ×3, first 2 shown]
	v_add_co_u32_e32 v32, vcc, v14, v32
	v_add_u32_e32 v12, s6, v12
	v_addc_co_u32_e32 v33, vcc, v15, v33, vcc
	v_ashrrev_i32_e32 v13, 31, v12
	s_waitcnt vmcnt(30)
	global_store_dwordx4 v[32:33], v[0:3], off
	v_lshlrev_b64 v[32:33], 4, v[12:13]
	v_mov_b32_e32 v13, s50
	buffer_load_dword v0, v13, s[0:3], 0 offen
	buffer_load_dword v1, v13, s[0:3], 0 offen offset:4
	buffer_load_dword v2, v13, s[0:3], 0 offen offset:8
	;; [unrolled: 1-line block ×3, first 2 shown]
	v_add_co_u32_e32 v32, vcc, v14, v32
	v_addc_co_u32_e32 v33, vcc, v15, v33, vcc
	s_waitcnt vmcnt(30)
	global_store_dwordx4 v[32:33], v[4:7], off
	s_nop 0
	v_add_u32_e32 v4, s6, v12
	v_ashrrev_i32_e32 v5, 31, v4
	v_lshlrev_b64 v[5:6], 4, v[4:5]
	v_add_u32_e32 v12, s6, v4
	v_add_co_u32_e32 v5, vcc, v14, v5
	v_addc_co_u32_e32 v6, vcc, v15, v6, vcc
	v_ashrrev_i32_e32 v13, 31, v12
	s_waitcnt vmcnt(26)
	global_store_dwordx4 v[5:6], v[16:19], off
	s_nop 0
	v_lshlrev_b64 v[16:17], 4, v[12:13]
	v_mov_b32_e32 v13, s49
	buffer_load_dword v4, v13, s[0:3], 0 offen
	buffer_load_dword v5, v13, s[0:3], 0 offen offset:4
	buffer_load_dword v6, v13, s[0:3], 0 offen offset:8
	;; [unrolled: 1-line block ×3, first 2 shown]
	v_add_co_u32_e32 v16, vcc, v14, v16
	v_add_u32_e32 v12, s6, v12
	v_addc_co_u32_e32 v17, vcc, v15, v17, vcc
	v_ashrrev_i32_e32 v13, 31, v12
	s_waitcnt vmcnt(26)
	global_store_dwordx4 v[16:17], v[20:23], off
	s_nop 0
	v_lshlrev_b64 v[20:21], 4, v[12:13]
	v_mov_b32_e32 v13, s47
	buffer_load_dword v16, v13, s[0:3], 0 offen
	buffer_load_dword v17, v13, s[0:3], 0 offen offset:4
	buffer_load_dword v18, v13, s[0:3], 0 offen offset:8
	;; [unrolled: 1-line block ×3, first 2 shown]
	v_add_co_u32_e32 v20, vcc, v14, v20
	v_add_u32_e32 v12, s6, v12
	v_addc_co_u32_e32 v21, vcc, v15, v21, vcc
	v_ashrrev_i32_e32 v13, 31, v12
	s_waitcnt vmcnt(26)
	global_store_dwordx4 v[20:21], v[8:11], off
	v_lshlrev_b64 v[20:21], 4, v[12:13]
	v_mov_b32_e32 v13, s46
	buffer_load_dword v8, v13, s[0:3], 0 offen
	buffer_load_dword v9, v13, s[0:3], 0 offen offset:4
	buffer_load_dword v10, v13, s[0:3], 0 offen offset:8
	;; [unrolled: 1-line block ×3, first 2 shown]
	v_add_co_u32_e32 v20, vcc, v14, v20
	v_add_u32_e32 v12, s6, v12
	v_addc_co_u32_e32 v21, vcc, v15, v21, vcc
	v_ashrrev_i32_e32 v13, 31, v12
	s_waitcnt vmcnt(26)
	global_store_dwordx4 v[20:21], v[24:27], off
	v_lshlrev_b64 v[32:33], 4, v[12:13]
	v_mov_b32_e32 v13, s45
	buffer_load_dword v20, v13, s[0:3], 0 offen
	buffer_load_dword v21, v13, s[0:3], 0 offen offset:4
	buffer_load_dword v22, v13, s[0:3], 0 offen offset:8
	;; [unrolled: 1-line block ×3, first 2 shown]
	v_mov_b32_e32 v13, s44
	buffer_load_dword v24, v13, s[0:3], 0 offen
	buffer_load_dword v25, v13, s[0:3], 0 offen offset:4
	buffer_load_dword v26, v13, s[0:3], 0 offen offset:8
	;; [unrolled: 1-line block ×3, first 2 shown]
	v_add_co_u32_e32 v32, vcc, v14, v32
	v_add_u32_e32 v12, s6, v12
	v_addc_co_u32_e32 v33, vcc, v15, v33, vcc
	v_ashrrev_i32_e32 v13, 31, v12
	s_waitcnt vmcnt(30)
	global_store_dwordx4 v[32:33], v[28:31], off
	v_lshlrev_b64 v[32:33], 4, v[12:13]
	v_mov_b32_e32 v13, s43
	buffer_load_dword v28, v13, s[0:3], 0 offen
	buffer_load_dword v29, v13, s[0:3], 0 offen offset:4
	buffer_load_dword v30, v13, s[0:3], 0 offen offset:8
	;; [unrolled: 1-line block ×3, first 2 shown]
	v_add_co_u32_e32 v32, vcc, v14, v32
	v_addc_co_u32_e32 v33, vcc, v15, v33, vcc
	v_mov_b32_e32 v13, s42
	v_add_u32_e32 v12, s6, v12
	s_waitcnt vmcnt(30)
	global_store_dwordx4 v[32:33], v[0:3], off
	buffer_load_dword v0, v13, s[0:3], 0 offen
	s_nop 0
	buffer_load_dword v1, v13, s[0:3], 0 offen offset:4
	buffer_load_dword v2, v13, s[0:3], 0 offen offset:8
	;; [unrolled: 1-line block ×3, first 2 shown]
	v_ashrrev_i32_e32 v13, 31, v12
	v_lshlrev_b64 v[36:37], 4, v[12:13]
	v_mov_b32_e32 v13, s41
	buffer_load_dword v32, v13, s[0:3], 0 offen
	buffer_load_dword v33, v13, s[0:3], 0 offen offset:4
	buffer_load_dword v34, v13, s[0:3], 0 offen offset:8
	buffer_load_dword v35, v13, s[0:3], 0 offen offset:12
	v_add_co_u32_e32 v36, vcc, v14, v36
	v_add_u32_e32 v12, s6, v12
	v_addc_co_u32_e32 v37, vcc, v15, v37, vcc
	v_ashrrev_i32_e32 v13, 31, v12
	s_waitcnt vmcnt(33)
	global_store_dwordx4 v[36:37], v[4:7], off
	v_lshlrev_b64 v[36:37], 4, v[12:13]
	v_mov_b32_e32 v13, s40
	buffer_load_dword v4, v13, s[0:3], 0 offen
	buffer_load_dword v5, v13, s[0:3], 0 offen offset:4
	buffer_load_dword v6, v13, s[0:3], 0 offen offset:8
	buffer_load_dword v7, v13, s[0:3], 0 offen offset:12
	v_add_co_u32_e32 v36, vcc, v14, v36
	v_add_u32_e32 v12, s6, v12
	v_addc_co_u32_e32 v37, vcc, v15, v37, vcc
	v_ashrrev_i32_e32 v13, 31, v12
	s_waitcnt vmcnt(33)
	global_store_dwordx4 v[36:37], v[16:19], off
	;; [unrolled: 12-line block ×4, first 2 shown]
	s_nop 0
	v_lshlrev_b64 v[20:21], 4, v[12:13]
	v_add_u32_e32 v12, s6, v12
	v_add_co_u32_e32 v20, vcc, v14, v20
	v_addc_co_u32_e32 v21, vcc, v15, v21, vcc
	v_ashrrev_i32_e32 v13, 31, v12
	s_waitcnt vmcnt(30)
	global_store_dwordx4 v[20:21], v[24:27], off
	s_nop 0
	v_lshlrev_b64 v[24:25], 4, v[12:13]
	v_mov_b32_e32 v13, s37
	buffer_load_dword v20, v13, s[0:3], 0 offen
	buffer_load_dword v21, v13, s[0:3], 0 offen offset:4
	buffer_load_dword v22, v13, s[0:3], 0 offen offset:8
	buffer_load_dword v23, v13, s[0:3], 0 offen offset:12
	v_add_co_u32_e32 v24, vcc, v14, v24
	v_add_u32_e32 v12, s6, v12
	v_addc_co_u32_e32 v25, vcc, v15, v25, vcc
	v_ashrrev_i32_e32 v13, 31, v12
	s_waitcnt vmcnt(30)
	global_store_dwordx4 v[24:25], v[28:31], off
	v_lshlrev_b64 v[24:25], 4, v[12:13]
	v_add_u32_e32 v12, s6, v12
	v_add_co_u32_e32 v24, vcc, v14, v24
	v_addc_co_u32_e32 v25, vcc, v15, v25, vcc
	v_ashrrev_i32_e32 v13, 31, v12
	s_waitcnt vmcnt(26)
	global_store_dwordx4 v[24:25], v[0:3], off
	s_nop 0
	v_lshlrev_b64 v[0:1], 4, v[12:13]
	v_mov_b32_e32 v13, s36
	v_add_co_u32_e32 v0, vcc, v14, v0
	v_addc_co_u32_e32 v1, vcc, v15, v1, vcc
	s_waitcnt vmcnt(23)
	global_store_dwordx4 v[0:1], v[32:35], off
	buffer_load_dword v0, v13, s[0:3], 0 offen
	s_nop 0
	buffer_load_dword v1, v13, s[0:3], 0 offen offset:4
	buffer_load_dword v2, v13, s[0:3], 0 offen offset:8
	;; [unrolled: 1-line block ×3, first 2 shown]
	v_add_u32_e32 v12, s6, v12
	v_ashrrev_i32_e32 v13, 31, v12
	v_lshlrev_b64 v[24:25], 4, v[12:13]
	v_add_u32_e32 v12, s6, v12
	v_add_co_u32_e32 v24, vcc, v14, v24
	v_addc_co_u32_e32 v25, vcc, v15, v25, vcc
	v_ashrrev_i32_e32 v13, 31, v12
	s_waitcnt vmcnt(23)
	global_store_dwordx4 v[24:25], v[4:7], off
	v_lshlrev_b64 v[24:25], 4, v[12:13]
	v_mov_b32_e32 v13, s35
	buffer_load_dword v4, v13, s[0:3], 0 offen
	buffer_load_dword v5, v13, s[0:3], 0 offen offset:4
	buffer_load_dword v6, v13, s[0:3], 0 offen offset:8
	;; [unrolled: 1-line block ×3, first 2 shown]
	v_add_co_u32_e32 v24, vcc, v14, v24
	v_add_u32_e32 v12, s6, v12
	v_addc_co_u32_e32 v25, vcc, v15, v25, vcc
	v_ashrrev_i32_e32 v13, 31, v12
	s_waitcnt vmcnt(23)
	global_store_dwordx4 v[24:25], v[16:19], off
	v_lshlrev_b64 v[24:25], 4, v[12:13]
	v_mov_b32_e32 v13, s34
	buffer_load_dword v16, v13, s[0:3], 0 offen
	buffer_load_dword v17, v13, s[0:3], 0 offen offset:4
	buffer_load_dword v18, v13, s[0:3], 0 offen offset:8
	buffer_load_dword v19, v13, s[0:3], 0 offen offset:12
	v_add_co_u32_e32 v24, vcc, v14, v24
	v_addc_co_u32_e32 v25, vcc, v15, v25, vcc
	v_mov_b32_e32 v13, s33
	v_add_u32_e32 v12, s6, v12
	s_waitcnt vmcnt(23)
	global_store_dwordx4 v[24:25], v[8:11], off
	buffer_load_dword v8, v13, s[0:3], 0 offen
	s_nop 0
	buffer_load_dword v9, v13, s[0:3], 0 offen offset:4
	buffer_load_dword v10, v13, s[0:3], 0 offen offset:8
	buffer_load_dword v11, v13, s[0:3], 0 offen offset:12
	v_ashrrev_i32_e32 v13, 31, v12
	v_lshlrev_b64 v[32:33], 4, v[12:13]
	v_mov_b32_e32 v13, s31
	buffer_load_dword v24, v13, s[0:3], 0 offen
	buffer_load_dword v25, v13, s[0:3], 0 offen offset:4
	buffer_load_dword v26, v13, s[0:3], 0 offen offset:8
	;; [unrolled: 1-line block ×3, first 2 shown]
	v_mov_b32_e32 v13, s30
	buffer_load_dword v28, v13, s[0:3], 0 offen
	buffer_load_dword v29, v13, s[0:3], 0 offen offset:4
	buffer_load_dword v30, v13, s[0:3], 0 offen offset:8
	;; [unrolled: 1-line block ×3, first 2 shown]
	v_add_co_u32_e32 v32, vcc, v14, v32
	v_addc_co_u32_e32 v33, vcc, v15, v33, vcc
	v_mov_b32_e32 v13, s29
	v_add_u32_e32 v12, s6, v12
	s_waitcnt vmcnt(30)
	global_store_dwordx4 v[32:33], v[20:23], off
	buffer_load_dword v20, v13, s[0:3], 0 offen
	s_nop 0
	buffer_load_dword v21, v13, s[0:3], 0 offen offset:4
	buffer_load_dword v22, v13, s[0:3], 0 offen offset:8
	;; [unrolled: 1-line block ×3, first 2 shown]
	v_ashrrev_i32_e32 v13, 31, v12
	v_lshlrev_b64 v[36:37], 4, v[12:13]
	v_mov_b32_e32 v13, s28
	buffer_load_dword v32, v13, s[0:3], 0 offen
	buffer_load_dword v33, v13, s[0:3], 0 offen offset:4
	buffer_load_dword v34, v13, s[0:3], 0 offen offset:8
	;; [unrolled: 1-line block ×3, first 2 shown]
	v_add_co_u32_e32 v40, vcc, v14, v36
	v_mov_b32_e32 v13, s27
	v_addc_co_u32_e32 v41, vcc, v15, v37, vcc
	buffer_load_dword v36, v13, s[0:3], 0 offen
	buffer_load_dword v37, v13, s[0:3], 0 offen offset:4
	buffer_load_dword v38, v13, s[0:3], 0 offen offset:8
	;; [unrolled: 1-line block ×3, first 2 shown]
	v_add_u32_e32 v12, s6, v12
	v_ashrrev_i32_e32 v13, 31, v12
	v_lshlrev_b64 v[44:45], 4, v[12:13]
	v_mov_b32_e32 v13, s20
	v_add_co_u32_e32 v44, vcc, v14, v44
	v_addc_co_u32_e32 v45, vcc, v15, v45, vcc
	v_add_u32_e32 v12, s6, v12
	s_waitcnt vmcnt(36)
	global_store_dwordx4 v[40:41], v[0:3], off
	v_mov_b32_e32 v40, s26
	buffer_load_dword v0, v40, s[0:3], 0 offen
	buffer_load_dword v1, v40, s[0:3], 0 offen offset:4
	buffer_load_dword v2, v40, s[0:3], 0 offen offset:8
	;; [unrolled: 1-line block ×3, first 2 shown]
	s_nop 0
	buffer_load_dword v40, v13, s[0:3], 0 offen
	buffer_load_dword v41, v13, s[0:3], 0 offen offset:4
	buffer_load_dword v42, v13, s[0:3], 0 offen offset:8
	;; [unrolled: 1-line block ×3, first 2 shown]
	v_mov_b32_e32 v13, s7
	s_waitcnt vmcnt(40)
	global_store_dwordx4 v[44:45], v[4:7], off
	buffer_load_dword v4, v13, s[0:3], 0 offen
	s_nop 0
	buffer_load_dword v5, v13, s[0:3], 0 offen offset:4
	buffer_load_dword v6, v13, s[0:3], 0 offen offset:8
	buffer_load_dword v7, v13, s[0:3], 0 offen offset:12
	v_ashrrev_i32_e32 v13, 31, v12
	v_lshlrev_b64 v[44:45], 4, v[12:13]
	v_add_u32_e32 v12, s6, v12
	v_add_co_u32_e32 v44, vcc, v14, v44
	v_addc_co_u32_e32 v45, vcc, v15, v45, vcc
	v_ashrrev_i32_e32 v13, 31, v12
	s_waitcnt vmcnt(40)
	global_store_dwordx4 v[44:45], v[16:19], off
	s_nop 0
	v_lshlrev_b64 v[16:17], 4, v[12:13]
	v_add_co_u32_e32 v16, vcc, v14, v16
	v_addc_co_u32_e32 v17, vcc, v15, v17, vcc
	s_waitcnt vmcnt(36)
	global_store_dwordx4 v[16:17], v[8:11], off
	s_nop 0
	v_add_u32_e32 v8, s6, v12
	v_ashrrev_i32_e32 v9, 31, v8
	v_lshlrev_b64 v[9:10], 4, v[8:9]
	v_add_u32_e32 v8, s6, v8
	v_add_co_u32_e32 v9, vcc, v14, v9
	v_addc_co_u32_e32 v10, vcc, v15, v10, vcc
	s_waitcnt vmcnt(33)
	global_store_dwordx4 v[9:10], v[24:27], off
	v_ashrrev_i32_e32 v9, 31, v8
	v_lshlrev_b64 v[9:10], 4, v[8:9]
	v_add_u32_e32 v8, s6, v8
	v_add_co_u32_e32 v9, vcc, v14, v9
	v_addc_co_u32_e32 v10, vcc, v15, v10, vcc
	s_waitcnt vmcnt(30)
	global_store_dwordx4 v[9:10], v[28:31], off
	;; [unrolled: 7-line block ×5, first 2 shown]
	v_ashrrev_i32_e32 v9, 31, v8
	v_lshlrev_b64 v[9:10], 4, v[8:9]
	v_add_co_u32_e32 v9, vcc, v14, v9
	v_addc_co_u32_e32 v10, vcc, v15, v10, vcc
	s_waitcnt vmcnt(16)
	global_store_dwordx4 v[9:10], v[0:3], off
	s_nop 0
	v_add_u32_e32 v0, s6, v8
	v_ashrrev_i32_e32 v1, 31, v0
	v_lshlrev_b64 v[1:2], 4, v[0:1]
	v_add_u32_e32 v0, s6, v0
	v_add_co_u32_e32 v1, vcc, v14, v1
	v_addc_co_u32_e32 v2, vcc, v15, v2, vcc
	s_waitcnt vmcnt(13)
	global_store_dwordx4 v[1:2], v[40:43], off
	v_ashrrev_i32_e32 v1, 31, v0
	v_lshlrev_b64 v[0:1], 4, v[0:1]
	v_add_co_u32_e32 v0, vcc, v14, v0
	v_addc_co_u32_e32 v1, vcc, v15, v1, vcc
	s_waitcnt vmcnt(9)
	global_store_dwordx4 v[0:1], v[4:7], off
.LBB124_1441:
	s_endpgm
	.section	.rodata,"a",@progbits
	.p2align	6, 0x0
	.amdhsa_kernel _ZN9rocsolver6v33100L18getf2_small_kernelILi63E19rocblas_complex_numIdEiiPS3_EEvT1_T3_lS5_lPS5_llPT2_S5_S5_S7_l
		.amdhsa_group_segment_fixed_size 0
		.amdhsa_private_segment_fixed_size 1024
		.amdhsa_kernarg_size 352
		.amdhsa_user_sgpr_count 6
		.amdhsa_user_sgpr_private_segment_buffer 1
		.amdhsa_user_sgpr_dispatch_ptr 0
		.amdhsa_user_sgpr_queue_ptr 0
		.amdhsa_user_sgpr_kernarg_segment_ptr 1
		.amdhsa_user_sgpr_dispatch_id 0
		.amdhsa_user_sgpr_flat_scratch_init 0
		.amdhsa_user_sgpr_private_segment_size 0
		.amdhsa_uses_dynamic_stack 0
		.amdhsa_system_sgpr_private_segment_wavefront_offset 1
		.amdhsa_system_sgpr_workgroup_id_x 1
		.amdhsa_system_sgpr_workgroup_id_y 1
		.amdhsa_system_sgpr_workgroup_id_z 0
		.amdhsa_system_sgpr_workgroup_info 0
		.amdhsa_system_vgpr_workitem_id 1
		.amdhsa_next_free_vgpr 62
		.amdhsa_next_free_sgpr 100
		.amdhsa_reserve_vcc 1
		.amdhsa_reserve_flat_scratch 0
		.amdhsa_float_round_mode_32 0
		.amdhsa_float_round_mode_16_64 0
		.amdhsa_float_denorm_mode_32 3
		.amdhsa_float_denorm_mode_16_64 3
		.amdhsa_dx10_clamp 1
		.amdhsa_ieee_mode 1
		.amdhsa_fp16_overflow 0
		.amdhsa_exception_fp_ieee_invalid_op 0
		.amdhsa_exception_fp_denorm_src 0
		.amdhsa_exception_fp_ieee_div_zero 0
		.amdhsa_exception_fp_ieee_overflow 0
		.amdhsa_exception_fp_ieee_underflow 0
		.amdhsa_exception_fp_ieee_inexact 0
		.amdhsa_exception_int_div_zero 0
	.end_amdhsa_kernel
	.section	.text._ZN9rocsolver6v33100L18getf2_small_kernelILi63E19rocblas_complex_numIdEiiPS3_EEvT1_T3_lS5_lPS5_llPT2_S5_S5_S7_l,"axG",@progbits,_ZN9rocsolver6v33100L18getf2_small_kernelILi63E19rocblas_complex_numIdEiiPS3_EEvT1_T3_lS5_lPS5_llPT2_S5_S5_S7_l,comdat
.Lfunc_end124:
	.size	_ZN9rocsolver6v33100L18getf2_small_kernelILi63E19rocblas_complex_numIdEiiPS3_EEvT1_T3_lS5_lPS5_llPT2_S5_S5_S7_l, .Lfunc_end124-_ZN9rocsolver6v33100L18getf2_small_kernelILi63E19rocblas_complex_numIdEiiPS3_EEvT1_T3_lS5_lPS5_llPT2_S5_S5_S7_l
                                        ; -- End function
	.set _ZN9rocsolver6v33100L18getf2_small_kernelILi63E19rocblas_complex_numIdEiiPS3_EEvT1_T3_lS5_lPS5_llPT2_S5_S5_S7_l.num_vgpr, 62
	.set _ZN9rocsolver6v33100L18getf2_small_kernelILi63E19rocblas_complex_numIdEiiPS3_EEvT1_T3_lS5_lPS5_llPT2_S5_S5_S7_l.num_agpr, 0
	.set _ZN9rocsolver6v33100L18getf2_small_kernelILi63E19rocblas_complex_numIdEiiPS3_EEvT1_T3_lS5_lPS5_llPT2_S5_S5_S7_l.numbered_sgpr, 100
	.set _ZN9rocsolver6v33100L18getf2_small_kernelILi63E19rocblas_complex_numIdEiiPS3_EEvT1_T3_lS5_lPS5_llPT2_S5_S5_S7_l.num_named_barrier, 0
	.set _ZN9rocsolver6v33100L18getf2_small_kernelILi63E19rocblas_complex_numIdEiiPS3_EEvT1_T3_lS5_lPS5_llPT2_S5_S5_S7_l.private_seg_size, 1024
	.set _ZN9rocsolver6v33100L18getf2_small_kernelILi63E19rocblas_complex_numIdEiiPS3_EEvT1_T3_lS5_lPS5_llPT2_S5_S5_S7_l.uses_vcc, 1
	.set _ZN9rocsolver6v33100L18getf2_small_kernelILi63E19rocblas_complex_numIdEiiPS3_EEvT1_T3_lS5_lPS5_llPT2_S5_S5_S7_l.uses_flat_scratch, 0
	.set _ZN9rocsolver6v33100L18getf2_small_kernelILi63E19rocblas_complex_numIdEiiPS3_EEvT1_T3_lS5_lPS5_llPT2_S5_S5_S7_l.has_dyn_sized_stack, 0
	.set _ZN9rocsolver6v33100L18getf2_small_kernelILi63E19rocblas_complex_numIdEiiPS3_EEvT1_T3_lS5_lPS5_llPT2_S5_S5_S7_l.has_recursion, 0
	.set _ZN9rocsolver6v33100L18getf2_small_kernelILi63E19rocblas_complex_numIdEiiPS3_EEvT1_T3_lS5_lPS5_llPT2_S5_S5_S7_l.has_indirect_call, 0
	.section	.AMDGPU.csdata,"",@progbits
; Kernel info:
; codeLenInByte = 203736
; TotalNumSgprs: 104
; NumVgprs: 62
; ScratchSize: 1024
; MemoryBound: 0
; FloatMode: 240
; IeeeMode: 1
; LDSByteSize: 0 bytes/workgroup (compile time only)
; SGPRBlocks: 12
; VGPRBlocks: 15
; NumSGPRsForWavesPerEU: 104
; NumVGPRsForWavesPerEU: 62
; Occupancy: 4
; WaveLimiterHint : 1
; COMPUTE_PGM_RSRC2:SCRATCH_EN: 1
; COMPUTE_PGM_RSRC2:USER_SGPR: 6
; COMPUTE_PGM_RSRC2:TRAP_HANDLER: 0
; COMPUTE_PGM_RSRC2:TGID_X_EN: 1
; COMPUTE_PGM_RSRC2:TGID_Y_EN: 1
; COMPUTE_PGM_RSRC2:TGID_Z_EN: 0
; COMPUTE_PGM_RSRC2:TIDIG_COMP_CNT: 1
	.section	.text._ZN9rocsolver6v33100L23getf2_npvt_small_kernelILi63E19rocblas_complex_numIdEiiPS3_EEvT1_T3_lS5_lPT2_S5_S5_,"axG",@progbits,_ZN9rocsolver6v33100L23getf2_npvt_small_kernelILi63E19rocblas_complex_numIdEiiPS3_EEvT1_T3_lS5_lPT2_S5_S5_,comdat
	.globl	_ZN9rocsolver6v33100L23getf2_npvt_small_kernelILi63E19rocblas_complex_numIdEiiPS3_EEvT1_T3_lS5_lPT2_S5_S5_ ; -- Begin function _ZN9rocsolver6v33100L23getf2_npvt_small_kernelILi63E19rocblas_complex_numIdEiiPS3_EEvT1_T3_lS5_lPT2_S5_S5_
	.p2align	8
	.type	_ZN9rocsolver6v33100L23getf2_npvt_small_kernelILi63E19rocblas_complex_numIdEiiPS3_EEvT1_T3_lS5_lPT2_S5_S5_,@function
_ZN9rocsolver6v33100L23getf2_npvt_small_kernelILi63E19rocblas_complex_numIdEiiPS3_EEvT1_T3_lS5_lPT2_S5_S5_: ; @_ZN9rocsolver6v33100L23getf2_npvt_small_kernelILi63E19rocblas_complex_numIdEiiPS3_EEvT1_T3_lS5_lPT2_S5_S5_
; %bb.0:
	s_load_dword s6, s[4:5], 0x44
	s_load_dwordx2 s[76:77], s[4:5], 0x30
	s_add_u32 s0, s0, s8
	s_addc_u32 s1, s1, 0
	s_waitcnt lgkmcnt(0)
	s_lshr_b32 s12, s6, 16
	s_mul_i32 s7, s7, s12
	v_add_u32_e32 v8, s7, v1
	v_cmp_gt_i32_e32 vcc, s76, v8
	s_and_saveexec_b64 s[6:7], vcc
	s_cbranch_execnz .LBB125_1
; %bb.688:
	s_getpc_b64 s[98:99]
.Lpost_getpc39:
	s_add_u32 s98, s98, (.LBB125_687-.Lpost_getpc39)&4294967295
	s_addc_u32 s99, s99, (.LBB125_687-.Lpost_getpc39)>>32
	s_setpc_b64 s[98:99]
.LBB125_1:
	s_load_dwordx4 s[8:11], s[4:5], 0x8
	s_load_dword s6, s[4:5], 0x18
	s_load_dwordx4 s[80:83], s[4:5], 0x20
	v_ashrrev_i32_e32 v9, 31, v8
	s_movk_i32 s13, 0x60
	s_movk_i32 s14, 0x70
	s_waitcnt lgkmcnt(0)
	s_ashr_i32 s7, s6, 31
	v_mul_lo_u32 v4, s81, v8
	v_mul_lo_u32 v5, s80, v9
	v_mad_u64_u32 v[2:3], s[4:5], s80, v8, 0
	s_lshl_b64 s[4:5], s[10:11], 4
	s_movk_i32 s15, 0x80
	v_add3_u32 v3, v3, v5, v4
	v_lshlrev_b64 v[2:3], 4, v[2:3]
	v_mov_b32_e32 v4, s9
	v_add_co_u32_e32 v2, vcc, s8, v2
	v_addc_co_u32_e32 v3, vcc, v4, v3, vcc
	v_add_co_u32_e32 v2, vcc, s4, v2
	v_mov_b32_e32 v4, s5
	v_addc_co_u32_e32 v3, vcc, v3, v4, vcc
	v_lshlrev_b32_e32 v4, 4, v0
	v_add_co_u32_e32 v10, vcc, v2, v4
	v_addc_co_u32_e32 v11, vcc, 0, v3, vcc
	global_load_dwordx4 v[4:7], v[10:11], off
	s_lshl_b64 s[8:9], s[6:7], 4
	s_add_i32 s7, s6, s6
	s_mul_i32 s5, s12, 0x3f0
	s_movk_i32 s4, 0x3f0
	s_add_i32 s5, s5, 0
	s_movk_i32 s12, 0x50
	s_movk_i32 s16, 0x90
	;; [unrolled: 1-line block ×55, first 2 shown]
	v_lshl_add_u32 v125, v1, 4, s5
	s_waitcnt vmcnt(0)
	buffer_store_dword v7, off, s[0:3], 0 offset:12
	buffer_store_dword v6, off, s[0:3], 0 offset:8
	;; [unrolled: 1-line block ×3, first 2 shown]
	buffer_store_dword v4, off, s[0:3], 0
	v_add_co_u32_e32 v5, vcc, s8, v10
	buffer_store_dword v10, off, s[0:3], 0 offset:1008 ; 4-byte Folded Spill
	s_nop 0
	buffer_store_dword v11, off, s[0:3], 0 offset:1012 ; 4-byte Folded Spill
	v_mov_b32_e32 v4, s9
	v_add_u32_e32 v10, s7, v0
	v_addc_co_u32_e32 v6, vcc, v11, v4, vcc
	buffer_store_dword v5, off, s[0:3], 0 offset:1016 ; 4-byte Folded Spill
	s_nop 0
	buffer_store_dword v6, off, s[0:3], 0 offset:1020 ; 4-byte Folded Spill
	v_ashrrev_i32_e32 v11, 31, v10
	global_load_dwordx4 v[4:7], v[5:6], off
	s_waitcnt vmcnt(0)
	buffer_store_dword v7, off, s[0:3], 0 offset:28
	buffer_store_dword v6, off, s[0:3], 0 offset:24
	buffer_store_dword v5, off, s[0:3], 0 offset:20
	buffer_store_dword v4, off, s[0:3], 0 offset:16
	v_lshlrev_b64 v[4:5], 4, v[10:11]
	v_add_u32_e32 v10, s6, v10
	v_add_co_u32_e32 v4, vcc, v2, v4
	v_addc_co_u32_e32 v5, vcc, v3, v5, vcc
	buffer_store_dword v4, off, s[0:3], 0 offset:1024 ; 4-byte Folded Spill
	s_nop 0
	buffer_store_dword v5, off, s[0:3], 0 offset:1028 ; 4-byte Folded Spill
	v_ashrrev_i32_e32 v11, 31, v10
	global_load_dwordx4 v[4:7], v[4:5], off
	s_waitcnt vmcnt(0)
	buffer_store_dword v7, off, s[0:3], 0 offset:44
	buffer_store_dword v6, off, s[0:3], 0 offset:40
	buffer_store_dword v5, off, s[0:3], 0 offset:36
	buffer_store_dword v4, off, s[0:3], 0 offset:32
	v_lshlrev_b64 v[4:5], 4, v[10:11]
	v_add_u32_e32 v10, s6, v10
	v_add_co_u32_e32 v4, vcc, v2, v4
	;; [unrolled: 14-line block ×59, first 2 shown]
	v_addc_co_u32_e32 v5, vcc, v3, v5, vcc
	buffer_store_dword v4, off, s[0:3], 0 offset:1504 ; 4-byte Folded Spill
	s_nop 0
	buffer_store_dword v5, off, s[0:3], 0 offset:1508 ; 4-byte Folded Spill
	v_ashrrev_i32_e32 v11, 31, v10
	global_load_dwordx4 v[4:7], v[4:5], off
	s_waitcnt vmcnt(0)
	buffer_store_dword v7, off, s[0:3], 0 offset:972
	buffer_store_dword v6, off, s[0:3], 0 offset:968
	;; [unrolled: 1-line block ×4, first 2 shown]
	v_lshlrev_b64 v[4:5], 4, v[10:11]
	v_add_co_u32_e32 v4, vcc, v2, v4
	v_addc_co_u32_e32 v5, vcc, v3, v5, vcc
	buffer_store_dword v4, off, s[0:3], 0 offset:1496 ; 4-byte Folded Spill
	s_nop 0
	buffer_store_dword v5, off, s[0:3], 0 offset:1500 ; 4-byte Folded Spill
	global_load_dwordx4 v[4:7], v[4:5], off
	s_waitcnt vmcnt(0)
	buffer_store_dword v7, off, s[0:3], 0 offset:988
	buffer_store_dword v6, off, s[0:3], 0 offset:984
	;; [unrolled: 1-line block ×4, first 2 shown]
	v_add_u32_e32 v4, s6, v10
	v_ashrrev_i32_e32 v5, 31, v4
	v_lshlrev_b64 v[4:5], 4, v[4:5]
	v_mad_u32_u24 v6, v1, s4, 0
	v_add_co_u32_e32 v2, vcc, v2, v4
	v_addc_co_u32_e32 v3, vcc, v3, v5, vcc
	buffer_store_dword v2, off, s[0:3], 0 offset:1432 ; 4-byte Folded Spill
	s_nop 0
	buffer_store_dword v3, off, s[0:3], 0 offset:1436 ; 4-byte Folded Spill
	v_cmp_ne_u32_e64 s[6:7], 0, v0
	v_cmp_eq_u32_e64 s[4:5], 0, v0
	global_load_dwordx4 v[2:5], v[2:3], off
	s_waitcnt vmcnt(0)
	buffer_store_dword v5, off, s[0:3], 0 offset:1004
	buffer_store_dword v4, off, s[0:3], 0 offset:1000
	;; [unrolled: 1-line block ×4, first 2 shown]
	s_and_saveexec_b64 s[10:11], s[4:5]
	s_cbranch_execz .LBB125_10
; %bb.2:
	buffer_load_dword v2, off, s[0:3], 0 offset:1008 ; 4-byte Folded Reload
	buffer_load_dword v3, off, s[0:3], 0 offset:1012 ; 4-byte Folded Reload
	s_mov_b32 s8, 16
	s_waitcnt vmcnt(0)
	global_load_dwordx4 v[2:5], v[2:3], off
	s_waitcnt vmcnt(0)
	ds_write2_b64 v125, v[2:3], v[4:5] offset1:1
.LBB125_3:                              ; =>This Inner Loop Header: Depth=1
	v_mov_b32_e32 v7, s8
	buffer_load_dword v2, v7, s[0:3], 0 offen
	buffer_load_dword v3, v7, s[0:3], 0 offen offset:4
	buffer_load_dword v4, v7, s[0:3], 0 offen offset:8
	;; [unrolled: 1-line block ×7, first 2 shown]
	v_add_u32_e32 v7, s8, v6
	s_add_i32 s8, s8, 32
	s_cmpk_eq_i32 s8, 0x3f0
	s_waitcnt vmcnt(4)
	ds_write2_b64 v7, v[2:3], v[4:5] offset1:1
	s_waitcnt vmcnt(0)
	ds_write2_b64 v7, v[10:11], v[12:13] offset0:2 offset1:3
	s_cbranch_scc0 .LBB125_3
; %bb.4:
	ds_read2_b64 v[2:5], v125 offset1:1
	s_waitcnt lgkmcnt(0)
	v_cmp_neq_f64_e32 vcc, 0, v[2:3]
	v_cmp_neq_f64_e64 s[8:9], 0, v[4:5]
	s_or_b64 s[8:9], vcc, s[8:9]
	s_and_b64 exec, exec, s[8:9]
	s_cbranch_execz .LBB125_10
; %bb.5:
	v_cmp_ngt_f64_e64 s[8:9], |v[2:3]|, |v[4:5]|
                                        ; implicit-def: $vgpr10_vgpr11
	s_and_saveexec_b64 s[72:73], s[8:9]
	s_xor_b64 s[8:9], exec, s[72:73]
                                        ; implicit-def: $vgpr12_vgpr13
	s_cbranch_execz .LBB125_7
; %bb.6:
	v_div_scale_f64 v[10:11], s[72:73], v[4:5], v[4:5], v[2:3]
	v_rcp_f64_e32 v[12:13], v[10:11]
	v_fma_f64 v[14:15], -v[10:11], v[12:13], 1.0
	v_fma_f64 v[12:13], v[12:13], v[14:15], v[12:13]
	v_div_scale_f64 v[14:15], vcc, v[2:3], v[4:5], v[2:3]
	v_fma_f64 v[16:17], -v[10:11], v[12:13], 1.0
	v_fma_f64 v[12:13], v[12:13], v[16:17], v[12:13]
	v_mul_f64 v[16:17], v[14:15], v[12:13]
	v_fma_f64 v[10:11], -v[10:11], v[16:17], v[14:15]
	v_div_fmas_f64 v[10:11], v[10:11], v[12:13], v[16:17]
	v_div_fixup_f64 v[10:11], v[10:11], v[4:5], v[2:3]
	v_fma_f64 v[2:3], v[2:3], v[10:11], v[4:5]
	v_div_scale_f64 v[4:5], s[72:73], v[2:3], v[2:3], 1.0
	v_div_scale_f64 v[16:17], vcc, 1.0, v[2:3], 1.0
	v_rcp_f64_e32 v[12:13], v[4:5]
	v_fma_f64 v[14:15], -v[4:5], v[12:13], 1.0
	v_fma_f64 v[12:13], v[12:13], v[14:15], v[12:13]
	v_fma_f64 v[14:15], -v[4:5], v[12:13], 1.0
	v_fma_f64 v[12:13], v[12:13], v[14:15], v[12:13]
	v_mul_f64 v[14:15], v[16:17], v[12:13]
	v_fma_f64 v[4:5], -v[4:5], v[14:15], v[16:17]
	v_div_fmas_f64 v[4:5], v[4:5], v[12:13], v[14:15]
	v_div_fixup_f64 v[12:13], v[4:5], v[2:3], 1.0
                                        ; implicit-def: $vgpr2_vgpr3
	v_mul_f64 v[10:11], v[10:11], v[12:13]
	v_xor_b32_e32 v13, 0x80000000, v13
.LBB125_7:
	s_andn2_saveexec_b64 s[8:9], s[8:9]
	s_cbranch_execz .LBB125_9
; %bb.8:
	v_div_scale_f64 v[10:11], s[72:73], v[2:3], v[2:3], v[4:5]
	v_rcp_f64_e32 v[12:13], v[10:11]
	v_fma_f64 v[14:15], -v[10:11], v[12:13], 1.0
	v_fma_f64 v[12:13], v[12:13], v[14:15], v[12:13]
	v_div_scale_f64 v[14:15], vcc, v[4:5], v[2:3], v[4:5]
	v_fma_f64 v[16:17], -v[10:11], v[12:13], 1.0
	v_fma_f64 v[12:13], v[12:13], v[16:17], v[12:13]
	v_mul_f64 v[16:17], v[14:15], v[12:13]
	v_fma_f64 v[10:11], -v[10:11], v[16:17], v[14:15]
	v_div_fmas_f64 v[10:11], v[10:11], v[12:13], v[16:17]
	v_div_fixup_f64 v[12:13], v[10:11], v[2:3], v[4:5]
	v_fma_f64 v[2:3], v[4:5], v[12:13], v[2:3]
	v_div_scale_f64 v[4:5], s[72:73], v[2:3], v[2:3], 1.0
	v_div_scale_f64 v[16:17], vcc, 1.0, v[2:3], 1.0
	v_rcp_f64_e32 v[10:11], v[4:5]
	v_fma_f64 v[14:15], -v[4:5], v[10:11], 1.0
	v_fma_f64 v[10:11], v[10:11], v[14:15], v[10:11]
	v_fma_f64 v[14:15], -v[4:5], v[10:11], 1.0
	v_fma_f64 v[10:11], v[10:11], v[14:15], v[10:11]
	v_mul_f64 v[14:15], v[16:17], v[10:11]
	v_fma_f64 v[4:5], -v[4:5], v[14:15], v[16:17]
	v_div_fmas_f64 v[4:5], v[4:5], v[10:11], v[14:15]
	v_div_fixup_f64 v[10:11], v[4:5], v[2:3], 1.0
	v_mul_f64 v[12:13], v[12:13], -v[10:11]
.LBB125_9:
	s_or_b64 exec, exec, s[8:9]
	ds_write2_b64 v125, v[10:11], v[12:13] offset1:1
.LBB125_10:
	s_or_b64 exec, exec, s[10:11]
	s_mov_b32 s8, 16
                                        ; implicit-def: $vgpr126 : SGPR spill to VGPR lane
	s_waitcnt lgkmcnt(0)
	v_writelane_b32 v126, s8, 0
	s_mov_b32 s8, 32
	v_writelane_b32 v126, s8, 1
	s_mov_b32 s8, 48
	;; [unrolled: 2-line block ×5, first 2 shown]
	s_waitcnt vmcnt(0)
	s_barrier
	ds_read2_b64 v[27:30], v125 offset1:1
	v_writelane_b32 v126, s8, 5
	s_mov_b32 s8, s14
	v_writelane_b32 v126, s8, 6
	s_mov_b32 s8, s15
	;; [unrolled: 2-line block ×3, first 2 shown]
	v_mul_u32_u24_e32 v5, 0x3f0, v1
	v_writelane_b32 v126, s8, 8
	s_mov_b32 s97, s17
	s_mov_b32 s96, s18
	;; [unrolled: 1-line block ×52, first 2 shown]
	s_and_saveexec_b64 s[8:9], s[6:7]
	s_cbranch_execz .LBB125_13
; %bb.11:
	buffer_load_dword v1, off, s[0:3], 0 offset:8
	buffer_load_dword v2, off, s[0:3], 0 offset:12
	buffer_load_dword v3, off, s[0:3], 0
	buffer_load_dword v4, off, s[0:3], 0 offset:4
	s_mov_b32 s6, 16
	s_waitcnt vmcnt(2) lgkmcnt(0)
	v_mul_f64 v[10:11], v[29:30], v[1:2]
	v_mul_f64 v[12:13], v[27:28], v[1:2]
	s_waitcnt vmcnt(0)
	v_fma_f64 v[1:2], v[27:28], v[3:4], -v[10:11]
	v_fma_f64 v[3:4], v[29:30], v[3:4], v[12:13]
	buffer_store_dword v1, off, s[0:3], 0
	buffer_store_dword v2, off, s[0:3], 0 offset:4
	buffer_store_dword v3, off, s[0:3], 0 offset:8
	;; [unrolled: 1-line block ×3, first 2 shown]
.LBB125_12:                             ; =>This Inner Loop Header: Depth=1
	v_add_u32_e32 v7, s6, v6
	ds_read2_b64 v[10:13], v7 offset1:1
	v_mov_b32_e32 v22, s6
	s_add_i32 s6, s6, 32
	s_cmpk_lg_i32 s6, 0x3f0
	s_waitcnt lgkmcnt(0)
	v_mul_f64 v[14:15], v[12:13], v[3:4]
	v_fma_f64 v[14:15], v[10:11], v[1:2], -v[14:15]
	v_mul_f64 v[10:11], v[10:11], v[3:4]
	v_fma_f64 v[10:11], v[12:13], v[1:2], v[10:11]
	buffer_load_dword v12, v22, s[0:3], 0 offen
	buffer_load_dword v13, v22, s[0:3], 0 offen offset:4
	buffer_load_dword v16, v22, s[0:3], 0 offen offset:8
	;; [unrolled: 1-line block ×7, first 2 shown]
	s_waitcnt vmcnt(6)
	v_add_f64 v[12:13], v[12:13], -v[14:15]
	s_waitcnt vmcnt(4)
	v_add_f64 v[10:11], v[16:17], -v[10:11]
	buffer_store_dword v12, v22, s[0:3], 0 offen
	buffer_store_dword v13, v22, s[0:3], 0 offen offset:4
	buffer_store_dword v10, v22, s[0:3], 0 offen offset:8
	buffer_store_dword v11, v22, s[0:3], 0 offen offset:12
	ds_read2_b64 v[10:13], v7 offset0:2 offset1:3
	s_waitcnt lgkmcnt(0)
	v_mul_f64 v[14:15], v[12:13], v[3:4]
	v_fma_f64 v[14:15], v[10:11], v[1:2], -v[14:15]
	v_mul_f64 v[10:11], v[10:11], v[3:4]
	v_fma_f64 v[10:11], v[12:13], v[1:2], v[10:11]
	s_waitcnt vmcnt(6)
	v_add_f64 v[12:13], v[18:19], -v[14:15]
	s_waitcnt vmcnt(4)
	v_add_f64 v[10:11], v[20:21], -v[10:11]
	buffer_store_dword v12, v22, s[0:3], 0 offen offset:16
	buffer_store_dword v13, v22, s[0:3], 0 offen offset:20
	;; [unrolled: 1-line block ×4, first 2 shown]
	s_cbranch_scc1 .LBB125_12
.LBB125_13:
	s_or_b64 exec, exec, s[8:9]
	v_cmp_eq_u32_e32 vcc, 1, v0
	s_waitcnt vmcnt(0) lgkmcnt(0)
	s_barrier
	s_and_saveexec_b64 s[8:9], vcc
	s_cbranch_execz .LBB125_24
; %bb.14:
	v_readlane_b32 s6, v126, 0
	v_mov_b32_e32 v4, s6
	buffer_load_dword v1, v4, s[0:3], 0 offen
	buffer_load_dword v2, v4, s[0:3], 0 offen offset:4
	buffer_load_dword v3, v4, s[0:3], 0 offen offset:8
	s_nop 0
	buffer_load_dword v4, v4, s[0:3], 0 offen offset:12
	s_mov_b32 s10, 32
	s_waitcnt vmcnt(0)
	ds_write2_b64 v125, v[1:2], v[3:4] offset1:1
	s_branch .LBB125_16
.LBB125_15:                             ;   in Loop: Header=BB125_16 Depth=1
	s_andn2_b64 vcc, exec, s[6:7]
	s_cbranch_vccz .LBB125_18
.LBB125_16:                             ; =>This Inner Loop Header: Depth=1
	v_mov_b32_e32 v4, s10
	buffer_load_dword v2, v4, s[0:3], 0 offen
	buffer_load_dword v3, v4, s[0:3], 0 offen offset:4
	buffer_load_dword v10, v4, s[0:3], 0 offen offset:8
	;; [unrolled: 1-line block ×15, first 2 shown]
	v_add_u32_e32 v1, s10, v6
	s_mov_b32 s11, s10
	s_mov_b64 s[6:7], -1
	s_cmpk_eq_i32 s10, 0x3a0
	s_waitcnt vmcnt(12)
	ds_write2_b64 v1, v[2:3], v[10:11] offset1:1
	s_waitcnt vmcnt(8)
	ds_write2_b64 v1, v[12:13], v[14:15] offset0:2 offset1:3
	s_waitcnt vmcnt(4)
	ds_write2_b64 v1, v[16:17], v[18:19] offset0:4 offset1:5
	;; [unrolled: 2-line block ×3, first 2 shown]
	buffer_load_dword v3, v4, s[0:3], 0 offen offset:76
	buffer_load_dword v2, v4, s[0:3], 0 offen offset:72
	;; [unrolled: 1-line block ×4, first 2 shown]
	s_waitcnt vmcnt(0)
	ds_write2_b64 v1, v[10:11], v[2:3] offset0:8 offset1:9
	s_cbranch_scc1 .LBB125_15
; %bb.17:                               ;   in Loop: Header=BB125_16 Depth=1
	v_mov_b32_e32 v4, s11
	buffer_load_dword v2, v4, s[0:3], 0 offen offset:80
	buffer_load_dword v3, v4, s[0:3], 0 offen offset:84
	;; [unrolled: 1-line block ×12, first 2 shown]
	s_addk_i32 s10, 0x80
	s_mov_b64 s[6:7], 0
	s_waitcnt vmcnt(8)
	ds_write2_b64 v1, v[2:3], v[10:11] offset0:10 offset1:11
	s_waitcnt vmcnt(4)
	ds_write2_b64 v1, v[12:13], v[14:15] offset0:12 offset1:13
	;; [unrolled: 2-line block ×3, first 2 shown]
	s_branch .LBB125_15
.LBB125_18:
	ds_read2_b64 v[1:4], v125 offset1:1
	s_waitcnt lgkmcnt(0)
	v_cmp_neq_f64_e32 vcc, 0, v[1:2]
	v_cmp_neq_f64_e64 s[6:7], 0, v[3:4]
	s_or_b64 s[6:7], vcc, s[6:7]
	s_and_b64 exec, exec, s[6:7]
	s_cbranch_execz .LBB125_24
; %bb.19:
	v_cmp_ngt_f64_e64 s[6:7], |v[1:2]|, |v[3:4]|
                                        ; implicit-def: $vgpr10_vgpr11
	s_and_saveexec_b64 s[10:11], s[6:7]
	s_xor_b64 s[6:7], exec, s[10:11]
                                        ; implicit-def: $vgpr12_vgpr13
	s_cbranch_execz .LBB125_21
; %bb.20:
	v_div_scale_f64 v[10:11], s[10:11], v[3:4], v[3:4], v[1:2]
	v_rcp_f64_e32 v[12:13], v[10:11]
	v_fma_f64 v[14:15], -v[10:11], v[12:13], 1.0
	v_fma_f64 v[12:13], v[12:13], v[14:15], v[12:13]
	v_div_scale_f64 v[14:15], vcc, v[1:2], v[3:4], v[1:2]
	v_fma_f64 v[16:17], -v[10:11], v[12:13], 1.0
	v_fma_f64 v[12:13], v[12:13], v[16:17], v[12:13]
	v_mul_f64 v[16:17], v[14:15], v[12:13]
	v_fma_f64 v[10:11], -v[10:11], v[16:17], v[14:15]
	v_div_fmas_f64 v[10:11], v[10:11], v[12:13], v[16:17]
	v_div_fixup_f64 v[10:11], v[10:11], v[3:4], v[1:2]
	v_fma_f64 v[1:2], v[1:2], v[10:11], v[3:4]
	v_div_scale_f64 v[3:4], s[10:11], v[1:2], v[1:2], 1.0
	v_div_scale_f64 v[16:17], vcc, 1.0, v[1:2], 1.0
	v_rcp_f64_e32 v[12:13], v[3:4]
	v_fma_f64 v[14:15], -v[3:4], v[12:13], 1.0
	v_fma_f64 v[12:13], v[12:13], v[14:15], v[12:13]
	v_fma_f64 v[14:15], -v[3:4], v[12:13], 1.0
	v_fma_f64 v[12:13], v[12:13], v[14:15], v[12:13]
	v_mul_f64 v[14:15], v[16:17], v[12:13]
	v_fma_f64 v[3:4], -v[3:4], v[14:15], v[16:17]
	v_div_fmas_f64 v[3:4], v[3:4], v[12:13], v[14:15]
	v_div_fixup_f64 v[12:13], v[3:4], v[1:2], 1.0
                                        ; implicit-def: $vgpr1_vgpr2
	v_mul_f64 v[10:11], v[10:11], v[12:13]
	v_xor_b32_e32 v13, 0x80000000, v13
.LBB125_21:
	s_andn2_saveexec_b64 s[6:7], s[6:7]
	s_cbranch_execz .LBB125_23
; %bb.22:
	v_div_scale_f64 v[10:11], s[10:11], v[1:2], v[1:2], v[3:4]
	v_rcp_f64_e32 v[12:13], v[10:11]
	v_fma_f64 v[14:15], -v[10:11], v[12:13], 1.0
	v_fma_f64 v[12:13], v[12:13], v[14:15], v[12:13]
	v_div_scale_f64 v[14:15], vcc, v[3:4], v[1:2], v[3:4]
	v_fma_f64 v[16:17], -v[10:11], v[12:13], 1.0
	v_fma_f64 v[12:13], v[12:13], v[16:17], v[12:13]
	v_mul_f64 v[16:17], v[14:15], v[12:13]
	v_fma_f64 v[10:11], -v[10:11], v[16:17], v[14:15]
	v_div_fmas_f64 v[10:11], v[10:11], v[12:13], v[16:17]
	v_div_fixup_f64 v[12:13], v[10:11], v[1:2], v[3:4]
	v_fma_f64 v[1:2], v[3:4], v[12:13], v[1:2]
	v_div_scale_f64 v[3:4], s[10:11], v[1:2], v[1:2], 1.0
	v_div_scale_f64 v[16:17], vcc, 1.0, v[1:2], 1.0
	v_rcp_f64_e32 v[10:11], v[3:4]
	v_fma_f64 v[14:15], -v[3:4], v[10:11], 1.0
	v_fma_f64 v[10:11], v[10:11], v[14:15], v[10:11]
	v_fma_f64 v[14:15], -v[3:4], v[10:11], 1.0
	v_fma_f64 v[10:11], v[10:11], v[14:15], v[10:11]
	v_mul_f64 v[14:15], v[16:17], v[10:11]
	v_fma_f64 v[3:4], -v[3:4], v[14:15], v[16:17]
	v_div_fmas_f64 v[3:4], v[3:4], v[10:11], v[14:15]
	v_div_fixup_f64 v[10:11], v[3:4], v[1:2], 1.0
	v_mul_f64 v[12:13], v[12:13], -v[10:11]
.LBB125_23:
	s_or_b64 exec, exec, s[6:7]
	ds_write2_b64 v125, v[10:11], v[12:13] offset1:1
.LBB125_24:
	s_or_b64 exec, exec, s[8:9]
	s_waitcnt lgkmcnt(0)
	s_barrier
	ds_read2_b64 v[1:4], v125 offset1:1
	v_cmp_lt_u32_e32 vcc, 1, v0
	s_waitcnt lgkmcnt(0)
	buffer_store_dword v1, off, s[0:3], 0 offset:1512 ; 4-byte Folded Spill
	s_nop 0
	buffer_store_dword v2, off, s[0:3], 0 offset:1516 ; 4-byte Folded Spill
	buffer_store_dword v3, off, s[0:3], 0 offset:1520 ; 4-byte Folded Spill
	;; [unrolled: 1-line block ×3, first 2 shown]
	s_and_saveexec_b64 s[6:7], vcc
	s_cbranch_execz .LBB125_29
; %bb.25:
	buffer_load_dword v1, off, s[0:3], 0 offset:24
	buffer_load_dword v2, off, s[0:3], 0 offset:28
	;; [unrolled: 1-line block ×4, first 2 shown]
	buffer_load_dword v14, off, s[0:3], 0 offset:1512 ; 4-byte Folded Reload
	buffer_load_dword v15, off, s[0:3], 0 offset:1516 ; 4-byte Folded Reload
	;; [unrolled: 1-line block ×4, first 2 shown]
	s_mov_b32 s10, 32
	s_waitcnt vmcnt(2)
	v_mul_f64 v[12:13], v[14:15], v[1:2]
	s_waitcnt vmcnt(0)
	v_mul_f64 v[10:11], v[16:17], v[1:2]
	v_fma_f64 v[1:2], v[14:15], v[3:4], -v[10:11]
	v_fma_f64 v[3:4], v[16:17], v[3:4], v[12:13]
	buffer_store_dword v1, off, s[0:3], 0 offset:16
	buffer_store_dword v2, off, s[0:3], 0 offset:20
	;; [unrolled: 1-line block ×4, first 2 shown]
	s_branch .LBB125_27
.LBB125_26:                             ;   in Loop: Header=BB125_27 Depth=1
	s_andn2_b64 vcc, exec, s[8:9]
	s_cbranch_vccz .LBB125_29
.LBB125_27:                             ; =>This Inner Loop Header: Depth=1
	v_add_u32_e32 v7, s10, v6
	ds_read2_b64 v[10:13], v7 offset1:1
	v_mov_b32_e32 v18, s10
	s_mov_b32 s11, s10
	s_mov_b64 s[8:9], -1
	s_cmpk_eq_i32 s10, 0x3e0
	s_waitcnt lgkmcnt(0)
	v_mul_f64 v[14:15], v[12:13], v[3:4]
	v_fma_f64 v[14:15], v[10:11], v[1:2], -v[14:15]
	v_mul_f64 v[10:11], v[10:11], v[3:4]
	v_fma_f64 v[10:11], v[12:13], v[1:2], v[10:11]
	buffer_load_dword v12, v18, s[0:3], 0 offen
	buffer_load_dword v13, v18, s[0:3], 0 offen offset:4
	buffer_load_dword v16, v18, s[0:3], 0 offen offset:8
	;; [unrolled: 1-line block ×3, first 2 shown]
	s_waitcnt vmcnt(2)
	v_add_f64 v[12:13], v[12:13], -v[14:15]
	s_waitcnt vmcnt(0)
	v_add_f64 v[10:11], v[16:17], -v[10:11]
	buffer_store_dword v12, v18, s[0:3], 0 offen
	buffer_store_dword v13, v18, s[0:3], 0 offen offset:4
	buffer_store_dword v10, v18, s[0:3], 0 offen offset:8
	;; [unrolled: 1-line block ×3, first 2 shown]
	s_cbranch_scc1 .LBB125_26
; %bb.28:                               ;   in Loop: Header=BB125_27 Depth=1
	ds_read2_b64 v[10:13], v7 offset0:2 offset1:3
	v_mov_b32_e32 v26, s11
	s_add_i32 s10, s10, 64
	s_mov_b64 s[8:9], 0
	s_waitcnt lgkmcnt(0)
	v_mul_f64 v[14:15], v[12:13], v[3:4]
	v_fma_f64 v[14:15], v[10:11], v[1:2], -v[14:15]
	v_mul_f64 v[10:11], v[10:11], v[3:4]
	v_fma_f64 v[10:11], v[12:13], v[1:2], v[10:11]
	buffer_load_dword v12, v26, s[0:3], 0 offen offset:16
	buffer_load_dword v13, v26, s[0:3], 0 offen offset:20
	;; [unrolled: 1-line block ×12, first 2 shown]
	s_waitcnt vmcnt(10)
	v_add_f64 v[12:13], v[12:13], -v[14:15]
	s_waitcnt vmcnt(8)
	v_add_f64 v[10:11], v[16:17], -v[10:11]
	buffer_store_dword v12, v26, s[0:3], 0 offen offset:16
	buffer_store_dword v13, v26, s[0:3], 0 offen offset:20
	;; [unrolled: 1-line block ×4, first 2 shown]
	ds_read2_b64 v[10:13], v7 offset0:4 offset1:5
	s_waitcnt lgkmcnt(0)
	v_mul_f64 v[14:15], v[12:13], v[3:4]
	v_fma_f64 v[14:15], v[10:11], v[1:2], -v[14:15]
	v_mul_f64 v[10:11], v[10:11], v[3:4]
	v_fma_f64 v[10:11], v[12:13], v[1:2], v[10:11]
	s_waitcnt vmcnt(10)
	v_add_f64 v[12:13], v[18:19], -v[14:15]
	s_waitcnt vmcnt(8)
	v_add_f64 v[10:11], v[20:21], -v[10:11]
	buffer_store_dword v12, v26, s[0:3], 0 offen offset:32
	buffer_store_dword v13, v26, s[0:3], 0 offen offset:36
	;; [unrolled: 1-line block ×4, first 2 shown]
	ds_read2_b64 v[10:13], v7 offset0:6 offset1:7
	s_waitcnt lgkmcnt(0)
	v_mul_f64 v[14:15], v[12:13], v[3:4]
	v_fma_f64 v[14:15], v[10:11], v[1:2], -v[14:15]
	v_mul_f64 v[10:11], v[10:11], v[3:4]
	v_fma_f64 v[10:11], v[12:13], v[1:2], v[10:11]
	s_waitcnt vmcnt(10)
	v_add_f64 v[12:13], v[22:23], -v[14:15]
	s_waitcnt vmcnt(8)
	v_add_f64 v[10:11], v[24:25], -v[10:11]
	buffer_store_dword v12, v26, s[0:3], 0 offen offset:48
	buffer_store_dword v13, v26, s[0:3], 0 offen offset:52
	;; [unrolled: 1-line block ×4, first 2 shown]
	s_branch .LBB125_26
.LBB125_29:
	s_or_b64 exec, exec, s[6:7]
	v_cmp_eq_u32_e32 vcc, 2, v0
	s_waitcnt vmcnt(0)
	s_barrier
	s_and_saveexec_b64 s[8:9], vcc
	s_cbranch_execz .LBB125_38
; %bb.30:
	v_readlane_b32 s6, v126, 1
	v_mov_b32_e32 v4, s6
	buffer_load_dword v1, v4, s[0:3], 0 offen
	buffer_load_dword v2, v4, s[0:3], 0 offen offset:4
	buffer_load_dword v3, v4, s[0:3], 0 offen offset:8
	s_nop 0
	buffer_load_dword v4, v4, s[0:3], 0 offen offset:12
	s_mov_b32 s6, 48
	s_waitcnt vmcnt(0)
	ds_write2_b64 v125, v[1:2], v[3:4] offset1:1
.LBB125_31:                             ; =>This Inner Loop Header: Depth=1
	v_mov_b32_e32 v7, s6
	buffer_load_dword v1, v7, s[0:3], 0 offen
	buffer_load_dword v2, v7, s[0:3], 0 offen offset:4
	buffer_load_dword v3, v7, s[0:3], 0 offen offset:8
	;; [unrolled: 1-line block ×15, first 2 shown]
	v_add_u32_e32 v22, s6, v6
	s_addk_i32 s6, 0xf0
	s_cmpk_lg_i32 s6, 0x3f0
	s_waitcnt vmcnt(12)
	ds_write2_b64 v22, v[1:2], v[3:4] offset1:1
	s_waitcnt vmcnt(8)
	ds_write2_b64 v22, v[10:11], v[12:13] offset0:2 offset1:3
	s_waitcnt vmcnt(4)
	ds_write2_b64 v22, v[14:15], v[16:17] offset0:4 offset1:5
	;; [unrolled: 2-line block ×3, first 2 shown]
	buffer_load_dword v2, v7, s[0:3], 0 offen offset:76
	buffer_load_dword v1, v7, s[0:3], 0 offen offset:72
	buffer_load_dword v4, v7, s[0:3], 0 offen offset:68
	buffer_load_dword v3, v7, s[0:3], 0 offen offset:64
	s_waitcnt vmcnt(0)
	ds_write2_b64 v22, v[3:4], v[1:2] offset0:8 offset1:9
	buffer_load_dword v2, v7, s[0:3], 0 offen offset:92
	buffer_load_dword v1, v7, s[0:3], 0 offen offset:88
	buffer_load_dword v4, v7, s[0:3], 0 offen offset:84
	buffer_load_dword v3, v7, s[0:3], 0 offen offset:80
	s_waitcnt vmcnt(0)
	ds_write2_b64 v22, v[3:4], v[1:2] offset0:10 offset1:11
	;; [unrolled: 6-line block ×11, first 2 shown]
	s_cbranch_scc1 .LBB125_31
; %bb.32:
	ds_read2_b64 v[1:4], v125 offset1:1
	s_waitcnt lgkmcnt(0)
	v_cmp_neq_f64_e32 vcc, 0, v[1:2]
	v_cmp_neq_f64_e64 s[6:7], 0, v[3:4]
	s_or_b64 s[6:7], vcc, s[6:7]
	s_and_b64 exec, exec, s[6:7]
	s_cbranch_execz .LBB125_38
; %bb.33:
	v_cmp_ngt_f64_e64 s[6:7], |v[1:2]|, |v[3:4]|
                                        ; implicit-def: $vgpr10_vgpr11
	s_and_saveexec_b64 s[10:11], s[6:7]
	s_xor_b64 s[6:7], exec, s[10:11]
                                        ; implicit-def: $vgpr12_vgpr13
	s_cbranch_execz .LBB125_35
; %bb.34:
	v_div_scale_f64 v[10:11], s[10:11], v[3:4], v[3:4], v[1:2]
	v_rcp_f64_e32 v[12:13], v[10:11]
	v_fma_f64 v[14:15], -v[10:11], v[12:13], 1.0
	v_fma_f64 v[12:13], v[12:13], v[14:15], v[12:13]
	v_div_scale_f64 v[14:15], vcc, v[1:2], v[3:4], v[1:2]
	v_fma_f64 v[16:17], -v[10:11], v[12:13], 1.0
	v_fma_f64 v[12:13], v[12:13], v[16:17], v[12:13]
	v_mul_f64 v[16:17], v[14:15], v[12:13]
	v_fma_f64 v[10:11], -v[10:11], v[16:17], v[14:15]
	v_div_fmas_f64 v[10:11], v[10:11], v[12:13], v[16:17]
	v_div_fixup_f64 v[10:11], v[10:11], v[3:4], v[1:2]
	v_fma_f64 v[1:2], v[1:2], v[10:11], v[3:4]
	v_div_scale_f64 v[3:4], s[10:11], v[1:2], v[1:2], 1.0
	v_div_scale_f64 v[16:17], vcc, 1.0, v[1:2], 1.0
	v_rcp_f64_e32 v[12:13], v[3:4]
	v_fma_f64 v[14:15], -v[3:4], v[12:13], 1.0
	v_fma_f64 v[12:13], v[12:13], v[14:15], v[12:13]
	v_fma_f64 v[14:15], -v[3:4], v[12:13], 1.0
	v_fma_f64 v[12:13], v[12:13], v[14:15], v[12:13]
	v_mul_f64 v[14:15], v[16:17], v[12:13]
	v_fma_f64 v[3:4], -v[3:4], v[14:15], v[16:17]
	v_div_fmas_f64 v[3:4], v[3:4], v[12:13], v[14:15]
	v_div_fixup_f64 v[12:13], v[3:4], v[1:2], 1.0
                                        ; implicit-def: $vgpr1_vgpr2
	v_mul_f64 v[10:11], v[10:11], v[12:13]
	v_xor_b32_e32 v13, 0x80000000, v13
.LBB125_35:
	s_andn2_saveexec_b64 s[6:7], s[6:7]
	s_cbranch_execz .LBB125_37
; %bb.36:
	v_div_scale_f64 v[10:11], s[10:11], v[1:2], v[1:2], v[3:4]
	v_rcp_f64_e32 v[12:13], v[10:11]
	v_fma_f64 v[14:15], -v[10:11], v[12:13], 1.0
	v_fma_f64 v[12:13], v[12:13], v[14:15], v[12:13]
	v_div_scale_f64 v[14:15], vcc, v[3:4], v[1:2], v[3:4]
	v_fma_f64 v[16:17], -v[10:11], v[12:13], 1.0
	v_fma_f64 v[12:13], v[12:13], v[16:17], v[12:13]
	v_mul_f64 v[16:17], v[14:15], v[12:13]
	v_fma_f64 v[10:11], -v[10:11], v[16:17], v[14:15]
	v_div_fmas_f64 v[10:11], v[10:11], v[12:13], v[16:17]
	v_div_fixup_f64 v[12:13], v[10:11], v[1:2], v[3:4]
	v_fma_f64 v[1:2], v[3:4], v[12:13], v[1:2]
	v_div_scale_f64 v[3:4], s[10:11], v[1:2], v[1:2], 1.0
	v_div_scale_f64 v[16:17], vcc, 1.0, v[1:2], 1.0
	v_rcp_f64_e32 v[10:11], v[3:4]
	v_fma_f64 v[14:15], -v[3:4], v[10:11], 1.0
	v_fma_f64 v[10:11], v[10:11], v[14:15], v[10:11]
	v_fma_f64 v[14:15], -v[3:4], v[10:11], 1.0
	v_fma_f64 v[10:11], v[10:11], v[14:15], v[10:11]
	v_mul_f64 v[14:15], v[16:17], v[10:11]
	v_fma_f64 v[3:4], -v[3:4], v[14:15], v[16:17]
	v_div_fmas_f64 v[3:4], v[3:4], v[10:11], v[14:15]
	v_div_fixup_f64 v[10:11], v[3:4], v[1:2], 1.0
	v_mul_f64 v[12:13], v[12:13], -v[10:11]
.LBB125_37:
	s_or_b64 exec, exec, s[6:7]
	ds_write2_b64 v125, v[10:11], v[12:13] offset1:1
.LBB125_38:
	s_or_b64 exec, exec, s[8:9]
	s_waitcnt lgkmcnt(0)
	s_barrier
	ds_read2_b64 v[1:4], v125 offset1:1
	v_cmp_lt_u32_e32 vcc, 2, v0
	s_waitcnt lgkmcnt(0)
	buffer_store_dword v1, off, s[0:3], 0 offset:1528 ; 4-byte Folded Spill
	s_nop 0
	buffer_store_dword v2, off, s[0:3], 0 offset:1532 ; 4-byte Folded Spill
	buffer_store_dword v3, off, s[0:3], 0 offset:1536 ; 4-byte Folded Spill
	;; [unrolled: 1-line block ×3, first 2 shown]
	s_and_saveexec_b64 s[6:7], vcc
	s_cbranch_execz .LBB125_41
; %bb.39:
	buffer_load_dword v1, off, s[0:3], 0 offset:40
	buffer_load_dword v2, off, s[0:3], 0 offset:44
	;; [unrolled: 1-line block ×4, first 2 shown]
	buffer_load_dword v14, off, s[0:3], 0 offset:1528 ; 4-byte Folded Reload
	buffer_load_dword v15, off, s[0:3], 0 offset:1532 ; 4-byte Folded Reload
	;; [unrolled: 1-line block ×4, first 2 shown]
	s_mov_b32 s8, 48
	s_waitcnt vmcnt(2)
	v_mul_f64 v[12:13], v[14:15], v[1:2]
	s_waitcnt vmcnt(0)
	v_mul_f64 v[10:11], v[16:17], v[1:2]
	v_fma_f64 v[1:2], v[14:15], v[3:4], -v[10:11]
	v_fma_f64 v[3:4], v[16:17], v[3:4], v[12:13]
	buffer_store_dword v1, off, s[0:3], 0 offset:32
	buffer_store_dword v2, off, s[0:3], 0 offset:36
	buffer_store_dword v3, off, s[0:3], 0 offset:40
	buffer_store_dword v4, off, s[0:3], 0 offset:44
.LBB125_40:                             ; =>This Inner Loop Header: Depth=1
	v_add_u32_e32 v10, s8, v6
	ds_read2_b64 v[11:14], v10 offset1:1
	v_mov_b32_e32 v7, s8
	s_addk_i32 s8, 0x60
	s_cmpk_lg_i32 s8, 0x3f0
	s_waitcnt lgkmcnt(0)
	v_mul_f64 v[15:16], v[13:14], v[3:4]
	v_mul_f64 v[3:4], v[11:12], v[3:4]
	v_fma_f64 v[15:16], v[11:12], v[1:2], -v[15:16]
	v_fma_f64 v[1:2], v[13:14], v[1:2], v[3:4]
	buffer_load_dword v3, v7, s[0:3], 0 offen
	buffer_load_dword v4, v7, s[0:3], 0 offen offset:4
	buffer_load_dword v11, v7, s[0:3], 0 offen offset:8
	;; [unrolled: 1-line block ×11, first 2 shown]
	s_waitcnt vmcnt(10)
	v_add_f64 v[3:4], v[3:4], -v[15:16]
	s_waitcnt vmcnt(8)
	v_add_f64 v[1:2], v[11:12], -v[1:2]
	buffer_store_dword v4, v7, s[0:3], 0 offen offset:4
	buffer_store_dword v3, v7, s[0:3], 0 offen
	buffer_store_dword v2, v7, s[0:3], 0 offen offset:12
	buffer_store_dword v1, v7, s[0:3], 0 offen offset:8
	ds_read2_b64 v[11:14], v10 offset0:2 offset1:3
	buffer_load_dword v2, off, s[0:3], 0 offset:36
	buffer_load_dword v1, off, s[0:3], 0 offset:32
	;; [unrolled: 1-line block ×4, first 2 shown]
	s_waitcnt vmcnt(0) lgkmcnt(0)
	v_mul_f64 v[15:16], v[13:14], v[3:4]
	v_fma_f64 v[15:16], v[11:12], v[1:2], -v[15:16]
	v_mul_f64 v[11:12], v[11:12], v[3:4]
	v_fma_f64 v[11:12], v[13:14], v[1:2], v[11:12]
	v_add_f64 v[13:14], v[17:18], -v[15:16]
	v_add_f64 v[11:12], v[19:20], -v[11:12]
	buffer_store_dword v14, v7, s[0:3], 0 offen offset:20
	buffer_store_dword v13, v7, s[0:3], 0 offen offset:16
	buffer_store_dword v12, v7, s[0:3], 0 offen offset:28
	buffer_store_dword v11, v7, s[0:3], 0 offen offset:24
	ds_read2_b64 v[11:14], v10 offset0:4 offset1:5
	s_waitcnt lgkmcnt(0)
	v_mul_f64 v[15:16], v[13:14], v[3:4]
	v_fma_f64 v[15:16], v[11:12], v[1:2], -v[15:16]
	v_mul_f64 v[11:12], v[11:12], v[3:4]
	v_fma_f64 v[11:12], v[13:14], v[1:2], v[11:12]
	v_add_f64 v[13:14], v[21:22], -v[15:16]
	v_add_f64 v[11:12], v[23:24], -v[11:12]
	buffer_store_dword v14, v7, s[0:3], 0 offen offset:36
	buffer_store_dword v13, v7, s[0:3], 0 offen offset:32
	buffer_store_dword v12, v7, s[0:3], 0 offen offset:44
	buffer_store_dword v11, v7, s[0:3], 0 offen offset:40
	ds_read2_b64 v[11:14], v10 offset0:6 offset1:7
	s_waitcnt lgkmcnt(0)
	v_mul_f64 v[15:16], v[13:14], v[3:4]
	v_fma_f64 v[15:16], v[11:12], v[1:2], -v[15:16]
	v_mul_f64 v[11:12], v[11:12], v[3:4]
	v_fma_f64 v[11:12], v[13:14], v[1:2], v[11:12]
	buffer_load_dword v13, v7, s[0:3], 0 offen offset:48
	buffer_load_dword v14, v7, s[0:3], 0 offen offset:52
	buffer_load_dword v17, v7, s[0:3], 0 offen offset:56
	buffer_load_dword v18, v7, s[0:3], 0 offen offset:60
	s_waitcnt vmcnt(2)
	v_add_f64 v[13:14], v[13:14], -v[15:16]
	s_waitcnt vmcnt(0)
	v_add_f64 v[11:12], v[17:18], -v[11:12]
	buffer_store_dword v14, v7, s[0:3], 0 offen offset:52
	buffer_store_dword v13, v7, s[0:3], 0 offen offset:48
	buffer_store_dword v12, v7, s[0:3], 0 offen offset:60
	buffer_store_dword v11, v7, s[0:3], 0 offen offset:56
	ds_read2_b64 v[11:14], v10 offset0:8 offset1:9
	s_waitcnt lgkmcnt(0)
	v_mul_f64 v[15:16], v[13:14], v[3:4]
	v_fma_f64 v[15:16], v[11:12], v[1:2], -v[15:16]
	v_mul_f64 v[11:12], v[11:12], v[3:4]
	v_fma_f64 v[11:12], v[13:14], v[1:2], v[11:12]
	buffer_load_dword v13, v7, s[0:3], 0 offen offset:64
	buffer_load_dword v14, v7, s[0:3], 0 offen offset:68
	buffer_load_dword v17, v7, s[0:3], 0 offen offset:72
	buffer_load_dword v18, v7, s[0:3], 0 offen offset:76
	s_waitcnt vmcnt(2)
	v_add_f64 v[13:14], v[13:14], -v[15:16]
	s_waitcnt vmcnt(0)
	;; [unrolled: 18-line block ×3, first 2 shown]
	v_add_f64 v[10:11], v[16:17], -v[10:11]
	buffer_store_dword v13, v7, s[0:3], 0 offen offset:84
	buffer_store_dword v12, v7, s[0:3], 0 offen offset:80
	;; [unrolled: 1-line block ×4, first 2 shown]
	s_cbranch_scc1 .LBB125_40
.LBB125_41:
	s_or_b64 exec, exec, s[6:7]
	v_cmp_eq_u32_e32 vcc, 3, v0
	s_waitcnt vmcnt(0)
	s_barrier
	s_and_saveexec_b64 s[8:9], vcc
	s_cbranch_execz .LBB125_52
; %bb.42:
	v_readlane_b32 s6, v126, 2
	v_mov_b32_e32 v4, s6
	buffer_load_dword v1, v4, s[0:3], 0 offen
	buffer_load_dword v2, v4, s[0:3], 0 offen offset:4
	buffer_load_dword v3, v4, s[0:3], 0 offen offset:8
	s_nop 0
	buffer_load_dword v4, v4, s[0:3], 0 offen offset:12
	s_mov_b32 s10, 64
	s_waitcnt vmcnt(0)
	ds_write2_b64 v125, v[1:2], v[3:4] offset1:1
	s_branch .LBB125_44
.LBB125_43:                             ;   in Loop: Header=BB125_44 Depth=1
	s_andn2_b64 vcc, exec, s[6:7]
	s_cbranch_vccz .LBB125_46
.LBB125_44:                             ; =>This Inner Loop Header: Depth=1
	v_mov_b32_e32 v1, s10
	buffer_load_dword v2, v1, s[0:3], 0 offen
	buffer_load_dword v3, v1, s[0:3], 0 offen offset:4
	buffer_load_dword v10, v1, s[0:3], 0 offen offset:8
	;; [unrolled: 1-line block ×11, first 2 shown]
	s_mov_b32 s11, s10
	v_add_u32_e32 v1, s10, v6
	s_cmpk_eq_i32 s10, 0x3c0
	s_mov_b64 s[6:7], -1
	s_waitcnt vmcnt(8)
	ds_write2_b64 v1, v[2:3], v[10:11] offset1:1
	s_waitcnt vmcnt(4)
	ds_write2_b64 v1, v[12:13], v[14:15] offset0:2 offset1:3
	s_waitcnt vmcnt(0)
	ds_write2_b64 v1, v[16:17], v[18:19] offset0:4 offset1:5
	s_cbranch_scc1 .LBB125_43
; %bb.45:                               ;   in Loop: Header=BB125_44 Depth=1
	v_mov_b32_e32 v4, s11
	buffer_load_dword v2, v4, s[0:3], 0 offen offset:48
	buffer_load_dword v3, v4, s[0:3], 0 offen offset:52
	;; [unrolled: 1-line block ×16, first 2 shown]
	s_addk_i32 s10, 0x80
	s_mov_b64 s[6:7], 0
	s_waitcnt vmcnt(12)
	ds_write2_b64 v1, v[2:3], v[10:11] offset0:6 offset1:7
	s_waitcnt vmcnt(8)
	ds_write2_b64 v1, v[12:13], v[14:15] offset0:8 offset1:9
	;; [unrolled: 2-line block ×4, first 2 shown]
	buffer_load_dword v3, v4, s[0:3], 0 offen offset:124
	buffer_load_dword v2, v4, s[0:3], 0 offen offset:120
	;; [unrolled: 1-line block ×4, first 2 shown]
	s_waitcnt vmcnt(0)
	ds_write2_b64 v1, v[10:11], v[2:3] offset0:14 offset1:15
	s_branch .LBB125_43
.LBB125_46:
	ds_read2_b64 v[1:4], v125 offset1:1
	s_waitcnt lgkmcnt(0)
	v_cmp_neq_f64_e32 vcc, 0, v[1:2]
	v_cmp_neq_f64_e64 s[6:7], 0, v[3:4]
	s_or_b64 s[6:7], vcc, s[6:7]
	s_and_b64 exec, exec, s[6:7]
	s_cbranch_execz .LBB125_52
; %bb.47:
	v_cmp_ngt_f64_e64 s[6:7], |v[1:2]|, |v[3:4]|
                                        ; implicit-def: $vgpr10_vgpr11
	s_and_saveexec_b64 s[10:11], s[6:7]
	s_xor_b64 s[6:7], exec, s[10:11]
                                        ; implicit-def: $vgpr12_vgpr13
	s_cbranch_execz .LBB125_49
; %bb.48:
	v_div_scale_f64 v[10:11], s[10:11], v[3:4], v[3:4], v[1:2]
	v_rcp_f64_e32 v[12:13], v[10:11]
	v_fma_f64 v[14:15], -v[10:11], v[12:13], 1.0
	v_fma_f64 v[12:13], v[12:13], v[14:15], v[12:13]
	v_div_scale_f64 v[14:15], vcc, v[1:2], v[3:4], v[1:2]
	v_fma_f64 v[16:17], -v[10:11], v[12:13], 1.0
	v_fma_f64 v[12:13], v[12:13], v[16:17], v[12:13]
	v_mul_f64 v[16:17], v[14:15], v[12:13]
	v_fma_f64 v[10:11], -v[10:11], v[16:17], v[14:15]
	v_div_fmas_f64 v[10:11], v[10:11], v[12:13], v[16:17]
	v_div_fixup_f64 v[10:11], v[10:11], v[3:4], v[1:2]
	v_fma_f64 v[1:2], v[1:2], v[10:11], v[3:4]
	v_div_scale_f64 v[3:4], s[10:11], v[1:2], v[1:2], 1.0
	v_div_scale_f64 v[16:17], vcc, 1.0, v[1:2], 1.0
	v_rcp_f64_e32 v[12:13], v[3:4]
	v_fma_f64 v[14:15], -v[3:4], v[12:13], 1.0
	v_fma_f64 v[12:13], v[12:13], v[14:15], v[12:13]
	v_fma_f64 v[14:15], -v[3:4], v[12:13], 1.0
	v_fma_f64 v[12:13], v[12:13], v[14:15], v[12:13]
	v_mul_f64 v[14:15], v[16:17], v[12:13]
	v_fma_f64 v[3:4], -v[3:4], v[14:15], v[16:17]
	v_div_fmas_f64 v[3:4], v[3:4], v[12:13], v[14:15]
	v_div_fixup_f64 v[12:13], v[3:4], v[1:2], 1.0
                                        ; implicit-def: $vgpr1_vgpr2
	v_mul_f64 v[10:11], v[10:11], v[12:13]
	v_xor_b32_e32 v13, 0x80000000, v13
.LBB125_49:
	s_andn2_saveexec_b64 s[6:7], s[6:7]
	s_cbranch_execz .LBB125_51
; %bb.50:
	v_div_scale_f64 v[10:11], s[10:11], v[1:2], v[1:2], v[3:4]
	v_rcp_f64_e32 v[12:13], v[10:11]
	v_fma_f64 v[14:15], -v[10:11], v[12:13], 1.0
	v_fma_f64 v[12:13], v[12:13], v[14:15], v[12:13]
	v_div_scale_f64 v[14:15], vcc, v[3:4], v[1:2], v[3:4]
	v_fma_f64 v[16:17], -v[10:11], v[12:13], 1.0
	v_fma_f64 v[12:13], v[12:13], v[16:17], v[12:13]
	v_mul_f64 v[16:17], v[14:15], v[12:13]
	v_fma_f64 v[10:11], -v[10:11], v[16:17], v[14:15]
	v_div_fmas_f64 v[10:11], v[10:11], v[12:13], v[16:17]
	v_div_fixup_f64 v[12:13], v[10:11], v[1:2], v[3:4]
	v_fma_f64 v[1:2], v[3:4], v[12:13], v[1:2]
	v_div_scale_f64 v[3:4], s[10:11], v[1:2], v[1:2], 1.0
	v_div_scale_f64 v[16:17], vcc, 1.0, v[1:2], 1.0
	v_rcp_f64_e32 v[10:11], v[3:4]
	v_fma_f64 v[14:15], -v[3:4], v[10:11], 1.0
	v_fma_f64 v[10:11], v[10:11], v[14:15], v[10:11]
	v_fma_f64 v[14:15], -v[3:4], v[10:11], 1.0
	v_fma_f64 v[10:11], v[10:11], v[14:15], v[10:11]
	v_mul_f64 v[14:15], v[16:17], v[10:11]
	v_fma_f64 v[3:4], -v[3:4], v[14:15], v[16:17]
	v_div_fmas_f64 v[3:4], v[3:4], v[10:11], v[14:15]
	v_div_fixup_f64 v[10:11], v[3:4], v[1:2], 1.0
	v_mul_f64 v[12:13], v[12:13], -v[10:11]
.LBB125_51:
	s_or_b64 exec, exec, s[6:7]
	ds_write2_b64 v125, v[10:11], v[12:13] offset1:1
.LBB125_52:
	s_or_b64 exec, exec, s[8:9]
	s_waitcnt lgkmcnt(0)
	s_barrier
	ds_read2_b64 v[23:26], v125 offset1:1
	v_cmp_lt_u32_e32 vcc, 3, v0
	s_and_saveexec_b64 s[6:7], vcc
	s_cbranch_execz .LBB125_57
; %bb.53:
	buffer_load_dword v1, off, s[0:3], 0 offset:56
	buffer_load_dword v2, off, s[0:3], 0 offset:60
	buffer_load_dword v3, off, s[0:3], 0 offset:48
	buffer_load_dword v4, off, s[0:3], 0 offset:52
	s_mov_b32 s10, 64
	s_waitcnt vmcnt(2) lgkmcnt(0)
	v_mul_f64 v[10:11], v[25:26], v[1:2]
	v_mul_f64 v[12:13], v[23:24], v[1:2]
	s_waitcnt vmcnt(0)
	v_fma_f64 v[1:2], v[23:24], v[3:4], -v[10:11]
	v_fma_f64 v[3:4], v[25:26], v[3:4], v[12:13]
	buffer_store_dword v1, off, s[0:3], 0 offset:48
	buffer_store_dword v2, off, s[0:3], 0 offset:52
	;; [unrolled: 1-line block ×4, first 2 shown]
	s_branch .LBB125_55
.LBB125_54:                             ;   in Loop: Header=BB125_55 Depth=1
	s_andn2_b64 vcc, exec, s[8:9]
	s_cbranch_vccz .LBB125_57
.LBB125_55:                             ; =>This Inner Loop Header: Depth=1
	v_mov_b32_e32 v22, s10
	buffer_load_dword v14, v22, s[0:3], 0 offen
	buffer_load_dword v15, v22, s[0:3], 0 offen offset:4
	buffer_load_dword v16, v22, s[0:3], 0 offen offset:8
	;; [unrolled: 1-line block ×3, first 2 shown]
	v_add_u32_e32 v7, s10, v6
	ds_read2_b64 v[10:13], v7 offset1:1
	s_mov_b32 s11, s10
	s_cmpk_eq_i32 s10, 0x3c0
	s_mov_b64 s[8:9], -1
	s_waitcnt lgkmcnt(0)
	v_mul_f64 v[18:19], v[12:13], v[3:4]
	v_mul_f64 v[3:4], v[10:11], v[3:4]
	v_fma_f64 v[10:11], v[10:11], v[1:2], -v[18:19]
	v_fma_f64 v[1:2], v[12:13], v[1:2], v[3:4]
	s_waitcnt vmcnt(2)
	v_add_f64 v[3:4], v[14:15], -v[10:11]
	s_waitcnt vmcnt(0)
	v_add_f64 v[1:2], v[16:17], -v[1:2]
	buffer_store_dword v4, v22, s[0:3], 0 offen offset:4
	buffer_store_dword v3, v22, s[0:3], 0 offen
	buffer_store_dword v2, v22, s[0:3], 0 offen offset:12
	buffer_store_dword v1, v22, s[0:3], 0 offen offset:8
	buffer_load_dword v11, off, s[0:3], 0 offset:60
	buffer_load_dword v10, off, s[0:3], 0 offset:56
	;; [unrolled: 1-line block ×4, first 2 shown]
	buffer_load_dword v15, v22, s[0:3], 0 offen offset:20
	buffer_load_dword v14, v22, s[0:3], 0 offen offset:16
	;; [unrolled: 1-line block ×4, first 2 shown]
	ds_read2_b64 v[1:4], v7 offset0:2 offset1:3
	s_waitcnt vmcnt(6) lgkmcnt(0)
	v_mul_f64 v[18:19], v[3:4], v[10:11]
	v_mul_f64 v[10:11], v[1:2], v[10:11]
	s_waitcnt vmcnt(4)
	v_fma_f64 v[1:2], v[1:2], v[12:13], -v[18:19]
	v_fma_f64 v[3:4], v[3:4], v[12:13], v[10:11]
	s_waitcnt vmcnt(2)
	v_add_f64 v[1:2], v[14:15], -v[1:2]
	s_waitcnt vmcnt(0)
	v_add_f64 v[3:4], v[16:17], -v[3:4]
	buffer_store_dword v2, v22, s[0:3], 0 offen offset:20
	buffer_store_dword v1, v22, s[0:3], 0 offen offset:16
	;; [unrolled: 1-line block ×4, first 2 shown]
	buffer_load_dword v3, off, s[0:3], 0 offset:56
	s_nop 0
	buffer_load_dword v4, off, s[0:3], 0 offset:60
	buffer_load_dword v1, off, s[0:3], 0 offset:48
	;; [unrolled: 1-line block ×3, first 2 shown]
	buffer_load_dword v15, v22, s[0:3], 0 offen offset:36
	buffer_load_dword v14, v22, s[0:3], 0 offen offset:32
	;; [unrolled: 1-line block ×4, first 2 shown]
	ds_read2_b64 v[10:13], v7 offset0:4 offset1:5
	s_waitcnt vmcnt(6) lgkmcnt(0)
	v_mul_f64 v[18:19], v[12:13], v[3:4]
	v_mul_f64 v[20:21], v[10:11], v[3:4]
	s_waitcnt vmcnt(4)
	v_fma_f64 v[10:11], v[10:11], v[1:2], -v[18:19]
	v_fma_f64 v[12:13], v[12:13], v[1:2], v[20:21]
	s_waitcnt vmcnt(2)
	v_add_f64 v[10:11], v[14:15], -v[10:11]
	s_waitcnt vmcnt(0)
	v_add_f64 v[12:13], v[16:17], -v[12:13]
	buffer_store_dword v11, v22, s[0:3], 0 offen offset:36
	buffer_store_dword v10, v22, s[0:3], 0 offen offset:32
	;; [unrolled: 1-line block ×4, first 2 shown]
	s_cbranch_scc1 .LBB125_54
; %bb.56:                               ;   in Loop: Header=BB125_55 Depth=1
	ds_read2_b64 v[10:13], v7 offset0:6 offset1:7
	v_mov_b32_e32 v7, s11
	s_add_i32 s10, s10, 64
	s_mov_b64 s[8:9], 0
	s_waitcnt lgkmcnt(0)
	v_mul_f64 v[14:15], v[12:13], v[3:4]
	v_fma_f64 v[14:15], v[10:11], v[1:2], -v[14:15]
	v_mul_f64 v[10:11], v[10:11], v[3:4]
	v_fma_f64 v[10:11], v[12:13], v[1:2], v[10:11]
	buffer_load_dword v12, v7, s[0:3], 0 offen offset:48
	buffer_load_dword v13, v7, s[0:3], 0 offen offset:52
	;; [unrolled: 1-line block ×4, first 2 shown]
	s_waitcnt vmcnt(2)
	v_add_f64 v[12:13], v[12:13], -v[14:15]
	s_waitcnt vmcnt(0)
	v_add_f64 v[10:11], v[16:17], -v[10:11]
	buffer_store_dword v12, v7, s[0:3], 0 offen offset:48
	buffer_store_dword v13, v7, s[0:3], 0 offen offset:52
	;; [unrolled: 1-line block ×4, first 2 shown]
	s_branch .LBB125_54
.LBB125_57:
	s_or_b64 exec, exec, s[6:7]
	v_cmp_eq_u32_e32 vcc, 4, v0
	s_waitcnt vmcnt(0) lgkmcnt(0)
	s_barrier
	s_and_saveexec_b64 s[8:9], vcc
	s_cbranch_execz .LBB125_66
; %bb.58:
	v_readlane_b32 s6, v126, 3
	v_mov_b32_e32 v4, s6
	buffer_load_dword v1, v4, s[0:3], 0 offen
	buffer_load_dword v2, v4, s[0:3], 0 offen offset:4
	buffer_load_dword v3, v4, s[0:3], 0 offen offset:8
	s_nop 0
	buffer_load_dword v4, v4, s[0:3], 0 offen offset:12
	s_movk_i32 s6, 0x50
	s_waitcnt vmcnt(0)
	ds_write2_b64 v125, v[1:2], v[3:4] offset1:1
.LBB125_59:                             ; =>This Inner Loop Header: Depth=1
	v_mov_b32_e32 v7, s6
	buffer_load_dword v1, v7, s[0:3], 0 offen
	buffer_load_dword v2, v7, s[0:3], 0 offen offset:4
	buffer_load_dword v3, v7, s[0:3], 0 offen offset:8
	;; [unrolled: 1-line block ×7, first 2 shown]
	v_add_u32_e32 v7, s6, v6
	s_add_i32 s6, s6, 32
	s_cmpk_lg_i32 s6, 0x3f0
	s_waitcnt vmcnt(4)
	ds_write2_b64 v7, v[1:2], v[3:4] offset1:1
	s_waitcnt vmcnt(0)
	ds_write2_b64 v7, v[10:11], v[12:13] offset0:2 offset1:3
	s_cbranch_scc1 .LBB125_59
; %bb.60:
	ds_read2_b64 v[1:4], v125 offset1:1
	s_waitcnt lgkmcnt(0)
	v_cmp_neq_f64_e32 vcc, 0, v[1:2]
	v_cmp_neq_f64_e64 s[6:7], 0, v[3:4]
	s_or_b64 s[6:7], vcc, s[6:7]
	s_and_b64 exec, exec, s[6:7]
	s_cbranch_execz .LBB125_66
; %bb.61:
	v_cmp_ngt_f64_e64 s[6:7], |v[1:2]|, |v[3:4]|
                                        ; implicit-def: $vgpr10_vgpr11
	s_and_saveexec_b64 s[10:11], s[6:7]
	s_xor_b64 s[6:7], exec, s[10:11]
                                        ; implicit-def: $vgpr12_vgpr13
	s_cbranch_execz .LBB125_63
; %bb.62:
	v_div_scale_f64 v[10:11], s[10:11], v[3:4], v[3:4], v[1:2]
	v_rcp_f64_e32 v[12:13], v[10:11]
	v_fma_f64 v[14:15], -v[10:11], v[12:13], 1.0
	v_fma_f64 v[12:13], v[12:13], v[14:15], v[12:13]
	v_div_scale_f64 v[14:15], vcc, v[1:2], v[3:4], v[1:2]
	v_fma_f64 v[16:17], -v[10:11], v[12:13], 1.0
	v_fma_f64 v[12:13], v[12:13], v[16:17], v[12:13]
	v_mul_f64 v[16:17], v[14:15], v[12:13]
	v_fma_f64 v[10:11], -v[10:11], v[16:17], v[14:15]
	v_div_fmas_f64 v[10:11], v[10:11], v[12:13], v[16:17]
	v_div_fixup_f64 v[10:11], v[10:11], v[3:4], v[1:2]
	v_fma_f64 v[1:2], v[1:2], v[10:11], v[3:4]
	v_div_scale_f64 v[3:4], s[10:11], v[1:2], v[1:2], 1.0
	v_div_scale_f64 v[16:17], vcc, 1.0, v[1:2], 1.0
	v_rcp_f64_e32 v[12:13], v[3:4]
	v_fma_f64 v[14:15], -v[3:4], v[12:13], 1.0
	v_fma_f64 v[12:13], v[12:13], v[14:15], v[12:13]
	v_fma_f64 v[14:15], -v[3:4], v[12:13], 1.0
	v_fma_f64 v[12:13], v[12:13], v[14:15], v[12:13]
	v_mul_f64 v[14:15], v[16:17], v[12:13]
	v_fma_f64 v[3:4], -v[3:4], v[14:15], v[16:17]
	v_div_fmas_f64 v[3:4], v[3:4], v[12:13], v[14:15]
	v_div_fixup_f64 v[12:13], v[3:4], v[1:2], 1.0
                                        ; implicit-def: $vgpr1_vgpr2
	v_mul_f64 v[10:11], v[10:11], v[12:13]
	v_xor_b32_e32 v13, 0x80000000, v13
.LBB125_63:
	s_andn2_saveexec_b64 s[6:7], s[6:7]
	s_cbranch_execz .LBB125_65
; %bb.64:
	v_div_scale_f64 v[10:11], s[10:11], v[1:2], v[1:2], v[3:4]
	v_rcp_f64_e32 v[12:13], v[10:11]
	v_fma_f64 v[14:15], -v[10:11], v[12:13], 1.0
	v_fma_f64 v[12:13], v[12:13], v[14:15], v[12:13]
	v_div_scale_f64 v[14:15], vcc, v[3:4], v[1:2], v[3:4]
	v_fma_f64 v[16:17], -v[10:11], v[12:13], 1.0
	v_fma_f64 v[12:13], v[12:13], v[16:17], v[12:13]
	v_mul_f64 v[16:17], v[14:15], v[12:13]
	v_fma_f64 v[10:11], -v[10:11], v[16:17], v[14:15]
	v_div_fmas_f64 v[10:11], v[10:11], v[12:13], v[16:17]
	v_div_fixup_f64 v[12:13], v[10:11], v[1:2], v[3:4]
	v_fma_f64 v[1:2], v[3:4], v[12:13], v[1:2]
	v_div_scale_f64 v[3:4], s[10:11], v[1:2], v[1:2], 1.0
	v_div_scale_f64 v[16:17], vcc, 1.0, v[1:2], 1.0
	v_rcp_f64_e32 v[10:11], v[3:4]
	v_fma_f64 v[14:15], -v[3:4], v[10:11], 1.0
	v_fma_f64 v[10:11], v[10:11], v[14:15], v[10:11]
	v_fma_f64 v[14:15], -v[3:4], v[10:11], 1.0
	v_fma_f64 v[10:11], v[10:11], v[14:15], v[10:11]
	v_mul_f64 v[14:15], v[16:17], v[10:11]
	v_fma_f64 v[3:4], -v[3:4], v[14:15], v[16:17]
	v_div_fmas_f64 v[3:4], v[3:4], v[10:11], v[14:15]
	v_div_fixup_f64 v[10:11], v[3:4], v[1:2], 1.0
	v_mul_f64 v[12:13], v[12:13], -v[10:11]
.LBB125_65:
	s_or_b64 exec, exec, s[6:7]
	ds_write2_b64 v125, v[10:11], v[12:13] offset1:1
.LBB125_66:
	s_or_b64 exec, exec, s[8:9]
	s_waitcnt lgkmcnt(0)
	s_barrier
	ds_read2_b64 v[1:4], v125 offset1:1
	v_cmp_lt_u32_e32 vcc, 4, v0
	s_waitcnt lgkmcnt(0)
	buffer_store_dword v1, off, s[0:3], 0 offset:1544 ; 4-byte Folded Spill
	s_nop 0
	buffer_store_dword v2, off, s[0:3], 0 offset:1548 ; 4-byte Folded Spill
	buffer_store_dword v3, off, s[0:3], 0 offset:1552 ; 4-byte Folded Spill
	;; [unrolled: 1-line block ×3, first 2 shown]
	s_and_saveexec_b64 s[6:7], vcc
	s_cbranch_execz .LBB125_69
; %bb.67:
	buffer_load_dword v1, off, s[0:3], 0 offset:72
	buffer_load_dword v2, off, s[0:3], 0 offset:76
	;; [unrolled: 1-line block ×4, first 2 shown]
	buffer_load_dword v12, off, s[0:3], 0 offset:1544 ; 4-byte Folded Reload
	buffer_load_dword v13, off, s[0:3], 0 offset:1548 ; 4-byte Folded Reload
	;; [unrolled: 1-line block ×4, first 2 shown]
	s_movk_i32 s8, 0x50
	s_waitcnt vmcnt(0)
	v_mul_f64 v[10:11], v[14:15], v[1:2]
	v_mul_f64 v[1:2], v[12:13], v[1:2]
	v_fma_f64 v[10:11], v[12:13], v[3:4], -v[10:11]
	v_fma_f64 v[1:2], v[14:15], v[3:4], v[1:2]
	buffer_store_dword v10, off, s[0:3], 0 offset:64
	buffer_store_dword v11, off, s[0:3], 0 offset:68
	;; [unrolled: 1-line block ×4, first 2 shown]
.LBB125_68:                             ; =>This Inner Loop Header: Depth=1
	v_add_u32_e32 v7, s8, v6
	ds_read2_b64 v[1:4], v7 offset1:1
	buffer_load_dword v10, off, s[0:3], 0 offset:64
	buffer_load_dword v11, off, s[0:3], 0 offset:68
	;; [unrolled: 1-line block ×4, first 2 shown]
	v_mov_b32_e32 v20, s8
	s_add_i32 s8, s8, 32
	s_cmpk_lg_i32 s8, 0x3f0
	s_waitcnt vmcnt(0) lgkmcnt(0)
	v_mul_f64 v[14:15], v[3:4], v[12:13]
	v_fma_f64 v[14:15], v[1:2], v[10:11], -v[14:15]
	v_mul_f64 v[1:2], v[1:2], v[12:13]
	v_fma_f64 v[1:2], v[3:4], v[10:11], v[1:2]
	buffer_load_dword v3, v20, s[0:3], 0 offen
	buffer_load_dword v4, v20, s[0:3], 0 offen offset:4
	buffer_load_dword v10, v20, s[0:3], 0 offen offset:8
	;; [unrolled: 1-line block ×7, first 2 shown]
	s_waitcnt vmcnt(6)
	v_add_f64 v[3:4], v[3:4], -v[14:15]
	s_waitcnt vmcnt(4)
	v_add_f64 v[1:2], v[10:11], -v[1:2]
	buffer_store_dword v4, v20, s[0:3], 0 offen offset:4
	buffer_store_dword v3, v20, s[0:3], 0 offen
	buffer_store_dword v2, v20, s[0:3], 0 offen offset:12
	buffer_store_dword v1, v20, s[0:3], 0 offen offset:8
	ds_read2_b64 v[1:4], v7 offset0:2 offset1:3
	buffer_load_dword v11, off, s[0:3], 0 offset:68
	buffer_load_dword v10, off, s[0:3], 0 offset:64
	;; [unrolled: 1-line block ×4, first 2 shown]
	s_waitcnt vmcnt(0) lgkmcnt(0)
	v_mul_f64 v[18:19], v[3:4], v[14:15]
	v_fma_f64 v[18:19], v[1:2], v[10:11], -v[18:19]
	v_mul_f64 v[1:2], v[1:2], v[14:15]
	v_fma_f64 v[1:2], v[3:4], v[10:11], v[1:2]
	v_add_f64 v[3:4], v[12:13], -v[18:19]
	v_add_f64 v[1:2], v[16:17], -v[1:2]
	buffer_store_dword v4, v20, s[0:3], 0 offen offset:20
	buffer_store_dword v3, v20, s[0:3], 0 offen offset:16
	;; [unrolled: 1-line block ×4, first 2 shown]
	s_cbranch_scc1 .LBB125_68
.LBB125_69:
	s_or_b64 exec, exec, s[6:7]
	v_cmp_eq_u32_e32 vcc, 5, v0
	s_waitcnt vmcnt(0)
	s_barrier
	s_and_saveexec_b64 s[8:9], vcc
	s_cbranch_execz .LBB125_78
; %bb.70:
	v_readlane_b32 s6, v126, 4
	v_mov_b32_e32 v4, s6
	buffer_load_dword v1, v4, s[0:3], 0 offen
	buffer_load_dword v2, v4, s[0:3], 0 offen offset:4
	buffer_load_dword v3, v4, s[0:3], 0 offen offset:8
	s_nop 0
	buffer_load_dword v4, v4, s[0:3], 0 offen offset:12
	s_movk_i32 s6, 0x60
	s_waitcnt vmcnt(0)
	ds_write2_b64 v125, v[1:2], v[3:4] offset1:1
.LBB125_71:                             ; =>This Inner Loop Header: Depth=1
	v_mov_b32_e32 v7, s6
	buffer_load_dword v1, v7, s[0:3], 0 offen
	buffer_load_dword v2, v7, s[0:3], 0 offen offset:4
	buffer_load_dword v3, v7, s[0:3], 0 offen offset:8
	;; [unrolled: 1-line block ×11, first 2 shown]
	v_add_u32_e32 v7, s6, v6
	s_add_i32 s6, s6, 48
	s_cmpk_lg_i32 s6, 0x3f0
	s_waitcnt vmcnt(8)
	ds_write2_b64 v7, v[1:2], v[3:4] offset1:1
	s_waitcnt vmcnt(4)
	ds_write2_b64 v7, v[10:11], v[12:13] offset0:2 offset1:3
	s_waitcnt vmcnt(0)
	ds_write2_b64 v7, v[14:15], v[16:17] offset0:4 offset1:5
	s_cbranch_scc1 .LBB125_71
; %bb.72:
	ds_read2_b64 v[1:4], v125 offset1:1
	s_waitcnt lgkmcnt(0)
	v_cmp_neq_f64_e32 vcc, 0, v[1:2]
	v_cmp_neq_f64_e64 s[6:7], 0, v[3:4]
	s_or_b64 s[6:7], vcc, s[6:7]
	s_and_b64 exec, exec, s[6:7]
	s_cbranch_execz .LBB125_78
; %bb.73:
	v_cmp_ngt_f64_e64 s[6:7], |v[1:2]|, |v[3:4]|
                                        ; implicit-def: $vgpr10_vgpr11
	s_and_saveexec_b64 s[10:11], s[6:7]
	s_xor_b64 s[6:7], exec, s[10:11]
                                        ; implicit-def: $vgpr12_vgpr13
	s_cbranch_execz .LBB125_75
; %bb.74:
	v_div_scale_f64 v[10:11], s[10:11], v[3:4], v[3:4], v[1:2]
	v_rcp_f64_e32 v[12:13], v[10:11]
	v_fma_f64 v[14:15], -v[10:11], v[12:13], 1.0
	v_fma_f64 v[12:13], v[12:13], v[14:15], v[12:13]
	v_div_scale_f64 v[14:15], vcc, v[1:2], v[3:4], v[1:2]
	v_fma_f64 v[16:17], -v[10:11], v[12:13], 1.0
	v_fma_f64 v[12:13], v[12:13], v[16:17], v[12:13]
	v_mul_f64 v[16:17], v[14:15], v[12:13]
	v_fma_f64 v[10:11], -v[10:11], v[16:17], v[14:15]
	v_div_fmas_f64 v[10:11], v[10:11], v[12:13], v[16:17]
	v_div_fixup_f64 v[10:11], v[10:11], v[3:4], v[1:2]
	v_fma_f64 v[1:2], v[1:2], v[10:11], v[3:4]
	v_div_scale_f64 v[3:4], s[10:11], v[1:2], v[1:2], 1.0
	v_div_scale_f64 v[16:17], vcc, 1.0, v[1:2], 1.0
	v_rcp_f64_e32 v[12:13], v[3:4]
	v_fma_f64 v[14:15], -v[3:4], v[12:13], 1.0
	v_fma_f64 v[12:13], v[12:13], v[14:15], v[12:13]
	v_fma_f64 v[14:15], -v[3:4], v[12:13], 1.0
	v_fma_f64 v[12:13], v[12:13], v[14:15], v[12:13]
	v_mul_f64 v[14:15], v[16:17], v[12:13]
	v_fma_f64 v[3:4], -v[3:4], v[14:15], v[16:17]
	v_div_fmas_f64 v[3:4], v[3:4], v[12:13], v[14:15]
	v_div_fixup_f64 v[12:13], v[3:4], v[1:2], 1.0
                                        ; implicit-def: $vgpr1_vgpr2
	v_mul_f64 v[10:11], v[10:11], v[12:13]
	v_xor_b32_e32 v13, 0x80000000, v13
.LBB125_75:
	s_andn2_saveexec_b64 s[6:7], s[6:7]
	s_cbranch_execz .LBB125_77
; %bb.76:
	v_div_scale_f64 v[10:11], s[10:11], v[1:2], v[1:2], v[3:4]
	v_rcp_f64_e32 v[12:13], v[10:11]
	v_fma_f64 v[14:15], -v[10:11], v[12:13], 1.0
	v_fma_f64 v[12:13], v[12:13], v[14:15], v[12:13]
	v_div_scale_f64 v[14:15], vcc, v[3:4], v[1:2], v[3:4]
	v_fma_f64 v[16:17], -v[10:11], v[12:13], 1.0
	v_fma_f64 v[12:13], v[12:13], v[16:17], v[12:13]
	v_mul_f64 v[16:17], v[14:15], v[12:13]
	v_fma_f64 v[10:11], -v[10:11], v[16:17], v[14:15]
	v_div_fmas_f64 v[10:11], v[10:11], v[12:13], v[16:17]
	v_div_fixup_f64 v[12:13], v[10:11], v[1:2], v[3:4]
	v_fma_f64 v[1:2], v[3:4], v[12:13], v[1:2]
	v_div_scale_f64 v[3:4], s[10:11], v[1:2], v[1:2], 1.0
	v_div_scale_f64 v[16:17], vcc, 1.0, v[1:2], 1.0
	v_rcp_f64_e32 v[10:11], v[3:4]
	v_fma_f64 v[14:15], -v[3:4], v[10:11], 1.0
	v_fma_f64 v[10:11], v[10:11], v[14:15], v[10:11]
	v_fma_f64 v[14:15], -v[3:4], v[10:11], 1.0
	v_fma_f64 v[10:11], v[10:11], v[14:15], v[10:11]
	v_mul_f64 v[14:15], v[16:17], v[10:11]
	v_fma_f64 v[3:4], -v[3:4], v[14:15], v[16:17]
	v_div_fmas_f64 v[3:4], v[3:4], v[10:11], v[14:15]
	v_div_fixup_f64 v[10:11], v[3:4], v[1:2], 1.0
	v_mul_f64 v[12:13], v[12:13], -v[10:11]
.LBB125_77:
	s_or_b64 exec, exec, s[6:7]
	ds_write2_b64 v125, v[10:11], v[12:13] offset1:1
.LBB125_78:
	s_or_b64 exec, exec, s[8:9]
	s_waitcnt lgkmcnt(0)
	s_barrier
	ds_read2_b64 v[1:4], v125 offset1:1
	v_cmp_lt_u32_e32 vcc, 5, v0
	s_waitcnt lgkmcnt(0)
	buffer_store_dword v1, off, s[0:3], 0 offset:1560 ; 4-byte Folded Spill
	s_nop 0
	buffer_store_dword v2, off, s[0:3], 0 offset:1564 ; 4-byte Folded Spill
	buffer_store_dword v3, off, s[0:3], 0 offset:1568 ; 4-byte Folded Spill
	;; [unrolled: 1-line block ×3, first 2 shown]
	s_and_saveexec_b64 s[6:7], vcc
	s_cbranch_execz .LBB125_81
; %bb.79:
	buffer_load_dword v1, off, s[0:3], 0 offset:88
	buffer_load_dword v2, off, s[0:3], 0 offset:92
	;; [unrolled: 1-line block ×4, first 2 shown]
	buffer_load_dword v12, off, s[0:3], 0 offset:1560 ; 4-byte Folded Reload
	buffer_load_dword v13, off, s[0:3], 0 offset:1564 ; 4-byte Folded Reload
	;; [unrolled: 1-line block ×4, first 2 shown]
	s_movk_i32 s8, 0x60
	s_waitcnt vmcnt(0)
	v_mul_f64 v[10:11], v[14:15], v[1:2]
	v_mul_f64 v[1:2], v[12:13], v[1:2]
	v_fma_f64 v[10:11], v[12:13], v[3:4], -v[10:11]
	v_fma_f64 v[1:2], v[14:15], v[3:4], v[1:2]
	buffer_store_dword v10, off, s[0:3], 0 offset:80
	buffer_store_dword v11, off, s[0:3], 0 offset:84
	;; [unrolled: 1-line block ×4, first 2 shown]
.LBB125_80:                             ; =>This Inner Loop Header: Depth=1
	buffer_load_dword v10, off, s[0:3], 0 offset:88
	s_nop 0
	buffer_load_dword v11, off, s[0:3], 0 offset:92
	buffer_load_dword v12, off, s[0:3], 0 offset:80
	;; [unrolled: 1-line block ×3, first 2 shown]
	v_mov_b32_e32 v7, s8
	buffer_load_dword v14, v7, s[0:3], 0 offen
	buffer_load_dword v15, v7, s[0:3], 0 offen offset:4
	buffer_load_dword v16, v7, s[0:3], 0 offen offset:8
	;; [unrolled: 1-line block ×3, first 2 shown]
	v_add_u32_e32 v21, s8, v6
	ds_read2_b64 v[1:4], v21 offset1:1
	buffer_load_dword v18, v7, s[0:3], 0 offen offset:16
	s_add_i32 s8, s8, 48
	s_cmpk_lg_i32 s8, 0x3f0
	s_waitcnt vmcnt(7) lgkmcnt(0)
	v_mul_f64 v[19:20], v[3:4], v[10:11]
	v_mul_f64 v[10:11], v[1:2], v[10:11]
	s_waitcnt vmcnt(5)
	v_fma_f64 v[1:2], v[1:2], v[12:13], -v[19:20]
	v_fma_f64 v[3:4], v[3:4], v[12:13], v[10:11]
	s_waitcnt vmcnt(3)
	v_add_f64 v[1:2], v[14:15], -v[1:2]
	s_waitcnt vmcnt(1)
	v_add_f64 v[3:4], v[16:17], -v[3:4]
	buffer_store_dword v2, v7, s[0:3], 0 offen offset:4
	buffer_store_dword v1, v7, s[0:3], 0 offen
	buffer_store_dword v4, v7, s[0:3], 0 offen offset:12
	buffer_store_dword v3, v7, s[0:3], 0 offen offset:8
	buffer_load_dword v11, off, s[0:3], 0 offset:92
	buffer_load_dword v10, off, s[0:3], 0 offset:88
	;; [unrolled: 1-line block ×4, first 2 shown]
	buffer_load_dword v19, v7, s[0:3], 0 offen offset:20
	buffer_load_dword v14, v7, s[0:3], 0 offen offset:24
	;; [unrolled: 1-line block ×3, first 2 shown]
	ds_read2_b64 v[1:4], v21 offset0:2 offset1:3
	s_waitcnt vmcnt(5) lgkmcnt(0)
	v_mul_f64 v[16:17], v[3:4], v[10:11]
	v_mul_f64 v[10:11], v[1:2], v[10:11]
	s_waitcnt vmcnt(3)
	v_fma_f64 v[1:2], v[1:2], v[12:13], -v[16:17]
	v_fma_f64 v[3:4], v[3:4], v[12:13], v[10:11]
	s_waitcnt vmcnt(2)
	v_add_f64 v[1:2], v[18:19], -v[1:2]
	s_waitcnt vmcnt(0)
	v_add_f64 v[3:4], v[14:15], -v[3:4]
	buffer_store_dword v2, v7, s[0:3], 0 offen offset:20
	buffer_store_dword v1, v7, s[0:3], 0 offen offset:16
	;; [unrolled: 1-line block ×4, first 2 shown]
	buffer_load_dword v10, off, s[0:3], 0 offset:88
	buffer_load_dword v11, off, s[0:3], 0 offset:92
	;; [unrolled: 1-line block ×4, first 2 shown]
	buffer_load_dword v14, v7, s[0:3], 0 offen offset:32
	buffer_load_dword v15, v7, s[0:3], 0 offen offset:36
	;; [unrolled: 1-line block ×4, first 2 shown]
	ds_read2_b64 v[1:4], v21 offset0:4 offset1:5
	s_waitcnt vmcnt(6) lgkmcnt(0)
	v_mul_f64 v[18:19], v[3:4], v[10:11]
	v_mul_f64 v[10:11], v[1:2], v[10:11]
	s_waitcnt vmcnt(4)
	v_fma_f64 v[1:2], v[1:2], v[12:13], -v[18:19]
	v_fma_f64 v[3:4], v[3:4], v[12:13], v[10:11]
	s_waitcnt vmcnt(2)
	v_add_f64 v[1:2], v[14:15], -v[1:2]
	s_waitcnt vmcnt(0)
	v_add_f64 v[3:4], v[16:17], -v[3:4]
	buffer_store_dword v2, v7, s[0:3], 0 offen offset:36
	buffer_store_dword v1, v7, s[0:3], 0 offen offset:32
	;; [unrolled: 1-line block ×4, first 2 shown]
	s_cbranch_scc1 .LBB125_80
.LBB125_81:
	s_or_b64 exec, exec, s[6:7]
	v_cmp_eq_u32_e32 vcc, 6, v0
	s_waitcnt vmcnt(0)
	s_barrier
	s_and_saveexec_b64 s[8:9], vcc
	s_cbranch_execz .LBB125_90
; %bb.82:
	v_readlane_b32 s6, v126, 5
	v_mov_b32_e32 v4, s6
	buffer_load_dword v1, v4, s[0:3], 0 offen
	buffer_load_dword v2, v4, s[0:3], 0 offen offset:4
	buffer_load_dword v3, v4, s[0:3], 0 offen offset:8
	s_nop 0
	buffer_load_dword v4, v4, s[0:3], 0 offen offset:12
	s_movk_i32 s6, 0x70
	s_waitcnt vmcnt(0)
	ds_write2_b64 v125, v[1:2], v[3:4] offset1:1
.LBB125_83:                             ; =>This Inner Loop Header: Depth=1
	v_mov_b32_e32 v7, s6
	buffer_load_dword v1, v7, s[0:3], 0 offen
	buffer_load_dword v2, v7, s[0:3], 0 offen offset:4
	buffer_load_dword v3, v7, s[0:3], 0 offen offset:8
	;; [unrolled: 1-line block ×15, first 2 shown]
	v_add_u32_e32 v22, s6, v6
	s_addk_i32 s6, 0xe0
	s_cmpk_lg_i32 s6, 0x3f0
	s_waitcnt vmcnt(12)
	ds_write2_b64 v22, v[1:2], v[3:4] offset1:1
	s_waitcnt vmcnt(8)
	ds_write2_b64 v22, v[10:11], v[12:13] offset0:2 offset1:3
	s_waitcnt vmcnt(4)
	ds_write2_b64 v22, v[14:15], v[16:17] offset0:4 offset1:5
	;; [unrolled: 2-line block ×3, first 2 shown]
	buffer_load_dword v2, v7, s[0:3], 0 offen offset:76
	buffer_load_dword v1, v7, s[0:3], 0 offen offset:72
	buffer_load_dword v4, v7, s[0:3], 0 offen offset:68
	buffer_load_dword v3, v7, s[0:3], 0 offen offset:64
	s_waitcnt vmcnt(0)
	ds_write2_b64 v22, v[3:4], v[1:2] offset0:8 offset1:9
	buffer_load_dword v2, v7, s[0:3], 0 offen offset:92
	buffer_load_dword v1, v7, s[0:3], 0 offen offset:88
	buffer_load_dword v4, v7, s[0:3], 0 offen offset:84
	buffer_load_dword v3, v7, s[0:3], 0 offen offset:80
	s_waitcnt vmcnt(0)
	ds_write2_b64 v22, v[3:4], v[1:2] offset0:10 offset1:11
	;; [unrolled: 6-line block ×10, first 2 shown]
	s_cbranch_scc1 .LBB125_83
; %bb.84:
	ds_read2_b64 v[1:4], v125 offset1:1
	s_waitcnt lgkmcnt(0)
	v_cmp_neq_f64_e32 vcc, 0, v[1:2]
	v_cmp_neq_f64_e64 s[6:7], 0, v[3:4]
	s_or_b64 s[6:7], vcc, s[6:7]
	s_and_b64 exec, exec, s[6:7]
	s_cbranch_execz .LBB125_90
; %bb.85:
	v_cmp_ngt_f64_e64 s[6:7], |v[1:2]|, |v[3:4]|
                                        ; implicit-def: $vgpr10_vgpr11
	s_and_saveexec_b64 s[10:11], s[6:7]
	s_xor_b64 s[6:7], exec, s[10:11]
                                        ; implicit-def: $vgpr12_vgpr13
	s_cbranch_execz .LBB125_87
; %bb.86:
	v_div_scale_f64 v[10:11], s[10:11], v[3:4], v[3:4], v[1:2]
	v_rcp_f64_e32 v[12:13], v[10:11]
	v_fma_f64 v[14:15], -v[10:11], v[12:13], 1.0
	v_fma_f64 v[12:13], v[12:13], v[14:15], v[12:13]
	v_div_scale_f64 v[14:15], vcc, v[1:2], v[3:4], v[1:2]
	v_fma_f64 v[16:17], -v[10:11], v[12:13], 1.0
	v_fma_f64 v[12:13], v[12:13], v[16:17], v[12:13]
	v_mul_f64 v[16:17], v[14:15], v[12:13]
	v_fma_f64 v[10:11], -v[10:11], v[16:17], v[14:15]
	v_div_fmas_f64 v[10:11], v[10:11], v[12:13], v[16:17]
	v_div_fixup_f64 v[10:11], v[10:11], v[3:4], v[1:2]
	v_fma_f64 v[1:2], v[1:2], v[10:11], v[3:4]
	v_div_scale_f64 v[3:4], s[10:11], v[1:2], v[1:2], 1.0
	v_div_scale_f64 v[16:17], vcc, 1.0, v[1:2], 1.0
	v_rcp_f64_e32 v[12:13], v[3:4]
	v_fma_f64 v[14:15], -v[3:4], v[12:13], 1.0
	v_fma_f64 v[12:13], v[12:13], v[14:15], v[12:13]
	v_fma_f64 v[14:15], -v[3:4], v[12:13], 1.0
	v_fma_f64 v[12:13], v[12:13], v[14:15], v[12:13]
	v_mul_f64 v[14:15], v[16:17], v[12:13]
	v_fma_f64 v[3:4], -v[3:4], v[14:15], v[16:17]
	v_div_fmas_f64 v[3:4], v[3:4], v[12:13], v[14:15]
	v_div_fixup_f64 v[12:13], v[3:4], v[1:2], 1.0
                                        ; implicit-def: $vgpr1_vgpr2
	v_mul_f64 v[10:11], v[10:11], v[12:13]
	v_xor_b32_e32 v13, 0x80000000, v13
.LBB125_87:
	s_andn2_saveexec_b64 s[6:7], s[6:7]
	s_cbranch_execz .LBB125_89
; %bb.88:
	v_div_scale_f64 v[10:11], s[10:11], v[1:2], v[1:2], v[3:4]
	v_rcp_f64_e32 v[12:13], v[10:11]
	v_fma_f64 v[14:15], -v[10:11], v[12:13], 1.0
	v_fma_f64 v[12:13], v[12:13], v[14:15], v[12:13]
	v_div_scale_f64 v[14:15], vcc, v[3:4], v[1:2], v[3:4]
	v_fma_f64 v[16:17], -v[10:11], v[12:13], 1.0
	v_fma_f64 v[12:13], v[12:13], v[16:17], v[12:13]
	v_mul_f64 v[16:17], v[14:15], v[12:13]
	v_fma_f64 v[10:11], -v[10:11], v[16:17], v[14:15]
	v_div_fmas_f64 v[10:11], v[10:11], v[12:13], v[16:17]
	v_div_fixup_f64 v[12:13], v[10:11], v[1:2], v[3:4]
	v_fma_f64 v[1:2], v[3:4], v[12:13], v[1:2]
	v_div_scale_f64 v[3:4], s[10:11], v[1:2], v[1:2], 1.0
	v_div_scale_f64 v[16:17], vcc, 1.0, v[1:2], 1.0
	v_rcp_f64_e32 v[10:11], v[3:4]
	v_fma_f64 v[14:15], -v[3:4], v[10:11], 1.0
	v_fma_f64 v[10:11], v[10:11], v[14:15], v[10:11]
	v_fma_f64 v[14:15], -v[3:4], v[10:11], 1.0
	v_fma_f64 v[10:11], v[10:11], v[14:15], v[10:11]
	v_mul_f64 v[14:15], v[16:17], v[10:11]
	v_fma_f64 v[3:4], -v[3:4], v[14:15], v[16:17]
	v_div_fmas_f64 v[3:4], v[3:4], v[10:11], v[14:15]
	v_div_fixup_f64 v[10:11], v[3:4], v[1:2], 1.0
	v_mul_f64 v[12:13], v[12:13], -v[10:11]
.LBB125_89:
	s_or_b64 exec, exec, s[6:7]
	ds_write2_b64 v125, v[10:11], v[12:13] offset1:1
.LBB125_90:
	s_or_b64 exec, exec, s[8:9]
	buffer_store_dword v23, off, s[0:3], 0 offset:1928 ; 4-byte Folded Spill
	s_nop 0
	buffer_store_dword v24, off, s[0:3], 0 offset:1932 ; 4-byte Folded Spill
	buffer_store_dword v25, off, s[0:3], 0 offset:1936 ; 4-byte Folded Spill
	;; [unrolled: 1-line block ×3, first 2 shown]
	s_waitcnt vmcnt(0) lgkmcnt(0)
	s_barrier
	ds_read2_b64 v[1:4], v125 offset1:1
	v_cmp_lt_u32_e32 vcc, 6, v0
	s_waitcnt lgkmcnt(0)
	buffer_store_dword v1, off, s[0:3], 0 offset:1576 ; 4-byte Folded Spill
	s_nop 0
	buffer_store_dword v2, off, s[0:3], 0 offset:1580 ; 4-byte Folded Spill
	buffer_store_dword v3, off, s[0:3], 0 offset:1584 ; 4-byte Folded Spill
	buffer_store_dword v4, off, s[0:3], 0 offset:1588 ; 4-byte Folded Spill
	s_and_saveexec_b64 s[6:7], vcc
	s_cbranch_execz .LBB125_93
; %bb.91:
	buffer_load_dword v1, off, s[0:3], 0 offset:104
	buffer_load_dword v2, off, s[0:3], 0 offset:108
	;; [unrolled: 1-line block ×4, first 2 shown]
	buffer_load_dword v14, off, s[0:3], 0 offset:1576 ; 4-byte Folded Reload
	buffer_load_dword v15, off, s[0:3], 0 offset:1580 ; 4-byte Folded Reload
	;; [unrolled: 1-line block ×4, first 2 shown]
	s_movk_i32 s8, 0x70
	s_waitcnt vmcnt(2)
	v_mul_f64 v[12:13], v[14:15], v[1:2]
	s_waitcnt vmcnt(0)
	v_mul_f64 v[10:11], v[16:17], v[1:2]
	v_fma_f64 v[1:2], v[14:15], v[3:4], -v[10:11]
	v_fma_f64 v[3:4], v[16:17], v[3:4], v[12:13]
	buffer_store_dword v1, off, s[0:3], 0 offset:96
	buffer_store_dword v2, off, s[0:3], 0 offset:100
	;; [unrolled: 1-line block ×4, first 2 shown]
.LBB125_92:                             ; =>This Inner Loop Header: Depth=1
	v_add_u32_e32 v10, s8, v6
	ds_read2_b64 v[11:14], v10 offset1:1
	v_mov_b32_e32 v7, s8
	s_addk_i32 s8, 0x70
	s_cmpk_lg_i32 s8, 0x3f0
	s_waitcnt lgkmcnt(0)
	v_mul_f64 v[15:16], v[13:14], v[3:4]
	v_mul_f64 v[3:4], v[11:12], v[3:4]
	v_fma_f64 v[15:16], v[11:12], v[1:2], -v[15:16]
	v_fma_f64 v[1:2], v[13:14], v[1:2], v[3:4]
	buffer_load_dword v3, v7, s[0:3], 0 offen
	buffer_load_dword v4, v7, s[0:3], 0 offen offset:4
	buffer_load_dword v11, v7, s[0:3], 0 offen offset:8
	;; [unrolled: 1-line block ×11, first 2 shown]
	s_waitcnt vmcnt(10)
	v_add_f64 v[3:4], v[3:4], -v[15:16]
	s_waitcnt vmcnt(8)
	v_add_f64 v[1:2], v[11:12], -v[1:2]
	buffer_store_dword v4, v7, s[0:3], 0 offen offset:4
	buffer_store_dword v3, v7, s[0:3], 0 offen
	buffer_store_dword v2, v7, s[0:3], 0 offen offset:12
	buffer_store_dword v1, v7, s[0:3], 0 offen offset:8
	ds_read2_b64 v[1:4], v10 offset0:2 offset1:3
	buffer_load_dword v12, off, s[0:3], 0 offset:100
	buffer_load_dword v11, off, s[0:3], 0 offset:96
	;; [unrolled: 1-line block ×4, first 2 shown]
	s_waitcnt vmcnt(0) lgkmcnt(0)
	v_mul_f64 v[23:24], v[3:4], v[15:16]
	v_fma_f64 v[23:24], v[1:2], v[11:12], -v[23:24]
	v_mul_f64 v[1:2], v[1:2], v[15:16]
	v_fma_f64 v[1:2], v[3:4], v[11:12], v[1:2]
	v_add_f64 v[3:4], v[13:14], -v[23:24]
	v_add_f64 v[1:2], v[17:18], -v[1:2]
	buffer_store_dword v4, v7, s[0:3], 0 offen offset:20
	buffer_store_dword v3, v7, s[0:3], 0 offen offset:16
	;; [unrolled: 1-line block ×4, first 2 shown]
	ds_read2_b64 v[1:4], v10 offset0:4 offset1:5
	buffer_load_dword v11, off, s[0:3], 0 offset:96
	buffer_load_dword v12, off, s[0:3], 0 offset:100
	buffer_load_dword v13, off, s[0:3], 0 offset:104
	buffer_load_dword v14, off, s[0:3], 0 offset:108
	s_waitcnt vmcnt(0) lgkmcnt(0)
	v_mul_f64 v[15:16], v[3:4], v[13:14]
	v_fma_f64 v[15:16], v[1:2], v[11:12], -v[15:16]
	v_mul_f64 v[1:2], v[1:2], v[13:14]
	v_fma_f64 v[1:2], v[3:4], v[11:12], v[1:2]
	v_add_f64 v[3:4], v[19:20], -v[15:16]
	v_add_f64 v[1:2], v[21:22], -v[1:2]
	buffer_store_dword v4, v7, s[0:3], 0 offen offset:36
	buffer_store_dword v3, v7, s[0:3], 0 offen offset:32
	buffer_store_dword v2, v7, s[0:3], 0 offen offset:44
	buffer_store_dword v1, v7, s[0:3], 0 offen offset:40
	ds_read2_b64 v[1:4], v10 offset0:6 offset1:7
	buffer_load_dword v11, off, s[0:3], 0 offset:96
	buffer_load_dword v12, off, s[0:3], 0 offset:100
	buffer_load_dword v13, off, s[0:3], 0 offset:104
	buffer_load_dword v14, off, s[0:3], 0 offset:108
	s_waitcnt vmcnt(0) lgkmcnt(0)
	v_mul_f64 v[15:16], v[3:4], v[13:14]
	v_fma_f64 v[15:16], v[1:2], v[11:12], -v[15:16]
	v_mul_f64 v[1:2], v[1:2], v[13:14]
	v_fma_f64 v[1:2], v[3:4], v[11:12], v[1:2]
	buffer_load_dword v3, v7, s[0:3], 0 offen offset:48
	buffer_load_dword v4, v7, s[0:3], 0 offen offset:52
	buffer_load_dword v11, v7, s[0:3], 0 offen offset:56
	buffer_load_dword v12, v7, s[0:3], 0 offen offset:60
	s_waitcnt vmcnt(2)
	v_add_f64 v[3:4], v[3:4], -v[15:16]
	s_waitcnt vmcnt(0)
	v_add_f64 v[1:2], v[11:12], -v[1:2]
	buffer_store_dword v4, v7, s[0:3], 0 offen offset:52
	buffer_store_dword v3, v7, s[0:3], 0 offen offset:48
	buffer_store_dword v2, v7, s[0:3], 0 offen offset:60
	buffer_store_dword v1, v7, s[0:3], 0 offen offset:56
	ds_read2_b64 v[1:4], v10 offset0:8 offset1:9
	buffer_load_dword v11, off, s[0:3], 0 offset:96
	buffer_load_dword v12, off, s[0:3], 0 offset:100
	buffer_load_dword v13, off, s[0:3], 0 offset:104
	buffer_load_dword v14, off, s[0:3], 0 offset:108
	s_waitcnt vmcnt(0) lgkmcnt(0)
	v_mul_f64 v[15:16], v[3:4], v[13:14]
	v_fma_f64 v[15:16], v[1:2], v[11:12], -v[15:16]
	v_mul_f64 v[1:2], v[1:2], v[13:14]
	v_fma_f64 v[1:2], v[3:4], v[11:12], v[1:2]
	buffer_load_dword v3, v7, s[0:3], 0 offen offset:64
	buffer_load_dword v4, v7, s[0:3], 0 offen offset:68
	buffer_load_dword v11, v7, s[0:3], 0 offen offset:72
	buffer_load_dword v12, v7, s[0:3], 0 offen offset:76
	s_waitcnt vmcnt(2)
	v_add_f64 v[3:4], v[3:4], -v[15:16]
	s_waitcnt vmcnt(0)
	;; [unrolled: 22-line block ×3, first 2 shown]
	v_add_f64 v[11:12], v[17:18], -v[11:12]
	buffer_store_dword v14, v7, s[0:3], 0 offen offset:84
	buffer_store_dword v13, v7, s[0:3], 0 offen offset:80
	;; [unrolled: 1-line block ×4, first 2 shown]
	ds_read2_b64 v[10:13], v10 offset0:12 offset1:13
	s_waitcnt lgkmcnt(0)
	v_mul_f64 v[14:15], v[12:13], v[3:4]
	v_fma_f64 v[14:15], v[10:11], v[1:2], -v[14:15]
	v_mul_f64 v[10:11], v[10:11], v[3:4]
	v_fma_f64 v[10:11], v[12:13], v[1:2], v[10:11]
	buffer_load_dword v12, v7, s[0:3], 0 offen offset:96
	buffer_load_dword v13, v7, s[0:3], 0 offen offset:100
	buffer_load_dword v16, v7, s[0:3], 0 offen offset:104
	buffer_load_dword v17, v7, s[0:3], 0 offen offset:108
	s_waitcnt vmcnt(2)
	v_add_f64 v[12:13], v[12:13], -v[14:15]
	s_waitcnt vmcnt(0)
	v_add_f64 v[10:11], v[16:17], -v[10:11]
	buffer_store_dword v13, v7, s[0:3], 0 offen offset:100
	buffer_store_dword v12, v7, s[0:3], 0 offen offset:96
	;; [unrolled: 1-line block ×4, first 2 shown]
	s_cbranch_scc1 .LBB125_92
.LBB125_93:
	s_or_b64 exec, exec, s[6:7]
	v_cmp_eq_u32_e32 vcc, 7, v0
	s_waitcnt vmcnt(0)
	s_barrier
	s_and_saveexec_b64 s[8:9], vcc
	s_cbranch_execz .LBB125_102
; %bb.94:
	v_readlane_b32 s6, v126, 6
	v_mov_b32_e32 v4, s6
	buffer_load_dword v1, v4, s[0:3], 0 offen
	buffer_load_dword v2, v4, s[0:3], 0 offen offset:4
	buffer_load_dword v3, v4, s[0:3], 0 offen offset:8
	s_nop 0
	buffer_load_dword v4, v4, s[0:3], 0 offen offset:12
	s_movk_i32 s6, 0x80
	s_waitcnt vmcnt(0)
	ds_write2_b64 v125, v[1:2], v[3:4] offset1:1
.LBB125_95:                             ; =>This Inner Loop Header: Depth=1
	v_mov_b32_e32 v7, s6
	buffer_load_dword v1, v7, s[0:3], 0 offen
	buffer_load_dword v2, v7, s[0:3], 0 offen offset:4
	buffer_load_dword v3, v7, s[0:3], 0 offen offset:8
	;; [unrolled: 1-line block ×15, first 2 shown]
	v_add_u32_e32 v22, s6, v6
	s_addk_i32 s6, 0xb0
	s_cmpk_lg_i32 s6, 0x3f0
	s_waitcnt vmcnt(12)
	ds_write2_b64 v22, v[1:2], v[3:4] offset1:1
	s_waitcnt vmcnt(8)
	ds_write2_b64 v22, v[10:11], v[12:13] offset0:2 offset1:3
	s_waitcnt vmcnt(4)
	ds_write2_b64 v22, v[14:15], v[16:17] offset0:4 offset1:5
	;; [unrolled: 2-line block ×3, first 2 shown]
	buffer_load_dword v2, v7, s[0:3], 0 offen offset:76
	buffer_load_dword v1, v7, s[0:3], 0 offen offset:72
	buffer_load_dword v4, v7, s[0:3], 0 offen offset:68
	buffer_load_dword v3, v7, s[0:3], 0 offen offset:64
	s_waitcnt vmcnt(0)
	ds_write2_b64 v22, v[3:4], v[1:2] offset0:8 offset1:9
	buffer_load_dword v2, v7, s[0:3], 0 offen offset:92
	buffer_load_dword v1, v7, s[0:3], 0 offen offset:88
	buffer_load_dword v4, v7, s[0:3], 0 offen offset:84
	buffer_load_dword v3, v7, s[0:3], 0 offen offset:80
	s_waitcnt vmcnt(0)
	ds_write2_b64 v22, v[3:4], v[1:2] offset0:10 offset1:11
	;; [unrolled: 6-line block ×7, first 2 shown]
	s_cbranch_scc1 .LBB125_95
; %bb.96:
	ds_read2_b64 v[1:4], v125 offset1:1
	s_waitcnt lgkmcnt(0)
	v_cmp_neq_f64_e32 vcc, 0, v[1:2]
	v_cmp_neq_f64_e64 s[6:7], 0, v[3:4]
	s_or_b64 s[6:7], vcc, s[6:7]
	s_and_b64 exec, exec, s[6:7]
	s_cbranch_execz .LBB125_102
; %bb.97:
	v_cmp_ngt_f64_e64 s[6:7], |v[1:2]|, |v[3:4]|
                                        ; implicit-def: $vgpr10_vgpr11
	s_and_saveexec_b64 s[10:11], s[6:7]
	s_xor_b64 s[6:7], exec, s[10:11]
                                        ; implicit-def: $vgpr12_vgpr13
	s_cbranch_execz .LBB125_99
; %bb.98:
	v_div_scale_f64 v[10:11], s[10:11], v[3:4], v[3:4], v[1:2]
	v_rcp_f64_e32 v[12:13], v[10:11]
	v_fma_f64 v[14:15], -v[10:11], v[12:13], 1.0
	v_fma_f64 v[12:13], v[12:13], v[14:15], v[12:13]
	v_div_scale_f64 v[14:15], vcc, v[1:2], v[3:4], v[1:2]
	v_fma_f64 v[16:17], -v[10:11], v[12:13], 1.0
	v_fma_f64 v[12:13], v[12:13], v[16:17], v[12:13]
	v_mul_f64 v[16:17], v[14:15], v[12:13]
	v_fma_f64 v[10:11], -v[10:11], v[16:17], v[14:15]
	v_div_fmas_f64 v[10:11], v[10:11], v[12:13], v[16:17]
	v_div_fixup_f64 v[10:11], v[10:11], v[3:4], v[1:2]
	v_fma_f64 v[1:2], v[1:2], v[10:11], v[3:4]
	v_div_scale_f64 v[3:4], s[10:11], v[1:2], v[1:2], 1.0
	v_div_scale_f64 v[16:17], vcc, 1.0, v[1:2], 1.0
	v_rcp_f64_e32 v[12:13], v[3:4]
	v_fma_f64 v[14:15], -v[3:4], v[12:13], 1.0
	v_fma_f64 v[12:13], v[12:13], v[14:15], v[12:13]
	v_fma_f64 v[14:15], -v[3:4], v[12:13], 1.0
	v_fma_f64 v[12:13], v[12:13], v[14:15], v[12:13]
	v_mul_f64 v[14:15], v[16:17], v[12:13]
	v_fma_f64 v[3:4], -v[3:4], v[14:15], v[16:17]
	v_div_fmas_f64 v[3:4], v[3:4], v[12:13], v[14:15]
	v_div_fixup_f64 v[12:13], v[3:4], v[1:2], 1.0
                                        ; implicit-def: $vgpr1_vgpr2
	v_mul_f64 v[10:11], v[10:11], v[12:13]
	v_xor_b32_e32 v13, 0x80000000, v13
.LBB125_99:
	s_andn2_saveexec_b64 s[6:7], s[6:7]
	s_cbranch_execz .LBB125_101
; %bb.100:
	v_div_scale_f64 v[10:11], s[10:11], v[1:2], v[1:2], v[3:4]
	v_rcp_f64_e32 v[12:13], v[10:11]
	v_fma_f64 v[14:15], -v[10:11], v[12:13], 1.0
	v_fma_f64 v[12:13], v[12:13], v[14:15], v[12:13]
	v_div_scale_f64 v[14:15], vcc, v[3:4], v[1:2], v[3:4]
	v_fma_f64 v[16:17], -v[10:11], v[12:13], 1.0
	v_fma_f64 v[12:13], v[12:13], v[16:17], v[12:13]
	v_mul_f64 v[16:17], v[14:15], v[12:13]
	v_fma_f64 v[10:11], -v[10:11], v[16:17], v[14:15]
	v_div_fmas_f64 v[10:11], v[10:11], v[12:13], v[16:17]
	v_div_fixup_f64 v[12:13], v[10:11], v[1:2], v[3:4]
	v_fma_f64 v[1:2], v[3:4], v[12:13], v[1:2]
	v_div_scale_f64 v[3:4], s[10:11], v[1:2], v[1:2], 1.0
	v_div_scale_f64 v[16:17], vcc, 1.0, v[1:2], 1.0
	v_rcp_f64_e32 v[10:11], v[3:4]
	v_fma_f64 v[14:15], -v[3:4], v[10:11], 1.0
	v_fma_f64 v[10:11], v[10:11], v[14:15], v[10:11]
	v_fma_f64 v[14:15], -v[3:4], v[10:11], 1.0
	v_fma_f64 v[10:11], v[10:11], v[14:15], v[10:11]
	v_mul_f64 v[14:15], v[16:17], v[10:11]
	v_fma_f64 v[3:4], -v[3:4], v[14:15], v[16:17]
	v_div_fmas_f64 v[3:4], v[3:4], v[10:11], v[14:15]
	v_div_fixup_f64 v[10:11], v[3:4], v[1:2], 1.0
	v_mul_f64 v[12:13], v[12:13], -v[10:11]
.LBB125_101:
	s_or_b64 exec, exec, s[6:7]
	ds_write2_b64 v125, v[10:11], v[12:13] offset1:1
.LBB125_102:
	s_or_b64 exec, exec, s[8:9]
	s_waitcnt lgkmcnt(0)
	s_barrier
	ds_read2_b64 v[1:4], v125 offset1:1
	v_cmp_lt_u32_e32 vcc, 7, v0
	s_waitcnt lgkmcnt(0)
	buffer_store_dword v1, off, s[0:3], 0 offset:1592 ; 4-byte Folded Spill
	s_nop 0
	buffer_store_dword v2, off, s[0:3], 0 offset:1596 ; 4-byte Folded Spill
	buffer_store_dword v3, off, s[0:3], 0 offset:1600 ; 4-byte Folded Spill
	;; [unrolled: 1-line block ×3, first 2 shown]
	s_and_saveexec_b64 s[6:7], vcc
	s_cbranch_execz .LBB125_105
; %bb.103:
	buffer_load_dword v1, off, s[0:3], 0 offset:120
	buffer_load_dword v2, off, s[0:3], 0 offset:124
	;; [unrolled: 1-line block ×4, first 2 shown]
	buffer_load_dword v12, off, s[0:3], 0 offset:1592 ; 4-byte Folded Reload
	buffer_load_dword v13, off, s[0:3], 0 offset:1596 ; 4-byte Folded Reload
	;; [unrolled: 1-line block ×4, first 2 shown]
	s_movk_i32 s8, 0x80
	s_waitcnt vmcnt(0)
	v_mul_f64 v[10:11], v[14:15], v[1:2]
	v_mul_f64 v[1:2], v[12:13], v[1:2]
	v_fma_f64 v[10:11], v[12:13], v[3:4], -v[10:11]
	v_fma_f64 v[1:2], v[14:15], v[3:4], v[1:2]
	buffer_store_dword v10, off, s[0:3], 0 offset:112
	buffer_store_dword v11, off, s[0:3], 0 offset:116
	;; [unrolled: 1-line block ×4, first 2 shown]
.LBB125_104:                            ; =>This Inner Loop Header: Depth=1
	buffer_load_dword v3, off, s[0:3], 0 offset:120
	buffer_load_dword v4, off, s[0:3], 0 offset:124
	;; [unrolled: 1-line block ×4, first 2 shown]
	v_mov_b32_e32 v1, s8
	buffer_load_dword v16, v1, s[0:3], 0 offen
	buffer_load_dword v17, v1, s[0:3], 0 offen offset:4
	buffer_load_dword v18, v1, s[0:3], 0 offen offset:8
	;; [unrolled: 1-line block ×3, first 2 shown]
	v_add_u32_e32 v2, s8, v6
	ds_read2_b64 v[10:13], v2 offset1:1
	buffer_load_dword v20, v1, s[0:3], 0 offen offset:16
	buffer_load_dword v21, v1, s[0:3], 0 offen offset:20
	;; [unrolled: 1-line block ×3, first 2 shown]
	s_addk_i32 s8, 0x50
	s_cmpk_lg_i32 s8, 0x3f0
	s_waitcnt vmcnt(9) lgkmcnt(0)
	v_mul_f64 v[23:24], v[12:13], v[3:4]
	v_mul_f64 v[3:4], v[10:11], v[3:4]
	s_waitcnt vmcnt(7)
	v_fma_f64 v[10:11], v[10:11], v[14:15], -v[23:24]
	v_fma_f64 v[3:4], v[12:13], v[14:15], v[3:4]
	s_waitcnt vmcnt(5)
	v_add_f64 v[10:11], v[16:17], -v[10:11]
	s_waitcnt vmcnt(3)
	v_add_f64 v[3:4], v[18:19], -v[3:4]
	buffer_store_dword v11, v1, s[0:3], 0 offen offset:4
	buffer_store_dword v10, v1, s[0:3], 0 offen
	buffer_store_dword v4, v1, s[0:3], 0 offen offset:12
	buffer_store_dword v3, v1, s[0:3], 0 offen offset:8
	buffer_load_dword v4, off, s[0:3], 0 offset:124
	s_nop 0
	buffer_load_dword v3, off, s[0:3], 0 offset:120
	buffer_load_dword v15, off, s[0:3], 0 offset:116
	;; [unrolled: 1-line block ×3, first 2 shown]
	buffer_load_dword v23, v1, s[0:3], 0 offen offset:28
	ds_read2_b64 v[10:13], v2 offset0:2 offset1:3
	buffer_load_dword v16, v1, s[0:3], 0 offen offset:32
	buffer_load_dword v17, v1, s[0:3], 0 offen offset:36
	;; [unrolled: 1-line block ×3, first 2 shown]
	s_waitcnt vmcnt(6) lgkmcnt(0)
	v_mul_f64 v[24:25], v[12:13], v[3:4]
	v_mul_f64 v[3:4], v[10:11], v[3:4]
	s_waitcnt vmcnt(4)
	v_fma_f64 v[10:11], v[10:11], v[14:15], -v[24:25]
	v_fma_f64 v[3:4], v[12:13], v[14:15], v[3:4]
	v_add_f64 v[10:11], v[20:21], -v[10:11]
	s_waitcnt vmcnt(3)
	v_add_f64 v[3:4], v[22:23], -v[3:4]
	buffer_store_dword v11, v1, s[0:3], 0 offen offset:20
	buffer_store_dword v10, v1, s[0:3], 0 offen offset:16
	;; [unrolled: 1-line block ×4, first 2 shown]
	buffer_load_dword v3, off, s[0:3], 0 offset:120
	s_nop 0
	buffer_load_dword v4, off, s[0:3], 0 offset:124
	buffer_load_dword v14, off, s[0:3], 0 offset:112
	;; [unrolled: 1-line block ×3, first 2 shown]
	buffer_load_dword v19, v1, s[0:3], 0 offen offset:44
	ds_read2_b64 v[10:13], v2 offset0:4 offset1:5
	buffer_load_dword v20, v1, s[0:3], 0 offen offset:48
	s_waitcnt vmcnt(4) lgkmcnt(0)
	v_mul_f64 v[21:22], v[12:13], v[3:4]
	v_mul_f64 v[3:4], v[10:11], v[3:4]
	s_waitcnt vmcnt(2)
	v_fma_f64 v[10:11], v[10:11], v[14:15], -v[21:22]
	v_fma_f64 v[3:4], v[12:13], v[14:15], v[3:4]
	v_add_f64 v[10:11], v[16:17], -v[10:11]
	s_waitcnt vmcnt(1)
	v_add_f64 v[3:4], v[18:19], -v[3:4]
	buffer_store_dword v11, v1, s[0:3], 0 offen offset:36
	buffer_store_dword v10, v1, s[0:3], 0 offen offset:32
	;; [unrolled: 1-line block ×4, first 2 shown]
	buffer_load_dword v3, off, s[0:3], 0 offset:120
	s_nop 0
	buffer_load_dword v4, off, s[0:3], 0 offset:124
	buffer_load_dword v14, off, s[0:3], 0 offset:112
	;; [unrolled: 1-line block ×3, first 2 shown]
	buffer_load_dword v21, v1, s[0:3], 0 offen offset:52
	buffer_load_dword v16, v1, s[0:3], 0 offen offset:56
	;; [unrolled: 1-line block ×3, first 2 shown]
	ds_read2_b64 v[10:13], v2 offset0:6 offset1:7
	s_waitcnt vmcnt(5) lgkmcnt(0)
	v_mul_f64 v[18:19], v[12:13], v[3:4]
	v_mul_f64 v[3:4], v[10:11], v[3:4]
	s_waitcnt vmcnt(3)
	v_fma_f64 v[10:11], v[10:11], v[14:15], -v[18:19]
	v_fma_f64 v[3:4], v[12:13], v[14:15], v[3:4]
	s_waitcnt vmcnt(2)
	v_add_f64 v[10:11], v[20:21], -v[10:11]
	s_waitcnt vmcnt(0)
	v_add_f64 v[3:4], v[16:17], -v[3:4]
	buffer_store_dword v11, v1, s[0:3], 0 offen offset:52
	buffer_store_dword v10, v1, s[0:3], 0 offen offset:48
	;; [unrolled: 1-line block ×4, first 2 shown]
	buffer_load_dword v3, off, s[0:3], 0 offset:120
	s_nop 0
	buffer_load_dword v4, off, s[0:3], 0 offset:124
	buffer_load_dword v14, off, s[0:3], 0 offset:112
	;; [unrolled: 1-line block ×3, first 2 shown]
	buffer_load_dword v16, v1, s[0:3], 0 offen offset:64
	buffer_load_dword v17, v1, s[0:3], 0 offen offset:68
	;; [unrolled: 1-line block ×4, first 2 shown]
	ds_read2_b64 v[10:13], v2 offset0:8 offset1:9
	s_waitcnt vmcnt(6) lgkmcnt(0)
	v_mul_f64 v[20:21], v[12:13], v[3:4]
	v_mul_f64 v[2:3], v[10:11], v[3:4]
	s_waitcnt vmcnt(4)
	v_fma_f64 v[10:11], v[10:11], v[14:15], -v[20:21]
	v_fma_f64 v[2:3], v[12:13], v[14:15], v[2:3]
	s_waitcnt vmcnt(2)
	v_add_f64 v[10:11], v[16:17], -v[10:11]
	s_waitcnt vmcnt(0)
	v_add_f64 v[2:3], v[18:19], -v[2:3]
	buffer_store_dword v11, v1, s[0:3], 0 offen offset:68
	buffer_store_dword v10, v1, s[0:3], 0 offen offset:64
	;; [unrolled: 1-line block ×4, first 2 shown]
	s_cbranch_scc1 .LBB125_104
.LBB125_105:
	s_or_b64 exec, exec, s[6:7]
	v_cmp_eq_u32_e32 vcc, 8, v0
	s_waitcnt vmcnt(0)
	s_barrier
	s_and_saveexec_b64 s[8:9], vcc
	s_cbranch_execz .LBB125_114
; %bb.106:
	v_readlane_b32 s6, v126, 7
	v_mov_b32_e32 v4, s6
	buffer_load_dword v1, v4, s[0:3], 0 offen
	buffer_load_dword v2, v4, s[0:3], 0 offen offset:4
	buffer_load_dword v3, v4, s[0:3], 0 offen offset:8
	s_nop 0
	buffer_load_dword v4, v4, s[0:3], 0 offen offset:12
	s_movk_i32 s6, 0x90
	s_waitcnt vmcnt(0)
	ds_write2_b64 v125, v[1:2], v[3:4] offset1:1
.LBB125_107:                            ; =>This Inner Loop Header: Depth=1
	v_mov_b32_e32 v7, s6
	buffer_load_dword v1, v7, s[0:3], 0 offen
	buffer_load_dword v2, v7, s[0:3], 0 offen offset:4
	buffer_load_dword v3, v7, s[0:3], 0 offen offset:8
	buffer_load_dword v4, v7, s[0:3], 0 offen offset:12
	buffer_load_dword v10, v7, s[0:3], 0 offen offset:16
	buffer_load_dword v11, v7, s[0:3], 0 offen offset:20
	buffer_load_dword v12, v7, s[0:3], 0 offen offset:24
	buffer_load_dword v13, v7, s[0:3], 0 offen offset:28
	buffer_load_dword v14, v7, s[0:3], 0 offen offset:32
	buffer_load_dword v15, v7, s[0:3], 0 offen offset:36
	buffer_load_dword v16, v7, s[0:3], 0 offen offset:40
	buffer_load_dword v17, v7, s[0:3], 0 offen offset:44
	buffer_load_dword v18, v7, s[0:3], 0 offen offset:48
	buffer_load_dword v19, v7, s[0:3], 0 offen offset:52
	buffer_load_dword v20, v7, s[0:3], 0 offen offset:56
	buffer_load_dword v21, v7, s[0:3], 0 offen offset:60
	v_add_u32_e32 v22, s6, v6
	s_addk_i32 s6, 0x120
	s_cmpk_lg_i32 s6, 0x3f0
	s_waitcnt vmcnt(12)
	ds_write2_b64 v22, v[1:2], v[3:4] offset1:1
	s_waitcnt vmcnt(8)
	ds_write2_b64 v22, v[10:11], v[12:13] offset0:2 offset1:3
	s_waitcnt vmcnt(4)
	ds_write2_b64 v22, v[14:15], v[16:17] offset0:4 offset1:5
	;; [unrolled: 2-line block ×3, first 2 shown]
	buffer_load_dword v2, v7, s[0:3], 0 offen offset:76
	buffer_load_dword v1, v7, s[0:3], 0 offen offset:72
	buffer_load_dword v4, v7, s[0:3], 0 offen offset:68
	buffer_load_dword v3, v7, s[0:3], 0 offen offset:64
	s_waitcnt vmcnt(0)
	ds_write2_b64 v22, v[3:4], v[1:2] offset0:8 offset1:9
	buffer_load_dword v2, v7, s[0:3], 0 offen offset:92
	buffer_load_dword v1, v7, s[0:3], 0 offen offset:88
	buffer_load_dword v4, v7, s[0:3], 0 offen offset:84
	buffer_load_dword v3, v7, s[0:3], 0 offen offset:80
	s_waitcnt vmcnt(0)
	ds_write2_b64 v22, v[3:4], v[1:2] offset0:10 offset1:11
	;; [unrolled: 6-line block ×14, first 2 shown]
	s_cbranch_scc1 .LBB125_107
; %bb.108:
	ds_read2_b64 v[1:4], v125 offset1:1
	s_waitcnt lgkmcnt(0)
	v_cmp_neq_f64_e32 vcc, 0, v[1:2]
	v_cmp_neq_f64_e64 s[6:7], 0, v[3:4]
	s_or_b64 s[6:7], vcc, s[6:7]
	s_and_b64 exec, exec, s[6:7]
	s_cbranch_execz .LBB125_114
; %bb.109:
	v_cmp_ngt_f64_e64 s[6:7], |v[1:2]|, |v[3:4]|
                                        ; implicit-def: $vgpr10_vgpr11
	s_and_saveexec_b64 s[10:11], s[6:7]
	s_xor_b64 s[6:7], exec, s[10:11]
                                        ; implicit-def: $vgpr12_vgpr13
	s_cbranch_execz .LBB125_111
; %bb.110:
	v_div_scale_f64 v[10:11], s[10:11], v[3:4], v[3:4], v[1:2]
	v_rcp_f64_e32 v[12:13], v[10:11]
	v_fma_f64 v[14:15], -v[10:11], v[12:13], 1.0
	v_fma_f64 v[12:13], v[12:13], v[14:15], v[12:13]
	v_div_scale_f64 v[14:15], vcc, v[1:2], v[3:4], v[1:2]
	v_fma_f64 v[16:17], -v[10:11], v[12:13], 1.0
	v_fma_f64 v[12:13], v[12:13], v[16:17], v[12:13]
	v_mul_f64 v[16:17], v[14:15], v[12:13]
	v_fma_f64 v[10:11], -v[10:11], v[16:17], v[14:15]
	v_div_fmas_f64 v[10:11], v[10:11], v[12:13], v[16:17]
	v_div_fixup_f64 v[10:11], v[10:11], v[3:4], v[1:2]
	v_fma_f64 v[1:2], v[1:2], v[10:11], v[3:4]
	v_div_scale_f64 v[3:4], s[10:11], v[1:2], v[1:2], 1.0
	v_div_scale_f64 v[16:17], vcc, 1.0, v[1:2], 1.0
	v_rcp_f64_e32 v[12:13], v[3:4]
	v_fma_f64 v[14:15], -v[3:4], v[12:13], 1.0
	v_fma_f64 v[12:13], v[12:13], v[14:15], v[12:13]
	v_fma_f64 v[14:15], -v[3:4], v[12:13], 1.0
	v_fma_f64 v[12:13], v[12:13], v[14:15], v[12:13]
	v_mul_f64 v[14:15], v[16:17], v[12:13]
	v_fma_f64 v[3:4], -v[3:4], v[14:15], v[16:17]
	v_div_fmas_f64 v[3:4], v[3:4], v[12:13], v[14:15]
	v_div_fixup_f64 v[12:13], v[3:4], v[1:2], 1.0
                                        ; implicit-def: $vgpr1_vgpr2
	v_mul_f64 v[10:11], v[10:11], v[12:13]
	v_xor_b32_e32 v13, 0x80000000, v13
.LBB125_111:
	s_andn2_saveexec_b64 s[6:7], s[6:7]
	s_cbranch_execz .LBB125_113
; %bb.112:
	v_div_scale_f64 v[10:11], s[10:11], v[1:2], v[1:2], v[3:4]
	v_rcp_f64_e32 v[12:13], v[10:11]
	v_fma_f64 v[14:15], -v[10:11], v[12:13], 1.0
	v_fma_f64 v[12:13], v[12:13], v[14:15], v[12:13]
	v_div_scale_f64 v[14:15], vcc, v[3:4], v[1:2], v[3:4]
	v_fma_f64 v[16:17], -v[10:11], v[12:13], 1.0
	v_fma_f64 v[12:13], v[12:13], v[16:17], v[12:13]
	v_mul_f64 v[16:17], v[14:15], v[12:13]
	v_fma_f64 v[10:11], -v[10:11], v[16:17], v[14:15]
	v_div_fmas_f64 v[10:11], v[10:11], v[12:13], v[16:17]
	v_div_fixup_f64 v[12:13], v[10:11], v[1:2], v[3:4]
	v_fma_f64 v[1:2], v[3:4], v[12:13], v[1:2]
	v_div_scale_f64 v[3:4], s[10:11], v[1:2], v[1:2], 1.0
	v_div_scale_f64 v[16:17], vcc, 1.0, v[1:2], 1.0
	v_rcp_f64_e32 v[10:11], v[3:4]
	v_fma_f64 v[14:15], -v[3:4], v[10:11], 1.0
	v_fma_f64 v[10:11], v[10:11], v[14:15], v[10:11]
	v_fma_f64 v[14:15], -v[3:4], v[10:11], 1.0
	v_fma_f64 v[10:11], v[10:11], v[14:15], v[10:11]
	v_mul_f64 v[14:15], v[16:17], v[10:11]
	v_fma_f64 v[3:4], -v[3:4], v[14:15], v[16:17]
	v_div_fmas_f64 v[3:4], v[3:4], v[10:11], v[14:15]
	v_div_fixup_f64 v[10:11], v[3:4], v[1:2], 1.0
	v_mul_f64 v[12:13], v[12:13], -v[10:11]
.LBB125_113:
	s_or_b64 exec, exec, s[6:7]
	ds_write2_b64 v125, v[10:11], v[12:13] offset1:1
.LBB125_114:
	s_or_b64 exec, exec, s[8:9]
	s_waitcnt lgkmcnt(0)
	s_barrier
	ds_read2_b64 v[1:4], v125 offset1:1
	v_cmp_lt_u32_e32 vcc, 8, v0
	s_waitcnt lgkmcnt(0)
	buffer_store_dword v1, off, s[0:3], 0 offset:1608 ; 4-byte Folded Spill
	s_nop 0
	buffer_store_dword v2, off, s[0:3], 0 offset:1612 ; 4-byte Folded Spill
	buffer_store_dword v3, off, s[0:3], 0 offset:1616 ; 4-byte Folded Spill
	;; [unrolled: 1-line block ×3, first 2 shown]
	s_and_saveexec_b64 s[6:7], vcc
	s_cbranch_execz .LBB125_117
; %bb.115:
	buffer_load_dword v1, off, s[0:3], 0 offset:136
	buffer_load_dword v2, off, s[0:3], 0 offset:140
	;; [unrolled: 1-line block ×4, first 2 shown]
	buffer_load_dword v12, off, s[0:3], 0 offset:1608 ; 4-byte Folded Reload
	buffer_load_dword v13, off, s[0:3], 0 offset:1612 ; 4-byte Folded Reload
	;; [unrolled: 1-line block ×4, first 2 shown]
	s_movk_i32 s8, 0x90
	s_waitcnt vmcnt(0)
	v_mul_f64 v[10:11], v[14:15], v[1:2]
	v_mul_f64 v[1:2], v[12:13], v[1:2]
	v_fma_f64 v[10:11], v[12:13], v[3:4], -v[10:11]
	v_fma_f64 v[1:2], v[14:15], v[3:4], v[1:2]
	buffer_store_dword v10, off, s[0:3], 0 offset:128
	buffer_store_dword v11, off, s[0:3], 0 offset:132
	;; [unrolled: 1-line block ×4, first 2 shown]
.LBB125_116:                            ; =>This Inner Loop Header: Depth=1
	buffer_load_dword v3, off, s[0:3], 0 offset:136
	buffer_load_dword v4, off, s[0:3], 0 offset:140
	;; [unrolled: 1-line block ×4, first 2 shown]
	v_mov_b32_e32 v1, s8
	buffer_load_dword v16, v1, s[0:3], 0 offen
	buffer_load_dword v17, v1, s[0:3], 0 offen offset:4
	buffer_load_dword v18, v1, s[0:3], 0 offen offset:8
	;; [unrolled: 1-line block ×3, first 2 shown]
	v_add_u32_e32 v2, s8, v6
	ds_read2_b64 v[10:13], v2 offset1:1
	buffer_load_dword v20, v1, s[0:3], 0 offen offset:16
	buffer_load_dword v21, v1, s[0:3], 0 offen offset:20
	;; [unrolled: 1-line block ×3, first 2 shown]
	s_addk_i32 s8, 0x60
	s_cmpk_lg_i32 s8, 0x3f0
	s_waitcnt vmcnt(9) lgkmcnt(0)
	v_mul_f64 v[23:24], v[12:13], v[3:4]
	v_mul_f64 v[3:4], v[10:11], v[3:4]
	s_waitcnt vmcnt(7)
	v_fma_f64 v[10:11], v[10:11], v[14:15], -v[23:24]
	v_fma_f64 v[3:4], v[12:13], v[14:15], v[3:4]
	s_waitcnt vmcnt(5)
	v_add_f64 v[10:11], v[16:17], -v[10:11]
	s_waitcnt vmcnt(3)
	v_add_f64 v[3:4], v[18:19], -v[3:4]
	buffer_store_dword v11, v1, s[0:3], 0 offen offset:4
	buffer_store_dword v10, v1, s[0:3], 0 offen
	buffer_store_dword v4, v1, s[0:3], 0 offen offset:12
	buffer_store_dword v3, v1, s[0:3], 0 offen offset:8
	buffer_load_dword v4, off, s[0:3], 0 offset:140
	s_nop 0
	buffer_load_dword v3, off, s[0:3], 0 offset:136
	buffer_load_dword v15, off, s[0:3], 0 offset:132
	;; [unrolled: 1-line block ×3, first 2 shown]
	buffer_load_dword v23, v1, s[0:3], 0 offen offset:28
	ds_read2_b64 v[10:13], v2 offset0:2 offset1:3
	buffer_load_dword v16, v1, s[0:3], 0 offen offset:32
	buffer_load_dword v17, v1, s[0:3], 0 offen offset:36
	;; [unrolled: 1-line block ×3, first 2 shown]
	s_waitcnt vmcnt(6) lgkmcnt(0)
	v_mul_f64 v[24:25], v[12:13], v[3:4]
	v_mul_f64 v[3:4], v[10:11], v[3:4]
	s_waitcnt vmcnt(4)
	v_fma_f64 v[10:11], v[10:11], v[14:15], -v[24:25]
	v_fma_f64 v[3:4], v[12:13], v[14:15], v[3:4]
	v_add_f64 v[10:11], v[20:21], -v[10:11]
	s_waitcnt vmcnt(3)
	v_add_f64 v[3:4], v[22:23], -v[3:4]
	buffer_store_dword v11, v1, s[0:3], 0 offen offset:20
	buffer_store_dword v10, v1, s[0:3], 0 offen offset:16
	;; [unrolled: 1-line block ×4, first 2 shown]
	buffer_load_dword v3, off, s[0:3], 0 offset:136
	s_nop 0
	buffer_load_dword v4, off, s[0:3], 0 offset:140
	buffer_load_dword v14, off, s[0:3], 0 offset:128
	;; [unrolled: 1-line block ×3, first 2 shown]
	buffer_load_dword v19, v1, s[0:3], 0 offen offset:44
	ds_read2_b64 v[10:13], v2 offset0:4 offset1:5
	buffer_load_dword v20, v1, s[0:3], 0 offen offset:48
	buffer_load_dword v21, v1, s[0:3], 0 offen offset:52
	;; [unrolled: 1-line block ×3, first 2 shown]
	s_waitcnt vmcnt(6) lgkmcnt(0)
	v_mul_f64 v[23:24], v[12:13], v[3:4]
	v_mul_f64 v[3:4], v[10:11], v[3:4]
	s_waitcnt vmcnt(4)
	v_fma_f64 v[10:11], v[10:11], v[14:15], -v[23:24]
	v_fma_f64 v[3:4], v[12:13], v[14:15], v[3:4]
	v_add_f64 v[10:11], v[16:17], -v[10:11]
	s_waitcnt vmcnt(3)
	v_add_f64 v[3:4], v[18:19], -v[3:4]
	buffer_store_dword v11, v1, s[0:3], 0 offen offset:36
	buffer_store_dword v10, v1, s[0:3], 0 offen offset:32
	;; [unrolled: 1-line block ×4, first 2 shown]
	buffer_load_dword v3, off, s[0:3], 0 offset:136
	s_nop 0
	buffer_load_dword v4, off, s[0:3], 0 offset:140
	buffer_load_dword v14, off, s[0:3], 0 offset:128
	buffer_load_dword v15, off, s[0:3], 0 offset:132
	buffer_load_dword v23, v1, s[0:3], 0 offen offset:60
	ds_read2_b64 v[10:13], v2 offset0:6 offset1:7
	buffer_load_dword v16, v1, s[0:3], 0 offen offset:64
	s_waitcnt vmcnt(4) lgkmcnt(0)
	v_mul_f64 v[17:18], v[12:13], v[3:4]
	v_mul_f64 v[3:4], v[10:11], v[3:4]
	s_waitcnt vmcnt(2)
	v_fma_f64 v[10:11], v[10:11], v[14:15], -v[17:18]
	v_fma_f64 v[3:4], v[12:13], v[14:15], v[3:4]
	v_add_f64 v[10:11], v[20:21], -v[10:11]
	s_waitcnt vmcnt(1)
	v_add_f64 v[3:4], v[22:23], -v[3:4]
	buffer_store_dword v11, v1, s[0:3], 0 offen offset:52
	buffer_store_dword v10, v1, s[0:3], 0 offen offset:48
	;; [unrolled: 1-line block ×4, first 2 shown]
	buffer_load_dword v3, off, s[0:3], 0 offset:136
	s_nop 0
	buffer_load_dword v4, off, s[0:3], 0 offset:140
	buffer_load_dword v14, off, s[0:3], 0 offset:128
	;; [unrolled: 1-line block ×3, first 2 shown]
	buffer_load_dword v17, v1, s[0:3], 0 offen offset:68
	buffer_load_dword v18, v1, s[0:3], 0 offen offset:72
	;; [unrolled: 1-line block ×3, first 2 shown]
	ds_read2_b64 v[10:13], v2 offset0:8 offset1:9
	s_waitcnt vmcnt(5) lgkmcnt(0)
	v_mul_f64 v[20:21], v[12:13], v[3:4]
	v_mul_f64 v[3:4], v[10:11], v[3:4]
	s_waitcnt vmcnt(3)
	v_fma_f64 v[10:11], v[10:11], v[14:15], -v[20:21]
	v_fma_f64 v[3:4], v[12:13], v[14:15], v[3:4]
	s_waitcnt vmcnt(2)
	v_add_f64 v[10:11], v[16:17], -v[10:11]
	s_waitcnt vmcnt(0)
	v_add_f64 v[3:4], v[18:19], -v[3:4]
	buffer_store_dword v11, v1, s[0:3], 0 offen offset:68
	buffer_store_dword v10, v1, s[0:3], 0 offen offset:64
	;; [unrolled: 1-line block ×4, first 2 shown]
	buffer_load_dword v3, off, s[0:3], 0 offset:136
	s_nop 0
	buffer_load_dword v4, off, s[0:3], 0 offset:140
	buffer_load_dword v14, off, s[0:3], 0 offset:128
	;; [unrolled: 1-line block ×3, first 2 shown]
	buffer_load_dword v16, v1, s[0:3], 0 offen offset:80
	buffer_load_dword v17, v1, s[0:3], 0 offen offset:84
	;; [unrolled: 1-line block ×4, first 2 shown]
	ds_read2_b64 v[10:13], v2 offset0:10 offset1:11
	s_waitcnt vmcnt(6) lgkmcnt(0)
	v_mul_f64 v[20:21], v[12:13], v[3:4]
	v_mul_f64 v[2:3], v[10:11], v[3:4]
	s_waitcnt vmcnt(4)
	v_fma_f64 v[10:11], v[10:11], v[14:15], -v[20:21]
	v_fma_f64 v[2:3], v[12:13], v[14:15], v[2:3]
	s_waitcnt vmcnt(2)
	v_add_f64 v[10:11], v[16:17], -v[10:11]
	s_waitcnt vmcnt(0)
	v_add_f64 v[2:3], v[18:19], -v[2:3]
	buffer_store_dword v11, v1, s[0:3], 0 offen offset:84
	buffer_store_dword v10, v1, s[0:3], 0 offen offset:80
	;; [unrolled: 1-line block ×4, first 2 shown]
	s_cbranch_scc1 .LBB125_116
.LBB125_117:
	s_or_b64 exec, exec, s[6:7]
	v_cmp_eq_u32_e32 vcc, 9, v0
	s_waitcnt vmcnt(0)
	s_barrier
	s_and_saveexec_b64 s[8:9], vcc
	s_cbranch_execz .LBB125_128
; %bb.118:
	v_readlane_b32 s6, v126, 8
	v_mov_b32_e32 v4, s6
	buffer_load_dword v1, v4, s[0:3], 0 offen
	buffer_load_dword v2, v4, s[0:3], 0 offen offset:4
	buffer_load_dword v3, v4, s[0:3], 0 offen offset:8
	s_nop 0
	buffer_load_dword v4, v4, s[0:3], 0 offen offset:12
	s_movk_i32 s10, 0xa0
	s_waitcnt vmcnt(0)
	ds_write2_b64 v125, v[1:2], v[3:4] offset1:1
	s_branch .LBB125_120
.LBB125_119:                            ;   in Loop: Header=BB125_120 Depth=1
	s_andn2_b64 vcc, exec, s[6:7]
	s_cbranch_vccz .LBB125_122
.LBB125_120:                            ; =>This Inner Loop Header: Depth=1
	v_mov_b32_e32 v4, s10
	buffer_load_dword v2, v4, s[0:3], 0 offen
	buffer_load_dword v3, v4, s[0:3], 0 offen offset:4
	buffer_load_dword v10, v4, s[0:3], 0 offen offset:8
	;; [unrolled: 1-line block ×15, first 2 shown]
	v_add_u32_e32 v1, s10, v6
	s_mov_b32 s11, s10
	s_mov_b64 s[6:7], -1
	s_cmpk_eq_i32 s10, 0x3a0
	s_waitcnt vmcnt(12)
	ds_write2_b64 v1, v[2:3], v[10:11] offset1:1
	s_waitcnt vmcnt(8)
	ds_write2_b64 v1, v[12:13], v[14:15] offset0:2 offset1:3
	s_waitcnt vmcnt(4)
	ds_write2_b64 v1, v[16:17], v[18:19] offset0:4 offset1:5
	;; [unrolled: 2-line block ×3, first 2 shown]
	buffer_load_dword v3, v4, s[0:3], 0 offen offset:76
	buffer_load_dword v2, v4, s[0:3], 0 offen offset:72
	;; [unrolled: 1-line block ×4, first 2 shown]
	s_waitcnt vmcnt(0)
	ds_write2_b64 v1, v[10:11], v[2:3] offset0:8 offset1:9
	s_cbranch_scc1 .LBB125_119
; %bb.121:                              ;   in Loop: Header=BB125_120 Depth=1
	v_mov_b32_e32 v4, s11
	buffer_load_dword v2, v4, s[0:3], 0 offen offset:80
	buffer_load_dword v3, v4, s[0:3], 0 offen offset:84
	;; [unrolled: 1-line block ×12, first 2 shown]
	s_addk_i32 s10, 0x80
	s_mov_b64 s[6:7], 0
	s_waitcnt vmcnt(8)
	ds_write2_b64 v1, v[2:3], v[10:11] offset0:10 offset1:11
	s_waitcnt vmcnt(4)
	ds_write2_b64 v1, v[12:13], v[14:15] offset0:12 offset1:13
	;; [unrolled: 2-line block ×3, first 2 shown]
	s_branch .LBB125_119
.LBB125_122:
	ds_read2_b64 v[1:4], v125 offset1:1
	s_waitcnt lgkmcnt(0)
	v_cmp_neq_f64_e32 vcc, 0, v[1:2]
	v_cmp_neq_f64_e64 s[6:7], 0, v[3:4]
	s_or_b64 s[6:7], vcc, s[6:7]
	s_and_b64 exec, exec, s[6:7]
	s_cbranch_execz .LBB125_128
; %bb.123:
	v_cmp_ngt_f64_e64 s[6:7], |v[1:2]|, |v[3:4]|
                                        ; implicit-def: $vgpr10_vgpr11
	s_and_saveexec_b64 s[10:11], s[6:7]
	s_xor_b64 s[6:7], exec, s[10:11]
                                        ; implicit-def: $vgpr12_vgpr13
	s_cbranch_execz .LBB125_125
; %bb.124:
	v_div_scale_f64 v[10:11], s[10:11], v[3:4], v[3:4], v[1:2]
	v_rcp_f64_e32 v[12:13], v[10:11]
	v_fma_f64 v[14:15], -v[10:11], v[12:13], 1.0
	v_fma_f64 v[12:13], v[12:13], v[14:15], v[12:13]
	v_div_scale_f64 v[14:15], vcc, v[1:2], v[3:4], v[1:2]
	v_fma_f64 v[16:17], -v[10:11], v[12:13], 1.0
	v_fma_f64 v[12:13], v[12:13], v[16:17], v[12:13]
	v_mul_f64 v[16:17], v[14:15], v[12:13]
	v_fma_f64 v[10:11], -v[10:11], v[16:17], v[14:15]
	v_div_fmas_f64 v[10:11], v[10:11], v[12:13], v[16:17]
	v_div_fixup_f64 v[10:11], v[10:11], v[3:4], v[1:2]
	v_fma_f64 v[1:2], v[1:2], v[10:11], v[3:4]
	v_div_scale_f64 v[3:4], s[10:11], v[1:2], v[1:2], 1.0
	v_div_scale_f64 v[16:17], vcc, 1.0, v[1:2], 1.0
	v_rcp_f64_e32 v[12:13], v[3:4]
	v_fma_f64 v[14:15], -v[3:4], v[12:13], 1.0
	v_fma_f64 v[12:13], v[12:13], v[14:15], v[12:13]
	v_fma_f64 v[14:15], -v[3:4], v[12:13], 1.0
	v_fma_f64 v[12:13], v[12:13], v[14:15], v[12:13]
	v_mul_f64 v[14:15], v[16:17], v[12:13]
	v_fma_f64 v[3:4], -v[3:4], v[14:15], v[16:17]
	v_div_fmas_f64 v[3:4], v[3:4], v[12:13], v[14:15]
	v_div_fixup_f64 v[12:13], v[3:4], v[1:2], 1.0
                                        ; implicit-def: $vgpr1_vgpr2
	v_mul_f64 v[10:11], v[10:11], v[12:13]
	v_xor_b32_e32 v13, 0x80000000, v13
.LBB125_125:
	s_andn2_saveexec_b64 s[6:7], s[6:7]
	s_cbranch_execz .LBB125_127
; %bb.126:
	v_div_scale_f64 v[10:11], s[10:11], v[1:2], v[1:2], v[3:4]
	v_rcp_f64_e32 v[12:13], v[10:11]
	v_fma_f64 v[14:15], -v[10:11], v[12:13], 1.0
	v_fma_f64 v[12:13], v[12:13], v[14:15], v[12:13]
	v_div_scale_f64 v[14:15], vcc, v[3:4], v[1:2], v[3:4]
	v_fma_f64 v[16:17], -v[10:11], v[12:13], 1.0
	v_fma_f64 v[12:13], v[12:13], v[16:17], v[12:13]
	v_mul_f64 v[16:17], v[14:15], v[12:13]
	v_fma_f64 v[10:11], -v[10:11], v[16:17], v[14:15]
	v_div_fmas_f64 v[10:11], v[10:11], v[12:13], v[16:17]
	v_div_fixup_f64 v[12:13], v[10:11], v[1:2], v[3:4]
	v_fma_f64 v[1:2], v[3:4], v[12:13], v[1:2]
	v_div_scale_f64 v[3:4], s[10:11], v[1:2], v[1:2], 1.0
	v_div_scale_f64 v[16:17], vcc, 1.0, v[1:2], 1.0
	v_rcp_f64_e32 v[10:11], v[3:4]
	v_fma_f64 v[14:15], -v[3:4], v[10:11], 1.0
	v_fma_f64 v[10:11], v[10:11], v[14:15], v[10:11]
	v_fma_f64 v[14:15], -v[3:4], v[10:11], 1.0
	v_fma_f64 v[10:11], v[10:11], v[14:15], v[10:11]
	v_mul_f64 v[14:15], v[16:17], v[10:11]
	v_fma_f64 v[3:4], -v[3:4], v[14:15], v[16:17]
	v_div_fmas_f64 v[3:4], v[3:4], v[10:11], v[14:15]
	v_div_fixup_f64 v[10:11], v[3:4], v[1:2], 1.0
	v_mul_f64 v[12:13], v[12:13], -v[10:11]
.LBB125_127:
	s_or_b64 exec, exec, s[6:7]
	ds_write2_b64 v125, v[10:11], v[12:13] offset1:1
.LBB125_128:
	s_or_b64 exec, exec, s[8:9]
	s_waitcnt lgkmcnt(0)
	s_barrier
	ds_read2_b64 v[23:26], v125 offset1:1
	v_cmp_lt_u32_e32 vcc, 9, v0
	s_and_saveexec_b64 s[6:7], vcc
	s_cbranch_execz .LBB125_133
; %bb.129:
	buffer_load_dword v1, off, s[0:3], 0 offset:152
	buffer_load_dword v2, off, s[0:3], 0 offset:156
	;; [unrolled: 1-line block ×4, first 2 shown]
	s_movk_i32 s10, 0xa0
	s_waitcnt vmcnt(2) lgkmcnt(0)
	v_mul_f64 v[10:11], v[25:26], v[1:2]
	v_mul_f64 v[12:13], v[23:24], v[1:2]
	s_waitcnt vmcnt(0)
	v_fma_f64 v[1:2], v[23:24], v[3:4], -v[10:11]
	v_fma_f64 v[3:4], v[25:26], v[3:4], v[12:13]
	buffer_store_dword v1, off, s[0:3], 0 offset:144
	buffer_store_dword v2, off, s[0:3], 0 offset:148
	;; [unrolled: 1-line block ×4, first 2 shown]
	s_branch .LBB125_131
.LBB125_130:                            ;   in Loop: Header=BB125_131 Depth=1
	s_andn2_b64 vcc, exec, s[8:9]
	s_cbranch_vccz .LBB125_133
.LBB125_131:                            ; =>This Inner Loop Header: Depth=1
	v_add_u32_e32 v7, s10, v6
	ds_read2_b64 v[10:13], v7 offset1:1
	s_mov_b32 s11, s10
	s_mov_b64 s[8:9], -1
	s_cmpk_eq_i32 s10, 0x3e0
	s_waitcnt vmcnt(0) lgkmcnt(0)
	v_mul_f64 v[14:15], v[12:13], v[3:4]
	v_mul_f64 v[3:4], v[10:11], v[3:4]
	v_fma_f64 v[14:15], v[10:11], v[1:2], -v[14:15]
	v_fma_f64 v[1:2], v[12:13], v[1:2], v[3:4]
	v_mov_b32_e32 v12, s10
	buffer_load_dword v3, v12, s[0:3], 0 offen
	buffer_load_dword v4, v12, s[0:3], 0 offen offset:4
	buffer_load_dword v10, v12, s[0:3], 0 offen offset:8
	;; [unrolled: 1-line block ×3, first 2 shown]
	s_waitcnt vmcnt(2)
	v_add_f64 v[3:4], v[3:4], -v[14:15]
	s_waitcnt vmcnt(0)
	v_add_f64 v[1:2], v[10:11], -v[1:2]
	buffer_store_dword v3, v12, s[0:3], 0 offen
	buffer_store_dword v4, v12, s[0:3], 0 offen offset:4
	buffer_store_dword v1, v12, s[0:3], 0 offen offset:8
	buffer_store_dword v2, v12, s[0:3], 0 offen offset:12
                                        ; implicit-def: $vgpr1_vgpr2
                                        ; implicit-def: $vgpr3_vgpr4
	s_cbranch_scc1 .LBB125_130
; %bb.132:                              ;   in Loop: Header=BB125_131 Depth=1
	buffer_load_dword v10, off, s[0:3], 0 offset:152
	buffer_load_dword v11, off, s[0:3], 0 offset:156
	;; [unrolled: 1-line block ×4, first 2 shown]
	v_mov_b32_e32 v20, s11
	buffer_load_dword v14, v20, s[0:3], 0 offen offset:16
	buffer_load_dword v15, v20, s[0:3], 0 offen offset:20
	;; [unrolled: 1-line block ×4, first 2 shown]
	ds_read2_b64 v[1:4], v7 offset0:2 offset1:3
	s_add_i32 s10, s10, 64
	s_mov_b64 s[8:9], 0
	s_waitcnt vmcnt(6) lgkmcnt(0)
	v_mul_f64 v[18:19], v[3:4], v[10:11]
	v_mul_f64 v[10:11], v[1:2], v[10:11]
	s_waitcnt vmcnt(4)
	v_fma_f64 v[1:2], v[1:2], v[12:13], -v[18:19]
	v_fma_f64 v[3:4], v[3:4], v[12:13], v[10:11]
	s_waitcnt vmcnt(2)
	v_add_f64 v[1:2], v[14:15], -v[1:2]
	s_waitcnt vmcnt(0)
	v_add_f64 v[3:4], v[16:17], -v[3:4]
	buffer_store_dword v2, v20, s[0:3], 0 offen offset:20
	buffer_store_dword v1, v20, s[0:3], 0 offen offset:16
	;; [unrolled: 1-line block ×4, first 2 shown]
	buffer_load_dword v11, off, s[0:3], 0 offset:156
	buffer_load_dword v10, off, s[0:3], 0 offset:152
	;; [unrolled: 1-line block ×4, first 2 shown]
	buffer_load_dword v15, v20, s[0:3], 0 offen offset:36
	buffer_load_dword v14, v20, s[0:3], 0 offen offset:32
	;; [unrolled: 1-line block ×4, first 2 shown]
	ds_read2_b64 v[1:4], v7 offset0:4 offset1:5
	s_waitcnt vmcnt(6) lgkmcnt(0)
	v_mul_f64 v[18:19], v[3:4], v[10:11]
	v_mul_f64 v[10:11], v[1:2], v[10:11]
	s_waitcnt vmcnt(4)
	v_fma_f64 v[1:2], v[1:2], v[12:13], -v[18:19]
	v_fma_f64 v[3:4], v[3:4], v[12:13], v[10:11]
	s_waitcnt vmcnt(2)
	v_add_f64 v[1:2], v[14:15], -v[1:2]
	s_waitcnt vmcnt(0)
	v_add_f64 v[3:4], v[16:17], -v[3:4]
	buffer_store_dword v2, v20, s[0:3], 0 offen offset:36
	buffer_store_dword v1, v20, s[0:3], 0 offen offset:32
	;; [unrolled: 1-line block ×4, first 2 shown]
	buffer_load_dword v10, off, s[0:3], 0 offset:152
	buffer_load_dword v11, off, s[0:3], 0 offset:156
	;; [unrolled: 1-line block ×4, first 2 shown]
	buffer_load_dword v15, v20, s[0:3], 0 offen offset:52
	buffer_load_dword v14, v20, s[0:3], 0 offen offset:48
	;; [unrolled: 1-line block ×4, first 2 shown]
	ds_read2_b64 v[1:4], v7 offset0:6 offset1:7
	s_waitcnt vmcnt(6) lgkmcnt(0)
	v_mul_f64 v[18:19], v[3:4], v[10:11]
	v_mul_f64 v[10:11], v[1:2], v[10:11]
	s_waitcnt vmcnt(4)
	v_fma_f64 v[1:2], v[1:2], v[12:13], -v[18:19]
	v_fma_f64 v[3:4], v[3:4], v[12:13], v[10:11]
	s_waitcnt vmcnt(2)
	v_add_f64 v[1:2], v[14:15], -v[1:2]
	s_waitcnt vmcnt(0)
	v_add_f64 v[3:4], v[16:17], -v[3:4]
	buffer_store_dword v2, v20, s[0:3], 0 offen offset:52
	buffer_store_dword v1, v20, s[0:3], 0 offen offset:48
	;; [unrolled: 1-line block ×4, first 2 shown]
	buffer_load_dword v1, off, s[0:3], 0 offset:144
	s_nop 0
	buffer_load_dword v2, off, s[0:3], 0 offset:148
	buffer_load_dword v3, off, s[0:3], 0 offset:152
	;; [unrolled: 1-line block ×3, first 2 shown]
	s_branch .LBB125_130
.LBB125_133:
	s_or_b64 exec, exec, s[6:7]
	v_cmp_eq_u32_e32 vcc, 10, v0
	s_waitcnt vmcnt(0) lgkmcnt(0)
	s_barrier
	s_and_saveexec_b64 s[8:9], vcc
	s_cbranch_execz .LBB125_142
; %bb.134:
	v_mov_b32_e32 v4, s97
	buffer_load_dword v1, v4, s[0:3], 0 offen
	buffer_load_dword v2, v4, s[0:3], 0 offen offset:4
	buffer_load_dword v3, v4, s[0:3], 0 offen offset:8
	s_nop 0
	buffer_load_dword v4, v4, s[0:3], 0 offen offset:12
	s_movk_i32 s6, 0xb0
	s_waitcnt vmcnt(0)
	ds_write2_b64 v125, v[1:2], v[3:4] offset1:1
.LBB125_135:                            ; =>This Inner Loop Header: Depth=1
	v_mov_b32_e32 v7, s6
	buffer_load_dword v1, v7, s[0:3], 0 offen
	buffer_load_dword v2, v7, s[0:3], 0 offen offset:4
	buffer_load_dword v3, v7, s[0:3], 0 offen offset:8
	;; [unrolled: 1-line block ×15, first 2 shown]
	v_add_u32_e32 v22, s6, v6
	s_addk_i32 s6, 0xd0
	s_cmpk_lg_i32 s6, 0x3f0
	s_waitcnt vmcnt(12)
	ds_write2_b64 v22, v[1:2], v[3:4] offset1:1
	s_waitcnt vmcnt(8)
	ds_write2_b64 v22, v[10:11], v[12:13] offset0:2 offset1:3
	s_waitcnt vmcnt(4)
	ds_write2_b64 v22, v[14:15], v[16:17] offset0:4 offset1:5
	;; [unrolled: 2-line block ×3, first 2 shown]
	buffer_load_dword v2, v7, s[0:3], 0 offen offset:76
	buffer_load_dword v1, v7, s[0:3], 0 offen offset:72
	buffer_load_dword v4, v7, s[0:3], 0 offen offset:68
	buffer_load_dword v3, v7, s[0:3], 0 offen offset:64
	s_waitcnt vmcnt(0)
	ds_write2_b64 v22, v[3:4], v[1:2] offset0:8 offset1:9
	buffer_load_dword v2, v7, s[0:3], 0 offen offset:92
	buffer_load_dword v1, v7, s[0:3], 0 offen offset:88
	buffer_load_dword v4, v7, s[0:3], 0 offen offset:84
	buffer_load_dword v3, v7, s[0:3], 0 offen offset:80
	s_waitcnt vmcnt(0)
	ds_write2_b64 v22, v[3:4], v[1:2] offset0:10 offset1:11
	;; [unrolled: 6-line block ×9, first 2 shown]
	s_cbranch_scc1 .LBB125_135
; %bb.136:
	ds_read2_b64 v[1:4], v125 offset1:1
	s_waitcnt lgkmcnt(0)
	v_cmp_neq_f64_e32 vcc, 0, v[1:2]
	v_cmp_neq_f64_e64 s[6:7], 0, v[3:4]
	s_or_b64 s[6:7], vcc, s[6:7]
	s_and_b64 exec, exec, s[6:7]
	s_cbranch_execz .LBB125_142
; %bb.137:
	v_cmp_ngt_f64_e64 s[6:7], |v[1:2]|, |v[3:4]|
                                        ; implicit-def: $vgpr10_vgpr11
	s_and_saveexec_b64 s[10:11], s[6:7]
	s_xor_b64 s[6:7], exec, s[10:11]
                                        ; implicit-def: $vgpr12_vgpr13
	s_cbranch_execz .LBB125_139
; %bb.138:
	v_div_scale_f64 v[10:11], s[10:11], v[3:4], v[3:4], v[1:2]
	v_rcp_f64_e32 v[12:13], v[10:11]
	v_fma_f64 v[14:15], -v[10:11], v[12:13], 1.0
	v_fma_f64 v[12:13], v[12:13], v[14:15], v[12:13]
	v_div_scale_f64 v[14:15], vcc, v[1:2], v[3:4], v[1:2]
	v_fma_f64 v[16:17], -v[10:11], v[12:13], 1.0
	v_fma_f64 v[12:13], v[12:13], v[16:17], v[12:13]
	v_mul_f64 v[16:17], v[14:15], v[12:13]
	v_fma_f64 v[10:11], -v[10:11], v[16:17], v[14:15]
	v_div_fmas_f64 v[10:11], v[10:11], v[12:13], v[16:17]
	v_div_fixup_f64 v[10:11], v[10:11], v[3:4], v[1:2]
	v_fma_f64 v[1:2], v[1:2], v[10:11], v[3:4]
	v_div_scale_f64 v[3:4], s[10:11], v[1:2], v[1:2], 1.0
	v_div_scale_f64 v[16:17], vcc, 1.0, v[1:2], 1.0
	v_rcp_f64_e32 v[12:13], v[3:4]
	v_fma_f64 v[14:15], -v[3:4], v[12:13], 1.0
	v_fma_f64 v[12:13], v[12:13], v[14:15], v[12:13]
	v_fma_f64 v[14:15], -v[3:4], v[12:13], 1.0
	v_fma_f64 v[12:13], v[12:13], v[14:15], v[12:13]
	v_mul_f64 v[14:15], v[16:17], v[12:13]
	v_fma_f64 v[3:4], -v[3:4], v[14:15], v[16:17]
	v_div_fmas_f64 v[3:4], v[3:4], v[12:13], v[14:15]
	v_div_fixup_f64 v[12:13], v[3:4], v[1:2], 1.0
                                        ; implicit-def: $vgpr1_vgpr2
	v_mul_f64 v[10:11], v[10:11], v[12:13]
	v_xor_b32_e32 v13, 0x80000000, v13
.LBB125_139:
	s_andn2_saveexec_b64 s[6:7], s[6:7]
	s_cbranch_execz .LBB125_141
; %bb.140:
	v_div_scale_f64 v[10:11], s[10:11], v[1:2], v[1:2], v[3:4]
	v_rcp_f64_e32 v[12:13], v[10:11]
	v_fma_f64 v[14:15], -v[10:11], v[12:13], 1.0
	v_fma_f64 v[12:13], v[12:13], v[14:15], v[12:13]
	v_div_scale_f64 v[14:15], vcc, v[3:4], v[1:2], v[3:4]
	v_fma_f64 v[16:17], -v[10:11], v[12:13], 1.0
	v_fma_f64 v[12:13], v[12:13], v[16:17], v[12:13]
	v_mul_f64 v[16:17], v[14:15], v[12:13]
	v_fma_f64 v[10:11], -v[10:11], v[16:17], v[14:15]
	v_div_fmas_f64 v[10:11], v[10:11], v[12:13], v[16:17]
	v_div_fixup_f64 v[12:13], v[10:11], v[1:2], v[3:4]
	v_fma_f64 v[1:2], v[3:4], v[12:13], v[1:2]
	v_div_scale_f64 v[3:4], s[10:11], v[1:2], v[1:2], 1.0
	v_div_scale_f64 v[16:17], vcc, 1.0, v[1:2], 1.0
	v_rcp_f64_e32 v[10:11], v[3:4]
	v_fma_f64 v[14:15], -v[3:4], v[10:11], 1.0
	v_fma_f64 v[10:11], v[10:11], v[14:15], v[10:11]
	v_fma_f64 v[14:15], -v[3:4], v[10:11], 1.0
	v_fma_f64 v[10:11], v[10:11], v[14:15], v[10:11]
	v_mul_f64 v[14:15], v[16:17], v[10:11]
	v_fma_f64 v[3:4], -v[3:4], v[14:15], v[16:17]
	v_div_fmas_f64 v[3:4], v[3:4], v[10:11], v[14:15]
	v_div_fixup_f64 v[10:11], v[3:4], v[1:2], 1.0
	v_mul_f64 v[12:13], v[12:13], -v[10:11]
.LBB125_141:
	s_or_b64 exec, exec, s[6:7]
	ds_write2_b64 v125, v[10:11], v[12:13] offset1:1
.LBB125_142:
	s_or_b64 exec, exec, s[8:9]
	buffer_store_dword v23, off, s[0:3], 0 offset:1944 ; 4-byte Folded Spill
	s_nop 0
	buffer_store_dword v24, off, s[0:3], 0 offset:1948 ; 4-byte Folded Spill
	buffer_store_dword v25, off, s[0:3], 0 offset:1952 ; 4-byte Folded Spill
	;; [unrolled: 1-line block ×3, first 2 shown]
	s_waitcnt vmcnt(0) lgkmcnt(0)
	s_barrier
	ds_read2_b64 v[1:4], v125 offset1:1
	v_cmp_lt_u32_e32 vcc, 10, v0
	s_waitcnt lgkmcnt(0)
	buffer_store_dword v1, off, s[0:3], 0 offset:1624 ; 4-byte Folded Spill
	s_nop 0
	buffer_store_dword v2, off, s[0:3], 0 offset:1628 ; 4-byte Folded Spill
	buffer_store_dword v3, off, s[0:3], 0 offset:1632 ; 4-byte Folded Spill
	;; [unrolled: 1-line block ×3, first 2 shown]
	s_and_saveexec_b64 s[6:7], vcc
	s_cbranch_execz .LBB125_145
; %bb.143:
	buffer_load_dword v1, off, s[0:3], 0 offset:168
	buffer_load_dword v2, off, s[0:3], 0 offset:172
	;; [unrolled: 1-line block ×4, first 2 shown]
	buffer_load_dword v12, off, s[0:3], 0 offset:1624 ; 4-byte Folded Reload
	buffer_load_dword v13, off, s[0:3], 0 offset:1628 ; 4-byte Folded Reload
	;; [unrolled: 1-line block ×4, first 2 shown]
	s_movk_i32 s8, 0xb0
	s_waitcnt vmcnt(0)
	v_mul_f64 v[10:11], v[14:15], v[1:2]
	v_mul_f64 v[1:2], v[12:13], v[1:2]
	v_fma_f64 v[10:11], v[12:13], v[3:4], -v[10:11]
	v_fma_f64 v[1:2], v[14:15], v[3:4], v[1:2]
	buffer_store_dword v10, off, s[0:3], 0 offset:160
	buffer_store_dword v11, off, s[0:3], 0 offset:164
	;; [unrolled: 1-line block ×4, first 2 shown]
.LBB125_144:                            ; =>This Inner Loop Header: Depth=1
	buffer_load_dword v3, off, s[0:3], 0 offset:168
	buffer_load_dword v4, off, s[0:3], 0 offset:172
	;; [unrolled: 1-line block ×4, first 2 shown]
	v_mov_b32_e32 v1, s8
	buffer_load_dword v16, v1, s[0:3], 0 offen
	buffer_load_dword v17, v1, s[0:3], 0 offen offset:4
	buffer_load_dword v18, v1, s[0:3], 0 offen offset:8
	;; [unrolled: 1-line block ×3, first 2 shown]
	v_add_u32_e32 v2, s8, v6
	ds_read2_b64 v[10:13], v2 offset1:1
	buffer_load_dword v20, v1, s[0:3], 0 offen offset:16
	buffer_load_dword v21, v1, s[0:3], 0 offen offset:20
	;; [unrolled: 1-line block ×3, first 2 shown]
	s_add_i32 s8, s8, 64
	s_cmpk_lg_i32 s8, 0x3f0
	s_waitcnt vmcnt(9) lgkmcnt(0)
	v_mul_f64 v[23:24], v[12:13], v[3:4]
	v_mul_f64 v[3:4], v[10:11], v[3:4]
	s_waitcnt vmcnt(7)
	v_fma_f64 v[10:11], v[10:11], v[14:15], -v[23:24]
	v_fma_f64 v[3:4], v[12:13], v[14:15], v[3:4]
	s_waitcnt vmcnt(5)
	v_add_f64 v[10:11], v[16:17], -v[10:11]
	s_waitcnt vmcnt(3)
	v_add_f64 v[3:4], v[18:19], -v[3:4]
	buffer_store_dword v11, v1, s[0:3], 0 offen offset:4
	buffer_store_dword v10, v1, s[0:3], 0 offen
	buffer_store_dword v4, v1, s[0:3], 0 offen offset:12
	buffer_store_dword v3, v1, s[0:3], 0 offen offset:8
	buffer_load_dword v4, off, s[0:3], 0 offset:172
	s_nop 0
	buffer_load_dword v3, off, s[0:3], 0 offset:168
	buffer_load_dword v15, off, s[0:3], 0 offset:164
	;; [unrolled: 1-line block ×3, first 2 shown]
	buffer_load_dword v23, v1, s[0:3], 0 offen offset:28
	ds_read2_b64 v[10:13], v2 offset0:2 offset1:3
	buffer_load_dword v16, v1, s[0:3], 0 offen offset:32
	s_waitcnt vmcnt(4) lgkmcnt(0)
	v_mul_f64 v[17:18], v[12:13], v[3:4]
	v_mul_f64 v[3:4], v[10:11], v[3:4]
	s_waitcnt vmcnt(2)
	v_fma_f64 v[10:11], v[10:11], v[14:15], -v[17:18]
	v_fma_f64 v[3:4], v[12:13], v[14:15], v[3:4]
	v_add_f64 v[10:11], v[20:21], -v[10:11]
	s_waitcnt vmcnt(1)
	v_add_f64 v[3:4], v[22:23], -v[3:4]
	buffer_store_dword v11, v1, s[0:3], 0 offen offset:20
	buffer_store_dword v10, v1, s[0:3], 0 offen offset:16
	;; [unrolled: 1-line block ×4, first 2 shown]
	buffer_load_dword v3, off, s[0:3], 0 offset:168
	s_nop 0
	buffer_load_dword v4, off, s[0:3], 0 offset:172
	buffer_load_dword v14, off, s[0:3], 0 offset:160
	;; [unrolled: 1-line block ×3, first 2 shown]
	buffer_load_dword v17, v1, s[0:3], 0 offen offset:36
	buffer_load_dword v18, v1, s[0:3], 0 offen offset:40
	;; [unrolled: 1-line block ×3, first 2 shown]
	ds_read2_b64 v[10:13], v2 offset0:4 offset1:5
	s_waitcnt vmcnt(5) lgkmcnt(0)
	v_mul_f64 v[20:21], v[12:13], v[3:4]
	v_mul_f64 v[3:4], v[10:11], v[3:4]
	s_waitcnt vmcnt(3)
	v_fma_f64 v[10:11], v[10:11], v[14:15], -v[20:21]
	v_fma_f64 v[3:4], v[12:13], v[14:15], v[3:4]
	s_waitcnt vmcnt(2)
	v_add_f64 v[10:11], v[16:17], -v[10:11]
	s_waitcnt vmcnt(0)
	v_add_f64 v[3:4], v[18:19], -v[3:4]
	buffer_store_dword v11, v1, s[0:3], 0 offen offset:36
	buffer_store_dword v10, v1, s[0:3], 0 offen offset:32
	;; [unrolled: 1-line block ×4, first 2 shown]
	buffer_load_dword v3, off, s[0:3], 0 offset:168
	s_nop 0
	buffer_load_dword v4, off, s[0:3], 0 offset:172
	buffer_load_dword v14, off, s[0:3], 0 offset:160
	;; [unrolled: 1-line block ×3, first 2 shown]
	buffer_load_dword v16, v1, s[0:3], 0 offen offset:48
	buffer_load_dword v17, v1, s[0:3], 0 offen offset:52
	buffer_load_dword v18, v1, s[0:3], 0 offen offset:56
	buffer_load_dword v19, v1, s[0:3], 0 offen offset:60
	ds_read2_b64 v[10:13], v2 offset0:6 offset1:7
	s_waitcnt vmcnt(6) lgkmcnt(0)
	v_mul_f64 v[20:21], v[12:13], v[3:4]
	v_mul_f64 v[2:3], v[10:11], v[3:4]
	s_waitcnt vmcnt(4)
	v_fma_f64 v[10:11], v[10:11], v[14:15], -v[20:21]
	v_fma_f64 v[2:3], v[12:13], v[14:15], v[2:3]
	s_waitcnt vmcnt(2)
	v_add_f64 v[10:11], v[16:17], -v[10:11]
	s_waitcnt vmcnt(0)
	v_add_f64 v[2:3], v[18:19], -v[2:3]
	buffer_store_dword v11, v1, s[0:3], 0 offen offset:52
	buffer_store_dword v10, v1, s[0:3], 0 offen offset:48
	;; [unrolled: 1-line block ×4, first 2 shown]
	s_cbranch_scc1 .LBB125_144
.LBB125_145:
	s_or_b64 exec, exec, s[6:7]
	v_cmp_eq_u32_e32 vcc, 11, v0
	s_waitcnt vmcnt(0)
	s_barrier
	s_and_saveexec_b64 s[8:9], vcc
	s_cbranch_execz .LBB125_154
; %bb.146:
	v_mov_b32_e32 v4, s96
	buffer_load_dword v1, v4, s[0:3], 0 offen
	buffer_load_dword v2, v4, s[0:3], 0 offen offset:4
	buffer_load_dword v3, v4, s[0:3], 0 offen offset:8
	s_nop 0
	buffer_load_dword v4, v4, s[0:3], 0 offen offset:12
	s_movk_i32 s6, 0xc0
	s_waitcnt vmcnt(0)
	ds_write2_b64 v125, v[1:2], v[3:4] offset1:1
.LBB125_147:                            ; =>This Inner Loop Header: Depth=1
	v_mov_b32_e32 v7, s6
	buffer_load_dword v1, v7, s[0:3], 0 offen
	buffer_load_dword v2, v7, s[0:3], 0 offen offset:4
	buffer_load_dword v3, v7, s[0:3], 0 offen offset:8
	;; [unrolled: 1-line block ×15, first 2 shown]
	v_add_u32_e32 v22, s6, v6
	s_addk_i32 s6, 0x110
	s_cmpk_lg_i32 s6, 0x3f0
	s_waitcnt vmcnt(12)
	ds_write2_b64 v22, v[1:2], v[3:4] offset1:1
	s_waitcnt vmcnt(8)
	ds_write2_b64 v22, v[10:11], v[12:13] offset0:2 offset1:3
	s_waitcnt vmcnt(4)
	ds_write2_b64 v22, v[14:15], v[16:17] offset0:4 offset1:5
	;; [unrolled: 2-line block ×3, first 2 shown]
	buffer_load_dword v2, v7, s[0:3], 0 offen offset:76
	buffer_load_dword v1, v7, s[0:3], 0 offen offset:72
	buffer_load_dword v4, v7, s[0:3], 0 offen offset:68
	buffer_load_dword v3, v7, s[0:3], 0 offen offset:64
	s_waitcnt vmcnt(0)
	ds_write2_b64 v22, v[3:4], v[1:2] offset0:8 offset1:9
	buffer_load_dword v2, v7, s[0:3], 0 offen offset:92
	buffer_load_dword v1, v7, s[0:3], 0 offen offset:88
	buffer_load_dword v4, v7, s[0:3], 0 offen offset:84
	buffer_load_dword v3, v7, s[0:3], 0 offen offset:80
	s_waitcnt vmcnt(0)
	ds_write2_b64 v22, v[3:4], v[1:2] offset0:10 offset1:11
	;; [unrolled: 6-line block ×13, first 2 shown]
	s_cbranch_scc1 .LBB125_147
; %bb.148:
	ds_read2_b64 v[1:4], v125 offset1:1
	s_waitcnt lgkmcnt(0)
	v_cmp_neq_f64_e32 vcc, 0, v[1:2]
	v_cmp_neq_f64_e64 s[6:7], 0, v[3:4]
	s_or_b64 s[6:7], vcc, s[6:7]
	s_and_b64 exec, exec, s[6:7]
	s_cbranch_execz .LBB125_154
; %bb.149:
	v_cmp_ngt_f64_e64 s[6:7], |v[1:2]|, |v[3:4]|
                                        ; implicit-def: $vgpr10_vgpr11
	s_and_saveexec_b64 s[10:11], s[6:7]
	s_xor_b64 s[6:7], exec, s[10:11]
                                        ; implicit-def: $vgpr12_vgpr13
	s_cbranch_execz .LBB125_151
; %bb.150:
	v_div_scale_f64 v[10:11], s[10:11], v[3:4], v[3:4], v[1:2]
	v_rcp_f64_e32 v[12:13], v[10:11]
	v_fma_f64 v[14:15], -v[10:11], v[12:13], 1.0
	v_fma_f64 v[12:13], v[12:13], v[14:15], v[12:13]
	v_div_scale_f64 v[14:15], vcc, v[1:2], v[3:4], v[1:2]
	v_fma_f64 v[16:17], -v[10:11], v[12:13], 1.0
	v_fma_f64 v[12:13], v[12:13], v[16:17], v[12:13]
	v_mul_f64 v[16:17], v[14:15], v[12:13]
	v_fma_f64 v[10:11], -v[10:11], v[16:17], v[14:15]
	v_div_fmas_f64 v[10:11], v[10:11], v[12:13], v[16:17]
	v_div_fixup_f64 v[10:11], v[10:11], v[3:4], v[1:2]
	v_fma_f64 v[1:2], v[1:2], v[10:11], v[3:4]
	v_div_scale_f64 v[3:4], s[10:11], v[1:2], v[1:2], 1.0
	v_div_scale_f64 v[16:17], vcc, 1.0, v[1:2], 1.0
	v_rcp_f64_e32 v[12:13], v[3:4]
	v_fma_f64 v[14:15], -v[3:4], v[12:13], 1.0
	v_fma_f64 v[12:13], v[12:13], v[14:15], v[12:13]
	v_fma_f64 v[14:15], -v[3:4], v[12:13], 1.0
	v_fma_f64 v[12:13], v[12:13], v[14:15], v[12:13]
	v_mul_f64 v[14:15], v[16:17], v[12:13]
	v_fma_f64 v[3:4], -v[3:4], v[14:15], v[16:17]
	v_div_fmas_f64 v[3:4], v[3:4], v[12:13], v[14:15]
	v_div_fixup_f64 v[12:13], v[3:4], v[1:2], 1.0
                                        ; implicit-def: $vgpr1_vgpr2
	v_mul_f64 v[10:11], v[10:11], v[12:13]
	v_xor_b32_e32 v13, 0x80000000, v13
.LBB125_151:
	s_andn2_saveexec_b64 s[6:7], s[6:7]
	s_cbranch_execz .LBB125_153
; %bb.152:
	v_div_scale_f64 v[10:11], s[10:11], v[1:2], v[1:2], v[3:4]
	v_rcp_f64_e32 v[12:13], v[10:11]
	v_fma_f64 v[14:15], -v[10:11], v[12:13], 1.0
	v_fma_f64 v[12:13], v[12:13], v[14:15], v[12:13]
	v_div_scale_f64 v[14:15], vcc, v[3:4], v[1:2], v[3:4]
	v_fma_f64 v[16:17], -v[10:11], v[12:13], 1.0
	v_fma_f64 v[12:13], v[12:13], v[16:17], v[12:13]
	v_mul_f64 v[16:17], v[14:15], v[12:13]
	v_fma_f64 v[10:11], -v[10:11], v[16:17], v[14:15]
	v_div_fmas_f64 v[10:11], v[10:11], v[12:13], v[16:17]
	v_div_fixup_f64 v[12:13], v[10:11], v[1:2], v[3:4]
	v_fma_f64 v[1:2], v[3:4], v[12:13], v[1:2]
	v_div_scale_f64 v[3:4], s[10:11], v[1:2], v[1:2], 1.0
	v_div_scale_f64 v[16:17], vcc, 1.0, v[1:2], 1.0
	v_rcp_f64_e32 v[10:11], v[3:4]
	v_fma_f64 v[14:15], -v[3:4], v[10:11], 1.0
	v_fma_f64 v[10:11], v[10:11], v[14:15], v[10:11]
	v_fma_f64 v[14:15], -v[3:4], v[10:11], 1.0
	v_fma_f64 v[10:11], v[10:11], v[14:15], v[10:11]
	v_mul_f64 v[14:15], v[16:17], v[10:11]
	v_fma_f64 v[3:4], -v[3:4], v[14:15], v[16:17]
	v_div_fmas_f64 v[3:4], v[3:4], v[10:11], v[14:15]
	v_div_fixup_f64 v[10:11], v[3:4], v[1:2], 1.0
	v_mul_f64 v[12:13], v[12:13], -v[10:11]
.LBB125_153:
	s_or_b64 exec, exec, s[6:7]
	ds_write2_b64 v125, v[10:11], v[12:13] offset1:1
.LBB125_154:
	s_or_b64 exec, exec, s[8:9]
	s_waitcnt lgkmcnt(0)
	s_barrier
	ds_read2_b64 v[23:26], v125 offset1:1
	v_cmp_lt_u32_e32 vcc, 11, v0
	s_and_saveexec_b64 s[6:7], vcc
	s_cbranch_execz .LBB125_157
; %bb.155:
	buffer_load_dword v1, off, s[0:3], 0 offset:184
	buffer_load_dword v2, off, s[0:3], 0 offset:188
	;; [unrolled: 1-line block ×4, first 2 shown]
	s_movk_i32 s8, 0xc0
	s_waitcnt vmcnt(2) lgkmcnt(0)
	v_mul_f64 v[10:11], v[25:26], v[1:2]
	v_mul_f64 v[1:2], v[23:24], v[1:2]
	s_waitcnt vmcnt(0)
	v_fma_f64 v[10:11], v[23:24], v[3:4], -v[10:11]
	v_fma_f64 v[1:2], v[25:26], v[3:4], v[1:2]
	buffer_store_dword v10, off, s[0:3], 0 offset:176
	buffer_store_dword v11, off, s[0:3], 0 offset:180
	;; [unrolled: 1-line block ×4, first 2 shown]
.LBB125_156:                            ; =>This Inner Loop Header: Depth=1
	buffer_load_dword v10, off, s[0:3], 0 offset:184
	s_nop 0
	buffer_load_dword v11, off, s[0:3], 0 offset:188
	buffer_load_dword v12, off, s[0:3], 0 offset:176
	;; [unrolled: 1-line block ×3, first 2 shown]
	v_mov_b32_e32 v7, s8
	buffer_load_dword v14, v7, s[0:3], 0 offen
	buffer_load_dword v15, v7, s[0:3], 0 offen offset:4
	buffer_load_dword v16, v7, s[0:3], 0 offen offset:8
	;; [unrolled: 1-line block ×3, first 2 shown]
	v_add_u32_e32 v21, s8, v6
	ds_read2_b64 v[1:4], v21 offset1:1
	buffer_load_dword v18, v7, s[0:3], 0 offen offset:16
	s_add_i32 s8, s8, 48
	s_cmpk_lg_i32 s8, 0x3f0
	s_waitcnt vmcnt(7) lgkmcnt(0)
	v_mul_f64 v[19:20], v[3:4], v[10:11]
	v_mul_f64 v[10:11], v[1:2], v[10:11]
	s_waitcnt vmcnt(5)
	v_fma_f64 v[1:2], v[1:2], v[12:13], -v[19:20]
	v_fma_f64 v[3:4], v[3:4], v[12:13], v[10:11]
	s_waitcnt vmcnt(3)
	v_add_f64 v[1:2], v[14:15], -v[1:2]
	s_waitcnt vmcnt(1)
	v_add_f64 v[3:4], v[16:17], -v[3:4]
	buffer_store_dword v2, v7, s[0:3], 0 offen offset:4
	buffer_store_dword v1, v7, s[0:3], 0 offen
	buffer_store_dword v4, v7, s[0:3], 0 offen offset:12
	buffer_store_dword v3, v7, s[0:3], 0 offen offset:8
	buffer_load_dword v11, off, s[0:3], 0 offset:188
	buffer_load_dword v10, off, s[0:3], 0 offset:184
	;; [unrolled: 1-line block ×4, first 2 shown]
	buffer_load_dword v19, v7, s[0:3], 0 offen offset:20
	buffer_load_dword v14, v7, s[0:3], 0 offen offset:24
	;; [unrolled: 1-line block ×3, first 2 shown]
	ds_read2_b64 v[1:4], v21 offset0:2 offset1:3
	s_waitcnt vmcnt(5) lgkmcnt(0)
	v_mul_f64 v[16:17], v[3:4], v[10:11]
	v_mul_f64 v[10:11], v[1:2], v[10:11]
	s_waitcnt vmcnt(3)
	v_fma_f64 v[1:2], v[1:2], v[12:13], -v[16:17]
	v_fma_f64 v[3:4], v[3:4], v[12:13], v[10:11]
	s_waitcnt vmcnt(2)
	v_add_f64 v[1:2], v[18:19], -v[1:2]
	s_waitcnt vmcnt(0)
	v_add_f64 v[3:4], v[14:15], -v[3:4]
	buffer_store_dword v2, v7, s[0:3], 0 offen offset:20
	buffer_store_dword v1, v7, s[0:3], 0 offen offset:16
	;; [unrolled: 1-line block ×4, first 2 shown]
	buffer_load_dword v10, off, s[0:3], 0 offset:184
	buffer_load_dword v11, off, s[0:3], 0 offset:188
	;; [unrolled: 1-line block ×4, first 2 shown]
	buffer_load_dword v14, v7, s[0:3], 0 offen offset:32
	buffer_load_dword v15, v7, s[0:3], 0 offen offset:36
	;; [unrolled: 1-line block ×4, first 2 shown]
	ds_read2_b64 v[1:4], v21 offset0:4 offset1:5
	s_waitcnt vmcnt(6) lgkmcnt(0)
	v_mul_f64 v[18:19], v[3:4], v[10:11]
	v_mul_f64 v[10:11], v[1:2], v[10:11]
	s_waitcnt vmcnt(4)
	v_fma_f64 v[1:2], v[1:2], v[12:13], -v[18:19]
	v_fma_f64 v[3:4], v[3:4], v[12:13], v[10:11]
	s_waitcnt vmcnt(2)
	v_add_f64 v[1:2], v[14:15], -v[1:2]
	s_waitcnt vmcnt(0)
	v_add_f64 v[3:4], v[16:17], -v[3:4]
	buffer_store_dword v2, v7, s[0:3], 0 offen offset:36
	buffer_store_dword v1, v7, s[0:3], 0 offen offset:32
	;; [unrolled: 1-line block ×4, first 2 shown]
	s_cbranch_scc1 .LBB125_156
.LBB125_157:
	s_or_b64 exec, exec, s[6:7]
	v_cmp_eq_u32_e32 vcc, 12, v0
	s_waitcnt vmcnt(0) lgkmcnt(0)
	s_barrier
	s_and_saveexec_b64 s[8:9], vcc
	s_cbranch_execz .LBB125_166
; %bb.158:
	v_mov_b32_e32 v4, s95
	buffer_load_dword v1, v4, s[0:3], 0 offen
	buffer_load_dword v2, v4, s[0:3], 0 offen offset:4
	buffer_load_dword v3, v4, s[0:3], 0 offen offset:8
	s_nop 0
	buffer_load_dword v4, v4, s[0:3], 0 offen offset:12
	s_movk_i32 s6, 0xd0
	s_waitcnt vmcnt(0)
	ds_write2_b64 v125, v[1:2], v[3:4] offset1:1
.LBB125_159:                            ; =>This Inner Loop Header: Depth=1
	v_mov_b32_e32 v7, s6
	buffer_load_dword v1, v7, s[0:3], 0 offen
	buffer_load_dword v2, v7, s[0:3], 0 offen offset:4
	buffer_load_dword v3, v7, s[0:3], 0 offen offset:8
	;; [unrolled: 1-line block ×15, first 2 shown]
	v_add_u32_e32 v22, s6, v6
	s_addk_i32 s6, 0xa0
	s_cmpk_lg_i32 s6, 0x3f0
	s_waitcnt vmcnt(12)
	ds_write2_b64 v22, v[1:2], v[3:4] offset1:1
	s_waitcnt vmcnt(8)
	ds_write2_b64 v22, v[10:11], v[12:13] offset0:2 offset1:3
	s_waitcnt vmcnt(4)
	ds_write2_b64 v22, v[14:15], v[16:17] offset0:4 offset1:5
	;; [unrolled: 2-line block ×3, first 2 shown]
	buffer_load_dword v2, v7, s[0:3], 0 offen offset:76
	buffer_load_dword v1, v7, s[0:3], 0 offen offset:72
	buffer_load_dword v4, v7, s[0:3], 0 offen offset:68
	buffer_load_dword v3, v7, s[0:3], 0 offen offset:64
	s_waitcnt vmcnt(0)
	ds_write2_b64 v22, v[3:4], v[1:2] offset0:8 offset1:9
	buffer_load_dword v2, v7, s[0:3], 0 offen offset:92
	buffer_load_dword v1, v7, s[0:3], 0 offen offset:88
	buffer_load_dword v4, v7, s[0:3], 0 offen offset:84
	buffer_load_dword v3, v7, s[0:3], 0 offen offset:80
	s_waitcnt vmcnt(0)
	ds_write2_b64 v22, v[3:4], v[1:2] offset0:10 offset1:11
	;; [unrolled: 6-line block ×6, first 2 shown]
	s_cbranch_scc1 .LBB125_159
; %bb.160:
	ds_read2_b64 v[1:4], v125 offset1:1
	s_waitcnt lgkmcnt(0)
	v_cmp_neq_f64_e32 vcc, 0, v[1:2]
	v_cmp_neq_f64_e64 s[6:7], 0, v[3:4]
	s_or_b64 s[6:7], vcc, s[6:7]
	s_and_b64 exec, exec, s[6:7]
	s_cbranch_execz .LBB125_166
; %bb.161:
	v_cmp_ngt_f64_e64 s[6:7], |v[1:2]|, |v[3:4]|
                                        ; implicit-def: $vgpr10_vgpr11
	s_and_saveexec_b64 s[10:11], s[6:7]
	s_xor_b64 s[6:7], exec, s[10:11]
                                        ; implicit-def: $vgpr12_vgpr13
	s_cbranch_execz .LBB125_163
; %bb.162:
	v_div_scale_f64 v[10:11], s[10:11], v[3:4], v[3:4], v[1:2]
	v_rcp_f64_e32 v[12:13], v[10:11]
	v_fma_f64 v[14:15], -v[10:11], v[12:13], 1.0
	v_fma_f64 v[12:13], v[12:13], v[14:15], v[12:13]
	v_div_scale_f64 v[14:15], vcc, v[1:2], v[3:4], v[1:2]
	v_fma_f64 v[16:17], -v[10:11], v[12:13], 1.0
	v_fma_f64 v[12:13], v[12:13], v[16:17], v[12:13]
	v_mul_f64 v[16:17], v[14:15], v[12:13]
	v_fma_f64 v[10:11], -v[10:11], v[16:17], v[14:15]
	v_div_fmas_f64 v[10:11], v[10:11], v[12:13], v[16:17]
	v_div_fixup_f64 v[10:11], v[10:11], v[3:4], v[1:2]
	v_fma_f64 v[1:2], v[1:2], v[10:11], v[3:4]
	v_div_scale_f64 v[3:4], s[10:11], v[1:2], v[1:2], 1.0
	v_div_scale_f64 v[16:17], vcc, 1.0, v[1:2], 1.0
	v_rcp_f64_e32 v[12:13], v[3:4]
	v_fma_f64 v[14:15], -v[3:4], v[12:13], 1.0
	v_fma_f64 v[12:13], v[12:13], v[14:15], v[12:13]
	v_fma_f64 v[14:15], -v[3:4], v[12:13], 1.0
	v_fma_f64 v[12:13], v[12:13], v[14:15], v[12:13]
	v_mul_f64 v[14:15], v[16:17], v[12:13]
	v_fma_f64 v[3:4], -v[3:4], v[14:15], v[16:17]
	v_div_fmas_f64 v[3:4], v[3:4], v[12:13], v[14:15]
	v_div_fixup_f64 v[12:13], v[3:4], v[1:2], 1.0
                                        ; implicit-def: $vgpr1_vgpr2
	v_mul_f64 v[10:11], v[10:11], v[12:13]
	v_xor_b32_e32 v13, 0x80000000, v13
.LBB125_163:
	s_andn2_saveexec_b64 s[6:7], s[6:7]
	s_cbranch_execz .LBB125_165
; %bb.164:
	v_div_scale_f64 v[10:11], s[10:11], v[1:2], v[1:2], v[3:4]
	v_rcp_f64_e32 v[12:13], v[10:11]
	v_fma_f64 v[14:15], -v[10:11], v[12:13], 1.0
	v_fma_f64 v[12:13], v[12:13], v[14:15], v[12:13]
	v_div_scale_f64 v[14:15], vcc, v[3:4], v[1:2], v[3:4]
	v_fma_f64 v[16:17], -v[10:11], v[12:13], 1.0
	v_fma_f64 v[12:13], v[12:13], v[16:17], v[12:13]
	v_mul_f64 v[16:17], v[14:15], v[12:13]
	v_fma_f64 v[10:11], -v[10:11], v[16:17], v[14:15]
	v_div_fmas_f64 v[10:11], v[10:11], v[12:13], v[16:17]
	v_div_fixup_f64 v[12:13], v[10:11], v[1:2], v[3:4]
	v_fma_f64 v[1:2], v[3:4], v[12:13], v[1:2]
	v_div_scale_f64 v[3:4], s[10:11], v[1:2], v[1:2], 1.0
	v_div_scale_f64 v[16:17], vcc, 1.0, v[1:2], 1.0
	v_rcp_f64_e32 v[10:11], v[3:4]
	v_fma_f64 v[14:15], -v[3:4], v[10:11], 1.0
	v_fma_f64 v[10:11], v[10:11], v[14:15], v[10:11]
	v_fma_f64 v[14:15], -v[3:4], v[10:11], 1.0
	v_fma_f64 v[10:11], v[10:11], v[14:15], v[10:11]
	v_mul_f64 v[14:15], v[16:17], v[10:11]
	v_fma_f64 v[3:4], -v[3:4], v[14:15], v[16:17]
	v_div_fmas_f64 v[3:4], v[3:4], v[10:11], v[14:15]
	v_div_fixup_f64 v[10:11], v[3:4], v[1:2], 1.0
	v_mul_f64 v[12:13], v[12:13], -v[10:11]
.LBB125_165:
	s_or_b64 exec, exec, s[6:7]
	ds_write2_b64 v125, v[10:11], v[12:13] offset1:1
.LBB125_166:
	s_or_b64 exec, exec, s[8:9]
	buffer_store_dword v23, off, s[0:3], 0 offset:1960 ; 4-byte Folded Spill
	s_nop 0
	buffer_store_dword v24, off, s[0:3], 0 offset:1964 ; 4-byte Folded Spill
	buffer_store_dword v25, off, s[0:3], 0 offset:1968 ; 4-byte Folded Spill
	;; [unrolled: 1-line block ×3, first 2 shown]
	s_waitcnt vmcnt(0) lgkmcnt(0)
	s_barrier
	ds_read2_b64 v[1:4], v125 offset1:1
	v_cmp_lt_u32_e32 vcc, 12, v0
	s_waitcnt lgkmcnt(0)
	buffer_store_dword v1, off, s[0:3], 0 offset:1640 ; 4-byte Folded Spill
	s_nop 0
	buffer_store_dword v2, off, s[0:3], 0 offset:1644 ; 4-byte Folded Spill
	buffer_store_dword v3, off, s[0:3], 0 offset:1648 ; 4-byte Folded Spill
	;; [unrolled: 1-line block ×3, first 2 shown]
	s_and_saveexec_b64 s[6:7], vcc
	s_cbranch_execz .LBB125_169
; %bb.167:
	buffer_load_dword v1, off, s[0:3], 0 offset:200
	buffer_load_dword v2, off, s[0:3], 0 offset:204
	;; [unrolled: 1-line block ×4, first 2 shown]
	buffer_load_dword v12, off, s[0:3], 0 offset:1640 ; 4-byte Folded Reload
	buffer_load_dword v13, off, s[0:3], 0 offset:1644 ; 4-byte Folded Reload
	;; [unrolled: 1-line block ×4, first 2 shown]
	s_movk_i32 s8, 0xd0
	s_waitcnt vmcnt(0)
	v_mul_f64 v[10:11], v[14:15], v[1:2]
	v_mul_f64 v[1:2], v[12:13], v[1:2]
	v_fma_f64 v[10:11], v[12:13], v[3:4], -v[10:11]
	v_fma_f64 v[1:2], v[14:15], v[3:4], v[1:2]
	buffer_store_dword v10, off, s[0:3], 0 offset:192
	buffer_store_dword v11, off, s[0:3], 0 offset:196
	;; [unrolled: 1-line block ×4, first 2 shown]
.LBB125_168:                            ; =>This Inner Loop Header: Depth=1
	buffer_load_dword v3, off, s[0:3], 0 offset:200
	buffer_load_dword v4, off, s[0:3], 0 offset:204
	;; [unrolled: 1-line block ×4, first 2 shown]
	v_mov_b32_e32 v1, s8
	buffer_load_dword v16, v1, s[0:3], 0 offen
	buffer_load_dword v17, v1, s[0:3], 0 offen offset:4
	buffer_load_dword v18, v1, s[0:3], 0 offen offset:8
	;; [unrolled: 1-line block ×3, first 2 shown]
	v_add_u32_e32 v2, s8, v6
	ds_read2_b64 v[10:13], v2 offset1:1
	buffer_load_dword v20, v1, s[0:3], 0 offen offset:16
	buffer_load_dword v21, v1, s[0:3], 0 offen offset:20
	;; [unrolled: 1-line block ×3, first 2 shown]
	s_addk_i32 s8, 0x50
	s_cmpk_lg_i32 s8, 0x3f0
	s_waitcnt vmcnt(9) lgkmcnt(0)
	v_mul_f64 v[23:24], v[12:13], v[3:4]
	v_mul_f64 v[3:4], v[10:11], v[3:4]
	s_waitcnt vmcnt(7)
	v_fma_f64 v[10:11], v[10:11], v[14:15], -v[23:24]
	v_fma_f64 v[3:4], v[12:13], v[14:15], v[3:4]
	s_waitcnt vmcnt(5)
	v_add_f64 v[10:11], v[16:17], -v[10:11]
	s_waitcnt vmcnt(3)
	v_add_f64 v[3:4], v[18:19], -v[3:4]
	buffer_store_dword v11, v1, s[0:3], 0 offen offset:4
	buffer_store_dword v10, v1, s[0:3], 0 offen
	buffer_store_dword v4, v1, s[0:3], 0 offen offset:12
	buffer_store_dword v3, v1, s[0:3], 0 offen offset:8
	buffer_load_dword v4, off, s[0:3], 0 offset:204
	s_nop 0
	buffer_load_dword v3, off, s[0:3], 0 offset:200
	buffer_load_dword v15, off, s[0:3], 0 offset:196
	;; [unrolled: 1-line block ×3, first 2 shown]
	buffer_load_dword v23, v1, s[0:3], 0 offen offset:28
	ds_read2_b64 v[10:13], v2 offset0:2 offset1:3
	buffer_load_dword v16, v1, s[0:3], 0 offen offset:32
	buffer_load_dword v17, v1, s[0:3], 0 offen offset:36
	;; [unrolled: 1-line block ×3, first 2 shown]
	s_waitcnt vmcnt(6) lgkmcnt(0)
	v_mul_f64 v[24:25], v[12:13], v[3:4]
	v_mul_f64 v[3:4], v[10:11], v[3:4]
	s_waitcnt vmcnt(4)
	v_fma_f64 v[10:11], v[10:11], v[14:15], -v[24:25]
	v_fma_f64 v[3:4], v[12:13], v[14:15], v[3:4]
	v_add_f64 v[10:11], v[20:21], -v[10:11]
	s_waitcnt vmcnt(3)
	v_add_f64 v[3:4], v[22:23], -v[3:4]
	buffer_store_dword v11, v1, s[0:3], 0 offen offset:20
	buffer_store_dword v10, v1, s[0:3], 0 offen offset:16
	;; [unrolled: 1-line block ×4, first 2 shown]
	buffer_load_dword v3, off, s[0:3], 0 offset:200
	s_nop 0
	buffer_load_dword v4, off, s[0:3], 0 offset:204
	buffer_load_dword v14, off, s[0:3], 0 offset:192
	;; [unrolled: 1-line block ×3, first 2 shown]
	buffer_load_dword v19, v1, s[0:3], 0 offen offset:44
	ds_read2_b64 v[10:13], v2 offset0:4 offset1:5
	buffer_load_dword v20, v1, s[0:3], 0 offen offset:48
	s_waitcnt vmcnt(4) lgkmcnt(0)
	v_mul_f64 v[21:22], v[12:13], v[3:4]
	v_mul_f64 v[3:4], v[10:11], v[3:4]
	s_waitcnt vmcnt(2)
	v_fma_f64 v[10:11], v[10:11], v[14:15], -v[21:22]
	v_fma_f64 v[3:4], v[12:13], v[14:15], v[3:4]
	v_add_f64 v[10:11], v[16:17], -v[10:11]
	s_waitcnt vmcnt(1)
	v_add_f64 v[3:4], v[18:19], -v[3:4]
	buffer_store_dword v11, v1, s[0:3], 0 offen offset:36
	buffer_store_dword v10, v1, s[0:3], 0 offen offset:32
	;; [unrolled: 1-line block ×4, first 2 shown]
	buffer_load_dword v3, off, s[0:3], 0 offset:200
	s_nop 0
	buffer_load_dword v4, off, s[0:3], 0 offset:204
	buffer_load_dword v14, off, s[0:3], 0 offset:192
	;; [unrolled: 1-line block ×3, first 2 shown]
	buffer_load_dword v21, v1, s[0:3], 0 offen offset:52
	buffer_load_dword v16, v1, s[0:3], 0 offen offset:56
	;; [unrolled: 1-line block ×3, first 2 shown]
	ds_read2_b64 v[10:13], v2 offset0:6 offset1:7
	s_waitcnt vmcnt(5) lgkmcnt(0)
	v_mul_f64 v[18:19], v[12:13], v[3:4]
	v_mul_f64 v[3:4], v[10:11], v[3:4]
	s_waitcnt vmcnt(3)
	v_fma_f64 v[10:11], v[10:11], v[14:15], -v[18:19]
	v_fma_f64 v[3:4], v[12:13], v[14:15], v[3:4]
	s_waitcnt vmcnt(2)
	v_add_f64 v[10:11], v[20:21], -v[10:11]
	s_waitcnt vmcnt(0)
	v_add_f64 v[3:4], v[16:17], -v[3:4]
	buffer_store_dword v11, v1, s[0:3], 0 offen offset:52
	buffer_store_dword v10, v1, s[0:3], 0 offen offset:48
	;; [unrolled: 1-line block ×4, first 2 shown]
	buffer_load_dword v3, off, s[0:3], 0 offset:200
	s_nop 0
	buffer_load_dword v4, off, s[0:3], 0 offset:204
	buffer_load_dword v14, off, s[0:3], 0 offset:192
	;; [unrolled: 1-line block ×3, first 2 shown]
	buffer_load_dword v16, v1, s[0:3], 0 offen offset:64
	buffer_load_dword v17, v1, s[0:3], 0 offen offset:68
	;; [unrolled: 1-line block ×4, first 2 shown]
	ds_read2_b64 v[10:13], v2 offset0:8 offset1:9
	s_waitcnt vmcnt(6) lgkmcnt(0)
	v_mul_f64 v[20:21], v[12:13], v[3:4]
	v_mul_f64 v[2:3], v[10:11], v[3:4]
	s_waitcnt vmcnt(4)
	v_fma_f64 v[10:11], v[10:11], v[14:15], -v[20:21]
	v_fma_f64 v[2:3], v[12:13], v[14:15], v[2:3]
	s_waitcnt vmcnt(2)
	v_add_f64 v[10:11], v[16:17], -v[10:11]
	s_waitcnt vmcnt(0)
	v_add_f64 v[2:3], v[18:19], -v[2:3]
	buffer_store_dword v11, v1, s[0:3], 0 offen offset:68
	buffer_store_dword v10, v1, s[0:3], 0 offen offset:64
	;; [unrolled: 1-line block ×4, first 2 shown]
	s_cbranch_scc1 .LBB125_168
.LBB125_169:
	s_or_b64 exec, exec, s[6:7]
	v_cmp_eq_u32_e32 vcc, 13, v0
	s_waitcnt vmcnt(0)
	s_barrier
	s_and_saveexec_b64 s[8:9], vcc
	s_cbranch_execz .LBB125_178
; %bb.170:
	v_mov_b32_e32 v4, s94
	buffer_load_dword v1, v4, s[0:3], 0 offen
	buffer_load_dword v2, v4, s[0:3], 0 offen offset:4
	buffer_load_dword v3, v4, s[0:3], 0 offen offset:8
	s_nop 0
	buffer_load_dword v4, v4, s[0:3], 0 offen offset:12
	s_movk_i32 s6, 0xe0
	s_waitcnt vmcnt(0)
	ds_write2_b64 v125, v[1:2], v[3:4] offset1:1
.LBB125_171:                            ; =>This Inner Loop Header: Depth=1
	v_mov_b32_e32 v7, s6
	buffer_load_dword v1, v7, s[0:3], 0 offen
	buffer_load_dword v2, v7, s[0:3], 0 offen offset:4
	buffer_load_dword v3, v7, s[0:3], 0 offen offset:8
	;; [unrolled: 1-line block ×15, first 2 shown]
	v_add_u32_e32 v22, s6, v6
	s_addk_i32 s6, 0x70
	s_cmpk_lg_i32 s6, 0x3f0
	s_waitcnt vmcnt(12)
	ds_write2_b64 v22, v[1:2], v[3:4] offset1:1
	s_waitcnt vmcnt(8)
	ds_write2_b64 v22, v[10:11], v[12:13] offset0:2 offset1:3
	s_waitcnt vmcnt(4)
	ds_write2_b64 v22, v[14:15], v[16:17] offset0:4 offset1:5
	;; [unrolled: 2-line block ×3, first 2 shown]
	buffer_load_dword v2, v7, s[0:3], 0 offen offset:76
	buffer_load_dword v1, v7, s[0:3], 0 offen offset:72
	buffer_load_dword v4, v7, s[0:3], 0 offen offset:68
	buffer_load_dword v3, v7, s[0:3], 0 offen offset:64
	s_waitcnt vmcnt(0)
	ds_write2_b64 v22, v[3:4], v[1:2] offset0:8 offset1:9
	buffer_load_dword v2, v7, s[0:3], 0 offen offset:92
	buffer_load_dword v1, v7, s[0:3], 0 offen offset:88
	buffer_load_dword v4, v7, s[0:3], 0 offen offset:84
	buffer_load_dword v3, v7, s[0:3], 0 offen offset:80
	s_waitcnt vmcnt(0)
	ds_write2_b64 v22, v[3:4], v[1:2] offset0:10 offset1:11
	;; [unrolled: 6-line block ×3, first 2 shown]
	s_cbranch_scc1 .LBB125_171
; %bb.172:
	ds_read2_b64 v[1:4], v125 offset1:1
	s_waitcnt lgkmcnt(0)
	v_cmp_neq_f64_e32 vcc, 0, v[1:2]
	v_cmp_neq_f64_e64 s[6:7], 0, v[3:4]
	s_or_b64 s[6:7], vcc, s[6:7]
	s_and_b64 exec, exec, s[6:7]
	s_cbranch_execz .LBB125_178
; %bb.173:
	v_cmp_ngt_f64_e64 s[6:7], |v[1:2]|, |v[3:4]|
                                        ; implicit-def: $vgpr10_vgpr11
	s_and_saveexec_b64 s[10:11], s[6:7]
	s_xor_b64 s[6:7], exec, s[10:11]
                                        ; implicit-def: $vgpr12_vgpr13
	s_cbranch_execz .LBB125_175
; %bb.174:
	v_div_scale_f64 v[10:11], s[10:11], v[3:4], v[3:4], v[1:2]
	v_rcp_f64_e32 v[12:13], v[10:11]
	v_fma_f64 v[14:15], -v[10:11], v[12:13], 1.0
	v_fma_f64 v[12:13], v[12:13], v[14:15], v[12:13]
	v_div_scale_f64 v[14:15], vcc, v[1:2], v[3:4], v[1:2]
	v_fma_f64 v[16:17], -v[10:11], v[12:13], 1.0
	v_fma_f64 v[12:13], v[12:13], v[16:17], v[12:13]
	v_mul_f64 v[16:17], v[14:15], v[12:13]
	v_fma_f64 v[10:11], -v[10:11], v[16:17], v[14:15]
	v_div_fmas_f64 v[10:11], v[10:11], v[12:13], v[16:17]
	v_div_fixup_f64 v[10:11], v[10:11], v[3:4], v[1:2]
	v_fma_f64 v[1:2], v[1:2], v[10:11], v[3:4]
	v_div_scale_f64 v[3:4], s[10:11], v[1:2], v[1:2], 1.0
	v_div_scale_f64 v[16:17], vcc, 1.0, v[1:2], 1.0
	v_rcp_f64_e32 v[12:13], v[3:4]
	v_fma_f64 v[14:15], -v[3:4], v[12:13], 1.0
	v_fma_f64 v[12:13], v[12:13], v[14:15], v[12:13]
	v_fma_f64 v[14:15], -v[3:4], v[12:13], 1.0
	v_fma_f64 v[12:13], v[12:13], v[14:15], v[12:13]
	v_mul_f64 v[14:15], v[16:17], v[12:13]
	v_fma_f64 v[3:4], -v[3:4], v[14:15], v[16:17]
	v_div_fmas_f64 v[3:4], v[3:4], v[12:13], v[14:15]
	v_div_fixup_f64 v[12:13], v[3:4], v[1:2], 1.0
                                        ; implicit-def: $vgpr1_vgpr2
	v_mul_f64 v[10:11], v[10:11], v[12:13]
	v_xor_b32_e32 v13, 0x80000000, v13
.LBB125_175:
	s_andn2_saveexec_b64 s[6:7], s[6:7]
	s_cbranch_execz .LBB125_177
; %bb.176:
	v_div_scale_f64 v[10:11], s[10:11], v[1:2], v[1:2], v[3:4]
	v_rcp_f64_e32 v[12:13], v[10:11]
	v_fma_f64 v[14:15], -v[10:11], v[12:13], 1.0
	v_fma_f64 v[12:13], v[12:13], v[14:15], v[12:13]
	v_div_scale_f64 v[14:15], vcc, v[3:4], v[1:2], v[3:4]
	v_fma_f64 v[16:17], -v[10:11], v[12:13], 1.0
	v_fma_f64 v[12:13], v[12:13], v[16:17], v[12:13]
	v_mul_f64 v[16:17], v[14:15], v[12:13]
	v_fma_f64 v[10:11], -v[10:11], v[16:17], v[14:15]
	v_div_fmas_f64 v[10:11], v[10:11], v[12:13], v[16:17]
	v_div_fixup_f64 v[12:13], v[10:11], v[1:2], v[3:4]
	v_fma_f64 v[1:2], v[3:4], v[12:13], v[1:2]
	v_div_scale_f64 v[3:4], s[10:11], v[1:2], v[1:2], 1.0
	v_div_scale_f64 v[16:17], vcc, 1.0, v[1:2], 1.0
	v_rcp_f64_e32 v[10:11], v[3:4]
	v_fma_f64 v[14:15], -v[3:4], v[10:11], 1.0
	v_fma_f64 v[10:11], v[10:11], v[14:15], v[10:11]
	v_fma_f64 v[14:15], -v[3:4], v[10:11], 1.0
	v_fma_f64 v[10:11], v[10:11], v[14:15], v[10:11]
	v_mul_f64 v[14:15], v[16:17], v[10:11]
	v_fma_f64 v[3:4], -v[3:4], v[14:15], v[16:17]
	v_div_fmas_f64 v[3:4], v[3:4], v[10:11], v[14:15]
	v_div_fixup_f64 v[10:11], v[3:4], v[1:2], 1.0
	v_mul_f64 v[12:13], v[12:13], -v[10:11]
.LBB125_177:
	s_or_b64 exec, exec, s[6:7]
	ds_write2_b64 v125, v[10:11], v[12:13] offset1:1
.LBB125_178:
	s_or_b64 exec, exec, s[8:9]
	s_waitcnt lgkmcnt(0)
	s_barrier
	ds_read2_b64 v[1:4], v125 offset1:1
	v_cmp_lt_u32_e32 vcc, 13, v0
	s_waitcnt lgkmcnt(0)
	buffer_store_dword v1, off, s[0:3], 0 offset:1656 ; 4-byte Folded Spill
	s_nop 0
	buffer_store_dword v2, off, s[0:3], 0 offset:1660 ; 4-byte Folded Spill
	buffer_store_dword v3, off, s[0:3], 0 offset:1664 ; 4-byte Folded Spill
	;; [unrolled: 1-line block ×3, first 2 shown]
	s_and_saveexec_b64 s[6:7], vcc
	s_cbranch_execz .LBB125_181
; %bb.179:
	buffer_load_dword v1, off, s[0:3], 0 offset:216
	buffer_load_dword v2, off, s[0:3], 0 offset:220
	;; [unrolled: 1-line block ×4, first 2 shown]
	buffer_load_dword v12, off, s[0:3], 0 offset:1656 ; 4-byte Folded Reload
	buffer_load_dword v13, off, s[0:3], 0 offset:1660 ; 4-byte Folded Reload
	;; [unrolled: 1-line block ×4, first 2 shown]
	s_movk_i32 s8, 0xe0
	s_waitcnt vmcnt(0)
	v_mul_f64 v[10:11], v[14:15], v[1:2]
	v_mul_f64 v[1:2], v[12:13], v[1:2]
	v_fma_f64 v[10:11], v[12:13], v[3:4], -v[10:11]
	v_fma_f64 v[1:2], v[14:15], v[3:4], v[1:2]
	buffer_store_dword v10, off, s[0:3], 0 offset:208
	buffer_store_dword v11, off, s[0:3], 0 offset:212
	;; [unrolled: 1-line block ×4, first 2 shown]
.LBB125_180:                            ; =>This Inner Loop Header: Depth=1
	buffer_load_dword v3, off, s[0:3], 0 offset:216
	buffer_load_dword v4, off, s[0:3], 0 offset:220
	;; [unrolled: 1-line block ×4, first 2 shown]
	v_mov_b32_e32 v1, s8
	buffer_load_dword v16, v1, s[0:3], 0 offen
	buffer_load_dword v17, v1, s[0:3], 0 offen offset:4
	buffer_load_dword v18, v1, s[0:3], 0 offen offset:8
	;; [unrolled: 1-line block ×3, first 2 shown]
	v_add_u32_e32 v2, s8, v6
	ds_read2_b64 v[10:13], v2 offset1:1
	buffer_load_dword v20, v1, s[0:3], 0 offen offset:16
	buffer_load_dword v21, v1, s[0:3], 0 offen offset:20
	buffer_load_dword v22, v1, s[0:3], 0 offen offset:24
	s_addk_i32 s8, 0x70
	s_cmpk_lg_i32 s8, 0x3f0
	s_waitcnt vmcnt(9) lgkmcnt(0)
	v_mul_f64 v[23:24], v[12:13], v[3:4]
	v_mul_f64 v[3:4], v[10:11], v[3:4]
	s_waitcnt vmcnt(7)
	v_fma_f64 v[10:11], v[10:11], v[14:15], -v[23:24]
	v_fma_f64 v[3:4], v[12:13], v[14:15], v[3:4]
	s_waitcnt vmcnt(5)
	v_add_f64 v[10:11], v[16:17], -v[10:11]
	s_waitcnt vmcnt(3)
	v_add_f64 v[3:4], v[18:19], -v[3:4]
	buffer_store_dword v11, v1, s[0:3], 0 offen offset:4
	buffer_store_dword v10, v1, s[0:3], 0 offen
	buffer_store_dword v4, v1, s[0:3], 0 offen offset:12
	buffer_store_dword v3, v1, s[0:3], 0 offen offset:8
	buffer_load_dword v4, off, s[0:3], 0 offset:220
	s_nop 0
	buffer_load_dword v3, off, s[0:3], 0 offset:216
	buffer_load_dword v15, off, s[0:3], 0 offset:212
	buffer_load_dword v14, off, s[0:3], 0 offset:208
	buffer_load_dword v23, v1, s[0:3], 0 offen offset:28
	ds_read2_b64 v[10:13], v2 offset0:2 offset1:3
	buffer_load_dword v16, v1, s[0:3], 0 offen offset:32
	buffer_load_dword v17, v1, s[0:3], 0 offen offset:36
	buffer_load_dword v18, v1, s[0:3], 0 offen offset:40
	s_waitcnt vmcnt(6) lgkmcnt(0)
	v_mul_f64 v[24:25], v[12:13], v[3:4]
	v_mul_f64 v[3:4], v[10:11], v[3:4]
	s_waitcnt vmcnt(4)
	v_fma_f64 v[10:11], v[10:11], v[14:15], -v[24:25]
	v_fma_f64 v[3:4], v[12:13], v[14:15], v[3:4]
	v_add_f64 v[10:11], v[20:21], -v[10:11]
	s_waitcnt vmcnt(3)
	v_add_f64 v[3:4], v[22:23], -v[3:4]
	buffer_store_dword v11, v1, s[0:3], 0 offen offset:20
	buffer_store_dword v10, v1, s[0:3], 0 offen offset:16
	buffer_store_dword v4, v1, s[0:3], 0 offen offset:28
	buffer_store_dword v3, v1, s[0:3], 0 offen offset:24
	buffer_load_dword v3, off, s[0:3], 0 offset:216
	s_nop 0
	buffer_load_dword v4, off, s[0:3], 0 offset:220
	buffer_load_dword v14, off, s[0:3], 0 offset:208
	buffer_load_dword v15, off, s[0:3], 0 offset:212
	buffer_load_dword v19, v1, s[0:3], 0 offen offset:44
	ds_read2_b64 v[10:13], v2 offset0:4 offset1:5
	buffer_load_dword v20, v1, s[0:3], 0 offen offset:48
	buffer_load_dword v21, v1, s[0:3], 0 offen offset:52
	buffer_load_dword v22, v1, s[0:3], 0 offen offset:56
	s_waitcnt vmcnt(6) lgkmcnt(0)
	v_mul_f64 v[23:24], v[12:13], v[3:4]
	v_mul_f64 v[3:4], v[10:11], v[3:4]
	s_waitcnt vmcnt(4)
	v_fma_f64 v[10:11], v[10:11], v[14:15], -v[23:24]
	v_fma_f64 v[3:4], v[12:13], v[14:15], v[3:4]
	v_add_f64 v[10:11], v[16:17], -v[10:11]
	s_waitcnt vmcnt(3)
	v_add_f64 v[3:4], v[18:19], -v[3:4]
	buffer_store_dword v11, v1, s[0:3], 0 offen offset:36
	buffer_store_dword v10, v1, s[0:3], 0 offen offset:32
	buffer_store_dword v4, v1, s[0:3], 0 offen offset:44
	buffer_store_dword v3, v1, s[0:3], 0 offen offset:40
	buffer_load_dword v3, off, s[0:3], 0 offset:216
	s_nop 0
	buffer_load_dword v4, off, s[0:3], 0 offset:220
	buffer_load_dword v14, off, s[0:3], 0 offset:208
	buffer_load_dword v15, off, s[0:3], 0 offset:212
	buffer_load_dword v23, v1, s[0:3], 0 offen offset:60
	ds_read2_b64 v[10:13], v2 offset0:6 offset1:7
	buffer_load_dword v16, v1, s[0:3], 0 offen offset:64
	buffer_load_dword v17, v1, s[0:3], 0 offen offset:68
	buffer_load_dword v18, v1, s[0:3], 0 offen offset:72
	s_waitcnt vmcnt(6) lgkmcnt(0)
	v_mul_f64 v[24:25], v[12:13], v[3:4]
	v_mul_f64 v[3:4], v[10:11], v[3:4]
	s_waitcnt vmcnt(4)
	v_fma_f64 v[10:11], v[10:11], v[14:15], -v[24:25]
	v_fma_f64 v[3:4], v[12:13], v[14:15], v[3:4]
	v_add_f64 v[10:11], v[20:21], -v[10:11]
	s_waitcnt vmcnt(3)
	v_add_f64 v[3:4], v[22:23], -v[3:4]
	buffer_store_dword v11, v1, s[0:3], 0 offen offset:52
	buffer_store_dword v10, v1, s[0:3], 0 offen offset:48
	buffer_store_dword v4, v1, s[0:3], 0 offen offset:60
	buffer_store_dword v3, v1, s[0:3], 0 offen offset:56
	buffer_load_dword v3, off, s[0:3], 0 offset:216
	s_nop 0
	buffer_load_dword v4, off, s[0:3], 0 offset:220
	buffer_load_dword v14, off, s[0:3], 0 offset:208
	;; [unrolled: 1-line block ×3, first 2 shown]
	buffer_load_dword v19, v1, s[0:3], 0 offen offset:76
	ds_read2_b64 v[10:13], v2 offset0:8 offset1:9
	buffer_load_dword v20, v1, s[0:3], 0 offen offset:80
	s_waitcnt vmcnt(4) lgkmcnt(0)
	v_mul_f64 v[21:22], v[12:13], v[3:4]
	v_mul_f64 v[3:4], v[10:11], v[3:4]
	s_waitcnt vmcnt(2)
	v_fma_f64 v[10:11], v[10:11], v[14:15], -v[21:22]
	v_fma_f64 v[3:4], v[12:13], v[14:15], v[3:4]
	v_add_f64 v[10:11], v[16:17], -v[10:11]
	s_waitcnt vmcnt(1)
	v_add_f64 v[3:4], v[18:19], -v[3:4]
	buffer_store_dword v11, v1, s[0:3], 0 offen offset:68
	buffer_store_dword v10, v1, s[0:3], 0 offen offset:64
	buffer_store_dword v4, v1, s[0:3], 0 offen offset:76
	buffer_store_dword v3, v1, s[0:3], 0 offen offset:72
	buffer_load_dword v3, off, s[0:3], 0 offset:216
	s_nop 0
	buffer_load_dword v4, off, s[0:3], 0 offset:220
	buffer_load_dword v14, off, s[0:3], 0 offset:208
	;; [unrolled: 1-line block ×3, first 2 shown]
	buffer_load_dword v21, v1, s[0:3], 0 offen offset:84
	buffer_load_dword v16, v1, s[0:3], 0 offen offset:88
	;; [unrolled: 1-line block ×3, first 2 shown]
	ds_read2_b64 v[10:13], v2 offset0:10 offset1:11
	s_waitcnt vmcnt(5) lgkmcnt(0)
	v_mul_f64 v[18:19], v[12:13], v[3:4]
	v_mul_f64 v[3:4], v[10:11], v[3:4]
	s_waitcnt vmcnt(3)
	v_fma_f64 v[10:11], v[10:11], v[14:15], -v[18:19]
	v_fma_f64 v[3:4], v[12:13], v[14:15], v[3:4]
	s_waitcnt vmcnt(2)
	v_add_f64 v[10:11], v[20:21], -v[10:11]
	s_waitcnt vmcnt(0)
	v_add_f64 v[3:4], v[16:17], -v[3:4]
	buffer_store_dword v11, v1, s[0:3], 0 offen offset:84
	buffer_store_dword v10, v1, s[0:3], 0 offen offset:80
	;; [unrolled: 1-line block ×4, first 2 shown]
	buffer_load_dword v3, off, s[0:3], 0 offset:216
	s_nop 0
	buffer_load_dword v4, off, s[0:3], 0 offset:220
	buffer_load_dword v14, off, s[0:3], 0 offset:208
	;; [unrolled: 1-line block ×3, first 2 shown]
	buffer_load_dword v16, v1, s[0:3], 0 offen offset:96
	buffer_load_dword v17, v1, s[0:3], 0 offen offset:100
	;; [unrolled: 1-line block ×4, first 2 shown]
	ds_read2_b64 v[10:13], v2 offset0:12 offset1:13
	s_waitcnt vmcnt(6) lgkmcnt(0)
	v_mul_f64 v[20:21], v[12:13], v[3:4]
	v_mul_f64 v[2:3], v[10:11], v[3:4]
	s_waitcnt vmcnt(4)
	v_fma_f64 v[10:11], v[10:11], v[14:15], -v[20:21]
	v_fma_f64 v[2:3], v[12:13], v[14:15], v[2:3]
	s_waitcnt vmcnt(2)
	v_add_f64 v[10:11], v[16:17], -v[10:11]
	s_waitcnt vmcnt(0)
	v_add_f64 v[2:3], v[18:19], -v[2:3]
	buffer_store_dword v11, v1, s[0:3], 0 offen offset:100
	buffer_store_dword v10, v1, s[0:3], 0 offen offset:96
	;; [unrolled: 1-line block ×4, first 2 shown]
	s_cbranch_scc1 .LBB125_180
.LBB125_181:
	s_or_b64 exec, exec, s[6:7]
	v_cmp_eq_u32_e32 vcc, 14, v0
	s_waitcnt vmcnt(0)
	s_barrier
	s_and_saveexec_b64 s[8:9], vcc
	s_cbranch_execz .LBB125_190
; %bb.182:
	v_mov_b32_e32 v4, s93
	buffer_load_dword v1, v4, s[0:3], 0 offen
	buffer_load_dword v2, v4, s[0:3], 0 offen offset:4
	buffer_load_dword v3, v4, s[0:3], 0 offen offset:8
	s_nop 0
	buffer_load_dword v4, v4, s[0:3], 0 offen offset:12
	s_movk_i32 s6, 0xf0
	s_waitcnt vmcnt(0)
	ds_write2_b64 v125, v[1:2], v[3:4] offset1:1
.LBB125_183:                            ; =>This Inner Loop Header: Depth=1
	v_mov_b32_e32 v7, s6
	buffer_load_dword v1, v7, s[0:3], 0 offen
	buffer_load_dword v2, v7, s[0:3], 0 offen offset:4
	buffer_load_dword v3, v7, s[0:3], 0 offen offset:8
	buffer_load_dword v4, v7, s[0:3], 0 offen offset:12
	buffer_load_dword v10, v7, s[0:3], 0 offen offset:16
	buffer_load_dword v11, v7, s[0:3], 0 offen offset:20
	buffer_load_dword v12, v7, s[0:3], 0 offen offset:24
	buffer_load_dword v13, v7, s[0:3], 0 offen offset:28
	buffer_load_dword v14, v7, s[0:3], 0 offen offset:32
	buffer_load_dword v15, v7, s[0:3], 0 offen offset:36
	buffer_load_dword v16, v7, s[0:3], 0 offen offset:40
	buffer_load_dword v17, v7, s[0:3], 0 offen offset:44
	buffer_load_dword v18, v7, s[0:3], 0 offen offset:48
	buffer_load_dword v19, v7, s[0:3], 0 offen offset:52
	buffer_load_dword v20, v7, s[0:3], 0 offen offset:56
	buffer_load_dword v21, v7, s[0:3], 0 offen offset:60
	v_add_u32_e32 v22, s6, v6
	s_addk_i32 s6, 0x100
	s_cmpk_lg_i32 s6, 0x3f0
	s_waitcnt vmcnt(12)
	ds_write2_b64 v22, v[1:2], v[3:4] offset1:1
	s_waitcnt vmcnt(8)
	ds_write2_b64 v22, v[10:11], v[12:13] offset0:2 offset1:3
	s_waitcnt vmcnt(4)
	ds_write2_b64 v22, v[14:15], v[16:17] offset0:4 offset1:5
	;; [unrolled: 2-line block ×3, first 2 shown]
	buffer_load_dword v2, v7, s[0:3], 0 offen offset:76
	buffer_load_dword v1, v7, s[0:3], 0 offen offset:72
	buffer_load_dword v4, v7, s[0:3], 0 offen offset:68
	buffer_load_dword v3, v7, s[0:3], 0 offen offset:64
	s_waitcnt vmcnt(0)
	ds_write2_b64 v22, v[3:4], v[1:2] offset0:8 offset1:9
	buffer_load_dword v2, v7, s[0:3], 0 offen offset:92
	buffer_load_dword v1, v7, s[0:3], 0 offen offset:88
	buffer_load_dword v4, v7, s[0:3], 0 offen offset:84
	buffer_load_dword v3, v7, s[0:3], 0 offen offset:80
	s_waitcnt vmcnt(0)
	ds_write2_b64 v22, v[3:4], v[1:2] offset0:10 offset1:11
	;; [unrolled: 6-line block ×12, first 2 shown]
	s_cbranch_scc1 .LBB125_183
; %bb.184:
	ds_read2_b64 v[1:4], v125 offset1:1
	s_waitcnt lgkmcnt(0)
	v_cmp_neq_f64_e32 vcc, 0, v[1:2]
	v_cmp_neq_f64_e64 s[6:7], 0, v[3:4]
	s_or_b64 s[6:7], vcc, s[6:7]
	s_and_b64 exec, exec, s[6:7]
	s_cbranch_execz .LBB125_190
; %bb.185:
	v_cmp_ngt_f64_e64 s[6:7], |v[1:2]|, |v[3:4]|
                                        ; implicit-def: $vgpr10_vgpr11
	s_and_saveexec_b64 s[10:11], s[6:7]
	s_xor_b64 s[6:7], exec, s[10:11]
                                        ; implicit-def: $vgpr12_vgpr13
	s_cbranch_execz .LBB125_187
; %bb.186:
	v_div_scale_f64 v[10:11], s[10:11], v[3:4], v[3:4], v[1:2]
	v_rcp_f64_e32 v[12:13], v[10:11]
	v_fma_f64 v[14:15], -v[10:11], v[12:13], 1.0
	v_fma_f64 v[12:13], v[12:13], v[14:15], v[12:13]
	v_div_scale_f64 v[14:15], vcc, v[1:2], v[3:4], v[1:2]
	v_fma_f64 v[16:17], -v[10:11], v[12:13], 1.0
	v_fma_f64 v[12:13], v[12:13], v[16:17], v[12:13]
	v_mul_f64 v[16:17], v[14:15], v[12:13]
	v_fma_f64 v[10:11], -v[10:11], v[16:17], v[14:15]
	v_div_fmas_f64 v[10:11], v[10:11], v[12:13], v[16:17]
	v_div_fixup_f64 v[10:11], v[10:11], v[3:4], v[1:2]
	v_fma_f64 v[1:2], v[1:2], v[10:11], v[3:4]
	v_div_scale_f64 v[3:4], s[10:11], v[1:2], v[1:2], 1.0
	v_div_scale_f64 v[16:17], vcc, 1.0, v[1:2], 1.0
	v_rcp_f64_e32 v[12:13], v[3:4]
	v_fma_f64 v[14:15], -v[3:4], v[12:13], 1.0
	v_fma_f64 v[12:13], v[12:13], v[14:15], v[12:13]
	v_fma_f64 v[14:15], -v[3:4], v[12:13], 1.0
	v_fma_f64 v[12:13], v[12:13], v[14:15], v[12:13]
	v_mul_f64 v[14:15], v[16:17], v[12:13]
	v_fma_f64 v[3:4], -v[3:4], v[14:15], v[16:17]
	v_div_fmas_f64 v[3:4], v[3:4], v[12:13], v[14:15]
	v_div_fixup_f64 v[12:13], v[3:4], v[1:2], 1.0
                                        ; implicit-def: $vgpr1_vgpr2
	v_mul_f64 v[10:11], v[10:11], v[12:13]
	v_xor_b32_e32 v13, 0x80000000, v13
.LBB125_187:
	s_andn2_saveexec_b64 s[6:7], s[6:7]
	s_cbranch_execz .LBB125_189
; %bb.188:
	v_div_scale_f64 v[10:11], s[10:11], v[1:2], v[1:2], v[3:4]
	v_rcp_f64_e32 v[12:13], v[10:11]
	v_fma_f64 v[14:15], -v[10:11], v[12:13], 1.0
	v_fma_f64 v[12:13], v[12:13], v[14:15], v[12:13]
	v_div_scale_f64 v[14:15], vcc, v[3:4], v[1:2], v[3:4]
	v_fma_f64 v[16:17], -v[10:11], v[12:13], 1.0
	v_fma_f64 v[12:13], v[12:13], v[16:17], v[12:13]
	v_mul_f64 v[16:17], v[14:15], v[12:13]
	v_fma_f64 v[10:11], -v[10:11], v[16:17], v[14:15]
	v_div_fmas_f64 v[10:11], v[10:11], v[12:13], v[16:17]
	v_div_fixup_f64 v[12:13], v[10:11], v[1:2], v[3:4]
	v_fma_f64 v[1:2], v[3:4], v[12:13], v[1:2]
	v_div_scale_f64 v[3:4], s[10:11], v[1:2], v[1:2], 1.0
	v_div_scale_f64 v[16:17], vcc, 1.0, v[1:2], 1.0
	v_rcp_f64_e32 v[10:11], v[3:4]
	v_fma_f64 v[14:15], -v[3:4], v[10:11], 1.0
	v_fma_f64 v[10:11], v[10:11], v[14:15], v[10:11]
	v_fma_f64 v[14:15], -v[3:4], v[10:11], 1.0
	v_fma_f64 v[10:11], v[10:11], v[14:15], v[10:11]
	v_mul_f64 v[14:15], v[16:17], v[10:11]
	v_fma_f64 v[3:4], -v[3:4], v[14:15], v[16:17]
	v_div_fmas_f64 v[3:4], v[3:4], v[10:11], v[14:15]
	v_div_fixup_f64 v[10:11], v[3:4], v[1:2], 1.0
	v_mul_f64 v[12:13], v[12:13], -v[10:11]
.LBB125_189:
	s_or_b64 exec, exec, s[6:7]
	ds_write2_b64 v125, v[10:11], v[12:13] offset1:1
.LBB125_190:
	s_or_b64 exec, exec, s[8:9]
	s_waitcnt lgkmcnt(0)
	s_barrier
	ds_read2_b64 v[1:4], v125 offset1:1
	v_cmp_lt_u32_e32 vcc, 14, v0
	s_waitcnt lgkmcnt(0)
	buffer_store_dword v1, off, s[0:3], 0 offset:1672 ; 4-byte Folded Spill
	s_nop 0
	buffer_store_dword v2, off, s[0:3], 0 offset:1676 ; 4-byte Folded Spill
	buffer_store_dword v3, off, s[0:3], 0 offset:1680 ; 4-byte Folded Spill
	;; [unrolled: 1-line block ×3, first 2 shown]
	s_and_saveexec_b64 s[6:7], vcc
	s_cbranch_execz .LBB125_193
; %bb.191:
	buffer_load_dword v1, off, s[0:3], 0 offset:232
	buffer_load_dword v2, off, s[0:3], 0 offset:236
	;; [unrolled: 1-line block ×4, first 2 shown]
	buffer_load_dword v12, off, s[0:3], 0 offset:1672 ; 4-byte Folded Reload
	buffer_load_dword v13, off, s[0:3], 0 offset:1676 ; 4-byte Folded Reload
	;; [unrolled: 1-line block ×4, first 2 shown]
	s_movk_i32 s8, 0xf0
	s_waitcnt vmcnt(0)
	v_mul_f64 v[10:11], v[14:15], v[1:2]
	v_mul_f64 v[1:2], v[12:13], v[1:2]
	v_fma_f64 v[10:11], v[12:13], v[3:4], -v[10:11]
	v_fma_f64 v[1:2], v[14:15], v[3:4], v[1:2]
	buffer_store_dword v10, off, s[0:3], 0 offset:224
	buffer_store_dword v11, off, s[0:3], 0 offset:228
	;; [unrolled: 1-line block ×4, first 2 shown]
.LBB125_192:                            ; =>This Inner Loop Header: Depth=1
	buffer_load_dword v3, off, s[0:3], 0 offset:232
	buffer_load_dword v4, off, s[0:3], 0 offset:236
	;; [unrolled: 1-line block ×4, first 2 shown]
	v_mov_b32_e32 v1, s8
	buffer_load_dword v16, v1, s[0:3], 0 offen
	buffer_load_dword v17, v1, s[0:3], 0 offen offset:4
	buffer_load_dword v18, v1, s[0:3], 0 offen offset:8
	;; [unrolled: 1-line block ×3, first 2 shown]
	v_add_u32_e32 v2, s8, v6
	ds_read2_b64 v[10:13], v2 offset1:1
	buffer_load_dword v20, v1, s[0:3], 0 offen offset:16
	buffer_load_dword v21, v1, s[0:3], 0 offen offset:20
	;; [unrolled: 1-line block ×3, first 2 shown]
	s_addk_i32 s8, 0x60
	s_cmpk_lg_i32 s8, 0x3f0
	s_waitcnt vmcnt(9) lgkmcnt(0)
	v_mul_f64 v[23:24], v[12:13], v[3:4]
	v_mul_f64 v[3:4], v[10:11], v[3:4]
	s_waitcnt vmcnt(7)
	v_fma_f64 v[10:11], v[10:11], v[14:15], -v[23:24]
	v_fma_f64 v[3:4], v[12:13], v[14:15], v[3:4]
	s_waitcnt vmcnt(5)
	v_add_f64 v[10:11], v[16:17], -v[10:11]
	s_waitcnt vmcnt(3)
	v_add_f64 v[3:4], v[18:19], -v[3:4]
	buffer_store_dword v11, v1, s[0:3], 0 offen offset:4
	buffer_store_dword v10, v1, s[0:3], 0 offen
	buffer_store_dword v4, v1, s[0:3], 0 offen offset:12
	buffer_store_dword v3, v1, s[0:3], 0 offen offset:8
	buffer_load_dword v4, off, s[0:3], 0 offset:236
	s_nop 0
	buffer_load_dword v3, off, s[0:3], 0 offset:232
	buffer_load_dword v15, off, s[0:3], 0 offset:228
	;; [unrolled: 1-line block ×3, first 2 shown]
	buffer_load_dword v23, v1, s[0:3], 0 offen offset:28
	ds_read2_b64 v[10:13], v2 offset0:2 offset1:3
	buffer_load_dword v16, v1, s[0:3], 0 offen offset:32
	buffer_load_dword v17, v1, s[0:3], 0 offen offset:36
	;; [unrolled: 1-line block ×3, first 2 shown]
	s_waitcnt vmcnt(6) lgkmcnt(0)
	v_mul_f64 v[24:25], v[12:13], v[3:4]
	v_mul_f64 v[3:4], v[10:11], v[3:4]
	s_waitcnt vmcnt(4)
	v_fma_f64 v[10:11], v[10:11], v[14:15], -v[24:25]
	v_fma_f64 v[3:4], v[12:13], v[14:15], v[3:4]
	v_add_f64 v[10:11], v[20:21], -v[10:11]
	s_waitcnt vmcnt(3)
	v_add_f64 v[3:4], v[22:23], -v[3:4]
	buffer_store_dword v11, v1, s[0:3], 0 offen offset:20
	buffer_store_dword v10, v1, s[0:3], 0 offen offset:16
	buffer_store_dword v4, v1, s[0:3], 0 offen offset:28
	buffer_store_dword v3, v1, s[0:3], 0 offen offset:24
	buffer_load_dword v3, off, s[0:3], 0 offset:232
	s_nop 0
	buffer_load_dword v4, off, s[0:3], 0 offset:236
	buffer_load_dword v14, off, s[0:3], 0 offset:224
	buffer_load_dword v15, off, s[0:3], 0 offset:228
	buffer_load_dword v19, v1, s[0:3], 0 offen offset:44
	ds_read2_b64 v[10:13], v2 offset0:4 offset1:5
	buffer_load_dword v20, v1, s[0:3], 0 offen offset:48
	buffer_load_dword v21, v1, s[0:3], 0 offen offset:52
	;; [unrolled: 1-line block ×3, first 2 shown]
	s_waitcnt vmcnt(6) lgkmcnt(0)
	v_mul_f64 v[23:24], v[12:13], v[3:4]
	v_mul_f64 v[3:4], v[10:11], v[3:4]
	s_waitcnt vmcnt(4)
	v_fma_f64 v[10:11], v[10:11], v[14:15], -v[23:24]
	v_fma_f64 v[3:4], v[12:13], v[14:15], v[3:4]
	v_add_f64 v[10:11], v[16:17], -v[10:11]
	s_waitcnt vmcnt(3)
	v_add_f64 v[3:4], v[18:19], -v[3:4]
	buffer_store_dword v11, v1, s[0:3], 0 offen offset:36
	buffer_store_dword v10, v1, s[0:3], 0 offen offset:32
	;; [unrolled: 1-line block ×4, first 2 shown]
	buffer_load_dword v3, off, s[0:3], 0 offset:232
	s_nop 0
	buffer_load_dword v4, off, s[0:3], 0 offset:236
	buffer_load_dword v14, off, s[0:3], 0 offset:224
	;; [unrolled: 1-line block ×3, first 2 shown]
	buffer_load_dword v23, v1, s[0:3], 0 offen offset:60
	ds_read2_b64 v[10:13], v2 offset0:6 offset1:7
	buffer_load_dword v16, v1, s[0:3], 0 offen offset:64
	s_waitcnt vmcnt(4) lgkmcnt(0)
	v_mul_f64 v[17:18], v[12:13], v[3:4]
	v_mul_f64 v[3:4], v[10:11], v[3:4]
	s_waitcnt vmcnt(2)
	v_fma_f64 v[10:11], v[10:11], v[14:15], -v[17:18]
	v_fma_f64 v[3:4], v[12:13], v[14:15], v[3:4]
	v_add_f64 v[10:11], v[20:21], -v[10:11]
	s_waitcnt vmcnt(1)
	v_add_f64 v[3:4], v[22:23], -v[3:4]
	buffer_store_dword v11, v1, s[0:3], 0 offen offset:52
	buffer_store_dword v10, v1, s[0:3], 0 offen offset:48
	;; [unrolled: 1-line block ×4, first 2 shown]
	buffer_load_dword v3, off, s[0:3], 0 offset:232
	s_nop 0
	buffer_load_dword v4, off, s[0:3], 0 offset:236
	buffer_load_dword v14, off, s[0:3], 0 offset:224
	;; [unrolled: 1-line block ×3, first 2 shown]
	buffer_load_dword v17, v1, s[0:3], 0 offen offset:68
	buffer_load_dword v18, v1, s[0:3], 0 offen offset:72
	;; [unrolled: 1-line block ×3, first 2 shown]
	ds_read2_b64 v[10:13], v2 offset0:8 offset1:9
	s_waitcnt vmcnt(5) lgkmcnt(0)
	v_mul_f64 v[20:21], v[12:13], v[3:4]
	v_mul_f64 v[3:4], v[10:11], v[3:4]
	s_waitcnt vmcnt(3)
	v_fma_f64 v[10:11], v[10:11], v[14:15], -v[20:21]
	v_fma_f64 v[3:4], v[12:13], v[14:15], v[3:4]
	s_waitcnt vmcnt(2)
	v_add_f64 v[10:11], v[16:17], -v[10:11]
	s_waitcnt vmcnt(0)
	v_add_f64 v[3:4], v[18:19], -v[3:4]
	buffer_store_dword v11, v1, s[0:3], 0 offen offset:68
	buffer_store_dword v10, v1, s[0:3], 0 offen offset:64
	;; [unrolled: 1-line block ×4, first 2 shown]
	buffer_load_dword v3, off, s[0:3], 0 offset:232
	s_nop 0
	buffer_load_dword v4, off, s[0:3], 0 offset:236
	buffer_load_dword v14, off, s[0:3], 0 offset:224
	buffer_load_dword v15, off, s[0:3], 0 offset:228
	buffer_load_dword v16, v1, s[0:3], 0 offen offset:80
	buffer_load_dword v17, v1, s[0:3], 0 offen offset:84
	;; [unrolled: 1-line block ×4, first 2 shown]
	ds_read2_b64 v[10:13], v2 offset0:10 offset1:11
	s_waitcnt vmcnt(6) lgkmcnt(0)
	v_mul_f64 v[20:21], v[12:13], v[3:4]
	v_mul_f64 v[2:3], v[10:11], v[3:4]
	s_waitcnt vmcnt(4)
	v_fma_f64 v[10:11], v[10:11], v[14:15], -v[20:21]
	v_fma_f64 v[2:3], v[12:13], v[14:15], v[2:3]
	s_waitcnt vmcnt(2)
	v_add_f64 v[10:11], v[16:17], -v[10:11]
	s_waitcnt vmcnt(0)
	v_add_f64 v[2:3], v[18:19], -v[2:3]
	buffer_store_dword v11, v1, s[0:3], 0 offen offset:84
	buffer_store_dword v10, v1, s[0:3], 0 offen offset:80
	;; [unrolled: 1-line block ×4, first 2 shown]
	s_cbranch_scc1 .LBB125_192
.LBB125_193:
	s_or_b64 exec, exec, s[6:7]
	v_cmp_eq_u32_e32 vcc, 15, v0
	s_waitcnt vmcnt(0)
	s_barrier
	s_and_saveexec_b64 s[8:9], vcc
	s_cbranch_execz .LBB125_204
; %bb.194:
	v_mov_b32_e32 v4, s92
	buffer_load_dword v1, v4, s[0:3], 0 offen
	buffer_load_dword v2, v4, s[0:3], 0 offen offset:4
	buffer_load_dword v3, v4, s[0:3], 0 offen offset:8
	s_nop 0
	buffer_load_dword v4, v4, s[0:3], 0 offen offset:12
	s_movk_i32 s10, 0x100
	s_waitcnt vmcnt(0)
	ds_write2_b64 v125, v[1:2], v[3:4] offset1:1
	s_branch .LBB125_196
.LBB125_195:                            ;   in Loop: Header=BB125_196 Depth=1
	s_andn2_b64 vcc, exec, s[6:7]
	s_cbranch_vccz .LBB125_198
.LBB125_196:                            ; =>This Inner Loop Header: Depth=1
	v_mov_b32_e32 v4, s10
	buffer_load_dword v2, v4, s[0:3], 0 offen
	buffer_load_dword v3, v4, s[0:3], 0 offen offset:4
	buffer_load_dword v10, v4, s[0:3], 0 offen offset:8
	;; [unrolled: 1-line block ×15, first 2 shown]
	v_add_u32_e32 v1, s10, v6
	s_mov_b32 s11, s10
	s_mov_b64 s[6:7], -1
	s_cmpk_eq_i32 s10, 0x380
	s_waitcnt vmcnt(12)
	ds_write2_b64 v1, v[2:3], v[10:11] offset1:1
	s_waitcnt vmcnt(8)
	ds_write2_b64 v1, v[12:13], v[14:15] offset0:2 offset1:3
	s_waitcnt vmcnt(4)
	ds_write2_b64 v1, v[16:17], v[18:19] offset0:4 offset1:5
	;; [unrolled: 2-line block ×3, first 2 shown]
	buffer_load_dword v3, v4, s[0:3], 0 offen offset:76
	buffer_load_dword v2, v4, s[0:3], 0 offen offset:72
	buffer_load_dword v11, v4, s[0:3], 0 offen offset:68
	buffer_load_dword v10, v4, s[0:3], 0 offen offset:64
	s_waitcnt vmcnt(0)
	ds_write2_b64 v1, v[10:11], v[2:3] offset0:8 offset1:9
	buffer_load_dword v3, v4, s[0:3], 0 offen offset:92
	buffer_load_dword v2, v4, s[0:3], 0 offen offset:88
	buffer_load_dword v11, v4, s[0:3], 0 offen offset:84
	buffer_load_dword v10, v4, s[0:3], 0 offen offset:80
	s_waitcnt vmcnt(0)
	ds_write2_b64 v1, v[10:11], v[2:3] offset0:10 offset1:11
	;; [unrolled: 6-line block ×3, first 2 shown]
	s_cbranch_scc1 .LBB125_195
; %bb.197:                              ;   in Loop: Header=BB125_196 Depth=1
	v_mov_b32_e32 v4, s11
	buffer_load_dword v2, v4, s[0:3], 0 offen offset:112
	buffer_load_dword v3, v4, s[0:3], 0 offen offset:116
	;; [unrolled: 1-line block ×4, first 2 shown]
	s_addk_i32 s10, 0x80
	s_mov_b64 s[6:7], 0
	s_waitcnt vmcnt(0)
	ds_write2_b64 v1, v[2:3], v[10:11] offset0:14 offset1:15
	s_branch .LBB125_195
.LBB125_198:
	ds_read2_b64 v[1:4], v125 offset1:1
	s_waitcnt lgkmcnt(0)
	v_cmp_neq_f64_e32 vcc, 0, v[1:2]
	v_cmp_neq_f64_e64 s[6:7], 0, v[3:4]
	s_or_b64 s[6:7], vcc, s[6:7]
	s_and_b64 exec, exec, s[6:7]
	s_cbranch_execz .LBB125_204
; %bb.199:
	v_cmp_ngt_f64_e64 s[6:7], |v[1:2]|, |v[3:4]|
                                        ; implicit-def: $vgpr10_vgpr11
	s_and_saveexec_b64 s[10:11], s[6:7]
	s_xor_b64 s[6:7], exec, s[10:11]
                                        ; implicit-def: $vgpr12_vgpr13
	s_cbranch_execz .LBB125_201
; %bb.200:
	v_div_scale_f64 v[10:11], s[10:11], v[3:4], v[3:4], v[1:2]
	v_rcp_f64_e32 v[12:13], v[10:11]
	v_fma_f64 v[14:15], -v[10:11], v[12:13], 1.0
	v_fma_f64 v[12:13], v[12:13], v[14:15], v[12:13]
	v_div_scale_f64 v[14:15], vcc, v[1:2], v[3:4], v[1:2]
	v_fma_f64 v[16:17], -v[10:11], v[12:13], 1.0
	v_fma_f64 v[12:13], v[12:13], v[16:17], v[12:13]
	v_mul_f64 v[16:17], v[14:15], v[12:13]
	v_fma_f64 v[10:11], -v[10:11], v[16:17], v[14:15]
	v_div_fmas_f64 v[10:11], v[10:11], v[12:13], v[16:17]
	v_div_fixup_f64 v[10:11], v[10:11], v[3:4], v[1:2]
	v_fma_f64 v[1:2], v[1:2], v[10:11], v[3:4]
	v_div_scale_f64 v[3:4], s[10:11], v[1:2], v[1:2], 1.0
	v_div_scale_f64 v[16:17], vcc, 1.0, v[1:2], 1.0
	v_rcp_f64_e32 v[12:13], v[3:4]
	v_fma_f64 v[14:15], -v[3:4], v[12:13], 1.0
	v_fma_f64 v[12:13], v[12:13], v[14:15], v[12:13]
	v_fma_f64 v[14:15], -v[3:4], v[12:13], 1.0
	v_fma_f64 v[12:13], v[12:13], v[14:15], v[12:13]
	v_mul_f64 v[14:15], v[16:17], v[12:13]
	v_fma_f64 v[3:4], -v[3:4], v[14:15], v[16:17]
	v_div_fmas_f64 v[3:4], v[3:4], v[12:13], v[14:15]
	v_div_fixup_f64 v[12:13], v[3:4], v[1:2], 1.0
                                        ; implicit-def: $vgpr1_vgpr2
	v_mul_f64 v[10:11], v[10:11], v[12:13]
	v_xor_b32_e32 v13, 0x80000000, v13
.LBB125_201:
	s_andn2_saveexec_b64 s[6:7], s[6:7]
	s_cbranch_execz .LBB125_203
; %bb.202:
	v_div_scale_f64 v[10:11], s[10:11], v[1:2], v[1:2], v[3:4]
	v_rcp_f64_e32 v[12:13], v[10:11]
	v_fma_f64 v[14:15], -v[10:11], v[12:13], 1.0
	v_fma_f64 v[12:13], v[12:13], v[14:15], v[12:13]
	v_div_scale_f64 v[14:15], vcc, v[3:4], v[1:2], v[3:4]
	v_fma_f64 v[16:17], -v[10:11], v[12:13], 1.0
	v_fma_f64 v[12:13], v[12:13], v[16:17], v[12:13]
	v_mul_f64 v[16:17], v[14:15], v[12:13]
	v_fma_f64 v[10:11], -v[10:11], v[16:17], v[14:15]
	v_div_fmas_f64 v[10:11], v[10:11], v[12:13], v[16:17]
	v_div_fixup_f64 v[12:13], v[10:11], v[1:2], v[3:4]
	v_fma_f64 v[1:2], v[3:4], v[12:13], v[1:2]
	v_div_scale_f64 v[3:4], s[10:11], v[1:2], v[1:2], 1.0
	v_div_scale_f64 v[16:17], vcc, 1.0, v[1:2], 1.0
	v_rcp_f64_e32 v[10:11], v[3:4]
	v_fma_f64 v[14:15], -v[3:4], v[10:11], 1.0
	v_fma_f64 v[10:11], v[10:11], v[14:15], v[10:11]
	v_fma_f64 v[14:15], -v[3:4], v[10:11], 1.0
	v_fma_f64 v[10:11], v[10:11], v[14:15], v[10:11]
	v_mul_f64 v[14:15], v[16:17], v[10:11]
	v_fma_f64 v[3:4], -v[3:4], v[14:15], v[16:17]
	v_div_fmas_f64 v[3:4], v[3:4], v[10:11], v[14:15]
	v_div_fixup_f64 v[10:11], v[3:4], v[1:2], 1.0
	v_mul_f64 v[12:13], v[12:13], -v[10:11]
.LBB125_203:
	s_or_b64 exec, exec, s[6:7]
	ds_write2_b64 v125, v[10:11], v[12:13] offset1:1
.LBB125_204:
	s_or_b64 exec, exec, s[8:9]
	s_waitcnt lgkmcnt(0)
	s_barrier
	ds_read2_b64 v[23:26], v125 offset1:1
	v_cmp_lt_u32_e32 vcc, 15, v0
	s_and_saveexec_b64 s[6:7], vcc
	s_cbranch_execz .LBB125_209
; %bb.205:
	buffer_load_dword v1, off, s[0:3], 0 offset:248
	buffer_load_dword v2, off, s[0:3], 0 offset:252
	;; [unrolled: 1-line block ×4, first 2 shown]
	s_movk_i32 s10, 0x100
	s_waitcnt vmcnt(2) lgkmcnt(0)
	v_mul_f64 v[10:11], v[25:26], v[1:2]
	v_mul_f64 v[12:13], v[23:24], v[1:2]
	s_waitcnt vmcnt(0)
	v_fma_f64 v[1:2], v[23:24], v[3:4], -v[10:11]
	v_fma_f64 v[3:4], v[25:26], v[3:4], v[12:13]
	buffer_store_dword v1, off, s[0:3], 0 offset:240
	buffer_store_dword v2, off, s[0:3], 0 offset:244
	;; [unrolled: 1-line block ×4, first 2 shown]
	s_branch .LBB125_207
.LBB125_206:                            ;   in Loop: Header=BB125_207 Depth=1
	s_andn2_b64 vcc, exec, s[8:9]
	s_cbranch_vccz .LBB125_209
.LBB125_207:                            ; =>This Inner Loop Header: Depth=1
	v_mov_b32_e32 v20, s10
	buffer_load_dword v14, v20, s[0:3], 0 offen
	buffer_load_dword v15, v20, s[0:3], 0 offen offset:4
	buffer_load_dword v16, v20, s[0:3], 0 offen offset:8
	;; [unrolled: 1-line block ×3, first 2 shown]
	v_add_u32_e32 v7, s10, v6
	ds_read2_b64 v[10:13], v7 offset1:1
	s_mov_b32 s11, s10
	s_cmpk_eq_i32 s10, 0x3c0
	s_mov_b64 s[8:9], -1
	s_waitcnt vmcnt(4) lgkmcnt(0)
	v_mul_f64 v[18:19], v[12:13], v[3:4]
	v_mul_f64 v[3:4], v[10:11], v[3:4]
	v_fma_f64 v[10:11], v[10:11], v[1:2], -v[18:19]
	v_fma_f64 v[1:2], v[12:13], v[1:2], v[3:4]
	s_waitcnt vmcnt(2)
	v_add_f64 v[3:4], v[14:15], -v[10:11]
	s_waitcnt vmcnt(0)
	v_add_f64 v[1:2], v[16:17], -v[1:2]
	buffer_store_dword v4, v20, s[0:3], 0 offen offset:4
	buffer_store_dword v3, v20, s[0:3], 0 offen
	buffer_store_dword v2, v20, s[0:3], 0 offen offset:12
	buffer_store_dword v1, v20, s[0:3], 0 offen offset:8
	buffer_load_dword v11, off, s[0:3], 0 offset:252
	buffer_load_dword v10, off, s[0:3], 0 offset:248
	;; [unrolled: 1-line block ×4, first 2 shown]
	buffer_load_dword v15, v20, s[0:3], 0 offen offset:20
	buffer_load_dword v14, v20, s[0:3], 0 offen offset:16
	;; [unrolled: 1-line block ×4, first 2 shown]
	ds_read2_b64 v[1:4], v7 offset0:2 offset1:3
	s_waitcnt vmcnt(6) lgkmcnt(0)
	v_mul_f64 v[18:19], v[3:4], v[10:11]
	v_mul_f64 v[10:11], v[1:2], v[10:11]
	s_waitcnt vmcnt(4)
	v_fma_f64 v[1:2], v[1:2], v[12:13], -v[18:19]
	v_fma_f64 v[3:4], v[3:4], v[12:13], v[10:11]
	s_waitcnt vmcnt(2)
	v_add_f64 v[1:2], v[14:15], -v[1:2]
	s_waitcnt vmcnt(0)
	v_add_f64 v[3:4], v[16:17], -v[3:4]
	buffer_store_dword v2, v20, s[0:3], 0 offen offset:20
	buffer_store_dword v1, v20, s[0:3], 0 offen offset:16
	;; [unrolled: 1-line block ×4, first 2 shown]
	buffer_load_dword v10, off, s[0:3], 0 offset:248
	buffer_load_dword v11, off, s[0:3], 0 offset:252
	;; [unrolled: 1-line block ×4, first 2 shown]
	buffer_load_dword v15, v20, s[0:3], 0 offen offset:36
	buffer_load_dword v14, v20, s[0:3], 0 offen offset:32
	;; [unrolled: 1-line block ×4, first 2 shown]
	ds_read2_b64 v[1:4], v7 offset0:4 offset1:5
	s_waitcnt vmcnt(6) lgkmcnt(0)
	v_mul_f64 v[18:19], v[3:4], v[10:11]
	v_mul_f64 v[10:11], v[1:2], v[10:11]
	s_waitcnt vmcnt(4)
	v_fma_f64 v[1:2], v[1:2], v[12:13], -v[18:19]
	v_fma_f64 v[3:4], v[3:4], v[12:13], v[10:11]
	s_waitcnt vmcnt(2)
	v_add_f64 v[1:2], v[14:15], -v[1:2]
	s_waitcnt vmcnt(0)
	v_add_f64 v[3:4], v[16:17], -v[3:4]
	buffer_store_dword v2, v20, s[0:3], 0 offen offset:36
	buffer_store_dword v1, v20, s[0:3], 0 offen offset:32
	;; [unrolled: 1-line block ×4, first 2 shown]
                                        ; implicit-def: $vgpr1_vgpr2
                                        ; implicit-def: $vgpr3_vgpr4
	s_cbranch_scc1 .LBB125_206
; %bb.208:                              ;   in Loop: Header=BB125_207 Depth=1
	ds_read2_b64 v[1:4], v7 offset0:6 offset1:7
	buffer_load_dword v10, off, s[0:3], 0 offset:240
	buffer_load_dword v11, off, s[0:3], 0 offset:244
	;; [unrolled: 1-line block ×4, first 2 shown]
	v_mov_b32_e32 v7, s11
	s_add_i32 s10, s10, 64
	s_mov_b64 s[8:9], 0
	s_waitcnt vmcnt(0) lgkmcnt(0)
	v_mul_f64 v[14:15], v[3:4], v[12:13]
	v_fma_f64 v[14:15], v[1:2], v[10:11], -v[14:15]
	v_mul_f64 v[1:2], v[1:2], v[12:13]
	v_fma_f64 v[1:2], v[3:4], v[10:11], v[1:2]
	buffer_load_dword v3, v7, s[0:3], 0 offen offset:48
	buffer_load_dword v4, v7, s[0:3], 0 offen offset:52
	;; [unrolled: 1-line block ×4, first 2 shown]
	s_waitcnt vmcnt(2)
	v_add_f64 v[3:4], v[3:4], -v[14:15]
	s_waitcnt vmcnt(0)
	v_add_f64 v[1:2], v[10:11], -v[1:2]
	buffer_store_dword v4, v7, s[0:3], 0 offen offset:52
	buffer_store_dword v3, v7, s[0:3], 0 offen offset:48
	;; [unrolled: 1-line block ×4, first 2 shown]
	buffer_load_dword v2, off, s[0:3], 0 offset:244
	s_nop 0
	buffer_load_dword v1, off, s[0:3], 0 offset:240
	buffer_load_dword v4, off, s[0:3], 0 offset:252
	;; [unrolled: 1-line block ×3, first 2 shown]
	s_branch .LBB125_206
.LBB125_209:
	s_or_b64 exec, exec, s[6:7]
	v_cmp_eq_u32_e32 vcc, 16, v0
	s_waitcnt vmcnt(0) lgkmcnt(0)
	s_barrier
	s_and_saveexec_b64 s[8:9], vcc
	s_cbranch_execz .LBB125_218
; %bb.210:
	v_mov_b32_e32 v4, s91
	buffer_load_dword v1, v4, s[0:3], 0 offen
	buffer_load_dword v2, v4, s[0:3], 0 offen offset:4
	buffer_load_dword v3, v4, s[0:3], 0 offen offset:8
	s_nop 0
	buffer_load_dword v4, v4, s[0:3], 0 offen offset:12
	s_movk_i32 s6, 0x110
	s_waitcnt vmcnt(0)
	ds_write2_b64 v125, v[1:2], v[3:4] offset1:1
.LBB125_211:                            ; =>This Inner Loop Header: Depth=1
	v_mov_b32_e32 v7, s6
	buffer_load_dword v1, v7, s[0:3], 0 offen
	buffer_load_dword v2, v7, s[0:3], 0 offen offset:4
	buffer_load_dword v3, v7, s[0:3], 0 offen offset:8
	buffer_load_dword v4, v7, s[0:3], 0 offen offset:12
	buffer_load_dword v10, v7, s[0:3], 0 offen offset:16
	buffer_load_dword v11, v7, s[0:3], 0 offen offset:20
	buffer_load_dword v12, v7, s[0:3], 0 offen offset:24
	buffer_load_dword v13, v7, s[0:3], 0 offen offset:28
	v_add_u32_e32 v7, s6, v6
	s_add_i32 s6, s6, 32
	s_cmpk_lg_i32 s6, 0x3f0
	s_waitcnt vmcnt(4)
	ds_write2_b64 v7, v[1:2], v[3:4] offset1:1
	s_waitcnt vmcnt(0)
	ds_write2_b64 v7, v[10:11], v[12:13] offset0:2 offset1:3
	s_cbranch_scc1 .LBB125_211
; %bb.212:
	ds_read2_b64 v[1:4], v125 offset1:1
	s_waitcnt lgkmcnt(0)
	v_cmp_neq_f64_e32 vcc, 0, v[1:2]
	v_cmp_neq_f64_e64 s[6:7], 0, v[3:4]
	s_or_b64 s[6:7], vcc, s[6:7]
	s_and_b64 exec, exec, s[6:7]
	s_cbranch_execz .LBB125_218
; %bb.213:
	v_cmp_ngt_f64_e64 s[6:7], |v[1:2]|, |v[3:4]|
                                        ; implicit-def: $vgpr10_vgpr11
	s_and_saveexec_b64 s[10:11], s[6:7]
	s_xor_b64 s[6:7], exec, s[10:11]
                                        ; implicit-def: $vgpr12_vgpr13
	s_cbranch_execz .LBB125_215
; %bb.214:
	v_div_scale_f64 v[10:11], s[10:11], v[3:4], v[3:4], v[1:2]
	v_rcp_f64_e32 v[12:13], v[10:11]
	v_fma_f64 v[14:15], -v[10:11], v[12:13], 1.0
	v_fma_f64 v[12:13], v[12:13], v[14:15], v[12:13]
	v_div_scale_f64 v[14:15], vcc, v[1:2], v[3:4], v[1:2]
	v_fma_f64 v[16:17], -v[10:11], v[12:13], 1.0
	v_fma_f64 v[12:13], v[12:13], v[16:17], v[12:13]
	v_mul_f64 v[16:17], v[14:15], v[12:13]
	v_fma_f64 v[10:11], -v[10:11], v[16:17], v[14:15]
	v_div_fmas_f64 v[10:11], v[10:11], v[12:13], v[16:17]
	v_div_fixup_f64 v[10:11], v[10:11], v[3:4], v[1:2]
	v_fma_f64 v[1:2], v[1:2], v[10:11], v[3:4]
	v_div_scale_f64 v[3:4], s[10:11], v[1:2], v[1:2], 1.0
	v_div_scale_f64 v[16:17], vcc, 1.0, v[1:2], 1.0
	v_rcp_f64_e32 v[12:13], v[3:4]
	v_fma_f64 v[14:15], -v[3:4], v[12:13], 1.0
	v_fma_f64 v[12:13], v[12:13], v[14:15], v[12:13]
	v_fma_f64 v[14:15], -v[3:4], v[12:13], 1.0
	v_fma_f64 v[12:13], v[12:13], v[14:15], v[12:13]
	v_mul_f64 v[14:15], v[16:17], v[12:13]
	v_fma_f64 v[3:4], -v[3:4], v[14:15], v[16:17]
	v_div_fmas_f64 v[3:4], v[3:4], v[12:13], v[14:15]
	v_div_fixup_f64 v[12:13], v[3:4], v[1:2], 1.0
                                        ; implicit-def: $vgpr1_vgpr2
	v_mul_f64 v[10:11], v[10:11], v[12:13]
	v_xor_b32_e32 v13, 0x80000000, v13
.LBB125_215:
	s_andn2_saveexec_b64 s[6:7], s[6:7]
	s_cbranch_execz .LBB125_217
; %bb.216:
	v_div_scale_f64 v[10:11], s[10:11], v[1:2], v[1:2], v[3:4]
	v_rcp_f64_e32 v[12:13], v[10:11]
	v_fma_f64 v[14:15], -v[10:11], v[12:13], 1.0
	v_fma_f64 v[12:13], v[12:13], v[14:15], v[12:13]
	v_div_scale_f64 v[14:15], vcc, v[3:4], v[1:2], v[3:4]
	v_fma_f64 v[16:17], -v[10:11], v[12:13], 1.0
	v_fma_f64 v[12:13], v[12:13], v[16:17], v[12:13]
	v_mul_f64 v[16:17], v[14:15], v[12:13]
	v_fma_f64 v[10:11], -v[10:11], v[16:17], v[14:15]
	v_div_fmas_f64 v[10:11], v[10:11], v[12:13], v[16:17]
	v_div_fixup_f64 v[12:13], v[10:11], v[1:2], v[3:4]
	v_fma_f64 v[1:2], v[3:4], v[12:13], v[1:2]
	v_div_scale_f64 v[3:4], s[10:11], v[1:2], v[1:2], 1.0
	v_div_scale_f64 v[16:17], vcc, 1.0, v[1:2], 1.0
	v_rcp_f64_e32 v[10:11], v[3:4]
	v_fma_f64 v[14:15], -v[3:4], v[10:11], 1.0
	v_fma_f64 v[10:11], v[10:11], v[14:15], v[10:11]
	v_fma_f64 v[14:15], -v[3:4], v[10:11], 1.0
	v_fma_f64 v[10:11], v[10:11], v[14:15], v[10:11]
	v_mul_f64 v[14:15], v[16:17], v[10:11]
	v_fma_f64 v[3:4], -v[3:4], v[14:15], v[16:17]
	v_div_fmas_f64 v[3:4], v[3:4], v[10:11], v[14:15]
	v_div_fixup_f64 v[10:11], v[3:4], v[1:2], 1.0
	v_mul_f64 v[12:13], v[12:13], -v[10:11]
.LBB125_217:
	s_or_b64 exec, exec, s[6:7]
	ds_write2_b64 v125, v[10:11], v[12:13] offset1:1
.LBB125_218:
	s_or_b64 exec, exec, s[8:9]
	s_waitcnt lgkmcnt(0)
	s_barrier
	ds_read2_b64 v[1:4], v125 offset1:1
	v_cmp_lt_u32_e32 vcc, 16, v0
	s_waitcnt lgkmcnt(0)
	buffer_store_dword v1, off, s[0:3], 0 offset:1688 ; 4-byte Folded Spill
	s_nop 0
	buffer_store_dword v2, off, s[0:3], 0 offset:1692 ; 4-byte Folded Spill
	buffer_store_dword v3, off, s[0:3], 0 offset:1696 ; 4-byte Folded Spill
	;; [unrolled: 1-line block ×3, first 2 shown]
	s_and_saveexec_b64 s[6:7], vcc
	s_cbranch_execz .LBB125_221
; %bb.219:
	buffer_load_dword v1, off, s[0:3], 0 offset:264
	buffer_load_dword v2, off, s[0:3], 0 offset:268
	;; [unrolled: 1-line block ×4, first 2 shown]
	buffer_load_dword v12, off, s[0:3], 0 offset:1688 ; 4-byte Folded Reload
	buffer_load_dword v13, off, s[0:3], 0 offset:1692 ; 4-byte Folded Reload
	;; [unrolled: 1-line block ×4, first 2 shown]
	s_movk_i32 s8, 0x110
	s_waitcnt vmcnt(0)
	v_mul_f64 v[10:11], v[14:15], v[1:2]
	v_mul_f64 v[1:2], v[12:13], v[1:2]
	v_fma_f64 v[10:11], v[12:13], v[3:4], -v[10:11]
	v_fma_f64 v[1:2], v[14:15], v[3:4], v[1:2]
	buffer_store_dword v10, off, s[0:3], 0 offset:256
	buffer_store_dword v11, off, s[0:3], 0 offset:260
	;; [unrolled: 1-line block ×4, first 2 shown]
.LBB125_220:                            ; =>This Inner Loop Header: Depth=1
	v_add_u32_e32 v7, s8, v6
	ds_read2_b64 v[1:4], v7 offset1:1
	buffer_load_dword v10, off, s[0:3], 0 offset:256
	buffer_load_dword v11, off, s[0:3], 0 offset:260
	;; [unrolled: 1-line block ×4, first 2 shown]
	v_mov_b32_e32 v20, s8
	s_add_i32 s8, s8, 32
	s_cmpk_lg_i32 s8, 0x3f0
	s_waitcnt vmcnt(0) lgkmcnt(0)
	v_mul_f64 v[14:15], v[3:4], v[12:13]
	v_fma_f64 v[14:15], v[1:2], v[10:11], -v[14:15]
	v_mul_f64 v[1:2], v[1:2], v[12:13]
	v_fma_f64 v[1:2], v[3:4], v[10:11], v[1:2]
	buffer_load_dword v3, v20, s[0:3], 0 offen
	buffer_load_dword v4, v20, s[0:3], 0 offen offset:4
	buffer_load_dword v10, v20, s[0:3], 0 offen offset:8
	;; [unrolled: 1-line block ×7, first 2 shown]
	s_waitcnt vmcnt(6)
	v_add_f64 v[3:4], v[3:4], -v[14:15]
	s_waitcnt vmcnt(4)
	v_add_f64 v[1:2], v[10:11], -v[1:2]
	buffer_store_dword v4, v20, s[0:3], 0 offen offset:4
	buffer_store_dword v3, v20, s[0:3], 0 offen
	buffer_store_dword v2, v20, s[0:3], 0 offen offset:12
	buffer_store_dword v1, v20, s[0:3], 0 offen offset:8
	ds_read2_b64 v[1:4], v7 offset0:2 offset1:3
	buffer_load_dword v11, off, s[0:3], 0 offset:260
	buffer_load_dword v10, off, s[0:3], 0 offset:256
	;; [unrolled: 1-line block ×4, first 2 shown]
	s_waitcnt vmcnt(0) lgkmcnt(0)
	v_mul_f64 v[18:19], v[3:4], v[14:15]
	v_fma_f64 v[18:19], v[1:2], v[10:11], -v[18:19]
	v_mul_f64 v[1:2], v[1:2], v[14:15]
	v_fma_f64 v[1:2], v[3:4], v[10:11], v[1:2]
	v_add_f64 v[3:4], v[12:13], -v[18:19]
	v_add_f64 v[1:2], v[16:17], -v[1:2]
	buffer_store_dword v4, v20, s[0:3], 0 offen offset:20
	buffer_store_dword v3, v20, s[0:3], 0 offen offset:16
	;; [unrolled: 1-line block ×4, first 2 shown]
	s_cbranch_scc1 .LBB125_220
.LBB125_221:
	s_or_b64 exec, exec, s[6:7]
	v_cmp_eq_u32_e32 vcc, 17, v0
	s_waitcnt vmcnt(0)
	s_barrier
	s_and_saveexec_b64 s[8:9], vcc
	s_cbranch_execz .LBB125_230
; %bb.222:
	v_mov_b32_e32 v4, s90
	buffer_load_dword v1, v4, s[0:3], 0 offen
	buffer_load_dword v2, v4, s[0:3], 0 offen offset:4
	buffer_load_dword v3, v4, s[0:3], 0 offen offset:8
	s_nop 0
	buffer_load_dword v4, v4, s[0:3], 0 offen offset:12
	s_movk_i32 s6, 0x120
	s_waitcnt vmcnt(0)
	ds_write2_b64 v125, v[1:2], v[3:4] offset1:1
.LBB125_223:                            ; =>This Inner Loop Header: Depth=1
	v_mov_b32_e32 v7, s6
	buffer_load_dword v1, v7, s[0:3], 0 offen
	buffer_load_dword v2, v7, s[0:3], 0 offen offset:4
	buffer_load_dword v3, v7, s[0:3], 0 offen offset:8
	buffer_load_dword v4, v7, s[0:3], 0 offen offset:12
	buffer_load_dword v10, v7, s[0:3], 0 offen offset:16
	buffer_load_dword v11, v7, s[0:3], 0 offen offset:20
	buffer_load_dword v12, v7, s[0:3], 0 offen offset:24
	buffer_load_dword v13, v7, s[0:3], 0 offen offset:28
	buffer_load_dword v14, v7, s[0:3], 0 offen offset:32
	buffer_load_dword v15, v7, s[0:3], 0 offen offset:36
	buffer_load_dword v16, v7, s[0:3], 0 offen offset:40
	buffer_load_dword v17, v7, s[0:3], 0 offen offset:44
	buffer_load_dword v18, v7, s[0:3], 0 offen offset:48
	buffer_load_dword v19, v7, s[0:3], 0 offen offset:52
	buffer_load_dword v20, v7, s[0:3], 0 offen offset:56
	buffer_load_dword v21, v7, s[0:3], 0 offen offset:60
	v_add_u32_e32 v22, s6, v6
	s_addk_i32 s6, 0xf0
	s_cmpk_lg_i32 s6, 0x3f0
	s_waitcnt vmcnt(12)
	ds_write2_b64 v22, v[1:2], v[3:4] offset1:1
	s_waitcnt vmcnt(8)
	ds_write2_b64 v22, v[10:11], v[12:13] offset0:2 offset1:3
	s_waitcnt vmcnt(4)
	ds_write2_b64 v22, v[14:15], v[16:17] offset0:4 offset1:5
	;; [unrolled: 2-line block ×3, first 2 shown]
	buffer_load_dword v2, v7, s[0:3], 0 offen offset:76
	buffer_load_dword v1, v7, s[0:3], 0 offen offset:72
	buffer_load_dword v4, v7, s[0:3], 0 offen offset:68
	buffer_load_dword v3, v7, s[0:3], 0 offen offset:64
	s_waitcnt vmcnt(0)
	ds_write2_b64 v22, v[3:4], v[1:2] offset0:8 offset1:9
	buffer_load_dword v2, v7, s[0:3], 0 offen offset:92
	buffer_load_dword v1, v7, s[0:3], 0 offen offset:88
	buffer_load_dword v4, v7, s[0:3], 0 offen offset:84
	buffer_load_dword v3, v7, s[0:3], 0 offen offset:80
	s_waitcnt vmcnt(0)
	ds_write2_b64 v22, v[3:4], v[1:2] offset0:10 offset1:11
	;; [unrolled: 6-line block ×11, first 2 shown]
	s_cbranch_scc1 .LBB125_223
; %bb.224:
	ds_read2_b64 v[1:4], v125 offset1:1
	s_waitcnt lgkmcnt(0)
	v_cmp_neq_f64_e32 vcc, 0, v[1:2]
	v_cmp_neq_f64_e64 s[6:7], 0, v[3:4]
	s_or_b64 s[6:7], vcc, s[6:7]
	s_and_b64 exec, exec, s[6:7]
	s_cbranch_execz .LBB125_230
; %bb.225:
	v_cmp_ngt_f64_e64 s[6:7], |v[1:2]|, |v[3:4]|
                                        ; implicit-def: $vgpr10_vgpr11
	s_and_saveexec_b64 s[10:11], s[6:7]
	s_xor_b64 s[6:7], exec, s[10:11]
                                        ; implicit-def: $vgpr12_vgpr13
	s_cbranch_execz .LBB125_227
; %bb.226:
	v_div_scale_f64 v[10:11], s[10:11], v[3:4], v[3:4], v[1:2]
	v_rcp_f64_e32 v[12:13], v[10:11]
	v_fma_f64 v[14:15], -v[10:11], v[12:13], 1.0
	v_fma_f64 v[12:13], v[12:13], v[14:15], v[12:13]
	v_div_scale_f64 v[14:15], vcc, v[1:2], v[3:4], v[1:2]
	v_fma_f64 v[16:17], -v[10:11], v[12:13], 1.0
	v_fma_f64 v[12:13], v[12:13], v[16:17], v[12:13]
	v_mul_f64 v[16:17], v[14:15], v[12:13]
	v_fma_f64 v[10:11], -v[10:11], v[16:17], v[14:15]
	v_div_fmas_f64 v[10:11], v[10:11], v[12:13], v[16:17]
	v_div_fixup_f64 v[10:11], v[10:11], v[3:4], v[1:2]
	v_fma_f64 v[1:2], v[1:2], v[10:11], v[3:4]
	v_div_scale_f64 v[3:4], s[10:11], v[1:2], v[1:2], 1.0
	v_div_scale_f64 v[16:17], vcc, 1.0, v[1:2], 1.0
	v_rcp_f64_e32 v[12:13], v[3:4]
	v_fma_f64 v[14:15], -v[3:4], v[12:13], 1.0
	v_fma_f64 v[12:13], v[12:13], v[14:15], v[12:13]
	v_fma_f64 v[14:15], -v[3:4], v[12:13], 1.0
	v_fma_f64 v[12:13], v[12:13], v[14:15], v[12:13]
	v_mul_f64 v[14:15], v[16:17], v[12:13]
	v_fma_f64 v[3:4], -v[3:4], v[14:15], v[16:17]
	v_div_fmas_f64 v[3:4], v[3:4], v[12:13], v[14:15]
	v_div_fixup_f64 v[12:13], v[3:4], v[1:2], 1.0
                                        ; implicit-def: $vgpr1_vgpr2
	v_mul_f64 v[10:11], v[10:11], v[12:13]
	v_xor_b32_e32 v13, 0x80000000, v13
.LBB125_227:
	s_andn2_saveexec_b64 s[6:7], s[6:7]
	s_cbranch_execz .LBB125_229
; %bb.228:
	v_div_scale_f64 v[10:11], s[10:11], v[1:2], v[1:2], v[3:4]
	v_rcp_f64_e32 v[12:13], v[10:11]
	v_fma_f64 v[14:15], -v[10:11], v[12:13], 1.0
	v_fma_f64 v[12:13], v[12:13], v[14:15], v[12:13]
	v_div_scale_f64 v[14:15], vcc, v[3:4], v[1:2], v[3:4]
	v_fma_f64 v[16:17], -v[10:11], v[12:13], 1.0
	v_fma_f64 v[12:13], v[12:13], v[16:17], v[12:13]
	v_mul_f64 v[16:17], v[14:15], v[12:13]
	v_fma_f64 v[10:11], -v[10:11], v[16:17], v[14:15]
	v_div_fmas_f64 v[10:11], v[10:11], v[12:13], v[16:17]
	v_div_fixup_f64 v[12:13], v[10:11], v[1:2], v[3:4]
	v_fma_f64 v[1:2], v[3:4], v[12:13], v[1:2]
	v_div_scale_f64 v[3:4], s[10:11], v[1:2], v[1:2], 1.0
	v_div_scale_f64 v[16:17], vcc, 1.0, v[1:2], 1.0
	v_rcp_f64_e32 v[10:11], v[3:4]
	v_fma_f64 v[14:15], -v[3:4], v[10:11], 1.0
	v_fma_f64 v[10:11], v[10:11], v[14:15], v[10:11]
	v_fma_f64 v[14:15], -v[3:4], v[10:11], 1.0
	v_fma_f64 v[10:11], v[10:11], v[14:15], v[10:11]
	v_mul_f64 v[14:15], v[16:17], v[10:11]
	v_fma_f64 v[3:4], -v[3:4], v[14:15], v[16:17]
	v_div_fmas_f64 v[3:4], v[3:4], v[10:11], v[14:15]
	v_div_fixup_f64 v[10:11], v[3:4], v[1:2], 1.0
	v_mul_f64 v[12:13], v[12:13], -v[10:11]
.LBB125_229:
	s_or_b64 exec, exec, s[6:7]
	ds_write2_b64 v125, v[10:11], v[12:13] offset1:1
.LBB125_230:
	s_or_b64 exec, exec, s[8:9]
	buffer_store_dword v23, off, s[0:3], 0 offset:1976 ; 4-byte Folded Spill
	s_nop 0
	buffer_store_dword v24, off, s[0:3], 0 offset:1980 ; 4-byte Folded Spill
	buffer_store_dword v25, off, s[0:3], 0 offset:1984 ; 4-byte Folded Spill
	;; [unrolled: 1-line block ×3, first 2 shown]
	s_waitcnt vmcnt(0) lgkmcnt(0)
	s_barrier
	ds_read2_b64 v[1:4], v125 offset1:1
	v_cmp_lt_u32_e32 vcc, 17, v0
	s_waitcnt lgkmcnt(0)
	buffer_store_dword v1, off, s[0:3], 0 offset:1704 ; 4-byte Folded Spill
	s_nop 0
	buffer_store_dword v2, off, s[0:3], 0 offset:1708 ; 4-byte Folded Spill
	buffer_store_dword v3, off, s[0:3], 0 offset:1712 ; 4-byte Folded Spill
	;; [unrolled: 1-line block ×3, first 2 shown]
	s_and_saveexec_b64 s[6:7], vcc
	s_cbranch_execz .LBB125_233
; %bb.231:
	buffer_load_dword v1, off, s[0:3], 0 offset:280
	buffer_load_dword v2, off, s[0:3], 0 offset:284
	buffer_load_dword v3, off, s[0:3], 0 offset:272
	buffer_load_dword v4, off, s[0:3], 0 offset:276
	buffer_load_dword v12, off, s[0:3], 0 offset:1704 ; 4-byte Folded Reload
	buffer_load_dword v13, off, s[0:3], 0 offset:1708 ; 4-byte Folded Reload
	;; [unrolled: 1-line block ×4, first 2 shown]
	s_movk_i32 s8, 0x120
	s_waitcnt vmcnt(0)
	v_mul_f64 v[10:11], v[14:15], v[1:2]
	v_mul_f64 v[1:2], v[12:13], v[1:2]
	v_fma_f64 v[10:11], v[12:13], v[3:4], -v[10:11]
	v_fma_f64 v[1:2], v[14:15], v[3:4], v[1:2]
	buffer_store_dword v10, off, s[0:3], 0 offset:272
	buffer_store_dword v11, off, s[0:3], 0 offset:276
	;; [unrolled: 1-line block ×4, first 2 shown]
.LBB125_232:                            ; =>This Inner Loop Header: Depth=1
	buffer_load_dword v3, off, s[0:3], 0 offset:280
	buffer_load_dword v4, off, s[0:3], 0 offset:284
	;; [unrolled: 1-line block ×4, first 2 shown]
	v_mov_b32_e32 v1, s8
	buffer_load_dword v16, v1, s[0:3], 0 offen
	buffer_load_dword v17, v1, s[0:3], 0 offen offset:4
	buffer_load_dword v18, v1, s[0:3], 0 offen offset:8
	buffer_load_dword v19, v1, s[0:3], 0 offen offset:12
	v_add_u32_e32 v2, s8, v6
	ds_read2_b64 v[10:13], v2 offset1:1
	buffer_load_dword v20, v1, s[0:3], 0 offen offset:16
	buffer_load_dword v21, v1, s[0:3], 0 offen offset:20
	;; [unrolled: 1-line block ×3, first 2 shown]
	s_addk_i32 s8, 0x50
	s_cmpk_lg_i32 s8, 0x3f0
	s_waitcnt vmcnt(9) lgkmcnt(0)
	v_mul_f64 v[23:24], v[12:13], v[3:4]
	v_mul_f64 v[3:4], v[10:11], v[3:4]
	s_waitcnt vmcnt(7)
	v_fma_f64 v[10:11], v[10:11], v[14:15], -v[23:24]
	v_fma_f64 v[3:4], v[12:13], v[14:15], v[3:4]
	s_waitcnt vmcnt(5)
	v_add_f64 v[10:11], v[16:17], -v[10:11]
	s_waitcnt vmcnt(3)
	v_add_f64 v[3:4], v[18:19], -v[3:4]
	buffer_store_dword v11, v1, s[0:3], 0 offen offset:4
	buffer_store_dword v10, v1, s[0:3], 0 offen
	buffer_store_dword v4, v1, s[0:3], 0 offen offset:12
	buffer_store_dword v3, v1, s[0:3], 0 offen offset:8
	buffer_load_dword v4, off, s[0:3], 0 offset:284
	s_nop 0
	buffer_load_dword v3, off, s[0:3], 0 offset:280
	buffer_load_dword v15, off, s[0:3], 0 offset:276
	;; [unrolled: 1-line block ×3, first 2 shown]
	buffer_load_dword v23, v1, s[0:3], 0 offen offset:28
	ds_read2_b64 v[10:13], v2 offset0:2 offset1:3
	buffer_load_dword v16, v1, s[0:3], 0 offen offset:32
	buffer_load_dword v17, v1, s[0:3], 0 offen offset:36
	buffer_load_dword v18, v1, s[0:3], 0 offen offset:40
	s_waitcnt vmcnt(6) lgkmcnt(0)
	v_mul_f64 v[24:25], v[12:13], v[3:4]
	v_mul_f64 v[3:4], v[10:11], v[3:4]
	s_waitcnt vmcnt(4)
	v_fma_f64 v[10:11], v[10:11], v[14:15], -v[24:25]
	v_fma_f64 v[3:4], v[12:13], v[14:15], v[3:4]
	v_add_f64 v[10:11], v[20:21], -v[10:11]
	s_waitcnt vmcnt(3)
	v_add_f64 v[3:4], v[22:23], -v[3:4]
	buffer_store_dword v11, v1, s[0:3], 0 offen offset:20
	buffer_store_dword v10, v1, s[0:3], 0 offen offset:16
	;; [unrolled: 1-line block ×4, first 2 shown]
	buffer_load_dword v3, off, s[0:3], 0 offset:280
	s_nop 0
	buffer_load_dword v4, off, s[0:3], 0 offset:284
	buffer_load_dword v14, off, s[0:3], 0 offset:272
	;; [unrolled: 1-line block ×3, first 2 shown]
	buffer_load_dword v19, v1, s[0:3], 0 offen offset:44
	ds_read2_b64 v[10:13], v2 offset0:4 offset1:5
	buffer_load_dword v20, v1, s[0:3], 0 offen offset:48
	s_waitcnt vmcnt(4) lgkmcnt(0)
	v_mul_f64 v[21:22], v[12:13], v[3:4]
	v_mul_f64 v[3:4], v[10:11], v[3:4]
	s_waitcnt vmcnt(2)
	v_fma_f64 v[10:11], v[10:11], v[14:15], -v[21:22]
	v_fma_f64 v[3:4], v[12:13], v[14:15], v[3:4]
	v_add_f64 v[10:11], v[16:17], -v[10:11]
	s_waitcnt vmcnt(1)
	v_add_f64 v[3:4], v[18:19], -v[3:4]
	buffer_store_dword v11, v1, s[0:3], 0 offen offset:36
	buffer_store_dword v10, v1, s[0:3], 0 offen offset:32
	;; [unrolled: 1-line block ×4, first 2 shown]
	buffer_load_dword v3, off, s[0:3], 0 offset:280
	s_nop 0
	buffer_load_dword v4, off, s[0:3], 0 offset:284
	buffer_load_dword v14, off, s[0:3], 0 offset:272
	;; [unrolled: 1-line block ×3, first 2 shown]
	buffer_load_dword v21, v1, s[0:3], 0 offen offset:52
	buffer_load_dword v16, v1, s[0:3], 0 offen offset:56
	;; [unrolled: 1-line block ×3, first 2 shown]
	ds_read2_b64 v[10:13], v2 offset0:6 offset1:7
	s_waitcnt vmcnt(5) lgkmcnt(0)
	v_mul_f64 v[18:19], v[12:13], v[3:4]
	v_mul_f64 v[3:4], v[10:11], v[3:4]
	s_waitcnt vmcnt(3)
	v_fma_f64 v[10:11], v[10:11], v[14:15], -v[18:19]
	v_fma_f64 v[3:4], v[12:13], v[14:15], v[3:4]
	s_waitcnt vmcnt(2)
	v_add_f64 v[10:11], v[20:21], -v[10:11]
	s_waitcnt vmcnt(0)
	v_add_f64 v[3:4], v[16:17], -v[3:4]
	buffer_store_dword v11, v1, s[0:3], 0 offen offset:52
	buffer_store_dword v10, v1, s[0:3], 0 offen offset:48
	;; [unrolled: 1-line block ×4, first 2 shown]
	buffer_load_dword v3, off, s[0:3], 0 offset:280
	s_nop 0
	buffer_load_dword v4, off, s[0:3], 0 offset:284
	buffer_load_dword v14, off, s[0:3], 0 offset:272
	;; [unrolled: 1-line block ×3, first 2 shown]
	buffer_load_dword v16, v1, s[0:3], 0 offen offset:64
	buffer_load_dword v17, v1, s[0:3], 0 offen offset:68
	;; [unrolled: 1-line block ×4, first 2 shown]
	ds_read2_b64 v[10:13], v2 offset0:8 offset1:9
	s_waitcnt vmcnt(6) lgkmcnt(0)
	v_mul_f64 v[20:21], v[12:13], v[3:4]
	v_mul_f64 v[2:3], v[10:11], v[3:4]
	s_waitcnt vmcnt(4)
	v_fma_f64 v[10:11], v[10:11], v[14:15], -v[20:21]
	v_fma_f64 v[2:3], v[12:13], v[14:15], v[2:3]
	s_waitcnt vmcnt(2)
	v_add_f64 v[10:11], v[16:17], -v[10:11]
	s_waitcnt vmcnt(0)
	v_add_f64 v[2:3], v[18:19], -v[2:3]
	buffer_store_dword v11, v1, s[0:3], 0 offen offset:68
	buffer_store_dword v10, v1, s[0:3], 0 offen offset:64
	;; [unrolled: 1-line block ×4, first 2 shown]
	s_cbranch_scc1 .LBB125_232
.LBB125_233:
	s_or_b64 exec, exec, s[6:7]
	v_cmp_eq_u32_e32 vcc, 18, v0
	s_waitcnt vmcnt(0)
	s_barrier
	s_and_saveexec_b64 s[8:9], vcc
	s_cbranch_execz .LBB125_242
; %bb.234:
	v_mov_b32_e32 v4, s89
	buffer_load_dword v1, v4, s[0:3], 0 offen
	buffer_load_dword v2, v4, s[0:3], 0 offen offset:4
	buffer_load_dword v3, v4, s[0:3], 0 offen offset:8
	s_nop 0
	buffer_load_dword v4, v4, s[0:3], 0 offen offset:12
	s_movk_i32 s6, 0x130
	s_waitcnt vmcnt(0)
	ds_write2_b64 v125, v[1:2], v[3:4] offset1:1
.LBB125_235:                            ; =>This Inner Loop Header: Depth=1
	v_mov_b32_e32 v7, s6
	buffer_load_dword v1, v7, s[0:3], 0 offen
	buffer_load_dword v2, v7, s[0:3], 0 offen offset:4
	buffer_load_dword v3, v7, s[0:3], 0 offen offset:8
	;; [unrolled: 1-line block ×15, first 2 shown]
	v_add_u32_e32 v22, s6, v6
	s_addk_i32 s6, 0xb0
	s_cmpk_lg_i32 s6, 0x3f0
	s_waitcnt vmcnt(12)
	ds_write2_b64 v22, v[1:2], v[3:4] offset1:1
	s_waitcnt vmcnt(8)
	ds_write2_b64 v22, v[10:11], v[12:13] offset0:2 offset1:3
	s_waitcnt vmcnt(4)
	ds_write2_b64 v22, v[14:15], v[16:17] offset0:4 offset1:5
	;; [unrolled: 2-line block ×3, first 2 shown]
	buffer_load_dword v2, v7, s[0:3], 0 offen offset:76
	buffer_load_dword v1, v7, s[0:3], 0 offen offset:72
	buffer_load_dword v4, v7, s[0:3], 0 offen offset:68
	buffer_load_dword v3, v7, s[0:3], 0 offen offset:64
	s_waitcnt vmcnt(0)
	ds_write2_b64 v22, v[3:4], v[1:2] offset0:8 offset1:9
	buffer_load_dword v2, v7, s[0:3], 0 offen offset:92
	buffer_load_dword v1, v7, s[0:3], 0 offen offset:88
	buffer_load_dword v4, v7, s[0:3], 0 offen offset:84
	buffer_load_dword v3, v7, s[0:3], 0 offen offset:80
	s_waitcnt vmcnt(0)
	ds_write2_b64 v22, v[3:4], v[1:2] offset0:10 offset1:11
	;; [unrolled: 6-line block ×7, first 2 shown]
	s_cbranch_scc1 .LBB125_235
; %bb.236:
	ds_read2_b64 v[1:4], v125 offset1:1
	s_waitcnt lgkmcnt(0)
	v_cmp_neq_f64_e32 vcc, 0, v[1:2]
	v_cmp_neq_f64_e64 s[6:7], 0, v[3:4]
	s_or_b64 s[6:7], vcc, s[6:7]
	s_and_b64 exec, exec, s[6:7]
	s_cbranch_execz .LBB125_242
; %bb.237:
	v_cmp_ngt_f64_e64 s[6:7], |v[1:2]|, |v[3:4]|
                                        ; implicit-def: $vgpr10_vgpr11
	s_and_saveexec_b64 s[10:11], s[6:7]
	s_xor_b64 s[6:7], exec, s[10:11]
                                        ; implicit-def: $vgpr12_vgpr13
	s_cbranch_execz .LBB125_239
; %bb.238:
	v_div_scale_f64 v[10:11], s[10:11], v[3:4], v[3:4], v[1:2]
	v_rcp_f64_e32 v[12:13], v[10:11]
	v_fma_f64 v[14:15], -v[10:11], v[12:13], 1.0
	v_fma_f64 v[12:13], v[12:13], v[14:15], v[12:13]
	v_div_scale_f64 v[14:15], vcc, v[1:2], v[3:4], v[1:2]
	v_fma_f64 v[16:17], -v[10:11], v[12:13], 1.0
	v_fma_f64 v[12:13], v[12:13], v[16:17], v[12:13]
	v_mul_f64 v[16:17], v[14:15], v[12:13]
	v_fma_f64 v[10:11], -v[10:11], v[16:17], v[14:15]
	v_div_fmas_f64 v[10:11], v[10:11], v[12:13], v[16:17]
	v_div_fixup_f64 v[10:11], v[10:11], v[3:4], v[1:2]
	v_fma_f64 v[1:2], v[1:2], v[10:11], v[3:4]
	v_div_scale_f64 v[3:4], s[10:11], v[1:2], v[1:2], 1.0
	v_div_scale_f64 v[16:17], vcc, 1.0, v[1:2], 1.0
	v_rcp_f64_e32 v[12:13], v[3:4]
	v_fma_f64 v[14:15], -v[3:4], v[12:13], 1.0
	v_fma_f64 v[12:13], v[12:13], v[14:15], v[12:13]
	v_fma_f64 v[14:15], -v[3:4], v[12:13], 1.0
	v_fma_f64 v[12:13], v[12:13], v[14:15], v[12:13]
	v_mul_f64 v[14:15], v[16:17], v[12:13]
	v_fma_f64 v[3:4], -v[3:4], v[14:15], v[16:17]
	v_div_fmas_f64 v[3:4], v[3:4], v[12:13], v[14:15]
	v_div_fixup_f64 v[12:13], v[3:4], v[1:2], 1.0
                                        ; implicit-def: $vgpr1_vgpr2
	v_mul_f64 v[10:11], v[10:11], v[12:13]
	v_xor_b32_e32 v13, 0x80000000, v13
.LBB125_239:
	s_andn2_saveexec_b64 s[6:7], s[6:7]
	s_cbranch_execz .LBB125_241
; %bb.240:
	v_div_scale_f64 v[10:11], s[10:11], v[1:2], v[1:2], v[3:4]
	v_rcp_f64_e32 v[12:13], v[10:11]
	v_fma_f64 v[14:15], -v[10:11], v[12:13], 1.0
	v_fma_f64 v[12:13], v[12:13], v[14:15], v[12:13]
	v_div_scale_f64 v[14:15], vcc, v[3:4], v[1:2], v[3:4]
	v_fma_f64 v[16:17], -v[10:11], v[12:13], 1.0
	v_fma_f64 v[12:13], v[12:13], v[16:17], v[12:13]
	v_mul_f64 v[16:17], v[14:15], v[12:13]
	v_fma_f64 v[10:11], -v[10:11], v[16:17], v[14:15]
	v_div_fmas_f64 v[10:11], v[10:11], v[12:13], v[16:17]
	v_div_fixup_f64 v[12:13], v[10:11], v[1:2], v[3:4]
	v_fma_f64 v[1:2], v[3:4], v[12:13], v[1:2]
	v_div_scale_f64 v[3:4], s[10:11], v[1:2], v[1:2], 1.0
	v_div_scale_f64 v[16:17], vcc, 1.0, v[1:2], 1.0
	v_rcp_f64_e32 v[10:11], v[3:4]
	v_fma_f64 v[14:15], -v[3:4], v[10:11], 1.0
	v_fma_f64 v[10:11], v[10:11], v[14:15], v[10:11]
	v_fma_f64 v[14:15], -v[3:4], v[10:11], 1.0
	v_fma_f64 v[10:11], v[10:11], v[14:15], v[10:11]
	v_mul_f64 v[14:15], v[16:17], v[10:11]
	v_fma_f64 v[3:4], -v[3:4], v[14:15], v[16:17]
	v_div_fmas_f64 v[3:4], v[3:4], v[10:11], v[14:15]
	v_div_fixup_f64 v[10:11], v[3:4], v[1:2], 1.0
	v_mul_f64 v[12:13], v[12:13], -v[10:11]
.LBB125_241:
	s_or_b64 exec, exec, s[6:7]
	ds_write2_b64 v125, v[10:11], v[12:13] offset1:1
.LBB125_242:
	s_or_b64 exec, exec, s[8:9]
	s_waitcnt lgkmcnt(0)
	s_barrier
	ds_read2_b64 v[1:4], v125 offset1:1
	v_cmp_lt_u32_e32 vcc, 18, v0
	s_waitcnt lgkmcnt(0)
	buffer_store_dword v1, off, s[0:3], 0 offset:1720 ; 4-byte Folded Spill
	s_nop 0
	buffer_store_dword v2, off, s[0:3], 0 offset:1724 ; 4-byte Folded Spill
	buffer_store_dword v3, off, s[0:3], 0 offset:1728 ; 4-byte Folded Spill
	;; [unrolled: 1-line block ×3, first 2 shown]
	s_and_saveexec_b64 s[6:7], vcc
	s_cbranch_execz .LBB125_245
; %bb.243:
	buffer_load_dword v1, off, s[0:3], 0 offset:296
	buffer_load_dword v2, off, s[0:3], 0 offset:300
	;; [unrolled: 1-line block ×4, first 2 shown]
	buffer_load_dword v12, off, s[0:3], 0 offset:1720 ; 4-byte Folded Reload
	buffer_load_dword v13, off, s[0:3], 0 offset:1724 ; 4-byte Folded Reload
	;; [unrolled: 1-line block ×4, first 2 shown]
	s_movk_i32 s8, 0x130
	s_waitcnt vmcnt(0)
	v_mul_f64 v[10:11], v[14:15], v[1:2]
	v_mul_f64 v[1:2], v[12:13], v[1:2]
	v_fma_f64 v[10:11], v[12:13], v[3:4], -v[10:11]
	v_fma_f64 v[1:2], v[14:15], v[3:4], v[1:2]
	buffer_store_dword v10, off, s[0:3], 0 offset:288
	buffer_store_dword v11, off, s[0:3], 0 offset:292
	;; [unrolled: 1-line block ×4, first 2 shown]
.LBB125_244:                            ; =>This Inner Loop Header: Depth=1
	buffer_load_dword v3, off, s[0:3], 0 offset:296
	buffer_load_dword v4, off, s[0:3], 0 offset:300
	buffer_load_dword v14, off, s[0:3], 0 offset:288
	buffer_load_dword v15, off, s[0:3], 0 offset:292
	v_mov_b32_e32 v1, s8
	buffer_load_dword v16, v1, s[0:3], 0 offen
	buffer_load_dword v17, v1, s[0:3], 0 offen offset:4
	buffer_load_dword v18, v1, s[0:3], 0 offen offset:8
	;; [unrolled: 1-line block ×3, first 2 shown]
	v_add_u32_e32 v2, s8, v6
	ds_read2_b64 v[10:13], v2 offset1:1
	buffer_load_dword v20, v1, s[0:3], 0 offen offset:16
	buffer_load_dword v21, v1, s[0:3], 0 offen offset:20
	;; [unrolled: 1-line block ×3, first 2 shown]
	s_add_i32 s8, s8, 64
	s_cmpk_lg_i32 s8, 0x3f0
	s_waitcnt vmcnt(9) lgkmcnt(0)
	v_mul_f64 v[23:24], v[12:13], v[3:4]
	v_mul_f64 v[3:4], v[10:11], v[3:4]
	s_waitcnt vmcnt(7)
	v_fma_f64 v[10:11], v[10:11], v[14:15], -v[23:24]
	v_fma_f64 v[3:4], v[12:13], v[14:15], v[3:4]
	s_waitcnt vmcnt(5)
	v_add_f64 v[10:11], v[16:17], -v[10:11]
	s_waitcnt vmcnt(3)
	v_add_f64 v[3:4], v[18:19], -v[3:4]
	buffer_store_dword v11, v1, s[0:3], 0 offen offset:4
	buffer_store_dword v10, v1, s[0:3], 0 offen
	buffer_store_dword v4, v1, s[0:3], 0 offen offset:12
	buffer_store_dword v3, v1, s[0:3], 0 offen offset:8
	buffer_load_dword v4, off, s[0:3], 0 offset:300
	s_nop 0
	buffer_load_dword v3, off, s[0:3], 0 offset:296
	buffer_load_dword v15, off, s[0:3], 0 offset:292
	;; [unrolled: 1-line block ×3, first 2 shown]
	buffer_load_dword v23, v1, s[0:3], 0 offen offset:28
	ds_read2_b64 v[10:13], v2 offset0:2 offset1:3
	buffer_load_dword v16, v1, s[0:3], 0 offen offset:32
	s_waitcnt vmcnt(4) lgkmcnt(0)
	v_mul_f64 v[17:18], v[12:13], v[3:4]
	v_mul_f64 v[3:4], v[10:11], v[3:4]
	s_waitcnt vmcnt(2)
	v_fma_f64 v[10:11], v[10:11], v[14:15], -v[17:18]
	v_fma_f64 v[3:4], v[12:13], v[14:15], v[3:4]
	v_add_f64 v[10:11], v[20:21], -v[10:11]
	s_waitcnt vmcnt(1)
	v_add_f64 v[3:4], v[22:23], -v[3:4]
	buffer_store_dword v11, v1, s[0:3], 0 offen offset:20
	buffer_store_dword v10, v1, s[0:3], 0 offen offset:16
	buffer_store_dword v4, v1, s[0:3], 0 offen offset:28
	buffer_store_dword v3, v1, s[0:3], 0 offen offset:24
	buffer_load_dword v3, off, s[0:3], 0 offset:296
	s_nop 0
	buffer_load_dword v4, off, s[0:3], 0 offset:300
	buffer_load_dword v14, off, s[0:3], 0 offset:288
	;; [unrolled: 1-line block ×3, first 2 shown]
	buffer_load_dword v17, v1, s[0:3], 0 offen offset:36
	buffer_load_dword v18, v1, s[0:3], 0 offen offset:40
	;; [unrolled: 1-line block ×3, first 2 shown]
	ds_read2_b64 v[10:13], v2 offset0:4 offset1:5
	s_waitcnt vmcnt(5) lgkmcnt(0)
	v_mul_f64 v[20:21], v[12:13], v[3:4]
	v_mul_f64 v[3:4], v[10:11], v[3:4]
	s_waitcnt vmcnt(3)
	v_fma_f64 v[10:11], v[10:11], v[14:15], -v[20:21]
	v_fma_f64 v[3:4], v[12:13], v[14:15], v[3:4]
	s_waitcnt vmcnt(2)
	v_add_f64 v[10:11], v[16:17], -v[10:11]
	s_waitcnt vmcnt(0)
	v_add_f64 v[3:4], v[18:19], -v[3:4]
	buffer_store_dword v11, v1, s[0:3], 0 offen offset:36
	buffer_store_dword v10, v1, s[0:3], 0 offen offset:32
	;; [unrolled: 1-line block ×4, first 2 shown]
	buffer_load_dword v3, off, s[0:3], 0 offset:296
	s_nop 0
	buffer_load_dword v4, off, s[0:3], 0 offset:300
	buffer_load_dword v14, off, s[0:3], 0 offset:288
	;; [unrolled: 1-line block ×3, first 2 shown]
	buffer_load_dword v16, v1, s[0:3], 0 offen offset:48
	buffer_load_dword v17, v1, s[0:3], 0 offen offset:52
	;; [unrolled: 1-line block ×4, first 2 shown]
	ds_read2_b64 v[10:13], v2 offset0:6 offset1:7
	s_waitcnt vmcnt(6) lgkmcnt(0)
	v_mul_f64 v[20:21], v[12:13], v[3:4]
	v_mul_f64 v[2:3], v[10:11], v[3:4]
	s_waitcnt vmcnt(4)
	v_fma_f64 v[10:11], v[10:11], v[14:15], -v[20:21]
	v_fma_f64 v[2:3], v[12:13], v[14:15], v[2:3]
	s_waitcnt vmcnt(2)
	v_add_f64 v[10:11], v[16:17], -v[10:11]
	s_waitcnt vmcnt(0)
	v_add_f64 v[2:3], v[18:19], -v[2:3]
	buffer_store_dword v11, v1, s[0:3], 0 offen offset:52
	buffer_store_dword v10, v1, s[0:3], 0 offen offset:48
	;; [unrolled: 1-line block ×4, first 2 shown]
	s_cbranch_scc1 .LBB125_244
.LBB125_245:
	s_or_b64 exec, exec, s[6:7]
	v_cmp_eq_u32_e32 vcc, 19, v0
	s_waitcnt vmcnt(0)
	s_barrier
	s_and_saveexec_b64 s[8:9], vcc
	s_cbranch_execz .LBB125_256
; %bb.246:
	v_mov_b32_e32 v4, s88
	buffer_load_dword v1, v4, s[0:3], 0 offen
	buffer_load_dword v2, v4, s[0:3], 0 offen offset:4
	buffer_load_dword v3, v4, s[0:3], 0 offen offset:8
	s_nop 0
	buffer_load_dword v4, v4, s[0:3], 0 offen offset:12
	s_movk_i32 s10, 0x140
	s_waitcnt vmcnt(0)
	ds_write2_b64 v125, v[1:2], v[3:4] offset1:1
	s_branch .LBB125_248
.LBB125_247:                            ;   in Loop: Header=BB125_248 Depth=1
	s_andn2_b64 vcc, exec, s[6:7]
	s_cbranch_vccz .LBB125_250
.LBB125_248:                            ; =>This Inner Loop Header: Depth=1
	v_mov_b32_e32 v1, s10
	buffer_load_dword v2, v1, s[0:3], 0 offen
	buffer_load_dword v3, v1, s[0:3], 0 offen offset:4
	buffer_load_dword v10, v1, s[0:3], 0 offen offset:8
	;; [unrolled: 1-line block ×11, first 2 shown]
	s_mov_b32 s11, s10
	v_add_u32_e32 v1, s10, v6
	s_cmpk_eq_i32 s10, 0x3c0
	s_mov_b64 s[6:7], -1
	s_waitcnt vmcnt(8)
	ds_write2_b64 v1, v[2:3], v[10:11] offset1:1
	s_waitcnt vmcnt(4)
	ds_write2_b64 v1, v[12:13], v[14:15] offset0:2 offset1:3
	s_waitcnt vmcnt(0)
	ds_write2_b64 v1, v[16:17], v[18:19] offset0:4 offset1:5
	s_cbranch_scc1 .LBB125_247
; %bb.249:                              ;   in Loop: Header=BB125_248 Depth=1
	v_mov_b32_e32 v4, s11
	buffer_load_dword v2, v4, s[0:3], 0 offen offset:48
	buffer_load_dword v3, v4, s[0:3], 0 offen offset:52
	;; [unrolled: 1-line block ×16, first 2 shown]
	s_addk_i32 s10, 0x80
	s_mov_b64 s[6:7], 0
	s_waitcnt vmcnt(12)
	ds_write2_b64 v1, v[2:3], v[10:11] offset0:6 offset1:7
	s_waitcnt vmcnt(8)
	ds_write2_b64 v1, v[12:13], v[14:15] offset0:8 offset1:9
	;; [unrolled: 2-line block ×4, first 2 shown]
	buffer_load_dword v3, v4, s[0:3], 0 offen offset:124
	buffer_load_dword v2, v4, s[0:3], 0 offen offset:120
	;; [unrolled: 1-line block ×4, first 2 shown]
	s_waitcnt vmcnt(0)
	ds_write2_b64 v1, v[10:11], v[2:3] offset0:14 offset1:15
	s_branch .LBB125_247
.LBB125_250:
	ds_read2_b64 v[1:4], v125 offset1:1
	s_waitcnt lgkmcnt(0)
	v_cmp_neq_f64_e32 vcc, 0, v[1:2]
	v_cmp_neq_f64_e64 s[6:7], 0, v[3:4]
	s_or_b64 s[6:7], vcc, s[6:7]
	s_and_b64 exec, exec, s[6:7]
	s_cbranch_execz .LBB125_256
; %bb.251:
	v_cmp_ngt_f64_e64 s[6:7], |v[1:2]|, |v[3:4]|
                                        ; implicit-def: $vgpr10_vgpr11
	s_and_saveexec_b64 s[10:11], s[6:7]
	s_xor_b64 s[6:7], exec, s[10:11]
                                        ; implicit-def: $vgpr12_vgpr13
	s_cbranch_execz .LBB125_253
; %bb.252:
	v_div_scale_f64 v[10:11], s[10:11], v[3:4], v[3:4], v[1:2]
	v_rcp_f64_e32 v[12:13], v[10:11]
	v_fma_f64 v[14:15], -v[10:11], v[12:13], 1.0
	v_fma_f64 v[12:13], v[12:13], v[14:15], v[12:13]
	v_div_scale_f64 v[14:15], vcc, v[1:2], v[3:4], v[1:2]
	v_fma_f64 v[16:17], -v[10:11], v[12:13], 1.0
	v_fma_f64 v[12:13], v[12:13], v[16:17], v[12:13]
	v_mul_f64 v[16:17], v[14:15], v[12:13]
	v_fma_f64 v[10:11], -v[10:11], v[16:17], v[14:15]
	v_div_fmas_f64 v[10:11], v[10:11], v[12:13], v[16:17]
	v_div_fixup_f64 v[10:11], v[10:11], v[3:4], v[1:2]
	v_fma_f64 v[1:2], v[1:2], v[10:11], v[3:4]
	v_div_scale_f64 v[3:4], s[10:11], v[1:2], v[1:2], 1.0
	v_div_scale_f64 v[16:17], vcc, 1.0, v[1:2], 1.0
	v_rcp_f64_e32 v[12:13], v[3:4]
	v_fma_f64 v[14:15], -v[3:4], v[12:13], 1.0
	v_fma_f64 v[12:13], v[12:13], v[14:15], v[12:13]
	v_fma_f64 v[14:15], -v[3:4], v[12:13], 1.0
	v_fma_f64 v[12:13], v[12:13], v[14:15], v[12:13]
	v_mul_f64 v[14:15], v[16:17], v[12:13]
	v_fma_f64 v[3:4], -v[3:4], v[14:15], v[16:17]
	v_div_fmas_f64 v[3:4], v[3:4], v[12:13], v[14:15]
	v_div_fixup_f64 v[12:13], v[3:4], v[1:2], 1.0
                                        ; implicit-def: $vgpr1_vgpr2
	v_mul_f64 v[10:11], v[10:11], v[12:13]
	v_xor_b32_e32 v13, 0x80000000, v13
.LBB125_253:
	s_andn2_saveexec_b64 s[6:7], s[6:7]
	s_cbranch_execz .LBB125_255
; %bb.254:
	v_div_scale_f64 v[10:11], s[10:11], v[1:2], v[1:2], v[3:4]
	v_rcp_f64_e32 v[12:13], v[10:11]
	v_fma_f64 v[14:15], -v[10:11], v[12:13], 1.0
	v_fma_f64 v[12:13], v[12:13], v[14:15], v[12:13]
	v_div_scale_f64 v[14:15], vcc, v[3:4], v[1:2], v[3:4]
	v_fma_f64 v[16:17], -v[10:11], v[12:13], 1.0
	v_fma_f64 v[12:13], v[12:13], v[16:17], v[12:13]
	v_mul_f64 v[16:17], v[14:15], v[12:13]
	v_fma_f64 v[10:11], -v[10:11], v[16:17], v[14:15]
	v_div_fmas_f64 v[10:11], v[10:11], v[12:13], v[16:17]
	v_div_fixup_f64 v[12:13], v[10:11], v[1:2], v[3:4]
	v_fma_f64 v[1:2], v[3:4], v[12:13], v[1:2]
	v_div_scale_f64 v[3:4], s[10:11], v[1:2], v[1:2], 1.0
	v_div_scale_f64 v[16:17], vcc, 1.0, v[1:2], 1.0
	v_rcp_f64_e32 v[10:11], v[3:4]
	v_fma_f64 v[14:15], -v[3:4], v[10:11], 1.0
	v_fma_f64 v[10:11], v[10:11], v[14:15], v[10:11]
	v_fma_f64 v[14:15], -v[3:4], v[10:11], 1.0
	v_fma_f64 v[10:11], v[10:11], v[14:15], v[10:11]
	v_mul_f64 v[14:15], v[16:17], v[10:11]
	v_fma_f64 v[3:4], -v[3:4], v[14:15], v[16:17]
	v_div_fmas_f64 v[3:4], v[3:4], v[10:11], v[14:15]
	v_div_fixup_f64 v[10:11], v[3:4], v[1:2], 1.0
	v_mul_f64 v[12:13], v[12:13], -v[10:11]
.LBB125_255:
	s_or_b64 exec, exec, s[6:7]
	ds_write2_b64 v125, v[10:11], v[12:13] offset1:1
.LBB125_256:
	s_or_b64 exec, exec, s[8:9]
	s_waitcnt lgkmcnt(0)
	s_barrier
	ds_read2_b64 v[23:26], v125 offset1:1
	v_cmp_lt_u32_e32 vcc, 19, v0
	s_and_saveexec_b64 s[6:7], vcc
	s_cbranch_execz .LBB125_261
; %bb.257:
	buffer_load_dword v1, off, s[0:3], 0 offset:312
	buffer_load_dword v2, off, s[0:3], 0 offset:316
	buffer_load_dword v3, off, s[0:3], 0 offset:304
	buffer_load_dword v4, off, s[0:3], 0 offset:308
	s_movk_i32 s10, 0x140
	s_waitcnt vmcnt(2) lgkmcnt(0)
	v_mul_f64 v[10:11], v[25:26], v[1:2]
	v_mul_f64 v[12:13], v[23:24], v[1:2]
	s_waitcnt vmcnt(0)
	v_fma_f64 v[1:2], v[23:24], v[3:4], -v[10:11]
	v_fma_f64 v[3:4], v[25:26], v[3:4], v[12:13]
	buffer_store_dword v1, off, s[0:3], 0 offset:304
	buffer_store_dword v2, off, s[0:3], 0 offset:308
	;; [unrolled: 1-line block ×4, first 2 shown]
	s_branch .LBB125_259
.LBB125_258:                            ;   in Loop: Header=BB125_259 Depth=1
	s_andn2_b64 vcc, exec, s[8:9]
	s_cbranch_vccz .LBB125_261
.LBB125_259:                            ; =>This Inner Loop Header: Depth=1
	v_mov_b32_e32 v20, s10
	buffer_load_dword v14, v20, s[0:3], 0 offen
	buffer_load_dword v15, v20, s[0:3], 0 offen offset:4
	buffer_load_dword v16, v20, s[0:3], 0 offen offset:8
	;; [unrolled: 1-line block ×3, first 2 shown]
	v_add_u32_e32 v7, s10, v6
	ds_read2_b64 v[10:13], v7 offset1:1
	s_mov_b32 s11, s10
	s_cmpk_eq_i32 s10, 0x3c0
	s_mov_b64 s[8:9], -1
	s_waitcnt vmcnt(4) lgkmcnt(0)
	v_mul_f64 v[18:19], v[12:13], v[3:4]
	v_mul_f64 v[3:4], v[10:11], v[3:4]
	v_fma_f64 v[10:11], v[10:11], v[1:2], -v[18:19]
	v_fma_f64 v[1:2], v[12:13], v[1:2], v[3:4]
	s_waitcnt vmcnt(2)
	v_add_f64 v[3:4], v[14:15], -v[10:11]
	s_waitcnt vmcnt(0)
	v_add_f64 v[1:2], v[16:17], -v[1:2]
	buffer_store_dword v4, v20, s[0:3], 0 offen offset:4
	buffer_store_dword v3, v20, s[0:3], 0 offen
	buffer_store_dword v2, v20, s[0:3], 0 offen offset:12
	buffer_store_dword v1, v20, s[0:3], 0 offen offset:8
	buffer_load_dword v11, off, s[0:3], 0 offset:316
	buffer_load_dword v10, off, s[0:3], 0 offset:312
	;; [unrolled: 1-line block ×4, first 2 shown]
	buffer_load_dword v15, v20, s[0:3], 0 offen offset:20
	buffer_load_dword v14, v20, s[0:3], 0 offen offset:16
	;; [unrolled: 1-line block ×4, first 2 shown]
	ds_read2_b64 v[1:4], v7 offset0:2 offset1:3
	s_waitcnt vmcnt(6) lgkmcnt(0)
	v_mul_f64 v[18:19], v[3:4], v[10:11]
	v_mul_f64 v[10:11], v[1:2], v[10:11]
	s_waitcnt vmcnt(4)
	v_fma_f64 v[1:2], v[1:2], v[12:13], -v[18:19]
	v_fma_f64 v[3:4], v[3:4], v[12:13], v[10:11]
	s_waitcnt vmcnt(2)
	v_add_f64 v[1:2], v[14:15], -v[1:2]
	s_waitcnt vmcnt(0)
	v_add_f64 v[3:4], v[16:17], -v[3:4]
	buffer_store_dword v2, v20, s[0:3], 0 offen offset:20
	buffer_store_dword v1, v20, s[0:3], 0 offen offset:16
	;; [unrolled: 1-line block ×4, first 2 shown]
	buffer_load_dword v10, off, s[0:3], 0 offset:312
	buffer_load_dword v11, off, s[0:3], 0 offset:316
	;; [unrolled: 1-line block ×4, first 2 shown]
	buffer_load_dword v15, v20, s[0:3], 0 offen offset:36
	buffer_load_dword v14, v20, s[0:3], 0 offen offset:32
	buffer_load_dword v16, v20, s[0:3], 0 offen offset:40
	buffer_load_dword v17, v20, s[0:3], 0 offen offset:44
	ds_read2_b64 v[1:4], v7 offset0:4 offset1:5
	s_waitcnt vmcnt(6) lgkmcnt(0)
	v_mul_f64 v[18:19], v[3:4], v[10:11]
	v_mul_f64 v[10:11], v[1:2], v[10:11]
	s_waitcnt vmcnt(4)
	v_fma_f64 v[1:2], v[1:2], v[12:13], -v[18:19]
	v_fma_f64 v[3:4], v[3:4], v[12:13], v[10:11]
	s_waitcnt vmcnt(2)
	v_add_f64 v[1:2], v[14:15], -v[1:2]
	s_waitcnt vmcnt(0)
	v_add_f64 v[3:4], v[16:17], -v[3:4]
	buffer_store_dword v2, v20, s[0:3], 0 offen offset:36
	buffer_store_dword v1, v20, s[0:3], 0 offen offset:32
	;; [unrolled: 1-line block ×4, first 2 shown]
                                        ; implicit-def: $vgpr1_vgpr2
                                        ; implicit-def: $vgpr3_vgpr4
	s_cbranch_scc1 .LBB125_258
; %bb.260:                              ;   in Loop: Header=BB125_259 Depth=1
	ds_read2_b64 v[1:4], v7 offset0:6 offset1:7
	buffer_load_dword v10, off, s[0:3], 0 offset:304
	buffer_load_dword v11, off, s[0:3], 0 offset:308
	buffer_load_dword v12, off, s[0:3], 0 offset:312
	buffer_load_dword v13, off, s[0:3], 0 offset:316
	v_mov_b32_e32 v7, s11
	s_add_i32 s10, s10, 64
	s_mov_b64 s[8:9], 0
	s_waitcnt vmcnt(0) lgkmcnt(0)
	v_mul_f64 v[14:15], v[3:4], v[12:13]
	v_fma_f64 v[14:15], v[1:2], v[10:11], -v[14:15]
	v_mul_f64 v[1:2], v[1:2], v[12:13]
	v_fma_f64 v[1:2], v[3:4], v[10:11], v[1:2]
	buffer_load_dword v3, v7, s[0:3], 0 offen offset:48
	buffer_load_dword v4, v7, s[0:3], 0 offen offset:52
	;; [unrolled: 1-line block ×4, first 2 shown]
	s_waitcnt vmcnt(2)
	v_add_f64 v[3:4], v[3:4], -v[14:15]
	s_waitcnt vmcnt(0)
	v_add_f64 v[1:2], v[10:11], -v[1:2]
	buffer_store_dword v4, v7, s[0:3], 0 offen offset:52
	buffer_store_dword v3, v7, s[0:3], 0 offen offset:48
	;; [unrolled: 1-line block ×4, first 2 shown]
	buffer_load_dword v2, off, s[0:3], 0 offset:308
	s_nop 0
	buffer_load_dword v1, off, s[0:3], 0 offset:304
	buffer_load_dword v4, off, s[0:3], 0 offset:316
	;; [unrolled: 1-line block ×3, first 2 shown]
	s_branch .LBB125_258
.LBB125_261:
	s_or_b64 exec, exec, s[6:7]
	v_cmp_eq_u32_e32 vcc, 20, v0
	s_waitcnt vmcnt(0) lgkmcnt(0)
	s_barrier
	s_and_saveexec_b64 s[8:9], vcc
	s_cbranch_execz .LBB125_270
; %bb.262:
	v_mov_b32_e32 v4, s87
	buffer_load_dword v1, v4, s[0:3], 0 offen
	buffer_load_dword v2, v4, s[0:3], 0 offen offset:4
	buffer_load_dword v3, v4, s[0:3], 0 offen offset:8
	s_nop 0
	buffer_load_dword v4, v4, s[0:3], 0 offen offset:12
	s_movk_i32 s6, 0x150
	s_waitcnt vmcnt(0)
	ds_write2_b64 v125, v[1:2], v[3:4] offset1:1
.LBB125_263:                            ; =>This Inner Loop Header: Depth=1
	v_mov_b32_e32 v7, s6
	buffer_load_dword v1, v7, s[0:3], 0 offen
	buffer_load_dword v2, v7, s[0:3], 0 offen offset:4
	buffer_load_dword v3, v7, s[0:3], 0 offen offset:8
	;; [unrolled: 1-line block ×15, first 2 shown]
	v_add_u32_e32 v22, s6, v6
	s_addk_i32 s6, 0xe0
	s_cmpk_lg_i32 s6, 0x3f0
	s_waitcnt vmcnt(12)
	ds_write2_b64 v22, v[1:2], v[3:4] offset1:1
	s_waitcnt vmcnt(8)
	ds_write2_b64 v22, v[10:11], v[12:13] offset0:2 offset1:3
	s_waitcnt vmcnt(4)
	ds_write2_b64 v22, v[14:15], v[16:17] offset0:4 offset1:5
	;; [unrolled: 2-line block ×3, first 2 shown]
	buffer_load_dword v2, v7, s[0:3], 0 offen offset:76
	buffer_load_dword v1, v7, s[0:3], 0 offen offset:72
	buffer_load_dword v4, v7, s[0:3], 0 offen offset:68
	buffer_load_dword v3, v7, s[0:3], 0 offen offset:64
	s_waitcnt vmcnt(0)
	ds_write2_b64 v22, v[3:4], v[1:2] offset0:8 offset1:9
	buffer_load_dword v2, v7, s[0:3], 0 offen offset:92
	buffer_load_dword v1, v7, s[0:3], 0 offen offset:88
	buffer_load_dword v4, v7, s[0:3], 0 offen offset:84
	buffer_load_dword v3, v7, s[0:3], 0 offen offset:80
	s_waitcnt vmcnt(0)
	ds_write2_b64 v22, v[3:4], v[1:2] offset0:10 offset1:11
	;; [unrolled: 6-line block ×10, first 2 shown]
	s_cbranch_scc1 .LBB125_263
; %bb.264:
	ds_read2_b64 v[1:4], v125 offset1:1
	s_waitcnt lgkmcnt(0)
	v_cmp_neq_f64_e32 vcc, 0, v[1:2]
	v_cmp_neq_f64_e64 s[6:7], 0, v[3:4]
	s_or_b64 s[6:7], vcc, s[6:7]
	s_and_b64 exec, exec, s[6:7]
	s_cbranch_execz .LBB125_270
; %bb.265:
	v_cmp_ngt_f64_e64 s[6:7], |v[1:2]|, |v[3:4]|
                                        ; implicit-def: $vgpr10_vgpr11
	s_and_saveexec_b64 s[10:11], s[6:7]
	s_xor_b64 s[6:7], exec, s[10:11]
                                        ; implicit-def: $vgpr12_vgpr13
	s_cbranch_execz .LBB125_267
; %bb.266:
	v_div_scale_f64 v[10:11], s[10:11], v[3:4], v[3:4], v[1:2]
	v_rcp_f64_e32 v[12:13], v[10:11]
	v_fma_f64 v[14:15], -v[10:11], v[12:13], 1.0
	v_fma_f64 v[12:13], v[12:13], v[14:15], v[12:13]
	v_div_scale_f64 v[14:15], vcc, v[1:2], v[3:4], v[1:2]
	v_fma_f64 v[16:17], -v[10:11], v[12:13], 1.0
	v_fma_f64 v[12:13], v[12:13], v[16:17], v[12:13]
	v_mul_f64 v[16:17], v[14:15], v[12:13]
	v_fma_f64 v[10:11], -v[10:11], v[16:17], v[14:15]
	v_div_fmas_f64 v[10:11], v[10:11], v[12:13], v[16:17]
	v_div_fixup_f64 v[10:11], v[10:11], v[3:4], v[1:2]
	v_fma_f64 v[1:2], v[1:2], v[10:11], v[3:4]
	v_div_scale_f64 v[3:4], s[10:11], v[1:2], v[1:2], 1.0
	v_div_scale_f64 v[16:17], vcc, 1.0, v[1:2], 1.0
	v_rcp_f64_e32 v[12:13], v[3:4]
	v_fma_f64 v[14:15], -v[3:4], v[12:13], 1.0
	v_fma_f64 v[12:13], v[12:13], v[14:15], v[12:13]
	v_fma_f64 v[14:15], -v[3:4], v[12:13], 1.0
	v_fma_f64 v[12:13], v[12:13], v[14:15], v[12:13]
	v_mul_f64 v[14:15], v[16:17], v[12:13]
	v_fma_f64 v[3:4], -v[3:4], v[14:15], v[16:17]
	v_div_fmas_f64 v[3:4], v[3:4], v[12:13], v[14:15]
	v_div_fixup_f64 v[12:13], v[3:4], v[1:2], 1.0
                                        ; implicit-def: $vgpr1_vgpr2
	v_mul_f64 v[10:11], v[10:11], v[12:13]
	v_xor_b32_e32 v13, 0x80000000, v13
.LBB125_267:
	s_andn2_saveexec_b64 s[6:7], s[6:7]
	s_cbranch_execz .LBB125_269
; %bb.268:
	v_div_scale_f64 v[10:11], s[10:11], v[1:2], v[1:2], v[3:4]
	v_rcp_f64_e32 v[12:13], v[10:11]
	v_fma_f64 v[14:15], -v[10:11], v[12:13], 1.0
	v_fma_f64 v[12:13], v[12:13], v[14:15], v[12:13]
	v_div_scale_f64 v[14:15], vcc, v[3:4], v[1:2], v[3:4]
	v_fma_f64 v[16:17], -v[10:11], v[12:13], 1.0
	v_fma_f64 v[12:13], v[12:13], v[16:17], v[12:13]
	v_mul_f64 v[16:17], v[14:15], v[12:13]
	v_fma_f64 v[10:11], -v[10:11], v[16:17], v[14:15]
	v_div_fmas_f64 v[10:11], v[10:11], v[12:13], v[16:17]
	v_div_fixup_f64 v[12:13], v[10:11], v[1:2], v[3:4]
	v_fma_f64 v[1:2], v[3:4], v[12:13], v[1:2]
	v_div_scale_f64 v[3:4], s[10:11], v[1:2], v[1:2], 1.0
	v_div_scale_f64 v[16:17], vcc, 1.0, v[1:2], 1.0
	v_rcp_f64_e32 v[10:11], v[3:4]
	v_fma_f64 v[14:15], -v[3:4], v[10:11], 1.0
	v_fma_f64 v[10:11], v[10:11], v[14:15], v[10:11]
	v_fma_f64 v[14:15], -v[3:4], v[10:11], 1.0
	v_fma_f64 v[10:11], v[10:11], v[14:15], v[10:11]
	v_mul_f64 v[14:15], v[16:17], v[10:11]
	v_fma_f64 v[3:4], -v[3:4], v[14:15], v[16:17]
	v_div_fmas_f64 v[3:4], v[3:4], v[10:11], v[14:15]
	v_div_fixup_f64 v[10:11], v[3:4], v[1:2], 1.0
	v_mul_f64 v[12:13], v[12:13], -v[10:11]
.LBB125_269:
	s_or_b64 exec, exec, s[6:7]
	ds_write2_b64 v125, v[10:11], v[12:13] offset1:1
.LBB125_270:
	s_or_b64 exec, exec, s[8:9]
	buffer_store_dword v23, off, s[0:3], 0 offset:1992 ; 4-byte Folded Spill
	s_nop 0
	buffer_store_dword v24, off, s[0:3], 0 offset:1996 ; 4-byte Folded Spill
	buffer_store_dword v25, off, s[0:3], 0 offset:2000 ; 4-byte Folded Spill
	;; [unrolled: 1-line block ×3, first 2 shown]
	s_waitcnt vmcnt(0) lgkmcnt(0)
	s_barrier
	ds_read2_b64 v[1:4], v125 offset1:1
	v_cmp_lt_u32_e32 vcc, 20, v0
	s_waitcnt lgkmcnt(0)
	buffer_store_dword v1, off, s[0:3], 0 offset:1736 ; 4-byte Folded Spill
	s_nop 0
	buffer_store_dword v2, off, s[0:3], 0 offset:1740 ; 4-byte Folded Spill
	buffer_store_dword v3, off, s[0:3], 0 offset:1744 ; 4-byte Folded Spill
	;; [unrolled: 1-line block ×3, first 2 shown]
	s_and_saveexec_b64 s[6:7], vcc
	s_cbranch_execz .LBB125_273
; %bb.271:
	buffer_load_dword v1, off, s[0:3], 0 offset:328
	buffer_load_dword v2, off, s[0:3], 0 offset:332
	;; [unrolled: 1-line block ×4, first 2 shown]
	buffer_load_dword v12, off, s[0:3], 0 offset:1736 ; 4-byte Folded Reload
	buffer_load_dword v13, off, s[0:3], 0 offset:1740 ; 4-byte Folded Reload
	;; [unrolled: 1-line block ×4, first 2 shown]
	s_movk_i32 s8, 0x150
	s_waitcnt vmcnt(0)
	v_mul_f64 v[10:11], v[14:15], v[1:2]
	v_mul_f64 v[1:2], v[12:13], v[1:2]
	v_fma_f64 v[10:11], v[12:13], v[3:4], -v[10:11]
	v_fma_f64 v[1:2], v[14:15], v[3:4], v[1:2]
	buffer_store_dword v10, off, s[0:3], 0 offset:320
	buffer_store_dword v11, off, s[0:3], 0 offset:324
	;; [unrolled: 1-line block ×4, first 2 shown]
.LBB125_272:                            ; =>This Inner Loop Header: Depth=1
	buffer_load_dword v3, off, s[0:3], 0 offset:328
	buffer_load_dword v4, off, s[0:3], 0 offset:332
	;; [unrolled: 1-line block ×4, first 2 shown]
	v_mov_b32_e32 v1, s8
	buffer_load_dword v16, v1, s[0:3], 0 offen
	buffer_load_dword v17, v1, s[0:3], 0 offen offset:4
	buffer_load_dword v18, v1, s[0:3], 0 offen offset:8
	;; [unrolled: 1-line block ×3, first 2 shown]
	v_add_u32_e32 v2, s8, v6
	ds_read2_b64 v[10:13], v2 offset1:1
	buffer_load_dword v20, v1, s[0:3], 0 offen offset:16
	buffer_load_dword v21, v1, s[0:3], 0 offen offset:20
	;; [unrolled: 1-line block ×3, first 2 shown]
	s_addk_i32 s8, 0x70
	s_cmpk_lg_i32 s8, 0x3f0
	s_waitcnt vmcnt(9) lgkmcnt(0)
	v_mul_f64 v[23:24], v[12:13], v[3:4]
	v_mul_f64 v[3:4], v[10:11], v[3:4]
	s_waitcnt vmcnt(7)
	v_fma_f64 v[10:11], v[10:11], v[14:15], -v[23:24]
	v_fma_f64 v[3:4], v[12:13], v[14:15], v[3:4]
	s_waitcnt vmcnt(5)
	v_add_f64 v[10:11], v[16:17], -v[10:11]
	s_waitcnt vmcnt(3)
	v_add_f64 v[3:4], v[18:19], -v[3:4]
	buffer_store_dword v11, v1, s[0:3], 0 offen offset:4
	buffer_store_dword v10, v1, s[0:3], 0 offen
	buffer_store_dword v4, v1, s[0:3], 0 offen offset:12
	buffer_store_dword v3, v1, s[0:3], 0 offen offset:8
	buffer_load_dword v4, off, s[0:3], 0 offset:332
	s_nop 0
	buffer_load_dword v3, off, s[0:3], 0 offset:328
	buffer_load_dword v15, off, s[0:3], 0 offset:324
	buffer_load_dword v14, off, s[0:3], 0 offset:320
	buffer_load_dword v23, v1, s[0:3], 0 offen offset:28
	ds_read2_b64 v[10:13], v2 offset0:2 offset1:3
	buffer_load_dword v16, v1, s[0:3], 0 offen offset:32
	buffer_load_dword v17, v1, s[0:3], 0 offen offset:36
	buffer_load_dword v18, v1, s[0:3], 0 offen offset:40
	s_waitcnt vmcnt(6) lgkmcnt(0)
	v_mul_f64 v[24:25], v[12:13], v[3:4]
	v_mul_f64 v[3:4], v[10:11], v[3:4]
	s_waitcnt vmcnt(4)
	v_fma_f64 v[10:11], v[10:11], v[14:15], -v[24:25]
	v_fma_f64 v[3:4], v[12:13], v[14:15], v[3:4]
	v_add_f64 v[10:11], v[20:21], -v[10:11]
	s_waitcnt vmcnt(3)
	v_add_f64 v[3:4], v[22:23], -v[3:4]
	buffer_store_dword v11, v1, s[0:3], 0 offen offset:20
	buffer_store_dword v10, v1, s[0:3], 0 offen offset:16
	buffer_store_dword v4, v1, s[0:3], 0 offen offset:28
	buffer_store_dword v3, v1, s[0:3], 0 offen offset:24
	buffer_load_dword v3, off, s[0:3], 0 offset:328
	s_nop 0
	buffer_load_dword v4, off, s[0:3], 0 offset:332
	buffer_load_dword v14, off, s[0:3], 0 offset:320
	buffer_load_dword v15, off, s[0:3], 0 offset:324
	buffer_load_dword v19, v1, s[0:3], 0 offen offset:44
	ds_read2_b64 v[10:13], v2 offset0:4 offset1:5
	buffer_load_dword v20, v1, s[0:3], 0 offen offset:48
	buffer_load_dword v21, v1, s[0:3], 0 offen offset:52
	buffer_load_dword v22, v1, s[0:3], 0 offen offset:56
	s_waitcnt vmcnt(6) lgkmcnt(0)
	v_mul_f64 v[23:24], v[12:13], v[3:4]
	v_mul_f64 v[3:4], v[10:11], v[3:4]
	s_waitcnt vmcnt(4)
	v_fma_f64 v[10:11], v[10:11], v[14:15], -v[23:24]
	v_fma_f64 v[3:4], v[12:13], v[14:15], v[3:4]
	v_add_f64 v[10:11], v[16:17], -v[10:11]
	s_waitcnt vmcnt(3)
	v_add_f64 v[3:4], v[18:19], -v[3:4]
	buffer_store_dword v11, v1, s[0:3], 0 offen offset:36
	buffer_store_dword v10, v1, s[0:3], 0 offen offset:32
	;; [unrolled: 23-line block ×3, first 2 shown]
	buffer_store_dword v4, v1, s[0:3], 0 offen offset:60
	buffer_store_dword v3, v1, s[0:3], 0 offen offset:56
	buffer_load_dword v3, off, s[0:3], 0 offset:328
	s_nop 0
	buffer_load_dword v4, off, s[0:3], 0 offset:332
	buffer_load_dword v14, off, s[0:3], 0 offset:320
	;; [unrolled: 1-line block ×3, first 2 shown]
	buffer_load_dword v19, v1, s[0:3], 0 offen offset:76
	ds_read2_b64 v[10:13], v2 offset0:8 offset1:9
	buffer_load_dword v20, v1, s[0:3], 0 offen offset:80
	s_waitcnt vmcnt(4) lgkmcnt(0)
	v_mul_f64 v[21:22], v[12:13], v[3:4]
	v_mul_f64 v[3:4], v[10:11], v[3:4]
	s_waitcnt vmcnt(2)
	v_fma_f64 v[10:11], v[10:11], v[14:15], -v[21:22]
	v_fma_f64 v[3:4], v[12:13], v[14:15], v[3:4]
	v_add_f64 v[10:11], v[16:17], -v[10:11]
	s_waitcnt vmcnt(1)
	v_add_f64 v[3:4], v[18:19], -v[3:4]
	buffer_store_dword v11, v1, s[0:3], 0 offen offset:68
	buffer_store_dword v10, v1, s[0:3], 0 offen offset:64
	;; [unrolled: 1-line block ×4, first 2 shown]
	buffer_load_dword v3, off, s[0:3], 0 offset:328
	s_nop 0
	buffer_load_dword v4, off, s[0:3], 0 offset:332
	buffer_load_dword v14, off, s[0:3], 0 offset:320
	;; [unrolled: 1-line block ×3, first 2 shown]
	buffer_load_dword v21, v1, s[0:3], 0 offen offset:84
	buffer_load_dword v16, v1, s[0:3], 0 offen offset:88
	;; [unrolled: 1-line block ×3, first 2 shown]
	ds_read2_b64 v[10:13], v2 offset0:10 offset1:11
	s_waitcnt vmcnt(5) lgkmcnt(0)
	v_mul_f64 v[18:19], v[12:13], v[3:4]
	v_mul_f64 v[3:4], v[10:11], v[3:4]
	s_waitcnt vmcnt(3)
	v_fma_f64 v[10:11], v[10:11], v[14:15], -v[18:19]
	v_fma_f64 v[3:4], v[12:13], v[14:15], v[3:4]
	s_waitcnt vmcnt(2)
	v_add_f64 v[10:11], v[20:21], -v[10:11]
	s_waitcnt vmcnt(0)
	v_add_f64 v[3:4], v[16:17], -v[3:4]
	buffer_store_dword v11, v1, s[0:3], 0 offen offset:84
	buffer_store_dword v10, v1, s[0:3], 0 offen offset:80
	;; [unrolled: 1-line block ×4, first 2 shown]
	buffer_load_dword v3, off, s[0:3], 0 offset:328
	s_nop 0
	buffer_load_dword v4, off, s[0:3], 0 offset:332
	buffer_load_dword v14, off, s[0:3], 0 offset:320
	;; [unrolled: 1-line block ×3, first 2 shown]
	buffer_load_dword v16, v1, s[0:3], 0 offen offset:96
	buffer_load_dword v17, v1, s[0:3], 0 offen offset:100
	;; [unrolled: 1-line block ×4, first 2 shown]
	ds_read2_b64 v[10:13], v2 offset0:12 offset1:13
	s_waitcnt vmcnt(6) lgkmcnt(0)
	v_mul_f64 v[20:21], v[12:13], v[3:4]
	v_mul_f64 v[2:3], v[10:11], v[3:4]
	s_waitcnt vmcnt(4)
	v_fma_f64 v[10:11], v[10:11], v[14:15], -v[20:21]
	v_fma_f64 v[2:3], v[12:13], v[14:15], v[2:3]
	s_waitcnt vmcnt(2)
	v_add_f64 v[10:11], v[16:17], -v[10:11]
	s_waitcnt vmcnt(0)
	v_add_f64 v[2:3], v[18:19], -v[2:3]
	buffer_store_dword v11, v1, s[0:3], 0 offen offset:100
	buffer_store_dword v10, v1, s[0:3], 0 offen offset:96
	;; [unrolled: 1-line block ×4, first 2 shown]
	s_cbranch_scc1 .LBB125_272
.LBB125_273:
	s_or_b64 exec, exec, s[6:7]
	v_cmp_eq_u32_e32 vcc, 21, v0
	s_waitcnt vmcnt(0)
	s_barrier
	s_and_saveexec_b64 s[8:9], vcc
	s_cbranch_execz .LBB125_284
; %bb.274:
	v_mov_b32_e32 v4, s86
	buffer_load_dword v1, v4, s[0:3], 0 offen
	buffer_load_dword v2, v4, s[0:3], 0 offen offset:4
	buffer_load_dword v3, v4, s[0:3], 0 offen offset:8
	s_nop 0
	buffer_load_dword v4, v4, s[0:3], 0 offen offset:12
	s_movk_i32 s10, 0x160
	s_waitcnt vmcnt(0)
	ds_write2_b64 v125, v[1:2], v[3:4] offset1:1
	s_branch .LBB125_276
.LBB125_275:                            ;   in Loop: Header=BB125_276 Depth=1
	s_andn2_b64 vcc, exec, s[6:7]
	s_cbranch_vccz .LBB125_278
.LBB125_276:                            ; =>This Inner Loop Header: Depth=1
	v_mov_b32_e32 v1, s10
	buffer_load_dword v2, v1, s[0:3], 0 offen
	buffer_load_dword v3, v1, s[0:3], 0 offen offset:4
	buffer_load_dword v10, v1, s[0:3], 0 offen offset:8
	;; [unrolled: 1-line block ×3, first 2 shown]
	s_mov_b32 s11, s10
	v_add_u32_e32 v1, s10, v6
	s_cmpk_eq_i32 s10, 0x3e0
	s_mov_b64 s[6:7], -1
	s_waitcnt vmcnt(0)
	ds_write2_b64 v1, v[2:3], v[10:11] offset1:1
	s_cbranch_scc1 .LBB125_275
; %bb.277:                              ;   in Loop: Header=BB125_276 Depth=1
	v_mov_b32_e32 v4, s11
	buffer_load_dword v2, v4, s[0:3], 0 offen offset:16
	buffer_load_dword v3, v4, s[0:3], 0 offen offset:20
	;; [unrolled: 1-line block ×16, first 2 shown]
	s_addk_i32 s10, 0x80
	s_mov_b64 s[6:7], 0
	s_waitcnt vmcnt(12)
	ds_write2_b64 v1, v[2:3], v[10:11] offset0:2 offset1:3
	s_waitcnt vmcnt(8)
	ds_write2_b64 v1, v[12:13], v[14:15] offset0:4 offset1:5
	;; [unrolled: 2-line block ×4, first 2 shown]
	buffer_load_dword v3, v4, s[0:3], 0 offen offset:92
	buffer_load_dword v2, v4, s[0:3], 0 offen offset:88
	buffer_load_dword v11, v4, s[0:3], 0 offen offset:84
	buffer_load_dword v10, v4, s[0:3], 0 offen offset:80
	s_waitcnt vmcnt(0)
	ds_write2_b64 v1, v[10:11], v[2:3] offset0:10 offset1:11
	buffer_load_dword v3, v4, s[0:3], 0 offen offset:108
	buffer_load_dword v2, v4, s[0:3], 0 offen offset:104
	buffer_load_dword v11, v4, s[0:3], 0 offen offset:100
	buffer_load_dword v10, v4, s[0:3], 0 offen offset:96
	s_waitcnt vmcnt(0)
	ds_write2_b64 v1, v[10:11], v[2:3] offset0:12 offset1:13
	;; [unrolled: 6-line block ×3, first 2 shown]
	s_branch .LBB125_275
.LBB125_278:
	ds_read2_b64 v[1:4], v125 offset1:1
	s_waitcnt lgkmcnt(0)
	v_cmp_neq_f64_e32 vcc, 0, v[1:2]
	v_cmp_neq_f64_e64 s[6:7], 0, v[3:4]
	s_or_b64 s[6:7], vcc, s[6:7]
	s_and_b64 exec, exec, s[6:7]
	s_cbranch_execz .LBB125_284
; %bb.279:
	v_cmp_ngt_f64_e64 s[6:7], |v[1:2]|, |v[3:4]|
                                        ; implicit-def: $vgpr10_vgpr11
	s_and_saveexec_b64 s[10:11], s[6:7]
	s_xor_b64 s[6:7], exec, s[10:11]
                                        ; implicit-def: $vgpr12_vgpr13
	s_cbranch_execz .LBB125_281
; %bb.280:
	v_div_scale_f64 v[10:11], s[10:11], v[3:4], v[3:4], v[1:2]
	v_rcp_f64_e32 v[12:13], v[10:11]
	v_fma_f64 v[14:15], -v[10:11], v[12:13], 1.0
	v_fma_f64 v[12:13], v[12:13], v[14:15], v[12:13]
	v_div_scale_f64 v[14:15], vcc, v[1:2], v[3:4], v[1:2]
	v_fma_f64 v[16:17], -v[10:11], v[12:13], 1.0
	v_fma_f64 v[12:13], v[12:13], v[16:17], v[12:13]
	v_mul_f64 v[16:17], v[14:15], v[12:13]
	v_fma_f64 v[10:11], -v[10:11], v[16:17], v[14:15]
	v_div_fmas_f64 v[10:11], v[10:11], v[12:13], v[16:17]
	v_div_fixup_f64 v[10:11], v[10:11], v[3:4], v[1:2]
	v_fma_f64 v[1:2], v[1:2], v[10:11], v[3:4]
	v_div_scale_f64 v[3:4], s[10:11], v[1:2], v[1:2], 1.0
	v_div_scale_f64 v[16:17], vcc, 1.0, v[1:2], 1.0
	v_rcp_f64_e32 v[12:13], v[3:4]
	v_fma_f64 v[14:15], -v[3:4], v[12:13], 1.0
	v_fma_f64 v[12:13], v[12:13], v[14:15], v[12:13]
	v_fma_f64 v[14:15], -v[3:4], v[12:13], 1.0
	v_fma_f64 v[12:13], v[12:13], v[14:15], v[12:13]
	v_mul_f64 v[14:15], v[16:17], v[12:13]
	v_fma_f64 v[3:4], -v[3:4], v[14:15], v[16:17]
	v_div_fmas_f64 v[3:4], v[3:4], v[12:13], v[14:15]
	v_div_fixup_f64 v[12:13], v[3:4], v[1:2], 1.0
                                        ; implicit-def: $vgpr1_vgpr2
	v_mul_f64 v[10:11], v[10:11], v[12:13]
	v_xor_b32_e32 v13, 0x80000000, v13
.LBB125_281:
	s_andn2_saveexec_b64 s[6:7], s[6:7]
	s_cbranch_execz .LBB125_283
; %bb.282:
	v_div_scale_f64 v[10:11], s[10:11], v[1:2], v[1:2], v[3:4]
	v_rcp_f64_e32 v[12:13], v[10:11]
	v_fma_f64 v[14:15], -v[10:11], v[12:13], 1.0
	v_fma_f64 v[12:13], v[12:13], v[14:15], v[12:13]
	v_div_scale_f64 v[14:15], vcc, v[3:4], v[1:2], v[3:4]
	v_fma_f64 v[16:17], -v[10:11], v[12:13], 1.0
	v_fma_f64 v[12:13], v[12:13], v[16:17], v[12:13]
	v_mul_f64 v[16:17], v[14:15], v[12:13]
	v_fma_f64 v[10:11], -v[10:11], v[16:17], v[14:15]
	v_div_fmas_f64 v[10:11], v[10:11], v[12:13], v[16:17]
	v_div_fixup_f64 v[12:13], v[10:11], v[1:2], v[3:4]
	v_fma_f64 v[1:2], v[3:4], v[12:13], v[1:2]
	v_div_scale_f64 v[3:4], s[10:11], v[1:2], v[1:2], 1.0
	v_div_scale_f64 v[16:17], vcc, 1.0, v[1:2], 1.0
	v_rcp_f64_e32 v[10:11], v[3:4]
	v_fma_f64 v[14:15], -v[3:4], v[10:11], 1.0
	v_fma_f64 v[10:11], v[10:11], v[14:15], v[10:11]
	v_fma_f64 v[14:15], -v[3:4], v[10:11], 1.0
	v_fma_f64 v[10:11], v[10:11], v[14:15], v[10:11]
	v_mul_f64 v[14:15], v[16:17], v[10:11]
	v_fma_f64 v[3:4], -v[3:4], v[14:15], v[16:17]
	v_div_fmas_f64 v[3:4], v[3:4], v[10:11], v[14:15]
	v_div_fixup_f64 v[10:11], v[3:4], v[1:2], 1.0
	v_mul_f64 v[12:13], v[12:13], -v[10:11]
.LBB125_283:
	s_or_b64 exec, exec, s[6:7]
	ds_write2_b64 v125, v[10:11], v[12:13] offset1:1
.LBB125_284:
	s_or_b64 exec, exec, s[8:9]
	s_waitcnt lgkmcnt(0)
	s_barrier
	ds_read2_b64 v[23:26], v125 offset1:1
	v_cmp_lt_u32_e32 vcc, 21, v0
	s_and_saveexec_b64 s[6:7], vcc
	s_cbranch_execz .LBB125_289
; %bb.285:
	buffer_load_dword v1, off, s[0:3], 0 offset:344
	buffer_load_dword v2, off, s[0:3], 0 offset:348
	;; [unrolled: 1-line block ×4, first 2 shown]
	s_movk_i32 s10, 0x160
	s_waitcnt vmcnt(2) lgkmcnt(0)
	v_mul_f64 v[10:11], v[25:26], v[1:2]
	v_mul_f64 v[12:13], v[23:24], v[1:2]
	s_waitcnt vmcnt(0)
	v_fma_f64 v[1:2], v[23:24], v[3:4], -v[10:11]
	v_fma_f64 v[3:4], v[25:26], v[3:4], v[12:13]
	buffer_store_dword v1, off, s[0:3], 0 offset:336
	buffer_store_dword v2, off, s[0:3], 0 offset:340
	;; [unrolled: 1-line block ×4, first 2 shown]
	s_branch .LBB125_287
.LBB125_286:                            ;   in Loop: Header=BB125_287 Depth=1
	s_andn2_b64 vcc, exec, s[8:9]
	s_cbranch_vccz .LBB125_289
.LBB125_287:                            ; =>This Inner Loop Header: Depth=1
	v_add_u32_e32 v7, s10, v6
	ds_read2_b64 v[10:13], v7 offset1:1
	s_mov_b32 s11, s10
	s_mov_b64 s[8:9], -1
	s_cmpk_eq_i32 s10, 0x3e0
	s_waitcnt vmcnt(0) lgkmcnt(0)
	v_mul_f64 v[14:15], v[12:13], v[3:4]
	v_mul_f64 v[3:4], v[10:11], v[3:4]
	v_fma_f64 v[14:15], v[10:11], v[1:2], -v[14:15]
	v_fma_f64 v[1:2], v[12:13], v[1:2], v[3:4]
	v_mov_b32_e32 v12, s10
	buffer_load_dword v3, v12, s[0:3], 0 offen
	buffer_load_dword v4, v12, s[0:3], 0 offen offset:4
	buffer_load_dword v10, v12, s[0:3], 0 offen offset:8
	;; [unrolled: 1-line block ×3, first 2 shown]
	s_waitcnt vmcnt(2)
	v_add_f64 v[3:4], v[3:4], -v[14:15]
	s_waitcnt vmcnt(0)
	v_add_f64 v[1:2], v[10:11], -v[1:2]
	buffer_store_dword v3, v12, s[0:3], 0 offen
	buffer_store_dword v4, v12, s[0:3], 0 offen offset:4
	buffer_store_dword v1, v12, s[0:3], 0 offen offset:8
	;; [unrolled: 1-line block ×3, first 2 shown]
                                        ; implicit-def: $vgpr1_vgpr2
                                        ; implicit-def: $vgpr3_vgpr4
	s_cbranch_scc1 .LBB125_286
; %bb.288:                              ;   in Loop: Header=BB125_287 Depth=1
	buffer_load_dword v10, off, s[0:3], 0 offset:344
	buffer_load_dword v11, off, s[0:3], 0 offset:348
	;; [unrolled: 1-line block ×4, first 2 shown]
	v_mov_b32_e32 v20, s11
	buffer_load_dword v14, v20, s[0:3], 0 offen offset:16
	buffer_load_dword v15, v20, s[0:3], 0 offen offset:20
	;; [unrolled: 1-line block ×4, first 2 shown]
	ds_read2_b64 v[1:4], v7 offset0:2 offset1:3
	s_add_i32 s10, s10, 64
	s_mov_b64 s[8:9], 0
	s_waitcnt vmcnt(6) lgkmcnt(0)
	v_mul_f64 v[18:19], v[3:4], v[10:11]
	v_mul_f64 v[10:11], v[1:2], v[10:11]
	s_waitcnt vmcnt(4)
	v_fma_f64 v[1:2], v[1:2], v[12:13], -v[18:19]
	v_fma_f64 v[3:4], v[3:4], v[12:13], v[10:11]
	s_waitcnt vmcnt(2)
	v_add_f64 v[1:2], v[14:15], -v[1:2]
	s_waitcnt vmcnt(0)
	v_add_f64 v[3:4], v[16:17], -v[3:4]
	buffer_store_dword v2, v20, s[0:3], 0 offen offset:20
	buffer_store_dword v1, v20, s[0:3], 0 offen offset:16
	;; [unrolled: 1-line block ×4, first 2 shown]
	buffer_load_dword v11, off, s[0:3], 0 offset:348
	buffer_load_dword v10, off, s[0:3], 0 offset:344
	;; [unrolled: 1-line block ×4, first 2 shown]
	buffer_load_dword v15, v20, s[0:3], 0 offen offset:36
	buffer_load_dword v14, v20, s[0:3], 0 offen offset:32
	;; [unrolled: 1-line block ×4, first 2 shown]
	ds_read2_b64 v[1:4], v7 offset0:4 offset1:5
	s_waitcnt vmcnt(6) lgkmcnt(0)
	v_mul_f64 v[18:19], v[3:4], v[10:11]
	v_mul_f64 v[10:11], v[1:2], v[10:11]
	s_waitcnt vmcnt(4)
	v_fma_f64 v[1:2], v[1:2], v[12:13], -v[18:19]
	v_fma_f64 v[3:4], v[3:4], v[12:13], v[10:11]
	s_waitcnt vmcnt(2)
	v_add_f64 v[1:2], v[14:15], -v[1:2]
	s_waitcnt vmcnt(0)
	v_add_f64 v[3:4], v[16:17], -v[3:4]
	buffer_store_dword v2, v20, s[0:3], 0 offen offset:36
	buffer_store_dword v1, v20, s[0:3], 0 offen offset:32
	;; [unrolled: 1-line block ×4, first 2 shown]
	buffer_load_dword v10, off, s[0:3], 0 offset:344
	buffer_load_dword v11, off, s[0:3], 0 offset:348
	;; [unrolled: 1-line block ×4, first 2 shown]
	buffer_load_dword v15, v20, s[0:3], 0 offen offset:52
	buffer_load_dword v14, v20, s[0:3], 0 offen offset:48
	;; [unrolled: 1-line block ×4, first 2 shown]
	ds_read2_b64 v[1:4], v7 offset0:6 offset1:7
	s_waitcnt vmcnt(6) lgkmcnt(0)
	v_mul_f64 v[18:19], v[3:4], v[10:11]
	v_mul_f64 v[10:11], v[1:2], v[10:11]
	s_waitcnt vmcnt(4)
	v_fma_f64 v[1:2], v[1:2], v[12:13], -v[18:19]
	v_fma_f64 v[3:4], v[3:4], v[12:13], v[10:11]
	s_waitcnt vmcnt(2)
	v_add_f64 v[1:2], v[14:15], -v[1:2]
	s_waitcnt vmcnt(0)
	v_add_f64 v[3:4], v[16:17], -v[3:4]
	buffer_store_dword v2, v20, s[0:3], 0 offen offset:52
	buffer_store_dword v1, v20, s[0:3], 0 offen offset:48
	;; [unrolled: 1-line block ×4, first 2 shown]
	buffer_load_dword v1, off, s[0:3], 0 offset:336
	s_nop 0
	buffer_load_dword v2, off, s[0:3], 0 offset:340
	buffer_load_dword v3, off, s[0:3], 0 offset:344
	;; [unrolled: 1-line block ×3, first 2 shown]
	s_branch .LBB125_286
.LBB125_289:
	s_or_b64 exec, exec, s[6:7]
	v_cmp_eq_u32_e32 vcc, 22, v0
	s_waitcnt vmcnt(0) lgkmcnt(0)
	s_barrier
	s_and_saveexec_b64 s[8:9], vcc
	s_cbranch_execz .LBB125_298
; %bb.290:
	v_mov_b32_e32 v4, s85
	buffer_load_dword v1, v4, s[0:3], 0 offen
	buffer_load_dword v2, v4, s[0:3], 0 offen offset:4
	buffer_load_dword v3, v4, s[0:3], 0 offen offset:8
	s_nop 0
	buffer_load_dword v4, v4, s[0:3], 0 offen offset:12
	s_movk_i32 s6, 0x170
	s_waitcnt vmcnt(0)
	ds_write2_b64 v125, v[1:2], v[3:4] offset1:1
.LBB125_291:                            ; =>This Inner Loop Header: Depth=1
	v_mov_b32_e32 v7, s6
	buffer_load_dword v1, v7, s[0:3], 0 offen
	buffer_load_dword v2, v7, s[0:3], 0 offen offset:4
	buffer_load_dword v3, v7, s[0:3], 0 offen offset:8
	buffer_load_dword v4, v7, s[0:3], 0 offen offset:12
	buffer_load_dword v10, v7, s[0:3], 0 offen offset:16
	buffer_load_dword v11, v7, s[0:3], 0 offen offset:20
	buffer_load_dword v12, v7, s[0:3], 0 offen offset:24
	buffer_load_dword v13, v7, s[0:3], 0 offen offset:28
	buffer_load_dword v14, v7, s[0:3], 0 offen offset:32
	buffer_load_dword v15, v7, s[0:3], 0 offen offset:36
	buffer_load_dword v16, v7, s[0:3], 0 offen offset:40
	buffer_load_dword v17, v7, s[0:3], 0 offen offset:44
	buffer_load_dword v18, v7, s[0:3], 0 offen offset:48
	buffer_load_dword v19, v7, s[0:3], 0 offen offset:52
	buffer_load_dword v20, v7, s[0:3], 0 offen offset:56
	buffer_load_dword v21, v7, s[0:3], 0 offen offset:60
	v_add_u32_e32 v22, s6, v6
	s_addk_i32 s6, 0xa0
	s_cmpk_lg_i32 s6, 0x3f0
	s_waitcnt vmcnt(12)
	ds_write2_b64 v22, v[1:2], v[3:4] offset1:1
	s_waitcnt vmcnt(8)
	ds_write2_b64 v22, v[10:11], v[12:13] offset0:2 offset1:3
	s_waitcnt vmcnt(4)
	ds_write2_b64 v22, v[14:15], v[16:17] offset0:4 offset1:5
	;; [unrolled: 2-line block ×3, first 2 shown]
	buffer_load_dword v2, v7, s[0:3], 0 offen offset:76
	buffer_load_dword v1, v7, s[0:3], 0 offen offset:72
	buffer_load_dword v4, v7, s[0:3], 0 offen offset:68
	buffer_load_dword v3, v7, s[0:3], 0 offen offset:64
	s_waitcnt vmcnt(0)
	ds_write2_b64 v22, v[3:4], v[1:2] offset0:8 offset1:9
	buffer_load_dword v2, v7, s[0:3], 0 offen offset:92
	buffer_load_dword v1, v7, s[0:3], 0 offen offset:88
	buffer_load_dword v4, v7, s[0:3], 0 offen offset:84
	buffer_load_dword v3, v7, s[0:3], 0 offen offset:80
	s_waitcnt vmcnt(0)
	ds_write2_b64 v22, v[3:4], v[1:2] offset0:10 offset1:11
	;; [unrolled: 6-line block ×6, first 2 shown]
	s_cbranch_scc1 .LBB125_291
; %bb.292:
	ds_read2_b64 v[1:4], v125 offset1:1
	s_waitcnt lgkmcnt(0)
	v_cmp_neq_f64_e32 vcc, 0, v[1:2]
	v_cmp_neq_f64_e64 s[6:7], 0, v[3:4]
	s_or_b64 s[6:7], vcc, s[6:7]
	s_and_b64 exec, exec, s[6:7]
	s_cbranch_execz .LBB125_298
; %bb.293:
	v_cmp_ngt_f64_e64 s[6:7], |v[1:2]|, |v[3:4]|
                                        ; implicit-def: $vgpr10_vgpr11
	s_and_saveexec_b64 s[10:11], s[6:7]
	s_xor_b64 s[6:7], exec, s[10:11]
                                        ; implicit-def: $vgpr12_vgpr13
	s_cbranch_execz .LBB125_295
; %bb.294:
	v_div_scale_f64 v[10:11], s[10:11], v[3:4], v[3:4], v[1:2]
	v_rcp_f64_e32 v[12:13], v[10:11]
	v_fma_f64 v[14:15], -v[10:11], v[12:13], 1.0
	v_fma_f64 v[12:13], v[12:13], v[14:15], v[12:13]
	v_div_scale_f64 v[14:15], vcc, v[1:2], v[3:4], v[1:2]
	v_fma_f64 v[16:17], -v[10:11], v[12:13], 1.0
	v_fma_f64 v[12:13], v[12:13], v[16:17], v[12:13]
	v_mul_f64 v[16:17], v[14:15], v[12:13]
	v_fma_f64 v[10:11], -v[10:11], v[16:17], v[14:15]
	v_div_fmas_f64 v[10:11], v[10:11], v[12:13], v[16:17]
	v_div_fixup_f64 v[10:11], v[10:11], v[3:4], v[1:2]
	v_fma_f64 v[1:2], v[1:2], v[10:11], v[3:4]
	v_div_scale_f64 v[3:4], s[10:11], v[1:2], v[1:2], 1.0
	v_div_scale_f64 v[16:17], vcc, 1.0, v[1:2], 1.0
	v_rcp_f64_e32 v[12:13], v[3:4]
	v_fma_f64 v[14:15], -v[3:4], v[12:13], 1.0
	v_fma_f64 v[12:13], v[12:13], v[14:15], v[12:13]
	v_fma_f64 v[14:15], -v[3:4], v[12:13], 1.0
	v_fma_f64 v[12:13], v[12:13], v[14:15], v[12:13]
	v_mul_f64 v[14:15], v[16:17], v[12:13]
	v_fma_f64 v[3:4], -v[3:4], v[14:15], v[16:17]
	v_div_fmas_f64 v[3:4], v[3:4], v[12:13], v[14:15]
	v_div_fixup_f64 v[12:13], v[3:4], v[1:2], 1.0
                                        ; implicit-def: $vgpr1_vgpr2
	v_mul_f64 v[10:11], v[10:11], v[12:13]
	v_xor_b32_e32 v13, 0x80000000, v13
.LBB125_295:
	s_andn2_saveexec_b64 s[6:7], s[6:7]
	s_cbranch_execz .LBB125_297
; %bb.296:
	v_div_scale_f64 v[10:11], s[10:11], v[1:2], v[1:2], v[3:4]
	v_rcp_f64_e32 v[12:13], v[10:11]
	v_fma_f64 v[14:15], -v[10:11], v[12:13], 1.0
	v_fma_f64 v[12:13], v[12:13], v[14:15], v[12:13]
	v_div_scale_f64 v[14:15], vcc, v[3:4], v[1:2], v[3:4]
	v_fma_f64 v[16:17], -v[10:11], v[12:13], 1.0
	v_fma_f64 v[12:13], v[12:13], v[16:17], v[12:13]
	v_mul_f64 v[16:17], v[14:15], v[12:13]
	v_fma_f64 v[10:11], -v[10:11], v[16:17], v[14:15]
	v_div_fmas_f64 v[10:11], v[10:11], v[12:13], v[16:17]
	v_div_fixup_f64 v[12:13], v[10:11], v[1:2], v[3:4]
	v_fma_f64 v[1:2], v[3:4], v[12:13], v[1:2]
	v_div_scale_f64 v[3:4], s[10:11], v[1:2], v[1:2], 1.0
	v_div_scale_f64 v[16:17], vcc, 1.0, v[1:2], 1.0
	v_rcp_f64_e32 v[10:11], v[3:4]
	v_fma_f64 v[14:15], -v[3:4], v[10:11], 1.0
	v_fma_f64 v[10:11], v[10:11], v[14:15], v[10:11]
	v_fma_f64 v[14:15], -v[3:4], v[10:11], 1.0
	v_fma_f64 v[10:11], v[10:11], v[14:15], v[10:11]
	v_mul_f64 v[14:15], v[16:17], v[10:11]
	v_fma_f64 v[3:4], -v[3:4], v[14:15], v[16:17]
	v_div_fmas_f64 v[3:4], v[3:4], v[10:11], v[14:15]
	v_div_fixup_f64 v[10:11], v[3:4], v[1:2], 1.0
	v_mul_f64 v[12:13], v[12:13], -v[10:11]
.LBB125_297:
	s_or_b64 exec, exec, s[6:7]
	ds_write2_b64 v125, v[10:11], v[12:13] offset1:1
.LBB125_298:
	s_or_b64 exec, exec, s[8:9]
	buffer_store_dword v23, off, s[0:3], 0 offset:2008 ; 4-byte Folded Spill
	s_nop 0
	buffer_store_dword v24, off, s[0:3], 0 offset:2012 ; 4-byte Folded Spill
	buffer_store_dword v25, off, s[0:3], 0 offset:2016 ; 4-byte Folded Spill
	;; [unrolled: 1-line block ×3, first 2 shown]
	s_waitcnt vmcnt(0) lgkmcnt(0)
	s_barrier
	ds_read2_b64 v[1:4], v125 offset1:1
	v_cmp_lt_u32_e32 vcc, 22, v0
	s_waitcnt lgkmcnt(0)
	buffer_store_dword v1, off, s[0:3], 0 offset:1752 ; 4-byte Folded Spill
	s_nop 0
	buffer_store_dword v2, off, s[0:3], 0 offset:1756 ; 4-byte Folded Spill
	buffer_store_dword v3, off, s[0:3], 0 offset:1760 ; 4-byte Folded Spill
	;; [unrolled: 1-line block ×3, first 2 shown]
	s_and_saveexec_b64 s[6:7], vcc
	s_cbranch_execz .LBB125_301
; %bb.299:
	buffer_load_dword v1, off, s[0:3], 0 offset:360
	buffer_load_dword v2, off, s[0:3], 0 offset:364
	;; [unrolled: 1-line block ×4, first 2 shown]
	buffer_load_dword v12, off, s[0:3], 0 offset:1752 ; 4-byte Folded Reload
	buffer_load_dword v13, off, s[0:3], 0 offset:1756 ; 4-byte Folded Reload
	;; [unrolled: 1-line block ×4, first 2 shown]
	s_movk_i32 s8, 0x170
	s_waitcnt vmcnt(0)
	v_mul_f64 v[10:11], v[14:15], v[1:2]
	v_mul_f64 v[1:2], v[12:13], v[1:2]
	v_fma_f64 v[10:11], v[12:13], v[3:4], -v[10:11]
	v_fma_f64 v[1:2], v[14:15], v[3:4], v[1:2]
	buffer_store_dword v10, off, s[0:3], 0 offset:352
	buffer_store_dword v11, off, s[0:3], 0 offset:356
	;; [unrolled: 1-line block ×4, first 2 shown]
.LBB125_300:                            ; =>This Inner Loop Header: Depth=1
	buffer_load_dword v3, off, s[0:3], 0 offset:360
	buffer_load_dword v4, off, s[0:3], 0 offset:364
	;; [unrolled: 1-line block ×4, first 2 shown]
	v_mov_b32_e32 v1, s8
	buffer_load_dword v16, v1, s[0:3], 0 offen
	buffer_load_dword v17, v1, s[0:3], 0 offen offset:4
	buffer_load_dword v18, v1, s[0:3], 0 offen offset:8
	;; [unrolled: 1-line block ×3, first 2 shown]
	v_add_u32_e32 v2, s8, v6
	ds_read2_b64 v[10:13], v2 offset1:1
	buffer_load_dword v20, v1, s[0:3], 0 offen offset:16
	buffer_load_dword v21, v1, s[0:3], 0 offen offset:20
	;; [unrolled: 1-line block ×3, first 2 shown]
	s_addk_i32 s8, 0x50
	s_cmpk_lg_i32 s8, 0x3f0
	s_waitcnt vmcnt(9) lgkmcnt(0)
	v_mul_f64 v[23:24], v[12:13], v[3:4]
	v_mul_f64 v[3:4], v[10:11], v[3:4]
	s_waitcnt vmcnt(7)
	v_fma_f64 v[10:11], v[10:11], v[14:15], -v[23:24]
	v_fma_f64 v[3:4], v[12:13], v[14:15], v[3:4]
	s_waitcnt vmcnt(5)
	v_add_f64 v[10:11], v[16:17], -v[10:11]
	s_waitcnt vmcnt(3)
	v_add_f64 v[3:4], v[18:19], -v[3:4]
	buffer_store_dword v11, v1, s[0:3], 0 offen offset:4
	buffer_store_dword v10, v1, s[0:3], 0 offen
	buffer_store_dword v4, v1, s[0:3], 0 offen offset:12
	buffer_store_dword v3, v1, s[0:3], 0 offen offset:8
	buffer_load_dword v4, off, s[0:3], 0 offset:364
	s_nop 0
	buffer_load_dword v3, off, s[0:3], 0 offset:360
	buffer_load_dword v15, off, s[0:3], 0 offset:356
	;; [unrolled: 1-line block ×3, first 2 shown]
	buffer_load_dword v23, v1, s[0:3], 0 offen offset:28
	ds_read2_b64 v[10:13], v2 offset0:2 offset1:3
	buffer_load_dword v16, v1, s[0:3], 0 offen offset:32
	buffer_load_dword v17, v1, s[0:3], 0 offen offset:36
	;; [unrolled: 1-line block ×3, first 2 shown]
	s_waitcnt vmcnt(6) lgkmcnt(0)
	v_mul_f64 v[24:25], v[12:13], v[3:4]
	v_mul_f64 v[3:4], v[10:11], v[3:4]
	s_waitcnt vmcnt(4)
	v_fma_f64 v[10:11], v[10:11], v[14:15], -v[24:25]
	v_fma_f64 v[3:4], v[12:13], v[14:15], v[3:4]
	v_add_f64 v[10:11], v[20:21], -v[10:11]
	s_waitcnt vmcnt(3)
	v_add_f64 v[3:4], v[22:23], -v[3:4]
	buffer_store_dword v11, v1, s[0:3], 0 offen offset:20
	buffer_store_dword v10, v1, s[0:3], 0 offen offset:16
	buffer_store_dword v4, v1, s[0:3], 0 offen offset:28
	buffer_store_dword v3, v1, s[0:3], 0 offen offset:24
	buffer_load_dword v3, off, s[0:3], 0 offset:360
	s_nop 0
	buffer_load_dword v4, off, s[0:3], 0 offset:364
	buffer_load_dword v14, off, s[0:3], 0 offset:352
	;; [unrolled: 1-line block ×3, first 2 shown]
	buffer_load_dword v19, v1, s[0:3], 0 offen offset:44
	ds_read2_b64 v[10:13], v2 offset0:4 offset1:5
	buffer_load_dword v20, v1, s[0:3], 0 offen offset:48
	s_waitcnt vmcnt(4) lgkmcnt(0)
	v_mul_f64 v[21:22], v[12:13], v[3:4]
	v_mul_f64 v[3:4], v[10:11], v[3:4]
	s_waitcnt vmcnt(2)
	v_fma_f64 v[10:11], v[10:11], v[14:15], -v[21:22]
	v_fma_f64 v[3:4], v[12:13], v[14:15], v[3:4]
	v_add_f64 v[10:11], v[16:17], -v[10:11]
	s_waitcnt vmcnt(1)
	v_add_f64 v[3:4], v[18:19], -v[3:4]
	buffer_store_dword v11, v1, s[0:3], 0 offen offset:36
	buffer_store_dword v10, v1, s[0:3], 0 offen offset:32
	;; [unrolled: 1-line block ×4, first 2 shown]
	buffer_load_dword v3, off, s[0:3], 0 offset:360
	s_nop 0
	buffer_load_dword v4, off, s[0:3], 0 offset:364
	buffer_load_dword v14, off, s[0:3], 0 offset:352
	;; [unrolled: 1-line block ×3, first 2 shown]
	buffer_load_dword v21, v1, s[0:3], 0 offen offset:52
	buffer_load_dword v16, v1, s[0:3], 0 offen offset:56
	;; [unrolled: 1-line block ×3, first 2 shown]
	ds_read2_b64 v[10:13], v2 offset0:6 offset1:7
	s_waitcnt vmcnt(5) lgkmcnt(0)
	v_mul_f64 v[18:19], v[12:13], v[3:4]
	v_mul_f64 v[3:4], v[10:11], v[3:4]
	s_waitcnt vmcnt(3)
	v_fma_f64 v[10:11], v[10:11], v[14:15], -v[18:19]
	v_fma_f64 v[3:4], v[12:13], v[14:15], v[3:4]
	s_waitcnt vmcnt(2)
	v_add_f64 v[10:11], v[20:21], -v[10:11]
	s_waitcnt vmcnt(0)
	v_add_f64 v[3:4], v[16:17], -v[3:4]
	buffer_store_dword v11, v1, s[0:3], 0 offen offset:52
	buffer_store_dword v10, v1, s[0:3], 0 offen offset:48
	;; [unrolled: 1-line block ×4, first 2 shown]
	buffer_load_dword v3, off, s[0:3], 0 offset:360
	s_nop 0
	buffer_load_dword v4, off, s[0:3], 0 offset:364
	buffer_load_dword v14, off, s[0:3], 0 offset:352
	;; [unrolled: 1-line block ×3, first 2 shown]
	buffer_load_dword v16, v1, s[0:3], 0 offen offset:64
	buffer_load_dword v17, v1, s[0:3], 0 offen offset:68
	;; [unrolled: 1-line block ×4, first 2 shown]
	ds_read2_b64 v[10:13], v2 offset0:8 offset1:9
	s_waitcnt vmcnt(6) lgkmcnt(0)
	v_mul_f64 v[20:21], v[12:13], v[3:4]
	v_mul_f64 v[2:3], v[10:11], v[3:4]
	s_waitcnt vmcnt(4)
	v_fma_f64 v[10:11], v[10:11], v[14:15], -v[20:21]
	v_fma_f64 v[2:3], v[12:13], v[14:15], v[2:3]
	s_waitcnt vmcnt(2)
	v_add_f64 v[10:11], v[16:17], -v[10:11]
	s_waitcnt vmcnt(0)
	v_add_f64 v[2:3], v[18:19], -v[2:3]
	buffer_store_dword v11, v1, s[0:3], 0 offen offset:68
	buffer_store_dword v10, v1, s[0:3], 0 offen offset:64
	;; [unrolled: 1-line block ×4, first 2 shown]
	s_cbranch_scc1 .LBB125_300
.LBB125_301:
	s_or_b64 exec, exec, s[6:7]
	v_cmp_eq_u32_e32 vcc, 23, v0
	s_waitcnt vmcnt(0)
	s_barrier
	s_and_saveexec_b64 s[8:9], vcc
	s_cbranch_execz .LBB125_310
; %bb.302:
	v_mov_b32_e32 v4, s84
	buffer_load_dword v1, v4, s[0:3], 0 offen
	buffer_load_dword v2, v4, s[0:3], 0 offen offset:4
	buffer_load_dword v3, v4, s[0:3], 0 offen offset:8
	s_nop 0
	buffer_load_dword v4, v4, s[0:3], 0 offen offset:12
	s_movk_i32 s6, 0x180
	s_waitcnt vmcnt(0)
	ds_write2_b64 v125, v[1:2], v[3:4] offset1:1
.LBB125_303:                            ; =>This Inner Loop Header: Depth=1
	v_mov_b32_e32 v7, s6
	buffer_load_dword v1, v7, s[0:3], 0 offen
	buffer_load_dword v2, v7, s[0:3], 0 offen offset:4
	buffer_load_dword v3, v7, s[0:3], 0 offen offset:8
	;; [unrolled: 1-line block ×15, first 2 shown]
	v_add_u32_e32 v22, s6, v6
	s_addk_i32 s6, 0xd0
	s_cmpk_lg_i32 s6, 0x3f0
	s_waitcnt vmcnt(12)
	ds_write2_b64 v22, v[1:2], v[3:4] offset1:1
	s_waitcnt vmcnt(8)
	ds_write2_b64 v22, v[10:11], v[12:13] offset0:2 offset1:3
	s_waitcnt vmcnt(4)
	ds_write2_b64 v22, v[14:15], v[16:17] offset0:4 offset1:5
	;; [unrolled: 2-line block ×3, first 2 shown]
	buffer_load_dword v2, v7, s[0:3], 0 offen offset:76
	buffer_load_dword v1, v7, s[0:3], 0 offen offset:72
	buffer_load_dword v4, v7, s[0:3], 0 offen offset:68
	buffer_load_dword v3, v7, s[0:3], 0 offen offset:64
	s_waitcnt vmcnt(0)
	ds_write2_b64 v22, v[3:4], v[1:2] offset0:8 offset1:9
	buffer_load_dword v2, v7, s[0:3], 0 offen offset:92
	buffer_load_dword v1, v7, s[0:3], 0 offen offset:88
	buffer_load_dword v4, v7, s[0:3], 0 offen offset:84
	buffer_load_dword v3, v7, s[0:3], 0 offen offset:80
	s_waitcnt vmcnt(0)
	ds_write2_b64 v22, v[3:4], v[1:2] offset0:10 offset1:11
	;; [unrolled: 6-line block ×9, first 2 shown]
	s_cbranch_scc1 .LBB125_303
; %bb.304:
	ds_read2_b64 v[1:4], v125 offset1:1
	s_waitcnt lgkmcnt(0)
	v_cmp_neq_f64_e32 vcc, 0, v[1:2]
	v_cmp_neq_f64_e64 s[6:7], 0, v[3:4]
	s_or_b64 s[6:7], vcc, s[6:7]
	s_and_b64 exec, exec, s[6:7]
	s_cbranch_execz .LBB125_310
; %bb.305:
	v_cmp_ngt_f64_e64 s[6:7], |v[1:2]|, |v[3:4]|
                                        ; implicit-def: $vgpr10_vgpr11
	s_and_saveexec_b64 s[10:11], s[6:7]
	s_xor_b64 s[6:7], exec, s[10:11]
                                        ; implicit-def: $vgpr12_vgpr13
	s_cbranch_execz .LBB125_307
; %bb.306:
	v_div_scale_f64 v[10:11], s[10:11], v[3:4], v[3:4], v[1:2]
	v_rcp_f64_e32 v[12:13], v[10:11]
	v_fma_f64 v[14:15], -v[10:11], v[12:13], 1.0
	v_fma_f64 v[12:13], v[12:13], v[14:15], v[12:13]
	v_div_scale_f64 v[14:15], vcc, v[1:2], v[3:4], v[1:2]
	v_fma_f64 v[16:17], -v[10:11], v[12:13], 1.0
	v_fma_f64 v[12:13], v[12:13], v[16:17], v[12:13]
	v_mul_f64 v[16:17], v[14:15], v[12:13]
	v_fma_f64 v[10:11], -v[10:11], v[16:17], v[14:15]
	v_div_fmas_f64 v[10:11], v[10:11], v[12:13], v[16:17]
	v_div_fixup_f64 v[10:11], v[10:11], v[3:4], v[1:2]
	v_fma_f64 v[1:2], v[1:2], v[10:11], v[3:4]
	v_div_scale_f64 v[3:4], s[10:11], v[1:2], v[1:2], 1.0
	v_div_scale_f64 v[16:17], vcc, 1.0, v[1:2], 1.0
	v_rcp_f64_e32 v[12:13], v[3:4]
	v_fma_f64 v[14:15], -v[3:4], v[12:13], 1.0
	v_fma_f64 v[12:13], v[12:13], v[14:15], v[12:13]
	v_fma_f64 v[14:15], -v[3:4], v[12:13], 1.0
	v_fma_f64 v[12:13], v[12:13], v[14:15], v[12:13]
	v_mul_f64 v[14:15], v[16:17], v[12:13]
	v_fma_f64 v[3:4], -v[3:4], v[14:15], v[16:17]
	v_div_fmas_f64 v[3:4], v[3:4], v[12:13], v[14:15]
	v_div_fixup_f64 v[12:13], v[3:4], v[1:2], 1.0
                                        ; implicit-def: $vgpr1_vgpr2
	v_mul_f64 v[10:11], v[10:11], v[12:13]
	v_xor_b32_e32 v13, 0x80000000, v13
.LBB125_307:
	s_andn2_saveexec_b64 s[6:7], s[6:7]
	s_cbranch_execz .LBB125_309
; %bb.308:
	v_div_scale_f64 v[10:11], s[10:11], v[1:2], v[1:2], v[3:4]
	v_rcp_f64_e32 v[12:13], v[10:11]
	v_fma_f64 v[14:15], -v[10:11], v[12:13], 1.0
	v_fma_f64 v[12:13], v[12:13], v[14:15], v[12:13]
	v_div_scale_f64 v[14:15], vcc, v[3:4], v[1:2], v[3:4]
	v_fma_f64 v[16:17], -v[10:11], v[12:13], 1.0
	v_fma_f64 v[12:13], v[12:13], v[16:17], v[12:13]
	v_mul_f64 v[16:17], v[14:15], v[12:13]
	v_fma_f64 v[10:11], -v[10:11], v[16:17], v[14:15]
	v_div_fmas_f64 v[10:11], v[10:11], v[12:13], v[16:17]
	v_div_fixup_f64 v[12:13], v[10:11], v[1:2], v[3:4]
	v_fma_f64 v[1:2], v[3:4], v[12:13], v[1:2]
	v_div_scale_f64 v[3:4], s[10:11], v[1:2], v[1:2], 1.0
	v_div_scale_f64 v[16:17], vcc, 1.0, v[1:2], 1.0
	v_rcp_f64_e32 v[10:11], v[3:4]
	v_fma_f64 v[14:15], -v[3:4], v[10:11], 1.0
	v_fma_f64 v[10:11], v[10:11], v[14:15], v[10:11]
	v_fma_f64 v[14:15], -v[3:4], v[10:11], 1.0
	v_fma_f64 v[10:11], v[10:11], v[14:15], v[10:11]
	v_mul_f64 v[14:15], v[16:17], v[10:11]
	v_fma_f64 v[3:4], -v[3:4], v[14:15], v[16:17]
	v_div_fmas_f64 v[3:4], v[3:4], v[10:11], v[14:15]
	v_div_fixup_f64 v[10:11], v[3:4], v[1:2], 1.0
	v_mul_f64 v[12:13], v[12:13], -v[10:11]
.LBB125_309:
	s_or_b64 exec, exec, s[6:7]
	ds_write2_b64 v125, v[10:11], v[12:13] offset1:1
.LBB125_310:
	s_or_b64 exec, exec, s[8:9]
	s_waitcnt lgkmcnt(0)
	s_barrier
	ds_read2_b64 v[1:4], v125 offset1:1
	v_cmp_lt_u32_e32 vcc, 23, v0
	s_waitcnt lgkmcnt(0)
	buffer_store_dword v1, off, s[0:3], 0 offset:1768 ; 4-byte Folded Spill
	s_nop 0
	buffer_store_dword v2, off, s[0:3], 0 offset:1772 ; 4-byte Folded Spill
	buffer_store_dword v3, off, s[0:3], 0 offset:1776 ; 4-byte Folded Spill
	;; [unrolled: 1-line block ×3, first 2 shown]
	s_and_saveexec_b64 s[6:7], vcc
	s_cbranch_execz .LBB125_313
; %bb.311:
	buffer_load_dword v1, off, s[0:3], 0 offset:376
	buffer_load_dword v2, off, s[0:3], 0 offset:380
	;; [unrolled: 1-line block ×4, first 2 shown]
	buffer_load_dword v12, off, s[0:3], 0 offset:1768 ; 4-byte Folded Reload
	buffer_load_dword v13, off, s[0:3], 0 offset:1772 ; 4-byte Folded Reload
	;; [unrolled: 1-line block ×4, first 2 shown]
	s_movk_i32 s8, 0x180
	s_waitcnt vmcnt(0)
	v_mul_f64 v[10:11], v[14:15], v[1:2]
	v_mul_f64 v[1:2], v[12:13], v[1:2]
	v_fma_f64 v[10:11], v[12:13], v[3:4], -v[10:11]
	v_fma_f64 v[1:2], v[14:15], v[3:4], v[1:2]
	buffer_store_dword v10, off, s[0:3], 0 offset:368
	buffer_store_dword v11, off, s[0:3], 0 offset:372
	;; [unrolled: 1-line block ×4, first 2 shown]
.LBB125_312:                            ; =>This Inner Loop Header: Depth=1
	buffer_load_dword v10, off, s[0:3], 0 offset:376
	s_nop 0
	buffer_load_dword v11, off, s[0:3], 0 offset:380
	buffer_load_dword v12, off, s[0:3], 0 offset:368
	;; [unrolled: 1-line block ×3, first 2 shown]
	v_mov_b32_e32 v7, s8
	buffer_load_dword v14, v7, s[0:3], 0 offen
	buffer_load_dword v15, v7, s[0:3], 0 offen offset:4
	buffer_load_dword v16, v7, s[0:3], 0 offen offset:8
	;; [unrolled: 1-line block ×3, first 2 shown]
	v_add_u32_e32 v21, s8, v6
	ds_read2_b64 v[1:4], v21 offset1:1
	buffer_load_dword v18, v7, s[0:3], 0 offen offset:16
	s_add_i32 s8, s8, 48
	s_cmpk_lg_i32 s8, 0x3f0
	s_waitcnt vmcnt(7) lgkmcnt(0)
	v_mul_f64 v[19:20], v[3:4], v[10:11]
	v_mul_f64 v[10:11], v[1:2], v[10:11]
	s_waitcnt vmcnt(5)
	v_fma_f64 v[1:2], v[1:2], v[12:13], -v[19:20]
	v_fma_f64 v[3:4], v[3:4], v[12:13], v[10:11]
	s_waitcnt vmcnt(3)
	v_add_f64 v[1:2], v[14:15], -v[1:2]
	s_waitcnt vmcnt(1)
	v_add_f64 v[3:4], v[16:17], -v[3:4]
	buffer_store_dword v2, v7, s[0:3], 0 offen offset:4
	buffer_store_dword v1, v7, s[0:3], 0 offen
	buffer_store_dword v4, v7, s[0:3], 0 offen offset:12
	buffer_store_dword v3, v7, s[0:3], 0 offen offset:8
	buffer_load_dword v11, off, s[0:3], 0 offset:380
	buffer_load_dword v10, off, s[0:3], 0 offset:376
	;; [unrolled: 1-line block ×4, first 2 shown]
	buffer_load_dword v19, v7, s[0:3], 0 offen offset:20
	buffer_load_dword v14, v7, s[0:3], 0 offen offset:24
	;; [unrolled: 1-line block ×3, first 2 shown]
	ds_read2_b64 v[1:4], v21 offset0:2 offset1:3
	s_waitcnt vmcnt(5) lgkmcnt(0)
	v_mul_f64 v[16:17], v[3:4], v[10:11]
	v_mul_f64 v[10:11], v[1:2], v[10:11]
	s_waitcnt vmcnt(3)
	v_fma_f64 v[1:2], v[1:2], v[12:13], -v[16:17]
	v_fma_f64 v[3:4], v[3:4], v[12:13], v[10:11]
	s_waitcnt vmcnt(2)
	v_add_f64 v[1:2], v[18:19], -v[1:2]
	s_waitcnt vmcnt(0)
	v_add_f64 v[3:4], v[14:15], -v[3:4]
	buffer_store_dword v2, v7, s[0:3], 0 offen offset:20
	buffer_store_dword v1, v7, s[0:3], 0 offen offset:16
	;; [unrolled: 1-line block ×4, first 2 shown]
	buffer_load_dword v10, off, s[0:3], 0 offset:376
	buffer_load_dword v11, off, s[0:3], 0 offset:380
	;; [unrolled: 1-line block ×4, first 2 shown]
	buffer_load_dword v14, v7, s[0:3], 0 offen offset:32
	buffer_load_dword v15, v7, s[0:3], 0 offen offset:36
	;; [unrolled: 1-line block ×4, first 2 shown]
	ds_read2_b64 v[1:4], v21 offset0:4 offset1:5
	s_waitcnt vmcnt(6) lgkmcnt(0)
	v_mul_f64 v[18:19], v[3:4], v[10:11]
	v_mul_f64 v[10:11], v[1:2], v[10:11]
	s_waitcnt vmcnt(4)
	v_fma_f64 v[1:2], v[1:2], v[12:13], -v[18:19]
	v_fma_f64 v[3:4], v[3:4], v[12:13], v[10:11]
	s_waitcnt vmcnt(2)
	v_add_f64 v[1:2], v[14:15], -v[1:2]
	s_waitcnt vmcnt(0)
	v_add_f64 v[3:4], v[16:17], -v[3:4]
	buffer_store_dword v2, v7, s[0:3], 0 offen offset:36
	buffer_store_dword v1, v7, s[0:3], 0 offen offset:32
	;; [unrolled: 1-line block ×4, first 2 shown]
	s_cbranch_scc1 .LBB125_312
.LBB125_313:
	s_or_b64 exec, exec, s[6:7]
	v_cmp_eq_u32_e32 vcc, 24, v0
	s_waitcnt vmcnt(0)
	s_barrier
	s_and_saveexec_b64 s[8:9], vcc
	s_cbranch_execz .LBB125_322
; %bb.314:
	v_mov_b32_e32 v4, s79
	buffer_load_dword v1, v4, s[0:3], 0 offen
	buffer_load_dword v2, v4, s[0:3], 0 offen offset:4
	buffer_load_dword v3, v4, s[0:3], 0 offen offset:8
	s_nop 0
	buffer_load_dword v4, v4, s[0:3], 0 offen offset:12
	s_movk_i32 s6, 0x190
	s_waitcnt vmcnt(0)
	ds_write2_b64 v125, v[1:2], v[3:4] offset1:1
.LBB125_315:                            ; =>This Inner Loop Header: Depth=1
	v_mov_b32_e32 v7, s6
	buffer_load_dword v1, v7, s[0:3], 0 offen
	buffer_load_dword v2, v7, s[0:3], 0 offen offset:4
	buffer_load_dword v3, v7, s[0:3], 0 offen offset:8
	;; [unrolled: 1-line block ×7, first 2 shown]
	v_add_u32_e32 v7, s6, v6
	s_add_i32 s6, s6, 32
	s_cmpk_lg_i32 s6, 0x3f0
	s_waitcnt vmcnt(4)
	ds_write2_b64 v7, v[1:2], v[3:4] offset1:1
	s_waitcnt vmcnt(0)
	ds_write2_b64 v7, v[10:11], v[12:13] offset0:2 offset1:3
	s_cbranch_scc1 .LBB125_315
; %bb.316:
	ds_read2_b64 v[1:4], v125 offset1:1
	s_waitcnt lgkmcnt(0)
	v_cmp_neq_f64_e32 vcc, 0, v[1:2]
	v_cmp_neq_f64_e64 s[6:7], 0, v[3:4]
	s_or_b64 s[6:7], vcc, s[6:7]
	s_and_b64 exec, exec, s[6:7]
	s_cbranch_execz .LBB125_322
; %bb.317:
	v_cmp_ngt_f64_e64 s[6:7], |v[1:2]|, |v[3:4]|
                                        ; implicit-def: $vgpr10_vgpr11
	s_and_saveexec_b64 s[10:11], s[6:7]
	s_xor_b64 s[6:7], exec, s[10:11]
                                        ; implicit-def: $vgpr12_vgpr13
	s_cbranch_execz .LBB125_319
; %bb.318:
	v_div_scale_f64 v[10:11], s[10:11], v[3:4], v[3:4], v[1:2]
	v_rcp_f64_e32 v[12:13], v[10:11]
	v_fma_f64 v[14:15], -v[10:11], v[12:13], 1.0
	v_fma_f64 v[12:13], v[12:13], v[14:15], v[12:13]
	v_div_scale_f64 v[14:15], vcc, v[1:2], v[3:4], v[1:2]
	v_fma_f64 v[16:17], -v[10:11], v[12:13], 1.0
	v_fma_f64 v[12:13], v[12:13], v[16:17], v[12:13]
	v_mul_f64 v[16:17], v[14:15], v[12:13]
	v_fma_f64 v[10:11], -v[10:11], v[16:17], v[14:15]
	v_div_fmas_f64 v[10:11], v[10:11], v[12:13], v[16:17]
	v_div_fixup_f64 v[10:11], v[10:11], v[3:4], v[1:2]
	v_fma_f64 v[1:2], v[1:2], v[10:11], v[3:4]
	v_div_scale_f64 v[3:4], s[10:11], v[1:2], v[1:2], 1.0
	v_div_scale_f64 v[16:17], vcc, 1.0, v[1:2], 1.0
	v_rcp_f64_e32 v[12:13], v[3:4]
	v_fma_f64 v[14:15], -v[3:4], v[12:13], 1.0
	v_fma_f64 v[12:13], v[12:13], v[14:15], v[12:13]
	v_fma_f64 v[14:15], -v[3:4], v[12:13], 1.0
	v_fma_f64 v[12:13], v[12:13], v[14:15], v[12:13]
	v_mul_f64 v[14:15], v[16:17], v[12:13]
	v_fma_f64 v[3:4], -v[3:4], v[14:15], v[16:17]
	v_div_fmas_f64 v[3:4], v[3:4], v[12:13], v[14:15]
	v_div_fixup_f64 v[12:13], v[3:4], v[1:2], 1.0
                                        ; implicit-def: $vgpr1_vgpr2
	v_mul_f64 v[10:11], v[10:11], v[12:13]
	v_xor_b32_e32 v13, 0x80000000, v13
.LBB125_319:
	s_andn2_saveexec_b64 s[6:7], s[6:7]
	s_cbranch_execz .LBB125_321
; %bb.320:
	v_div_scale_f64 v[10:11], s[10:11], v[1:2], v[1:2], v[3:4]
	v_rcp_f64_e32 v[12:13], v[10:11]
	v_fma_f64 v[14:15], -v[10:11], v[12:13], 1.0
	v_fma_f64 v[12:13], v[12:13], v[14:15], v[12:13]
	v_div_scale_f64 v[14:15], vcc, v[3:4], v[1:2], v[3:4]
	v_fma_f64 v[16:17], -v[10:11], v[12:13], 1.0
	v_fma_f64 v[12:13], v[12:13], v[16:17], v[12:13]
	v_mul_f64 v[16:17], v[14:15], v[12:13]
	v_fma_f64 v[10:11], -v[10:11], v[16:17], v[14:15]
	v_div_fmas_f64 v[10:11], v[10:11], v[12:13], v[16:17]
	v_div_fixup_f64 v[12:13], v[10:11], v[1:2], v[3:4]
	v_fma_f64 v[1:2], v[3:4], v[12:13], v[1:2]
	v_div_scale_f64 v[3:4], s[10:11], v[1:2], v[1:2], 1.0
	v_div_scale_f64 v[16:17], vcc, 1.0, v[1:2], 1.0
	v_rcp_f64_e32 v[10:11], v[3:4]
	v_fma_f64 v[14:15], -v[3:4], v[10:11], 1.0
	v_fma_f64 v[10:11], v[10:11], v[14:15], v[10:11]
	v_fma_f64 v[14:15], -v[3:4], v[10:11], 1.0
	v_fma_f64 v[10:11], v[10:11], v[14:15], v[10:11]
	v_mul_f64 v[14:15], v[16:17], v[10:11]
	v_fma_f64 v[3:4], -v[3:4], v[14:15], v[16:17]
	v_div_fmas_f64 v[3:4], v[3:4], v[10:11], v[14:15]
	v_div_fixup_f64 v[10:11], v[3:4], v[1:2], 1.0
	v_mul_f64 v[12:13], v[12:13], -v[10:11]
.LBB125_321:
	s_or_b64 exec, exec, s[6:7]
	ds_write2_b64 v125, v[10:11], v[12:13] offset1:1
.LBB125_322:
	s_or_b64 exec, exec, s[8:9]
	s_waitcnt lgkmcnt(0)
	s_barrier
	ds_read2_b64 v[1:4], v125 offset1:1
	v_cmp_lt_u32_e32 vcc, 24, v0
	s_waitcnt lgkmcnt(0)
	buffer_store_dword v1, off, s[0:3], 0 offset:1784 ; 4-byte Folded Spill
	s_nop 0
	buffer_store_dword v2, off, s[0:3], 0 offset:1788 ; 4-byte Folded Spill
	buffer_store_dword v3, off, s[0:3], 0 offset:1792 ; 4-byte Folded Spill
	buffer_store_dword v4, off, s[0:3], 0 offset:1796 ; 4-byte Folded Spill
	s_and_saveexec_b64 s[6:7], vcc
	s_cbranch_execz .LBB125_325
; %bb.323:
	buffer_load_dword v1, off, s[0:3], 0 offset:392
	buffer_load_dword v2, off, s[0:3], 0 offset:396
	;; [unrolled: 1-line block ×4, first 2 shown]
	buffer_load_dword v12, off, s[0:3], 0 offset:1784 ; 4-byte Folded Reload
	buffer_load_dword v13, off, s[0:3], 0 offset:1788 ; 4-byte Folded Reload
	;; [unrolled: 1-line block ×4, first 2 shown]
	s_movk_i32 s8, 0x190
	s_waitcnt vmcnt(0)
	v_mul_f64 v[10:11], v[14:15], v[1:2]
	v_mul_f64 v[1:2], v[12:13], v[1:2]
	v_fma_f64 v[10:11], v[12:13], v[3:4], -v[10:11]
	v_fma_f64 v[1:2], v[14:15], v[3:4], v[1:2]
	buffer_store_dword v10, off, s[0:3], 0 offset:384
	buffer_store_dword v11, off, s[0:3], 0 offset:388
	;; [unrolled: 1-line block ×4, first 2 shown]
.LBB125_324:                            ; =>This Inner Loop Header: Depth=1
	v_add_u32_e32 v7, s8, v6
	ds_read2_b64 v[1:4], v7 offset1:1
	buffer_load_dword v10, off, s[0:3], 0 offset:384
	buffer_load_dword v11, off, s[0:3], 0 offset:388
	;; [unrolled: 1-line block ×4, first 2 shown]
	v_mov_b32_e32 v20, s8
	s_add_i32 s8, s8, 32
	s_cmpk_lg_i32 s8, 0x3f0
	s_waitcnt vmcnt(0) lgkmcnt(0)
	v_mul_f64 v[14:15], v[3:4], v[12:13]
	v_fma_f64 v[14:15], v[1:2], v[10:11], -v[14:15]
	v_mul_f64 v[1:2], v[1:2], v[12:13]
	v_fma_f64 v[1:2], v[3:4], v[10:11], v[1:2]
	buffer_load_dword v3, v20, s[0:3], 0 offen
	buffer_load_dword v4, v20, s[0:3], 0 offen offset:4
	buffer_load_dword v10, v20, s[0:3], 0 offen offset:8
	;; [unrolled: 1-line block ×7, first 2 shown]
	s_waitcnt vmcnt(6)
	v_add_f64 v[3:4], v[3:4], -v[14:15]
	s_waitcnt vmcnt(4)
	v_add_f64 v[1:2], v[10:11], -v[1:2]
	buffer_store_dword v4, v20, s[0:3], 0 offen offset:4
	buffer_store_dword v3, v20, s[0:3], 0 offen
	buffer_store_dword v2, v20, s[0:3], 0 offen offset:12
	buffer_store_dword v1, v20, s[0:3], 0 offen offset:8
	ds_read2_b64 v[1:4], v7 offset0:2 offset1:3
	buffer_load_dword v11, off, s[0:3], 0 offset:388
	buffer_load_dword v10, off, s[0:3], 0 offset:384
	buffer_load_dword v15, off, s[0:3], 0 offset:396
	buffer_load_dword v14, off, s[0:3], 0 offset:392
	s_waitcnt vmcnt(0) lgkmcnt(0)
	v_mul_f64 v[18:19], v[3:4], v[14:15]
	v_fma_f64 v[18:19], v[1:2], v[10:11], -v[18:19]
	v_mul_f64 v[1:2], v[1:2], v[14:15]
	v_fma_f64 v[1:2], v[3:4], v[10:11], v[1:2]
	v_add_f64 v[3:4], v[12:13], -v[18:19]
	v_add_f64 v[1:2], v[16:17], -v[1:2]
	buffer_store_dword v4, v20, s[0:3], 0 offen offset:20
	buffer_store_dword v3, v20, s[0:3], 0 offen offset:16
	;; [unrolled: 1-line block ×4, first 2 shown]
	s_cbranch_scc1 .LBB125_324
.LBB125_325:
	s_or_b64 exec, exec, s[6:7]
	v_cmp_eq_u32_e32 vcc, 25, v0
	v_add_u32_e32 v5, 0, v5
	s_waitcnt vmcnt(0)
	s_barrier
	s_and_saveexec_b64 s[8:9], vcc
	s_cbranch_execz .LBB125_336
; %bb.326:
	v_mov_b32_e32 v4, s80
	buffer_load_dword v1, v4, s[0:3], 0 offen
	buffer_load_dword v2, v4, s[0:3], 0 offen offset:4
	buffer_load_dword v3, v4, s[0:3], 0 offen offset:8
	s_nop 0
	buffer_load_dword v4, v4, s[0:3], 0 offen offset:12
	s_mov_b32 s10, 0
	s_waitcnt vmcnt(0)
	ds_write2_b64 v125, v[1:2], v[3:4] offset1:1
	s_branch .LBB125_328
.LBB125_327:                            ;   in Loop: Header=BB125_328 Depth=1
	s_andn2_b64 vcc, exec, s[6:7]
	s_cbranch_vccz .LBB125_330
.LBB125_328:                            ; =>This Inner Loop Header: Depth=1
	s_add_i32 s11, s78, s10
	v_mov_b32_e32 v4, s11
	buffer_load_dword v2, v4, s[0:3], 0 offen
	buffer_load_dword v3, v4, s[0:3], 0 offen offset:4
	buffer_load_dword v10, v4, s[0:3], 0 offen offset:8
	;; [unrolled: 1-line block ×15, first 2 shown]
	v_add_u32_e32 v1, 0x1a0, v5
	v_add_u32_e32 v1, s10, v1
	s_mov_b64 s[6:7], -1
	s_cmpk_eq_i32 s10, 0x200
	s_waitcnt vmcnt(12)
	ds_write2_b64 v1, v[2:3], v[10:11] offset1:1
	s_waitcnt vmcnt(8)
	ds_write2_b64 v1, v[12:13], v[14:15] offset0:2 offset1:3
	s_waitcnt vmcnt(4)
	ds_write2_b64 v1, v[16:17], v[18:19] offset0:4 offset1:5
	s_waitcnt vmcnt(0)
	ds_write2_b64 v1, v[20:21], v[22:23] offset0:6 offset1:7
	buffer_load_dword v3, v4, s[0:3], 0 offen offset:76
	buffer_load_dword v2, v4, s[0:3], 0 offen offset:72
	;; [unrolled: 1-line block ×4, first 2 shown]
	s_waitcnt vmcnt(0)
	ds_write2_b64 v1, v[10:11], v[2:3] offset0:8 offset1:9
	s_cbranch_scc1 .LBB125_327
; %bb.329:                              ;   in Loop: Header=BB125_328 Depth=1
	v_mov_b32_e32 v4, s11
	buffer_load_dword v2, v4, s[0:3], 0 offen offset:80
	buffer_load_dword v3, v4, s[0:3], 0 offen offset:84
	;; [unrolled: 1-line block ×12, first 2 shown]
	s_addk_i32 s10, 0x80
	s_mov_b64 s[6:7], 0
	s_waitcnt vmcnt(8)
	ds_write2_b64 v1, v[2:3], v[10:11] offset0:10 offset1:11
	s_waitcnt vmcnt(4)
	ds_write2_b64 v1, v[12:13], v[14:15] offset0:12 offset1:13
	;; [unrolled: 2-line block ×3, first 2 shown]
	s_branch .LBB125_327
.LBB125_330:
	ds_read2_b64 v[1:4], v125 offset1:1
	s_waitcnt lgkmcnt(0)
	v_cmp_neq_f64_e32 vcc, 0, v[1:2]
	v_cmp_neq_f64_e64 s[6:7], 0, v[3:4]
	s_or_b64 s[6:7], vcc, s[6:7]
	s_and_b64 exec, exec, s[6:7]
	s_cbranch_execz .LBB125_336
; %bb.331:
	v_cmp_ngt_f64_e64 s[6:7], |v[1:2]|, |v[3:4]|
                                        ; implicit-def: $vgpr10_vgpr11
	s_and_saveexec_b64 s[10:11], s[6:7]
	s_xor_b64 s[6:7], exec, s[10:11]
                                        ; implicit-def: $vgpr12_vgpr13
	s_cbranch_execz .LBB125_333
; %bb.332:
	v_div_scale_f64 v[10:11], s[10:11], v[3:4], v[3:4], v[1:2]
	v_rcp_f64_e32 v[12:13], v[10:11]
	v_fma_f64 v[14:15], -v[10:11], v[12:13], 1.0
	v_fma_f64 v[12:13], v[12:13], v[14:15], v[12:13]
	v_div_scale_f64 v[14:15], vcc, v[1:2], v[3:4], v[1:2]
	v_fma_f64 v[16:17], -v[10:11], v[12:13], 1.0
	v_fma_f64 v[12:13], v[12:13], v[16:17], v[12:13]
	v_mul_f64 v[16:17], v[14:15], v[12:13]
	v_fma_f64 v[10:11], -v[10:11], v[16:17], v[14:15]
	v_div_fmas_f64 v[10:11], v[10:11], v[12:13], v[16:17]
	v_div_fixup_f64 v[10:11], v[10:11], v[3:4], v[1:2]
	v_fma_f64 v[1:2], v[1:2], v[10:11], v[3:4]
	v_div_scale_f64 v[3:4], s[10:11], v[1:2], v[1:2], 1.0
	v_div_scale_f64 v[16:17], vcc, 1.0, v[1:2], 1.0
	v_rcp_f64_e32 v[12:13], v[3:4]
	v_fma_f64 v[14:15], -v[3:4], v[12:13], 1.0
	v_fma_f64 v[12:13], v[12:13], v[14:15], v[12:13]
	v_fma_f64 v[14:15], -v[3:4], v[12:13], 1.0
	v_fma_f64 v[12:13], v[12:13], v[14:15], v[12:13]
	v_mul_f64 v[14:15], v[16:17], v[12:13]
	v_fma_f64 v[3:4], -v[3:4], v[14:15], v[16:17]
	v_div_fmas_f64 v[3:4], v[3:4], v[12:13], v[14:15]
	v_div_fixup_f64 v[12:13], v[3:4], v[1:2], 1.0
                                        ; implicit-def: $vgpr1_vgpr2
	v_mul_f64 v[10:11], v[10:11], v[12:13]
	v_xor_b32_e32 v13, 0x80000000, v13
.LBB125_333:
	s_andn2_saveexec_b64 s[6:7], s[6:7]
	s_cbranch_execz .LBB125_335
; %bb.334:
	v_div_scale_f64 v[10:11], s[10:11], v[1:2], v[1:2], v[3:4]
	v_rcp_f64_e32 v[12:13], v[10:11]
	v_fma_f64 v[14:15], -v[10:11], v[12:13], 1.0
	v_fma_f64 v[12:13], v[12:13], v[14:15], v[12:13]
	v_div_scale_f64 v[14:15], vcc, v[3:4], v[1:2], v[3:4]
	v_fma_f64 v[16:17], -v[10:11], v[12:13], 1.0
	v_fma_f64 v[12:13], v[12:13], v[16:17], v[12:13]
	v_mul_f64 v[16:17], v[14:15], v[12:13]
	v_fma_f64 v[10:11], -v[10:11], v[16:17], v[14:15]
	v_div_fmas_f64 v[10:11], v[10:11], v[12:13], v[16:17]
	v_div_fixup_f64 v[12:13], v[10:11], v[1:2], v[3:4]
	v_fma_f64 v[1:2], v[3:4], v[12:13], v[1:2]
	v_div_scale_f64 v[3:4], s[10:11], v[1:2], v[1:2], 1.0
	v_div_scale_f64 v[16:17], vcc, 1.0, v[1:2], 1.0
	v_rcp_f64_e32 v[10:11], v[3:4]
	v_fma_f64 v[14:15], -v[3:4], v[10:11], 1.0
	v_fma_f64 v[10:11], v[10:11], v[14:15], v[10:11]
	v_fma_f64 v[14:15], -v[3:4], v[10:11], 1.0
	v_fma_f64 v[10:11], v[10:11], v[14:15], v[10:11]
	v_mul_f64 v[14:15], v[16:17], v[10:11]
	v_fma_f64 v[3:4], -v[3:4], v[14:15], v[16:17]
	v_div_fmas_f64 v[3:4], v[3:4], v[10:11], v[14:15]
	v_div_fixup_f64 v[10:11], v[3:4], v[1:2], 1.0
	v_mul_f64 v[12:13], v[12:13], -v[10:11]
.LBB125_335:
	s_or_b64 exec, exec, s[6:7]
	ds_write2_b64 v125, v[10:11], v[12:13] offset1:1
.LBB125_336:
	s_or_b64 exec, exec, s[8:9]
	s_waitcnt lgkmcnt(0)
	s_barrier
	ds_read2_b64 v[21:24], v125 offset1:1
	v_cmp_lt_u32_e32 vcc, 25, v0
	s_and_saveexec_b64 s[6:7], vcc
	s_cbranch_execz .LBB125_341
; %bb.337:
	buffer_load_dword v1, off, s[0:3], 0 offset:408
	buffer_load_dword v2, off, s[0:3], 0 offset:412
	;; [unrolled: 1-line block ×4, first 2 shown]
	s_movk_i32 s10, 0x1a0
	s_waitcnt vmcnt(2) lgkmcnt(0)
	v_mul_f64 v[10:11], v[23:24], v[1:2]
	v_mul_f64 v[12:13], v[21:22], v[1:2]
	s_waitcnt vmcnt(0)
	v_fma_f64 v[1:2], v[21:22], v[3:4], -v[10:11]
	v_fma_f64 v[3:4], v[23:24], v[3:4], v[12:13]
	buffer_store_dword v1, off, s[0:3], 0 offset:400
	buffer_store_dword v2, off, s[0:3], 0 offset:404
	;; [unrolled: 1-line block ×4, first 2 shown]
	s_branch .LBB125_339
.LBB125_338:                            ;   in Loop: Header=BB125_339 Depth=1
	s_andn2_b64 vcc, exec, s[8:9]
	s_cbranch_vccz .LBB125_341
.LBB125_339:                            ; =>This Inner Loop Header: Depth=1
	v_add_u32_e32 v7, s10, v6
	ds_read2_b64 v[10:13], v7 offset1:1
	s_mov_b32 s11, s10
	s_mov_b64 s[8:9], -1
	s_cmpk_eq_i32 s10, 0x3e0
	s_waitcnt vmcnt(0) lgkmcnt(0)
	v_mul_f64 v[14:15], v[12:13], v[3:4]
	v_mul_f64 v[3:4], v[10:11], v[3:4]
	v_fma_f64 v[14:15], v[10:11], v[1:2], -v[14:15]
	v_fma_f64 v[1:2], v[12:13], v[1:2], v[3:4]
	v_mov_b32_e32 v12, s10
	buffer_load_dword v3, v12, s[0:3], 0 offen
	buffer_load_dword v4, v12, s[0:3], 0 offen offset:4
	buffer_load_dword v10, v12, s[0:3], 0 offen offset:8
	;; [unrolled: 1-line block ×3, first 2 shown]
	s_waitcnt vmcnt(2)
	v_add_f64 v[3:4], v[3:4], -v[14:15]
	s_waitcnt vmcnt(0)
	v_add_f64 v[1:2], v[10:11], -v[1:2]
	buffer_store_dword v3, v12, s[0:3], 0 offen
	buffer_store_dword v4, v12, s[0:3], 0 offen offset:4
	buffer_store_dword v1, v12, s[0:3], 0 offen offset:8
	;; [unrolled: 1-line block ×3, first 2 shown]
                                        ; implicit-def: $vgpr1_vgpr2
                                        ; implicit-def: $vgpr3_vgpr4
	s_cbranch_scc1 .LBB125_338
; %bb.340:                              ;   in Loop: Header=BB125_339 Depth=1
	buffer_load_dword v10, off, s[0:3], 0 offset:408
	buffer_load_dword v11, off, s[0:3], 0 offset:412
	buffer_load_dword v12, off, s[0:3], 0 offset:400
	buffer_load_dword v13, off, s[0:3], 0 offset:404
	v_mov_b32_e32 v20, s11
	buffer_load_dword v14, v20, s[0:3], 0 offen offset:16
	buffer_load_dword v15, v20, s[0:3], 0 offen offset:20
	;; [unrolled: 1-line block ×4, first 2 shown]
	ds_read2_b64 v[1:4], v7 offset0:2 offset1:3
	s_add_i32 s10, s10, 64
	s_mov_b64 s[8:9], 0
	s_waitcnt vmcnt(6) lgkmcnt(0)
	v_mul_f64 v[18:19], v[3:4], v[10:11]
	v_mul_f64 v[10:11], v[1:2], v[10:11]
	s_waitcnt vmcnt(4)
	v_fma_f64 v[1:2], v[1:2], v[12:13], -v[18:19]
	v_fma_f64 v[3:4], v[3:4], v[12:13], v[10:11]
	s_waitcnt vmcnt(2)
	v_add_f64 v[1:2], v[14:15], -v[1:2]
	s_waitcnt vmcnt(0)
	v_add_f64 v[3:4], v[16:17], -v[3:4]
	buffer_store_dword v2, v20, s[0:3], 0 offen offset:20
	buffer_store_dword v1, v20, s[0:3], 0 offen offset:16
	;; [unrolled: 1-line block ×4, first 2 shown]
	buffer_load_dword v11, off, s[0:3], 0 offset:412
	buffer_load_dword v10, off, s[0:3], 0 offset:408
	;; [unrolled: 1-line block ×4, first 2 shown]
	buffer_load_dword v15, v20, s[0:3], 0 offen offset:36
	buffer_load_dword v14, v20, s[0:3], 0 offen offset:32
	;; [unrolled: 1-line block ×4, first 2 shown]
	ds_read2_b64 v[1:4], v7 offset0:4 offset1:5
	s_waitcnt vmcnt(6) lgkmcnt(0)
	v_mul_f64 v[18:19], v[3:4], v[10:11]
	v_mul_f64 v[10:11], v[1:2], v[10:11]
	s_waitcnt vmcnt(4)
	v_fma_f64 v[1:2], v[1:2], v[12:13], -v[18:19]
	v_fma_f64 v[3:4], v[3:4], v[12:13], v[10:11]
	s_waitcnt vmcnt(2)
	v_add_f64 v[1:2], v[14:15], -v[1:2]
	s_waitcnt vmcnt(0)
	v_add_f64 v[3:4], v[16:17], -v[3:4]
	buffer_store_dword v2, v20, s[0:3], 0 offen offset:36
	buffer_store_dword v1, v20, s[0:3], 0 offen offset:32
	;; [unrolled: 1-line block ×4, first 2 shown]
	buffer_load_dword v10, off, s[0:3], 0 offset:408
	buffer_load_dword v11, off, s[0:3], 0 offset:412
	;; [unrolled: 1-line block ×4, first 2 shown]
	buffer_load_dword v15, v20, s[0:3], 0 offen offset:52
	buffer_load_dword v14, v20, s[0:3], 0 offen offset:48
	;; [unrolled: 1-line block ×4, first 2 shown]
	ds_read2_b64 v[1:4], v7 offset0:6 offset1:7
	s_waitcnt vmcnt(6) lgkmcnt(0)
	v_mul_f64 v[18:19], v[3:4], v[10:11]
	v_mul_f64 v[10:11], v[1:2], v[10:11]
	s_waitcnt vmcnt(4)
	v_fma_f64 v[1:2], v[1:2], v[12:13], -v[18:19]
	v_fma_f64 v[3:4], v[3:4], v[12:13], v[10:11]
	s_waitcnt vmcnt(2)
	v_add_f64 v[1:2], v[14:15], -v[1:2]
	s_waitcnt vmcnt(0)
	v_add_f64 v[3:4], v[16:17], -v[3:4]
	buffer_store_dword v2, v20, s[0:3], 0 offen offset:52
	buffer_store_dword v1, v20, s[0:3], 0 offen offset:48
	;; [unrolled: 1-line block ×4, first 2 shown]
	buffer_load_dword v1, off, s[0:3], 0 offset:400
	s_nop 0
	buffer_load_dword v2, off, s[0:3], 0 offset:404
	buffer_load_dword v3, off, s[0:3], 0 offset:408
	;; [unrolled: 1-line block ×3, first 2 shown]
	s_branch .LBB125_338
.LBB125_341:
	s_or_b64 exec, exec, s[6:7]
	v_cmp_eq_u32_e32 vcc, 26, v0
	s_waitcnt vmcnt(0) lgkmcnt(0)
	s_barrier
	s_and_saveexec_b64 s[8:9], vcc
	s_cbranch_execz .LBB125_348
; %bb.342:
	v_mov_b32_e32 v4, s78
	buffer_load_dword v1, v4, s[0:3], 0 offen
	buffer_load_dword v2, v4, s[0:3], 0 offen offset:4
	buffer_load_dword v3, v4, s[0:3], 0 offen offset:8
	s_nop 0
	buffer_load_dword v4, v4, s[0:3], 0 offen offset:12
	s_waitcnt vmcnt(0)
	ds_write2_b64 v125, v[1:2], v[3:4] offset1:1
	v_mov_b32_e32 v4, s81
	buffer_load_dword v1, v4, s[0:3], 0 offen
	buffer_load_dword v2, v4, s[0:3], 0 offen offset:4
	buffer_load_dword v3, v4, s[0:3], 0 offen offset:8
	s_nop 0
	buffer_load_dword v4, v4, s[0:3], 0 offen offset:12
	s_waitcnt vmcnt(0)
	ds_write2_b64 v6, v[1:2], v[3:4] offset0:54 offset1:55
	v_mov_b32_e32 v4, s76
	buffer_load_dword v1, v4, s[0:3], 0 offen
	buffer_load_dword v2, v4, s[0:3], 0 offen offset:4
	buffer_load_dword v3, v4, s[0:3], 0 offen offset:8
	s_nop 0
	buffer_load_dword v4, v4, s[0:3], 0 offen offset:12
	s_waitcnt vmcnt(0)
	ds_write2_b64 v6, v[1:2], v[3:4] offset0:56 offset1:57
	;; [unrolled: 8-line block ×36, first 2 shown]
	ds_read2_b64 v[1:4], v125 offset1:1
	s_waitcnt lgkmcnt(0)
	v_cmp_neq_f64_e32 vcc, 0, v[1:2]
	v_cmp_neq_f64_e64 s[6:7], 0, v[3:4]
	s_or_b64 s[6:7], vcc, s[6:7]
	s_and_b64 exec, exec, s[6:7]
	s_cbranch_execz .LBB125_348
; %bb.343:
	v_cmp_ngt_f64_e64 s[6:7], |v[1:2]|, |v[3:4]|
                                        ; implicit-def: $vgpr10_vgpr11
	s_and_saveexec_b64 s[10:11], s[6:7]
	s_xor_b64 s[6:7], exec, s[10:11]
                                        ; implicit-def: $vgpr12_vgpr13
	s_cbranch_execz .LBB125_345
; %bb.344:
	v_div_scale_f64 v[10:11], s[10:11], v[3:4], v[3:4], v[1:2]
	v_rcp_f64_e32 v[12:13], v[10:11]
	v_fma_f64 v[14:15], -v[10:11], v[12:13], 1.0
	v_fma_f64 v[12:13], v[12:13], v[14:15], v[12:13]
	v_div_scale_f64 v[14:15], vcc, v[1:2], v[3:4], v[1:2]
	v_fma_f64 v[16:17], -v[10:11], v[12:13], 1.0
	v_fma_f64 v[12:13], v[12:13], v[16:17], v[12:13]
	v_mul_f64 v[16:17], v[14:15], v[12:13]
	v_fma_f64 v[10:11], -v[10:11], v[16:17], v[14:15]
	v_div_fmas_f64 v[10:11], v[10:11], v[12:13], v[16:17]
	v_div_fixup_f64 v[10:11], v[10:11], v[3:4], v[1:2]
	v_fma_f64 v[1:2], v[1:2], v[10:11], v[3:4]
	v_div_scale_f64 v[3:4], s[10:11], v[1:2], v[1:2], 1.0
	v_div_scale_f64 v[16:17], vcc, 1.0, v[1:2], 1.0
	v_rcp_f64_e32 v[12:13], v[3:4]
	v_fma_f64 v[14:15], -v[3:4], v[12:13], 1.0
	v_fma_f64 v[12:13], v[12:13], v[14:15], v[12:13]
	v_fma_f64 v[14:15], -v[3:4], v[12:13], 1.0
	v_fma_f64 v[12:13], v[12:13], v[14:15], v[12:13]
	v_mul_f64 v[14:15], v[16:17], v[12:13]
	v_fma_f64 v[3:4], -v[3:4], v[14:15], v[16:17]
	v_div_fmas_f64 v[3:4], v[3:4], v[12:13], v[14:15]
	v_div_fixup_f64 v[12:13], v[3:4], v[1:2], 1.0
                                        ; implicit-def: $vgpr1_vgpr2
	v_mul_f64 v[10:11], v[10:11], v[12:13]
	v_xor_b32_e32 v13, 0x80000000, v13
.LBB125_345:
	s_andn2_saveexec_b64 s[6:7], s[6:7]
	s_cbranch_execz .LBB125_347
; %bb.346:
	v_div_scale_f64 v[10:11], s[10:11], v[1:2], v[1:2], v[3:4]
	v_rcp_f64_e32 v[12:13], v[10:11]
	v_fma_f64 v[14:15], -v[10:11], v[12:13], 1.0
	v_fma_f64 v[12:13], v[12:13], v[14:15], v[12:13]
	v_div_scale_f64 v[14:15], vcc, v[3:4], v[1:2], v[3:4]
	v_fma_f64 v[16:17], -v[10:11], v[12:13], 1.0
	v_fma_f64 v[12:13], v[12:13], v[16:17], v[12:13]
	v_mul_f64 v[16:17], v[14:15], v[12:13]
	v_fma_f64 v[10:11], -v[10:11], v[16:17], v[14:15]
	v_div_fmas_f64 v[10:11], v[10:11], v[12:13], v[16:17]
	v_div_fixup_f64 v[12:13], v[10:11], v[1:2], v[3:4]
	v_fma_f64 v[1:2], v[3:4], v[12:13], v[1:2]
	v_div_scale_f64 v[3:4], s[10:11], v[1:2], v[1:2], 1.0
	v_div_scale_f64 v[16:17], vcc, 1.0, v[1:2], 1.0
	v_rcp_f64_e32 v[10:11], v[3:4]
	v_fma_f64 v[14:15], -v[3:4], v[10:11], 1.0
	v_fma_f64 v[10:11], v[10:11], v[14:15], v[10:11]
	v_fma_f64 v[14:15], -v[3:4], v[10:11], 1.0
	v_fma_f64 v[10:11], v[10:11], v[14:15], v[10:11]
	v_mul_f64 v[14:15], v[16:17], v[10:11]
	v_fma_f64 v[3:4], -v[3:4], v[14:15], v[16:17]
	v_div_fmas_f64 v[3:4], v[3:4], v[10:11], v[14:15]
	v_div_fixup_f64 v[10:11], v[3:4], v[1:2], 1.0
	v_mul_f64 v[12:13], v[12:13], -v[10:11]
.LBB125_347:
	s_or_b64 exec, exec, s[6:7]
	ds_write2_b64 v125, v[10:11], v[12:13] offset1:1
.LBB125_348:
	s_or_b64 exec, exec, s[8:9]
	buffer_store_dword v21, off, s[0:3], 0 offset:2024 ; 4-byte Folded Spill
	s_nop 0
	buffer_store_dword v22, off, s[0:3], 0 offset:2028 ; 4-byte Folded Spill
	buffer_store_dword v23, off, s[0:3], 0 offset:2032 ; 4-byte Folded Spill
	;; [unrolled: 1-line block ×3, first 2 shown]
	s_waitcnt vmcnt(0) lgkmcnt(0)
	s_barrier
	ds_read2_b64 v[1:4], v125 offset1:1
	v_cmp_lt_u32_e32 vcc, 26, v0
	s_waitcnt lgkmcnt(0)
	buffer_store_dword v1, off, s[0:3], 0 offset:1800 ; 4-byte Folded Spill
	s_nop 0
	buffer_store_dword v2, off, s[0:3], 0 offset:1804 ; 4-byte Folded Spill
	buffer_store_dword v3, off, s[0:3], 0 offset:1808 ; 4-byte Folded Spill
	buffer_store_dword v4, off, s[0:3], 0 offset:1812 ; 4-byte Folded Spill
	s_and_saveexec_b64 s[6:7], vcc
	s_cbranch_execz .LBB125_351
; %bb.349:
	buffer_load_dword v1, off, s[0:3], 0 offset:424
	buffer_load_dword v2, off, s[0:3], 0 offset:428
	buffer_load_dword v3, off, s[0:3], 0 offset:416
	buffer_load_dword v4, off, s[0:3], 0 offset:420
	buffer_load_dword v12, off, s[0:3], 0 offset:1800 ; 4-byte Folded Reload
	buffer_load_dword v13, off, s[0:3], 0 offset:1804 ; 4-byte Folded Reload
	buffer_load_dword v14, off, s[0:3], 0 offset:1808 ; 4-byte Folded Reload
	buffer_load_dword v15, off, s[0:3], 0 offset:1812 ; 4-byte Folded Reload
	s_movk_i32 s8, 0x1b0
	s_waitcnt vmcnt(0)
	v_mul_f64 v[10:11], v[14:15], v[1:2]
	v_mul_f64 v[1:2], v[12:13], v[1:2]
	v_fma_f64 v[10:11], v[12:13], v[3:4], -v[10:11]
	v_fma_f64 v[1:2], v[14:15], v[3:4], v[1:2]
	buffer_store_dword v10, off, s[0:3], 0 offset:416
	buffer_store_dword v11, off, s[0:3], 0 offset:420
	;; [unrolled: 1-line block ×4, first 2 shown]
.LBB125_350:                            ; =>This Inner Loop Header: Depth=1
	buffer_load_dword v3, off, s[0:3], 0 offset:424
	buffer_load_dword v4, off, s[0:3], 0 offset:428
	;; [unrolled: 1-line block ×4, first 2 shown]
	v_mov_b32_e32 v1, s8
	buffer_load_dword v16, v1, s[0:3], 0 offen
	buffer_load_dword v17, v1, s[0:3], 0 offen offset:4
	buffer_load_dword v18, v1, s[0:3], 0 offen offset:8
	;; [unrolled: 1-line block ×3, first 2 shown]
	v_add_u32_e32 v2, s8, v6
	ds_read2_b64 v[10:13], v2 offset1:1
	buffer_load_dword v20, v1, s[0:3], 0 offen offset:16
	buffer_load_dword v21, v1, s[0:3], 0 offen offset:20
	;; [unrolled: 1-line block ×3, first 2 shown]
	s_addk_i32 s8, 0x60
	s_cmpk_lg_i32 s8, 0x3f0
	s_waitcnt vmcnt(9) lgkmcnt(0)
	v_mul_f64 v[23:24], v[12:13], v[3:4]
	v_mul_f64 v[3:4], v[10:11], v[3:4]
	s_waitcnt vmcnt(7)
	v_fma_f64 v[10:11], v[10:11], v[14:15], -v[23:24]
	v_fma_f64 v[3:4], v[12:13], v[14:15], v[3:4]
	s_waitcnt vmcnt(5)
	v_add_f64 v[10:11], v[16:17], -v[10:11]
	s_waitcnt vmcnt(3)
	v_add_f64 v[3:4], v[18:19], -v[3:4]
	buffer_store_dword v11, v1, s[0:3], 0 offen offset:4
	buffer_store_dword v10, v1, s[0:3], 0 offen
	buffer_store_dword v4, v1, s[0:3], 0 offen offset:12
	buffer_store_dword v3, v1, s[0:3], 0 offen offset:8
	buffer_load_dword v4, off, s[0:3], 0 offset:428
	s_nop 0
	buffer_load_dword v3, off, s[0:3], 0 offset:424
	buffer_load_dword v15, off, s[0:3], 0 offset:420
	;; [unrolled: 1-line block ×3, first 2 shown]
	buffer_load_dword v23, v1, s[0:3], 0 offen offset:28
	ds_read2_b64 v[10:13], v2 offset0:2 offset1:3
	buffer_load_dword v16, v1, s[0:3], 0 offen offset:32
	buffer_load_dword v17, v1, s[0:3], 0 offen offset:36
	;; [unrolled: 1-line block ×3, first 2 shown]
	s_waitcnt vmcnt(6) lgkmcnt(0)
	v_mul_f64 v[24:25], v[12:13], v[3:4]
	v_mul_f64 v[3:4], v[10:11], v[3:4]
	s_waitcnt vmcnt(4)
	v_fma_f64 v[10:11], v[10:11], v[14:15], -v[24:25]
	v_fma_f64 v[3:4], v[12:13], v[14:15], v[3:4]
	v_add_f64 v[10:11], v[20:21], -v[10:11]
	s_waitcnt vmcnt(3)
	v_add_f64 v[3:4], v[22:23], -v[3:4]
	buffer_store_dword v11, v1, s[0:3], 0 offen offset:20
	buffer_store_dword v10, v1, s[0:3], 0 offen offset:16
	buffer_store_dword v4, v1, s[0:3], 0 offen offset:28
	buffer_store_dword v3, v1, s[0:3], 0 offen offset:24
	buffer_load_dword v3, off, s[0:3], 0 offset:424
	s_nop 0
	buffer_load_dword v4, off, s[0:3], 0 offset:428
	buffer_load_dword v14, off, s[0:3], 0 offset:416
	;; [unrolled: 1-line block ×3, first 2 shown]
	buffer_load_dword v19, v1, s[0:3], 0 offen offset:44
	ds_read2_b64 v[10:13], v2 offset0:4 offset1:5
	buffer_load_dword v20, v1, s[0:3], 0 offen offset:48
	buffer_load_dword v21, v1, s[0:3], 0 offen offset:52
	;; [unrolled: 1-line block ×3, first 2 shown]
	s_waitcnt vmcnt(6) lgkmcnt(0)
	v_mul_f64 v[23:24], v[12:13], v[3:4]
	v_mul_f64 v[3:4], v[10:11], v[3:4]
	s_waitcnt vmcnt(4)
	v_fma_f64 v[10:11], v[10:11], v[14:15], -v[23:24]
	v_fma_f64 v[3:4], v[12:13], v[14:15], v[3:4]
	v_add_f64 v[10:11], v[16:17], -v[10:11]
	s_waitcnt vmcnt(3)
	v_add_f64 v[3:4], v[18:19], -v[3:4]
	buffer_store_dword v11, v1, s[0:3], 0 offen offset:36
	buffer_store_dword v10, v1, s[0:3], 0 offen offset:32
	;; [unrolled: 1-line block ×4, first 2 shown]
	buffer_load_dword v3, off, s[0:3], 0 offset:424
	s_nop 0
	buffer_load_dword v4, off, s[0:3], 0 offset:428
	buffer_load_dword v14, off, s[0:3], 0 offset:416
	;; [unrolled: 1-line block ×3, first 2 shown]
	buffer_load_dword v23, v1, s[0:3], 0 offen offset:60
	ds_read2_b64 v[10:13], v2 offset0:6 offset1:7
	buffer_load_dword v16, v1, s[0:3], 0 offen offset:64
	s_waitcnt vmcnt(4) lgkmcnt(0)
	v_mul_f64 v[17:18], v[12:13], v[3:4]
	v_mul_f64 v[3:4], v[10:11], v[3:4]
	s_waitcnt vmcnt(2)
	v_fma_f64 v[10:11], v[10:11], v[14:15], -v[17:18]
	v_fma_f64 v[3:4], v[12:13], v[14:15], v[3:4]
	v_add_f64 v[10:11], v[20:21], -v[10:11]
	s_waitcnt vmcnt(1)
	v_add_f64 v[3:4], v[22:23], -v[3:4]
	buffer_store_dword v11, v1, s[0:3], 0 offen offset:52
	buffer_store_dword v10, v1, s[0:3], 0 offen offset:48
	;; [unrolled: 1-line block ×4, first 2 shown]
	buffer_load_dword v3, off, s[0:3], 0 offset:424
	s_nop 0
	buffer_load_dword v4, off, s[0:3], 0 offset:428
	buffer_load_dword v14, off, s[0:3], 0 offset:416
	;; [unrolled: 1-line block ×3, first 2 shown]
	buffer_load_dword v17, v1, s[0:3], 0 offen offset:68
	buffer_load_dword v18, v1, s[0:3], 0 offen offset:72
	;; [unrolled: 1-line block ×3, first 2 shown]
	ds_read2_b64 v[10:13], v2 offset0:8 offset1:9
	s_waitcnt vmcnt(5) lgkmcnt(0)
	v_mul_f64 v[20:21], v[12:13], v[3:4]
	v_mul_f64 v[3:4], v[10:11], v[3:4]
	s_waitcnt vmcnt(3)
	v_fma_f64 v[10:11], v[10:11], v[14:15], -v[20:21]
	v_fma_f64 v[3:4], v[12:13], v[14:15], v[3:4]
	s_waitcnt vmcnt(2)
	v_add_f64 v[10:11], v[16:17], -v[10:11]
	s_waitcnt vmcnt(0)
	v_add_f64 v[3:4], v[18:19], -v[3:4]
	buffer_store_dword v11, v1, s[0:3], 0 offen offset:68
	buffer_store_dword v10, v1, s[0:3], 0 offen offset:64
	;; [unrolled: 1-line block ×4, first 2 shown]
	buffer_load_dword v3, off, s[0:3], 0 offset:424
	s_nop 0
	buffer_load_dword v4, off, s[0:3], 0 offset:428
	buffer_load_dword v14, off, s[0:3], 0 offset:416
	;; [unrolled: 1-line block ×3, first 2 shown]
	buffer_load_dword v16, v1, s[0:3], 0 offen offset:80
	buffer_load_dword v17, v1, s[0:3], 0 offen offset:84
	;; [unrolled: 1-line block ×4, first 2 shown]
	ds_read2_b64 v[10:13], v2 offset0:10 offset1:11
	s_waitcnt vmcnt(6) lgkmcnt(0)
	v_mul_f64 v[20:21], v[12:13], v[3:4]
	v_mul_f64 v[2:3], v[10:11], v[3:4]
	s_waitcnt vmcnt(4)
	v_fma_f64 v[10:11], v[10:11], v[14:15], -v[20:21]
	v_fma_f64 v[2:3], v[12:13], v[14:15], v[2:3]
	s_waitcnt vmcnt(2)
	v_add_f64 v[10:11], v[16:17], -v[10:11]
	s_waitcnt vmcnt(0)
	v_add_f64 v[2:3], v[18:19], -v[2:3]
	buffer_store_dword v11, v1, s[0:3], 0 offen offset:84
	buffer_store_dword v10, v1, s[0:3], 0 offen offset:80
	;; [unrolled: 1-line block ×4, first 2 shown]
	s_cbranch_scc1 .LBB125_350
.LBB125_351:
	s_or_b64 exec, exec, s[6:7]
	v_cmp_eq_u32_e32 vcc, 27, v0
	s_waitcnt vmcnt(0)
	s_barrier
	s_and_saveexec_b64 s[8:9], vcc
	s_cbranch_execz .LBB125_358
; %bb.352:
	v_mov_b32_e32 v4, s81
	buffer_load_dword v1, v4, s[0:3], 0 offen
	buffer_load_dword v2, v4, s[0:3], 0 offen offset:4
	buffer_load_dword v3, v4, s[0:3], 0 offen offset:8
	s_nop 0
	buffer_load_dword v4, v4, s[0:3], 0 offen offset:12
	s_waitcnt vmcnt(0)
	ds_write2_b64 v125, v[1:2], v[3:4] offset1:1
	v_mov_b32_e32 v4, s76
	buffer_load_dword v1, v4, s[0:3], 0 offen
	buffer_load_dword v2, v4, s[0:3], 0 offen offset:4
	buffer_load_dword v3, v4, s[0:3], 0 offen offset:8
	s_nop 0
	buffer_load_dword v4, v4, s[0:3], 0 offen offset:12
	s_waitcnt vmcnt(0)
	ds_write2_b64 v6, v[1:2], v[3:4] offset0:56 offset1:57
	v_mov_b32_e32 v4, s74
	buffer_load_dword v1, v4, s[0:3], 0 offen
	buffer_load_dword v2, v4, s[0:3], 0 offen offset:4
	buffer_load_dword v3, v4, s[0:3], 0 offen offset:8
	s_nop 0
	buffer_load_dword v4, v4, s[0:3], 0 offen offset:12
	s_waitcnt vmcnt(0)
	ds_write2_b64 v6, v[1:2], v[3:4] offset0:58 offset1:59
	v_mov_b32_e32 v4, s75
	buffer_load_dword v1, v4, s[0:3], 0 offen
	buffer_load_dword v2, v4, s[0:3], 0 offen offset:4
	buffer_load_dword v3, v4, s[0:3], 0 offen offset:8
	s_nop 0
	buffer_load_dword v4, v4, s[0:3], 0 offen offset:12
	s_waitcnt vmcnt(0)
	ds_write2_b64 v6, v[1:2], v[3:4] offset0:60 offset1:61
	v_mov_b32_e32 v4, s72
	buffer_load_dword v1, v4, s[0:3], 0 offen
	buffer_load_dword v2, v4, s[0:3], 0 offen offset:4
	buffer_load_dword v3, v4, s[0:3], 0 offen offset:8
	s_nop 0
	buffer_load_dword v4, v4, s[0:3], 0 offen offset:12
	s_waitcnt vmcnt(0)
	ds_write2_b64 v6, v[1:2], v[3:4] offset0:62 offset1:63
	v_mov_b32_e32 v4, s73
	buffer_load_dword v1, v4, s[0:3], 0 offen
	buffer_load_dword v2, v4, s[0:3], 0 offen offset:4
	buffer_load_dword v3, v4, s[0:3], 0 offen offset:8
	s_nop 0
	buffer_load_dword v4, v4, s[0:3], 0 offen offset:12
	s_waitcnt vmcnt(0)
	ds_write2_b64 v6, v[1:2], v[3:4] offset0:64 offset1:65
	v_mov_b32_e32 v4, s15
	buffer_load_dword v1, v4, s[0:3], 0 offen
	buffer_load_dword v2, v4, s[0:3], 0 offen offset:4
	buffer_load_dword v3, v4, s[0:3], 0 offen offset:8
	s_nop 0
	buffer_load_dword v4, v4, s[0:3], 0 offen offset:12
	s_waitcnt vmcnt(0)
	ds_write2_b64 v6, v[1:2], v[3:4] offset0:66 offset1:67
	v_mov_b32_e32 v4, s71
	buffer_load_dword v1, v4, s[0:3], 0 offen
	buffer_load_dword v2, v4, s[0:3], 0 offen offset:4
	buffer_load_dword v3, v4, s[0:3], 0 offen offset:8
	s_nop 0
	buffer_load_dword v4, v4, s[0:3], 0 offen offset:12
	s_waitcnt vmcnt(0)
	ds_write2_b64 v6, v[1:2], v[3:4] offset0:68 offset1:69
	v_mov_b32_e32 v4, s43
	buffer_load_dword v1, v4, s[0:3], 0 offen
	buffer_load_dword v2, v4, s[0:3], 0 offen offset:4
	buffer_load_dword v3, v4, s[0:3], 0 offen offset:8
	s_nop 0
	buffer_load_dword v4, v4, s[0:3], 0 offen offset:12
	s_waitcnt vmcnt(0)
	ds_write2_b64 v6, v[1:2], v[3:4] offset0:70 offset1:71
	v_mov_b32_e32 v4, s42
	buffer_load_dword v1, v4, s[0:3], 0 offen
	buffer_load_dword v2, v4, s[0:3], 0 offen offset:4
	buffer_load_dword v3, v4, s[0:3], 0 offen offset:8
	s_nop 0
	buffer_load_dword v4, v4, s[0:3], 0 offen offset:12
	s_waitcnt vmcnt(0)
	ds_write2_b64 v6, v[1:2], v[3:4] offset0:72 offset1:73
	v_mov_b32_e32 v4, s41
	buffer_load_dword v1, v4, s[0:3], 0 offen
	buffer_load_dword v2, v4, s[0:3], 0 offen offset:4
	buffer_load_dword v3, v4, s[0:3], 0 offen offset:8
	s_nop 0
	buffer_load_dword v4, v4, s[0:3], 0 offen offset:12
	s_waitcnt vmcnt(0)
	ds_write2_b64 v6, v[1:2], v[3:4] offset0:74 offset1:75
	v_mov_b32_e32 v4, s40
	buffer_load_dword v1, v4, s[0:3], 0 offen
	buffer_load_dword v2, v4, s[0:3], 0 offen offset:4
	buffer_load_dword v3, v4, s[0:3], 0 offen offset:8
	s_nop 0
	buffer_load_dword v4, v4, s[0:3], 0 offen offset:12
	s_waitcnt vmcnt(0)
	ds_write2_b64 v6, v[1:2], v[3:4] offset0:76 offset1:77
	v_mov_b32_e32 v4, s39
	buffer_load_dword v1, v4, s[0:3], 0 offen
	buffer_load_dword v2, v4, s[0:3], 0 offen offset:4
	buffer_load_dword v3, v4, s[0:3], 0 offen offset:8
	s_nop 0
	buffer_load_dword v4, v4, s[0:3], 0 offen offset:12
	s_waitcnt vmcnt(0)
	ds_write2_b64 v6, v[1:2], v[3:4] offset0:78 offset1:79
	v_mov_b32_e32 v4, s38
	buffer_load_dword v1, v4, s[0:3], 0 offen
	buffer_load_dword v2, v4, s[0:3], 0 offen offset:4
	buffer_load_dword v3, v4, s[0:3], 0 offen offset:8
	s_nop 0
	buffer_load_dword v4, v4, s[0:3], 0 offen offset:12
	s_waitcnt vmcnt(0)
	ds_write2_b64 v6, v[1:2], v[3:4] offset0:80 offset1:81
	v_mov_b32_e32 v4, s37
	buffer_load_dword v1, v4, s[0:3], 0 offen
	buffer_load_dword v2, v4, s[0:3], 0 offen offset:4
	buffer_load_dword v3, v4, s[0:3], 0 offen offset:8
	s_nop 0
	buffer_load_dword v4, v4, s[0:3], 0 offen offset:12
	s_waitcnt vmcnt(0)
	ds_write2_b64 v6, v[1:2], v[3:4] offset0:82 offset1:83
	v_mov_b32_e32 v4, s36
	buffer_load_dword v1, v4, s[0:3], 0 offen
	buffer_load_dword v2, v4, s[0:3], 0 offen offset:4
	buffer_load_dword v3, v4, s[0:3], 0 offen offset:8
	s_nop 0
	buffer_load_dword v4, v4, s[0:3], 0 offen offset:12
	s_waitcnt vmcnt(0)
	ds_write2_b64 v6, v[1:2], v[3:4] offset0:84 offset1:85
	v_mov_b32_e32 v4, s35
	buffer_load_dword v1, v4, s[0:3], 0 offen
	buffer_load_dword v2, v4, s[0:3], 0 offen offset:4
	buffer_load_dword v3, v4, s[0:3], 0 offen offset:8
	s_nop 0
	buffer_load_dword v4, v4, s[0:3], 0 offen offset:12
	s_waitcnt vmcnt(0)
	ds_write2_b64 v6, v[1:2], v[3:4] offset0:86 offset1:87
	v_mov_b32_e32 v4, s34
	buffer_load_dword v1, v4, s[0:3], 0 offen
	buffer_load_dword v2, v4, s[0:3], 0 offen offset:4
	buffer_load_dword v3, v4, s[0:3], 0 offen offset:8
	s_nop 0
	buffer_load_dword v4, v4, s[0:3], 0 offen offset:12
	s_waitcnt vmcnt(0)
	ds_write2_b64 v6, v[1:2], v[3:4] offset0:88 offset1:89
	v_mov_b32_e32 v4, s31
	buffer_load_dword v1, v4, s[0:3], 0 offen
	buffer_load_dword v2, v4, s[0:3], 0 offen offset:4
	buffer_load_dword v3, v4, s[0:3], 0 offen offset:8
	s_nop 0
	buffer_load_dword v4, v4, s[0:3], 0 offen offset:12
	s_waitcnt vmcnt(0)
	ds_write2_b64 v6, v[1:2], v[3:4] offset0:90 offset1:91
	v_mov_b32_e32 v4, s30
	buffer_load_dword v1, v4, s[0:3], 0 offen
	buffer_load_dword v2, v4, s[0:3], 0 offen offset:4
	buffer_load_dword v3, v4, s[0:3], 0 offen offset:8
	s_nop 0
	buffer_load_dword v4, v4, s[0:3], 0 offen offset:12
	s_waitcnt vmcnt(0)
	ds_write2_b64 v6, v[1:2], v[3:4] offset0:92 offset1:93
	v_mov_b32_e32 v4, s29
	buffer_load_dword v1, v4, s[0:3], 0 offen
	buffer_load_dword v2, v4, s[0:3], 0 offen offset:4
	buffer_load_dword v3, v4, s[0:3], 0 offen offset:8
	s_nop 0
	buffer_load_dword v4, v4, s[0:3], 0 offen offset:12
	s_waitcnt vmcnt(0)
	ds_write2_b64 v6, v[1:2], v[3:4] offset0:94 offset1:95
	v_mov_b32_e32 v4, s28
	buffer_load_dword v1, v4, s[0:3], 0 offen
	buffer_load_dword v2, v4, s[0:3], 0 offen offset:4
	buffer_load_dword v3, v4, s[0:3], 0 offen offset:8
	s_nop 0
	buffer_load_dword v4, v4, s[0:3], 0 offen offset:12
	s_waitcnt vmcnt(0)
	ds_write2_b64 v6, v[1:2], v[3:4] offset0:96 offset1:97
	v_mov_b32_e32 v4, s27
	buffer_load_dword v1, v4, s[0:3], 0 offen
	buffer_load_dword v2, v4, s[0:3], 0 offen offset:4
	buffer_load_dword v3, v4, s[0:3], 0 offen offset:8
	s_nop 0
	buffer_load_dword v4, v4, s[0:3], 0 offen offset:12
	s_waitcnt vmcnt(0)
	ds_write2_b64 v6, v[1:2], v[3:4] offset0:98 offset1:99
	v_mov_b32_e32 v4, s26
	buffer_load_dword v1, v4, s[0:3], 0 offen
	buffer_load_dword v2, v4, s[0:3], 0 offen offset:4
	buffer_load_dword v3, v4, s[0:3], 0 offen offset:8
	s_nop 0
	buffer_load_dword v4, v4, s[0:3], 0 offen offset:12
	s_waitcnt vmcnt(0)
	ds_write2_b64 v6, v[1:2], v[3:4] offset0:100 offset1:101
	v_mov_b32_e32 v4, s25
	buffer_load_dword v1, v4, s[0:3], 0 offen
	buffer_load_dword v2, v4, s[0:3], 0 offen offset:4
	buffer_load_dword v3, v4, s[0:3], 0 offen offset:8
	s_nop 0
	buffer_load_dword v4, v4, s[0:3], 0 offen offset:12
	s_waitcnt vmcnt(0)
	ds_write2_b64 v6, v[1:2], v[3:4] offset0:102 offset1:103
	v_mov_b32_e32 v4, s24
	buffer_load_dword v1, v4, s[0:3], 0 offen
	buffer_load_dword v2, v4, s[0:3], 0 offen offset:4
	buffer_load_dword v3, v4, s[0:3], 0 offen offset:8
	s_nop 0
	buffer_load_dword v4, v4, s[0:3], 0 offen offset:12
	s_waitcnt vmcnt(0)
	ds_write2_b64 v6, v[1:2], v[3:4] offset0:104 offset1:105
	v_mov_b32_e32 v4, s23
	buffer_load_dword v1, v4, s[0:3], 0 offen
	buffer_load_dword v2, v4, s[0:3], 0 offen offset:4
	buffer_load_dword v3, v4, s[0:3], 0 offen offset:8
	s_nop 0
	buffer_load_dword v4, v4, s[0:3], 0 offen offset:12
	s_waitcnt vmcnt(0)
	ds_write2_b64 v6, v[1:2], v[3:4] offset0:106 offset1:107
	v_mov_b32_e32 v4, s22
	buffer_load_dword v1, v4, s[0:3], 0 offen
	buffer_load_dword v2, v4, s[0:3], 0 offen offset:4
	buffer_load_dword v3, v4, s[0:3], 0 offen offset:8
	s_nop 0
	buffer_load_dword v4, v4, s[0:3], 0 offen offset:12
	s_waitcnt vmcnt(0)
	ds_write2_b64 v6, v[1:2], v[3:4] offset0:108 offset1:109
	v_mov_b32_e32 v4, s21
	buffer_load_dword v1, v4, s[0:3], 0 offen
	buffer_load_dword v2, v4, s[0:3], 0 offen offset:4
	buffer_load_dword v3, v4, s[0:3], 0 offen offset:8
	s_nop 0
	buffer_load_dword v4, v4, s[0:3], 0 offen offset:12
	s_waitcnt vmcnt(0)
	ds_write2_b64 v6, v[1:2], v[3:4] offset0:110 offset1:111
	v_mov_b32_e32 v4, s20
	buffer_load_dword v1, v4, s[0:3], 0 offen
	buffer_load_dword v2, v4, s[0:3], 0 offen offset:4
	buffer_load_dword v3, v4, s[0:3], 0 offen offset:8
	s_nop 0
	buffer_load_dword v4, v4, s[0:3], 0 offen offset:12
	s_waitcnt vmcnt(0)
	ds_write2_b64 v6, v[1:2], v[3:4] offset0:112 offset1:113
	v_mov_b32_e32 v4, s19
	buffer_load_dword v1, v4, s[0:3], 0 offen
	buffer_load_dword v2, v4, s[0:3], 0 offen offset:4
	buffer_load_dword v3, v4, s[0:3], 0 offen offset:8
	s_nop 0
	buffer_load_dword v4, v4, s[0:3], 0 offen offset:12
	s_waitcnt vmcnt(0)
	ds_write2_b64 v6, v[1:2], v[3:4] offset0:114 offset1:115
	v_mov_b32_e32 v4, s18
	buffer_load_dword v1, v4, s[0:3], 0 offen
	buffer_load_dword v2, v4, s[0:3], 0 offen offset:4
	buffer_load_dword v3, v4, s[0:3], 0 offen offset:8
	s_nop 0
	buffer_load_dword v4, v4, s[0:3], 0 offen offset:12
	s_waitcnt vmcnt(0)
	ds_write2_b64 v6, v[1:2], v[3:4] offset0:116 offset1:117
	v_mov_b32_e32 v4, s17
	buffer_load_dword v1, v4, s[0:3], 0 offen
	buffer_load_dword v2, v4, s[0:3], 0 offen offset:4
	buffer_load_dword v3, v4, s[0:3], 0 offen offset:8
	s_nop 0
	buffer_load_dword v4, v4, s[0:3], 0 offen offset:12
	s_waitcnt vmcnt(0)
	ds_write2_b64 v6, v[1:2], v[3:4] offset0:118 offset1:119
	v_mov_b32_e32 v4, s14
	buffer_load_dword v1, v4, s[0:3], 0 offen
	buffer_load_dword v2, v4, s[0:3], 0 offen offset:4
	buffer_load_dword v3, v4, s[0:3], 0 offen offset:8
	s_nop 0
	buffer_load_dword v4, v4, s[0:3], 0 offen offset:12
	s_waitcnt vmcnt(0)
	ds_write2_b64 v6, v[1:2], v[3:4] offset0:120 offset1:121
	v_mov_b32_e32 v4, s16
	buffer_load_dword v1, v4, s[0:3], 0 offen
	buffer_load_dword v2, v4, s[0:3], 0 offen offset:4
	buffer_load_dword v3, v4, s[0:3], 0 offen offset:8
	s_nop 0
	buffer_load_dword v4, v4, s[0:3], 0 offen offset:12
	s_waitcnt vmcnt(0)
	ds_write2_b64 v6, v[1:2], v[3:4] offset0:122 offset1:123
	v_mov_b32_e32 v4, s33
	buffer_load_dword v1, v4, s[0:3], 0 offen
	buffer_load_dword v2, v4, s[0:3], 0 offen offset:4
	buffer_load_dword v3, v4, s[0:3], 0 offen offset:8
	s_nop 0
	buffer_load_dword v4, v4, s[0:3], 0 offen offset:12
	s_waitcnt vmcnt(0)
	ds_write2_b64 v6, v[1:2], v[3:4] offset0:124 offset1:125
	ds_read2_b64 v[1:4], v125 offset1:1
	s_waitcnt lgkmcnt(0)
	v_cmp_neq_f64_e32 vcc, 0, v[1:2]
	v_cmp_neq_f64_e64 s[6:7], 0, v[3:4]
	s_or_b64 s[6:7], vcc, s[6:7]
	s_and_b64 exec, exec, s[6:7]
	s_cbranch_execz .LBB125_358
; %bb.353:
	v_cmp_ngt_f64_e64 s[6:7], |v[1:2]|, |v[3:4]|
                                        ; implicit-def: $vgpr10_vgpr11
	s_and_saveexec_b64 s[10:11], s[6:7]
	s_xor_b64 s[6:7], exec, s[10:11]
                                        ; implicit-def: $vgpr12_vgpr13
	s_cbranch_execz .LBB125_355
; %bb.354:
	v_div_scale_f64 v[10:11], s[10:11], v[3:4], v[3:4], v[1:2]
	v_rcp_f64_e32 v[12:13], v[10:11]
	v_fma_f64 v[14:15], -v[10:11], v[12:13], 1.0
	v_fma_f64 v[12:13], v[12:13], v[14:15], v[12:13]
	v_div_scale_f64 v[14:15], vcc, v[1:2], v[3:4], v[1:2]
	v_fma_f64 v[16:17], -v[10:11], v[12:13], 1.0
	v_fma_f64 v[12:13], v[12:13], v[16:17], v[12:13]
	v_mul_f64 v[16:17], v[14:15], v[12:13]
	v_fma_f64 v[10:11], -v[10:11], v[16:17], v[14:15]
	v_div_fmas_f64 v[10:11], v[10:11], v[12:13], v[16:17]
	v_div_fixup_f64 v[10:11], v[10:11], v[3:4], v[1:2]
	v_fma_f64 v[1:2], v[1:2], v[10:11], v[3:4]
	v_div_scale_f64 v[3:4], s[10:11], v[1:2], v[1:2], 1.0
	v_div_scale_f64 v[16:17], vcc, 1.0, v[1:2], 1.0
	v_rcp_f64_e32 v[12:13], v[3:4]
	v_fma_f64 v[14:15], -v[3:4], v[12:13], 1.0
	v_fma_f64 v[12:13], v[12:13], v[14:15], v[12:13]
	v_fma_f64 v[14:15], -v[3:4], v[12:13], 1.0
	v_fma_f64 v[12:13], v[12:13], v[14:15], v[12:13]
	v_mul_f64 v[14:15], v[16:17], v[12:13]
	v_fma_f64 v[3:4], -v[3:4], v[14:15], v[16:17]
	v_div_fmas_f64 v[3:4], v[3:4], v[12:13], v[14:15]
	v_div_fixup_f64 v[12:13], v[3:4], v[1:2], 1.0
                                        ; implicit-def: $vgpr1_vgpr2
	v_mul_f64 v[10:11], v[10:11], v[12:13]
	v_xor_b32_e32 v13, 0x80000000, v13
.LBB125_355:
	s_andn2_saveexec_b64 s[6:7], s[6:7]
	s_cbranch_execz .LBB125_357
; %bb.356:
	v_div_scale_f64 v[10:11], s[10:11], v[1:2], v[1:2], v[3:4]
	v_rcp_f64_e32 v[12:13], v[10:11]
	v_fma_f64 v[14:15], -v[10:11], v[12:13], 1.0
	v_fma_f64 v[12:13], v[12:13], v[14:15], v[12:13]
	v_div_scale_f64 v[14:15], vcc, v[3:4], v[1:2], v[3:4]
	v_fma_f64 v[16:17], -v[10:11], v[12:13], 1.0
	v_fma_f64 v[12:13], v[12:13], v[16:17], v[12:13]
	v_mul_f64 v[16:17], v[14:15], v[12:13]
	v_fma_f64 v[10:11], -v[10:11], v[16:17], v[14:15]
	v_div_fmas_f64 v[10:11], v[10:11], v[12:13], v[16:17]
	v_div_fixup_f64 v[12:13], v[10:11], v[1:2], v[3:4]
	v_fma_f64 v[1:2], v[3:4], v[12:13], v[1:2]
	v_div_scale_f64 v[3:4], s[10:11], v[1:2], v[1:2], 1.0
	v_div_scale_f64 v[16:17], vcc, 1.0, v[1:2], 1.0
	v_rcp_f64_e32 v[10:11], v[3:4]
	v_fma_f64 v[14:15], -v[3:4], v[10:11], 1.0
	v_fma_f64 v[10:11], v[10:11], v[14:15], v[10:11]
	v_fma_f64 v[14:15], -v[3:4], v[10:11], 1.0
	v_fma_f64 v[10:11], v[10:11], v[14:15], v[10:11]
	v_mul_f64 v[14:15], v[16:17], v[10:11]
	v_fma_f64 v[3:4], -v[3:4], v[14:15], v[16:17]
	v_div_fmas_f64 v[3:4], v[3:4], v[10:11], v[14:15]
	v_div_fixup_f64 v[10:11], v[3:4], v[1:2], 1.0
	v_mul_f64 v[12:13], v[12:13], -v[10:11]
.LBB125_357:
	s_or_b64 exec, exec, s[6:7]
	ds_write2_b64 v125, v[10:11], v[12:13] offset1:1
.LBB125_358:
	s_or_b64 exec, exec, s[8:9]
	s_waitcnt lgkmcnt(0)
	s_barrier
	ds_read2_b64 v[1:4], v125 offset1:1
	v_cmp_lt_u32_e32 vcc, 27, v0
	s_waitcnt lgkmcnt(0)
	buffer_store_dword v1, off, s[0:3], 0 offset:1816 ; 4-byte Folded Spill
	s_nop 0
	buffer_store_dword v2, off, s[0:3], 0 offset:1820 ; 4-byte Folded Spill
	buffer_store_dword v3, off, s[0:3], 0 offset:1824 ; 4-byte Folded Spill
	;; [unrolled: 1-line block ×3, first 2 shown]
	s_and_saveexec_b64 s[6:7], vcc
	s_cbranch_execz .LBB125_361
; %bb.359:
	buffer_load_dword v1, off, s[0:3], 0 offset:440
	buffer_load_dword v2, off, s[0:3], 0 offset:444
	;; [unrolled: 1-line block ×4, first 2 shown]
	buffer_load_dword v12, off, s[0:3], 0 offset:1816 ; 4-byte Folded Reload
	buffer_load_dword v13, off, s[0:3], 0 offset:1820 ; 4-byte Folded Reload
	;; [unrolled: 1-line block ×4, first 2 shown]
	s_movk_i32 s8, 0x1c0
	s_waitcnt vmcnt(0)
	v_mul_f64 v[10:11], v[14:15], v[1:2]
	v_mul_f64 v[1:2], v[12:13], v[1:2]
	v_fma_f64 v[10:11], v[12:13], v[3:4], -v[10:11]
	v_fma_f64 v[1:2], v[14:15], v[3:4], v[1:2]
	buffer_store_dword v10, off, s[0:3], 0 offset:432
	buffer_store_dword v11, off, s[0:3], 0 offset:436
	;; [unrolled: 1-line block ×4, first 2 shown]
.LBB125_360:                            ; =>This Inner Loop Header: Depth=1
	buffer_load_dword v3, off, s[0:3], 0 offset:440
	buffer_load_dword v4, off, s[0:3], 0 offset:444
	;; [unrolled: 1-line block ×4, first 2 shown]
	v_mov_b32_e32 v1, s8
	buffer_load_dword v16, v1, s[0:3], 0 offen
	buffer_load_dword v17, v1, s[0:3], 0 offen offset:4
	buffer_load_dword v18, v1, s[0:3], 0 offen offset:8
	;; [unrolled: 1-line block ×3, first 2 shown]
	v_add_u32_e32 v2, s8, v6
	ds_read2_b64 v[10:13], v2 offset1:1
	buffer_load_dword v20, v1, s[0:3], 0 offen offset:16
	buffer_load_dword v21, v1, s[0:3], 0 offen offset:20
	;; [unrolled: 1-line block ×3, first 2 shown]
	s_addk_i32 s8, 0x70
	s_cmpk_lg_i32 s8, 0x3f0
	s_waitcnt vmcnt(9) lgkmcnt(0)
	v_mul_f64 v[23:24], v[12:13], v[3:4]
	v_mul_f64 v[3:4], v[10:11], v[3:4]
	s_waitcnt vmcnt(7)
	v_fma_f64 v[10:11], v[10:11], v[14:15], -v[23:24]
	v_fma_f64 v[3:4], v[12:13], v[14:15], v[3:4]
	s_waitcnt vmcnt(5)
	v_add_f64 v[10:11], v[16:17], -v[10:11]
	s_waitcnt vmcnt(3)
	v_add_f64 v[3:4], v[18:19], -v[3:4]
	buffer_store_dword v11, v1, s[0:3], 0 offen offset:4
	buffer_store_dword v10, v1, s[0:3], 0 offen
	buffer_store_dword v4, v1, s[0:3], 0 offen offset:12
	buffer_store_dword v3, v1, s[0:3], 0 offen offset:8
	buffer_load_dword v4, off, s[0:3], 0 offset:444
	s_nop 0
	buffer_load_dword v3, off, s[0:3], 0 offset:440
	buffer_load_dword v15, off, s[0:3], 0 offset:436
	buffer_load_dword v14, off, s[0:3], 0 offset:432
	buffer_load_dword v23, v1, s[0:3], 0 offen offset:28
	ds_read2_b64 v[10:13], v2 offset0:2 offset1:3
	buffer_load_dword v16, v1, s[0:3], 0 offen offset:32
	buffer_load_dword v17, v1, s[0:3], 0 offen offset:36
	buffer_load_dword v18, v1, s[0:3], 0 offen offset:40
	s_waitcnt vmcnt(6) lgkmcnt(0)
	v_mul_f64 v[24:25], v[12:13], v[3:4]
	v_mul_f64 v[3:4], v[10:11], v[3:4]
	s_waitcnt vmcnt(4)
	v_fma_f64 v[10:11], v[10:11], v[14:15], -v[24:25]
	v_fma_f64 v[3:4], v[12:13], v[14:15], v[3:4]
	v_add_f64 v[10:11], v[20:21], -v[10:11]
	s_waitcnt vmcnt(3)
	v_add_f64 v[3:4], v[22:23], -v[3:4]
	buffer_store_dword v11, v1, s[0:3], 0 offen offset:20
	buffer_store_dword v10, v1, s[0:3], 0 offen offset:16
	buffer_store_dword v4, v1, s[0:3], 0 offen offset:28
	buffer_store_dword v3, v1, s[0:3], 0 offen offset:24
	buffer_load_dword v3, off, s[0:3], 0 offset:440
	s_nop 0
	buffer_load_dword v4, off, s[0:3], 0 offset:444
	buffer_load_dword v14, off, s[0:3], 0 offset:432
	buffer_load_dword v15, off, s[0:3], 0 offset:436
	buffer_load_dword v19, v1, s[0:3], 0 offen offset:44
	ds_read2_b64 v[10:13], v2 offset0:4 offset1:5
	buffer_load_dword v20, v1, s[0:3], 0 offen offset:48
	buffer_load_dword v21, v1, s[0:3], 0 offen offset:52
	buffer_load_dword v22, v1, s[0:3], 0 offen offset:56
	s_waitcnt vmcnt(6) lgkmcnt(0)
	v_mul_f64 v[23:24], v[12:13], v[3:4]
	v_mul_f64 v[3:4], v[10:11], v[3:4]
	s_waitcnt vmcnt(4)
	v_fma_f64 v[10:11], v[10:11], v[14:15], -v[23:24]
	v_fma_f64 v[3:4], v[12:13], v[14:15], v[3:4]
	v_add_f64 v[10:11], v[16:17], -v[10:11]
	s_waitcnt vmcnt(3)
	v_add_f64 v[3:4], v[18:19], -v[3:4]
	buffer_store_dword v11, v1, s[0:3], 0 offen offset:36
	buffer_store_dword v10, v1, s[0:3], 0 offen offset:32
	;; [unrolled: 23-line block ×3, first 2 shown]
	buffer_store_dword v4, v1, s[0:3], 0 offen offset:60
	buffer_store_dword v3, v1, s[0:3], 0 offen offset:56
	buffer_load_dword v3, off, s[0:3], 0 offset:440
	s_nop 0
	buffer_load_dword v4, off, s[0:3], 0 offset:444
	buffer_load_dword v14, off, s[0:3], 0 offset:432
	;; [unrolled: 1-line block ×3, first 2 shown]
	buffer_load_dword v19, v1, s[0:3], 0 offen offset:76
	ds_read2_b64 v[10:13], v2 offset0:8 offset1:9
	buffer_load_dword v20, v1, s[0:3], 0 offen offset:80
	s_waitcnt vmcnt(4) lgkmcnt(0)
	v_mul_f64 v[21:22], v[12:13], v[3:4]
	v_mul_f64 v[3:4], v[10:11], v[3:4]
	s_waitcnt vmcnt(2)
	v_fma_f64 v[10:11], v[10:11], v[14:15], -v[21:22]
	v_fma_f64 v[3:4], v[12:13], v[14:15], v[3:4]
	v_add_f64 v[10:11], v[16:17], -v[10:11]
	s_waitcnt vmcnt(1)
	v_add_f64 v[3:4], v[18:19], -v[3:4]
	buffer_store_dword v11, v1, s[0:3], 0 offen offset:68
	buffer_store_dword v10, v1, s[0:3], 0 offen offset:64
	;; [unrolled: 1-line block ×4, first 2 shown]
	buffer_load_dword v3, off, s[0:3], 0 offset:440
	s_nop 0
	buffer_load_dword v4, off, s[0:3], 0 offset:444
	buffer_load_dword v14, off, s[0:3], 0 offset:432
	;; [unrolled: 1-line block ×3, first 2 shown]
	buffer_load_dword v21, v1, s[0:3], 0 offen offset:84
	buffer_load_dword v16, v1, s[0:3], 0 offen offset:88
	;; [unrolled: 1-line block ×3, first 2 shown]
	ds_read2_b64 v[10:13], v2 offset0:10 offset1:11
	s_waitcnt vmcnt(5) lgkmcnt(0)
	v_mul_f64 v[18:19], v[12:13], v[3:4]
	v_mul_f64 v[3:4], v[10:11], v[3:4]
	s_waitcnt vmcnt(3)
	v_fma_f64 v[10:11], v[10:11], v[14:15], -v[18:19]
	v_fma_f64 v[3:4], v[12:13], v[14:15], v[3:4]
	s_waitcnt vmcnt(2)
	v_add_f64 v[10:11], v[20:21], -v[10:11]
	s_waitcnt vmcnt(0)
	v_add_f64 v[3:4], v[16:17], -v[3:4]
	buffer_store_dword v11, v1, s[0:3], 0 offen offset:84
	buffer_store_dword v10, v1, s[0:3], 0 offen offset:80
	;; [unrolled: 1-line block ×4, first 2 shown]
	buffer_load_dword v3, off, s[0:3], 0 offset:440
	s_nop 0
	buffer_load_dword v4, off, s[0:3], 0 offset:444
	buffer_load_dword v14, off, s[0:3], 0 offset:432
	buffer_load_dword v15, off, s[0:3], 0 offset:436
	buffer_load_dword v16, v1, s[0:3], 0 offen offset:96
	buffer_load_dword v17, v1, s[0:3], 0 offen offset:100
	;; [unrolled: 1-line block ×4, first 2 shown]
	ds_read2_b64 v[10:13], v2 offset0:12 offset1:13
	s_waitcnt vmcnt(6) lgkmcnt(0)
	v_mul_f64 v[20:21], v[12:13], v[3:4]
	v_mul_f64 v[2:3], v[10:11], v[3:4]
	s_waitcnt vmcnt(4)
	v_fma_f64 v[10:11], v[10:11], v[14:15], -v[20:21]
	v_fma_f64 v[2:3], v[12:13], v[14:15], v[2:3]
	s_waitcnt vmcnt(2)
	v_add_f64 v[10:11], v[16:17], -v[10:11]
	s_waitcnt vmcnt(0)
	v_add_f64 v[2:3], v[18:19], -v[2:3]
	buffer_store_dword v11, v1, s[0:3], 0 offen offset:100
	buffer_store_dword v10, v1, s[0:3], 0 offen offset:96
	;; [unrolled: 1-line block ×4, first 2 shown]
	s_cbranch_scc1 .LBB125_360
.LBB125_361:
	s_or_b64 exec, exec, s[6:7]
	v_cmp_eq_u32_e32 vcc, 28, v0
	s_waitcnt vmcnt(0)
	s_barrier
	s_and_saveexec_b64 s[8:9], vcc
	s_cbranch_execz .LBB125_368
; %bb.362:
	v_mov_b32_e32 v4, s76
	buffer_load_dword v1, v4, s[0:3], 0 offen
	buffer_load_dword v2, v4, s[0:3], 0 offen offset:4
	buffer_load_dword v3, v4, s[0:3], 0 offen offset:8
	s_nop 0
	buffer_load_dword v4, v4, s[0:3], 0 offen offset:12
	s_waitcnt vmcnt(0)
	ds_write2_b64 v125, v[1:2], v[3:4] offset1:1
	v_mov_b32_e32 v4, s74
	buffer_load_dword v1, v4, s[0:3], 0 offen
	buffer_load_dword v2, v4, s[0:3], 0 offen offset:4
	buffer_load_dword v3, v4, s[0:3], 0 offen offset:8
	s_nop 0
	buffer_load_dword v4, v4, s[0:3], 0 offen offset:12
	s_waitcnt vmcnt(0)
	ds_write2_b64 v6, v[1:2], v[3:4] offset0:58 offset1:59
	v_mov_b32_e32 v4, s75
	buffer_load_dword v1, v4, s[0:3], 0 offen
	buffer_load_dword v2, v4, s[0:3], 0 offen offset:4
	buffer_load_dword v3, v4, s[0:3], 0 offen offset:8
	s_nop 0
	buffer_load_dword v4, v4, s[0:3], 0 offen offset:12
	s_waitcnt vmcnt(0)
	ds_write2_b64 v6, v[1:2], v[3:4] offset0:60 offset1:61
	;; [unrolled: 8-line block ×34, first 2 shown]
	ds_read2_b64 v[1:4], v125 offset1:1
	s_waitcnt lgkmcnt(0)
	v_cmp_neq_f64_e32 vcc, 0, v[1:2]
	v_cmp_neq_f64_e64 s[6:7], 0, v[3:4]
	s_or_b64 s[6:7], vcc, s[6:7]
	s_and_b64 exec, exec, s[6:7]
	s_cbranch_execz .LBB125_368
; %bb.363:
	v_cmp_ngt_f64_e64 s[6:7], |v[1:2]|, |v[3:4]|
                                        ; implicit-def: $vgpr10_vgpr11
	s_and_saveexec_b64 s[10:11], s[6:7]
	s_xor_b64 s[6:7], exec, s[10:11]
                                        ; implicit-def: $vgpr12_vgpr13
	s_cbranch_execz .LBB125_365
; %bb.364:
	v_div_scale_f64 v[10:11], s[10:11], v[3:4], v[3:4], v[1:2]
	v_rcp_f64_e32 v[12:13], v[10:11]
	v_fma_f64 v[14:15], -v[10:11], v[12:13], 1.0
	v_fma_f64 v[12:13], v[12:13], v[14:15], v[12:13]
	v_div_scale_f64 v[14:15], vcc, v[1:2], v[3:4], v[1:2]
	v_fma_f64 v[16:17], -v[10:11], v[12:13], 1.0
	v_fma_f64 v[12:13], v[12:13], v[16:17], v[12:13]
	v_mul_f64 v[16:17], v[14:15], v[12:13]
	v_fma_f64 v[10:11], -v[10:11], v[16:17], v[14:15]
	v_div_fmas_f64 v[10:11], v[10:11], v[12:13], v[16:17]
	v_div_fixup_f64 v[10:11], v[10:11], v[3:4], v[1:2]
	v_fma_f64 v[1:2], v[1:2], v[10:11], v[3:4]
	v_div_scale_f64 v[3:4], s[10:11], v[1:2], v[1:2], 1.0
	v_div_scale_f64 v[16:17], vcc, 1.0, v[1:2], 1.0
	v_rcp_f64_e32 v[12:13], v[3:4]
	v_fma_f64 v[14:15], -v[3:4], v[12:13], 1.0
	v_fma_f64 v[12:13], v[12:13], v[14:15], v[12:13]
	v_fma_f64 v[14:15], -v[3:4], v[12:13], 1.0
	v_fma_f64 v[12:13], v[12:13], v[14:15], v[12:13]
	v_mul_f64 v[14:15], v[16:17], v[12:13]
	v_fma_f64 v[3:4], -v[3:4], v[14:15], v[16:17]
	v_div_fmas_f64 v[3:4], v[3:4], v[12:13], v[14:15]
	v_div_fixup_f64 v[12:13], v[3:4], v[1:2], 1.0
                                        ; implicit-def: $vgpr1_vgpr2
	v_mul_f64 v[10:11], v[10:11], v[12:13]
	v_xor_b32_e32 v13, 0x80000000, v13
.LBB125_365:
	s_andn2_saveexec_b64 s[6:7], s[6:7]
	s_cbranch_execz .LBB125_367
; %bb.366:
	v_div_scale_f64 v[10:11], s[10:11], v[1:2], v[1:2], v[3:4]
	v_rcp_f64_e32 v[12:13], v[10:11]
	v_fma_f64 v[14:15], -v[10:11], v[12:13], 1.0
	v_fma_f64 v[12:13], v[12:13], v[14:15], v[12:13]
	v_div_scale_f64 v[14:15], vcc, v[3:4], v[1:2], v[3:4]
	v_fma_f64 v[16:17], -v[10:11], v[12:13], 1.0
	v_fma_f64 v[12:13], v[12:13], v[16:17], v[12:13]
	v_mul_f64 v[16:17], v[14:15], v[12:13]
	v_fma_f64 v[10:11], -v[10:11], v[16:17], v[14:15]
	v_div_fmas_f64 v[10:11], v[10:11], v[12:13], v[16:17]
	v_div_fixup_f64 v[12:13], v[10:11], v[1:2], v[3:4]
	v_fma_f64 v[1:2], v[3:4], v[12:13], v[1:2]
	v_div_scale_f64 v[3:4], s[10:11], v[1:2], v[1:2], 1.0
	v_div_scale_f64 v[16:17], vcc, 1.0, v[1:2], 1.0
	v_rcp_f64_e32 v[10:11], v[3:4]
	v_fma_f64 v[14:15], -v[3:4], v[10:11], 1.0
	v_fma_f64 v[10:11], v[10:11], v[14:15], v[10:11]
	v_fma_f64 v[14:15], -v[3:4], v[10:11], 1.0
	v_fma_f64 v[10:11], v[10:11], v[14:15], v[10:11]
	v_mul_f64 v[14:15], v[16:17], v[10:11]
	v_fma_f64 v[3:4], -v[3:4], v[14:15], v[16:17]
	v_div_fmas_f64 v[3:4], v[3:4], v[10:11], v[14:15]
	v_div_fixup_f64 v[10:11], v[3:4], v[1:2], 1.0
	v_mul_f64 v[12:13], v[12:13], -v[10:11]
.LBB125_367:
	s_or_b64 exec, exec, s[6:7]
	ds_write2_b64 v125, v[10:11], v[12:13] offset1:1
.LBB125_368:
	s_or_b64 exec, exec, s[8:9]
	s_waitcnt lgkmcnt(0)
	s_barrier
	ds_read2_b64 v[21:24], v125 offset1:1
	v_cmp_lt_u32_e32 vcc, 28, v0
	s_and_saveexec_b64 s[6:7], vcc
	s_cbranch_execz .LBB125_371
; %bb.369:
	buffer_load_dword v1, off, s[0:3], 0 offset:456
	buffer_load_dword v2, off, s[0:3], 0 offset:460
	;; [unrolled: 1-line block ×4, first 2 shown]
	s_movk_i32 s8, 0x1d0
	s_waitcnt vmcnt(2) lgkmcnt(0)
	v_mul_f64 v[10:11], v[23:24], v[1:2]
	v_mul_f64 v[1:2], v[21:22], v[1:2]
	s_waitcnt vmcnt(0)
	v_fma_f64 v[10:11], v[21:22], v[3:4], -v[10:11]
	v_fma_f64 v[1:2], v[23:24], v[3:4], v[1:2]
	buffer_store_dword v10, off, s[0:3], 0 offset:448
	buffer_store_dword v11, off, s[0:3], 0 offset:452
	;; [unrolled: 1-line block ×4, first 2 shown]
.LBB125_370:                            ; =>This Inner Loop Header: Depth=1
	v_add_u32_e32 v7, s8, v6
	ds_read2_b64 v[1:4], v7 offset1:1
	buffer_load_dword v10, off, s[0:3], 0 offset:448
	buffer_load_dword v11, off, s[0:3], 0 offset:452
	;; [unrolled: 1-line block ×4, first 2 shown]
	v_mov_b32_e32 v20, s8
	s_add_i32 s8, s8, 32
	s_cmpk_lg_i32 s8, 0x3f0
	s_waitcnt vmcnt(0) lgkmcnt(0)
	v_mul_f64 v[14:15], v[3:4], v[12:13]
	v_fma_f64 v[14:15], v[1:2], v[10:11], -v[14:15]
	v_mul_f64 v[1:2], v[1:2], v[12:13]
	v_fma_f64 v[1:2], v[3:4], v[10:11], v[1:2]
	buffer_load_dword v3, v20, s[0:3], 0 offen
	buffer_load_dword v4, v20, s[0:3], 0 offen offset:4
	buffer_load_dword v10, v20, s[0:3], 0 offen offset:8
	;; [unrolled: 1-line block ×7, first 2 shown]
	s_waitcnt vmcnt(6)
	v_add_f64 v[3:4], v[3:4], -v[14:15]
	s_waitcnt vmcnt(4)
	v_add_f64 v[1:2], v[10:11], -v[1:2]
	buffer_store_dword v4, v20, s[0:3], 0 offen offset:4
	buffer_store_dword v3, v20, s[0:3], 0 offen
	buffer_store_dword v2, v20, s[0:3], 0 offen offset:12
	buffer_store_dword v1, v20, s[0:3], 0 offen offset:8
	ds_read2_b64 v[1:4], v7 offset0:2 offset1:3
	buffer_load_dword v11, off, s[0:3], 0 offset:452
	buffer_load_dword v10, off, s[0:3], 0 offset:448
	;; [unrolled: 1-line block ×4, first 2 shown]
	s_waitcnt vmcnt(0) lgkmcnt(0)
	v_mul_f64 v[18:19], v[3:4], v[14:15]
	v_fma_f64 v[18:19], v[1:2], v[10:11], -v[18:19]
	v_mul_f64 v[1:2], v[1:2], v[14:15]
	v_fma_f64 v[1:2], v[3:4], v[10:11], v[1:2]
	v_add_f64 v[3:4], v[12:13], -v[18:19]
	v_add_f64 v[1:2], v[16:17], -v[1:2]
	buffer_store_dword v4, v20, s[0:3], 0 offen offset:20
	buffer_store_dword v3, v20, s[0:3], 0 offen offset:16
	;; [unrolled: 1-line block ×4, first 2 shown]
	s_cbranch_scc1 .LBB125_370
.LBB125_371:
	s_or_b64 exec, exec, s[6:7]
	v_cmp_eq_u32_e32 vcc, 29, v0
	s_waitcnt vmcnt(0) lgkmcnt(0)
	s_barrier
	s_and_saveexec_b64 s[8:9], vcc
	s_cbranch_execz .LBB125_378
; %bb.372:
	v_mov_b32_e32 v4, s74
	buffer_load_dword v1, v4, s[0:3], 0 offen
	buffer_load_dword v2, v4, s[0:3], 0 offen offset:4
	buffer_load_dword v3, v4, s[0:3], 0 offen offset:8
	s_nop 0
	buffer_load_dword v4, v4, s[0:3], 0 offen offset:12
	s_waitcnt vmcnt(0)
	ds_write2_b64 v125, v[1:2], v[3:4] offset1:1
	v_mov_b32_e32 v4, s75
	buffer_load_dword v1, v4, s[0:3], 0 offen
	buffer_load_dword v2, v4, s[0:3], 0 offen offset:4
	buffer_load_dword v3, v4, s[0:3], 0 offen offset:8
	s_nop 0
	buffer_load_dword v4, v4, s[0:3], 0 offen offset:12
	s_waitcnt vmcnt(0)
	ds_write2_b64 v6, v[1:2], v[3:4] offset0:60 offset1:61
	v_mov_b32_e32 v4, s72
	buffer_load_dword v1, v4, s[0:3], 0 offen
	buffer_load_dword v2, v4, s[0:3], 0 offen offset:4
	buffer_load_dword v3, v4, s[0:3], 0 offen offset:8
	s_nop 0
	buffer_load_dword v4, v4, s[0:3], 0 offen offset:12
	s_waitcnt vmcnt(0)
	ds_write2_b64 v6, v[1:2], v[3:4] offset0:62 offset1:63
	;; [unrolled: 8-line block ×33, first 2 shown]
	ds_read2_b64 v[1:4], v125 offset1:1
	s_waitcnt lgkmcnt(0)
	v_cmp_neq_f64_e32 vcc, 0, v[1:2]
	v_cmp_neq_f64_e64 s[6:7], 0, v[3:4]
	s_or_b64 s[6:7], vcc, s[6:7]
	s_and_b64 exec, exec, s[6:7]
	s_cbranch_execz .LBB125_378
; %bb.373:
	v_cmp_ngt_f64_e64 s[6:7], |v[1:2]|, |v[3:4]|
                                        ; implicit-def: $vgpr10_vgpr11
	s_and_saveexec_b64 s[10:11], s[6:7]
	s_xor_b64 s[6:7], exec, s[10:11]
                                        ; implicit-def: $vgpr12_vgpr13
	s_cbranch_execz .LBB125_375
; %bb.374:
	v_div_scale_f64 v[10:11], s[10:11], v[3:4], v[3:4], v[1:2]
	v_rcp_f64_e32 v[12:13], v[10:11]
	v_fma_f64 v[14:15], -v[10:11], v[12:13], 1.0
	v_fma_f64 v[12:13], v[12:13], v[14:15], v[12:13]
	v_div_scale_f64 v[14:15], vcc, v[1:2], v[3:4], v[1:2]
	v_fma_f64 v[16:17], -v[10:11], v[12:13], 1.0
	v_fma_f64 v[12:13], v[12:13], v[16:17], v[12:13]
	v_mul_f64 v[16:17], v[14:15], v[12:13]
	v_fma_f64 v[10:11], -v[10:11], v[16:17], v[14:15]
	v_div_fmas_f64 v[10:11], v[10:11], v[12:13], v[16:17]
	v_div_fixup_f64 v[10:11], v[10:11], v[3:4], v[1:2]
	v_fma_f64 v[1:2], v[1:2], v[10:11], v[3:4]
	v_div_scale_f64 v[3:4], s[10:11], v[1:2], v[1:2], 1.0
	v_div_scale_f64 v[16:17], vcc, 1.0, v[1:2], 1.0
	v_rcp_f64_e32 v[12:13], v[3:4]
	v_fma_f64 v[14:15], -v[3:4], v[12:13], 1.0
	v_fma_f64 v[12:13], v[12:13], v[14:15], v[12:13]
	v_fma_f64 v[14:15], -v[3:4], v[12:13], 1.0
	v_fma_f64 v[12:13], v[12:13], v[14:15], v[12:13]
	v_mul_f64 v[14:15], v[16:17], v[12:13]
	v_fma_f64 v[3:4], -v[3:4], v[14:15], v[16:17]
	v_div_fmas_f64 v[3:4], v[3:4], v[12:13], v[14:15]
	v_div_fixup_f64 v[12:13], v[3:4], v[1:2], 1.0
                                        ; implicit-def: $vgpr1_vgpr2
	v_mul_f64 v[10:11], v[10:11], v[12:13]
	v_xor_b32_e32 v13, 0x80000000, v13
.LBB125_375:
	s_andn2_saveexec_b64 s[6:7], s[6:7]
	s_cbranch_execz .LBB125_377
; %bb.376:
	v_div_scale_f64 v[10:11], s[10:11], v[1:2], v[1:2], v[3:4]
	v_rcp_f64_e32 v[12:13], v[10:11]
	v_fma_f64 v[14:15], -v[10:11], v[12:13], 1.0
	v_fma_f64 v[12:13], v[12:13], v[14:15], v[12:13]
	v_div_scale_f64 v[14:15], vcc, v[3:4], v[1:2], v[3:4]
	v_fma_f64 v[16:17], -v[10:11], v[12:13], 1.0
	v_fma_f64 v[12:13], v[12:13], v[16:17], v[12:13]
	v_mul_f64 v[16:17], v[14:15], v[12:13]
	v_fma_f64 v[10:11], -v[10:11], v[16:17], v[14:15]
	v_div_fmas_f64 v[10:11], v[10:11], v[12:13], v[16:17]
	v_div_fixup_f64 v[12:13], v[10:11], v[1:2], v[3:4]
	v_fma_f64 v[1:2], v[3:4], v[12:13], v[1:2]
	v_div_scale_f64 v[3:4], s[10:11], v[1:2], v[1:2], 1.0
	v_div_scale_f64 v[16:17], vcc, 1.0, v[1:2], 1.0
	v_rcp_f64_e32 v[10:11], v[3:4]
	v_fma_f64 v[14:15], -v[3:4], v[10:11], 1.0
	v_fma_f64 v[10:11], v[10:11], v[14:15], v[10:11]
	v_fma_f64 v[14:15], -v[3:4], v[10:11], 1.0
	v_fma_f64 v[10:11], v[10:11], v[14:15], v[10:11]
	v_mul_f64 v[14:15], v[16:17], v[10:11]
	v_fma_f64 v[3:4], -v[3:4], v[14:15], v[16:17]
	v_div_fmas_f64 v[3:4], v[3:4], v[10:11], v[14:15]
	v_div_fixup_f64 v[10:11], v[3:4], v[1:2], 1.0
	v_mul_f64 v[12:13], v[12:13], -v[10:11]
.LBB125_377:
	s_or_b64 exec, exec, s[6:7]
	ds_write2_b64 v125, v[10:11], v[12:13] offset1:1
.LBB125_378:
	s_or_b64 exec, exec, s[8:9]
	buffer_store_dword v21, off, s[0:3], 0 offset:2040 ; 4-byte Folded Spill
	s_nop 0
	buffer_store_dword v22, off, s[0:3], 0 offset:2044 ; 4-byte Folded Spill
	buffer_store_dword v23, off, s[0:3], 0 offset:2048 ; 4-byte Folded Spill
	;; [unrolled: 1-line block ×3, first 2 shown]
	s_waitcnt vmcnt(0) lgkmcnt(0)
	s_barrier
	ds_read2_b64 v[22:25], v125 offset1:1
	v_cmp_lt_u32_e32 vcc, 29, v0
	s_and_saveexec_b64 s[6:7], vcc
	s_cbranch_execz .LBB125_381
; %bb.379:
	buffer_load_dword v1, off, s[0:3], 0 offset:472
	buffer_load_dword v2, off, s[0:3], 0 offset:476
	;; [unrolled: 1-line block ×4, first 2 shown]
	s_movk_i32 s8, 0x1e0
	s_waitcnt vmcnt(2) lgkmcnt(0)
	v_mul_f64 v[10:11], v[24:25], v[1:2]
	v_mul_f64 v[1:2], v[22:23], v[1:2]
	s_waitcnt vmcnt(0)
	v_fma_f64 v[10:11], v[22:23], v[3:4], -v[10:11]
	v_fma_f64 v[1:2], v[24:25], v[3:4], v[1:2]
	buffer_store_dword v10, off, s[0:3], 0 offset:464
	buffer_store_dword v11, off, s[0:3], 0 offset:468
	;; [unrolled: 1-line block ×4, first 2 shown]
.LBB125_380:                            ; =>This Inner Loop Header: Depth=1
	buffer_load_dword v10, off, s[0:3], 0 offset:472
	s_nop 0
	buffer_load_dword v11, off, s[0:3], 0 offset:476
	buffer_load_dword v12, off, s[0:3], 0 offset:464
	;; [unrolled: 1-line block ×3, first 2 shown]
	v_mov_b32_e32 v7, s8
	buffer_load_dword v14, v7, s[0:3], 0 offen
	buffer_load_dword v15, v7, s[0:3], 0 offen offset:4
	buffer_load_dword v16, v7, s[0:3], 0 offen offset:8
	;; [unrolled: 1-line block ×3, first 2 shown]
	v_add_u32_e32 v21, s8, v6
	ds_read2_b64 v[1:4], v21 offset1:1
	buffer_load_dword v18, v7, s[0:3], 0 offen offset:16
	s_add_i32 s8, s8, 48
	s_cmpk_lg_i32 s8, 0x3f0
	s_waitcnt vmcnt(7) lgkmcnt(0)
	v_mul_f64 v[19:20], v[3:4], v[10:11]
	v_mul_f64 v[10:11], v[1:2], v[10:11]
	s_waitcnt vmcnt(5)
	v_fma_f64 v[1:2], v[1:2], v[12:13], -v[19:20]
	v_fma_f64 v[3:4], v[3:4], v[12:13], v[10:11]
	s_waitcnt vmcnt(3)
	v_add_f64 v[1:2], v[14:15], -v[1:2]
	s_waitcnt vmcnt(1)
	v_add_f64 v[3:4], v[16:17], -v[3:4]
	buffer_store_dword v2, v7, s[0:3], 0 offen offset:4
	buffer_store_dword v1, v7, s[0:3], 0 offen
	buffer_store_dword v4, v7, s[0:3], 0 offen offset:12
	buffer_store_dword v3, v7, s[0:3], 0 offen offset:8
	buffer_load_dword v11, off, s[0:3], 0 offset:476
	buffer_load_dword v10, off, s[0:3], 0 offset:472
	;; [unrolled: 1-line block ×4, first 2 shown]
	buffer_load_dword v19, v7, s[0:3], 0 offen offset:20
	buffer_load_dword v14, v7, s[0:3], 0 offen offset:24
	;; [unrolled: 1-line block ×3, first 2 shown]
	ds_read2_b64 v[1:4], v21 offset0:2 offset1:3
	s_waitcnt vmcnt(5) lgkmcnt(0)
	v_mul_f64 v[16:17], v[3:4], v[10:11]
	v_mul_f64 v[10:11], v[1:2], v[10:11]
	s_waitcnt vmcnt(3)
	v_fma_f64 v[1:2], v[1:2], v[12:13], -v[16:17]
	v_fma_f64 v[3:4], v[3:4], v[12:13], v[10:11]
	s_waitcnt vmcnt(2)
	v_add_f64 v[1:2], v[18:19], -v[1:2]
	s_waitcnt vmcnt(0)
	v_add_f64 v[3:4], v[14:15], -v[3:4]
	buffer_store_dword v2, v7, s[0:3], 0 offen offset:20
	buffer_store_dword v1, v7, s[0:3], 0 offen offset:16
	;; [unrolled: 1-line block ×4, first 2 shown]
	buffer_load_dword v10, off, s[0:3], 0 offset:472
	buffer_load_dword v11, off, s[0:3], 0 offset:476
	;; [unrolled: 1-line block ×4, first 2 shown]
	buffer_load_dword v14, v7, s[0:3], 0 offen offset:32
	buffer_load_dword v15, v7, s[0:3], 0 offen offset:36
	;; [unrolled: 1-line block ×4, first 2 shown]
	ds_read2_b64 v[1:4], v21 offset0:4 offset1:5
	s_waitcnt vmcnt(6) lgkmcnt(0)
	v_mul_f64 v[18:19], v[3:4], v[10:11]
	v_mul_f64 v[10:11], v[1:2], v[10:11]
	s_waitcnt vmcnt(4)
	v_fma_f64 v[1:2], v[1:2], v[12:13], -v[18:19]
	v_fma_f64 v[3:4], v[3:4], v[12:13], v[10:11]
	s_waitcnt vmcnt(2)
	v_add_f64 v[1:2], v[14:15], -v[1:2]
	s_waitcnt vmcnt(0)
	v_add_f64 v[3:4], v[16:17], -v[3:4]
	buffer_store_dword v2, v7, s[0:3], 0 offen offset:36
	buffer_store_dword v1, v7, s[0:3], 0 offen offset:32
	;; [unrolled: 1-line block ×4, first 2 shown]
	s_cbranch_scc1 .LBB125_380
.LBB125_381:
	s_or_b64 exec, exec, s[6:7]
	v_cmp_eq_u32_e32 vcc, 30, v0
	s_waitcnt vmcnt(0) lgkmcnt(0)
	s_barrier
	s_and_saveexec_b64 s[8:9], vcc
	s_cbranch_execz .LBB125_388
; %bb.382:
	v_mov_b32_e32 v4, s75
	buffer_load_dword v1, v4, s[0:3], 0 offen
	buffer_load_dword v2, v4, s[0:3], 0 offen offset:4
	buffer_load_dword v3, v4, s[0:3], 0 offen offset:8
	s_nop 0
	buffer_load_dword v4, v4, s[0:3], 0 offen offset:12
	s_waitcnt vmcnt(0)
	ds_write2_b64 v125, v[1:2], v[3:4] offset1:1
	v_mov_b32_e32 v4, s72
	buffer_load_dword v1, v4, s[0:3], 0 offen
	buffer_load_dword v2, v4, s[0:3], 0 offen offset:4
	buffer_load_dword v3, v4, s[0:3], 0 offen offset:8
	s_nop 0
	buffer_load_dword v4, v4, s[0:3], 0 offen offset:12
	s_waitcnt vmcnt(0)
	ds_write2_b64 v6, v[1:2], v[3:4] offset0:62 offset1:63
	v_mov_b32_e32 v4, s73
	buffer_load_dword v1, v4, s[0:3], 0 offen
	buffer_load_dword v2, v4, s[0:3], 0 offen offset:4
	buffer_load_dword v3, v4, s[0:3], 0 offen offset:8
	s_nop 0
	buffer_load_dword v4, v4, s[0:3], 0 offen offset:12
	s_waitcnt vmcnt(0)
	ds_write2_b64 v6, v[1:2], v[3:4] offset0:64 offset1:65
	;; [unrolled: 8-line block ×32, first 2 shown]
	ds_read2_b64 v[1:4], v125 offset1:1
	s_waitcnt lgkmcnt(0)
	v_cmp_neq_f64_e32 vcc, 0, v[1:2]
	v_cmp_neq_f64_e64 s[6:7], 0, v[3:4]
	s_or_b64 s[6:7], vcc, s[6:7]
	s_and_b64 exec, exec, s[6:7]
	s_cbranch_execz .LBB125_388
; %bb.383:
	v_cmp_ngt_f64_e64 s[6:7], |v[1:2]|, |v[3:4]|
                                        ; implicit-def: $vgpr10_vgpr11
	s_and_saveexec_b64 s[10:11], s[6:7]
	s_xor_b64 s[6:7], exec, s[10:11]
                                        ; implicit-def: $vgpr12_vgpr13
	s_cbranch_execz .LBB125_385
; %bb.384:
	v_div_scale_f64 v[10:11], s[10:11], v[3:4], v[3:4], v[1:2]
	v_rcp_f64_e32 v[12:13], v[10:11]
	v_fma_f64 v[14:15], -v[10:11], v[12:13], 1.0
	v_fma_f64 v[12:13], v[12:13], v[14:15], v[12:13]
	v_div_scale_f64 v[14:15], vcc, v[1:2], v[3:4], v[1:2]
	v_fma_f64 v[16:17], -v[10:11], v[12:13], 1.0
	v_fma_f64 v[12:13], v[12:13], v[16:17], v[12:13]
	v_mul_f64 v[16:17], v[14:15], v[12:13]
	v_fma_f64 v[10:11], -v[10:11], v[16:17], v[14:15]
	v_div_fmas_f64 v[10:11], v[10:11], v[12:13], v[16:17]
	v_div_fixup_f64 v[10:11], v[10:11], v[3:4], v[1:2]
	v_fma_f64 v[1:2], v[1:2], v[10:11], v[3:4]
	v_div_scale_f64 v[3:4], s[10:11], v[1:2], v[1:2], 1.0
	v_div_scale_f64 v[16:17], vcc, 1.0, v[1:2], 1.0
	v_rcp_f64_e32 v[12:13], v[3:4]
	v_fma_f64 v[14:15], -v[3:4], v[12:13], 1.0
	v_fma_f64 v[12:13], v[12:13], v[14:15], v[12:13]
	v_fma_f64 v[14:15], -v[3:4], v[12:13], 1.0
	v_fma_f64 v[12:13], v[12:13], v[14:15], v[12:13]
	v_mul_f64 v[14:15], v[16:17], v[12:13]
	v_fma_f64 v[3:4], -v[3:4], v[14:15], v[16:17]
	v_div_fmas_f64 v[3:4], v[3:4], v[12:13], v[14:15]
	v_div_fixup_f64 v[12:13], v[3:4], v[1:2], 1.0
                                        ; implicit-def: $vgpr1_vgpr2
	v_mul_f64 v[10:11], v[10:11], v[12:13]
	v_xor_b32_e32 v13, 0x80000000, v13
.LBB125_385:
	s_andn2_saveexec_b64 s[6:7], s[6:7]
	s_cbranch_execz .LBB125_387
; %bb.386:
	v_div_scale_f64 v[10:11], s[10:11], v[1:2], v[1:2], v[3:4]
	v_rcp_f64_e32 v[12:13], v[10:11]
	v_fma_f64 v[14:15], -v[10:11], v[12:13], 1.0
	v_fma_f64 v[12:13], v[12:13], v[14:15], v[12:13]
	v_div_scale_f64 v[14:15], vcc, v[3:4], v[1:2], v[3:4]
	v_fma_f64 v[16:17], -v[10:11], v[12:13], 1.0
	v_fma_f64 v[12:13], v[12:13], v[16:17], v[12:13]
	v_mul_f64 v[16:17], v[14:15], v[12:13]
	v_fma_f64 v[10:11], -v[10:11], v[16:17], v[14:15]
	v_div_fmas_f64 v[10:11], v[10:11], v[12:13], v[16:17]
	v_div_fixup_f64 v[12:13], v[10:11], v[1:2], v[3:4]
	v_fma_f64 v[1:2], v[3:4], v[12:13], v[1:2]
	v_div_scale_f64 v[3:4], s[10:11], v[1:2], v[1:2], 1.0
	v_div_scale_f64 v[16:17], vcc, 1.0, v[1:2], 1.0
	v_rcp_f64_e32 v[10:11], v[3:4]
	v_fma_f64 v[14:15], -v[3:4], v[10:11], 1.0
	v_fma_f64 v[10:11], v[10:11], v[14:15], v[10:11]
	v_fma_f64 v[14:15], -v[3:4], v[10:11], 1.0
	v_fma_f64 v[10:11], v[10:11], v[14:15], v[10:11]
	v_mul_f64 v[14:15], v[16:17], v[10:11]
	v_fma_f64 v[3:4], -v[3:4], v[14:15], v[16:17]
	v_div_fmas_f64 v[3:4], v[3:4], v[10:11], v[14:15]
	v_div_fixup_f64 v[10:11], v[3:4], v[1:2], 1.0
	v_mul_f64 v[12:13], v[12:13], -v[10:11]
.LBB125_387:
	s_or_b64 exec, exec, s[6:7]
	ds_write2_b64 v125, v[10:11], v[12:13] offset1:1
.LBB125_388:
	s_or_b64 exec, exec, s[8:9]
	buffer_store_dword v22, off, s[0:3], 0 offset:2056 ; 4-byte Folded Spill
	s_nop 0
	buffer_store_dword v23, off, s[0:3], 0 offset:2060 ; 4-byte Folded Spill
	buffer_store_dword v24, off, s[0:3], 0 offset:2064 ; 4-byte Folded Spill
	;; [unrolled: 1-line block ×4, first 2 shown]
	s_nop 0
	buffer_store_dword v28, off, s[0:3], 0 offset:1916 ; 4-byte Folded Spill
	buffer_store_dword v29, off, s[0:3], 0 offset:1920 ; 4-byte Folded Spill
	;; [unrolled: 1-line block ×3, first 2 shown]
	s_waitcnt vmcnt(0) lgkmcnt(0)
	s_barrier
	ds_read2_b64 v[1:4], v125 offset1:1
	v_cmp_lt_u32_e32 vcc, 30, v0
	s_waitcnt lgkmcnt(0)
	buffer_store_dword v1, off, s[0:3], 0 offset:1832 ; 4-byte Folded Spill
	s_nop 0
	buffer_store_dword v2, off, s[0:3], 0 offset:1836 ; 4-byte Folded Spill
	buffer_store_dword v3, off, s[0:3], 0 offset:1840 ; 4-byte Folded Spill
	;; [unrolled: 1-line block ×3, first 2 shown]
	s_and_saveexec_b64 s[6:7], vcc
	s_cbranch_execz .LBB125_391
; %bb.389:
	buffer_load_dword v1, off, s[0:3], 0 offset:488
	buffer_load_dword v2, off, s[0:3], 0 offset:492
	;; [unrolled: 1-line block ×4, first 2 shown]
	buffer_load_dword v14, off, s[0:3], 0 offset:1832 ; 4-byte Folded Reload
	buffer_load_dword v15, off, s[0:3], 0 offset:1836 ; 4-byte Folded Reload
	;; [unrolled: 1-line block ×4, first 2 shown]
	s_mov_b32 s8, 0
	s_waitcnt vmcnt(2)
	v_mul_f64 v[12:13], v[14:15], v[1:2]
	s_waitcnt vmcnt(0)
	v_mul_f64 v[10:11], v[16:17], v[1:2]
	v_fma_f64 v[1:2], v[14:15], v[3:4], -v[10:11]
	v_fma_f64 v[3:4], v[16:17], v[3:4], v[12:13]
	buffer_store_dword v1, off, s[0:3], 0 offset:480
	buffer_store_dword v2, off, s[0:3], 0 offset:484
	;; [unrolled: 1-line block ×4, first 2 shown]
.LBB125_390:                            ; =>This Inner Loop Header: Depth=1
	v_add_u32_e32 v7, 0x1f0, v5
	v_add_u32_e32 v7, s8, v7
	ds_read2_b64 v[10:13], v7 offset1:1
	v_mov_b32_e32 v30, s8
	s_add_i32 s8, s8, 64
	s_cmpk_lg_i32 s8, 0x200
	s_waitcnt lgkmcnt(0)
	v_mul_f64 v[14:15], v[12:13], v[3:4]
	v_fma_f64 v[14:15], v[10:11], v[1:2], -v[14:15]
	v_mul_f64 v[10:11], v[10:11], v[3:4]
	v_fma_f64 v[10:11], v[12:13], v[1:2], v[10:11]
	buffer_load_dword v12, v30, s[0:3], 0 offen offset:496
	buffer_load_dword v13, v30, s[0:3], 0 offen offset:500
	;; [unrolled: 1-line block ×16, first 2 shown]
	s_waitcnt vmcnt(14)
	v_add_f64 v[12:13], v[12:13], -v[14:15]
	s_waitcnt vmcnt(12)
	v_add_f64 v[10:11], v[16:17], -v[10:11]
	buffer_store_dword v12, v30, s[0:3], 0 offen offset:496
	buffer_store_dword v13, v30, s[0:3], 0 offen offset:500
	buffer_store_dword v10, v30, s[0:3], 0 offen offset:504
	buffer_store_dword v11, v30, s[0:3], 0 offen offset:508
	ds_read2_b64 v[10:13], v7 offset0:2 offset1:3
	s_waitcnt lgkmcnt(0)
	v_mul_f64 v[14:15], v[12:13], v[3:4]
	v_fma_f64 v[14:15], v[10:11], v[1:2], -v[14:15]
	v_mul_f64 v[10:11], v[10:11], v[3:4]
	v_fma_f64 v[10:11], v[12:13], v[1:2], v[10:11]
	s_waitcnt vmcnt(14)
	v_add_f64 v[12:13], v[18:19], -v[14:15]
	s_waitcnt vmcnt(12)
	v_add_f64 v[10:11], v[20:21], -v[10:11]
	buffer_store_dword v12, v30, s[0:3], 0 offen offset:512
	buffer_store_dword v13, v30, s[0:3], 0 offen offset:516
	buffer_store_dword v10, v30, s[0:3], 0 offen offset:520
	buffer_store_dword v11, v30, s[0:3], 0 offen offset:524
	ds_read2_b64 v[10:13], v7 offset0:4 offset1:5
	s_waitcnt lgkmcnt(0)
	v_mul_f64 v[14:15], v[12:13], v[3:4]
	v_fma_f64 v[14:15], v[10:11], v[1:2], -v[14:15]
	v_mul_f64 v[10:11], v[10:11], v[3:4]
	v_fma_f64 v[10:11], v[12:13], v[1:2], v[10:11]
	;; [unrolled: 14-line block ×3, first 2 shown]
	s_waitcnt vmcnt(14)
	v_add_f64 v[12:13], v[26:27], -v[14:15]
	s_waitcnt vmcnt(12)
	v_add_f64 v[10:11], v[28:29], -v[10:11]
	buffer_store_dword v13, v30, s[0:3], 0 offen offset:548
	buffer_store_dword v12, v30, s[0:3], 0 offen offset:544
	;; [unrolled: 1-line block ×4, first 2 shown]
	s_cbranch_scc1 .LBB125_390
.LBB125_391:
	s_or_b64 exec, exec, s[6:7]
	v_cmp_eq_u32_e32 vcc, 31, v0
	s_waitcnt vmcnt(0)
	s_barrier
	s_and_saveexec_b64 s[8:9], vcc
	s_cbranch_execz .LBB125_398
; %bb.392:
	v_mov_b32_e32 v4, s72
	buffer_load_dword v1, v4, s[0:3], 0 offen
	buffer_load_dword v2, v4, s[0:3], 0 offen offset:4
	buffer_load_dword v3, v4, s[0:3], 0 offen offset:8
	s_nop 0
	buffer_load_dword v4, v4, s[0:3], 0 offen offset:12
	s_waitcnt vmcnt(0)
	ds_write2_b64 v125, v[1:2], v[3:4] offset1:1
	v_mov_b32_e32 v4, s73
	buffer_load_dword v1, v4, s[0:3], 0 offen
	buffer_load_dword v2, v4, s[0:3], 0 offen offset:4
	buffer_load_dword v3, v4, s[0:3], 0 offen offset:8
	s_nop 0
	buffer_load_dword v4, v4, s[0:3], 0 offen offset:12
	s_waitcnt vmcnt(0)
	ds_write2_b64 v6, v[1:2], v[3:4] offset0:64 offset1:65
	v_mov_b32_e32 v4, s15
	buffer_load_dword v1, v4, s[0:3], 0 offen
	buffer_load_dword v2, v4, s[0:3], 0 offen offset:4
	buffer_load_dword v3, v4, s[0:3], 0 offen offset:8
	s_nop 0
	buffer_load_dword v4, v4, s[0:3], 0 offen offset:12
	s_waitcnt vmcnt(0)
	ds_write2_b64 v6, v[1:2], v[3:4] offset0:66 offset1:67
	v_mov_b32_e32 v4, s71
	buffer_load_dword v1, v4, s[0:3], 0 offen
	buffer_load_dword v2, v4, s[0:3], 0 offen offset:4
	buffer_load_dword v3, v4, s[0:3], 0 offen offset:8
	s_nop 0
	buffer_load_dword v4, v4, s[0:3], 0 offen offset:12
	s_waitcnt vmcnt(0)
	ds_write2_b64 v6, v[1:2], v[3:4] offset0:68 offset1:69
	v_mov_b32_e32 v4, s43
	buffer_load_dword v1, v4, s[0:3], 0 offen
	buffer_load_dword v2, v4, s[0:3], 0 offen offset:4
	buffer_load_dword v3, v4, s[0:3], 0 offen offset:8
	s_nop 0
	buffer_load_dword v4, v4, s[0:3], 0 offen offset:12
	s_waitcnt vmcnt(0)
	ds_write2_b64 v6, v[1:2], v[3:4] offset0:70 offset1:71
	v_mov_b32_e32 v4, s42
	buffer_load_dword v1, v4, s[0:3], 0 offen
	buffer_load_dword v2, v4, s[0:3], 0 offen offset:4
	buffer_load_dword v3, v4, s[0:3], 0 offen offset:8
	s_nop 0
	buffer_load_dword v4, v4, s[0:3], 0 offen offset:12
	s_waitcnt vmcnt(0)
	ds_write2_b64 v6, v[1:2], v[3:4] offset0:72 offset1:73
	v_mov_b32_e32 v4, s41
	buffer_load_dword v1, v4, s[0:3], 0 offen
	buffer_load_dword v2, v4, s[0:3], 0 offen offset:4
	buffer_load_dword v3, v4, s[0:3], 0 offen offset:8
	s_nop 0
	buffer_load_dword v4, v4, s[0:3], 0 offen offset:12
	s_waitcnt vmcnt(0)
	ds_write2_b64 v6, v[1:2], v[3:4] offset0:74 offset1:75
	v_mov_b32_e32 v4, s40
	buffer_load_dword v1, v4, s[0:3], 0 offen
	buffer_load_dword v2, v4, s[0:3], 0 offen offset:4
	buffer_load_dword v3, v4, s[0:3], 0 offen offset:8
	s_nop 0
	buffer_load_dword v4, v4, s[0:3], 0 offen offset:12
	s_waitcnt vmcnt(0)
	ds_write2_b64 v6, v[1:2], v[3:4] offset0:76 offset1:77
	v_mov_b32_e32 v4, s39
	buffer_load_dword v1, v4, s[0:3], 0 offen
	buffer_load_dword v2, v4, s[0:3], 0 offen offset:4
	buffer_load_dword v3, v4, s[0:3], 0 offen offset:8
	s_nop 0
	buffer_load_dword v4, v4, s[0:3], 0 offen offset:12
	s_waitcnt vmcnt(0)
	ds_write2_b64 v6, v[1:2], v[3:4] offset0:78 offset1:79
	v_mov_b32_e32 v4, s38
	buffer_load_dword v1, v4, s[0:3], 0 offen
	buffer_load_dword v2, v4, s[0:3], 0 offen offset:4
	buffer_load_dword v3, v4, s[0:3], 0 offen offset:8
	s_nop 0
	buffer_load_dword v4, v4, s[0:3], 0 offen offset:12
	s_waitcnt vmcnt(0)
	ds_write2_b64 v6, v[1:2], v[3:4] offset0:80 offset1:81
	v_mov_b32_e32 v4, s37
	buffer_load_dword v1, v4, s[0:3], 0 offen
	buffer_load_dword v2, v4, s[0:3], 0 offen offset:4
	buffer_load_dword v3, v4, s[0:3], 0 offen offset:8
	s_nop 0
	buffer_load_dword v4, v4, s[0:3], 0 offen offset:12
	s_waitcnt vmcnt(0)
	ds_write2_b64 v6, v[1:2], v[3:4] offset0:82 offset1:83
	v_mov_b32_e32 v4, s36
	buffer_load_dword v1, v4, s[0:3], 0 offen
	buffer_load_dword v2, v4, s[0:3], 0 offen offset:4
	buffer_load_dword v3, v4, s[0:3], 0 offen offset:8
	s_nop 0
	buffer_load_dword v4, v4, s[0:3], 0 offen offset:12
	s_waitcnt vmcnt(0)
	ds_write2_b64 v6, v[1:2], v[3:4] offset0:84 offset1:85
	v_mov_b32_e32 v4, s35
	buffer_load_dword v1, v4, s[0:3], 0 offen
	buffer_load_dword v2, v4, s[0:3], 0 offen offset:4
	buffer_load_dword v3, v4, s[0:3], 0 offen offset:8
	s_nop 0
	buffer_load_dword v4, v4, s[0:3], 0 offen offset:12
	s_waitcnt vmcnt(0)
	ds_write2_b64 v6, v[1:2], v[3:4] offset0:86 offset1:87
	v_mov_b32_e32 v4, s34
	buffer_load_dword v1, v4, s[0:3], 0 offen
	buffer_load_dword v2, v4, s[0:3], 0 offen offset:4
	buffer_load_dword v3, v4, s[0:3], 0 offen offset:8
	s_nop 0
	buffer_load_dword v4, v4, s[0:3], 0 offen offset:12
	s_waitcnt vmcnt(0)
	ds_write2_b64 v6, v[1:2], v[3:4] offset0:88 offset1:89
	v_mov_b32_e32 v4, s31
	buffer_load_dword v1, v4, s[0:3], 0 offen
	buffer_load_dword v2, v4, s[0:3], 0 offen offset:4
	buffer_load_dword v3, v4, s[0:3], 0 offen offset:8
	s_nop 0
	buffer_load_dword v4, v4, s[0:3], 0 offen offset:12
	s_waitcnt vmcnt(0)
	ds_write2_b64 v6, v[1:2], v[3:4] offset0:90 offset1:91
	v_mov_b32_e32 v4, s30
	buffer_load_dword v1, v4, s[0:3], 0 offen
	buffer_load_dword v2, v4, s[0:3], 0 offen offset:4
	buffer_load_dword v3, v4, s[0:3], 0 offen offset:8
	s_nop 0
	buffer_load_dword v4, v4, s[0:3], 0 offen offset:12
	s_waitcnt vmcnt(0)
	ds_write2_b64 v6, v[1:2], v[3:4] offset0:92 offset1:93
	v_mov_b32_e32 v4, s29
	buffer_load_dword v1, v4, s[0:3], 0 offen
	buffer_load_dword v2, v4, s[0:3], 0 offen offset:4
	buffer_load_dword v3, v4, s[0:3], 0 offen offset:8
	s_nop 0
	buffer_load_dword v4, v4, s[0:3], 0 offen offset:12
	s_waitcnt vmcnt(0)
	ds_write2_b64 v6, v[1:2], v[3:4] offset0:94 offset1:95
	v_mov_b32_e32 v4, s28
	buffer_load_dword v1, v4, s[0:3], 0 offen
	buffer_load_dword v2, v4, s[0:3], 0 offen offset:4
	buffer_load_dword v3, v4, s[0:3], 0 offen offset:8
	s_nop 0
	buffer_load_dword v4, v4, s[0:3], 0 offen offset:12
	s_waitcnt vmcnt(0)
	ds_write2_b64 v6, v[1:2], v[3:4] offset0:96 offset1:97
	v_mov_b32_e32 v4, s27
	buffer_load_dword v1, v4, s[0:3], 0 offen
	buffer_load_dword v2, v4, s[0:3], 0 offen offset:4
	buffer_load_dword v3, v4, s[0:3], 0 offen offset:8
	s_nop 0
	buffer_load_dword v4, v4, s[0:3], 0 offen offset:12
	s_waitcnt vmcnt(0)
	ds_write2_b64 v6, v[1:2], v[3:4] offset0:98 offset1:99
	v_mov_b32_e32 v4, s26
	buffer_load_dword v1, v4, s[0:3], 0 offen
	buffer_load_dword v2, v4, s[0:3], 0 offen offset:4
	buffer_load_dword v3, v4, s[0:3], 0 offen offset:8
	s_nop 0
	buffer_load_dword v4, v4, s[0:3], 0 offen offset:12
	s_waitcnt vmcnt(0)
	ds_write2_b64 v6, v[1:2], v[3:4] offset0:100 offset1:101
	v_mov_b32_e32 v4, s25
	buffer_load_dword v1, v4, s[0:3], 0 offen
	buffer_load_dword v2, v4, s[0:3], 0 offen offset:4
	buffer_load_dword v3, v4, s[0:3], 0 offen offset:8
	s_nop 0
	buffer_load_dword v4, v4, s[0:3], 0 offen offset:12
	s_waitcnt vmcnt(0)
	ds_write2_b64 v6, v[1:2], v[3:4] offset0:102 offset1:103
	v_mov_b32_e32 v4, s24
	buffer_load_dword v1, v4, s[0:3], 0 offen
	buffer_load_dword v2, v4, s[0:3], 0 offen offset:4
	buffer_load_dword v3, v4, s[0:3], 0 offen offset:8
	s_nop 0
	buffer_load_dword v4, v4, s[0:3], 0 offen offset:12
	s_waitcnt vmcnt(0)
	ds_write2_b64 v6, v[1:2], v[3:4] offset0:104 offset1:105
	v_mov_b32_e32 v4, s23
	buffer_load_dword v1, v4, s[0:3], 0 offen
	buffer_load_dword v2, v4, s[0:3], 0 offen offset:4
	buffer_load_dword v3, v4, s[0:3], 0 offen offset:8
	s_nop 0
	buffer_load_dword v4, v4, s[0:3], 0 offen offset:12
	s_waitcnt vmcnt(0)
	ds_write2_b64 v6, v[1:2], v[3:4] offset0:106 offset1:107
	v_mov_b32_e32 v4, s22
	buffer_load_dword v1, v4, s[0:3], 0 offen
	buffer_load_dword v2, v4, s[0:3], 0 offen offset:4
	buffer_load_dword v3, v4, s[0:3], 0 offen offset:8
	s_nop 0
	buffer_load_dword v4, v4, s[0:3], 0 offen offset:12
	s_waitcnt vmcnt(0)
	ds_write2_b64 v6, v[1:2], v[3:4] offset0:108 offset1:109
	v_mov_b32_e32 v4, s21
	buffer_load_dword v1, v4, s[0:3], 0 offen
	buffer_load_dword v2, v4, s[0:3], 0 offen offset:4
	buffer_load_dword v3, v4, s[0:3], 0 offen offset:8
	s_nop 0
	buffer_load_dword v4, v4, s[0:3], 0 offen offset:12
	s_waitcnt vmcnt(0)
	ds_write2_b64 v6, v[1:2], v[3:4] offset0:110 offset1:111
	v_mov_b32_e32 v4, s20
	buffer_load_dword v1, v4, s[0:3], 0 offen
	buffer_load_dword v2, v4, s[0:3], 0 offen offset:4
	buffer_load_dword v3, v4, s[0:3], 0 offen offset:8
	s_nop 0
	buffer_load_dword v4, v4, s[0:3], 0 offen offset:12
	s_waitcnt vmcnt(0)
	ds_write2_b64 v6, v[1:2], v[3:4] offset0:112 offset1:113
	v_mov_b32_e32 v4, s19
	buffer_load_dword v1, v4, s[0:3], 0 offen
	buffer_load_dword v2, v4, s[0:3], 0 offen offset:4
	buffer_load_dword v3, v4, s[0:3], 0 offen offset:8
	s_nop 0
	buffer_load_dword v4, v4, s[0:3], 0 offen offset:12
	s_waitcnt vmcnt(0)
	ds_write2_b64 v6, v[1:2], v[3:4] offset0:114 offset1:115
	v_mov_b32_e32 v4, s18
	buffer_load_dword v1, v4, s[0:3], 0 offen
	buffer_load_dword v2, v4, s[0:3], 0 offen offset:4
	buffer_load_dword v3, v4, s[0:3], 0 offen offset:8
	s_nop 0
	buffer_load_dword v4, v4, s[0:3], 0 offen offset:12
	s_waitcnt vmcnt(0)
	ds_write2_b64 v6, v[1:2], v[3:4] offset0:116 offset1:117
	v_mov_b32_e32 v4, s17
	buffer_load_dword v1, v4, s[0:3], 0 offen
	buffer_load_dword v2, v4, s[0:3], 0 offen offset:4
	buffer_load_dword v3, v4, s[0:3], 0 offen offset:8
	s_nop 0
	buffer_load_dword v4, v4, s[0:3], 0 offen offset:12
	s_waitcnt vmcnt(0)
	ds_write2_b64 v6, v[1:2], v[3:4] offset0:118 offset1:119
	v_mov_b32_e32 v4, s14
	buffer_load_dword v1, v4, s[0:3], 0 offen
	buffer_load_dword v2, v4, s[0:3], 0 offen offset:4
	buffer_load_dword v3, v4, s[0:3], 0 offen offset:8
	s_nop 0
	buffer_load_dword v4, v4, s[0:3], 0 offen offset:12
	s_waitcnt vmcnt(0)
	ds_write2_b64 v6, v[1:2], v[3:4] offset0:120 offset1:121
	v_mov_b32_e32 v4, s16
	buffer_load_dword v1, v4, s[0:3], 0 offen
	buffer_load_dword v2, v4, s[0:3], 0 offen offset:4
	buffer_load_dword v3, v4, s[0:3], 0 offen offset:8
	s_nop 0
	buffer_load_dword v4, v4, s[0:3], 0 offen offset:12
	s_waitcnt vmcnt(0)
	ds_write2_b64 v6, v[1:2], v[3:4] offset0:122 offset1:123
	v_mov_b32_e32 v4, s33
	buffer_load_dword v1, v4, s[0:3], 0 offen
	buffer_load_dword v2, v4, s[0:3], 0 offen offset:4
	buffer_load_dword v3, v4, s[0:3], 0 offen offset:8
	s_nop 0
	buffer_load_dword v4, v4, s[0:3], 0 offen offset:12
	s_waitcnt vmcnt(0)
	ds_write2_b64 v6, v[1:2], v[3:4] offset0:124 offset1:125
	ds_read2_b64 v[1:4], v125 offset1:1
	s_waitcnt lgkmcnt(0)
	v_cmp_neq_f64_e32 vcc, 0, v[1:2]
	v_cmp_neq_f64_e64 s[6:7], 0, v[3:4]
	s_or_b64 s[6:7], vcc, s[6:7]
	s_and_b64 exec, exec, s[6:7]
	s_cbranch_execz .LBB125_398
; %bb.393:
	v_cmp_ngt_f64_e64 s[6:7], |v[1:2]|, |v[3:4]|
                                        ; implicit-def: $vgpr10_vgpr11
	s_and_saveexec_b64 s[10:11], s[6:7]
	s_xor_b64 s[6:7], exec, s[10:11]
                                        ; implicit-def: $vgpr12_vgpr13
	s_cbranch_execz .LBB125_395
; %bb.394:
	v_div_scale_f64 v[10:11], s[10:11], v[3:4], v[3:4], v[1:2]
	v_rcp_f64_e32 v[12:13], v[10:11]
	v_fma_f64 v[14:15], -v[10:11], v[12:13], 1.0
	v_fma_f64 v[12:13], v[12:13], v[14:15], v[12:13]
	v_div_scale_f64 v[14:15], vcc, v[1:2], v[3:4], v[1:2]
	v_fma_f64 v[16:17], -v[10:11], v[12:13], 1.0
	v_fma_f64 v[12:13], v[12:13], v[16:17], v[12:13]
	v_mul_f64 v[16:17], v[14:15], v[12:13]
	v_fma_f64 v[10:11], -v[10:11], v[16:17], v[14:15]
	v_div_fmas_f64 v[10:11], v[10:11], v[12:13], v[16:17]
	v_div_fixup_f64 v[10:11], v[10:11], v[3:4], v[1:2]
	v_fma_f64 v[1:2], v[1:2], v[10:11], v[3:4]
	v_div_scale_f64 v[3:4], s[10:11], v[1:2], v[1:2], 1.0
	v_div_scale_f64 v[16:17], vcc, 1.0, v[1:2], 1.0
	v_rcp_f64_e32 v[12:13], v[3:4]
	v_fma_f64 v[14:15], -v[3:4], v[12:13], 1.0
	v_fma_f64 v[12:13], v[12:13], v[14:15], v[12:13]
	v_fma_f64 v[14:15], -v[3:4], v[12:13], 1.0
	v_fma_f64 v[12:13], v[12:13], v[14:15], v[12:13]
	v_mul_f64 v[14:15], v[16:17], v[12:13]
	v_fma_f64 v[3:4], -v[3:4], v[14:15], v[16:17]
	v_div_fmas_f64 v[3:4], v[3:4], v[12:13], v[14:15]
	v_div_fixup_f64 v[12:13], v[3:4], v[1:2], 1.0
                                        ; implicit-def: $vgpr1_vgpr2
	v_mul_f64 v[10:11], v[10:11], v[12:13]
	v_xor_b32_e32 v13, 0x80000000, v13
.LBB125_395:
	s_andn2_saveexec_b64 s[6:7], s[6:7]
	s_cbranch_execz .LBB125_397
; %bb.396:
	v_div_scale_f64 v[10:11], s[10:11], v[1:2], v[1:2], v[3:4]
	v_rcp_f64_e32 v[12:13], v[10:11]
	v_fma_f64 v[14:15], -v[10:11], v[12:13], 1.0
	v_fma_f64 v[12:13], v[12:13], v[14:15], v[12:13]
	v_div_scale_f64 v[14:15], vcc, v[3:4], v[1:2], v[3:4]
	v_fma_f64 v[16:17], -v[10:11], v[12:13], 1.0
	v_fma_f64 v[12:13], v[12:13], v[16:17], v[12:13]
	v_mul_f64 v[16:17], v[14:15], v[12:13]
	v_fma_f64 v[10:11], -v[10:11], v[16:17], v[14:15]
	v_div_fmas_f64 v[10:11], v[10:11], v[12:13], v[16:17]
	v_div_fixup_f64 v[12:13], v[10:11], v[1:2], v[3:4]
	v_fma_f64 v[1:2], v[3:4], v[12:13], v[1:2]
	v_div_scale_f64 v[3:4], s[10:11], v[1:2], v[1:2], 1.0
	v_div_scale_f64 v[16:17], vcc, 1.0, v[1:2], 1.0
	v_rcp_f64_e32 v[10:11], v[3:4]
	v_fma_f64 v[14:15], -v[3:4], v[10:11], 1.0
	v_fma_f64 v[10:11], v[10:11], v[14:15], v[10:11]
	v_fma_f64 v[14:15], -v[3:4], v[10:11], 1.0
	v_fma_f64 v[10:11], v[10:11], v[14:15], v[10:11]
	v_mul_f64 v[14:15], v[16:17], v[10:11]
	v_fma_f64 v[3:4], -v[3:4], v[14:15], v[16:17]
	v_div_fmas_f64 v[3:4], v[3:4], v[10:11], v[14:15]
	v_div_fixup_f64 v[10:11], v[3:4], v[1:2], 1.0
	v_mul_f64 v[12:13], v[12:13], -v[10:11]
.LBB125_397:
	s_or_b64 exec, exec, s[6:7]
	ds_write2_b64 v125, v[10:11], v[12:13] offset1:1
.LBB125_398:
	s_or_b64 exec, exec, s[8:9]
	s_waitcnt lgkmcnt(0)
	s_barrier
	ds_read2_b64 v[27:30], v125 offset1:1
	v_cmp_lt_u32_e32 vcc, 31, v0
	s_and_saveexec_b64 s[6:7], vcc
	s_cbranch_execz .LBB125_403
; %bb.399:
	buffer_load_dword v1, off, s[0:3], 0 offset:504
	buffer_load_dword v2, off, s[0:3], 0 offset:508
	;; [unrolled: 1-line block ×4, first 2 shown]
	s_mov_b32 s10, 0
	s_waitcnt vmcnt(2) lgkmcnt(0)
	v_mul_f64 v[10:11], v[29:30], v[1:2]
	v_mul_f64 v[12:13], v[27:28], v[1:2]
	s_waitcnt vmcnt(0)
	v_fma_f64 v[1:2], v[27:28], v[3:4], -v[10:11]
	v_fma_f64 v[3:4], v[29:30], v[3:4], v[12:13]
	buffer_store_dword v1, off, s[0:3], 0 offset:496
	buffer_store_dword v2, off, s[0:3], 0 offset:500
	;; [unrolled: 1-line block ×4, first 2 shown]
	s_branch .LBB125_401
.LBB125_400:                            ;   in Loop: Header=BB125_401 Depth=1
	s_andn2_b64 vcc, exec, s[8:9]
	s_cbranch_vccz .LBB125_403
.LBB125_401:                            ; =>This Inner Loop Header: Depth=1
	v_add_u32_e32 v7, 0x200, v5
	v_add_u32_e32 v7, s10, v7
	ds_read2_b64 v[10:13], v7 offset1:1
	v_mov_b32_e32 v26, s10
	s_mov_b32 s11, s10
	s_mov_b64 s[8:9], -1
	s_cmpk_eq_i32 s10, 0x1c0
	s_waitcnt lgkmcnt(0)
	v_mul_f64 v[14:15], v[12:13], v[3:4]
	v_fma_f64 v[14:15], v[10:11], v[1:2], -v[14:15]
	v_mul_f64 v[10:11], v[10:11], v[3:4]
	v_fma_f64 v[10:11], v[12:13], v[1:2], v[10:11]
	buffer_load_dword v12, v26, s[0:3], 0 offen offset:512
	buffer_load_dword v13, v26, s[0:3], 0 offen offset:516
	;; [unrolled: 1-line block ×12, first 2 shown]
	s_waitcnt vmcnt(10)
	v_add_f64 v[12:13], v[12:13], -v[14:15]
	s_waitcnt vmcnt(8)
	v_add_f64 v[10:11], v[16:17], -v[10:11]
	buffer_store_dword v12, v26, s[0:3], 0 offen offset:512
	buffer_store_dword v13, v26, s[0:3], 0 offen offset:516
	;; [unrolled: 1-line block ×4, first 2 shown]
	ds_read2_b64 v[10:13], v7 offset0:2 offset1:3
	s_waitcnt lgkmcnt(0)
	v_mul_f64 v[14:15], v[12:13], v[3:4]
	v_fma_f64 v[14:15], v[10:11], v[1:2], -v[14:15]
	v_mul_f64 v[10:11], v[10:11], v[3:4]
	v_fma_f64 v[10:11], v[12:13], v[1:2], v[10:11]
	s_waitcnt vmcnt(10)
	v_add_f64 v[12:13], v[18:19], -v[14:15]
	s_waitcnt vmcnt(8)
	v_add_f64 v[10:11], v[20:21], -v[10:11]
	buffer_store_dword v12, v26, s[0:3], 0 offen offset:528
	buffer_store_dword v13, v26, s[0:3], 0 offen offset:532
	buffer_store_dword v10, v26, s[0:3], 0 offen offset:536
	buffer_store_dword v11, v26, s[0:3], 0 offen offset:540
	ds_read2_b64 v[10:13], v7 offset0:4 offset1:5
	s_waitcnt lgkmcnt(0)
	v_mul_f64 v[14:15], v[12:13], v[3:4]
	v_fma_f64 v[14:15], v[10:11], v[1:2], -v[14:15]
	v_mul_f64 v[10:11], v[10:11], v[3:4]
	v_fma_f64 v[10:11], v[12:13], v[1:2], v[10:11]
	s_waitcnt vmcnt(10)
	v_add_f64 v[12:13], v[22:23], -v[14:15]
	s_waitcnt vmcnt(8)
	v_add_f64 v[10:11], v[24:25], -v[10:11]
	buffer_store_dword v12, v26, s[0:3], 0 offen offset:544
	buffer_store_dword v13, v26, s[0:3], 0 offen offset:548
	buffer_store_dword v10, v26, s[0:3], 0 offen offset:552
	buffer_store_dword v11, v26, s[0:3], 0 offen offset:556
	s_cbranch_scc1 .LBB125_400
; %bb.402:                              ;   in Loop: Header=BB125_401 Depth=1
	ds_read2_b64 v[10:13], v7 offset0:6 offset1:7
	v_mov_b32_e32 v7, s11
	s_add_i32 s10, s10, 64
	s_mov_b64 s[8:9], 0
	s_waitcnt lgkmcnt(0)
	v_mul_f64 v[14:15], v[12:13], v[3:4]
	v_fma_f64 v[14:15], v[10:11], v[1:2], -v[14:15]
	v_mul_f64 v[10:11], v[10:11], v[3:4]
	v_fma_f64 v[10:11], v[12:13], v[1:2], v[10:11]
	buffer_load_dword v12, v7, s[0:3], 0 offen offset:560
	buffer_load_dword v13, v7, s[0:3], 0 offen offset:564
	;; [unrolled: 1-line block ×4, first 2 shown]
	s_waitcnt vmcnt(2)
	v_add_f64 v[12:13], v[12:13], -v[14:15]
	s_waitcnt vmcnt(0)
	v_add_f64 v[10:11], v[16:17], -v[10:11]
	buffer_store_dword v12, v7, s[0:3], 0 offen offset:560
	buffer_store_dword v13, v7, s[0:3], 0 offen offset:564
	;; [unrolled: 1-line block ×4, first 2 shown]
	s_branch .LBB125_400
.LBB125_403:
	s_or_b64 exec, exec, s[6:7]
	v_cmp_eq_u32_e32 vcc, 32, v0
	s_waitcnt vmcnt(0) lgkmcnt(0)
	s_barrier
	s_and_saveexec_b64 s[8:9], vcc
	s_cbranch_execz .LBB125_410
; %bb.404:
	v_mov_b32_e32 v4, s73
	buffer_load_dword v1, v4, s[0:3], 0 offen
	buffer_load_dword v2, v4, s[0:3], 0 offen offset:4
	buffer_load_dword v3, v4, s[0:3], 0 offen offset:8
	s_nop 0
	buffer_load_dword v4, v4, s[0:3], 0 offen offset:12
	s_waitcnt vmcnt(0)
	ds_write2_b64 v125, v[1:2], v[3:4] offset1:1
	v_mov_b32_e32 v4, s15
	buffer_load_dword v1, v4, s[0:3], 0 offen
	buffer_load_dword v2, v4, s[0:3], 0 offen offset:4
	buffer_load_dword v3, v4, s[0:3], 0 offen offset:8
	s_nop 0
	buffer_load_dword v4, v4, s[0:3], 0 offen offset:12
	s_waitcnt vmcnt(0)
	ds_write2_b64 v6, v[1:2], v[3:4] offset0:66 offset1:67
	v_mov_b32_e32 v4, s71
	buffer_load_dword v1, v4, s[0:3], 0 offen
	buffer_load_dword v2, v4, s[0:3], 0 offen offset:4
	buffer_load_dword v3, v4, s[0:3], 0 offen offset:8
	s_nop 0
	buffer_load_dword v4, v4, s[0:3], 0 offen offset:12
	s_waitcnt vmcnt(0)
	ds_write2_b64 v6, v[1:2], v[3:4] offset0:68 offset1:69
	v_mov_b32_e32 v4, s43
	buffer_load_dword v1, v4, s[0:3], 0 offen
	buffer_load_dword v2, v4, s[0:3], 0 offen offset:4
	buffer_load_dword v3, v4, s[0:3], 0 offen offset:8
	s_nop 0
	buffer_load_dword v4, v4, s[0:3], 0 offen offset:12
	s_waitcnt vmcnt(0)
	ds_write2_b64 v6, v[1:2], v[3:4] offset0:70 offset1:71
	v_mov_b32_e32 v4, s42
	buffer_load_dword v1, v4, s[0:3], 0 offen
	buffer_load_dword v2, v4, s[0:3], 0 offen offset:4
	buffer_load_dword v3, v4, s[0:3], 0 offen offset:8
	s_nop 0
	buffer_load_dword v4, v4, s[0:3], 0 offen offset:12
	s_waitcnt vmcnt(0)
	ds_write2_b64 v6, v[1:2], v[3:4] offset0:72 offset1:73
	v_mov_b32_e32 v4, s41
	buffer_load_dword v1, v4, s[0:3], 0 offen
	buffer_load_dword v2, v4, s[0:3], 0 offen offset:4
	buffer_load_dword v3, v4, s[0:3], 0 offen offset:8
	s_nop 0
	buffer_load_dword v4, v4, s[0:3], 0 offen offset:12
	s_waitcnt vmcnt(0)
	ds_write2_b64 v6, v[1:2], v[3:4] offset0:74 offset1:75
	v_mov_b32_e32 v4, s40
	buffer_load_dword v1, v4, s[0:3], 0 offen
	buffer_load_dword v2, v4, s[0:3], 0 offen offset:4
	buffer_load_dword v3, v4, s[0:3], 0 offen offset:8
	s_nop 0
	buffer_load_dword v4, v4, s[0:3], 0 offen offset:12
	s_waitcnt vmcnt(0)
	ds_write2_b64 v6, v[1:2], v[3:4] offset0:76 offset1:77
	v_mov_b32_e32 v4, s39
	buffer_load_dword v1, v4, s[0:3], 0 offen
	buffer_load_dword v2, v4, s[0:3], 0 offen offset:4
	buffer_load_dword v3, v4, s[0:3], 0 offen offset:8
	s_nop 0
	buffer_load_dword v4, v4, s[0:3], 0 offen offset:12
	s_waitcnt vmcnt(0)
	ds_write2_b64 v6, v[1:2], v[3:4] offset0:78 offset1:79
	v_mov_b32_e32 v4, s38
	buffer_load_dword v1, v4, s[0:3], 0 offen
	buffer_load_dword v2, v4, s[0:3], 0 offen offset:4
	buffer_load_dword v3, v4, s[0:3], 0 offen offset:8
	s_nop 0
	buffer_load_dword v4, v4, s[0:3], 0 offen offset:12
	s_waitcnt vmcnt(0)
	ds_write2_b64 v6, v[1:2], v[3:4] offset0:80 offset1:81
	v_mov_b32_e32 v4, s37
	buffer_load_dword v1, v4, s[0:3], 0 offen
	buffer_load_dword v2, v4, s[0:3], 0 offen offset:4
	buffer_load_dword v3, v4, s[0:3], 0 offen offset:8
	s_nop 0
	buffer_load_dword v4, v4, s[0:3], 0 offen offset:12
	s_waitcnt vmcnt(0)
	ds_write2_b64 v6, v[1:2], v[3:4] offset0:82 offset1:83
	v_mov_b32_e32 v4, s36
	buffer_load_dword v1, v4, s[0:3], 0 offen
	buffer_load_dword v2, v4, s[0:3], 0 offen offset:4
	buffer_load_dword v3, v4, s[0:3], 0 offen offset:8
	s_nop 0
	buffer_load_dword v4, v4, s[0:3], 0 offen offset:12
	s_waitcnt vmcnt(0)
	ds_write2_b64 v6, v[1:2], v[3:4] offset0:84 offset1:85
	v_mov_b32_e32 v4, s35
	buffer_load_dword v1, v4, s[0:3], 0 offen
	buffer_load_dword v2, v4, s[0:3], 0 offen offset:4
	buffer_load_dword v3, v4, s[0:3], 0 offen offset:8
	s_nop 0
	buffer_load_dword v4, v4, s[0:3], 0 offen offset:12
	s_waitcnt vmcnt(0)
	ds_write2_b64 v6, v[1:2], v[3:4] offset0:86 offset1:87
	v_mov_b32_e32 v4, s34
	buffer_load_dword v1, v4, s[0:3], 0 offen
	buffer_load_dword v2, v4, s[0:3], 0 offen offset:4
	buffer_load_dword v3, v4, s[0:3], 0 offen offset:8
	s_nop 0
	buffer_load_dword v4, v4, s[0:3], 0 offen offset:12
	s_waitcnt vmcnt(0)
	ds_write2_b64 v6, v[1:2], v[3:4] offset0:88 offset1:89
	v_mov_b32_e32 v4, s31
	buffer_load_dword v1, v4, s[0:3], 0 offen
	buffer_load_dword v2, v4, s[0:3], 0 offen offset:4
	buffer_load_dword v3, v4, s[0:3], 0 offen offset:8
	s_nop 0
	buffer_load_dword v4, v4, s[0:3], 0 offen offset:12
	s_waitcnt vmcnt(0)
	ds_write2_b64 v6, v[1:2], v[3:4] offset0:90 offset1:91
	v_mov_b32_e32 v4, s30
	buffer_load_dword v1, v4, s[0:3], 0 offen
	buffer_load_dword v2, v4, s[0:3], 0 offen offset:4
	buffer_load_dword v3, v4, s[0:3], 0 offen offset:8
	s_nop 0
	buffer_load_dword v4, v4, s[0:3], 0 offen offset:12
	s_waitcnt vmcnt(0)
	ds_write2_b64 v6, v[1:2], v[3:4] offset0:92 offset1:93
	v_mov_b32_e32 v4, s29
	buffer_load_dword v1, v4, s[0:3], 0 offen
	buffer_load_dword v2, v4, s[0:3], 0 offen offset:4
	buffer_load_dword v3, v4, s[0:3], 0 offen offset:8
	s_nop 0
	buffer_load_dword v4, v4, s[0:3], 0 offen offset:12
	s_waitcnt vmcnt(0)
	ds_write2_b64 v6, v[1:2], v[3:4] offset0:94 offset1:95
	v_mov_b32_e32 v4, s28
	buffer_load_dword v1, v4, s[0:3], 0 offen
	buffer_load_dword v2, v4, s[0:3], 0 offen offset:4
	buffer_load_dword v3, v4, s[0:3], 0 offen offset:8
	s_nop 0
	buffer_load_dword v4, v4, s[0:3], 0 offen offset:12
	s_waitcnt vmcnt(0)
	ds_write2_b64 v6, v[1:2], v[3:4] offset0:96 offset1:97
	v_mov_b32_e32 v4, s27
	buffer_load_dword v1, v4, s[0:3], 0 offen
	buffer_load_dword v2, v4, s[0:3], 0 offen offset:4
	buffer_load_dword v3, v4, s[0:3], 0 offen offset:8
	s_nop 0
	buffer_load_dword v4, v4, s[0:3], 0 offen offset:12
	s_waitcnt vmcnt(0)
	ds_write2_b64 v6, v[1:2], v[3:4] offset0:98 offset1:99
	v_mov_b32_e32 v4, s26
	buffer_load_dword v1, v4, s[0:3], 0 offen
	buffer_load_dword v2, v4, s[0:3], 0 offen offset:4
	buffer_load_dword v3, v4, s[0:3], 0 offen offset:8
	s_nop 0
	buffer_load_dword v4, v4, s[0:3], 0 offen offset:12
	s_waitcnt vmcnt(0)
	ds_write2_b64 v6, v[1:2], v[3:4] offset0:100 offset1:101
	v_mov_b32_e32 v4, s25
	buffer_load_dword v1, v4, s[0:3], 0 offen
	buffer_load_dword v2, v4, s[0:3], 0 offen offset:4
	buffer_load_dword v3, v4, s[0:3], 0 offen offset:8
	s_nop 0
	buffer_load_dword v4, v4, s[0:3], 0 offen offset:12
	s_waitcnt vmcnt(0)
	ds_write2_b64 v6, v[1:2], v[3:4] offset0:102 offset1:103
	v_mov_b32_e32 v4, s24
	buffer_load_dword v1, v4, s[0:3], 0 offen
	buffer_load_dword v2, v4, s[0:3], 0 offen offset:4
	buffer_load_dword v3, v4, s[0:3], 0 offen offset:8
	s_nop 0
	buffer_load_dword v4, v4, s[0:3], 0 offen offset:12
	s_waitcnt vmcnt(0)
	ds_write2_b64 v6, v[1:2], v[3:4] offset0:104 offset1:105
	v_mov_b32_e32 v4, s23
	buffer_load_dword v1, v4, s[0:3], 0 offen
	buffer_load_dword v2, v4, s[0:3], 0 offen offset:4
	buffer_load_dword v3, v4, s[0:3], 0 offen offset:8
	s_nop 0
	buffer_load_dword v4, v4, s[0:3], 0 offen offset:12
	s_waitcnt vmcnt(0)
	ds_write2_b64 v6, v[1:2], v[3:4] offset0:106 offset1:107
	v_mov_b32_e32 v4, s22
	buffer_load_dword v1, v4, s[0:3], 0 offen
	buffer_load_dword v2, v4, s[0:3], 0 offen offset:4
	buffer_load_dword v3, v4, s[0:3], 0 offen offset:8
	s_nop 0
	buffer_load_dword v4, v4, s[0:3], 0 offen offset:12
	s_waitcnt vmcnt(0)
	ds_write2_b64 v6, v[1:2], v[3:4] offset0:108 offset1:109
	v_mov_b32_e32 v4, s21
	buffer_load_dword v1, v4, s[0:3], 0 offen
	buffer_load_dword v2, v4, s[0:3], 0 offen offset:4
	buffer_load_dword v3, v4, s[0:3], 0 offen offset:8
	s_nop 0
	buffer_load_dword v4, v4, s[0:3], 0 offen offset:12
	s_waitcnt vmcnt(0)
	ds_write2_b64 v6, v[1:2], v[3:4] offset0:110 offset1:111
	v_mov_b32_e32 v4, s20
	buffer_load_dword v1, v4, s[0:3], 0 offen
	buffer_load_dword v2, v4, s[0:3], 0 offen offset:4
	buffer_load_dword v3, v4, s[0:3], 0 offen offset:8
	s_nop 0
	buffer_load_dword v4, v4, s[0:3], 0 offen offset:12
	s_waitcnt vmcnt(0)
	ds_write2_b64 v6, v[1:2], v[3:4] offset0:112 offset1:113
	v_mov_b32_e32 v4, s19
	buffer_load_dword v1, v4, s[0:3], 0 offen
	buffer_load_dword v2, v4, s[0:3], 0 offen offset:4
	buffer_load_dword v3, v4, s[0:3], 0 offen offset:8
	s_nop 0
	buffer_load_dword v4, v4, s[0:3], 0 offen offset:12
	s_waitcnt vmcnt(0)
	ds_write2_b64 v6, v[1:2], v[3:4] offset0:114 offset1:115
	v_mov_b32_e32 v4, s18
	buffer_load_dword v1, v4, s[0:3], 0 offen
	buffer_load_dword v2, v4, s[0:3], 0 offen offset:4
	buffer_load_dword v3, v4, s[0:3], 0 offen offset:8
	s_nop 0
	buffer_load_dword v4, v4, s[0:3], 0 offen offset:12
	s_waitcnt vmcnt(0)
	ds_write2_b64 v6, v[1:2], v[3:4] offset0:116 offset1:117
	v_mov_b32_e32 v4, s17
	buffer_load_dword v1, v4, s[0:3], 0 offen
	buffer_load_dword v2, v4, s[0:3], 0 offen offset:4
	buffer_load_dword v3, v4, s[0:3], 0 offen offset:8
	s_nop 0
	buffer_load_dword v4, v4, s[0:3], 0 offen offset:12
	s_waitcnt vmcnt(0)
	ds_write2_b64 v6, v[1:2], v[3:4] offset0:118 offset1:119
	v_mov_b32_e32 v4, s14
	buffer_load_dword v1, v4, s[0:3], 0 offen
	buffer_load_dword v2, v4, s[0:3], 0 offen offset:4
	buffer_load_dword v3, v4, s[0:3], 0 offen offset:8
	s_nop 0
	buffer_load_dword v4, v4, s[0:3], 0 offen offset:12
	s_waitcnt vmcnt(0)
	ds_write2_b64 v6, v[1:2], v[3:4] offset0:120 offset1:121
	v_mov_b32_e32 v4, s16
	buffer_load_dword v1, v4, s[0:3], 0 offen
	buffer_load_dword v2, v4, s[0:3], 0 offen offset:4
	buffer_load_dword v3, v4, s[0:3], 0 offen offset:8
	s_nop 0
	buffer_load_dword v4, v4, s[0:3], 0 offen offset:12
	s_waitcnt vmcnt(0)
	ds_write2_b64 v6, v[1:2], v[3:4] offset0:122 offset1:123
	v_mov_b32_e32 v4, s33
	buffer_load_dword v1, v4, s[0:3], 0 offen
	buffer_load_dword v2, v4, s[0:3], 0 offen offset:4
	buffer_load_dword v3, v4, s[0:3], 0 offen offset:8
	s_nop 0
	buffer_load_dword v4, v4, s[0:3], 0 offen offset:12
	s_waitcnt vmcnt(0)
	ds_write2_b64 v6, v[1:2], v[3:4] offset0:124 offset1:125
	ds_read2_b64 v[1:4], v125 offset1:1
	s_waitcnt lgkmcnt(0)
	v_cmp_neq_f64_e32 vcc, 0, v[1:2]
	v_cmp_neq_f64_e64 s[6:7], 0, v[3:4]
	s_or_b64 s[6:7], vcc, s[6:7]
	s_and_b64 exec, exec, s[6:7]
	s_cbranch_execz .LBB125_410
; %bb.405:
	v_cmp_ngt_f64_e64 s[6:7], |v[1:2]|, |v[3:4]|
                                        ; implicit-def: $vgpr10_vgpr11
	s_and_saveexec_b64 s[10:11], s[6:7]
	s_xor_b64 s[6:7], exec, s[10:11]
                                        ; implicit-def: $vgpr12_vgpr13
	s_cbranch_execz .LBB125_407
; %bb.406:
	v_div_scale_f64 v[10:11], s[10:11], v[3:4], v[3:4], v[1:2]
	v_rcp_f64_e32 v[12:13], v[10:11]
	v_fma_f64 v[14:15], -v[10:11], v[12:13], 1.0
	v_fma_f64 v[12:13], v[12:13], v[14:15], v[12:13]
	v_div_scale_f64 v[14:15], vcc, v[1:2], v[3:4], v[1:2]
	v_fma_f64 v[16:17], -v[10:11], v[12:13], 1.0
	v_fma_f64 v[12:13], v[12:13], v[16:17], v[12:13]
	v_mul_f64 v[16:17], v[14:15], v[12:13]
	v_fma_f64 v[10:11], -v[10:11], v[16:17], v[14:15]
	v_div_fmas_f64 v[10:11], v[10:11], v[12:13], v[16:17]
	v_div_fixup_f64 v[10:11], v[10:11], v[3:4], v[1:2]
	v_fma_f64 v[1:2], v[1:2], v[10:11], v[3:4]
	v_div_scale_f64 v[3:4], s[10:11], v[1:2], v[1:2], 1.0
	v_div_scale_f64 v[16:17], vcc, 1.0, v[1:2], 1.0
	v_rcp_f64_e32 v[12:13], v[3:4]
	v_fma_f64 v[14:15], -v[3:4], v[12:13], 1.0
	v_fma_f64 v[12:13], v[12:13], v[14:15], v[12:13]
	v_fma_f64 v[14:15], -v[3:4], v[12:13], 1.0
	v_fma_f64 v[12:13], v[12:13], v[14:15], v[12:13]
	v_mul_f64 v[14:15], v[16:17], v[12:13]
	v_fma_f64 v[3:4], -v[3:4], v[14:15], v[16:17]
	v_div_fmas_f64 v[3:4], v[3:4], v[12:13], v[14:15]
	v_div_fixup_f64 v[12:13], v[3:4], v[1:2], 1.0
                                        ; implicit-def: $vgpr1_vgpr2
	v_mul_f64 v[10:11], v[10:11], v[12:13]
	v_xor_b32_e32 v13, 0x80000000, v13
.LBB125_407:
	s_andn2_saveexec_b64 s[6:7], s[6:7]
	s_cbranch_execz .LBB125_409
; %bb.408:
	v_div_scale_f64 v[10:11], s[10:11], v[1:2], v[1:2], v[3:4]
	v_rcp_f64_e32 v[12:13], v[10:11]
	v_fma_f64 v[14:15], -v[10:11], v[12:13], 1.0
	v_fma_f64 v[12:13], v[12:13], v[14:15], v[12:13]
	v_div_scale_f64 v[14:15], vcc, v[3:4], v[1:2], v[3:4]
	v_fma_f64 v[16:17], -v[10:11], v[12:13], 1.0
	v_fma_f64 v[12:13], v[12:13], v[16:17], v[12:13]
	v_mul_f64 v[16:17], v[14:15], v[12:13]
	v_fma_f64 v[10:11], -v[10:11], v[16:17], v[14:15]
	v_div_fmas_f64 v[10:11], v[10:11], v[12:13], v[16:17]
	v_div_fixup_f64 v[12:13], v[10:11], v[1:2], v[3:4]
	v_fma_f64 v[1:2], v[3:4], v[12:13], v[1:2]
	v_div_scale_f64 v[3:4], s[10:11], v[1:2], v[1:2], 1.0
	v_div_scale_f64 v[16:17], vcc, 1.0, v[1:2], 1.0
	v_rcp_f64_e32 v[10:11], v[3:4]
	v_fma_f64 v[14:15], -v[3:4], v[10:11], 1.0
	v_fma_f64 v[10:11], v[10:11], v[14:15], v[10:11]
	v_fma_f64 v[14:15], -v[3:4], v[10:11], 1.0
	v_fma_f64 v[10:11], v[10:11], v[14:15], v[10:11]
	v_mul_f64 v[14:15], v[16:17], v[10:11]
	v_fma_f64 v[3:4], -v[3:4], v[14:15], v[16:17]
	v_div_fmas_f64 v[3:4], v[3:4], v[10:11], v[14:15]
	v_div_fixup_f64 v[10:11], v[3:4], v[1:2], 1.0
	v_mul_f64 v[12:13], v[12:13], -v[10:11]
.LBB125_409:
	s_or_b64 exec, exec, s[6:7]
	ds_write2_b64 v125, v[10:11], v[12:13] offset1:1
.LBB125_410:
	s_or_b64 exec, exec, s[8:9]
	buffer_store_dword v27, off, s[0:3], 0 offset:2072 ; 4-byte Folded Spill
	s_nop 0
	buffer_store_dword v28, off, s[0:3], 0 offset:2076 ; 4-byte Folded Spill
	buffer_store_dword v29, off, s[0:3], 0 offset:2080 ; 4-byte Folded Spill
	;; [unrolled: 1-line block ×3, first 2 shown]
	s_waitcnt vmcnt(0) lgkmcnt(0)
	s_barrier
	ds_read2_b64 v[1:4], v125 offset1:1
	v_cmp_lt_u32_e32 vcc, 32, v0
	s_waitcnt lgkmcnt(0)
	buffer_store_dword v1, off, s[0:3], 0 offset:1848 ; 4-byte Folded Spill
	s_nop 0
	buffer_store_dword v2, off, s[0:3], 0 offset:1852 ; 4-byte Folded Spill
	buffer_store_dword v3, off, s[0:3], 0 offset:1856 ; 4-byte Folded Spill
	;; [unrolled: 1-line block ×3, first 2 shown]
	s_and_saveexec_b64 s[6:7], vcc
	s_cbranch_execz .LBB125_413
; %bb.411:
	buffer_load_dword v1, off, s[0:3], 0 offset:520
	buffer_load_dword v2, off, s[0:3], 0 offset:524
	;; [unrolled: 1-line block ×4, first 2 shown]
	buffer_load_dword v14, off, s[0:3], 0 offset:1848 ; 4-byte Folded Reload
	buffer_load_dword v15, off, s[0:3], 0 offset:1852 ; 4-byte Folded Reload
	;; [unrolled: 1-line block ×4, first 2 shown]
	s_mov_b32 s8, 0
	v_add_u32_e32 v5, 0x210, v5
	s_waitcnt vmcnt(2)
	v_mul_f64 v[12:13], v[14:15], v[1:2]
	s_waitcnt vmcnt(0)
	v_mul_f64 v[10:11], v[16:17], v[1:2]
	v_fma_f64 v[1:2], v[14:15], v[3:4], -v[10:11]
	v_fma_f64 v[3:4], v[16:17], v[3:4], v[12:13]
	buffer_store_dword v1, off, s[0:3], 0 offset:512
	buffer_store_dword v2, off, s[0:3], 0 offset:516
	buffer_store_dword v3, off, s[0:3], 0 offset:520
	buffer_store_dword v4, off, s[0:3], 0 offset:524
.LBB125_412:                            ; =>This Inner Loop Header: Depth=1
	v_add_u32_e32 v10, s8, v5
	ds_read2_b64 v[11:14], v10 offset1:1
	v_mov_b32_e32 v7, s8
	s_addk_i32 s8, 0x60
	s_cmpk_lg_i32 s8, 0x1e0
	s_waitcnt lgkmcnt(0)
	v_mul_f64 v[15:16], v[13:14], v[3:4]
	v_fma_f64 v[15:16], v[11:12], v[1:2], -v[15:16]
	v_mul_f64 v[11:12], v[11:12], v[3:4]
	v_fma_f64 v[11:12], v[13:14], v[1:2], v[11:12]
	buffer_load_dword v13, v7, s[0:3], 0 offen offset:528
	buffer_load_dword v14, v7, s[0:3], 0 offen offset:532
	;; [unrolled: 1-line block ×16, first 2 shown]
	s_waitcnt vmcnt(14)
	v_add_f64 v[13:14], v[13:14], -v[15:16]
	s_waitcnt vmcnt(12)
	v_add_f64 v[11:12], v[17:18], -v[11:12]
	buffer_store_dword v13, v7, s[0:3], 0 offen offset:528
	buffer_store_dword v14, v7, s[0:3], 0 offen offset:532
	buffer_store_dword v11, v7, s[0:3], 0 offen offset:536
	buffer_store_dword v12, v7, s[0:3], 0 offen offset:540
	ds_read2_b64 v[11:14], v10 offset0:2 offset1:3
	s_waitcnt lgkmcnt(0)
	v_mul_f64 v[15:16], v[13:14], v[3:4]
	v_fma_f64 v[15:16], v[11:12], v[1:2], -v[15:16]
	v_mul_f64 v[11:12], v[11:12], v[3:4]
	v_fma_f64 v[11:12], v[13:14], v[1:2], v[11:12]
	s_waitcnt vmcnt(14)
	v_add_f64 v[13:14], v[19:20], -v[15:16]
	s_waitcnt vmcnt(12)
	v_add_f64 v[11:12], v[21:22], -v[11:12]
	buffer_store_dword v13, v7, s[0:3], 0 offen offset:544
	buffer_store_dword v14, v7, s[0:3], 0 offen offset:548
	buffer_store_dword v11, v7, s[0:3], 0 offen offset:552
	buffer_store_dword v12, v7, s[0:3], 0 offen offset:556
	ds_read2_b64 v[11:14], v10 offset0:4 offset1:5
	s_waitcnt lgkmcnt(0)
	v_mul_f64 v[15:16], v[13:14], v[3:4]
	v_fma_f64 v[15:16], v[11:12], v[1:2], -v[15:16]
	v_mul_f64 v[11:12], v[11:12], v[3:4]
	v_fma_f64 v[11:12], v[13:14], v[1:2], v[11:12]
	;; [unrolled: 14-line block ×4, first 2 shown]
	buffer_load_dword v13, v7, s[0:3], 0 offen offset:592
	buffer_load_dword v14, v7, s[0:3], 0 offen offset:596
	;; [unrolled: 1-line block ×4, first 2 shown]
	s_waitcnt vmcnt(2)
	v_add_f64 v[13:14], v[13:14], -v[15:16]
	s_waitcnt vmcnt(0)
	v_add_f64 v[11:12], v[17:18], -v[11:12]
	buffer_store_dword v14, v7, s[0:3], 0 offen offset:596
	buffer_store_dword v13, v7, s[0:3], 0 offen offset:592
	buffer_store_dword v12, v7, s[0:3], 0 offen offset:604
	buffer_store_dword v11, v7, s[0:3], 0 offen offset:600
	ds_read2_b64 v[10:13], v10 offset0:10 offset1:11
	s_waitcnt lgkmcnt(0)
	v_mul_f64 v[14:15], v[12:13], v[3:4]
	v_fma_f64 v[14:15], v[10:11], v[1:2], -v[14:15]
	v_mul_f64 v[10:11], v[10:11], v[3:4]
	v_fma_f64 v[10:11], v[12:13], v[1:2], v[10:11]
	buffer_load_dword v12, v7, s[0:3], 0 offen offset:608
	buffer_load_dword v13, v7, s[0:3], 0 offen offset:612
	;; [unrolled: 1-line block ×4, first 2 shown]
	s_waitcnt vmcnt(2)
	v_add_f64 v[12:13], v[12:13], -v[14:15]
	s_waitcnt vmcnt(0)
	v_add_f64 v[10:11], v[16:17], -v[10:11]
	buffer_store_dword v13, v7, s[0:3], 0 offen offset:612
	buffer_store_dword v12, v7, s[0:3], 0 offen offset:608
	;; [unrolled: 1-line block ×4, first 2 shown]
	s_cbranch_scc1 .LBB125_412
.LBB125_413:
	s_or_b64 exec, exec, s[6:7]
	v_cmp_eq_u32_e32 vcc, 33, v0
	s_waitcnt vmcnt(0)
	s_barrier
	s_and_saveexec_b64 s[8:9], vcc
	s_cbranch_execz .LBB125_420
; %bb.414:
	v_mov_b32_e32 v4, s15
	buffer_load_dword v1, v4, s[0:3], 0 offen
	buffer_load_dword v2, v4, s[0:3], 0 offen offset:4
	buffer_load_dword v3, v4, s[0:3], 0 offen offset:8
	s_nop 0
	buffer_load_dword v4, v4, s[0:3], 0 offen offset:12
	s_waitcnt vmcnt(0)
	ds_write2_b64 v125, v[1:2], v[3:4] offset1:1
	v_mov_b32_e32 v4, s71
	buffer_load_dword v1, v4, s[0:3], 0 offen
	buffer_load_dword v2, v4, s[0:3], 0 offen offset:4
	buffer_load_dword v3, v4, s[0:3], 0 offen offset:8
	s_nop 0
	buffer_load_dword v4, v4, s[0:3], 0 offen offset:12
	s_waitcnt vmcnt(0)
	ds_write2_b64 v6, v[1:2], v[3:4] offset0:68 offset1:69
	v_mov_b32_e32 v4, s43
	buffer_load_dword v1, v4, s[0:3], 0 offen
	buffer_load_dword v2, v4, s[0:3], 0 offen offset:4
	buffer_load_dword v3, v4, s[0:3], 0 offen offset:8
	s_nop 0
	buffer_load_dword v4, v4, s[0:3], 0 offen offset:12
	s_waitcnt vmcnt(0)
	ds_write2_b64 v6, v[1:2], v[3:4] offset0:70 offset1:71
	;; [unrolled: 8-line block ×29, first 2 shown]
	ds_read2_b64 v[1:4], v125 offset1:1
	s_waitcnt lgkmcnt(0)
	v_cmp_neq_f64_e32 vcc, 0, v[1:2]
	v_cmp_neq_f64_e64 s[6:7], 0, v[3:4]
	s_or_b64 s[6:7], vcc, s[6:7]
	s_and_b64 exec, exec, s[6:7]
	s_cbranch_execz .LBB125_420
; %bb.415:
	v_cmp_ngt_f64_e64 s[6:7], |v[1:2]|, |v[3:4]|
                                        ; implicit-def: $vgpr10_vgpr11
	s_and_saveexec_b64 s[10:11], s[6:7]
	s_xor_b64 s[6:7], exec, s[10:11]
                                        ; implicit-def: $vgpr12_vgpr13
	s_cbranch_execz .LBB125_417
; %bb.416:
	v_div_scale_f64 v[10:11], s[10:11], v[3:4], v[3:4], v[1:2]
	v_rcp_f64_e32 v[12:13], v[10:11]
	v_fma_f64 v[14:15], -v[10:11], v[12:13], 1.0
	v_fma_f64 v[12:13], v[12:13], v[14:15], v[12:13]
	v_div_scale_f64 v[14:15], vcc, v[1:2], v[3:4], v[1:2]
	v_fma_f64 v[16:17], -v[10:11], v[12:13], 1.0
	v_fma_f64 v[12:13], v[12:13], v[16:17], v[12:13]
	v_mul_f64 v[16:17], v[14:15], v[12:13]
	v_fma_f64 v[10:11], -v[10:11], v[16:17], v[14:15]
	v_div_fmas_f64 v[10:11], v[10:11], v[12:13], v[16:17]
	v_div_fixup_f64 v[10:11], v[10:11], v[3:4], v[1:2]
	v_fma_f64 v[1:2], v[1:2], v[10:11], v[3:4]
	v_div_scale_f64 v[3:4], s[10:11], v[1:2], v[1:2], 1.0
	v_div_scale_f64 v[16:17], vcc, 1.0, v[1:2], 1.0
	v_rcp_f64_e32 v[12:13], v[3:4]
	v_fma_f64 v[14:15], -v[3:4], v[12:13], 1.0
	v_fma_f64 v[12:13], v[12:13], v[14:15], v[12:13]
	v_fma_f64 v[14:15], -v[3:4], v[12:13], 1.0
	v_fma_f64 v[12:13], v[12:13], v[14:15], v[12:13]
	v_mul_f64 v[14:15], v[16:17], v[12:13]
	v_fma_f64 v[3:4], -v[3:4], v[14:15], v[16:17]
	v_div_fmas_f64 v[3:4], v[3:4], v[12:13], v[14:15]
	v_div_fixup_f64 v[12:13], v[3:4], v[1:2], 1.0
                                        ; implicit-def: $vgpr1_vgpr2
	v_mul_f64 v[10:11], v[10:11], v[12:13]
	v_xor_b32_e32 v13, 0x80000000, v13
.LBB125_417:
	s_andn2_saveexec_b64 s[6:7], s[6:7]
	s_cbranch_execz .LBB125_419
; %bb.418:
	v_div_scale_f64 v[10:11], s[10:11], v[1:2], v[1:2], v[3:4]
	v_rcp_f64_e32 v[12:13], v[10:11]
	v_fma_f64 v[14:15], -v[10:11], v[12:13], 1.0
	v_fma_f64 v[12:13], v[12:13], v[14:15], v[12:13]
	v_div_scale_f64 v[14:15], vcc, v[3:4], v[1:2], v[3:4]
	v_fma_f64 v[16:17], -v[10:11], v[12:13], 1.0
	v_fma_f64 v[12:13], v[12:13], v[16:17], v[12:13]
	v_mul_f64 v[16:17], v[14:15], v[12:13]
	v_fma_f64 v[10:11], -v[10:11], v[16:17], v[14:15]
	v_div_fmas_f64 v[10:11], v[10:11], v[12:13], v[16:17]
	v_div_fixup_f64 v[12:13], v[10:11], v[1:2], v[3:4]
	v_fma_f64 v[1:2], v[3:4], v[12:13], v[1:2]
	v_div_scale_f64 v[3:4], s[10:11], v[1:2], v[1:2], 1.0
	v_div_scale_f64 v[16:17], vcc, 1.0, v[1:2], 1.0
	v_rcp_f64_e32 v[10:11], v[3:4]
	v_fma_f64 v[14:15], -v[3:4], v[10:11], 1.0
	v_fma_f64 v[10:11], v[10:11], v[14:15], v[10:11]
	v_fma_f64 v[14:15], -v[3:4], v[10:11], 1.0
	v_fma_f64 v[10:11], v[10:11], v[14:15], v[10:11]
	v_mul_f64 v[14:15], v[16:17], v[10:11]
	v_fma_f64 v[3:4], -v[3:4], v[14:15], v[16:17]
	v_div_fmas_f64 v[3:4], v[3:4], v[10:11], v[14:15]
	v_div_fixup_f64 v[10:11], v[3:4], v[1:2], 1.0
	v_mul_f64 v[12:13], v[12:13], -v[10:11]
.LBB125_419:
	s_or_b64 exec, exec, s[6:7]
	ds_write2_b64 v125, v[10:11], v[12:13] offset1:1
.LBB125_420:
	s_or_b64 exec, exec, s[8:9]
	s_waitcnt lgkmcnt(0)
	s_barrier
	ds_read2_b64 v[1:4], v125 offset1:1
	v_cmp_lt_u32_e32 vcc, 33, v0
	s_waitcnt lgkmcnt(0)
	buffer_store_dword v1, off, s[0:3], 0 offset:1864 ; 4-byte Folded Spill
	s_nop 0
	buffer_store_dword v2, off, s[0:3], 0 offset:1868 ; 4-byte Folded Spill
	buffer_store_dword v3, off, s[0:3], 0 offset:1872 ; 4-byte Folded Spill
	;; [unrolled: 1-line block ×3, first 2 shown]
	s_and_saveexec_b64 s[6:7], vcc
	s_cbranch_execz .LBB125_422
; %bb.421:
	buffer_load_dword v3, off, s[0:3], 0 offset:528
	buffer_load_dword v4, off, s[0:3], 0 offset:532
	;; [unrolled: 1-line block ×16, first 2 shown]
	buffer_load_dword v26, off, s[0:3], 0 offset:1864 ; 4-byte Folded Reload
	buffer_load_dword v27, off, s[0:3], 0 offset:1868 ; 4-byte Folded Reload
	;; [unrolled: 1-line block ×4, first 2 shown]
	s_waitcnt vmcnt(0)
	v_mul_f64 v[1:2], v[28:29], v[10:11]
	v_mul_f64 v[10:11], v[26:27], v[10:11]
	v_fma_f64 v[1:2], v[26:27], v[3:4], -v[1:2]
	v_fma_f64 v[3:4], v[28:29], v[3:4], v[10:11]
	buffer_store_dword v1, off, s[0:3], 0 offset:528
	buffer_store_dword v2, off, s[0:3], 0 offset:532
	buffer_store_dword v3, off, s[0:3], 0 offset:536
	buffer_store_dword v4, off, s[0:3], 0 offset:540
	ds_read2_b64 v[10:13], v6 offset0:68 offset1:69
	s_waitcnt lgkmcnt(0)
	v_mul_f64 v[26:27], v[12:13], v[3:4]
	v_fma_f64 v[26:27], v[10:11], v[1:2], -v[26:27]
	v_mul_f64 v[10:11], v[10:11], v[3:4]
	v_fma_f64 v[10:11], v[12:13], v[1:2], v[10:11]
	v_add_f64 v[12:13], v[14:15], -v[26:27]
	v_add_f64 v[10:11], v[16:17], -v[10:11]
	buffer_store_dword v12, off, s[0:3], 0 offset:544
	buffer_store_dword v13, off, s[0:3], 0 offset:548
	buffer_store_dword v10, off, s[0:3], 0 offset:552
	buffer_store_dword v11, off, s[0:3], 0 offset:556
	ds_read2_b64 v[10:13], v6 offset0:70 offset1:71
	s_waitcnt lgkmcnt(0)
	v_mul_f64 v[14:15], v[12:13], v[3:4]
	v_fma_f64 v[14:15], v[10:11], v[1:2], -v[14:15]
	v_mul_f64 v[10:11], v[10:11], v[3:4]
	v_fma_f64 v[10:11], v[12:13], v[1:2], v[10:11]
	v_add_f64 v[12:13], v[18:19], -v[14:15]
	v_add_f64 v[10:11], v[20:21], -v[10:11]
	;; [unrolled: 12-line block ×3, first 2 shown]
	buffer_store_dword v13, off, s[0:3], 0 offset:580
	buffer_store_dword v12, off, s[0:3], 0 offset:576
	buffer_store_dword v10, off, s[0:3], 0 offset:584
	buffer_store_dword v11, off, s[0:3], 0 offset:588
	ds_read2_b64 v[10:13], v6 offset0:74 offset1:75
	s_waitcnt lgkmcnt(0)
	v_mul_f64 v[14:15], v[12:13], v[3:4]
	v_fma_f64 v[14:15], v[10:11], v[1:2], -v[14:15]
	v_mul_f64 v[10:11], v[10:11], v[3:4]
	v_fma_f64 v[10:11], v[12:13], v[1:2], v[10:11]
	buffer_load_dword v12, off, s[0:3], 0 offset:592
	buffer_load_dword v13, off, s[0:3], 0 offset:596
	;; [unrolled: 1-line block ×4, first 2 shown]
	s_waitcnt vmcnt(2)
	v_add_f64 v[12:13], v[12:13], -v[14:15]
	s_waitcnt vmcnt(0)
	v_add_f64 v[10:11], v[16:17], -v[10:11]
	buffer_store_dword v13, off, s[0:3], 0 offset:596
	buffer_store_dword v12, off, s[0:3], 0 offset:592
	;; [unrolled: 1-line block ×4, first 2 shown]
	ds_read2_b64 v[10:13], v6 offset0:76 offset1:77
	s_waitcnt lgkmcnt(0)
	v_mul_f64 v[14:15], v[12:13], v[3:4]
	v_fma_f64 v[14:15], v[10:11], v[1:2], -v[14:15]
	v_mul_f64 v[10:11], v[10:11], v[3:4]
	v_fma_f64 v[10:11], v[12:13], v[1:2], v[10:11]
	buffer_load_dword v12, off, s[0:3], 0 offset:608
	buffer_load_dword v13, off, s[0:3], 0 offset:612
	;; [unrolled: 1-line block ×4, first 2 shown]
	s_waitcnt vmcnt(2)
	v_add_f64 v[12:13], v[12:13], -v[14:15]
	s_waitcnt vmcnt(0)
	v_add_f64 v[10:11], v[16:17], -v[10:11]
	buffer_store_dword v13, off, s[0:3], 0 offset:612
	buffer_store_dword v12, off, s[0:3], 0 offset:608
	;; [unrolled: 1-line block ×4, first 2 shown]
	ds_read2_b64 v[10:13], v6 offset0:78 offset1:79
	s_waitcnt lgkmcnt(0)
	v_mul_f64 v[14:15], v[12:13], v[3:4]
	v_mul_f64 v[3:4], v[10:11], v[3:4]
	v_fma_f64 v[14:15], v[10:11], v[1:2], -v[14:15]
	v_fma_f64 v[1:2], v[12:13], v[1:2], v[3:4]
	buffer_load_dword v3, off, s[0:3], 0 offset:624
	buffer_load_dword v4, off, s[0:3], 0 offset:628
	;; [unrolled: 1-line block ×4, first 2 shown]
	s_waitcnt vmcnt(2)
	v_add_f64 v[3:4], v[3:4], -v[14:15]
	s_waitcnt vmcnt(0)
	v_add_f64 v[1:2], v[10:11], -v[1:2]
	buffer_store_dword v4, off, s[0:3], 0 offset:628
	buffer_store_dword v3, off, s[0:3], 0 offset:624
	;; [unrolled: 1-line block ×4, first 2 shown]
	ds_read2_b64 v[10:13], v6 offset0:80 offset1:81
	buffer_load_dword v1, off, s[0:3], 0 offset:528
	buffer_load_dword v2, off, s[0:3], 0 offset:532
	;; [unrolled: 1-line block ×4, first 2 shown]
	s_waitcnt vmcnt(0) lgkmcnt(0)
	v_mul_f64 v[14:15], v[12:13], v[3:4]
	v_fma_f64 v[14:15], v[10:11], v[1:2], -v[14:15]
	v_mul_f64 v[10:11], v[10:11], v[3:4]
	v_fma_f64 v[10:11], v[12:13], v[1:2], v[10:11]
	buffer_load_dword v13, off, s[0:3], 0 offset:644
	buffer_load_dword v12, off, s[0:3], 0 offset:640
	s_waitcnt vmcnt(0)
	v_add_f64 v[12:13], v[12:13], -v[14:15]
	buffer_load_dword v15, off, s[0:3], 0 offset:652
	buffer_load_dword v14, off, s[0:3], 0 offset:648
	s_waitcnt vmcnt(0)
	v_add_f64 v[10:11], v[14:15], -v[10:11]
	buffer_store_dword v13, off, s[0:3], 0 offset:644
	buffer_store_dword v12, off, s[0:3], 0 offset:640
	buffer_store_dword v11, off, s[0:3], 0 offset:652
	buffer_store_dword v10, off, s[0:3], 0 offset:648
	ds_read2_b64 v[10:13], v6 offset0:82 offset1:83
	s_waitcnt lgkmcnt(0)
	v_mul_f64 v[14:15], v[12:13], v[3:4]
	v_fma_f64 v[14:15], v[10:11], v[1:2], -v[14:15]
	v_mul_f64 v[10:11], v[10:11], v[3:4]
	v_fma_f64 v[10:11], v[12:13], v[1:2], v[10:11]
	buffer_load_dword v12, off, s[0:3], 0 offset:656
	buffer_load_dword v13, off, s[0:3], 0 offset:660
	buffer_load_dword v16, off, s[0:3], 0 offset:664
	buffer_load_dword v17, off, s[0:3], 0 offset:668
	s_waitcnt vmcnt(2)
	v_add_f64 v[12:13], v[12:13], -v[14:15]
	s_waitcnt vmcnt(0)
	v_add_f64 v[10:11], v[16:17], -v[10:11]
	buffer_store_dword v13, off, s[0:3], 0 offset:660
	buffer_store_dword v12, off, s[0:3], 0 offset:656
	buffer_store_dword v11, off, s[0:3], 0 offset:668
	buffer_store_dword v10, off, s[0:3], 0 offset:664
	ds_read2_b64 v[10:13], v6 offset0:84 offset1:85
	s_waitcnt lgkmcnt(0)
	v_mul_f64 v[14:15], v[12:13], v[3:4]
	v_fma_f64 v[14:15], v[10:11], v[1:2], -v[14:15]
	v_mul_f64 v[10:11], v[10:11], v[3:4]
	v_fma_f64 v[10:11], v[12:13], v[1:2], v[10:11]
	buffer_load_dword v12, off, s[0:3], 0 offset:672
	buffer_load_dword v13, off, s[0:3], 0 offset:676
	buffer_load_dword v16, off, s[0:3], 0 offset:680
	buffer_load_dword v17, off, s[0:3], 0 offset:684
	s_waitcnt vmcnt(2)
	v_add_f64 v[12:13], v[12:13], -v[14:15]
	;; [unrolled: 18-line block ×4, first 2 shown]
	s_waitcnt vmcnt(0)
	v_add_f64 v[10:11], v[16:17], -v[10:11]
	buffer_store_dword v13, off, s[0:3], 0 offset:708
	buffer_store_dword v12, off, s[0:3], 0 offset:704
	;; [unrolled: 1-line block ×4, first 2 shown]
	ds_read2_b64 v[10:13], v6 offset0:90 offset1:91
	s_waitcnt lgkmcnt(0)
	v_mul_f64 v[14:15], v[12:13], v[3:4]
	v_mul_f64 v[3:4], v[10:11], v[3:4]
	v_fma_f64 v[14:15], v[10:11], v[1:2], -v[14:15]
	v_fma_f64 v[1:2], v[12:13], v[1:2], v[3:4]
	buffer_load_dword v3, off, s[0:3], 0 offset:720
	buffer_load_dword v4, off, s[0:3], 0 offset:724
	;; [unrolled: 1-line block ×4, first 2 shown]
	s_waitcnt vmcnt(2)
	v_add_f64 v[3:4], v[3:4], -v[14:15]
	s_waitcnt vmcnt(0)
	v_add_f64 v[1:2], v[10:11], -v[1:2]
	buffer_store_dword v4, off, s[0:3], 0 offset:724
	buffer_store_dword v3, off, s[0:3], 0 offset:720
	;; [unrolled: 1-line block ×4, first 2 shown]
	ds_read2_b64 v[10:13], v6 offset0:92 offset1:93
	buffer_load_dword v1, off, s[0:3], 0 offset:528
	buffer_load_dword v2, off, s[0:3], 0 offset:532
	;; [unrolled: 1-line block ×4, first 2 shown]
	s_waitcnt vmcnt(0) lgkmcnt(0)
	v_mul_f64 v[14:15], v[12:13], v[3:4]
	v_fma_f64 v[14:15], v[10:11], v[1:2], -v[14:15]
	v_mul_f64 v[10:11], v[10:11], v[3:4]
	v_fma_f64 v[10:11], v[12:13], v[1:2], v[10:11]
	buffer_load_dword v13, off, s[0:3], 0 offset:740
	buffer_load_dword v12, off, s[0:3], 0 offset:736
	s_waitcnt vmcnt(0)
	v_add_f64 v[12:13], v[12:13], -v[14:15]
	buffer_load_dword v15, off, s[0:3], 0 offset:748
	buffer_load_dword v14, off, s[0:3], 0 offset:744
	s_waitcnt vmcnt(0)
	v_add_f64 v[10:11], v[14:15], -v[10:11]
	buffer_store_dword v13, off, s[0:3], 0 offset:740
	buffer_store_dword v12, off, s[0:3], 0 offset:736
	buffer_store_dword v11, off, s[0:3], 0 offset:748
	buffer_store_dword v10, off, s[0:3], 0 offset:744
	ds_read2_b64 v[10:13], v6 offset0:94 offset1:95
	s_waitcnt lgkmcnt(0)
	v_mul_f64 v[14:15], v[12:13], v[3:4]
	v_fma_f64 v[14:15], v[10:11], v[1:2], -v[14:15]
	v_mul_f64 v[10:11], v[10:11], v[3:4]
	v_fma_f64 v[10:11], v[12:13], v[1:2], v[10:11]
	buffer_load_dword v12, off, s[0:3], 0 offset:752
	buffer_load_dword v13, off, s[0:3], 0 offset:756
	buffer_load_dword v16, off, s[0:3], 0 offset:760
	buffer_load_dword v17, off, s[0:3], 0 offset:764
	s_waitcnt vmcnt(2)
	v_add_f64 v[12:13], v[12:13], -v[14:15]
	s_waitcnt vmcnt(0)
	v_add_f64 v[10:11], v[16:17], -v[10:11]
	buffer_store_dword v13, off, s[0:3], 0 offset:756
	buffer_store_dword v12, off, s[0:3], 0 offset:752
	buffer_store_dword v11, off, s[0:3], 0 offset:764
	buffer_store_dword v10, off, s[0:3], 0 offset:760
	ds_read2_b64 v[10:13], v6 offset0:96 offset1:97
	s_waitcnt lgkmcnt(0)
	v_mul_f64 v[14:15], v[12:13], v[3:4]
	v_fma_f64 v[14:15], v[10:11], v[1:2], -v[14:15]
	v_mul_f64 v[10:11], v[10:11], v[3:4]
	v_fma_f64 v[10:11], v[12:13], v[1:2], v[10:11]
	buffer_load_dword v12, off, s[0:3], 0 offset:768
	buffer_load_dword v13, off, s[0:3], 0 offset:772
	buffer_load_dword v16, off, s[0:3], 0 offset:776
	buffer_load_dword v17, off, s[0:3], 0 offset:780
	s_waitcnt vmcnt(2)
	v_add_f64 v[12:13], v[12:13], -v[14:15]
	;; [unrolled: 18-line block ×4, first 2 shown]
	s_waitcnt vmcnt(0)
	v_add_f64 v[10:11], v[16:17], -v[10:11]
	buffer_store_dword v13, off, s[0:3], 0 offset:804
	buffer_store_dword v12, off, s[0:3], 0 offset:800
	;; [unrolled: 1-line block ×4, first 2 shown]
	ds_read2_b64 v[10:13], v6 offset0:102 offset1:103
	s_waitcnt lgkmcnt(0)
	v_mul_f64 v[14:15], v[12:13], v[3:4]
	v_mul_f64 v[3:4], v[10:11], v[3:4]
	v_fma_f64 v[14:15], v[10:11], v[1:2], -v[14:15]
	v_fma_f64 v[1:2], v[12:13], v[1:2], v[3:4]
	buffer_load_dword v3, off, s[0:3], 0 offset:816
	buffer_load_dword v4, off, s[0:3], 0 offset:820
	;; [unrolled: 1-line block ×4, first 2 shown]
	s_waitcnt vmcnt(2)
	v_add_f64 v[3:4], v[3:4], -v[14:15]
	s_waitcnt vmcnt(0)
	v_add_f64 v[1:2], v[10:11], -v[1:2]
	buffer_store_dword v4, off, s[0:3], 0 offset:820
	buffer_store_dword v3, off, s[0:3], 0 offset:816
	;; [unrolled: 1-line block ×4, first 2 shown]
	ds_read2_b64 v[1:4], v6 offset0:104 offset1:105
	buffer_load_dword v10, off, s[0:3], 0 offset:528
	buffer_load_dword v11, off, s[0:3], 0 offset:532
	;; [unrolled: 1-line block ×4, first 2 shown]
	s_waitcnt vmcnt(0) lgkmcnt(0)
	v_mul_f64 v[14:15], v[3:4], v[12:13]
	v_fma_f64 v[14:15], v[1:2], v[10:11], -v[14:15]
	v_mul_f64 v[1:2], v[1:2], v[12:13]
	v_fma_f64 v[1:2], v[3:4], v[10:11], v[1:2]
	buffer_load_dword v4, off, s[0:3], 0 offset:836
	buffer_load_dword v3, off, s[0:3], 0 offset:832
	s_waitcnt vmcnt(0)
	v_add_f64 v[3:4], v[3:4], -v[14:15]
	buffer_load_dword v15, off, s[0:3], 0 offset:844
	buffer_load_dword v14, off, s[0:3], 0 offset:840
	s_waitcnt vmcnt(0)
	v_add_f64 v[1:2], v[14:15], -v[1:2]
	buffer_store_dword v4, off, s[0:3], 0 offset:836
	buffer_store_dword v3, off, s[0:3], 0 offset:832
	buffer_store_dword v2, off, s[0:3], 0 offset:844
	buffer_store_dword v1, off, s[0:3], 0 offset:840
	ds_read2_b64 v[1:4], v6 offset0:106 offset1:107
	s_waitcnt lgkmcnt(0)
	v_mul_f64 v[14:15], v[3:4], v[12:13]
	v_fma_f64 v[14:15], v[1:2], v[10:11], -v[14:15]
	v_mul_f64 v[1:2], v[1:2], v[12:13]
	v_fma_f64 v[1:2], v[3:4], v[10:11], v[1:2]
	buffer_load_dword v3, off, s[0:3], 0 offset:848
	buffer_load_dword v4, off, s[0:3], 0 offset:852
	buffer_load_dword v16, off, s[0:3], 0 offset:856
	buffer_load_dword v17, off, s[0:3], 0 offset:860
	s_waitcnt vmcnt(2)
	v_add_f64 v[3:4], v[3:4], -v[14:15]
	s_waitcnt vmcnt(0)
	v_add_f64 v[1:2], v[16:17], -v[1:2]
	buffer_store_dword v4, off, s[0:3], 0 offset:852
	buffer_store_dword v3, off, s[0:3], 0 offset:848
	buffer_store_dword v2, off, s[0:3], 0 offset:860
	buffer_store_dword v1, off, s[0:3], 0 offset:856
	ds_read2_b64 v[1:4], v6 offset0:108 offset1:109
	s_waitcnt lgkmcnt(0)
	v_mul_f64 v[14:15], v[3:4], v[12:13]
	v_fma_f64 v[14:15], v[1:2], v[10:11], -v[14:15]
	v_mul_f64 v[1:2], v[1:2], v[12:13]
	v_fma_f64 v[1:2], v[3:4], v[10:11], v[1:2]
	buffer_load_dword v3, off, s[0:3], 0 offset:864
	buffer_load_dword v4, off, s[0:3], 0 offset:868
	buffer_load_dword v16, off, s[0:3], 0 offset:872
	buffer_load_dword v17, off, s[0:3], 0 offset:876
	s_waitcnt vmcnt(2)
	v_add_f64 v[3:4], v[3:4], -v[14:15]
	;; [unrolled: 18-line block ×5, first 2 shown]
	s_waitcnt vmcnt(0)
	v_add_f64 v[1:2], v[10:11], -v[1:2]
	buffer_store_dword v4, off, s[0:3], 0 offset:916
	buffer_store_dword v3, off, s[0:3], 0 offset:912
	buffer_store_dword v2, off, s[0:3], 0 offset:924
	buffer_store_dword v1, off, s[0:3], 0 offset:920
	ds_read2_b64 v[1:4], v6 offset0:116 offset1:117
	buffer_load_dword v12, off, s[0:3], 0 offset:528
	buffer_load_dword v13, off, s[0:3], 0 offset:532
	;; [unrolled: 1-line block ×4, first 2 shown]
	s_waitcnt vmcnt(0) lgkmcnt(0)
	v_mul_f64 v[10:11], v[3:4], v[14:15]
	v_fma_f64 v[16:17], v[1:2], v[12:13], -v[10:11]
	v_mul_f64 v[1:2], v[1:2], v[14:15]
	v_fma_f64 v[1:2], v[3:4], v[12:13], v[1:2]
	buffer_load_dword v4, off, s[0:3], 0 offset:932
	buffer_load_dword v3, off, s[0:3], 0 offset:928
	buffer_load_dword v11, off, s[0:3], 0 offset:940
	buffer_load_dword v10, off, s[0:3], 0 offset:936
	s_waitcnt vmcnt(2)
	v_add_f64 v[3:4], v[3:4], -v[16:17]
	s_waitcnt vmcnt(0)
	v_add_f64 v[1:2], v[10:11], -v[1:2]
	buffer_store_dword v4, off, s[0:3], 0 offset:932
	buffer_store_dword v3, off, s[0:3], 0 offset:928
	buffer_store_dword v2, off, s[0:3], 0 offset:940
	buffer_store_dword v1, off, s[0:3], 0 offset:936
	ds_read2_b64 v[1:4], v6 offset0:118 offset1:119
	s_waitcnt lgkmcnt(0)
	v_mul_f64 v[10:11], v[3:4], v[14:15]
	v_fma_f64 v[10:11], v[1:2], v[12:13], -v[10:11]
	v_mul_f64 v[1:2], v[1:2], v[14:15]
	v_fma_f64 v[1:2], v[3:4], v[12:13], v[1:2]
	buffer_load_dword v3, off, s[0:3], 0 offset:944
	buffer_load_dword v4, off, s[0:3], 0 offset:948
	buffer_load_dword v16, off, s[0:3], 0 offset:952
	buffer_load_dword v17, off, s[0:3], 0 offset:956
	s_waitcnt vmcnt(2)
	v_add_f64 v[3:4], v[3:4], -v[10:11]
	s_waitcnt vmcnt(0)
	v_add_f64 v[1:2], v[16:17], -v[1:2]
	buffer_store_dword v4, off, s[0:3], 0 offset:948
	buffer_store_dword v3, off, s[0:3], 0 offset:944
	buffer_store_dword v2, off, s[0:3], 0 offset:956
	buffer_store_dword v1, off, s[0:3], 0 offset:952
	ds_read2_b64 v[1:4], v6 offset0:120 offset1:121
	s_waitcnt lgkmcnt(0)
	;; [unrolled: 18-line block ×4, first 2 shown]
	v_mul_f64 v[1:2], v[18:19], v[14:15]
	v_fma_f64 v[3:4], v[16:17], v[12:13], -v[1:2]
	v_mul_f64 v[1:2], v[16:17], v[14:15]
	v_fma_f64 v[1:2], v[18:19], v[12:13], v[1:2]
	buffer_load_dword v10, off, s[0:3], 0 offset:992
	buffer_load_dword v11, off, s[0:3], 0 offset:996
	;; [unrolled: 1-line block ×4, first 2 shown]
	s_waitcnt vmcnt(2)
	v_add_f64 v[3:4], v[10:11], -v[3:4]
	s_waitcnt vmcnt(0)
	v_add_f64 v[1:2], v[12:13], -v[1:2]
	buffer_store_dword v4, off, s[0:3], 0 offset:996
	buffer_store_dword v3, off, s[0:3], 0 offset:992
	;; [unrolled: 1-line block ×4, first 2 shown]
.LBB125_422:
	s_or_b64 exec, exec, s[6:7]
	v_cmp_eq_u32_e32 vcc, 34, v0
	s_waitcnt vmcnt(0)
	s_barrier
	s_and_saveexec_b64 s[8:9], vcc
	s_cbranch_execz .LBB125_429
; %bb.423:
	v_mov_b32_e32 v4, s71
	buffer_load_dword v1, v4, s[0:3], 0 offen
	buffer_load_dword v2, v4, s[0:3], 0 offen offset:4
	buffer_load_dword v3, v4, s[0:3], 0 offen offset:8
	s_nop 0
	buffer_load_dword v4, v4, s[0:3], 0 offen offset:12
	s_waitcnt vmcnt(0)
	ds_write2_b64 v125, v[1:2], v[3:4] offset1:1
	v_mov_b32_e32 v4, s43
	buffer_load_dword v1, v4, s[0:3], 0 offen
	buffer_load_dword v2, v4, s[0:3], 0 offen offset:4
	buffer_load_dword v3, v4, s[0:3], 0 offen offset:8
	s_nop 0
	buffer_load_dword v4, v4, s[0:3], 0 offen offset:12
	s_waitcnt vmcnt(0)
	ds_write2_b64 v6, v[1:2], v[3:4] offset0:70 offset1:71
	v_mov_b32_e32 v4, s42
	buffer_load_dword v1, v4, s[0:3], 0 offen
	buffer_load_dword v2, v4, s[0:3], 0 offen offset:4
	buffer_load_dword v3, v4, s[0:3], 0 offen offset:8
	s_nop 0
	buffer_load_dword v4, v4, s[0:3], 0 offen offset:12
	s_waitcnt vmcnt(0)
	ds_write2_b64 v6, v[1:2], v[3:4] offset0:72 offset1:73
	;; [unrolled: 8-line block ×28, first 2 shown]
	ds_read2_b64 v[1:4], v125 offset1:1
	s_waitcnt lgkmcnt(0)
	v_cmp_neq_f64_e32 vcc, 0, v[1:2]
	v_cmp_neq_f64_e64 s[6:7], 0, v[3:4]
	s_or_b64 s[6:7], vcc, s[6:7]
	s_and_b64 exec, exec, s[6:7]
	s_cbranch_execz .LBB125_429
; %bb.424:
	v_cmp_ngt_f64_e64 s[6:7], |v[1:2]|, |v[3:4]|
                                        ; implicit-def: $vgpr10_vgpr11
	s_and_saveexec_b64 s[10:11], s[6:7]
	s_xor_b64 s[6:7], exec, s[10:11]
                                        ; implicit-def: $vgpr12_vgpr13
	s_cbranch_execz .LBB125_426
; %bb.425:
	v_div_scale_f64 v[10:11], s[10:11], v[3:4], v[3:4], v[1:2]
	v_rcp_f64_e32 v[12:13], v[10:11]
	v_fma_f64 v[14:15], -v[10:11], v[12:13], 1.0
	v_fma_f64 v[12:13], v[12:13], v[14:15], v[12:13]
	v_div_scale_f64 v[14:15], vcc, v[1:2], v[3:4], v[1:2]
	v_fma_f64 v[16:17], -v[10:11], v[12:13], 1.0
	v_fma_f64 v[12:13], v[12:13], v[16:17], v[12:13]
	v_mul_f64 v[16:17], v[14:15], v[12:13]
	v_fma_f64 v[10:11], -v[10:11], v[16:17], v[14:15]
	v_div_fmas_f64 v[10:11], v[10:11], v[12:13], v[16:17]
	v_div_fixup_f64 v[10:11], v[10:11], v[3:4], v[1:2]
	v_fma_f64 v[1:2], v[1:2], v[10:11], v[3:4]
	v_div_scale_f64 v[3:4], s[10:11], v[1:2], v[1:2], 1.0
	v_div_scale_f64 v[16:17], vcc, 1.0, v[1:2], 1.0
	v_rcp_f64_e32 v[12:13], v[3:4]
	v_fma_f64 v[14:15], -v[3:4], v[12:13], 1.0
	v_fma_f64 v[12:13], v[12:13], v[14:15], v[12:13]
	v_fma_f64 v[14:15], -v[3:4], v[12:13], 1.0
	v_fma_f64 v[12:13], v[12:13], v[14:15], v[12:13]
	v_mul_f64 v[14:15], v[16:17], v[12:13]
	v_fma_f64 v[3:4], -v[3:4], v[14:15], v[16:17]
	v_div_fmas_f64 v[3:4], v[3:4], v[12:13], v[14:15]
	v_div_fixup_f64 v[12:13], v[3:4], v[1:2], 1.0
                                        ; implicit-def: $vgpr1_vgpr2
	v_mul_f64 v[10:11], v[10:11], v[12:13]
	v_xor_b32_e32 v13, 0x80000000, v13
.LBB125_426:
	s_andn2_saveexec_b64 s[6:7], s[6:7]
	s_cbranch_execz .LBB125_428
; %bb.427:
	v_div_scale_f64 v[10:11], s[10:11], v[1:2], v[1:2], v[3:4]
	v_rcp_f64_e32 v[12:13], v[10:11]
	v_fma_f64 v[14:15], -v[10:11], v[12:13], 1.0
	v_fma_f64 v[12:13], v[12:13], v[14:15], v[12:13]
	v_div_scale_f64 v[14:15], vcc, v[3:4], v[1:2], v[3:4]
	v_fma_f64 v[16:17], -v[10:11], v[12:13], 1.0
	v_fma_f64 v[12:13], v[12:13], v[16:17], v[12:13]
	v_mul_f64 v[16:17], v[14:15], v[12:13]
	v_fma_f64 v[10:11], -v[10:11], v[16:17], v[14:15]
	v_div_fmas_f64 v[10:11], v[10:11], v[12:13], v[16:17]
	v_div_fixup_f64 v[12:13], v[10:11], v[1:2], v[3:4]
	v_fma_f64 v[1:2], v[3:4], v[12:13], v[1:2]
	v_div_scale_f64 v[3:4], s[10:11], v[1:2], v[1:2], 1.0
	v_div_scale_f64 v[16:17], vcc, 1.0, v[1:2], 1.0
	v_rcp_f64_e32 v[10:11], v[3:4]
	v_fma_f64 v[14:15], -v[3:4], v[10:11], 1.0
	v_fma_f64 v[10:11], v[10:11], v[14:15], v[10:11]
	v_fma_f64 v[14:15], -v[3:4], v[10:11], 1.0
	v_fma_f64 v[10:11], v[10:11], v[14:15], v[10:11]
	v_mul_f64 v[14:15], v[16:17], v[10:11]
	v_fma_f64 v[3:4], -v[3:4], v[14:15], v[16:17]
	v_div_fmas_f64 v[3:4], v[3:4], v[10:11], v[14:15]
	v_div_fixup_f64 v[10:11], v[3:4], v[1:2], 1.0
	v_mul_f64 v[12:13], v[12:13], -v[10:11]
.LBB125_428:
	s_or_b64 exec, exec, s[6:7]
	ds_write2_b64 v125, v[10:11], v[12:13] offset1:1
.LBB125_429:
	s_or_b64 exec, exec, s[8:9]
	s_waitcnt lgkmcnt(0)
	s_barrier
	ds_read2_b64 v[1:4], v125 offset1:1
	v_cmp_lt_u32_e32 vcc, 34, v0
	s_waitcnt lgkmcnt(0)
	buffer_store_dword v1, off, s[0:3], 0 offset:1880 ; 4-byte Folded Spill
	s_nop 0
	buffer_store_dword v2, off, s[0:3], 0 offset:1884 ; 4-byte Folded Spill
	buffer_store_dword v3, off, s[0:3], 0 offset:1888 ; 4-byte Folded Spill
	;; [unrolled: 1-line block ×3, first 2 shown]
	s_and_saveexec_b64 s[6:7], vcc
	s_cbranch_execz .LBB125_431
; %bb.430:
	buffer_load_dword v3, off, s[0:3], 0 offset:544
	buffer_load_dword v4, off, s[0:3], 0 offset:548
	;; [unrolled: 1-line block ×16, first 2 shown]
	buffer_load_dword v26, off, s[0:3], 0 offset:1880 ; 4-byte Folded Reload
	buffer_load_dword v27, off, s[0:3], 0 offset:1884 ; 4-byte Folded Reload
	;; [unrolled: 1-line block ×4, first 2 shown]
	s_waitcnt vmcnt(0)
	v_mul_f64 v[1:2], v[28:29], v[10:11]
	v_mul_f64 v[10:11], v[26:27], v[10:11]
	v_fma_f64 v[1:2], v[26:27], v[3:4], -v[1:2]
	v_fma_f64 v[3:4], v[28:29], v[3:4], v[10:11]
	buffer_store_dword v1, off, s[0:3], 0 offset:544
	buffer_store_dword v2, off, s[0:3], 0 offset:548
	buffer_store_dword v3, off, s[0:3], 0 offset:552
	buffer_store_dword v4, off, s[0:3], 0 offset:556
	ds_read2_b64 v[10:13], v6 offset0:70 offset1:71
	s_waitcnt lgkmcnt(0)
	v_mul_f64 v[26:27], v[12:13], v[3:4]
	v_fma_f64 v[26:27], v[10:11], v[1:2], -v[26:27]
	v_mul_f64 v[10:11], v[10:11], v[3:4]
	v_fma_f64 v[10:11], v[12:13], v[1:2], v[10:11]
	v_add_f64 v[12:13], v[14:15], -v[26:27]
	v_add_f64 v[10:11], v[16:17], -v[10:11]
	buffer_store_dword v12, off, s[0:3], 0 offset:560
	buffer_store_dword v13, off, s[0:3], 0 offset:564
	buffer_store_dword v10, off, s[0:3], 0 offset:568
	buffer_store_dword v11, off, s[0:3], 0 offset:572
	ds_read2_b64 v[10:13], v6 offset0:72 offset1:73
	s_waitcnt lgkmcnt(0)
	v_mul_f64 v[14:15], v[12:13], v[3:4]
	v_fma_f64 v[14:15], v[10:11], v[1:2], -v[14:15]
	v_mul_f64 v[10:11], v[10:11], v[3:4]
	v_fma_f64 v[10:11], v[12:13], v[1:2], v[10:11]
	v_add_f64 v[12:13], v[18:19], -v[14:15]
	v_add_f64 v[10:11], v[20:21], -v[10:11]
	;; [unrolled: 12-line block ×3, first 2 shown]
	buffer_store_dword v13, off, s[0:3], 0 offset:596
	buffer_store_dword v12, off, s[0:3], 0 offset:592
	;; [unrolled: 1-line block ×4, first 2 shown]
	ds_read2_b64 v[10:13], v6 offset0:76 offset1:77
	s_waitcnt lgkmcnt(0)
	v_mul_f64 v[14:15], v[12:13], v[3:4]
	v_fma_f64 v[14:15], v[10:11], v[1:2], -v[14:15]
	v_mul_f64 v[10:11], v[10:11], v[3:4]
	v_fma_f64 v[10:11], v[12:13], v[1:2], v[10:11]
	buffer_load_dword v12, off, s[0:3], 0 offset:608
	buffer_load_dword v13, off, s[0:3], 0 offset:612
	buffer_load_dword v16, off, s[0:3], 0 offset:616
	buffer_load_dword v17, off, s[0:3], 0 offset:620
	s_waitcnt vmcnt(2)
	v_add_f64 v[12:13], v[12:13], -v[14:15]
	s_waitcnt vmcnt(0)
	v_add_f64 v[10:11], v[16:17], -v[10:11]
	buffer_store_dword v13, off, s[0:3], 0 offset:612
	buffer_store_dword v12, off, s[0:3], 0 offset:608
	;; [unrolled: 1-line block ×4, first 2 shown]
	ds_read2_b64 v[10:13], v6 offset0:78 offset1:79
	s_waitcnt lgkmcnt(0)
	v_mul_f64 v[14:15], v[12:13], v[3:4]
	v_fma_f64 v[14:15], v[10:11], v[1:2], -v[14:15]
	v_mul_f64 v[10:11], v[10:11], v[3:4]
	v_fma_f64 v[10:11], v[12:13], v[1:2], v[10:11]
	buffer_load_dword v12, off, s[0:3], 0 offset:624
	buffer_load_dword v13, off, s[0:3], 0 offset:628
	;; [unrolled: 1-line block ×4, first 2 shown]
	s_waitcnt vmcnt(2)
	v_add_f64 v[12:13], v[12:13], -v[14:15]
	s_waitcnt vmcnt(0)
	v_add_f64 v[10:11], v[16:17], -v[10:11]
	buffer_store_dword v13, off, s[0:3], 0 offset:628
	buffer_store_dword v12, off, s[0:3], 0 offset:624
	;; [unrolled: 1-line block ×4, first 2 shown]
	ds_read2_b64 v[10:13], v6 offset0:80 offset1:81
	s_waitcnt lgkmcnt(0)
	v_mul_f64 v[14:15], v[12:13], v[3:4]
	v_mul_f64 v[3:4], v[10:11], v[3:4]
	v_fma_f64 v[14:15], v[10:11], v[1:2], -v[14:15]
	v_fma_f64 v[1:2], v[12:13], v[1:2], v[3:4]
	buffer_load_dword v3, off, s[0:3], 0 offset:640
	buffer_load_dword v4, off, s[0:3], 0 offset:644
	;; [unrolled: 1-line block ×4, first 2 shown]
	s_waitcnt vmcnt(2)
	v_add_f64 v[3:4], v[3:4], -v[14:15]
	s_waitcnt vmcnt(0)
	v_add_f64 v[1:2], v[10:11], -v[1:2]
	buffer_store_dword v4, off, s[0:3], 0 offset:644
	buffer_store_dword v3, off, s[0:3], 0 offset:640
	;; [unrolled: 1-line block ×4, first 2 shown]
	ds_read2_b64 v[10:13], v6 offset0:82 offset1:83
	buffer_load_dword v1, off, s[0:3], 0 offset:544
	buffer_load_dword v2, off, s[0:3], 0 offset:548
	;; [unrolled: 1-line block ×4, first 2 shown]
	s_waitcnt vmcnt(0) lgkmcnt(0)
	v_mul_f64 v[14:15], v[12:13], v[3:4]
	v_fma_f64 v[14:15], v[10:11], v[1:2], -v[14:15]
	v_mul_f64 v[10:11], v[10:11], v[3:4]
	v_fma_f64 v[10:11], v[12:13], v[1:2], v[10:11]
	buffer_load_dword v13, off, s[0:3], 0 offset:660
	buffer_load_dword v12, off, s[0:3], 0 offset:656
	s_waitcnt vmcnt(0)
	v_add_f64 v[12:13], v[12:13], -v[14:15]
	buffer_load_dword v15, off, s[0:3], 0 offset:668
	buffer_load_dword v14, off, s[0:3], 0 offset:664
	s_waitcnt vmcnt(0)
	v_add_f64 v[10:11], v[14:15], -v[10:11]
	buffer_store_dword v13, off, s[0:3], 0 offset:660
	buffer_store_dword v12, off, s[0:3], 0 offset:656
	buffer_store_dword v11, off, s[0:3], 0 offset:668
	buffer_store_dword v10, off, s[0:3], 0 offset:664
	ds_read2_b64 v[10:13], v6 offset0:84 offset1:85
	s_waitcnt lgkmcnt(0)
	v_mul_f64 v[14:15], v[12:13], v[3:4]
	v_fma_f64 v[14:15], v[10:11], v[1:2], -v[14:15]
	v_mul_f64 v[10:11], v[10:11], v[3:4]
	v_fma_f64 v[10:11], v[12:13], v[1:2], v[10:11]
	buffer_load_dword v12, off, s[0:3], 0 offset:672
	buffer_load_dword v13, off, s[0:3], 0 offset:676
	buffer_load_dword v16, off, s[0:3], 0 offset:680
	buffer_load_dword v17, off, s[0:3], 0 offset:684
	s_waitcnt vmcnt(2)
	v_add_f64 v[12:13], v[12:13], -v[14:15]
	s_waitcnt vmcnt(0)
	v_add_f64 v[10:11], v[16:17], -v[10:11]
	buffer_store_dword v13, off, s[0:3], 0 offset:676
	buffer_store_dword v12, off, s[0:3], 0 offset:672
	buffer_store_dword v11, off, s[0:3], 0 offset:684
	buffer_store_dword v10, off, s[0:3], 0 offset:680
	ds_read2_b64 v[10:13], v6 offset0:86 offset1:87
	s_waitcnt lgkmcnt(0)
	v_mul_f64 v[14:15], v[12:13], v[3:4]
	v_fma_f64 v[14:15], v[10:11], v[1:2], -v[14:15]
	v_mul_f64 v[10:11], v[10:11], v[3:4]
	v_fma_f64 v[10:11], v[12:13], v[1:2], v[10:11]
	buffer_load_dword v12, off, s[0:3], 0 offset:688
	buffer_load_dword v13, off, s[0:3], 0 offset:692
	buffer_load_dword v16, off, s[0:3], 0 offset:696
	buffer_load_dword v17, off, s[0:3], 0 offset:700
	s_waitcnt vmcnt(2)
	v_add_f64 v[12:13], v[12:13], -v[14:15]
	;; [unrolled: 18-line block ×4, first 2 shown]
	s_waitcnt vmcnt(0)
	v_add_f64 v[10:11], v[16:17], -v[10:11]
	buffer_store_dword v13, off, s[0:3], 0 offset:724
	buffer_store_dword v12, off, s[0:3], 0 offset:720
	;; [unrolled: 1-line block ×4, first 2 shown]
	ds_read2_b64 v[10:13], v6 offset0:92 offset1:93
	s_waitcnt lgkmcnt(0)
	v_mul_f64 v[14:15], v[12:13], v[3:4]
	v_mul_f64 v[3:4], v[10:11], v[3:4]
	v_fma_f64 v[14:15], v[10:11], v[1:2], -v[14:15]
	v_fma_f64 v[1:2], v[12:13], v[1:2], v[3:4]
	buffer_load_dword v3, off, s[0:3], 0 offset:736
	buffer_load_dword v4, off, s[0:3], 0 offset:740
	;; [unrolled: 1-line block ×4, first 2 shown]
	s_waitcnt vmcnt(2)
	v_add_f64 v[3:4], v[3:4], -v[14:15]
	s_waitcnt vmcnt(0)
	v_add_f64 v[1:2], v[10:11], -v[1:2]
	buffer_store_dword v4, off, s[0:3], 0 offset:740
	buffer_store_dword v3, off, s[0:3], 0 offset:736
	;; [unrolled: 1-line block ×4, first 2 shown]
	ds_read2_b64 v[10:13], v6 offset0:94 offset1:95
	buffer_load_dword v1, off, s[0:3], 0 offset:544
	buffer_load_dword v2, off, s[0:3], 0 offset:548
	;; [unrolled: 1-line block ×4, first 2 shown]
	s_waitcnt vmcnt(0) lgkmcnt(0)
	v_mul_f64 v[14:15], v[12:13], v[3:4]
	v_fma_f64 v[14:15], v[10:11], v[1:2], -v[14:15]
	v_mul_f64 v[10:11], v[10:11], v[3:4]
	v_fma_f64 v[10:11], v[12:13], v[1:2], v[10:11]
	buffer_load_dword v13, off, s[0:3], 0 offset:756
	buffer_load_dword v12, off, s[0:3], 0 offset:752
	s_waitcnt vmcnt(0)
	v_add_f64 v[12:13], v[12:13], -v[14:15]
	buffer_load_dword v15, off, s[0:3], 0 offset:764
	buffer_load_dword v14, off, s[0:3], 0 offset:760
	s_waitcnt vmcnt(0)
	v_add_f64 v[10:11], v[14:15], -v[10:11]
	buffer_store_dword v13, off, s[0:3], 0 offset:756
	buffer_store_dword v12, off, s[0:3], 0 offset:752
	buffer_store_dword v11, off, s[0:3], 0 offset:764
	buffer_store_dword v10, off, s[0:3], 0 offset:760
	ds_read2_b64 v[10:13], v6 offset0:96 offset1:97
	s_waitcnt lgkmcnt(0)
	v_mul_f64 v[14:15], v[12:13], v[3:4]
	v_fma_f64 v[14:15], v[10:11], v[1:2], -v[14:15]
	v_mul_f64 v[10:11], v[10:11], v[3:4]
	v_fma_f64 v[10:11], v[12:13], v[1:2], v[10:11]
	buffer_load_dword v12, off, s[0:3], 0 offset:768
	buffer_load_dword v13, off, s[0:3], 0 offset:772
	buffer_load_dword v16, off, s[0:3], 0 offset:776
	buffer_load_dword v17, off, s[0:3], 0 offset:780
	s_waitcnt vmcnt(2)
	v_add_f64 v[12:13], v[12:13], -v[14:15]
	s_waitcnt vmcnt(0)
	v_add_f64 v[10:11], v[16:17], -v[10:11]
	buffer_store_dword v13, off, s[0:3], 0 offset:772
	buffer_store_dword v12, off, s[0:3], 0 offset:768
	buffer_store_dword v11, off, s[0:3], 0 offset:780
	buffer_store_dword v10, off, s[0:3], 0 offset:776
	ds_read2_b64 v[10:13], v6 offset0:98 offset1:99
	s_waitcnt lgkmcnt(0)
	v_mul_f64 v[14:15], v[12:13], v[3:4]
	v_fma_f64 v[14:15], v[10:11], v[1:2], -v[14:15]
	v_mul_f64 v[10:11], v[10:11], v[3:4]
	v_fma_f64 v[10:11], v[12:13], v[1:2], v[10:11]
	buffer_load_dword v12, off, s[0:3], 0 offset:784
	buffer_load_dword v13, off, s[0:3], 0 offset:788
	buffer_load_dword v16, off, s[0:3], 0 offset:792
	buffer_load_dword v17, off, s[0:3], 0 offset:796
	s_waitcnt vmcnt(2)
	v_add_f64 v[12:13], v[12:13], -v[14:15]
	;; [unrolled: 18-line block ×4, first 2 shown]
	s_waitcnt vmcnt(0)
	v_add_f64 v[10:11], v[16:17], -v[10:11]
	buffer_store_dword v13, off, s[0:3], 0 offset:820
	buffer_store_dword v12, off, s[0:3], 0 offset:816
	;; [unrolled: 1-line block ×4, first 2 shown]
	ds_read2_b64 v[10:13], v6 offset0:104 offset1:105
	s_waitcnt lgkmcnt(0)
	v_mul_f64 v[14:15], v[12:13], v[3:4]
	v_mul_f64 v[3:4], v[10:11], v[3:4]
	v_fma_f64 v[14:15], v[10:11], v[1:2], -v[14:15]
	v_fma_f64 v[1:2], v[12:13], v[1:2], v[3:4]
	buffer_load_dword v3, off, s[0:3], 0 offset:832
	buffer_load_dword v4, off, s[0:3], 0 offset:836
	;; [unrolled: 1-line block ×4, first 2 shown]
	s_waitcnt vmcnt(2)
	v_add_f64 v[3:4], v[3:4], -v[14:15]
	s_waitcnt vmcnt(0)
	v_add_f64 v[1:2], v[10:11], -v[1:2]
	buffer_store_dword v4, off, s[0:3], 0 offset:836
	buffer_store_dword v3, off, s[0:3], 0 offset:832
	;; [unrolled: 1-line block ×4, first 2 shown]
	ds_read2_b64 v[1:4], v6 offset0:106 offset1:107
	buffer_load_dword v10, off, s[0:3], 0 offset:544
	buffer_load_dword v11, off, s[0:3], 0 offset:548
	;; [unrolled: 1-line block ×4, first 2 shown]
	s_waitcnt vmcnt(0) lgkmcnt(0)
	v_mul_f64 v[14:15], v[3:4], v[12:13]
	v_fma_f64 v[14:15], v[1:2], v[10:11], -v[14:15]
	v_mul_f64 v[1:2], v[1:2], v[12:13]
	v_fma_f64 v[1:2], v[3:4], v[10:11], v[1:2]
	buffer_load_dword v4, off, s[0:3], 0 offset:852
	buffer_load_dword v3, off, s[0:3], 0 offset:848
	s_waitcnt vmcnt(0)
	v_add_f64 v[3:4], v[3:4], -v[14:15]
	buffer_load_dword v15, off, s[0:3], 0 offset:860
	buffer_load_dword v14, off, s[0:3], 0 offset:856
	s_waitcnt vmcnt(0)
	v_add_f64 v[1:2], v[14:15], -v[1:2]
	buffer_store_dword v4, off, s[0:3], 0 offset:852
	buffer_store_dword v3, off, s[0:3], 0 offset:848
	buffer_store_dword v2, off, s[0:3], 0 offset:860
	buffer_store_dword v1, off, s[0:3], 0 offset:856
	ds_read2_b64 v[1:4], v6 offset0:108 offset1:109
	s_waitcnt lgkmcnt(0)
	v_mul_f64 v[14:15], v[3:4], v[12:13]
	v_fma_f64 v[14:15], v[1:2], v[10:11], -v[14:15]
	v_mul_f64 v[1:2], v[1:2], v[12:13]
	v_fma_f64 v[1:2], v[3:4], v[10:11], v[1:2]
	buffer_load_dword v3, off, s[0:3], 0 offset:864
	buffer_load_dword v4, off, s[0:3], 0 offset:868
	buffer_load_dword v16, off, s[0:3], 0 offset:872
	buffer_load_dword v17, off, s[0:3], 0 offset:876
	s_waitcnt vmcnt(2)
	v_add_f64 v[3:4], v[3:4], -v[14:15]
	s_waitcnt vmcnt(0)
	v_add_f64 v[1:2], v[16:17], -v[1:2]
	buffer_store_dword v4, off, s[0:3], 0 offset:868
	buffer_store_dword v3, off, s[0:3], 0 offset:864
	buffer_store_dword v2, off, s[0:3], 0 offset:876
	buffer_store_dword v1, off, s[0:3], 0 offset:872
	ds_read2_b64 v[1:4], v6 offset0:110 offset1:111
	s_waitcnt lgkmcnt(0)
	v_mul_f64 v[14:15], v[3:4], v[12:13]
	v_fma_f64 v[14:15], v[1:2], v[10:11], -v[14:15]
	v_mul_f64 v[1:2], v[1:2], v[12:13]
	v_fma_f64 v[1:2], v[3:4], v[10:11], v[1:2]
	buffer_load_dword v3, off, s[0:3], 0 offset:880
	buffer_load_dword v4, off, s[0:3], 0 offset:884
	buffer_load_dword v16, off, s[0:3], 0 offset:888
	buffer_load_dword v17, off, s[0:3], 0 offset:892
	s_waitcnt vmcnt(2)
	v_add_f64 v[3:4], v[3:4], -v[14:15]
	;; [unrolled: 18-line block ×5, first 2 shown]
	s_waitcnt vmcnt(0)
	v_add_f64 v[1:2], v[10:11], -v[1:2]
	buffer_store_dword v4, off, s[0:3], 0 offset:932
	buffer_store_dword v3, off, s[0:3], 0 offset:928
	;; [unrolled: 1-line block ×4, first 2 shown]
	ds_read2_b64 v[1:4], v6 offset0:118 offset1:119
	buffer_load_dword v17, off, s[0:3], 0 offset:544
	buffer_load_dword v18, off, s[0:3], 0 offset:548
	;; [unrolled: 1-line block ×4, first 2 shown]
	s_waitcnt vmcnt(0) lgkmcnt(0)
	v_mul_f64 v[10:11], v[3:4], v[19:20]
	v_fma_f64 v[21:22], v[1:2], v[17:18], -v[10:11]
	v_mul_f64 v[1:2], v[1:2], v[19:20]
	v_fma_f64 v[1:2], v[3:4], v[17:18], v[1:2]
	buffer_load_dword v4, off, s[0:3], 0 offset:948
	buffer_load_dword v3, off, s[0:3], 0 offset:944
	buffer_load_dword v11, off, s[0:3], 0 offset:956
	buffer_load_dword v10, off, s[0:3], 0 offset:952
	s_waitcnt vmcnt(2)
	v_add_f64 v[3:4], v[3:4], -v[21:22]
	s_waitcnt vmcnt(0)
	v_add_f64 v[1:2], v[10:11], -v[1:2]
	buffer_store_dword v4, off, s[0:3], 0 offset:948
	buffer_store_dword v3, off, s[0:3], 0 offset:944
	buffer_store_dword v2, off, s[0:3], 0 offset:956
	buffer_store_dword v1, off, s[0:3], 0 offset:952
	ds_read2_b64 v[1:4], v6 offset0:120 offset1:121
	s_waitcnt lgkmcnt(0)
	v_mul_f64 v[10:11], v[3:4], v[19:20]
	v_fma_f64 v[10:11], v[1:2], v[17:18], -v[10:11]
	v_mul_f64 v[1:2], v[1:2], v[19:20]
	v_fma_f64 v[1:2], v[3:4], v[17:18], v[1:2]
	buffer_load_dword v3, off, s[0:3], 0 offset:960
	buffer_load_dword v4, off, s[0:3], 0 offset:964
	buffer_load_dword v12, off, s[0:3], 0 offset:968
	buffer_load_dword v13, off, s[0:3], 0 offset:972
	s_waitcnt vmcnt(2)
	v_add_f64 v[3:4], v[3:4], -v[10:11]
	s_waitcnt vmcnt(0)
	v_add_f64 v[1:2], v[12:13], -v[1:2]
	buffer_store_dword v4, off, s[0:3], 0 offset:964
	buffer_store_dword v3, off, s[0:3], 0 offset:960
	buffer_store_dword v2, off, s[0:3], 0 offset:972
	buffer_store_dword v1, off, s[0:3], 0 offset:968
	ds_read2_b64 v[1:4], v6 offset0:122 offset1:123
	s_waitcnt lgkmcnt(0)
	;; [unrolled: 18-line block ×3, first 2 shown]
	v_mul_f64 v[1:2], v[12:13], v[19:20]
	v_fma_f64 v[3:4], v[10:11], v[17:18], -v[1:2]
	v_mul_f64 v[1:2], v[10:11], v[19:20]
	v_fma_f64 v[1:2], v[12:13], v[17:18], v[1:2]
	buffer_load_dword v10, off, s[0:3], 0 offset:992
	buffer_load_dword v11, off, s[0:3], 0 offset:996
	;; [unrolled: 1-line block ×4, first 2 shown]
	s_waitcnt vmcnt(2)
	v_add_f64 v[3:4], v[10:11], -v[3:4]
	s_waitcnt vmcnt(0)
	v_add_f64 v[1:2], v[12:13], -v[1:2]
	buffer_store_dword v4, off, s[0:3], 0 offset:996
	buffer_store_dword v3, off, s[0:3], 0 offset:992
	;; [unrolled: 1-line block ×4, first 2 shown]
.LBB125_431:
	s_or_b64 exec, exec, s[6:7]
	v_cmp_eq_u32_e32 vcc, 35, v0
	s_waitcnt vmcnt(0)
	s_barrier
	s_and_saveexec_b64 s[8:9], vcc
	s_cbranch_execz .LBB125_438
; %bb.432:
	v_mov_b32_e32 v4, s43
	buffer_load_dword v1, v4, s[0:3], 0 offen
	buffer_load_dword v2, v4, s[0:3], 0 offen offset:4
	buffer_load_dword v3, v4, s[0:3], 0 offen offset:8
	s_nop 0
	buffer_load_dword v4, v4, s[0:3], 0 offen offset:12
	s_waitcnt vmcnt(0)
	ds_write2_b64 v125, v[1:2], v[3:4] offset1:1
	v_mov_b32_e32 v4, s42
	buffer_load_dword v1, v4, s[0:3], 0 offen
	buffer_load_dword v2, v4, s[0:3], 0 offen offset:4
	buffer_load_dword v3, v4, s[0:3], 0 offen offset:8
	s_nop 0
	buffer_load_dword v4, v4, s[0:3], 0 offen offset:12
	s_waitcnt vmcnt(0)
	ds_write2_b64 v6, v[1:2], v[3:4] offset0:72 offset1:73
	v_mov_b32_e32 v4, s41
	buffer_load_dword v1, v4, s[0:3], 0 offen
	buffer_load_dword v2, v4, s[0:3], 0 offen offset:4
	buffer_load_dword v3, v4, s[0:3], 0 offen offset:8
	s_nop 0
	buffer_load_dword v4, v4, s[0:3], 0 offen offset:12
	s_waitcnt vmcnt(0)
	ds_write2_b64 v6, v[1:2], v[3:4] offset0:74 offset1:75
	;; [unrolled: 8-line block ×27, first 2 shown]
	ds_read2_b64 v[1:4], v125 offset1:1
	s_waitcnt lgkmcnt(0)
	v_cmp_neq_f64_e32 vcc, 0, v[1:2]
	v_cmp_neq_f64_e64 s[6:7], 0, v[3:4]
	s_or_b64 s[6:7], vcc, s[6:7]
	s_and_b64 exec, exec, s[6:7]
	s_cbranch_execz .LBB125_438
; %bb.433:
	v_cmp_ngt_f64_e64 s[6:7], |v[1:2]|, |v[3:4]|
                                        ; implicit-def: $vgpr10_vgpr11
	s_and_saveexec_b64 s[10:11], s[6:7]
	s_xor_b64 s[6:7], exec, s[10:11]
                                        ; implicit-def: $vgpr12_vgpr13
	s_cbranch_execz .LBB125_435
; %bb.434:
	v_div_scale_f64 v[10:11], s[10:11], v[3:4], v[3:4], v[1:2]
	v_rcp_f64_e32 v[12:13], v[10:11]
	v_fma_f64 v[14:15], -v[10:11], v[12:13], 1.0
	v_fma_f64 v[12:13], v[12:13], v[14:15], v[12:13]
	v_div_scale_f64 v[14:15], vcc, v[1:2], v[3:4], v[1:2]
	v_fma_f64 v[16:17], -v[10:11], v[12:13], 1.0
	v_fma_f64 v[12:13], v[12:13], v[16:17], v[12:13]
	v_mul_f64 v[16:17], v[14:15], v[12:13]
	v_fma_f64 v[10:11], -v[10:11], v[16:17], v[14:15]
	v_div_fmas_f64 v[10:11], v[10:11], v[12:13], v[16:17]
	v_div_fixup_f64 v[10:11], v[10:11], v[3:4], v[1:2]
	v_fma_f64 v[1:2], v[1:2], v[10:11], v[3:4]
	v_div_scale_f64 v[3:4], s[10:11], v[1:2], v[1:2], 1.0
	v_div_scale_f64 v[16:17], vcc, 1.0, v[1:2], 1.0
	v_rcp_f64_e32 v[12:13], v[3:4]
	v_fma_f64 v[14:15], -v[3:4], v[12:13], 1.0
	v_fma_f64 v[12:13], v[12:13], v[14:15], v[12:13]
	v_fma_f64 v[14:15], -v[3:4], v[12:13], 1.0
	v_fma_f64 v[12:13], v[12:13], v[14:15], v[12:13]
	v_mul_f64 v[14:15], v[16:17], v[12:13]
	v_fma_f64 v[3:4], -v[3:4], v[14:15], v[16:17]
	v_div_fmas_f64 v[3:4], v[3:4], v[12:13], v[14:15]
	v_div_fixup_f64 v[12:13], v[3:4], v[1:2], 1.0
                                        ; implicit-def: $vgpr1_vgpr2
	v_mul_f64 v[10:11], v[10:11], v[12:13]
	v_xor_b32_e32 v13, 0x80000000, v13
.LBB125_435:
	s_andn2_saveexec_b64 s[6:7], s[6:7]
	s_cbranch_execz .LBB125_437
; %bb.436:
	v_div_scale_f64 v[10:11], s[10:11], v[1:2], v[1:2], v[3:4]
	v_rcp_f64_e32 v[12:13], v[10:11]
	v_fma_f64 v[14:15], -v[10:11], v[12:13], 1.0
	v_fma_f64 v[12:13], v[12:13], v[14:15], v[12:13]
	v_div_scale_f64 v[14:15], vcc, v[3:4], v[1:2], v[3:4]
	v_fma_f64 v[16:17], -v[10:11], v[12:13], 1.0
	v_fma_f64 v[12:13], v[12:13], v[16:17], v[12:13]
	v_mul_f64 v[16:17], v[14:15], v[12:13]
	v_fma_f64 v[10:11], -v[10:11], v[16:17], v[14:15]
	v_div_fmas_f64 v[10:11], v[10:11], v[12:13], v[16:17]
	v_div_fixup_f64 v[12:13], v[10:11], v[1:2], v[3:4]
	v_fma_f64 v[1:2], v[3:4], v[12:13], v[1:2]
	v_div_scale_f64 v[3:4], s[10:11], v[1:2], v[1:2], 1.0
	v_div_scale_f64 v[16:17], vcc, 1.0, v[1:2], 1.0
	v_rcp_f64_e32 v[10:11], v[3:4]
	v_fma_f64 v[14:15], -v[3:4], v[10:11], 1.0
	v_fma_f64 v[10:11], v[10:11], v[14:15], v[10:11]
	v_fma_f64 v[14:15], -v[3:4], v[10:11], 1.0
	v_fma_f64 v[10:11], v[10:11], v[14:15], v[10:11]
	v_mul_f64 v[14:15], v[16:17], v[10:11]
	v_fma_f64 v[3:4], -v[3:4], v[14:15], v[16:17]
	v_div_fmas_f64 v[3:4], v[3:4], v[10:11], v[14:15]
	v_div_fixup_f64 v[10:11], v[3:4], v[1:2], 1.0
	v_mul_f64 v[12:13], v[12:13], -v[10:11]
.LBB125_437:
	s_or_b64 exec, exec, s[6:7]
	ds_write2_b64 v125, v[10:11], v[12:13] offset1:1
.LBB125_438:
	s_or_b64 exec, exec, s[8:9]
	s_waitcnt lgkmcnt(0)
	s_barrier
	ds_read2_b64 v[1:4], v125 offset1:1
	v_cmp_lt_u32_e32 vcc, 35, v0
	s_waitcnt lgkmcnt(0)
	buffer_store_dword v1, off, s[0:3], 0 offset:1896 ; 4-byte Folded Spill
	s_nop 0
	buffer_store_dword v2, off, s[0:3], 0 offset:1900 ; 4-byte Folded Spill
	buffer_store_dword v3, off, s[0:3], 0 offset:1904 ; 4-byte Folded Spill
	;; [unrolled: 1-line block ×3, first 2 shown]
	s_and_saveexec_b64 s[6:7], vcc
	s_cbranch_execz .LBB125_440
; %bb.439:
	buffer_load_dword v3, off, s[0:3], 0 offset:560
	buffer_load_dword v4, off, s[0:3], 0 offset:564
	;; [unrolled: 1-line block ×16, first 2 shown]
	buffer_load_dword v16, off, s[0:3], 0 offset:1896 ; 4-byte Folded Reload
	buffer_load_dword v17, off, s[0:3], 0 offset:1900 ; 4-byte Folded Reload
	;; [unrolled: 1-line block ×4, first 2 shown]
	s_waitcnt vmcnt(0)
	v_mul_f64 v[1:2], v[18:19], v[10:11]
	v_mul_f64 v[10:11], v[16:17], v[10:11]
	v_fma_f64 v[1:2], v[16:17], v[3:4], -v[1:2]
	v_fma_f64 v[3:4], v[18:19], v[3:4], v[10:11]
	buffer_store_dword v1, off, s[0:3], 0 offset:560
	buffer_store_dword v2, off, s[0:3], 0 offset:564
	buffer_store_dword v3, off, s[0:3], 0 offset:568
	buffer_store_dword v4, off, s[0:3], 0 offset:572
	ds_read2_b64 v[10:13], v6 offset0:72 offset1:73
	s_waitcnt lgkmcnt(0)
	v_mul_f64 v[31:32], v[12:13], v[3:4]
	v_fma_f64 v[31:32], v[10:11], v[1:2], -v[31:32]
	v_mul_f64 v[10:11], v[10:11], v[3:4]
	v_fma_f64 v[10:11], v[12:13], v[1:2], v[10:11]
	v_add_f64 v[12:13], v[14:15], -v[31:32]
	v_add_f64 v[10:11], v[21:22], -v[10:11]
	buffer_store_dword v12, off, s[0:3], 0 offset:576
	buffer_store_dword v13, off, s[0:3], 0 offset:580
	buffer_store_dword v10, off, s[0:3], 0 offset:584
	buffer_store_dword v11, off, s[0:3], 0 offset:588
	ds_read2_b64 v[10:13], v6 offset0:74 offset1:75
	s_waitcnt lgkmcnt(0)
	v_mul_f64 v[14:15], v[12:13], v[3:4]
	v_fma_f64 v[14:15], v[10:11], v[1:2], -v[14:15]
	v_mul_f64 v[10:11], v[10:11], v[3:4]
	v_fma_f64 v[10:11], v[12:13], v[1:2], v[10:11]
	v_add_f64 v[12:13], v[23:24], -v[14:15]
	v_add_f64 v[10:11], v[25:26], -v[10:11]
	;; [unrolled: 12-line block ×3, first 2 shown]
	buffer_store_dword v13, off, s[0:3], 0 offset:612
	buffer_store_dword v12, off, s[0:3], 0 offset:608
	;; [unrolled: 1-line block ×4, first 2 shown]
	ds_read2_b64 v[10:13], v6 offset0:78 offset1:79
	s_waitcnt lgkmcnt(0)
	v_mul_f64 v[14:15], v[12:13], v[3:4]
	v_fma_f64 v[14:15], v[10:11], v[1:2], -v[14:15]
	v_mul_f64 v[10:11], v[10:11], v[3:4]
	v_fma_f64 v[10:11], v[12:13], v[1:2], v[10:11]
	buffer_load_dword v12, off, s[0:3], 0 offset:624
	buffer_load_dword v13, off, s[0:3], 0 offset:628
	;; [unrolled: 1-line block ×4, first 2 shown]
	s_waitcnt vmcnt(2)
	v_add_f64 v[12:13], v[12:13], -v[14:15]
	s_waitcnt vmcnt(0)
	v_add_f64 v[10:11], v[21:22], -v[10:11]
	buffer_store_dword v13, off, s[0:3], 0 offset:628
	buffer_store_dword v12, off, s[0:3], 0 offset:624
	;; [unrolled: 1-line block ×4, first 2 shown]
	ds_read2_b64 v[10:13], v6 offset0:80 offset1:81
	s_waitcnt lgkmcnt(0)
	v_mul_f64 v[14:15], v[12:13], v[3:4]
	v_fma_f64 v[14:15], v[10:11], v[1:2], -v[14:15]
	v_mul_f64 v[10:11], v[10:11], v[3:4]
	v_fma_f64 v[10:11], v[12:13], v[1:2], v[10:11]
	buffer_load_dword v12, off, s[0:3], 0 offset:640
	buffer_load_dword v13, off, s[0:3], 0 offset:644
	;; [unrolled: 1-line block ×4, first 2 shown]
	s_waitcnt vmcnt(2)
	v_add_f64 v[12:13], v[12:13], -v[14:15]
	s_waitcnt vmcnt(0)
	v_add_f64 v[10:11], v[21:22], -v[10:11]
	buffer_store_dword v13, off, s[0:3], 0 offset:644
	buffer_store_dword v12, off, s[0:3], 0 offset:640
	;; [unrolled: 1-line block ×4, first 2 shown]
	ds_read2_b64 v[10:13], v6 offset0:82 offset1:83
	s_waitcnt lgkmcnt(0)
	v_mul_f64 v[14:15], v[12:13], v[3:4]
	v_mul_f64 v[3:4], v[10:11], v[3:4]
	v_fma_f64 v[14:15], v[10:11], v[1:2], -v[14:15]
	v_fma_f64 v[1:2], v[12:13], v[1:2], v[3:4]
	buffer_load_dword v3, off, s[0:3], 0 offset:656
	buffer_load_dword v4, off, s[0:3], 0 offset:660
	;; [unrolled: 1-line block ×4, first 2 shown]
	s_waitcnt vmcnt(2)
	v_add_f64 v[3:4], v[3:4], -v[14:15]
	s_waitcnt vmcnt(0)
	v_add_f64 v[1:2], v[10:11], -v[1:2]
	buffer_store_dword v4, off, s[0:3], 0 offset:660
	buffer_store_dword v3, off, s[0:3], 0 offset:656
	buffer_store_dword v2, off, s[0:3], 0 offset:668
	buffer_store_dword v1, off, s[0:3], 0 offset:664
	ds_read2_b64 v[10:13], v6 offset0:84 offset1:85
	buffer_load_dword v1, off, s[0:3], 0 offset:560
	buffer_load_dword v2, off, s[0:3], 0 offset:564
	;; [unrolled: 1-line block ×4, first 2 shown]
	s_waitcnt vmcnt(0) lgkmcnt(0)
	v_mul_f64 v[14:15], v[12:13], v[3:4]
	v_fma_f64 v[14:15], v[10:11], v[1:2], -v[14:15]
	v_mul_f64 v[10:11], v[10:11], v[3:4]
	v_fma_f64 v[10:11], v[12:13], v[1:2], v[10:11]
	buffer_load_dword v13, off, s[0:3], 0 offset:676
	buffer_load_dword v12, off, s[0:3], 0 offset:672
	s_waitcnt vmcnt(0)
	v_add_f64 v[12:13], v[12:13], -v[14:15]
	buffer_load_dword v15, off, s[0:3], 0 offset:684
	buffer_load_dword v14, off, s[0:3], 0 offset:680
	s_waitcnt vmcnt(0)
	v_add_f64 v[10:11], v[14:15], -v[10:11]
	buffer_store_dword v13, off, s[0:3], 0 offset:676
	buffer_store_dword v12, off, s[0:3], 0 offset:672
	buffer_store_dword v11, off, s[0:3], 0 offset:684
	buffer_store_dword v10, off, s[0:3], 0 offset:680
	ds_read2_b64 v[10:13], v6 offset0:86 offset1:87
	s_waitcnt lgkmcnt(0)
	v_mul_f64 v[14:15], v[12:13], v[3:4]
	v_fma_f64 v[14:15], v[10:11], v[1:2], -v[14:15]
	v_mul_f64 v[10:11], v[10:11], v[3:4]
	v_fma_f64 v[10:11], v[12:13], v[1:2], v[10:11]
	buffer_load_dword v12, off, s[0:3], 0 offset:688
	buffer_load_dword v13, off, s[0:3], 0 offset:692
	buffer_load_dword v21, off, s[0:3], 0 offset:696
	buffer_load_dword v22, off, s[0:3], 0 offset:700
	s_waitcnt vmcnt(2)
	v_add_f64 v[12:13], v[12:13], -v[14:15]
	s_waitcnt vmcnt(0)
	v_add_f64 v[10:11], v[21:22], -v[10:11]
	buffer_store_dword v13, off, s[0:3], 0 offset:692
	buffer_store_dword v12, off, s[0:3], 0 offset:688
	buffer_store_dword v11, off, s[0:3], 0 offset:700
	buffer_store_dword v10, off, s[0:3], 0 offset:696
	ds_read2_b64 v[10:13], v6 offset0:88 offset1:89
	s_waitcnt lgkmcnt(0)
	v_mul_f64 v[14:15], v[12:13], v[3:4]
	v_fma_f64 v[14:15], v[10:11], v[1:2], -v[14:15]
	v_mul_f64 v[10:11], v[10:11], v[3:4]
	v_fma_f64 v[10:11], v[12:13], v[1:2], v[10:11]
	buffer_load_dword v12, off, s[0:3], 0 offset:704
	buffer_load_dword v13, off, s[0:3], 0 offset:708
	buffer_load_dword v21, off, s[0:3], 0 offset:712
	buffer_load_dword v22, off, s[0:3], 0 offset:716
	s_waitcnt vmcnt(2)
	v_add_f64 v[12:13], v[12:13], -v[14:15]
	;; [unrolled: 18-line block ×4, first 2 shown]
	s_waitcnt vmcnt(0)
	v_add_f64 v[10:11], v[21:22], -v[10:11]
	buffer_store_dword v13, off, s[0:3], 0 offset:740
	buffer_store_dword v12, off, s[0:3], 0 offset:736
	buffer_store_dword v11, off, s[0:3], 0 offset:748
	buffer_store_dword v10, off, s[0:3], 0 offset:744
	ds_read2_b64 v[10:13], v6 offset0:94 offset1:95
	s_waitcnt lgkmcnt(0)
	v_mul_f64 v[14:15], v[12:13], v[3:4]
	v_mul_f64 v[3:4], v[10:11], v[3:4]
	v_fma_f64 v[14:15], v[10:11], v[1:2], -v[14:15]
	v_fma_f64 v[1:2], v[12:13], v[1:2], v[3:4]
	buffer_load_dword v3, off, s[0:3], 0 offset:752
	buffer_load_dword v4, off, s[0:3], 0 offset:756
	;; [unrolled: 1-line block ×4, first 2 shown]
	s_waitcnt vmcnt(2)
	v_add_f64 v[3:4], v[3:4], -v[14:15]
	s_waitcnt vmcnt(0)
	v_add_f64 v[1:2], v[10:11], -v[1:2]
	buffer_store_dword v4, off, s[0:3], 0 offset:756
	buffer_store_dword v3, off, s[0:3], 0 offset:752
	;; [unrolled: 1-line block ×4, first 2 shown]
	ds_read2_b64 v[10:13], v6 offset0:96 offset1:97
	buffer_load_dword v1, off, s[0:3], 0 offset:560
	buffer_load_dword v2, off, s[0:3], 0 offset:564
	buffer_load_dword v3, off, s[0:3], 0 offset:568
	buffer_load_dword v4, off, s[0:3], 0 offset:572
	s_waitcnt vmcnt(0) lgkmcnt(0)
	v_mul_f64 v[14:15], v[12:13], v[3:4]
	v_fma_f64 v[14:15], v[10:11], v[1:2], -v[14:15]
	v_mul_f64 v[10:11], v[10:11], v[3:4]
	v_fma_f64 v[10:11], v[12:13], v[1:2], v[10:11]
	buffer_load_dword v13, off, s[0:3], 0 offset:772
	buffer_load_dword v12, off, s[0:3], 0 offset:768
	s_waitcnt vmcnt(0)
	v_add_f64 v[12:13], v[12:13], -v[14:15]
	buffer_load_dword v15, off, s[0:3], 0 offset:780
	buffer_load_dword v14, off, s[0:3], 0 offset:776
	s_waitcnt vmcnt(0)
	v_add_f64 v[10:11], v[14:15], -v[10:11]
	buffer_store_dword v13, off, s[0:3], 0 offset:772
	buffer_store_dword v12, off, s[0:3], 0 offset:768
	buffer_store_dword v11, off, s[0:3], 0 offset:780
	buffer_store_dword v10, off, s[0:3], 0 offset:776
	ds_read2_b64 v[10:13], v6 offset0:98 offset1:99
	s_waitcnt lgkmcnt(0)
	v_mul_f64 v[14:15], v[12:13], v[3:4]
	v_fma_f64 v[14:15], v[10:11], v[1:2], -v[14:15]
	v_mul_f64 v[10:11], v[10:11], v[3:4]
	v_fma_f64 v[10:11], v[12:13], v[1:2], v[10:11]
	buffer_load_dword v12, off, s[0:3], 0 offset:784
	buffer_load_dword v13, off, s[0:3], 0 offset:788
	buffer_load_dword v21, off, s[0:3], 0 offset:792
	buffer_load_dword v22, off, s[0:3], 0 offset:796
	s_waitcnt vmcnt(2)
	v_add_f64 v[12:13], v[12:13], -v[14:15]
	s_waitcnt vmcnt(0)
	v_add_f64 v[10:11], v[21:22], -v[10:11]
	buffer_store_dword v13, off, s[0:3], 0 offset:788
	buffer_store_dword v12, off, s[0:3], 0 offset:784
	buffer_store_dword v11, off, s[0:3], 0 offset:796
	buffer_store_dword v10, off, s[0:3], 0 offset:792
	ds_read2_b64 v[10:13], v6 offset0:100 offset1:101
	s_waitcnt lgkmcnt(0)
	v_mul_f64 v[14:15], v[12:13], v[3:4]
	v_fma_f64 v[14:15], v[10:11], v[1:2], -v[14:15]
	v_mul_f64 v[10:11], v[10:11], v[3:4]
	v_fma_f64 v[10:11], v[12:13], v[1:2], v[10:11]
	buffer_load_dword v12, off, s[0:3], 0 offset:800
	buffer_load_dword v13, off, s[0:3], 0 offset:804
	buffer_load_dword v21, off, s[0:3], 0 offset:808
	buffer_load_dword v22, off, s[0:3], 0 offset:812
	s_waitcnt vmcnt(2)
	v_add_f64 v[12:13], v[12:13], -v[14:15]
	;; [unrolled: 18-line block ×4, first 2 shown]
	s_waitcnt vmcnt(0)
	v_add_f64 v[10:11], v[21:22], -v[10:11]
	buffer_store_dword v13, off, s[0:3], 0 offset:836
	buffer_store_dword v12, off, s[0:3], 0 offset:832
	;; [unrolled: 1-line block ×4, first 2 shown]
	ds_read2_b64 v[10:13], v6 offset0:106 offset1:107
	s_waitcnt lgkmcnt(0)
	v_mul_f64 v[14:15], v[12:13], v[3:4]
	v_mul_f64 v[3:4], v[10:11], v[3:4]
	v_fma_f64 v[14:15], v[10:11], v[1:2], -v[14:15]
	v_fma_f64 v[1:2], v[12:13], v[1:2], v[3:4]
	buffer_load_dword v3, off, s[0:3], 0 offset:848
	buffer_load_dword v4, off, s[0:3], 0 offset:852
	;; [unrolled: 1-line block ×4, first 2 shown]
	s_waitcnt vmcnt(2)
	v_add_f64 v[3:4], v[3:4], -v[14:15]
	s_waitcnt vmcnt(0)
	v_add_f64 v[1:2], v[10:11], -v[1:2]
	buffer_store_dword v4, off, s[0:3], 0 offset:852
	buffer_store_dword v3, off, s[0:3], 0 offset:848
	;; [unrolled: 1-line block ×4, first 2 shown]
	ds_read2_b64 v[1:4], v6 offset0:108 offset1:109
	buffer_load_dword v10, off, s[0:3], 0 offset:560
	buffer_load_dword v11, off, s[0:3], 0 offset:564
	;; [unrolled: 1-line block ×4, first 2 shown]
	s_waitcnt vmcnt(0) lgkmcnt(0)
	v_mul_f64 v[14:15], v[3:4], v[12:13]
	v_fma_f64 v[14:15], v[1:2], v[10:11], -v[14:15]
	v_mul_f64 v[1:2], v[1:2], v[12:13]
	v_fma_f64 v[1:2], v[3:4], v[10:11], v[1:2]
	buffer_load_dword v4, off, s[0:3], 0 offset:868
	buffer_load_dword v3, off, s[0:3], 0 offset:864
	s_waitcnt vmcnt(0)
	v_add_f64 v[3:4], v[3:4], -v[14:15]
	buffer_load_dword v15, off, s[0:3], 0 offset:876
	buffer_load_dword v14, off, s[0:3], 0 offset:872
	s_waitcnt vmcnt(0)
	v_add_f64 v[1:2], v[14:15], -v[1:2]
	buffer_store_dword v4, off, s[0:3], 0 offset:868
	buffer_store_dword v3, off, s[0:3], 0 offset:864
	buffer_store_dword v2, off, s[0:3], 0 offset:876
	buffer_store_dword v1, off, s[0:3], 0 offset:872
	ds_read2_b64 v[1:4], v6 offset0:110 offset1:111
	s_waitcnt lgkmcnt(0)
	v_mul_f64 v[14:15], v[3:4], v[12:13]
	v_fma_f64 v[14:15], v[1:2], v[10:11], -v[14:15]
	v_mul_f64 v[1:2], v[1:2], v[12:13]
	v_fma_f64 v[1:2], v[3:4], v[10:11], v[1:2]
	buffer_load_dword v3, off, s[0:3], 0 offset:880
	buffer_load_dword v4, off, s[0:3], 0 offset:884
	buffer_load_dword v21, off, s[0:3], 0 offset:888
	buffer_load_dword v22, off, s[0:3], 0 offset:892
	s_waitcnt vmcnt(2)
	v_add_f64 v[3:4], v[3:4], -v[14:15]
	s_waitcnt vmcnt(0)
	v_add_f64 v[1:2], v[21:22], -v[1:2]
	buffer_store_dword v4, off, s[0:3], 0 offset:884
	buffer_store_dword v3, off, s[0:3], 0 offset:880
	buffer_store_dword v2, off, s[0:3], 0 offset:892
	buffer_store_dword v1, off, s[0:3], 0 offset:888
	ds_read2_b64 v[1:4], v6 offset0:112 offset1:113
	s_waitcnt lgkmcnt(0)
	v_mul_f64 v[14:15], v[3:4], v[12:13]
	v_fma_f64 v[14:15], v[1:2], v[10:11], -v[14:15]
	v_mul_f64 v[1:2], v[1:2], v[12:13]
	v_fma_f64 v[1:2], v[3:4], v[10:11], v[1:2]
	buffer_load_dword v3, off, s[0:3], 0 offset:896
	buffer_load_dword v4, off, s[0:3], 0 offset:900
	buffer_load_dword v21, off, s[0:3], 0 offset:904
	buffer_load_dword v22, off, s[0:3], 0 offset:908
	s_waitcnt vmcnt(2)
	v_add_f64 v[3:4], v[3:4], -v[14:15]
	;; [unrolled: 18-line block ×5, first 2 shown]
	s_waitcnt vmcnt(0)
	v_add_f64 v[1:2], v[10:11], -v[1:2]
	buffer_store_dword v4, off, s[0:3], 0 offset:948
	buffer_store_dword v3, off, s[0:3], 0 offset:944
	;; [unrolled: 1-line block ×4, first 2 shown]
	ds_read2_b64 v[1:4], v6 offset0:120 offset1:121
	buffer_load_dword v21, off, s[0:3], 0 offset:560
	buffer_load_dword v22, off, s[0:3], 0 offset:564
	;; [unrolled: 1-line block ×4, first 2 shown]
	s_waitcnt vmcnt(0) lgkmcnt(0)
	v_mul_f64 v[10:11], v[3:4], v[23:24]
	v_fma_f64 v[25:26], v[1:2], v[21:22], -v[10:11]
	v_mul_f64 v[1:2], v[1:2], v[23:24]
	v_fma_f64 v[1:2], v[3:4], v[21:22], v[1:2]
	buffer_load_dword v4, off, s[0:3], 0 offset:964
	buffer_load_dword v3, off, s[0:3], 0 offset:960
	;; [unrolled: 1-line block ×4, first 2 shown]
	s_waitcnt vmcnt(2)
	v_add_f64 v[3:4], v[3:4], -v[25:26]
	s_waitcnt vmcnt(0)
	v_add_f64 v[1:2], v[10:11], -v[1:2]
	buffer_store_dword v4, off, s[0:3], 0 offset:964
	buffer_store_dword v3, off, s[0:3], 0 offset:960
	;; [unrolled: 1-line block ×4, first 2 shown]
	ds_read2_b64 v[1:4], v6 offset0:122 offset1:123
	s_waitcnt lgkmcnt(0)
	v_mul_f64 v[10:11], v[3:4], v[23:24]
	v_fma_f64 v[10:11], v[1:2], v[21:22], -v[10:11]
	v_mul_f64 v[1:2], v[1:2], v[23:24]
	v_fma_f64 v[1:2], v[3:4], v[21:22], v[1:2]
	buffer_load_dword v3, off, s[0:3], 0 offset:976
	buffer_load_dword v4, off, s[0:3], 0 offset:980
	;; [unrolled: 1-line block ×4, first 2 shown]
	s_waitcnt vmcnt(2)
	v_add_f64 v[3:4], v[3:4], -v[10:11]
	s_waitcnt vmcnt(0)
	v_add_f64 v[1:2], v[12:13], -v[1:2]
	buffer_store_dword v4, off, s[0:3], 0 offset:980
	buffer_store_dword v3, off, s[0:3], 0 offset:976
	;; [unrolled: 1-line block ×4, first 2 shown]
	ds_read2_b64 v[10:13], v6 offset0:124 offset1:125
	s_waitcnt lgkmcnt(0)
	v_mul_f64 v[1:2], v[12:13], v[23:24]
	v_fma_f64 v[3:4], v[10:11], v[21:22], -v[1:2]
	v_mul_f64 v[1:2], v[10:11], v[23:24]
	v_fma_f64 v[1:2], v[12:13], v[21:22], v[1:2]
	buffer_load_dword v10, off, s[0:3], 0 offset:992
	buffer_load_dword v11, off, s[0:3], 0 offset:996
	;; [unrolled: 1-line block ×4, first 2 shown]
	s_waitcnt vmcnt(2)
	v_add_f64 v[3:4], v[10:11], -v[3:4]
	s_waitcnt vmcnt(0)
	v_add_f64 v[1:2], v[12:13], -v[1:2]
	buffer_store_dword v4, off, s[0:3], 0 offset:996
	buffer_store_dword v3, off, s[0:3], 0 offset:992
	;; [unrolled: 1-line block ×4, first 2 shown]
.LBB125_440:
	s_or_b64 exec, exec, s[6:7]
	v_cmp_eq_u32_e32 vcc, 36, v0
	s_waitcnt vmcnt(0)
	s_barrier
	s_and_saveexec_b64 s[8:9], vcc
	s_cbranch_execz .LBB125_447
; %bb.441:
	v_mov_b32_e32 v4, s42
	buffer_load_dword v1, v4, s[0:3], 0 offen
	buffer_load_dword v2, v4, s[0:3], 0 offen offset:4
	buffer_load_dword v3, v4, s[0:3], 0 offen offset:8
	s_nop 0
	buffer_load_dword v4, v4, s[0:3], 0 offen offset:12
	s_waitcnt vmcnt(0)
	ds_write2_b64 v125, v[1:2], v[3:4] offset1:1
	v_mov_b32_e32 v4, s41
	buffer_load_dword v1, v4, s[0:3], 0 offen
	buffer_load_dword v2, v4, s[0:3], 0 offen offset:4
	buffer_load_dword v3, v4, s[0:3], 0 offen offset:8
	s_nop 0
	buffer_load_dword v4, v4, s[0:3], 0 offen offset:12
	s_waitcnt vmcnt(0)
	ds_write2_b64 v6, v[1:2], v[3:4] offset0:74 offset1:75
	v_mov_b32_e32 v4, s40
	buffer_load_dword v1, v4, s[0:3], 0 offen
	buffer_load_dword v2, v4, s[0:3], 0 offen offset:4
	buffer_load_dword v3, v4, s[0:3], 0 offen offset:8
	s_nop 0
	buffer_load_dword v4, v4, s[0:3], 0 offen offset:12
	s_waitcnt vmcnt(0)
	ds_write2_b64 v6, v[1:2], v[3:4] offset0:76 offset1:77
	;; [unrolled: 8-line block ×26, first 2 shown]
	ds_read2_b64 v[1:4], v125 offset1:1
	s_waitcnt lgkmcnt(0)
	v_cmp_neq_f64_e32 vcc, 0, v[1:2]
	v_cmp_neq_f64_e64 s[6:7], 0, v[3:4]
	s_or_b64 s[6:7], vcc, s[6:7]
	s_and_b64 exec, exec, s[6:7]
	s_cbranch_execz .LBB125_447
; %bb.442:
	v_cmp_ngt_f64_e64 s[6:7], |v[1:2]|, |v[3:4]|
                                        ; implicit-def: $vgpr10_vgpr11
	s_and_saveexec_b64 s[10:11], s[6:7]
	s_xor_b64 s[6:7], exec, s[10:11]
                                        ; implicit-def: $vgpr12_vgpr13
	s_cbranch_execz .LBB125_444
; %bb.443:
	v_div_scale_f64 v[10:11], s[10:11], v[3:4], v[3:4], v[1:2]
	v_rcp_f64_e32 v[12:13], v[10:11]
	v_fma_f64 v[14:15], -v[10:11], v[12:13], 1.0
	v_fma_f64 v[12:13], v[12:13], v[14:15], v[12:13]
	v_div_scale_f64 v[14:15], vcc, v[1:2], v[3:4], v[1:2]
	v_fma_f64 v[21:22], -v[10:11], v[12:13], 1.0
	v_fma_f64 v[12:13], v[12:13], v[21:22], v[12:13]
	v_mul_f64 v[21:22], v[14:15], v[12:13]
	v_fma_f64 v[10:11], -v[10:11], v[21:22], v[14:15]
	v_div_fmas_f64 v[10:11], v[10:11], v[12:13], v[21:22]
	v_div_fixup_f64 v[10:11], v[10:11], v[3:4], v[1:2]
	v_fma_f64 v[1:2], v[1:2], v[10:11], v[3:4]
	v_div_scale_f64 v[3:4], s[10:11], v[1:2], v[1:2], 1.0
	v_div_scale_f64 v[21:22], vcc, 1.0, v[1:2], 1.0
	v_rcp_f64_e32 v[12:13], v[3:4]
	v_fma_f64 v[14:15], -v[3:4], v[12:13], 1.0
	v_fma_f64 v[12:13], v[12:13], v[14:15], v[12:13]
	v_fma_f64 v[14:15], -v[3:4], v[12:13], 1.0
	v_fma_f64 v[12:13], v[12:13], v[14:15], v[12:13]
	v_mul_f64 v[14:15], v[21:22], v[12:13]
	v_fma_f64 v[3:4], -v[3:4], v[14:15], v[21:22]
	v_div_fmas_f64 v[3:4], v[3:4], v[12:13], v[14:15]
	v_div_fixup_f64 v[12:13], v[3:4], v[1:2], 1.0
                                        ; implicit-def: $vgpr1_vgpr2
	v_mul_f64 v[10:11], v[10:11], v[12:13]
	v_xor_b32_e32 v13, 0x80000000, v13
.LBB125_444:
	s_andn2_saveexec_b64 s[6:7], s[6:7]
	s_cbranch_execz .LBB125_446
; %bb.445:
	v_div_scale_f64 v[10:11], s[10:11], v[1:2], v[1:2], v[3:4]
	v_rcp_f64_e32 v[12:13], v[10:11]
	v_fma_f64 v[14:15], -v[10:11], v[12:13], 1.0
	v_fma_f64 v[12:13], v[12:13], v[14:15], v[12:13]
	v_div_scale_f64 v[14:15], vcc, v[3:4], v[1:2], v[3:4]
	v_fma_f64 v[21:22], -v[10:11], v[12:13], 1.0
	v_fma_f64 v[12:13], v[12:13], v[21:22], v[12:13]
	v_mul_f64 v[21:22], v[14:15], v[12:13]
	v_fma_f64 v[10:11], -v[10:11], v[21:22], v[14:15]
	v_div_fmas_f64 v[10:11], v[10:11], v[12:13], v[21:22]
	v_div_fixup_f64 v[12:13], v[10:11], v[1:2], v[3:4]
	v_fma_f64 v[1:2], v[3:4], v[12:13], v[1:2]
	v_div_scale_f64 v[3:4], s[10:11], v[1:2], v[1:2], 1.0
	v_div_scale_f64 v[21:22], vcc, 1.0, v[1:2], 1.0
	v_rcp_f64_e32 v[10:11], v[3:4]
	v_fma_f64 v[14:15], -v[3:4], v[10:11], 1.0
	v_fma_f64 v[10:11], v[10:11], v[14:15], v[10:11]
	v_fma_f64 v[14:15], -v[3:4], v[10:11], 1.0
	v_fma_f64 v[10:11], v[10:11], v[14:15], v[10:11]
	v_mul_f64 v[14:15], v[21:22], v[10:11]
	v_fma_f64 v[3:4], -v[3:4], v[14:15], v[21:22]
	v_div_fmas_f64 v[3:4], v[3:4], v[10:11], v[14:15]
	v_div_fixup_f64 v[10:11], v[3:4], v[1:2], 1.0
	v_mul_f64 v[12:13], v[12:13], -v[10:11]
.LBB125_446:
	s_or_b64 exec, exec, s[6:7]
	ds_write2_b64 v125, v[10:11], v[12:13] offset1:1
.LBB125_447:
	s_or_b64 exec, exec, s[8:9]
	s_waitcnt lgkmcnt(0)
	s_barrier
	ds_read2_b64 v[21:24], v125 offset1:1
	v_cmp_lt_u32_e32 vcc, 36, v0
	s_and_saveexec_b64 s[6:7], vcc
	s_cbranch_execz .LBB125_449
; %bb.448:
	buffer_load_dword v3, off, s[0:3], 0 offset:576
	buffer_load_dword v4, off, s[0:3], 0 offset:580
	;; [unrolled: 1-line block ×16, first 2 shown]
	s_waitcnt vmcnt(12) lgkmcnt(0)
	v_mul_f64 v[1:2], v[23:24], v[10:11]
	v_mul_f64 v[10:11], v[21:22], v[10:11]
	v_fma_f64 v[1:2], v[21:22], v[3:4], -v[1:2]
	v_fma_f64 v[3:4], v[23:24], v[3:4], v[10:11]
	buffer_store_dword v1, off, s[0:3], 0 offset:576
	buffer_store_dword v2, off, s[0:3], 0 offset:580
	buffer_store_dword v3, off, s[0:3], 0 offset:584
	buffer_store_dword v4, off, s[0:3], 0 offset:588
	ds_read2_b64 v[10:13], v6 offset0:74 offset1:75
	s_waitcnt lgkmcnt(0)
	v_mul_f64 v[35:36], v[12:13], v[3:4]
	v_fma_f64 v[35:36], v[10:11], v[1:2], -v[35:36]
	v_mul_f64 v[10:11], v[10:11], v[3:4]
	v_fma_f64 v[10:11], v[12:13], v[1:2], v[10:11]
	s_waitcnt vmcnt(14)
	v_add_f64 v[12:13], v[14:15], -v[35:36]
	s_waitcnt vmcnt(12)
	v_add_f64 v[10:11], v[25:26], -v[10:11]
	buffer_store_dword v12, off, s[0:3], 0 offset:592
	buffer_store_dword v13, off, s[0:3], 0 offset:596
	buffer_store_dword v10, off, s[0:3], 0 offset:600
	buffer_store_dword v11, off, s[0:3], 0 offset:604
	ds_read2_b64 v[10:13], v6 offset0:76 offset1:77
	s_waitcnt lgkmcnt(0)
	v_mul_f64 v[14:15], v[12:13], v[3:4]
	v_fma_f64 v[14:15], v[10:11], v[1:2], -v[14:15]
	v_mul_f64 v[10:11], v[10:11], v[3:4]
	v_fma_f64 v[10:11], v[12:13], v[1:2], v[10:11]
	s_waitcnt vmcnt(14)
	v_add_f64 v[12:13], v[27:28], -v[14:15]
	s_waitcnt vmcnt(12)
	v_add_f64 v[10:11], v[29:30], -v[10:11]
	buffer_store_dword v12, off, s[0:3], 0 offset:608
	buffer_store_dword v13, off, s[0:3], 0 offset:612
	buffer_store_dword v10, off, s[0:3], 0 offset:616
	buffer_store_dword v11, off, s[0:3], 0 offset:620
	ds_read2_b64 v[10:13], v6 offset0:78 offset1:79
	s_waitcnt lgkmcnt(0)
	v_mul_f64 v[14:15], v[12:13], v[3:4]
	v_fma_f64 v[14:15], v[10:11], v[1:2], -v[14:15]
	v_mul_f64 v[10:11], v[10:11], v[3:4]
	v_fma_f64 v[10:11], v[12:13], v[1:2], v[10:11]
	s_waitcnt vmcnt(14)
	v_add_f64 v[12:13], v[31:32], -v[14:15]
	s_waitcnt vmcnt(12)
	v_add_f64 v[10:11], v[33:34], -v[10:11]
	buffer_store_dword v13, off, s[0:3], 0 offset:628
	buffer_store_dword v12, off, s[0:3], 0 offset:624
	buffer_store_dword v10, off, s[0:3], 0 offset:632
	buffer_store_dword v11, off, s[0:3], 0 offset:636
	ds_read2_b64 v[10:13], v6 offset0:80 offset1:81
	s_waitcnt lgkmcnt(0)
	v_mul_f64 v[14:15], v[12:13], v[3:4]
	v_fma_f64 v[14:15], v[10:11], v[1:2], -v[14:15]
	v_mul_f64 v[10:11], v[10:11], v[3:4]
	v_fma_f64 v[10:11], v[12:13], v[1:2], v[10:11]
	buffer_load_dword v12, off, s[0:3], 0 offset:640
	buffer_load_dword v13, off, s[0:3], 0 offset:644
	;; [unrolled: 1-line block ×4, first 2 shown]
	s_waitcnt vmcnt(2)
	v_add_f64 v[12:13], v[12:13], -v[14:15]
	s_waitcnt vmcnt(0)
	v_add_f64 v[10:11], v[25:26], -v[10:11]
	buffer_store_dword v13, off, s[0:3], 0 offset:644
	buffer_store_dword v12, off, s[0:3], 0 offset:640
	;; [unrolled: 1-line block ×4, first 2 shown]
	ds_read2_b64 v[10:13], v6 offset0:82 offset1:83
	s_waitcnt lgkmcnt(0)
	v_mul_f64 v[14:15], v[12:13], v[3:4]
	v_fma_f64 v[14:15], v[10:11], v[1:2], -v[14:15]
	v_mul_f64 v[10:11], v[10:11], v[3:4]
	v_fma_f64 v[10:11], v[12:13], v[1:2], v[10:11]
	buffer_load_dword v12, off, s[0:3], 0 offset:656
	buffer_load_dword v13, off, s[0:3], 0 offset:660
	;; [unrolled: 1-line block ×4, first 2 shown]
	s_waitcnt vmcnt(2)
	v_add_f64 v[12:13], v[12:13], -v[14:15]
	s_waitcnt vmcnt(0)
	v_add_f64 v[10:11], v[25:26], -v[10:11]
	buffer_store_dword v13, off, s[0:3], 0 offset:660
	buffer_store_dword v12, off, s[0:3], 0 offset:656
	;; [unrolled: 1-line block ×4, first 2 shown]
	ds_read2_b64 v[10:13], v6 offset0:84 offset1:85
	s_waitcnt lgkmcnt(0)
	v_mul_f64 v[14:15], v[12:13], v[3:4]
	v_mul_f64 v[3:4], v[10:11], v[3:4]
	v_fma_f64 v[14:15], v[10:11], v[1:2], -v[14:15]
	v_fma_f64 v[1:2], v[12:13], v[1:2], v[3:4]
	buffer_load_dword v3, off, s[0:3], 0 offset:672
	buffer_load_dword v4, off, s[0:3], 0 offset:676
	;; [unrolled: 1-line block ×4, first 2 shown]
	s_waitcnt vmcnt(2)
	v_add_f64 v[3:4], v[3:4], -v[14:15]
	s_waitcnt vmcnt(0)
	v_add_f64 v[1:2], v[10:11], -v[1:2]
	buffer_store_dword v4, off, s[0:3], 0 offset:676
	buffer_store_dword v3, off, s[0:3], 0 offset:672
	;; [unrolled: 1-line block ×4, first 2 shown]
	ds_read2_b64 v[10:13], v6 offset0:86 offset1:87
	buffer_load_dword v1, off, s[0:3], 0 offset:576
	buffer_load_dword v2, off, s[0:3], 0 offset:580
	;; [unrolled: 1-line block ×4, first 2 shown]
	s_waitcnt vmcnt(0) lgkmcnt(0)
	v_mul_f64 v[14:15], v[12:13], v[3:4]
	v_fma_f64 v[14:15], v[10:11], v[1:2], -v[14:15]
	v_mul_f64 v[10:11], v[10:11], v[3:4]
	v_fma_f64 v[10:11], v[12:13], v[1:2], v[10:11]
	buffer_load_dword v13, off, s[0:3], 0 offset:692
	buffer_load_dword v12, off, s[0:3], 0 offset:688
	s_waitcnt vmcnt(0)
	v_add_f64 v[12:13], v[12:13], -v[14:15]
	buffer_load_dword v15, off, s[0:3], 0 offset:700
	buffer_load_dword v14, off, s[0:3], 0 offset:696
	s_waitcnt vmcnt(0)
	v_add_f64 v[10:11], v[14:15], -v[10:11]
	buffer_store_dword v13, off, s[0:3], 0 offset:692
	buffer_store_dword v12, off, s[0:3], 0 offset:688
	buffer_store_dword v11, off, s[0:3], 0 offset:700
	buffer_store_dword v10, off, s[0:3], 0 offset:696
	ds_read2_b64 v[10:13], v6 offset0:88 offset1:89
	s_waitcnt lgkmcnt(0)
	v_mul_f64 v[14:15], v[12:13], v[3:4]
	v_fma_f64 v[14:15], v[10:11], v[1:2], -v[14:15]
	v_mul_f64 v[10:11], v[10:11], v[3:4]
	v_fma_f64 v[10:11], v[12:13], v[1:2], v[10:11]
	buffer_load_dword v12, off, s[0:3], 0 offset:704
	buffer_load_dword v13, off, s[0:3], 0 offset:708
	buffer_load_dword v25, off, s[0:3], 0 offset:712
	buffer_load_dword v26, off, s[0:3], 0 offset:716
	s_waitcnt vmcnt(2)
	v_add_f64 v[12:13], v[12:13], -v[14:15]
	s_waitcnt vmcnt(0)
	v_add_f64 v[10:11], v[25:26], -v[10:11]
	buffer_store_dword v13, off, s[0:3], 0 offset:708
	buffer_store_dword v12, off, s[0:3], 0 offset:704
	buffer_store_dword v11, off, s[0:3], 0 offset:716
	buffer_store_dword v10, off, s[0:3], 0 offset:712
	ds_read2_b64 v[10:13], v6 offset0:90 offset1:91
	s_waitcnt lgkmcnt(0)
	v_mul_f64 v[14:15], v[12:13], v[3:4]
	v_fma_f64 v[14:15], v[10:11], v[1:2], -v[14:15]
	v_mul_f64 v[10:11], v[10:11], v[3:4]
	v_fma_f64 v[10:11], v[12:13], v[1:2], v[10:11]
	buffer_load_dword v12, off, s[0:3], 0 offset:720
	buffer_load_dword v13, off, s[0:3], 0 offset:724
	buffer_load_dword v25, off, s[0:3], 0 offset:728
	buffer_load_dword v26, off, s[0:3], 0 offset:732
	s_waitcnt vmcnt(2)
	v_add_f64 v[12:13], v[12:13], -v[14:15]
	;; [unrolled: 18-line block ×4, first 2 shown]
	s_waitcnt vmcnt(0)
	v_add_f64 v[10:11], v[25:26], -v[10:11]
	buffer_store_dword v13, off, s[0:3], 0 offset:756
	buffer_store_dword v12, off, s[0:3], 0 offset:752
	;; [unrolled: 1-line block ×4, first 2 shown]
	ds_read2_b64 v[10:13], v6 offset0:96 offset1:97
	s_waitcnt lgkmcnt(0)
	v_mul_f64 v[14:15], v[12:13], v[3:4]
	v_mul_f64 v[3:4], v[10:11], v[3:4]
	v_fma_f64 v[14:15], v[10:11], v[1:2], -v[14:15]
	v_fma_f64 v[1:2], v[12:13], v[1:2], v[3:4]
	buffer_load_dword v3, off, s[0:3], 0 offset:768
	buffer_load_dword v4, off, s[0:3], 0 offset:772
	;; [unrolled: 1-line block ×4, first 2 shown]
	s_waitcnt vmcnt(2)
	v_add_f64 v[3:4], v[3:4], -v[14:15]
	s_waitcnt vmcnt(0)
	v_add_f64 v[1:2], v[10:11], -v[1:2]
	buffer_store_dword v4, off, s[0:3], 0 offset:772
	buffer_store_dword v3, off, s[0:3], 0 offset:768
	;; [unrolled: 1-line block ×4, first 2 shown]
	ds_read2_b64 v[10:13], v6 offset0:98 offset1:99
	buffer_load_dword v1, off, s[0:3], 0 offset:576
	buffer_load_dword v2, off, s[0:3], 0 offset:580
	;; [unrolled: 1-line block ×4, first 2 shown]
	s_waitcnt vmcnt(0) lgkmcnt(0)
	v_mul_f64 v[14:15], v[12:13], v[3:4]
	v_fma_f64 v[14:15], v[10:11], v[1:2], -v[14:15]
	v_mul_f64 v[10:11], v[10:11], v[3:4]
	v_fma_f64 v[10:11], v[12:13], v[1:2], v[10:11]
	buffer_load_dword v13, off, s[0:3], 0 offset:788
	buffer_load_dword v12, off, s[0:3], 0 offset:784
	s_waitcnt vmcnt(0)
	v_add_f64 v[12:13], v[12:13], -v[14:15]
	buffer_load_dword v15, off, s[0:3], 0 offset:796
	buffer_load_dword v14, off, s[0:3], 0 offset:792
	s_waitcnt vmcnt(0)
	v_add_f64 v[10:11], v[14:15], -v[10:11]
	buffer_store_dword v13, off, s[0:3], 0 offset:788
	buffer_store_dword v12, off, s[0:3], 0 offset:784
	buffer_store_dword v11, off, s[0:3], 0 offset:796
	buffer_store_dword v10, off, s[0:3], 0 offset:792
	ds_read2_b64 v[10:13], v6 offset0:100 offset1:101
	s_waitcnt lgkmcnt(0)
	v_mul_f64 v[14:15], v[12:13], v[3:4]
	v_fma_f64 v[14:15], v[10:11], v[1:2], -v[14:15]
	v_mul_f64 v[10:11], v[10:11], v[3:4]
	v_fma_f64 v[10:11], v[12:13], v[1:2], v[10:11]
	buffer_load_dword v12, off, s[0:3], 0 offset:800
	buffer_load_dword v13, off, s[0:3], 0 offset:804
	buffer_load_dword v25, off, s[0:3], 0 offset:808
	buffer_load_dword v26, off, s[0:3], 0 offset:812
	s_waitcnt vmcnt(2)
	v_add_f64 v[12:13], v[12:13], -v[14:15]
	s_waitcnt vmcnt(0)
	v_add_f64 v[10:11], v[25:26], -v[10:11]
	buffer_store_dword v13, off, s[0:3], 0 offset:804
	buffer_store_dword v12, off, s[0:3], 0 offset:800
	buffer_store_dword v11, off, s[0:3], 0 offset:812
	buffer_store_dword v10, off, s[0:3], 0 offset:808
	ds_read2_b64 v[10:13], v6 offset0:102 offset1:103
	s_waitcnt lgkmcnt(0)
	v_mul_f64 v[14:15], v[12:13], v[3:4]
	v_fma_f64 v[14:15], v[10:11], v[1:2], -v[14:15]
	v_mul_f64 v[10:11], v[10:11], v[3:4]
	v_fma_f64 v[10:11], v[12:13], v[1:2], v[10:11]
	buffer_load_dword v12, off, s[0:3], 0 offset:816
	buffer_load_dword v13, off, s[0:3], 0 offset:820
	buffer_load_dword v25, off, s[0:3], 0 offset:824
	buffer_load_dword v26, off, s[0:3], 0 offset:828
	s_waitcnt vmcnt(2)
	v_add_f64 v[12:13], v[12:13], -v[14:15]
	s_waitcnt vmcnt(0)
	v_add_f64 v[10:11], v[25:26], -v[10:11]
	buffer_store_dword v13, off, s[0:3], 0 offset:820
	buffer_store_dword v12, off, s[0:3], 0 offset:816
	buffer_store_dword v11, off, s[0:3], 0 offset:828
	buffer_store_dword v10, off, s[0:3], 0 offset:824
	ds_read2_b64 v[10:13], v6 offset0:104 offset1:105
	s_waitcnt lgkmcnt(0)
	v_mul_f64 v[14:15], v[12:13], v[3:4]
	v_fma_f64 v[14:15], v[10:11], v[1:2], -v[14:15]
	v_mul_f64 v[10:11], v[10:11], v[3:4]
	v_fma_f64 v[10:11], v[12:13], v[1:2], v[10:11]
	buffer_load_dword v12, off, s[0:3], 0 offset:832
	buffer_load_dword v13, off, s[0:3], 0 offset:836
	buffer_load_dword v25, off, s[0:3], 0 offset:840
	buffer_load_dword v26, off, s[0:3], 0 offset:844
	s_waitcnt vmcnt(2)
	v_add_f64 v[12:13], v[12:13], -v[14:15]
	s_waitcnt vmcnt(0)
	v_add_f64 v[10:11], v[25:26], -v[10:11]
	buffer_store_dword v13, off, s[0:3], 0 offset:836
	buffer_store_dword v12, off, s[0:3], 0 offset:832
	buffer_store_dword v11, off, s[0:3], 0 offset:844
	buffer_store_dword v10, off, s[0:3], 0 offset:840
	ds_read2_b64 v[10:13], v6 offset0:106 offset1:107
	s_waitcnt lgkmcnt(0)
	v_mul_f64 v[14:15], v[12:13], v[3:4]
	v_fma_f64 v[14:15], v[10:11], v[1:2], -v[14:15]
	v_mul_f64 v[10:11], v[10:11], v[3:4]
	v_fma_f64 v[10:11], v[12:13], v[1:2], v[10:11]
	buffer_load_dword v12, off, s[0:3], 0 offset:848
	buffer_load_dword v13, off, s[0:3], 0 offset:852
	buffer_load_dword v25, off, s[0:3], 0 offset:856
	buffer_load_dword v26, off, s[0:3], 0 offset:860
	s_waitcnt vmcnt(2)
	v_add_f64 v[12:13], v[12:13], -v[14:15]
	s_waitcnt vmcnt(0)
	v_add_f64 v[10:11], v[25:26], -v[10:11]
	buffer_store_dword v13, off, s[0:3], 0 offset:852
	buffer_store_dword v12, off, s[0:3], 0 offset:848
	;; [unrolled: 1-line block ×4, first 2 shown]
	ds_read2_b64 v[10:13], v6 offset0:108 offset1:109
	s_waitcnt lgkmcnt(0)
	v_mul_f64 v[14:15], v[12:13], v[3:4]
	v_mul_f64 v[3:4], v[10:11], v[3:4]
	v_fma_f64 v[14:15], v[10:11], v[1:2], -v[14:15]
	v_fma_f64 v[1:2], v[12:13], v[1:2], v[3:4]
	buffer_load_dword v3, off, s[0:3], 0 offset:864
	buffer_load_dword v4, off, s[0:3], 0 offset:868
	;; [unrolled: 1-line block ×4, first 2 shown]
	s_waitcnt vmcnt(2)
	v_add_f64 v[3:4], v[3:4], -v[14:15]
	s_waitcnt vmcnt(0)
	v_add_f64 v[1:2], v[10:11], -v[1:2]
	buffer_store_dword v4, off, s[0:3], 0 offset:868
	buffer_store_dword v3, off, s[0:3], 0 offset:864
	;; [unrolled: 1-line block ×4, first 2 shown]
	ds_read2_b64 v[1:4], v6 offset0:110 offset1:111
	buffer_load_dword v10, off, s[0:3], 0 offset:576
	buffer_load_dword v11, off, s[0:3], 0 offset:580
	;; [unrolled: 1-line block ×4, first 2 shown]
	s_waitcnt vmcnt(0) lgkmcnt(0)
	v_mul_f64 v[14:15], v[3:4], v[12:13]
	v_fma_f64 v[14:15], v[1:2], v[10:11], -v[14:15]
	v_mul_f64 v[1:2], v[1:2], v[12:13]
	v_fma_f64 v[1:2], v[3:4], v[10:11], v[1:2]
	buffer_load_dword v4, off, s[0:3], 0 offset:884
	buffer_load_dword v3, off, s[0:3], 0 offset:880
	s_waitcnt vmcnt(0)
	v_add_f64 v[3:4], v[3:4], -v[14:15]
	buffer_load_dword v15, off, s[0:3], 0 offset:892
	buffer_load_dword v14, off, s[0:3], 0 offset:888
	s_waitcnt vmcnt(0)
	v_add_f64 v[1:2], v[14:15], -v[1:2]
	buffer_store_dword v4, off, s[0:3], 0 offset:884
	buffer_store_dword v3, off, s[0:3], 0 offset:880
	buffer_store_dword v2, off, s[0:3], 0 offset:892
	buffer_store_dword v1, off, s[0:3], 0 offset:888
	ds_read2_b64 v[1:4], v6 offset0:112 offset1:113
	s_waitcnt lgkmcnt(0)
	v_mul_f64 v[14:15], v[3:4], v[12:13]
	v_fma_f64 v[14:15], v[1:2], v[10:11], -v[14:15]
	v_mul_f64 v[1:2], v[1:2], v[12:13]
	v_fma_f64 v[1:2], v[3:4], v[10:11], v[1:2]
	buffer_load_dword v3, off, s[0:3], 0 offset:896
	buffer_load_dword v4, off, s[0:3], 0 offset:900
	buffer_load_dword v25, off, s[0:3], 0 offset:904
	buffer_load_dword v26, off, s[0:3], 0 offset:908
	s_waitcnt vmcnt(2)
	v_add_f64 v[3:4], v[3:4], -v[14:15]
	s_waitcnt vmcnt(0)
	v_add_f64 v[1:2], v[25:26], -v[1:2]
	buffer_store_dword v4, off, s[0:3], 0 offset:900
	buffer_store_dword v3, off, s[0:3], 0 offset:896
	buffer_store_dword v2, off, s[0:3], 0 offset:908
	buffer_store_dword v1, off, s[0:3], 0 offset:904
	ds_read2_b64 v[1:4], v6 offset0:114 offset1:115
	s_waitcnt lgkmcnt(0)
	v_mul_f64 v[14:15], v[3:4], v[12:13]
	v_fma_f64 v[14:15], v[1:2], v[10:11], -v[14:15]
	v_mul_f64 v[1:2], v[1:2], v[12:13]
	v_fma_f64 v[1:2], v[3:4], v[10:11], v[1:2]
	buffer_load_dword v3, off, s[0:3], 0 offset:912
	buffer_load_dword v4, off, s[0:3], 0 offset:916
	buffer_load_dword v25, off, s[0:3], 0 offset:920
	buffer_load_dword v26, off, s[0:3], 0 offset:924
	s_waitcnt vmcnt(2)
	v_add_f64 v[3:4], v[3:4], -v[14:15]
	;; [unrolled: 18-line block ×5, first 2 shown]
	s_waitcnt vmcnt(0)
	v_add_f64 v[1:2], v[10:11], -v[1:2]
	buffer_store_dword v4, off, s[0:3], 0 offset:964
	buffer_store_dword v3, off, s[0:3], 0 offset:960
	;; [unrolled: 1-line block ×4, first 2 shown]
	ds_read2_b64 v[1:4], v6 offset0:122 offset1:123
	buffer_load_dword v25, off, s[0:3], 0 offset:576
	buffer_load_dword v26, off, s[0:3], 0 offset:580
	;; [unrolled: 1-line block ×4, first 2 shown]
	s_waitcnt vmcnt(0) lgkmcnt(0)
	v_mul_f64 v[10:11], v[3:4], v[27:28]
	v_fma_f64 v[29:30], v[1:2], v[25:26], -v[10:11]
	v_mul_f64 v[1:2], v[1:2], v[27:28]
	v_fma_f64 v[1:2], v[3:4], v[25:26], v[1:2]
	buffer_load_dword v4, off, s[0:3], 0 offset:980
	buffer_load_dword v3, off, s[0:3], 0 offset:976
	;; [unrolled: 1-line block ×4, first 2 shown]
	s_waitcnt vmcnt(2)
	v_add_f64 v[3:4], v[3:4], -v[29:30]
	s_waitcnt vmcnt(0)
	v_add_f64 v[1:2], v[10:11], -v[1:2]
	buffer_store_dword v4, off, s[0:3], 0 offset:980
	buffer_store_dword v3, off, s[0:3], 0 offset:976
	;; [unrolled: 1-line block ×4, first 2 shown]
	ds_read2_b64 v[10:13], v6 offset0:124 offset1:125
	s_waitcnt lgkmcnt(0)
	v_mul_f64 v[1:2], v[12:13], v[27:28]
	v_fma_f64 v[3:4], v[10:11], v[25:26], -v[1:2]
	v_mul_f64 v[1:2], v[10:11], v[27:28]
	v_fma_f64 v[1:2], v[12:13], v[25:26], v[1:2]
	buffer_load_dword v10, off, s[0:3], 0 offset:992
	buffer_load_dword v11, off, s[0:3], 0 offset:996
	;; [unrolled: 1-line block ×4, first 2 shown]
	s_waitcnt vmcnt(2)
	v_add_f64 v[3:4], v[10:11], -v[3:4]
	s_waitcnt vmcnt(0)
	v_add_f64 v[1:2], v[12:13], -v[1:2]
	buffer_store_dword v4, off, s[0:3], 0 offset:996
	buffer_store_dword v3, off, s[0:3], 0 offset:992
	;; [unrolled: 1-line block ×4, first 2 shown]
.LBB125_449:
	s_or_b64 exec, exec, s[6:7]
	v_cmp_eq_u32_e32 vcc, 37, v0
	s_waitcnt vmcnt(0) lgkmcnt(0)
	s_barrier
	s_and_saveexec_b64 s[8:9], vcc
	s_cbranch_execz .LBB125_456
; %bb.450:
	v_mov_b32_e32 v4, s41
	buffer_load_dword v1, v4, s[0:3], 0 offen
	buffer_load_dword v2, v4, s[0:3], 0 offen offset:4
	buffer_load_dword v3, v4, s[0:3], 0 offen offset:8
	s_nop 0
	buffer_load_dword v4, v4, s[0:3], 0 offen offset:12
	s_waitcnt vmcnt(0)
	ds_write2_b64 v125, v[1:2], v[3:4] offset1:1
	v_mov_b32_e32 v4, s40
	buffer_load_dword v1, v4, s[0:3], 0 offen
	buffer_load_dword v2, v4, s[0:3], 0 offen offset:4
	buffer_load_dword v3, v4, s[0:3], 0 offen offset:8
	s_nop 0
	buffer_load_dword v4, v4, s[0:3], 0 offen offset:12
	s_waitcnt vmcnt(0)
	ds_write2_b64 v6, v[1:2], v[3:4] offset0:76 offset1:77
	v_mov_b32_e32 v4, s39
	buffer_load_dword v1, v4, s[0:3], 0 offen
	buffer_load_dword v2, v4, s[0:3], 0 offen offset:4
	buffer_load_dword v3, v4, s[0:3], 0 offen offset:8
	s_nop 0
	buffer_load_dword v4, v4, s[0:3], 0 offen offset:12
	s_waitcnt vmcnt(0)
	ds_write2_b64 v6, v[1:2], v[3:4] offset0:78 offset1:79
	;; [unrolled: 8-line block ×25, first 2 shown]
	ds_read2_b64 v[1:4], v125 offset1:1
	s_waitcnt lgkmcnt(0)
	v_cmp_neq_f64_e32 vcc, 0, v[1:2]
	v_cmp_neq_f64_e64 s[6:7], 0, v[3:4]
	s_or_b64 s[6:7], vcc, s[6:7]
	s_and_b64 exec, exec, s[6:7]
	s_cbranch_execz .LBB125_456
; %bb.451:
	v_cmp_ngt_f64_e64 s[6:7], |v[1:2]|, |v[3:4]|
                                        ; implicit-def: $vgpr10_vgpr11
	s_and_saveexec_b64 s[10:11], s[6:7]
	s_xor_b64 s[6:7], exec, s[10:11]
                                        ; implicit-def: $vgpr12_vgpr13
	s_cbranch_execz .LBB125_453
; %bb.452:
	v_div_scale_f64 v[10:11], s[10:11], v[3:4], v[3:4], v[1:2]
	v_rcp_f64_e32 v[12:13], v[10:11]
	v_fma_f64 v[14:15], -v[10:11], v[12:13], 1.0
	v_fma_f64 v[12:13], v[12:13], v[14:15], v[12:13]
	v_div_scale_f64 v[14:15], vcc, v[1:2], v[3:4], v[1:2]
	v_fma_f64 v[25:26], -v[10:11], v[12:13], 1.0
	v_fma_f64 v[12:13], v[12:13], v[25:26], v[12:13]
	v_mul_f64 v[25:26], v[14:15], v[12:13]
	v_fma_f64 v[10:11], -v[10:11], v[25:26], v[14:15]
	v_div_fmas_f64 v[10:11], v[10:11], v[12:13], v[25:26]
	v_div_fixup_f64 v[10:11], v[10:11], v[3:4], v[1:2]
	v_fma_f64 v[1:2], v[1:2], v[10:11], v[3:4]
	v_div_scale_f64 v[3:4], s[10:11], v[1:2], v[1:2], 1.0
	v_div_scale_f64 v[25:26], vcc, 1.0, v[1:2], 1.0
	v_rcp_f64_e32 v[12:13], v[3:4]
	v_fma_f64 v[14:15], -v[3:4], v[12:13], 1.0
	v_fma_f64 v[12:13], v[12:13], v[14:15], v[12:13]
	v_fma_f64 v[14:15], -v[3:4], v[12:13], 1.0
	v_fma_f64 v[12:13], v[12:13], v[14:15], v[12:13]
	v_mul_f64 v[14:15], v[25:26], v[12:13]
	v_fma_f64 v[3:4], -v[3:4], v[14:15], v[25:26]
	v_div_fmas_f64 v[3:4], v[3:4], v[12:13], v[14:15]
	v_div_fixup_f64 v[12:13], v[3:4], v[1:2], 1.0
                                        ; implicit-def: $vgpr1_vgpr2
	v_mul_f64 v[10:11], v[10:11], v[12:13]
	v_xor_b32_e32 v13, 0x80000000, v13
.LBB125_453:
	s_andn2_saveexec_b64 s[6:7], s[6:7]
	s_cbranch_execz .LBB125_455
; %bb.454:
	v_div_scale_f64 v[10:11], s[10:11], v[1:2], v[1:2], v[3:4]
	v_rcp_f64_e32 v[12:13], v[10:11]
	v_fma_f64 v[14:15], -v[10:11], v[12:13], 1.0
	v_fma_f64 v[12:13], v[12:13], v[14:15], v[12:13]
	v_div_scale_f64 v[14:15], vcc, v[3:4], v[1:2], v[3:4]
	v_fma_f64 v[25:26], -v[10:11], v[12:13], 1.0
	v_fma_f64 v[12:13], v[12:13], v[25:26], v[12:13]
	v_mul_f64 v[25:26], v[14:15], v[12:13]
	v_fma_f64 v[10:11], -v[10:11], v[25:26], v[14:15]
	v_div_fmas_f64 v[10:11], v[10:11], v[12:13], v[25:26]
	v_div_fixup_f64 v[12:13], v[10:11], v[1:2], v[3:4]
	v_fma_f64 v[1:2], v[3:4], v[12:13], v[1:2]
	v_div_scale_f64 v[3:4], s[10:11], v[1:2], v[1:2], 1.0
	v_div_scale_f64 v[25:26], vcc, 1.0, v[1:2], 1.0
	v_rcp_f64_e32 v[10:11], v[3:4]
	v_fma_f64 v[14:15], -v[3:4], v[10:11], 1.0
	v_fma_f64 v[10:11], v[10:11], v[14:15], v[10:11]
	v_fma_f64 v[14:15], -v[3:4], v[10:11], 1.0
	v_fma_f64 v[10:11], v[10:11], v[14:15], v[10:11]
	v_mul_f64 v[14:15], v[25:26], v[10:11]
	v_fma_f64 v[3:4], -v[3:4], v[14:15], v[25:26]
	v_div_fmas_f64 v[3:4], v[3:4], v[10:11], v[14:15]
	v_div_fixup_f64 v[10:11], v[3:4], v[1:2], 1.0
	v_mul_f64 v[12:13], v[12:13], -v[10:11]
.LBB125_455:
	s_or_b64 exec, exec, s[6:7]
	ds_write2_b64 v125, v[10:11], v[12:13] offset1:1
.LBB125_456:
	s_or_b64 exec, exec, s[8:9]
	s_waitcnt lgkmcnt(0)
	s_barrier
	ds_read2_b64 v[25:28], v125 offset1:1
	v_cmp_lt_u32_e32 vcc, 37, v0
	s_and_saveexec_b64 s[6:7], vcc
	s_cbranch_execz .LBB125_458
; %bb.457:
	buffer_load_dword v3, off, s[0:3], 0 offset:592
	buffer_load_dword v4, off, s[0:3], 0 offset:596
	buffer_load_dword v10, off, s[0:3], 0 offset:600
	buffer_load_dword v11, off, s[0:3], 0 offset:604
	buffer_load_dword v14, off, s[0:3], 0 offset:608
	buffer_load_dword v15, off, s[0:3], 0 offset:612
	buffer_load_dword v29, off, s[0:3], 0 offset:616
	buffer_load_dword v30, off, s[0:3], 0 offset:620
	buffer_load_dword v31, off, s[0:3], 0 offset:624
	buffer_load_dword v32, off, s[0:3], 0 offset:628
	buffer_load_dword v33, off, s[0:3], 0 offset:632
	buffer_load_dword v34, off, s[0:3], 0 offset:636
	buffer_load_dword v35, off, s[0:3], 0 offset:640
	buffer_load_dword v36, off, s[0:3], 0 offset:644
	buffer_load_dword v37, off, s[0:3], 0 offset:648
	buffer_load_dword v38, off, s[0:3], 0 offset:652
	s_waitcnt vmcnt(12) lgkmcnt(0)
	v_mul_f64 v[1:2], v[27:28], v[10:11]
	v_mul_f64 v[10:11], v[25:26], v[10:11]
	v_fma_f64 v[1:2], v[25:26], v[3:4], -v[1:2]
	v_fma_f64 v[3:4], v[27:28], v[3:4], v[10:11]
	buffer_store_dword v1, off, s[0:3], 0 offset:592
	buffer_store_dword v2, off, s[0:3], 0 offset:596
	buffer_store_dword v3, off, s[0:3], 0 offset:600
	buffer_store_dword v4, off, s[0:3], 0 offset:604
	ds_read2_b64 v[10:13], v6 offset0:76 offset1:77
	s_waitcnt lgkmcnt(0)
	v_mul_f64 v[39:40], v[12:13], v[3:4]
	v_fma_f64 v[39:40], v[10:11], v[1:2], -v[39:40]
	v_mul_f64 v[10:11], v[10:11], v[3:4]
	v_fma_f64 v[10:11], v[12:13], v[1:2], v[10:11]
	s_waitcnt vmcnt(14)
	v_add_f64 v[12:13], v[14:15], -v[39:40]
	s_waitcnt vmcnt(12)
	v_add_f64 v[10:11], v[29:30], -v[10:11]
	buffer_store_dword v12, off, s[0:3], 0 offset:608
	buffer_store_dword v13, off, s[0:3], 0 offset:612
	buffer_store_dword v10, off, s[0:3], 0 offset:616
	buffer_store_dword v11, off, s[0:3], 0 offset:620
	ds_read2_b64 v[10:13], v6 offset0:78 offset1:79
	s_waitcnt lgkmcnt(0)
	v_mul_f64 v[14:15], v[12:13], v[3:4]
	v_fma_f64 v[14:15], v[10:11], v[1:2], -v[14:15]
	v_mul_f64 v[10:11], v[10:11], v[3:4]
	v_fma_f64 v[10:11], v[12:13], v[1:2], v[10:11]
	s_waitcnt vmcnt(14)
	v_add_f64 v[12:13], v[31:32], -v[14:15]
	s_waitcnt vmcnt(12)
	v_add_f64 v[10:11], v[33:34], -v[10:11]
	;; [unrolled: 14-line block ×3, first 2 shown]
	buffer_store_dword v13, off, s[0:3], 0 offset:644
	buffer_store_dword v12, off, s[0:3], 0 offset:640
	;; [unrolled: 1-line block ×4, first 2 shown]
	ds_read2_b64 v[10:13], v6 offset0:82 offset1:83
	s_waitcnt lgkmcnt(0)
	v_mul_f64 v[14:15], v[12:13], v[3:4]
	v_fma_f64 v[14:15], v[10:11], v[1:2], -v[14:15]
	v_mul_f64 v[10:11], v[10:11], v[3:4]
	v_fma_f64 v[10:11], v[12:13], v[1:2], v[10:11]
	buffer_load_dword v12, off, s[0:3], 0 offset:656
	buffer_load_dword v13, off, s[0:3], 0 offset:660
	buffer_load_dword v29, off, s[0:3], 0 offset:664
	buffer_load_dword v30, off, s[0:3], 0 offset:668
	s_waitcnt vmcnt(2)
	v_add_f64 v[12:13], v[12:13], -v[14:15]
	s_waitcnt vmcnt(0)
	v_add_f64 v[10:11], v[29:30], -v[10:11]
	buffer_store_dword v13, off, s[0:3], 0 offset:660
	buffer_store_dword v12, off, s[0:3], 0 offset:656
	;; [unrolled: 1-line block ×4, first 2 shown]
	ds_read2_b64 v[10:13], v6 offset0:84 offset1:85
	s_waitcnt lgkmcnt(0)
	v_mul_f64 v[14:15], v[12:13], v[3:4]
	v_fma_f64 v[14:15], v[10:11], v[1:2], -v[14:15]
	v_mul_f64 v[10:11], v[10:11], v[3:4]
	v_fma_f64 v[10:11], v[12:13], v[1:2], v[10:11]
	buffer_load_dword v12, off, s[0:3], 0 offset:672
	buffer_load_dword v13, off, s[0:3], 0 offset:676
	;; [unrolled: 1-line block ×4, first 2 shown]
	s_waitcnt vmcnt(2)
	v_add_f64 v[12:13], v[12:13], -v[14:15]
	s_waitcnt vmcnt(0)
	v_add_f64 v[10:11], v[29:30], -v[10:11]
	buffer_store_dword v13, off, s[0:3], 0 offset:676
	buffer_store_dword v12, off, s[0:3], 0 offset:672
	buffer_store_dword v11, off, s[0:3], 0 offset:684
	buffer_store_dword v10, off, s[0:3], 0 offset:680
	ds_read2_b64 v[10:13], v6 offset0:86 offset1:87
	s_waitcnt lgkmcnt(0)
	v_mul_f64 v[14:15], v[12:13], v[3:4]
	v_mul_f64 v[3:4], v[10:11], v[3:4]
	v_fma_f64 v[14:15], v[10:11], v[1:2], -v[14:15]
	v_fma_f64 v[1:2], v[12:13], v[1:2], v[3:4]
	buffer_load_dword v3, off, s[0:3], 0 offset:688
	buffer_load_dword v4, off, s[0:3], 0 offset:692
	;; [unrolled: 1-line block ×4, first 2 shown]
	s_waitcnt vmcnt(2)
	v_add_f64 v[3:4], v[3:4], -v[14:15]
	s_waitcnt vmcnt(0)
	v_add_f64 v[1:2], v[10:11], -v[1:2]
	buffer_store_dword v4, off, s[0:3], 0 offset:692
	buffer_store_dword v3, off, s[0:3], 0 offset:688
	;; [unrolled: 1-line block ×4, first 2 shown]
	ds_read2_b64 v[10:13], v6 offset0:88 offset1:89
	buffer_load_dword v1, off, s[0:3], 0 offset:592
	buffer_load_dword v2, off, s[0:3], 0 offset:596
	;; [unrolled: 1-line block ×4, first 2 shown]
	s_waitcnt vmcnt(0) lgkmcnt(0)
	v_mul_f64 v[14:15], v[12:13], v[3:4]
	v_fma_f64 v[14:15], v[10:11], v[1:2], -v[14:15]
	v_mul_f64 v[10:11], v[10:11], v[3:4]
	v_fma_f64 v[10:11], v[12:13], v[1:2], v[10:11]
	buffer_load_dword v13, off, s[0:3], 0 offset:708
	buffer_load_dword v12, off, s[0:3], 0 offset:704
	s_waitcnt vmcnt(0)
	v_add_f64 v[12:13], v[12:13], -v[14:15]
	buffer_load_dword v15, off, s[0:3], 0 offset:716
	buffer_load_dword v14, off, s[0:3], 0 offset:712
	s_waitcnt vmcnt(0)
	v_add_f64 v[10:11], v[14:15], -v[10:11]
	buffer_store_dword v13, off, s[0:3], 0 offset:708
	buffer_store_dword v12, off, s[0:3], 0 offset:704
	buffer_store_dword v11, off, s[0:3], 0 offset:716
	buffer_store_dword v10, off, s[0:3], 0 offset:712
	ds_read2_b64 v[10:13], v6 offset0:90 offset1:91
	s_waitcnt lgkmcnt(0)
	v_mul_f64 v[14:15], v[12:13], v[3:4]
	v_fma_f64 v[14:15], v[10:11], v[1:2], -v[14:15]
	v_mul_f64 v[10:11], v[10:11], v[3:4]
	v_fma_f64 v[10:11], v[12:13], v[1:2], v[10:11]
	buffer_load_dword v12, off, s[0:3], 0 offset:720
	buffer_load_dword v13, off, s[0:3], 0 offset:724
	buffer_load_dword v29, off, s[0:3], 0 offset:728
	buffer_load_dword v30, off, s[0:3], 0 offset:732
	s_waitcnt vmcnt(2)
	v_add_f64 v[12:13], v[12:13], -v[14:15]
	s_waitcnt vmcnt(0)
	v_add_f64 v[10:11], v[29:30], -v[10:11]
	buffer_store_dword v13, off, s[0:3], 0 offset:724
	buffer_store_dword v12, off, s[0:3], 0 offset:720
	buffer_store_dword v11, off, s[0:3], 0 offset:732
	buffer_store_dword v10, off, s[0:3], 0 offset:728
	ds_read2_b64 v[10:13], v6 offset0:92 offset1:93
	s_waitcnt lgkmcnt(0)
	v_mul_f64 v[14:15], v[12:13], v[3:4]
	v_fma_f64 v[14:15], v[10:11], v[1:2], -v[14:15]
	v_mul_f64 v[10:11], v[10:11], v[3:4]
	v_fma_f64 v[10:11], v[12:13], v[1:2], v[10:11]
	buffer_load_dword v12, off, s[0:3], 0 offset:736
	buffer_load_dword v13, off, s[0:3], 0 offset:740
	buffer_load_dword v29, off, s[0:3], 0 offset:744
	buffer_load_dword v30, off, s[0:3], 0 offset:748
	s_waitcnt vmcnt(2)
	v_add_f64 v[12:13], v[12:13], -v[14:15]
	;; [unrolled: 18-line block ×4, first 2 shown]
	s_waitcnt vmcnt(0)
	v_add_f64 v[10:11], v[29:30], -v[10:11]
	buffer_store_dword v13, off, s[0:3], 0 offset:772
	buffer_store_dword v12, off, s[0:3], 0 offset:768
	;; [unrolled: 1-line block ×4, first 2 shown]
	ds_read2_b64 v[10:13], v6 offset0:98 offset1:99
	s_waitcnt lgkmcnt(0)
	v_mul_f64 v[14:15], v[12:13], v[3:4]
	v_mul_f64 v[3:4], v[10:11], v[3:4]
	v_fma_f64 v[14:15], v[10:11], v[1:2], -v[14:15]
	v_fma_f64 v[1:2], v[12:13], v[1:2], v[3:4]
	buffer_load_dword v3, off, s[0:3], 0 offset:784
	buffer_load_dword v4, off, s[0:3], 0 offset:788
	;; [unrolled: 1-line block ×4, first 2 shown]
	s_waitcnt vmcnt(2)
	v_add_f64 v[3:4], v[3:4], -v[14:15]
	s_waitcnt vmcnt(0)
	v_add_f64 v[1:2], v[10:11], -v[1:2]
	buffer_store_dword v4, off, s[0:3], 0 offset:788
	buffer_store_dword v3, off, s[0:3], 0 offset:784
	;; [unrolled: 1-line block ×4, first 2 shown]
	ds_read2_b64 v[1:4], v6 offset0:100 offset1:101
	buffer_load_dword v10, off, s[0:3], 0 offset:592
	buffer_load_dword v11, off, s[0:3], 0 offset:596
	;; [unrolled: 1-line block ×4, first 2 shown]
	s_waitcnt vmcnt(0) lgkmcnt(0)
	v_mul_f64 v[14:15], v[3:4], v[12:13]
	v_fma_f64 v[14:15], v[1:2], v[10:11], -v[14:15]
	v_mul_f64 v[1:2], v[1:2], v[12:13]
	v_fma_f64 v[1:2], v[3:4], v[10:11], v[1:2]
	buffer_load_dword v4, off, s[0:3], 0 offset:804
	buffer_load_dword v3, off, s[0:3], 0 offset:800
	s_waitcnt vmcnt(0)
	v_add_f64 v[3:4], v[3:4], -v[14:15]
	buffer_load_dword v15, off, s[0:3], 0 offset:812
	buffer_load_dword v14, off, s[0:3], 0 offset:808
	s_waitcnt vmcnt(0)
	v_add_f64 v[1:2], v[14:15], -v[1:2]
	buffer_store_dword v4, off, s[0:3], 0 offset:804
	buffer_store_dword v3, off, s[0:3], 0 offset:800
	buffer_store_dword v2, off, s[0:3], 0 offset:812
	buffer_store_dword v1, off, s[0:3], 0 offset:808
	ds_read2_b64 v[1:4], v6 offset0:102 offset1:103
	s_waitcnt lgkmcnt(0)
	v_mul_f64 v[14:15], v[3:4], v[12:13]
	v_fma_f64 v[14:15], v[1:2], v[10:11], -v[14:15]
	v_mul_f64 v[1:2], v[1:2], v[12:13]
	v_fma_f64 v[1:2], v[3:4], v[10:11], v[1:2]
	buffer_load_dword v3, off, s[0:3], 0 offset:816
	buffer_load_dword v4, off, s[0:3], 0 offset:820
	buffer_load_dword v29, off, s[0:3], 0 offset:824
	buffer_load_dword v30, off, s[0:3], 0 offset:828
	s_waitcnt vmcnt(2)
	v_add_f64 v[3:4], v[3:4], -v[14:15]
	s_waitcnt vmcnt(0)
	v_add_f64 v[1:2], v[29:30], -v[1:2]
	buffer_store_dword v4, off, s[0:3], 0 offset:820
	buffer_store_dword v3, off, s[0:3], 0 offset:816
	buffer_store_dword v2, off, s[0:3], 0 offset:828
	buffer_store_dword v1, off, s[0:3], 0 offset:824
	ds_read2_b64 v[1:4], v6 offset0:104 offset1:105
	s_waitcnt lgkmcnt(0)
	v_mul_f64 v[14:15], v[3:4], v[12:13]
	v_fma_f64 v[14:15], v[1:2], v[10:11], -v[14:15]
	v_mul_f64 v[1:2], v[1:2], v[12:13]
	v_fma_f64 v[1:2], v[3:4], v[10:11], v[1:2]
	buffer_load_dword v3, off, s[0:3], 0 offset:832
	buffer_load_dword v4, off, s[0:3], 0 offset:836
	buffer_load_dword v29, off, s[0:3], 0 offset:840
	buffer_load_dword v30, off, s[0:3], 0 offset:844
	s_waitcnt vmcnt(2)
	v_add_f64 v[3:4], v[3:4], -v[14:15]
	;; [unrolled: 18-line block ×5, first 2 shown]
	s_waitcnt vmcnt(0)
	v_add_f64 v[1:2], v[10:11], -v[1:2]
	buffer_store_dword v4, off, s[0:3], 0 offset:884
	buffer_store_dword v3, off, s[0:3], 0 offset:880
	;; [unrolled: 1-line block ×4, first 2 shown]
	ds_read2_b64 v[1:4], v6 offset0:112 offset1:113
	buffer_load_dword v10, off, s[0:3], 0 offset:592
	buffer_load_dword v11, off, s[0:3], 0 offset:596
	;; [unrolled: 1-line block ×4, first 2 shown]
	s_waitcnt vmcnt(0) lgkmcnt(0)
	v_mul_f64 v[14:15], v[3:4], v[12:13]
	v_fma_f64 v[14:15], v[1:2], v[10:11], -v[14:15]
	v_mul_f64 v[1:2], v[1:2], v[12:13]
	v_fma_f64 v[1:2], v[3:4], v[10:11], v[1:2]
	buffer_load_dword v4, off, s[0:3], 0 offset:900
	buffer_load_dword v3, off, s[0:3], 0 offset:896
	s_waitcnt vmcnt(0)
	v_add_f64 v[3:4], v[3:4], -v[14:15]
	buffer_load_dword v15, off, s[0:3], 0 offset:908
	buffer_load_dword v14, off, s[0:3], 0 offset:904
	s_waitcnt vmcnt(0)
	v_add_f64 v[1:2], v[14:15], -v[1:2]
	buffer_store_dword v4, off, s[0:3], 0 offset:900
	buffer_store_dword v3, off, s[0:3], 0 offset:896
	buffer_store_dword v2, off, s[0:3], 0 offset:908
	buffer_store_dword v1, off, s[0:3], 0 offset:904
	ds_read2_b64 v[1:4], v6 offset0:114 offset1:115
	s_waitcnt lgkmcnt(0)
	v_mul_f64 v[14:15], v[3:4], v[12:13]
	v_fma_f64 v[14:15], v[1:2], v[10:11], -v[14:15]
	v_mul_f64 v[1:2], v[1:2], v[12:13]
	v_fma_f64 v[1:2], v[3:4], v[10:11], v[1:2]
	buffer_load_dword v3, off, s[0:3], 0 offset:912
	buffer_load_dword v4, off, s[0:3], 0 offset:916
	buffer_load_dword v29, off, s[0:3], 0 offset:920
	buffer_load_dword v30, off, s[0:3], 0 offset:924
	s_waitcnt vmcnt(2)
	v_add_f64 v[3:4], v[3:4], -v[14:15]
	s_waitcnt vmcnt(0)
	v_add_f64 v[1:2], v[29:30], -v[1:2]
	buffer_store_dword v4, off, s[0:3], 0 offset:916
	buffer_store_dword v3, off, s[0:3], 0 offset:912
	buffer_store_dword v2, off, s[0:3], 0 offset:924
	buffer_store_dword v1, off, s[0:3], 0 offset:920
	ds_read2_b64 v[1:4], v6 offset0:116 offset1:117
	s_waitcnt lgkmcnt(0)
	v_mul_f64 v[14:15], v[3:4], v[12:13]
	v_fma_f64 v[14:15], v[1:2], v[10:11], -v[14:15]
	v_mul_f64 v[1:2], v[1:2], v[12:13]
	v_fma_f64 v[1:2], v[3:4], v[10:11], v[1:2]
	buffer_load_dword v3, off, s[0:3], 0 offset:928
	buffer_load_dword v4, off, s[0:3], 0 offset:932
	buffer_load_dword v29, off, s[0:3], 0 offset:936
	buffer_load_dword v30, off, s[0:3], 0 offset:940
	s_waitcnt vmcnt(2)
	v_add_f64 v[3:4], v[3:4], -v[14:15]
	;; [unrolled: 18-line block ×5, first 2 shown]
	s_waitcnt vmcnt(0)
	v_add_f64 v[1:2], v[10:11], -v[1:2]
	buffer_store_dword v4, off, s[0:3], 0 offset:980
	buffer_store_dword v3, off, s[0:3], 0 offset:976
	;; [unrolled: 1-line block ×4, first 2 shown]
	ds_read2_b64 v[1:4], v6 offset0:124 offset1:125
	buffer_load_dword v29, off, s[0:3], 0 offset:592
	buffer_load_dword v30, off, s[0:3], 0 offset:596
	;; [unrolled: 1-line block ×4, first 2 shown]
	s_waitcnt vmcnt(0) lgkmcnt(0)
	v_mul_f64 v[12:13], v[3:4], v[10:11]
	v_fma_f64 v[31:32], v[1:2], v[29:30], -v[12:13]
	v_mul_f64 v[1:2], v[1:2], v[10:11]
	v_fma_f64 v[1:2], v[3:4], v[29:30], v[1:2]
	buffer_load_dword v4, off, s[0:3], 0 offset:996
	buffer_load_dword v3, off, s[0:3], 0 offset:992
	;; [unrolled: 1-line block ×4, first 2 shown]
	s_waitcnt vmcnt(2)
	v_add_f64 v[3:4], v[3:4], -v[31:32]
	s_waitcnt vmcnt(0)
	v_add_f64 v[1:2], v[10:11], -v[1:2]
	buffer_store_dword v4, off, s[0:3], 0 offset:996
	buffer_store_dword v3, off, s[0:3], 0 offset:992
	;; [unrolled: 1-line block ×4, first 2 shown]
.LBB125_458:
	s_or_b64 exec, exec, s[6:7]
	v_cmp_eq_u32_e32 vcc, 38, v0
	s_waitcnt vmcnt(0) lgkmcnt(0)
	s_barrier
	s_and_saveexec_b64 s[8:9], vcc
	s_cbranch_execz .LBB125_465
; %bb.459:
	v_mov_b32_e32 v4, s40
	buffer_load_dword v1, v4, s[0:3], 0 offen
	buffer_load_dword v2, v4, s[0:3], 0 offen offset:4
	buffer_load_dword v3, v4, s[0:3], 0 offen offset:8
	s_nop 0
	buffer_load_dword v4, v4, s[0:3], 0 offen offset:12
	s_waitcnt vmcnt(0)
	ds_write2_b64 v125, v[1:2], v[3:4] offset1:1
	v_mov_b32_e32 v4, s39
	buffer_load_dword v1, v4, s[0:3], 0 offen
	buffer_load_dword v2, v4, s[0:3], 0 offen offset:4
	buffer_load_dword v3, v4, s[0:3], 0 offen offset:8
	s_nop 0
	buffer_load_dword v4, v4, s[0:3], 0 offen offset:12
	s_waitcnt vmcnt(0)
	ds_write2_b64 v6, v[1:2], v[3:4] offset0:78 offset1:79
	v_mov_b32_e32 v4, s38
	buffer_load_dword v1, v4, s[0:3], 0 offen
	buffer_load_dword v2, v4, s[0:3], 0 offen offset:4
	buffer_load_dword v3, v4, s[0:3], 0 offen offset:8
	s_nop 0
	buffer_load_dword v4, v4, s[0:3], 0 offen offset:12
	s_waitcnt vmcnt(0)
	ds_write2_b64 v6, v[1:2], v[3:4] offset0:80 offset1:81
	;; [unrolled: 8-line block ×24, first 2 shown]
	ds_read2_b64 v[1:4], v125 offset1:1
	s_waitcnt lgkmcnt(0)
	v_cmp_neq_f64_e32 vcc, 0, v[1:2]
	v_cmp_neq_f64_e64 s[6:7], 0, v[3:4]
	s_or_b64 s[6:7], vcc, s[6:7]
	s_and_b64 exec, exec, s[6:7]
	s_cbranch_execz .LBB125_465
; %bb.460:
	v_cmp_ngt_f64_e64 s[6:7], |v[1:2]|, |v[3:4]|
                                        ; implicit-def: $vgpr10_vgpr11
	s_and_saveexec_b64 s[10:11], s[6:7]
	s_xor_b64 s[6:7], exec, s[10:11]
                                        ; implicit-def: $vgpr12_vgpr13
	s_cbranch_execz .LBB125_462
; %bb.461:
	v_div_scale_f64 v[10:11], s[10:11], v[3:4], v[3:4], v[1:2]
	v_rcp_f64_e32 v[12:13], v[10:11]
	v_fma_f64 v[14:15], -v[10:11], v[12:13], 1.0
	v_fma_f64 v[12:13], v[12:13], v[14:15], v[12:13]
	v_div_scale_f64 v[14:15], vcc, v[1:2], v[3:4], v[1:2]
	v_fma_f64 v[29:30], -v[10:11], v[12:13], 1.0
	v_fma_f64 v[12:13], v[12:13], v[29:30], v[12:13]
	v_mul_f64 v[29:30], v[14:15], v[12:13]
	v_fma_f64 v[10:11], -v[10:11], v[29:30], v[14:15]
	v_div_fmas_f64 v[10:11], v[10:11], v[12:13], v[29:30]
	v_div_fixup_f64 v[10:11], v[10:11], v[3:4], v[1:2]
	v_fma_f64 v[1:2], v[1:2], v[10:11], v[3:4]
	v_div_scale_f64 v[3:4], s[10:11], v[1:2], v[1:2], 1.0
	v_div_scale_f64 v[29:30], vcc, 1.0, v[1:2], 1.0
	v_rcp_f64_e32 v[12:13], v[3:4]
	v_fma_f64 v[14:15], -v[3:4], v[12:13], 1.0
	v_fma_f64 v[12:13], v[12:13], v[14:15], v[12:13]
	v_fma_f64 v[14:15], -v[3:4], v[12:13], 1.0
	v_fma_f64 v[12:13], v[12:13], v[14:15], v[12:13]
	v_mul_f64 v[14:15], v[29:30], v[12:13]
	v_fma_f64 v[3:4], -v[3:4], v[14:15], v[29:30]
	v_div_fmas_f64 v[3:4], v[3:4], v[12:13], v[14:15]
	v_div_fixup_f64 v[12:13], v[3:4], v[1:2], 1.0
                                        ; implicit-def: $vgpr1_vgpr2
	v_mul_f64 v[10:11], v[10:11], v[12:13]
	v_xor_b32_e32 v13, 0x80000000, v13
.LBB125_462:
	s_andn2_saveexec_b64 s[6:7], s[6:7]
	s_cbranch_execz .LBB125_464
; %bb.463:
	v_div_scale_f64 v[10:11], s[10:11], v[1:2], v[1:2], v[3:4]
	v_rcp_f64_e32 v[12:13], v[10:11]
	v_fma_f64 v[14:15], -v[10:11], v[12:13], 1.0
	v_fma_f64 v[12:13], v[12:13], v[14:15], v[12:13]
	v_div_scale_f64 v[14:15], vcc, v[3:4], v[1:2], v[3:4]
	v_fma_f64 v[29:30], -v[10:11], v[12:13], 1.0
	v_fma_f64 v[12:13], v[12:13], v[29:30], v[12:13]
	v_mul_f64 v[29:30], v[14:15], v[12:13]
	v_fma_f64 v[10:11], -v[10:11], v[29:30], v[14:15]
	v_div_fmas_f64 v[10:11], v[10:11], v[12:13], v[29:30]
	v_div_fixup_f64 v[12:13], v[10:11], v[1:2], v[3:4]
	v_fma_f64 v[1:2], v[3:4], v[12:13], v[1:2]
	v_div_scale_f64 v[3:4], s[10:11], v[1:2], v[1:2], 1.0
	v_div_scale_f64 v[29:30], vcc, 1.0, v[1:2], 1.0
	v_rcp_f64_e32 v[10:11], v[3:4]
	v_fma_f64 v[14:15], -v[3:4], v[10:11], 1.0
	v_fma_f64 v[10:11], v[10:11], v[14:15], v[10:11]
	v_fma_f64 v[14:15], -v[3:4], v[10:11], 1.0
	v_fma_f64 v[10:11], v[10:11], v[14:15], v[10:11]
	v_mul_f64 v[14:15], v[29:30], v[10:11]
	v_fma_f64 v[3:4], -v[3:4], v[14:15], v[29:30]
	v_div_fmas_f64 v[3:4], v[3:4], v[10:11], v[14:15]
	v_div_fixup_f64 v[10:11], v[3:4], v[1:2], 1.0
	v_mul_f64 v[12:13], v[12:13], -v[10:11]
.LBB125_464:
	s_or_b64 exec, exec, s[6:7]
	ds_write2_b64 v125, v[10:11], v[12:13] offset1:1
.LBB125_465:
	s_or_b64 exec, exec, s[8:9]
	s_waitcnt lgkmcnt(0)
	s_barrier
	ds_read2_b64 v[29:32], v125 offset1:1
	v_cmp_lt_u32_e32 vcc, 38, v0
	s_and_saveexec_b64 s[6:7], vcc
	s_cbranch_execz .LBB125_467
; %bb.466:
	buffer_load_dword v3, off, s[0:3], 0 offset:608
	buffer_load_dword v4, off, s[0:3], 0 offset:612
	;; [unrolled: 1-line block ×16, first 2 shown]
	s_waitcnt vmcnt(12) lgkmcnt(0)
	v_mul_f64 v[1:2], v[31:32], v[10:11]
	v_mul_f64 v[10:11], v[29:30], v[10:11]
	v_fma_f64 v[1:2], v[29:30], v[3:4], -v[1:2]
	v_fma_f64 v[3:4], v[31:32], v[3:4], v[10:11]
	buffer_store_dword v1, off, s[0:3], 0 offset:608
	buffer_store_dword v2, off, s[0:3], 0 offset:612
	buffer_store_dword v3, off, s[0:3], 0 offset:616
	buffer_store_dword v4, off, s[0:3], 0 offset:620
	ds_read2_b64 v[10:13], v6 offset0:78 offset1:79
	s_waitcnt lgkmcnt(0)
	v_mul_f64 v[43:44], v[12:13], v[3:4]
	v_fma_f64 v[43:44], v[10:11], v[1:2], -v[43:44]
	v_mul_f64 v[10:11], v[10:11], v[3:4]
	v_fma_f64 v[10:11], v[12:13], v[1:2], v[10:11]
	s_waitcnt vmcnt(14)
	v_add_f64 v[12:13], v[14:15], -v[43:44]
	s_waitcnt vmcnt(12)
	v_add_f64 v[10:11], v[33:34], -v[10:11]
	buffer_store_dword v12, off, s[0:3], 0 offset:624
	buffer_store_dword v13, off, s[0:3], 0 offset:628
	buffer_store_dword v10, off, s[0:3], 0 offset:632
	buffer_store_dword v11, off, s[0:3], 0 offset:636
	ds_read2_b64 v[10:13], v6 offset0:80 offset1:81
	s_waitcnt lgkmcnt(0)
	v_mul_f64 v[14:15], v[12:13], v[3:4]
	v_fma_f64 v[14:15], v[10:11], v[1:2], -v[14:15]
	v_mul_f64 v[10:11], v[10:11], v[3:4]
	v_fma_f64 v[10:11], v[12:13], v[1:2], v[10:11]
	s_waitcnt vmcnt(14)
	v_add_f64 v[12:13], v[35:36], -v[14:15]
	s_waitcnt vmcnt(12)
	v_add_f64 v[10:11], v[37:38], -v[10:11]
	;; [unrolled: 14-line block ×3, first 2 shown]
	buffer_store_dword v13, off, s[0:3], 0 offset:660
	buffer_store_dword v12, off, s[0:3], 0 offset:656
	;; [unrolled: 1-line block ×4, first 2 shown]
	ds_read2_b64 v[10:13], v6 offset0:84 offset1:85
	s_waitcnt lgkmcnt(0)
	v_mul_f64 v[14:15], v[12:13], v[3:4]
	v_fma_f64 v[14:15], v[10:11], v[1:2], -v[14:15]
	v_mul_f64 v[10:11], v[10:11], v[3:4]
	v_fma_f64 v[10:11], v[12:13], v[1:2], v[10:11]
	buffer_load_dword v12, off, s[0:3], 0 offset:672
	buffer_load_dword v13, off, s[0:3], 0 offset:676
	;; [unrolled: 1-line block ×4, first 2 shown]
	s_waitcnt vmcnt(2)
	v_add_f64 v[12:13], v[12:13], -v[14:15]
	s_waitcnt vmcnt(0)
	v_add_f64 v[10:11], v[33:34], -v[10:11]
	buffer_store_dword v13, off, s[0:3], 0 offset:676
	buffer_store_dword v12, off, s[0:3], 0 offset:672
	;; [unrolled: 1-line block ×4, first 2 shown]
	ds_read2_b64 v[10:13], v6 offset0:86 offset1:87
	s_waitcnt lgkmcnt(0)
	v_mul_f64 v[14:15], v[12:13], v[3:4]
	v_fma_f64 v[14:15], v[10:11], v[1:2], -v[14:15]
	v_mul_f64 v[10:11], v[10:11], v[3:4]
	v_fma_f64 v[10:11], v[12:13], v[1:2], v[10:11]
	buffer_load_dword v12, off, s[0:3], 0 offset:688
	buffer_load_dword v13, off, s[0:3], 0 offset:692
	;; [unrolled: 1-line block ×4, first 2 shown]
	s_waitcnt vmcnt(2)
	v_add_f64 v[12:13], v[12:13], -v[14:15]
	s_waitcnt vmcnt(0)
	v_add_f64 v[10:11], v[33:34], -v[10:11]
	buffer_store_dword v13, off, s[0:3], 0 offset:692
	buffer_store_dword v12, off, s[0:3], 0 offset:688
	;; [unrolled: 1-line block ×4, first 2 shown]
	ds_read2_b64 v[10:13], v6 offset0:88 offset1:89
	s_waitcnt lgkmcnt(0)
	v_mul_f64 v[14:15], v[12:13], v[3:4]
	v_mul_f64 v[3:4], v[10:11], v[3:4]
	v_fma_f64 v[14:15], v[10:11], v[1:2], -v[14:15]
	v_fma_f64 v[1:2], v[12:13], v[1:2], v[3:4]
	buffer_load_dword v3, off, s[0:3], 0 offset:704
	buffer_load_dword v4, off, s[0:3], 0 offset:708
	;; [unrolled: 1-line block ×4, first 2 shown]
	s_waitcnt vmcnt(2)
	v_add_f64 v[3:4], v[3:4], -v[14:15]
	s_waitcnt vmcnt(0)
	v_add_f64 v[1:2], v[10:11], -v[1:2]
	buffer_store_dword v4, off, s[0:3], 0 offset:708
	buffer_store_dword v3, off, s[0:3], 0 offset:704
	;; [unrolled: 1-line block ×4, first 2 shown]
	ds_read2_b64 v[10:13], v6 offset0:90 offset1:91
	buffer_load_dword v1, off, s[0:3], 0 offset:608
	buffer_load_dword v2, off, s[0:3], 0 offset:612
	;; [unrolled: 1-line block ×4, first 2 shown]
	s_waitcnt vmcnt(0) lgkmcnt(0)
	v_mul_f64 v[14:15], v[12:13], v[3:4]
	v_fma_f64 v[14:15], v[10:11], v[1:2], -v[14:15]
	v_mul_f64 v[10:11], v[10:11], v[3:4]
	v_fma_f64 v[10:11], v[12:13], v[1:2], v[10:11]
	buffer_load_dword v13, off, s[0:3], 0 offset:724
	buffer_load_dword v12, off, s[0:3], 0 offset:720
	s_waitcnt vmcnt(0)
	v_add_f64 v[12:13], v[12:13], -v[14:15]
	buffer_load_dword v15, off, s[0:3], 0 offset:732
	buffer_load_dword v14, off, s[0:3], 0 offset:728
	s_waitcnt vmcnt(0)
	v_add_f64 v[10:11], v[14:15], -v[10:11]
	buffer_store_dword v13, off, s[0:3], 0 offset:724
	buffer_store_dword v12, off, s[0:3], 0 offset:720
	buffer_store_dword v11, off, s[0:3], 0 offset:732
	buffer_store_dword v10, off, s[0:3], 0 offset:728
	ds_read2_b64 v[10:13], v6 offset0:92 offset1:93
	s_waitcnt lgkmcnt(0)
	v_mul_f64 v[14:15], v[12:13], v[3:4]
	v_fma_f64 v[14:15], v[10:11], v[1:2], -v[14:15]
	v_mul_f64 v[10:11], v[10:11], v[3:4]
	v_fma_f64 v[10:11], v[12:13], v[1:2], v[10:11]
	buffer_load_dword v12, off, s[0:3], 0 offset:736
	buffer_load_dword v13, off, s[0:3], 0 offset:740
	buffer_load_dword v33, off, s[0:3], 0 offset:744
	buffer_load_dword v34, off, s[0:3], 0 offset:748
	s_waitcnt vmcnt(2)
	v_add_f64 v[12:13], v[12:13], -v[14:15]
	s_waitcnt vmcnt(0)
	v_add_f64 v[10:11], v[33:34], -v[10:11]
	buffer_store_dword v13, off, s[0:3], 0 offset:740
	buffer_store_dword v12, off, s[0:3], 0 offset:736
	buffer_store_dword v11, off, s[0:3], 0 offset:748
	buffer_store_dword v10, off, s[0:3], 0 offset:744
	ds_read2_b64 v[10:13], v6 offset0:94 offset1:95
	s_waitcnt lgkmcnt(0)
	v_mul_f64 v[14:15], v[12:13], v[3:4]
	v_fma_f64 v[14:15], v[10:11], v[1:2], -v[14:15]
	v_mul_f64 v[10:11], v[10:11], v[3:4]
	v_fma_f64 v[10:11], v[12:13], v[1:2], v[10:11]
	buffer_load_dword v12, off, s[0:3], 0 offset:752
	buffer_load_dword v13, off, s[0:3], 0 offset:756
	buffer_load_dword v33, off, s[0:3], 0 offset:760
	buffer_load_dword v34, off, s[0:3], 0 offset:764
	s_waitcnt vmcnt(2)
	v_add_f64 v[12:13], v[12:13], -v[14:15]
	;; [unrolled: 18-line block ×4, first 2 shown]
	s_waitcnt vmcnt(0)
	v_add_f64 v[10:11], v[33:34], -v[10:11]
	buffer_store_dword v13, off, s[0:3], 0 offset:788
	buffer_store_dword v12, off, s[0:3], 0 offset:784
	buffer_store_dword v11, off, s[0:3], 0 offset:796
	buffer_store_dword v10, off, s[0:3], 0 offset:792
	ds_read2_b64 v[10:13], v6 offset0:100 offset1:101
	s_waitcnt lgkmcnt(0)
	v_mul_f64 v[14:15], v[12:13], v[3:4]
	v_mul_f64 v[3:4], v[10:11], v[3:4]
	v_fma_f64 v[14:15], v[10:11], v[1:2], -v[14:15]
	v_fma_f64 v[1:2], v[12:13], v[1:2], v[3:4]
	buffer_load_dword v3, off, s[0:3], 0 offset:800
	buffer_load_dword v4, off, s[0:3], 0 offset:804
	;; [unrolled: 1-line block ×4, first 2 shown]
	s_waitcnt vmcnt(2)
	v_add_f64 v[3:4], v[3:4], -v[14:15]
	s_waitcnt vmcnt(0)
	v_add_f64 v[1:2], v[10:11], -v[1:2]
	buffer_store_dword v4, off, s[0:3], 0 offset:804
	buffer_store_dword v3, off, s[0:3], 0 offset:800
	;; [unrolled: 1-line block ×4, first 2 shown]
	ds_read2_b64 v[10:13], v6 offset0:102 offset1:103
	buffer_load_dword v1, off, s[0:3], 0 offset:608
	buffer_load_dword v2, off, s[0:3], 0 offset:612
	;; [unrolled: 1-line block ×4, first 2 shown]
	s_waitcnt vmcnt(0) lgkmcnt(0)
	v_mul_f64 v[14:15], v[12:13], v[3:4]
	v_fma_f64 v[14:15], v[10:11], v[1:2], -v[14:15]
	v_mul_f64 v[10:11], v[10:11], v[3:4]
	v_fma_f64 v[10:11], v[12:13], v[1:2], v[10:11]
	buffer_load_dword v13, off, s[0:3], 0 offset:820
	buffer_load_dword v12, off, s[0:3], 0 offset:816
	s_waitcnt vmcnt(0)
	v_add_f64 v[12:13], v[12:13], -v[14:15]
	buffer_load_dword v15, off, s[0:3], 0 offset:828
	buffer_load_dword v14, off, s[0:3], 0 offset:824
	s_waitcnt vmcnt(0)
	v_add_f64 v[10:11], v[14:15], -v[10:11]
	buffer_store_dword v13, off, s[0:3], 0 offset:820
	buffer_store_dword v12, off, s[0:3], 0 offset:816
	buffer_store_dword v11, off, s[0:3], 0 offset:828
	buffer_store_dword v10, off, s[0:3], 0 offset:824
	ds_read2_b64 v[10:13], v6 offset0:104 offset1:105
	s_waitcnt lgkmcnt(0)
	v_mul_f64 v[14:15], v[12:13], v[3:4]
	v_fma_f64 v[14:15], v[10:11], v[1:2], -v[14:15]
	v_mul_f64 v[10:11], v[10:11], v[3:4]
	v_fma_f64 v[10:11], v[12:13], v[1:2], v[10:11]
	buffer_load_dword v12, off, s[0:3], 0 offset:832
	buffer_load_dword v13, off, s[0:3], 0 offset:836
	buffer_load_dword v33, off, s[0:3], 0 offset:840
	buffer_load_dword v34, off, s[0:3], 0 offset:844
	s_waitcnt vmcnt(2)
	v_add_f64 v[12:13], v[12:13], -v[14:15]
	s_waitcnt vmcnt(0)
	v_add_f64 v[10:11], v[33:34], -v[10:11]
	buffer_store_dword v13, off, s[0:3], 0 offset:836
	buffer_store_dword v12, off, s[0:3], 0 offset:832
	buffer_store_dword v11, off, s[0:3], 0 offset:844
	buffer_store_dword v10, off, s[0:3], 0 offset:840
	ds_read2_b64 v[10:13], v6 offset0:106 offset1:107
	s_waitcnt lgkmcnt(0)
	v_mul_f64 v[14:15], v[12:13], v[3:4]
	v_fma_f64 v[14:15], v[10:11], v[1:2], -v[14:15]
	v_mul_f64 v[10:11], v[10:11], v[3:4]
	v_fma_f64 v[10:11], v[12:13], v[1:2], v[10:11]
	buffer_load_dword v12, off, s[0:3], 0 offset:848
	buffer_load_dword v13, off, s[0:3], 0 offset:852
	buffer_load_dword v33, off, s[0:3], 0 offset:856
	buffer_load_dword v34, off, s[0:3], 0 offset:860
	s_waitcnt vmcnt(2)
	v_add_f64 v[12:13], v[12:13], -v[14:15]
	s_waitcnt vmcnt(0)
	v_add_f64 v[10:11], v[33:34], -v[10:11]
	buffer_store_dword v13, off, s[0:3], 0 offset:852
	buffer_store_dword v12, off, s[0:3], 0 offset:848
	buffer_store_dword v11, off, s[0:3], 0 offset:860
	buffer_store_dword v10, off, s[0:3], 0 offset:856
	ds_read2_b64 v[10:13], v6 offset0:108 offset1:109
	s_waitcnt lgkmcnt(0)
	v_mul_f64 v[14:15], v[12:13], v[3:4]
	v_fma_f64 v[14:15], v[10:11], v[1:2], -v[14:15]
	v_mul_f64 v[10:11], v[10:11], v[3:4]
	v_fma_f64 v[10:11], v[12:13], v[1:2], v[10:11]
	buffer_load_dword v12, off, s[0:3], 0 offset:864
	buffer_load_dword v13, off, s[0:3], 0 offset:868
	buffer_load_dword v33, off, s[0:3], 0 offset:872
	buffer_load_dword v34, off, s[0:3], 0 offset:876
	s_waitcnt vmcnt(2)
	v_add_f64 v[12:13], v[12:13], -v[14:15]
	s_waitcnt vmcnt(0)
	v_add_f64 v[10:11], v[33:34], -v[10:11]
	buffer_store_dword v13, off, s[0:3], 0 offset:868
	buffer_store_dword v12, off, s[0:3], 0 offset:864
	buffer_store_dword v11, off, s[0:3], 0 offset:876
	buffer_store_dword v10, off, s[0:3], 0 offset:872
	ds_read2_b64 v[10:13], v6 offset0:110 offset1:111
	s_waitcnt lgkmcnt(0)
	v_mul_f64 v[14:15], v[12:13], v[3:4]
	v_fma_f64 v[14:15], v[10:11], v[1:2], -v[14:15]
	v_mul_f64 v[10:11], v[10:11], v[3:4]
	v_fma_f64 v[10:11], v[12:13], v[1:2], v[10:11]
	buffer_load_dword v12, off, s[0:3], 0 offset:880
	buffer_load_dword v13, off, s[0:3], 0 offset:884
	buffer_load_dword v33, off, s[0:3], 0 offset:888
	buffer_load_dword v34, off, s[0:3], 0 offset:892
	s_waitcnt vmcnt(2)
	v_add_f64 v[12:13], v[12:13], -v[14:15]
	s_waitcnt vmcnt(0)
	v_add_f64 v[10:11], v[33:34], -v[10:11]
	buffer_store_dword v13, off, s[0:3], 0 offset:884
	buffer_store_dword v12, off, s[0:3], 0 offset:880
	buffer_store_dword v11, off, s[0:3], 0 offset:892
	buffer_store_dword v10, off, s[0:3], 0 offset:888
	ds_read2_b64 v[10:13], v6 offset0:112 offset1:113
	s_waitcnt lgkmcnt(0)
	v_mul_f64 v[14:15], v[12:13], v[3:4]
	v_mul_f64 v[3:4], v[10:11], v[3:4]
	v_fma_f64 v[14:15], v[10:11], v[1:2], -v[14:15]
	v_fma_f64 v[1:2], v[12:13], v[1:2], v[3:4]
	buffer_load_dword v3, off, s[0:3], 0 offset:896
	buffer_load_dword v4, off, s[0:3], 0 offset:900
	;; [unrolled: 1-line block ×4, first 2 shown]
	s_waitcnt vmcnt(2)
	v_add_f64 v[3:4], v[3:4], -v[14:15]
	s_waitcnt vmcnt(0)
	v_add_f64 v[1:2], v[10:11], -v[1:2]
	buffer_store_dword v4, off, s[0:3], 0 offset:900
	buffer_store_dword v3, off, s[0:3], 0 offset:896
	;; [unrolled: 1-line block ×4, first 2 shown]
	ds_read2_b64 v[1:4], v6 offset0:114 offset1:115
	buffer_load_dword v33, off, s[0:3], 0 offset:608
	buffer_load_dword v34, off, s[0:3], 0 offset:612
	;; [unrolled: 1-line block ×4, first 2 shown]
	s_waitcnt vmcnt(0) lgkmcnt(0)
	v_mul_f64 v[10:11], v[3:4], v[35:36]
	v_fma_f64 v[37:38], v[1:2], v[33:34], -v[10:11]
	v_mul_f64 v[1:2], v[1:2], v[35:36]
	v_fma_f64 v[1:2], v[3:4], v[33:34], v[1:2]
	buffer_load_dword v4, off, s[0:3], 0 offset:916
	buffer_load_dword v3, off, s[0:3], 0 offset:912
	buffer_load_dword v11, off, s[0:3], 0 offset:924
	buffer_load_dword v10, off, s[0:3], 0 offset:920
	s_waitcnt vmcnt(2)
	v_add_f64 v[3:4], v[3:4], -v[37:38]
	s_waitcnt vmcnt(0)
	v_add_f64 v[1:2], v[10:11], -v[1:2]
	buffer_store_dword v4, off, s[0:3], 0 offset:916
	buffer_store_dword v3, off, s[0:3], 0 offset:912
	buffer_store_dword v2, off, s[0:3], 0 offset:924
	buffer_store_dword v1, off, s[0:3], 0 offset:920
	ds_read2_b64 v[1:4], v6 offset0:116 offset1:117
	s_waitcnt lgkmcnt(0)
	v_mul_f64 v[10:11], v[3:4], v[35:36]
	v_fma_f64 v[10:11], v[1:2], v[33:34], -v[10:11]
	v_mul_f64 v[1:2], v[1:2], v[35:36]
	v_fma_f64 v[1:2], v[3:4], v[33:34], v[1:2]
	buffer_load_dword v3, off, s[0:3], 0 offset:928
	buffer_load_dword v4, off, s[0:3], 0 offset:932
	buffer_load_dword v12, off, s[0:3], 0 offset:936
	buffer_load_dword v13, off, s[0:3], 0 offset:940
	s_waitcnt vmcnt(2)
	v_add_f64 v[3:4], v[3:4], -v[10:11]
	s_waitcnt vmcnt(0)
	v_add_f64 v[1:2], v[12:13], -v[1:2]
	buffer_store_dword v4, off, s[0:3], 0 offset:932
	buffer_store_dword v3, off, s[0:3], 0 offset:928
	buffer_store_dword v2, off, s[0:3], 0 offset:940
	buffer_store_dword v1, off, s[0:3], 0 offset:936
	ds_read2_b64 v[1:4], v6 offset0:118 offset1:119
	s_waitcnt lgkmcnt(0)
	;; [unrolled: 18-line block ×5, first 2 shown]
	v_mul_f64 v[1:2], v[12:13], v[35:36]
	v_fma_f64 v[3:4], v[10:11], v[33:34], -v[1:2]
	v_mul_f64 v[1:2], v[10:11], v[35:36]
	v_fma_f64 v[1:2], v[12:13], v[33:34], v[1:2]
	buffer_load_dword v10, off, s[0:3], 0 offset:992
	buffer_load_dword v11, off, s[0:3], 0 offset:996
	;; [unrolled: 1-line block ×4, first 2 shown]
	s_waitcnt vmcnt(2)
	v_add_f64 v[3:4], v[10:11], -v[3:4]
	s_waitcnt vmcnt(0)
	v_add_f64 v[1:2], v[12:13], -v[1:2]
	buffer_store_dword v4, off, s[0:3], 0 offset:996
	buffer_store_dword v3, off, s[0:3], 0 offset:992
	;; [unrolled: 1-line block ×4, first 2 shown]
.LBB125_467:
	s_or_b64 exec, exec, s[6:7]
	v_cmp_eq_u32_e32 vcc, 39, v0
	s_waitcnt vmcnt(0) lgkmcnt(0)
	s_barrier
	s_and_saveexec_b64 s[8:9], vcc
	s_cbranch_execz .LBB125_474
; %bb.468:
	v_mov_b32_e32 v4, s39
	buffer_load_dword v1, v4, s[0:3], 0 offen
	buffer_load_dword v2, v4, s[0:3], 0 offen offset:4
	buffer_load_dword v3, v4, s[0:3], 0 offen offset:8
	s_nop 0
	buffer_load_dword v4, v4, s[0:3], 0 offen offset:12
	s_waitcnt vmcnt(0)
	ds_write2_b64 v125, v[1:2], v[3:4] offset1:1
	v_mov_b32_e32 v4, s38
	buffer_load_dword v1, v4, s[0:3], 0 offen
	buffer_load_dword v2, v4, s[0:3], 0 offen offset:4
	buffer_load_dword v3, v4, s[0:3], 0 offen offset:8
	s_nop 0
	buffer_load_dword v4, v4, s[0:3], 0 offen offset:12
	s_waitcnt vmcnt(0)
	ds_write2_b64 v6, v[1:2], v[3:4] offset0:80 offset1:81
	v_mov_b32_e32 v4, s37
	buffer_load_dword v1, v4, s[0:3], 0 offen
	buffer_load_dword v2, v4, s[0:3], 0 offen offset:4
	buffer_load_dword v3, v4, s[0:3], 0 offen offset:8
	s_nop 0
	buffer_load_dword v4, v4, s[0:3], 0 offen offset:12
	s_waitcnt vmcnt(0)
	ds_write2_b64 v6, v[1:2], v[3:4] offset0:82 offset1:83
	;; [unrolled: 8-line block ×23, first 2 shown]
	ds_read2_b64 v[1:4], v125 offset1:1
	s_waitcnt lgkmcnt(0)
	v_cmp_neq_f64_e32 vcc, 0, v[1:2]
	v_cmp_neq_f64_e64 s[6:7], 0, v[3:4]
	s_or_b64 s[6:7], vcc, s[6:7]
	s_and_b64 exec, exec, s[6:7]
	s_cbranch_execz .LBB125_474
; %bb.469:
	v_cmp_ngt_f64_e64 s[6:7], |v[1:2]|, |v[3:4]|
                                        ; implicit-def: $vgpr10_vgpr11
	s_and_saveexec_b64 s[10:11], s[6:7]
	s_xor_b64 s[6:7], exec, s[10:11]
                                        ; implicit-def: $vgpr12_vgpr13
	s_cbranch_execz .LBB125_471
; %bb.470:
	v_div_scale_f64 v[10:11], s[10:11], v[3:4], v[3:4], v[1:2]
	v_rcp_f64_e32 v[12:13], v[10:11]
	v_fma_f64 v[14:15], -v[10:11], v[12:13], 1.0
	v_fma_f64 v[12:13], v[12:13], v[14:15], v[12:13]
	v_div_scale_f64 v[14:15], vcc, v[1:2], v[3:4], v[1:2]
	v_fma_f64 v[33:34], -v[10:11], v[12:13], 1.0
	v_fma_f64 v[12:13], v[12:13], v[33:34], v[12:13]
	v_mul_f64 v[33:34], v[14:15], v[12:13]
	v_fma_f64 v[10:11], -v[10:11], v[33:34], v[14:15]
	v_div_fmas_f64 v[10:11], v[10:11], v[12:13], v[33:34]
	v_div_fixup_f64 v[10:11], v[10:11], v[3:4], v[1:2]
	v_fma_f64 v[1:2], v[1:2], v[10:11], v[3:4]
	v_div_scale_f64 v[3:4], s[10:11], v[1:2], v[1:2], 1.0
	v_div_scale_f64 v[33:34], vcc, 1.0, v[1:2], 1.0
	v_rcp_f64_e32 v[12:13], v[3:4]
	v_fma_f64 v[14:15], -v[3:4], v[12:13], 1.0
	v_fma_f64 v[12:13], v[12:13], v[14:15], v[12:13]
	v_fma_f64 v[14:15], -v[3:4], v[12:13], 1.0
	v_fma_f64 v[12:13], v[12:13], v[14:15], v[12:13]
	v_mul_f64 v[14:15], v[33:34], v[12:13]
	v_fma_f64 v[3:4], -v[3:4], v[14:15], v[33:34]
	v_div_fmas_f64 v[3:4], v[3:4], v[12:13], v[14:15]
	v_div_fixup_f64 v[12:13], v[3:4], v[1:2], 1.0
                                        ; implicit-def: $vgpr1_vgpr2
	v_mul_f64 v[10:11], v[10:11], v[12:13]
	v_xor_b32_e32 v13, 0x80000000, v13
.LBB125_471:
	s_andn2_saveexec_b64 s[6:7], s[6:7]
	s_cbranch_execz .LBB125_473
; %bb.472:
	v_div_scale_f64 v[10:11], s[10:11], v[1:2], v[1:2], v[3:4]
	v_rcp_f64_e32 v[12:13], v[10:11]
	v_fma_f64 v[14:15], -v[10:11], v[12:13], 1.0
	v_fma_f64 v[12:13], v[12:13], v[14:15], v[12:13]
	v_div_scale_f64 v[14:15], vcc, v[3:4], v[1:2], v[3:4]
	v_fma_f64 v[33:34], -v[10:11], v[12:13], 1.0
	v_fma_f64 v[12:13], v[12:13], v[33:34], v[12:13]
	v_mul_f64 v[33:34], v[14:15], v[12:13]
	v_fma_f64 v[10:11], -v[10:11], v[33:34], v[14:15]
	v_div_fmas_f64 v[10:11], v[10:11], v[12:13], v[33:34]
	v_div_fixup_f64 v[12:13], v[10:11], v[1:2], v[3:4]
	v_fma_f64 v[1:2], v[3:4], v[12:13], v[1:2]
	v_div_scale_f64 v[3:4], s[10:11], v[1:2], v[1:2], 1.0
	v_div_scale_f64 v[33:34], vcc, 1.0, v[1:2], 1.0
	v_rcp_f64_e32 v[10:11], v[3:4]
	v_fma_f64 v[14:15], -v[3:4], v[10:11], 1.0
	v_fma_f64 v[10:11], v[10:11], v[14:15], v[10:11]
	v_fma_f64 v[14:15], -v[3:4], v[10:11], 1.0
	v_fma_f64 v[10:11], v[10:11], v[14:15], v[10:11]
	v_mul_f64 v[14:15], v[33:34], v[10:11]
	v_fma_f64 v[3:4], -v[3:4], v[14:15], v[33:34]
	v_div_fmas_f64 v[3:4], v[3:4], v[10:11], v[14:15]
	v_div_fixup_f64 v[10:11], v[3:4], v[1:2], 1.0
	v_mul_f64 v[12:13], v[12:13], -v[10:11]
.LBB125_473:
	s_or_b64 exec, exec, s[6:7]
	ds_write2_b64 v125, v[10:11], v[12:13] offset1:1
.LBB125_474:
	s_or_b64 exec, exec, s[8:9]
	s_waitcnt lgkmcnt(0)
	s_barrier
	ds_read2_b64 v[33:36], v125 offset1:1
	v_cmp_lt_u32_e32 vcc, 39, v0
	s_and_saveexec_b64 s[6:7], vcc
	s_cbranch_execz .LBB125_476
; %bb.475:
	buffer_load_dword v3, off, s[0:3], 0 offset:624
	buffer_load_dword v4, off, s[0:3], 0 offset:628
	;; [unrolled: 1-line block ×16, first 2 shown]
	s_waitcnt vmcnt(12) lgkmcnt(0)
	v_mul_f64 v[1:2], v[35:36], v[10:11]
	v_mul_f64 v[10:11], v[33:34], v[10:11]
	v_fma_f64 v[1:2], v[33:34], v[3:4], -v[1:2]
	v_fma_f64 v[3:4], v[35:36], v[3:4], v[10:11]
	buffer_store_dword v1, off, s[0:3], 0 offset:624
	buffer_store_dword v2, off, s[0:3], 0 offset:628
	buffer_store_dword v3, off, s[0:3], 0 offset:632
	buffer_store_dword v4, off, s[0:3], 0 offset:636
	ds_read2_b64 v[10:13], v6 offset0:80 offset1:81
	s_waitcnt lgkmcnt(0)
	v_mul_f64 v[47:48], v[12:13], v[3:4]
	v_fma_f64 v[47:48], v[10:11], v[1:2], -v[47:48]
	v_mul_f64 v[10:11], v[10:11], v[3:4]
	v_fma_f64 v[10:11], v[12:13], v[1:2], v[10:11]
	s_waitcnt vmcnt(14)
	v_add_f64 v[12:13], v[14:15], -v[47:48]
	s_waitcnt vmcnt(12)
	v_add_f64 v[10:11], v[37:38], -v[10:11]
	buffer_store_dword v12, off, s[0:3], 0 offset:640
	buffer_store_dword v13, off, s[0:3], 0 offset:644
	buffer_store_dword v10, off, s[0:3], 0 offset:648
	buffer_store_dword v11, off, s[0:3], 0 offset:652
	ds_read2_b64 v[10:13], v6 offset0:82 offset1:83
	s_waitcnt lgkmcnt(0)
	v_mul_f64 v[14:15], v[12:13], v[3:4]
	v_fma_f64 v[14:15], v[10:11], v[1:2], -v[14:15]
	v_mul_f64 v[10:11], v[10:11], v[3:4]
	v_fma_f64 v[10:11], v[12:13], v[1:2], v[10:11]
	s_waitcnt vmcnt(14)
	v_add_f64 v[12:13], v[39:40], -v[14:15]
	s_waitcnt vmcnt(12)
	v_add_f64 v[10:11], v[41:42], -v[10:11]
	;; [unrolled: 14-line block ×3, first 2 shown]
	buffer_store_dword v13, off, s[0:3], 0 offset:676
	buffer_store_dword v12, off, s[0:3], 0 offset:672
	;; [unrolled: 1-line block ×4, first 2 shown]
	ds_read2_b64 v[10:13], v6 offset0:86 offset1:87
	s_waitcnt lgkmcnt(0)
	v_mul_f64 v[14:15], v[12:13], v[3:4]
	v_fma_f64 v[14:15], v[10:11], v[1:2], -v[14:15]
	v_mul_f64 v[10:11], v[10:11], v[3:4]
	v_fma_f64 v[10:11], v[12:13], v[1:2], v[10:11]
	buffer_load_dword v12, off, s[0:3], 0 offset:688
	buffer_load_dword v13, off, s[0:3], 0 offset:692
	;; [unrolled: 1-line block ×4, first 2 shown]
	s_waitcnt vmcnt(2)
	v_add_f64 v[12:13], v[12:13], -v[14:15]
	s_waitcnt vmcnt(0)
	v_add_f64 v[10:11], v[37:38], -v[10:11]
	buffer_store_dword v13, off, s[0:3], 0 offset:692
	buffer_store_dword v12, off, s[0:3], 0 offset:688
	;; [unrolled: 1-line block ×4, first 2 shown]
	ds_read2_b64 v[10:13], v6 offset0:88 offset1:89
	s_waitcnt lgkmcnt(0)
	v_mul_f64 v[14:15], v[12:13], v[3:4]
	v_fma_f64 v[14:15], v[10:11], v[1:2], -v[14:15]
	v_mul_f64 v[10:11], v[10:11], v[3:4]
	v_fma_f64 v[10:11], v[12:13], v[1:2], v[10:11]
	buffer_load_dword v12, off, s[0:3], 0 offset:704
	buffer_load_dword v13, off, s[0:3], 0 offset:708
	;; [unrolled: 1-line block ×4, first 2 shown]
	s_waitcnt vmcnt(2)
	v_add_f64 v[12:13], v[12:13], -v[14:15]
	s_waitcnt vmcnt(0)
	v_add_f64 v[10:11], v[37:38], -v[10:11]
	buffer_store_dword v13, off, s[0:3], 0 offset:708
	buffer_store_dword v12, off, s[0:3], 0 offset:704
	;; [unrolled: 1-line block ×4, first 2 shown]
	ds_read2_b64 v[10:13], v6 offset0:90 offset1:91
	s_waitcnt lgkmcnt(0)
	v_mul_f64 v[14:15], v[12:13], v[3:4]
	v_mul_f64 v[3:4], v[10:11], v[3:4]
	v_fma_f64 v[14:15], v[10:11], v[1:2], -v[14:15]
	v_fma_f64 v[1:2], v[12:13], v[1:2], v[3:4]
	buffer_load_dword v3, off, s[0:3], 0 offset:720
	buffer_load_dword v4, off, s[0:3], 0 offset:724
	;; [unrolled: 1-line block ×4, first 2 shown]
	s_waitcnt vmcnt(2)
	v_add_f64 v[3:4], v[3:4], -v[14:15]
	s_waitcnt vmcnt(0)
	v_add_f64 v[1:2], v[10:11], -v[1:2]
	buffer_store_dword v4, off, s[0:3], 0 offset:724
	buffer_store_dword v3, off, s[0:3], 0 offset:720
	;; [unrolled: 1-line block ×4, first 2 shown]
	ds_read2_b64 v[10:13], v6 offset0:92 offset1:93
	buffer_load_dword v1, off, s[0:3], 0 offset:624
	buffer_load_dword v2, off, s[0:3], 0 offset:628
	;; [unrolled: 1-line block ×4, first 2 shown]
	s_waitcnt vmcnt(0) lgkmcnt(0)
	v_mul_f64 v[14:15], v[12:13], v[3:4]
	v_fma_f64 v[14:15], v[10:11], v[1:2], -v[14:15]
	v_mul_f64 v[10:11], v[10:11], v[3:4]
	v_fma_f64 v[10:11], v[12:13], v[1:2], v[10:11]
	buffer_load_dword v13, off, s[0:3], 0 offset:740
	buffer_load_dword v12, off, s[0:3], 0 offset:736
	s_waitcnt vmcnt(0)
	v_add_f64 v[12:13], v[12:13], -v[14:15]
	buffer_load_dword v15, off, s[0:3], 0 offset:748
	buffer_load_dword v14, off, s[0:3], 0 offset:744
	s_waitcnt vmcnt(0)
	v_add_f64 v[10:11], v[14:15], -v[10:11]
	buffer_store_dword v13, off, s[0:3], 0 offset:740
	buffer_store_dword v12, off, s[0:3], 0 offset:736
	buffer_store_dword v11, off, s[0:3], 0 offset:748
	buffer_store_dword v10, off, s[0:3], 0 offset:744
	ds_read2_b64 v[10:13], v6 offset0:94 offset1:95
	s_waitcnt lgkmcnt(0)
	v_mul_f64 v[14:15], v[12:13], v[3:4]
	v_fma_f64 v[14:15], v[10:11], v[1:2], -v[14:15]
	v_mul_f64 v[10:11], v[10:11], v[3:4]
	v_fma_f64 v[10:11], v[12:13], v[1:2], v[10:11]
	buffer_load_dword v12, off, s[0:3], 0 offset:752
	buffer_load_dword v13, off, s[0:3], 0 offset:756
	buffer_load_dword v37, off, s[0:3], 0 offset:760
	buffer_load_dword v38, off, s[0:3], 0 offset:764
	s_waitcnt vmcnt(2)
	v_add_f64 v[12:13], v[12:13], -v[14:15]
	s_waitcnt vmcnt(0)
	v_add_f64 v[10:11], v[37:38], -v[10:11]
	buffer_store_dword v13, off, s[0:3], 0 offset:756
	buffer_store_dword v12, off, s[0:3], 0 offset:752
	buffer_store_dword v11, off, s[0:3], 0 offset:764
	buffer_store_dword v10, off, s[0:3], 0 offset:760
	ds_read2_b64 v[10:13], v6 offset0:96 offset1:97
	s_waitcnt lgkmcnt(0)
	v_mul_f64 v[14:15], v[12:13], v[3:4]
	v_fma_f64 v[14:15], v[10:11], v[1:2], -v[14:15]
	v_mul_f64 v[10:11], v[10:11], v[3:4]
	v_fma_f64 v[10:11], v[12:13], v[1:2], v[10:11]
	buffer_load_dword v12, off, s[0:3], 0 offset:768
	buffer_load_dword v13, off, s[0:3], 0 offset:772
	buffer_load_dword v37, off, s[0:3], 0 offset:776
	buffer_load_dword v38, off, s[0:3], 0 offset:780
	s_waitcnt vmcnt(2)
	v_add_f64 v[12:13], v[12:13], -v[14:15]
	s_waitcnt vmcnt(0)
	v_add_f64 v[10:11], v[37:38], -v[10:11]
	buffer_store_dword v13, off, s[0:3], 0 offset:772
	buffer_store_dword v12, off, s[0:3], 0 offset:768
	buffer_store_dword v11, off, s[0:3], 0 offset:780
	buffer_store_dword v10, off, s[0:3], 0 offset:776
	ds_read2_b64 v[10:13], v6 offset0:98 offset1:99
	s_waitcnt lgkmcnt(0)
	v_mul_f64 v[14:15], v[12:13], v[3:4]
	v_fma_f64 v[14:15], v[10:11], v[1:2], -v[14:15]
	v_mul_f64 v[10:11], v[10:11], v[3:4]
	v_fma_f64 v[10:11], v[12:13], v[1:2], v[10:11]
	buffer_load_dword v12, off, s[0:3], 0 offset:784
	buffer_load_dword v13, off, s[0:3], 0 offset:788
	buffer_load_dword v37, off, s[0:3], 0 offset:792
	buffer_load_dword v38, off, s[0:3], 0 offset:796
	s_waitcnt vmcnt(2)
	v_add_f64 v[12:13], v[12:13], -v[14:15]
	s_waitcnt vmcnt(0)
	v_add_f64 v[10:11], v[37:38], -v[10:11]
	buffer_store_dword v13, off, s[0:3], 0 offset:788
	buffer_store_dword v12, off, s[0:3], 0 offset:784
	buffer_store_dword v11, off, s[0:3], 0 offset:796
	buffer_store_dword v10, off, s[0:3], 0 offset:792
	ds_read2_b64 v[10:13], v6 offset0:100 offset1:101
	s_waitcnt lgkmcnt(0)
	v_mul_f64 v[14:15], v[12:13], v[3:4]
	v_fma_f64 v[14:15], v[10:11], v[1:2], -v[14:15]
	v_mul_f64 v[10:11], v[10:11], v[3:4]
	v_fma_f64 v[10:11], v[12:13], v[1:2], v[10:11]
	buffer_load_dword v12, off, s[0:3], 0 offset:800
	buffer_load_dword v13, off, s[0:3], 0 offset:804
	buffer_load_dword v37, off, s[0:3], 0 offset:808
	buffer_load_dword v38, off, s[0:3], 0 offset:812
	s_waitcnt vmcnt(2)
	v_add_f64 v[12:13], v[12:13], -v[14:15]
	s_waitcnt vmcnt(0)
	v_add_f64 v[10:11], v[37:38], -v[10:11]
	buffer_store_dword v13, off, s[0:3], 0 offset:804
	buffer_store_dword v12, off, s[0:3], 0 offset:800
	;; [unrolled: 1-line block ×4, first 2 shown]
	ds_read2_b64 v[10:13], v6 offset0:102 offset1:103
	s_waitcnt lgkmcnt(0)
	v_mul_f64 v[14:15], v[12:13], v[3:4]
	v_mul_f64 v[3:4], v[10:11], v[3:4]
	v_fma_f64 v[14:15], v[10:11], v[1:2], -v[14:15]
	v_fma_f64 v[1:2], v[12:13], v[1:2], v[3:4]
	buffer_load_dword v3, off, s[0:3], 0 offset:816
	buffer_load_dword v4, off, s[0:3], 0 offset:820
	;; [unrolled: 1-line block ×4, first 2 shown]
	s_waitcnt vmcnt(2)
	v_add_f64 v[3:4], v[3:4], -v[14:15]
	s_waitcnt vmcnt(0)
	v_add_f64 v[1:2], v[10:11], -v[1:2]
	buffer_store_dword v4, off, s[0:3], 0 offset:820
	buffer_store_dword v3, off, s[0:3], 0 offset:816
	;; [unrolled: 1-line block ×4, first 2 shown]
	ds_read2_b64 v[10:13], v6 offset0:104 offset1:105
	buffer_load_dword v1, off, s[0:3], 0 offset:624
	buffer_load_dword v2, off, s[0:3], 0 offset:628
	;; [unrolled: 1-line block ×4, first 2 shown]
	s_waitcnt vmcnt(0) lgkmcnt(0)
	v_mul_f64 v[14:15], v[12:13], v[3:4]
	v_fma_f64 v[14:15], v[10:11], v[1:2], -v[14:15]
	v_mul_f64 v[10:11], v[10:11], v[3:4]
	v_fma_f64 v[10:11], v[12:13], v[1:2], v[10:11]
	buffer_load_dword v13, off, s[0:3], 0 offset:836
	buffer_load_dword v12, off, s[0:3], 0 offset:832
	s_waitcnt vmcnt(0)
	v_add_f64 v[12:13], v[12:13], -v[14:15]
	buffer_load_dword v15, off, s[0:3], 0 offset:844
	buffer_load_dword v14, off, s[0:3], 0 offset:840
	s_waitcnt vmcnt(0)
	v_add_f64 v[10:11], v[14:15], -v[10:11]
	buffer_store_dword v13, off, s[0:3], 0 offset:836
	buffer_store_dword v12, off, s[0:3], 0 offset:832
	buffer_store_dword v11, off, s[0:3], 0 offset:844
	buffer_store_dword v10, off, s[0:3], 0 offset:840
	ds_read2_b64 v[10:13], v6 offset0:106 offset1:107
	s_waitcnt lgkmcnt(0)
	v_mul_f64 v[14:15], v[12:13], v[3:4]
	v_fma_f64 v[14:15], v[10:11], v[1:2], -v[14:15]
	v_mul_f64 v[10:11], v[10:11], v[3:4]
	v_fma_f64 v[10:11], v[12:13], v[1:2], v[10:11]
	buffer_load_dword v12, off, s[0:3], 0 offset:848
	buffer_load_dword v13, off, s[0:3], 0 offset:852
	buffer_load_dword v37, off, s[0:3], 0 offset:856
	buffer_load_dword v38, off, s[0:3], 0 offset:860
	s_waitcnt vmcnt(2)
	v_add_f64 v[12:13], v[12:13], -v[14:15]
	s_waitcnt vmcnt(0)
	v_add_f64 v[10:11], v[37:38], -v[10:11]
	buffer_store_dword v13, off, s[0:3], 0 offset:852
	buffer_store_dword v12, off, s[0:3], 0 offset:848
	buffer_store_dword v11, off, s[0:3], 0 offset:860
	buffer_store_dword v10, off, s[0:3], 0 offset:856
	ds_read2_b64 v[10:13], v6 offset0:108 offset1:109
	s_waitcnt lgkmcnt(0)
	v_mul_f64 v[14:15], v[12:13], v[3:4]
	v_fma_f64 v[14:15], v[10:11], v[1:2], -v[14:15]
	v_mul_f64 v[10:11], v[10:11], v[3:4]
	v_fma_f64 v[10:11], v[12:13], v[1:2], v[10:11]
	buffer_load_dword v12, off, s[0:3], 0 offset:864
	buffer_load_dword v13, off, s[0:3], 0 offset:868
	buffer_load_dword v37, off, s[0:3], 0 offset:872
	buffer_load_dword v38, off, s[0:3], 0 offset:876
	s_waitcnt vmcnt(2)
	v_add_f64 v[12:13], v[12:13], -v[14:15]
	;; [unrolled: 18-line block ×4, first 2 shown]
	s_waitcnt vmcnt(0)
	v_add_f64 v[10:11], v[37:38], -v[10:11]
	buffer_store_dword v13, off, s[0:3], 0 offset:900
	buffer_store_dword v12, off, s[0:3], 0 offset:896
	;; [unrolled: 1-line block ×4, first 2 shown]
	ds_read2_b64 v[10:13], v6 offset0:114 offset1:115
	s_waitcnt lgkmcnt(0)
	v_mul_f64 v[14:15], v[12:13], v[3:4]
	v_mul_f64 v[3:4], v[10:11], v[3:4]
	v_fma_f64 v[14:15], v[10:11], v[1:2], -v[14:15]
	v_fma_f64 v[1:2], v[12:13], v[1:2], v[3:4]
	buffer_load_dword v3, off, s[0:3], 0 offset:912
	buffer_load_dword v4, off, s[0:3], 0 offset:916
	;; [unrolled: 1-line block ×4, first 2 shown]
	s_waitcnt vmcnt(2)
	v_add_f64 v[3:4], v[3:4], -v[14:15]
	s_waitcnt vmcnt(0)
	v_add_f64 v[1:2], v[10:11], -v[1:2]
	buffer_store_dword v4, off, s[0:3], 0 offset:916
	buffer_store_dword v3, off, s[0:3], 0 offset:912
	;; [unrolled: 1-line block ×4, first 2 shown]
	ds_read2_b64 v[1:4], v6 offset0:116 offset1:117
	buffer_load_dword v37, off, s[0:3], 0 offset:624
	buffer_load_dword v38, off, s[0:3], 0 offset:628
	;; [unrolled: 1-line block ×4, first 2 shown]
	s_waitcnt vmcnt(0) lgkmcnt(0)
	v_mul_f64 v[10:11], v[3:4], v[39:40]
	v_fma_f64 v[41:42], v[1:2], v[37:38], -v[10:11]
	v_mul_f64 v[1:2], v[1:2], v[39:40]
	v_fma_f64 v[1:2], v[3:4], v[37:38], v[1:2]
	buffer_load_dword v4, off, s[0:3], 0 offset:932
	buffer_load_dword v3, off, s[0:3], 0 offset:928
	buffer_load_dword v11, off, s[0:3], 0 offset:940
	buffer_load_dword v10, off, s[0:3], 0 offset:936
	s_waitcnt vmcnt(2)
	v_add_f64 v[3:4], v[3:4], -v[41:42]
	s_waitcnt vmcnt(0)
	v_add_f64 v[1:2], v[10:11], -v[1:2]
	buffer_store_dword v4, off, s[0:3], 0 offset:932
	buffer_store_dword v3, off, s[0:3], 0 offset:928
	buffer_store_dword v2, off, s[0:3], 0 offset:940
	buffer_store_dword v1, off, s[0:3], 0 offset:936
	ds_read2_b64 v[1:4], v6 offset0:118 offset1:119
	s_waitcnt lgkmcnt(0)
	v_mul_f64 v[10:11], v[3:4], v[39:40]
	v_fma_f64 v[10:11], v[1:2], v[37:38], -v[10:11]
	v_mul_f64 v[1:2], v[1:2], v[39:40]
	v_fma_f64 v[1:2], v[3:4], v[37:38], v[1:2]
	buffer_load_dword v3, off, s[0:3], 0 offset:944
	buffer_load_dword v4, off, s[0:3], 0 offset:948
	buffer_load_dword v12, off, s[0:3], 0 offset:952
	buffer_load_dword v13, off, s[0:3], 0 offset:956
	s_waitcnt vmcnt(2)
	v_add_f64 v[3:4], v[3:4], -v[10:11]
	s_waitcnt vmcnt(0)
	v_add_f64 v[1:2], v[12:13], -v[1:2]
	buffer_store_dword v4, off, s[0:3], 0 offset:948
	buffer_store_dword v3, off, s[0:3], 0 offset:944
	buffer_store_dword v2, off, s[0:3], 0 offset:956
	buffer_store_dword v1, off, s[0:3], 0 offset:952
	ds_read2_b64 v[1:4], v6 offset0:120 offset1:121
	s_waitcnt lgkmcnt(0)
	;; [unrolled: 18-line block ×4, first 2 shown]
	v_mul_f64 v[1:2], v[12:13], v[39:40]
	v_fma_f64 v[3:4], v[10:11], v[37:38], -v[1:2]
	v_mul_f64 v[1:2], v[10:11], v[39:40]
	v_fma_f64 v[1:2], v[12:13], v[37:38], v[1:2]
	buffer_load_dword v10, off, s[0:3], 0 offset:992
	buffer_load_dword v11, off, s[0:3], 0 offset:996
	;; [unrolled: 1-line block ×4, first 2 shown]
	s_waitcnt vmcnt(2)
	v_add_f64 v[3:4], v[10:11], -v[3:4]
	s_waitcnt vmcnt(0)
	v_add_f64 v[1:2], v[12:13], -v[1:2]
	buffer_store_dword v4, off, s[0:3], 0 offset:996
	buffer_store_dword v3, off, s[0:3], 0 offset:992
	;; [unrolled: 1-line block ×4, first 2 shown]
.LBB125_476:
	s_or_b64 exec, exec, s[6:7]
	v_cmp_eq_u32_e32 vcc, 40, v0
	s_waitcnt vmcnt(0) lgkmcnt(0)
	s_barrier
	s_and_saveexec_b64 s[8:9], vcc
	s_cbranch_execz .LBB125_483
; %bb.477:
	v_mov_b32_e32 v4, s38
	buffer_load_dword v1, v4, s[0:3], 0 offen
	buffer_load_dword v2, v4, s[0:3], 0 offen offset:4
	buffer_load_dword v3, v4, s[0:3], 0 offen offset:8
	s_nop 0
	buffer_load_dword v4, v4, s[0:3], 0 offen offset:12
	s_waitcnt vmcnt(0)
	ds_write2_b64 v125, v[1:2], v[3:4] offset1:1
	v_mov_b32_e32 v4, s37
	buffer_load_dword v1, v4, s[0:3], 0 offen
	buffer_load_dword v2, v4, s[0:3], 0 offen offset:4
	buffer_load_dword v3, v4, s[0:3], 0 offen offset:8
	s_nop 0
	buffer_load_dword v4, v4, s[0:3], 0 offen offset:12
	s_waitcnt vmcnt(0)
	ds_write2_b64 v6, v[1:2], v[3:4] offset0:82 offset1:83
	v_mov_b32_e32 v4, s36
	buffer_load_dword v1, v4, s[0:3], 0 offen
	buffer_load_dword v2, v4, s[0:3], 0 offen offset:4
	buffer_load_dword v3, v4, s[0:3], 0 offen offset:8
	s_nop 0
	buffer_load_dword v4, v4, s[0:3], 0 offen offset:12
	s_waitcnt vmcnt(0)
	ds_write2_b64 v6, v[1:2], v[3:4] offset0:84 offset1:85
	;; [unrolled: 8-line block ×22, first 2 shown]
	ds_read2_b64 v[1:4], v125 offset1:1
	s_waitcnt lgkmcnt(0)
	v_cmp_neq_f64_e32 vcc, 0, v[1:2]
	v_cmp_neq_f64_e64 s[6:7], 0, v[3:4]
	s_or_b64 s[6:7], vcc, s[6:7]
	s_and_b64 exec, exec, s[6:7]
	s_cbranch_execz .LBB125_483
; %bb.478:
	v_cmp_ngt_f64_e64 s[6:7], |v[1:2]|, |v[3:4]|
                                        ; implicit-def: $vgpr10_vgpr11
	s_and_saveexec_b64 s[10:11], s[6:7]
	s_xor_b64 s[6:7], exec, s[10:11]
                                        ; implicit-def: $vgpr12_vgpr13
	s_cbranch_execz .LBB125_480
; %bb.479:
	v_div_scale_f64 v[10:11], s[10:11], v[3:4], v[3:4], v[1:2]
	v_rcp_f64_e32 v[12:13], v[10:11]
	v_fma_f64 v[14:15], -v[10:11], v[12:13], 1.0
	v_fma_f64 v[12:13], v[12:13], v[14:15], v[12:13]
	v_div_scale_f64 v[14:15], vcc, v[1:2], v[3:4], v[1:2]
	v_fma_f64 v[37:38], -v[10:11], v[12:13], 1.0
	v_fma_f64 v[12:13], v[12:13], v[37:38], v[12:13]
	v_mul_f64 v[37:38], v[14:15], v[12:13]
	v_fma_f64 v[10:11], -v[10:11], v[37:38], v[14:15]
	v_div_fmas_f64 v[10:11], v[10:11], v[12:13], v[37:38]
	v_div_fixup_f64 v[10:11], v[10:11], v[3:4], v[1:2]
	v_fma_f64 v[1:2], v[1:2], v[10:11], v[3:4]
	v_div_scale_f64 v[3:4], s[10:11], v[1:2], v[1:2], 1.0
	v_div_scale_f64 v[37:38], vcc, 1.0, v[1:2], 1.0
	v_rcp_f64_e32 v[12:13], v[3:4]
	v_fma_f64 v[14:15], -v[3:4], v[12:13], 1.0
	v_fma_f64 v[12:13], v[12:13], v[14:15], v[12:13]
	v_fma_f64 v[14:15], -v[3:4], v[12:13], 1.0
	v_fma_f64 v[12:13], v[12:13], v[14:15], v[12:13]
	v_mul_f64 v[14:15], v[37:38], v[12:13]
	v_fma_f64 v[3:4], -v[3:4], v[14:15], v[37:38]
	v_div_fmas_f64 v[3:4], v[3:4], v[12:13], v[14:15]
	v_div_fixup_f64 v[12:13], v[3:4], v[1:2], 1.0
                                        ; implicit-def: $vgpr1_vgpr2
	v_mul_f64 v[10:11], v[10:11], v[12:13]
	v_xor_b32_e32 v13, 0x80000000, v13
.LBB125_480:
	s_andn2_saveexec_b64 s[6:7], s[6:7]
	s_cbranch_execz .LBB125_482
; %bb.481:
	v_div_scale_f64 v[10:11], s[10:11], v[1:2], v[1:2], v[3:4]
	v_rcp_f64_e32 v[12:13], v[10:11]
	v_fma_f64 v[14:15], -v[10:11], v[12:13], 1.0
	v_fma_f64 v[12:13], v[12:13], v[14:15], v[12:13]
	v_div_scale_f64 v[14:15], vcc, v[3:4], v[1:2], v[3:4]
	v_fma_f64 v[37:38], -v[10:11], v[12:13], 1.0
	v_fma_f64 v[12:13], v[12:13], v[37:38], v[12:13]
	v_mul_f64 v[37:38], v[14:15], v[12:13]
	v_fma_f64 v[10:11], -v[10:11], v[37:38], v[14:15]
	v_div_fmas_f64 v[10:11], v[10:11], v[12:13], v[37:38]
	v_div_fixup_f64 v[12:13], v[10:11], v[1:2], v[3:4]
	v_fma_f64 v[1:2], v[3:4], v[12:13], v[1:2]
	v_div_scale_f64 v[3:4], s[10:11], v[1:2], v[1:2], 1.0
	v_div_scale_f64 v[37:38], vcc, 1.0, v[1:2], 1.0
	v_rcp_f64_e32 v[10:11], v[3:4]
	v_fma_f64 v[14:15], -v[3:4], v[10:11], 1.0
	v_fma_f64 v[10:11], v[10:11], v[14:15], v[10:11]
	v_fma_f64 v[14:15], -v[3:4], v[10:11], 1.0
	v_fma_f64 v[10:11], v[10:11], v[14:15], v[10:11]
	v_mul_f64 v[14:15], v[37:38], v[10:11]
	v_fma_f64 v[3:4], -v[3:4], v[14:15], v[37:38]
	v_div_fmas_f64 v[3:4], v[3:4], v[10:11], v[14:15]
	v_div_fixup_f64 v[10:11], v[3:4], v[1:2], 1.0
	v_mul_f64 v[12:13], v[12:13], -v[10:11]
.LBB125_482:
	s_or_b64 exec, exec, s[6:7]
	ds_write2_b64 v125, v[10:11], v[12:13] offset1:1
.LBB125_483:
	s_or_b64 exec, exec, s[8:9]
	s_waitcnt lgkmcnt(0)
	s_barrier
	ds_read2_b64 v[37:40], v125 offset1:1
	v_cmp_lt_u32_e32 vcc, 40, v0
	s_and_saveexec_b64 s[6:7], vcc
	s_cbranch_execz .LBB125_485
; %bb.484:
	buffer_load_dword v3, off, s[0:3], 0 offset:640
	buffer_load_dword v4, off, s[0:3], 0 offset:644
	;; [unrolled: 1-line block ×16, first 2 shown]
	s_waitcnt vmcnt(12) lgkmcnt(0)
	v_mul_f64 v[1:2], v[39:40], v[10:11]
	v_mul_f64 v[10:11], v[37:38], v[10:11]
	v_fma_f64 v[1:2], v[37:38], v[3:4], -v[1:2]
	v_fma_f64 v[3:4], v[39:40], v[3:4], v[10:11]
	buffer_store_dword v1, off, s[0:3], 0 offset:640
	buffer_store_dword v2, off, s[0:3], 0 offset:644
	buffer_store_dword v3, off, s[0:3], 0 offset:648
	buffer_store_dword v4, off, s[0:3], 0 offset:652
	ds_read2_b64 v[10:13], v6 offset0:82 offset1:83
	s_waitcnt lgkmcnt(0)
	v_mul_f64 v[51:52], v[12:13], v[3:4]
	v_fma_f64 v[51:52], v[10:11], v[1:2], -v[51:52]
	v_mul_f64 v[10:11], v[10:11], v[3:4]
	v_fma_f64 v[10:11], v[12:13], v[1:2], v[10:11]
	s_waitcnt vmcnt(14)
	v_add_f64 v[12:13], v[14:15], -v[51:52]
	s_waitcnt vmcnt(12)
	v_add_f64 v[10:11], v[41:42], -v[10:11]
	buffer_store_dword v12, off, s[0:3], 0 offset:656
	buffer_store_dword v13, off, s[0:3], 0 offset:660
	buffer_store_dword v10, off, s[0:3], 0 offset:664
	buffer_store_dword v11, off, s[0:3], 0 offset:668
	ds_read2_b64 v[10:13], v6 offset0:84 offset1:85
	s_waitcnt lgkmcnt(0)
	v_mul_f64 v[14:15], v[12:13], v[3:4]
	v_fma_f64 v[14:15], v[10:11], v[1:2], -v[14:15]
	v_mul_f64 v[10:11], v[10:11], v[3:4]
	v_fma_f64 v[10:11], v[12:13], v[1:2], v[10:11]
	s_waitcnt vmcnt(14)
	v_add_f64 v[12:13], v[43:44], -v[14:15]
	s_waitcnt vmcnt(12)
	v_add_f64 v[10:11], v[45:46], -v[10:11]
	;; [unrolled: 14-line block ×3, first 2 shown]
	buffer_store_dword v13, off, s[0:3], 0 offset:692
	buffer_store_dword v12, off, s[0:3], 0 offset:688
	;; [unrolled: 1-line block ×4, first 2 shown]
	ds_read2_b64 v[10:13], v6 offset0:88 offset1:89
	s_waitcnt lgkmcnt(0)
	v_mul_f64 v[14:15], v[12:13], v[3:4]
	v_fma_f64 v[14:15], v[10:11], v[1:2], -v[14:15]
	v_mul_f64 v[10:11], v[10:11], v[3:4]
	v_fma_f64 v[10:11], v[12:13], v[1:2], v[10:11]
	buffer_load_dword v12, off, s[0:3], 0 offset:704
	buffer_load_dword v13, off, s[0:3], 0 offset:708
	;; [unrolled: 1-line block ×4, first 2 shown]
	s_waitcnt vmcnt(2)
	v_add_f64 v[12:13], v[12:13], -v[14:15]
	s_waitcnt vmcnt(0)
	v_add_f64 v[10:11], v[41:42], -v[10:11]
	buffer_store_dword v13, off, s[0:3], 0 offset:708
	buffer_store_dword v12, off, s[0:3], 0 offset:704
	;; [unrolled: 1-line block ×4, first 2 shown]
	ds_read2_b64 v[10:13], v6 offset0:90 offset1:91
	s_waitcnt lgkmcnt(0)
	v_mul_f64 v[14:15], v[12:13], v[3:4]
	v_fma_f64 v[14:15], v[10:11], v[1:2], -v[14:15]
	v_mul_f64 v[10:11], v[10:11], v[3:4]
	v_fma_f64 v[10:11], v[12:13], v[1:2], v[10:11]
	buffer_load_dword v12, off, s[0:3], 0 offset:720
	buffer_load_dword v13, off, s[0:3], 0 offset:724
	;; [unrolled: 1-line block ×4, first 2 shown]
	s_waitcnt vmcnt(2)
	v_add_f64 v[12:13], v[12:13], -v[14:15]
	s_waitcnt vmcnt(0)
	v_add_f64 v[10:11], v[41:42], -v[10:11]
	buffer_store_dword v13, off, s[0:3], 0 offset:724
	buffer_store_dword v12, off, s[0:3], 0 offset:720
	;; [unrolled: 1-line block ×4, first 2 shown]
	ds_read2_b64 v[10:13], v6 offset0:92 offset1:93
	s_waitcnt lgkmcnt(0)
	v_mul_f64 v[14:15], v[12:13], v[3:4]
	v_mul_f64 v[3:4], v[10:11], v[3:4]
	v_fma_f64 v[14:15], v[10:11], v[1:2], -v[14:15]
	v_fma_f64 v[1:2], v[12:13], v[1:2], v[3:4]
	buffer_load_dword v3, off, s[0:3], 0 offset:736
	buffer_load_dword v4, off, s[0:3], 0 offset:740
	;; [unrolled: 1-line block ×4, first 2 shown]
	s_waitcnt vmcnt(2)
	v_add_f64 v[3:4], v[3:4], -v[14:15]
	s_waitcnt vmcnt(0)
	v_add_f64 v[1:2], v[10:11], -v[1:2]
	buffer_store_dword v4, off, s[0:3], 0 offset:740
	buffer_store_dword v3, off, s[0:3], 0 offset:736
	;; [unrolled: 1-line block ×4, first 2 shown]
	ds_read2_b64 v[10:13], v6 offset0:94 offset1:95
	buffer_load_dword v1, off, s[0:3], 0 offset:640
	buffer_load_dword v2, off, s[0:3], 0 offset:644
	;; [unrolled: 1-line block ×4, first 2 shown]
	s_waitcnt vmcnt(0) lgkmcnt(0)
	v_mul_f64 v[14:15], v[12:13], v[3:4]
	v_fma_f64 v[14:15], v[10:11], v[1:2], -v[14:15]
	v_mul_f64 v[10:11], v[10:11], v[3:4]
	v_fma_f64 v[10:11], v[12:13], v[1:2], v[10:11]
	buffer_load_dword v13, off, s[0:3], 0 offset:756
	buffer_load_dword v12, off, s[0:3], 0 offset:752
	s_waitcnt vmcnt(0)
	v_add_f64 v[12:13], v[12:13], -v[14:15]
	buffer_load_dword v15, off, s[0:3], 0 offset:764
	buffer_load_dword v14, off, s[0:3], 0 offset:760
	s_waitcnt vmcnt(0)
	v_add_f64 v[10:11], v[14:15], -v[10:11]
	buffer_store_dword v13, off, s[0:3], 0 offset:756
	buffer_store_dword v12, off, s[0:3], 0 offset:752
	buffer_store_dword v11, off, s[0:3], 0 offset:764
	buffer_store_dword v10, off, s[0:3], 0 offset:760
	ds_read2_b64 v[10:13], v6 offset0:96 offset1:97
	s_waitcnt lgkmcnt(0)
	v_mul_f64 v[14:15], v[12:13], v[3:4]
	v_fma_f64 v[14:15], v[10:11], v[1:2], -v[14:15]
	v_mul_f64 v[10:11], v[10:11], v[3:4]
	v_fma_f64 v[10:11], v[12:13], v[1:2], v[10:11]
	buffer_load_dword v12, off, s[0:3], 0 offset:768
	buffer_load_dword v13, off, s[0:3], 0 offset:772
	buffer_load_dword v41, off, s[0:3], 0 offset:776
	buffer_load_dword v42, off, s[0:3], 0 offset:780
	s_waitcnt vmcnt(2)
	v_add_f64 v[12:13], v[12:13], -v[14:15]
	s_waitcnt vmcnt(0)
	v_add_f64 v[10:11], v[41:42], -v[10:11]
	buffer_store_dword v13, off, s[0:3], 0 offset:772
	buffer_store_dword v12, off, s[0:3], 0 offset:768
	buffer_store_dword v11, off, s[0:3], 0 offset:780
	buffer_store_dword v10, off, s[0:3], 0 offset:776
	ds_read2_b64 v[10:13], v6 offset0:98 offset1:99
	s_waitcnt lgkmcnt(0)
	v_mul_f64 v[14:15], v[12:13], v[3:4]
	v_fma_f64 v[14:15], v[10:11], v[1:2], -v[14:15]
	v_mul_f64 v[10:11], v[10:11], v[3:4]
	v_fma_f64 v[10:11], v[12:13], v[1:2], v[10:11]
	buffer_load_dword v12, off, s[0:3], 0 offset:784
	buffer_load_dword v13, off, s[0:3], 0 offset:788
	buffer_load_dword v41, off, s[0:3], 0 offset:792
	buffer_load_dword v42, off, s[0:3], 0 offset:796
	s_waitcnt vmcnt(2)
	v_add_f64 v[12:13], v[12:13], -v[14:15]
	;; [unrolled: 18-line block ×4, first 2 shown]
	s_waitcnt vmcnt(0)
	v_add_f64 v[10:11], v[41:42], -v[10:11]
	buffer_store_dword v13, off, s[0:3], 0 offset:820
	buffer_store_dword v12, off, s[0:3], 0 offset:816
	;; [unrolled: 1-line block ×4, first 2 shown]
	ds_read2_b64 v[10:13], v6 offset0:104 offset1:105
	s_waitcnt lgkmcnt(0)
	v_mul_f64 v[14:15], v[12:13], v[3:4]
	v_mul_f64 v[3:4], v[10:11], v[3:4]
	v_fma_f64 v[14:15], v[10:11], v[1:2], -v[14:15]
	v_fma_f64 v[1:2], v[12:13], v[1:2], v[3:4]
	buffer_load_dword v3, off, s[0:3], 0 offset:832
	buffer_load_dword v4, off, s[0:3], 0 offset:836
	;; [unrolled: 1-line block ×4, first 2 shown]
	s_waitcnt vmcnt(2)
	v_add_f64 v[3:4], v[3:4], -v[14:15]
	s_waitcnt vmcnt(0)
	v_add_f64 v[1:2], v[10:11], -v[1:2]
	buffer_store_dword v4, off, s[0:3], 0 offset:836
	buffer_store_dword v3, off, s[0:3], 0 offset:832
	;; [unrolled: 1-line block ×4, first 2 shown]
	ds_read2_b64 v[10:13], v6 offset0:106 offset1:107
	buffer_load_dword v1, off, s[0:3], 0 offset:640
	buffer_load_dword v2, off, s[0:3], 0 offset:644
	;; [unrolled: 1-line block ×4, first 2 shown]
	s_waitcnt vmcnt(0) lgkmcnt(0)
	v_mul_f64 v[14:15], v[12:13], v[3:4]
	v_fma_f64 v[14:15], v[10:11], v[1:2], -v[14:15]
	v_mul_f64 v[10:11], v[10:11], v[3:4]
	v_fma_f64 v[10:11], v[12:13], v[1:2], v[10:11]
	buffer_load_dword v13, off, s[0:3], 0 offset:852
	buffer_load_dword v12, off, s[0:3], 0 offset:848
	s_waitcnt vmcnt(0)
	v_add_f64 v[12:13], v[12:13], -v[14:15]
	buffer_load_dword v15, off, s[0:3], 0 offset:860
	buffer_load_dword v14, off, s[0:3], 0 offset:856
	s_waitcnt vmcnt(0)
	v_add_f64 v[10:11], v[14:15], -v[10:11]
	buffer_store_dword v13, off, s[0:3], 0 offset:852
	buffer_store_dword v12, off, s[0:3], 0 offset:848
	buffer_store_dword v11, off, s[0:3], 0 offset:860
	buffer_store_dword v10, off, s[0:3], 0 offset:856
	ds_read2_b64 v[10:13], v6 offset0:108 offset1:109
	s_waitcnt lgkmcnt(0)
	v_mul_f64 v[14:15], v[12:13], v[3:4]
	v_fma_f64 v[14:15], v[10:11], v[1:2], -v[14:15]
	v_mul_f64 v[10:11], v[10:11], v[3:4]
	v_fma_f64 v[10:11], v[12:13], v[1:2], v[10:11]
	buffer_load_dword v12, off, s[0:3], 0 offset:864
	buffer_load_dword v13, off, s[0:3], 0 offset:868
	buffer_load_dword v41, off, s[0:3], 0 offset:872
	buffer_load_dword v42, off, s[0:3], 0 offset:876
	s_waitcnt vmcnt(2)
	v_add_f64 v[12:13], v[12:13], -v[14:15]
	s_waitcnt vmcnt(0)
	v_add_f64 v[10:11], v[41:42], -v[10:11]
	buffer_store_dword v13, off, s[0:3], 0 offset:868
	buffer_store_dword v12, off, s[0:3], 0 offset:864
	buffer_store_dword v11, off, s[0:3], 0 offset:876
	buffer_store_dword v10, off, s[0:3], 0 offset:872
	ds_read2_b64 v[10:13], v6 offset0:110 offset1:111
	s_waitcnt lgkmcnt(0)
	v_mul_f64 v[14:15], v[12:13], v[3:4]
	v_fma_f64 v[14:15], v[10:11], v[1:2], -v[14:15]
	v_mul_f64 v[10:11], v[10:11], v[3:4]
	v_fma_f64 v[10:11], v[12:13], v[1:2], v[10:11]
	buffer_load_dword v12, off, s[0:3], 0 offset:880
	buffer_load_dword v13, off, s[0:3], 0 offset:884
	buffer_load_dword v41, off, s[0:3], 0 offset:888
	buffer_load_dword v42, off, s[0:3], 0 offset:892
	s_waitcnt vmcnt(2)
	v_add_f64 v[12:13], v[12:13], -v[14:15]
	s_waitcnt vmcnt(0)
	v_add_f64 v[10:11], v[41:42], -v[10:11]
	buffer_store_dword v13, off, s[0:3], 0 offset:884
	buffer_store_dword v12, off, s[0:3], 0 offset:880
	buffer_store_dword v11, off, s[0:3], 0 offset:892
	buffer_store_dword v10, off, s[0:3], 0 offset:888
	ds_read2_b64 v[10:13], v6 offset0:112 offset1:113
	s_waitcnt lgkmcnt(0)
	v_mul_f64 v[14:15], v[12:13], v[3:4]
	v_fma_f64 v[14:15], v[10:11], v[1:2], -v[14:15]
	v_mul_f64 v[10:11], v[10:11], v[3:4]
	v_fma_f64 v[10:11], v[12:13], v[1:2], v[10:11]
	buffer_load_dword v12, off, s[0:3], 0 offset:896
	buffer_load_dword v13, off, s[0:3], 0 offset:900
	buffer_load_dword v41, off, s[0:3], 0 offset:904
	buffer_load_dword v42, off, s[0:3], 0 offset:908
	s_waitcnt vmcnt(2)
	v_add_f64 v[12:13], v[12:13], -v[14:15]
	s_waitcnt vmcnt(0)
	v_add_f64 v[10:11], v[41:42], -v[10:11]
	buffer_store_dword v13, off, s[0:3], 0 offset:900
	buffer_store_dword v12, off, s[0:3], 0 offset:896
	buffer_store_dword v11, off, s[0:3], 0 offset:908
	buffer_store_dword v10, off, s[0:3], 0 offset:904
	ds_read2_b64 v[10:13], v6 offset0:114 offset1:115
	s_waitcnt lgkmcnt(0)
	v_mul_f64 v[14:15], v[12:13], v[3:4]
	v_fma_f64 v[14:15], v[10:11], v[1:2], -v[14:15]
	v_mul_f64 v[10:11], v[10:11], v[3:4]
	v_fma_f64 v[10:11], v[12:13], v[1:2], v[10:11]
	buffer_load_dword v12, off, s[0:3], 0 offset:912
	buffer_load_dword v13, off, s[0:3], 0 offset:916
	buffer_load_dword v41, off, s[0:3], 0 offset:920
	buffer_load_dword v42, off, s[0:3], 0 offset:924
	s_waitcnt vmcnt(2)
	v_add_f64 v[12:13], v[12:13], -v[14:15]
	s_waitcnt vmcnt(0)
	v_add_f64 v[10:11], v[41:42], -v[10:11]
	buffer_store_dword v13, off, s[0:3], 0 offset:916
	buffer_store_dword v12, off, s[0:3], 0 offset:912
	buffer_store_dword v11, off, s[0:3], 0 offset:924
	buffer_store_dword v10, off, s[0:3], 0 offset:920
	ds_read2_b64 v[10:13], v6 offset0:116 offset1:117
	s_waitcnt lgkmcnt(0)
	v_mul_f64 v[14:15], v[12:13], v[3:4]
	v_mul_f64 v[3:4], v[10:11], v[3:4]
	v_fma_f64 v[14:15], v[10:11], v[1:2], -v[14:15]
	v_fma_f64 v[1:2], v[12:13], v[1:2], v[3:4]
	buffer_load_dword v3, off, s[0:3], 0 offset:928
	buffer_load_dword v4, off, s[0:3], 0 offset:932
	;; [unrolled: 1-line block ×4, first 2 shown]
	s_waitcnt vmcnt(2)
	v_add_f64 v[3:4], v[3:4], -v[14:15]
	s_waitcnt vmcnt(0)
	v_add_f64 v[1:2], v[10:11], -v[1:2]
	buffer_store_dword v4, off, s[0:3], 0 offset:932
	buffer_store_dword v3, off, s[0:3], 0 offset:928
	;; [unrolled: 1-line block ×4, first 2 shown]
	ds_read2_b64 v[1:4], v6 offset0:118 offset1:119
	buffer_load_dword v41, off, s[0:3], 0 offset:640
	buffer_load_dword v42, off, s[0:3], 0 offset:644
	;; [unrolled: 1-line block ×4, first 2 shown]
	s_waitcnt vmcnt(0) lgkmcnt(0)
	v_mul_f64 v[10:11], v[3:4], v[43:44]
	v_fma_f64 v[45:46], v[1:2], v[41:42], -v[10:11]
	v_mul_f64 v[1:2], v[1:2], v[43:44]
	v_fma_f64 v[1:2], v[3:4], v[41:42], v[1:2]
	buffer_load_dword v4, off, s[0:3], 0 offset:948
	buffer_load_dword v3, off, s[0:3], 0 offset:944
	buffer_load_dword v11, off, s[0:3], 0 offset:956
	buffer_load_dword v10, off, s[0:3], 0 offset:952
	s_waitcnt vmcnt(2)
	v_add_f64 v[3:4], v[3:4], -v[45:46]
	s_waitcnt vmcnt(0)
	v_add_f64 v[1:2], v[10:11], -v[1:2]
	buffer_store_dword v4, off, s[0:3], 0 offset:948
	buffer_store_dword v3, off, s[0:3], 0 offset:944
	buffer_store_dword v2, off, s[0:3], 0 offset:956
	buffer_store_dword v1, off, s[0:3], 0 offset:952
	ds_read2_b64 v[1:4], v6 offset0:120 offset1:121
	s_waitcnt lgkmcnt(0)
	v_mul_f64 v[10:11], v[3:4], v[43:44]
	v_fma_f64 v[10:11], v[1:2], v[41:42], -v[10:11]
	v_mul_f64 v[1:2], v[1:2], v[43:44]
	v_fma_f64 v[1:2], v[3:4], v[41:42], v[1:2]
	buffer_load_dword v3, off, s[0:3], 0 offset:960
	buffer_load_dword v4, off, s[0:3], 0 offset:964
	buffer_load_dword v12, off, s[0:3], 0 offset:968
	buffer_load_dword v13, off, s[0:3], 0 offset:972
	s_waitcnt vmcnt(2)
	v_add_f64 v[3:4], v[3:4], -v[10:11]
	s_waitcnt vmcnt(0)
	v_add_f64 v[1:2], v[12:13], -v[1:2]
	buffer_store_dword v4, off, s[0:3], 0 offset:964
	buffer_store_dword v3, off, s[0:3], 0 offset:960
	buffer_store_dword v2, off, s[0:3], 0 offset:972
	buffer_store_dword v1, off, s[0:3], 0 offset:968
	ds_read2_b64 v[1:4], v6 offset0:122 offset1:123
	s_waitcnt lgkmcnt(0)
	;; [unrolled: 18-line block ×3, first 2 shown]
	v_mul_f64 v[1:2], v[12:13], v[43:44]
	v_fma_f64 v[3:4], v[10:11], v[41:42], -v[1:2]
	v_mul_f64 v[1:2], v[10:11], v[43:44]
	v_fma_f64 v[1:2], v[12:13], v[41:42], v[1:2]
	buffer_load_dword v10, off, s[0:3], 0 offset:992
	buffer_load_dword v11, off, s[0:3], 0 offset:996
	;; [unrolled: 1-line block ×4, first 2 shown]
	s_waitcnt vmcnt(2)
	v_add_f64 v[3:4], v[10:11], -v[3:4]
	s_waitcnt vmcnt(0)
	v_add_f64 v[1:2], v[12:13], -v[1:2]
	buffer_store_dword v4, off, s[0:3], 0 offset:996
	buffer_store_dword v3, off, s[0:3], 0 offset:992
	buffer_store_dword v2, off, s[0:3], 0 offset:1004
	buffer_store_dword v1, off, s[0:3], 0 offset:1000
.LBB125_485:
	s_or_b64 exec, exec, s[6:7]
	v_cmp_eq_u32_e32 vcc, 41, v0
	s_waitcnt vmcnt(0) lgkmcnt(0)
	s_barrier
	s_and_saveexec_b64 s[8:9], vcc
	s_cbranch_execz .LBB125_492
; %bb.486:
	v_mov_b32_e32 v4, s37
	buffer_load_dword v1, v4, s[0:3], 0 offen
	buffer_load_dword v2, v4, s[0:3], 0 offen offset:4
	buffer_load_dword v3, v4, s[0:3], 0 offen offset:8
	s_nop 0
	buffer_load_dword v4, v4, s[0:3], 0 offen offset:12
	s_waitcnt vmcnt(0)
	ds_write2_b64 v125, v[1:2], v[3:4] offset1:1
	v_mov_b32_e32 v4, s36
	buffer_load_dword v1, v4, s[0:3], 0 offen
	buffer_load_dword v2, v4, s[0:3], 0 offen offset:4
	buffer_load_dword v3, v4, s[0:3], 0 offen offset:8
	s_nop 0
	buffer_load_dword v4, v4, s[0:3], 0 offen offset:12
	s_waitcnt vmcnt(0)
	ds_write2_b64 v6, v[1:2], v[3:4] offset0:84 offset1:85
	v_mov_b32_e32 v4, s35
	buffer_load_dword v1, v4, s[0:3], 0 offen
	buffer_load_dword v2, v4, s[0:3], 0 offen offset:4
	buffer_load_dword v3, v4, s[0:3], 0 offen offset:8
	s_nop 0
	buffer_load_dword v4, v4, s[0:3], 0 offen offset:12
	s_waitcnt vmcnt(0)
	ds_write2_b64 v6, v[1:2], v[3:4] offset0:86 offset1:87
	;; [unrolled: 8-line block ×21, first 2 shown]
	ds_read2_b64 v[1:4], v125 offset1:1
	s_waitcnt lgkmcnt(0)
	v_cmp_neq_f64_e32 vcc, 0, v[1:2]
	v_cmp_neq_f64_e64 s[6:7], 0, v[3:4]
	s_or_b64 s[6:7], vcc, s[6:7]
	s_and_b64 exec, exec, s[6:7]
	s_cbranch_execz .LBB125_492
; %bb.487:
	v_cmp_ngt_f64_e64 s[6:7], |v[1:2]|, |v[3:4]|
                                        ; implicit-def: $vgpr10_vgpr11
	s_and_saveexec_b64 s[10:11], s[6:7]
	s_xor_b64 s[6:7], exec, s[10:11]
                                        ; implicit-def: $vgpr12_vgpr13
	s_cbranch_execz .LBB125_489
; %bb.488:
	v_div_scale_f64 v[10:11], s[10:11], v[3:4], v[3:4], v[1:2]
	v_rcp_f64_e32 v[12:13], v[10:11]
	v_fma_f64 v[14:15], -v[10:11], v[12:13], 1.0
	v_fma_f64 v[12:13], v[12:13], v[14:15], v[12:13]
	v_div_scale_f64 v[14:15], vcc, v[1:2], v[3:4], v[1:2]
	v_fma_f64 v[41:42], -v[10:11], v[12:13], 1.0
	v_fma_f64 v[12:13], v[12:13], v[41:42], v[12:13]
	v_mul_f64 v[41:42], v[14:15], v[12:13]
	v_fma_f64 v[10:11], -v[10:11], v[41:42], v[14:15]
	v_div_fmas_f64 v[10:11], v[10:11], v[12:13], v[41:42]
	v_div_fixup_f64 v[10:11], v[10:11], v[3:4], v[1:2]
	v_fma_f64 v[1:2], v[1:2], v[10:11], v[3:4]
	v_div_scale_f64 v[3:4], s[10:11], v[1:2], v[1:2], 1.0
	v_div_scale_f64 v[41:42], vcc, 1.0, v[1:2], 1.0
	v_rcp_f64_e32 v[12:13], v[3:4]
	v_fma_f64 v[14:15], -v[3:4], v[12:13], 1.0
	v_fma_f64 v[12:13], v[12:13], v[14:15], v[12:13]
	v_fma_f64 v[14:15], -v[3:4], v[12:13], 1.0
	v_fma_f64 v[12:13], v[12:13], v[14:15], v[12:13]
	v_mul_f64 v[14:15], v[41:42], v[12:13]
	v_fma_f64 v[3:4], -v[3:4], v[14:15], v[41:42]
	v_div_fmas_f64 v[3:4], v[3:4], v[12:13], v[14:15]
	v_div_fixup_f64 v[12:13], v[3:4], v[1:2], 1.0
                                        ; implicit-def: $vgpr1_vgpr2
	v_mul_f64 v[10:11], v[10:11], v[12:13]
	v_xor_b32_e32 v13, 0x80000000, v13
.LBB125_489:
	s_andn2_saveexec_b64 s[6:7], s[6:7]
	s_cbranch_execz .LBB125_491
; %bb.490:
	v_div_scale_f64 v[10:11], s[10:11], v[1:2], v[1:2], v[3:4]
	v_rcp_f64_e32 v[12:13], v[10:11]
	v_fma_f64 v[14:15], -v[10:11], v[12:13], 1.0
	v_fma_f64 v[12:13], v[12:13], v[14:15], v[12:13]
	v_div_scale_f64 v[14:15], vcc, v[3:4], v[1:2], v[3:4]
	v_fma_f64 v[41:42], -v[10:11], v[12:13], 1.0
	v_fma_f64 v[12:13], v[12:13], v[41:42], v[12:13]
	v_mul_f64 v[41:42], v[14:15], v[12:13]
	v_fma_f64 v[10:11], -v[10:11], v[41:42], v[14:15]
	v_div_fmas_f64 v[10:11], v[10:11], v[12:13], v[41:42]
	v_div_fixup_f64 v[12:13], v[10:11], v[1:2], v[3:4]
	v_fma_f64 v[1:2], v[3:4], v[12:13], v[1:2]
	v_div_scale_f64 v[3:4], s[10:11], v[1:2], v[1:2], 1.0
	v_div_scale_f64 v[41:42], vcc, 1.0, v[1:2], 1.0
	v_rcp_f64_e32 v[10:11], v[3:4]
	v_fma_f64 v[14:15], -v[3:4], v[10:11], 1.0
	v_fma_f64 v[10:11], v[10:11], v[14:15], v[10:11]
	v_fma_f64 v[14:15], -v[3:4], v[10:11], 1.0
	v_fma_f64 v[10:11], v[10:11], v[14:15], v[10:11]
	v_mul_f64 v[14:15], v[41:42], v[10:11]
	v_fma_f64 v[3:4], -v[3:4], v[14:15], v[41:42]
	v_div_fmas_f64 v[3:4], v[3:4], v[10:11], v[14:15]
	v_div_fixup_f64 v[10:11], v[3:4], v[1:2], 1.0
	v_mul_f64 v[12:13], v[12:13], -v[10:11]
.LBB125_491:
	s_or_b64 exec, exec, s[6:7]
	ds_write2_b64 v125, v[10:11], v[12:13] offset1:1
.LBB125_492:
	s_or_b64 exec, exec, s[8:9]
	s_waitcnt lgkmcnt(0)
	s_barrier
	ds_read2_b64 v[41:44], v125 offset1:1
	v_cmp_lt_u32_e32 vcc, 41, v0
	s_and_saveexec_b64 s[6:7], vcc
	s_cbranch_execz .LBB125_494
; %bb.493:
	buffer_load_dword v3, off, s[0:3], 0 offset:656
	buffer_load_dword v4, off, s[0:3], 0 offset:660
	;; [unrolled: 1-line block ×16, first 2 shown]
	s_waitcnt vmcnt(12) lgkmcnt(0)
	v_mul_f64 v[1:2], v[43:44], v[10:11]
	v_mul_f64 v[10:11], v[41:42], v[10:11]
	v_fma_f64 v[1:2], v[41:42], v[3:4], -v[1:2]
	v_fma_f64 v[3:4], v[43:44], v[3:4], v[10:11]
	buffer_store_dword v1, off, s[0:3], 0 offset:656
	buffer_store_dword v2, off, s[0:3], 0 offset:660
	buffer_store_dword v3, off, s[0:3], 0 offset:664
	buffer_store_dword v4, off, s[0:3], 0 offset:668
	ds_read2_b64 v[10:13], v6 offset0:84 offset1:85
	s_waitcnt lgkmcnt(0)
	v_mul_f64 v[55:56], v[12:13], v[3:4]
	v_fma_f64 v[55:56], v[10:11], v[1:2], -v[55:56]
	v_mul_f64 v[10:11], v[10:11], v[3:4]
	v_fma_f64 v[10:11], v[12:13], v[1:2], v[10:11]
	s_waitcnt vmcnt(14)
	v_add_f64 v[12:13], v[14:15], -v[55:56]
	s_waitcnt vmcnt(12)
	v_add_f64 v[10:11], v[45:46], -v[10:11]
	buffer_store_dword v12, off, s[0:3], 0 offset:672
	buffer_store_dword v13, off, s[0:3], 0 offset:676
	buffer_store_dword v10, off, s[0:3], 0 offset:680
	buffer_store_dword v11, off, s[0:3], 0 offset:684
	ds_read2_b64 v[10:13], v6 offset0:86 offset1:87
	s_waitcnt lgkmcnt(0)
	v_mul_f64 v[14:15], v[12:13], v[3:4]
	v_fma_f64 v[14:15], v[10:11], v[1:2], -v[14:15]
	v_mul_f64 v[10:11], v[10:11], v[3:4]
	v_fma_f64 v[10:11], v[12:13], v[1:2], v[10:11]
	s_waitcnt vmcnt(14)
	v_add_f64 v[12:13], v[47:48], -v[14:15]
	s_waitcnt vmcnt(12)
	v_add_f64 v[10:11], v[49:50], -v[10:11]
	buffer_store_dword v12, off, s[0:3], 0 offset:688
	buffer_store_dword v13, off, s[0:3], 0 offset:692
	buffer_store_dword v10, off, s[0:3], 0 offset:696
	buffer_store_dword v11, off, s[0:3], 0 offset:700
	ds_read2_b64 v[10:13], v6 offset0:88 offset1:89
	s_waitcnt lgkmcnt(0)
	v_mul_f64 v[14:15], v[12:13], v[3:4]
	v_fma_f64 v[14:15], v[10:11], v[1:2], -v[14:15]
	v_mul_f64 v[10:11], v[10:11], v[3:4]
	v_fma_f64 v[10:11], v[12:13], v[1:2], v[10:11]
	s_waitcnt vmcnt(14)
	v_add_f64 v[12:13], v[51:52], -v[14:15]
	s_waitcnt vmcnt(12)
	v_add_f64 v[10:11], v[53:54], -v[10:11]
	buffer_store_dword v13, off, s[0:3], 0 offset:708
	buffer_store_dword v12, off, s[0:3], 0 offset:704
	;; [unrolled: 1-line block ×4, first 2 shown]
	ds_read2_b64 v[10:13], v6 offset0:90 offset1:91
	s_waitcnt lgkmcnt(0)
	v_mul_f64 v[14:15], v[12:13], v[3:4]
	v_fma_f64 v[14:15], v[10:11], v[1:2], -v[14:15]
	v_mul_f64 v[10:11], v[10:11], v[3:4]
	v_fma_f64 v[10:11], v[12:13], v[1:2], v[10:11]
	buffer_load_dword v12, off, s[0:3], 0 offset:720
	buffer_load_dword v13, off, s[0:3], 0 offset:724
	;; [unrolled: 1-line block ×4, first 2 shown]
	s_waitcnt vmcnt(2)
	v_add_f64 v[12:13], v[12:13], -v[14:15]
	s_waitcnt vmcnt(0)
	v_add_f64 v[10:11], v[45:46], -v[10:11]
	buffer_store_dword v13, off, s[0:3], 0 offset:724
	buffer_store_dword v12, off, s[0:3], 0 offset:720
	;; [unrolled: 1-line block ×4, first 2 shown]
	ds_read2_b64 v[10:13], v6 offset0:92 offset1:93
	s_waitcnt lgkmcnt(0)
	v_mul_f64 v[14:15], v[12:13], v[3:4]
	v_fma_f64 v[14:15], v[10:11], v[1:2], -v[14:15]
	v_mul_f64 v[10:11], v[10:11], v[3:4]
	v_fma_f64 v[10:11], v[12:13], v[1:2], v[10:11]
	buffer_load_dword v12, off, s[0:3], 0 offset:736
	buffer_load_dword v13, off, s[0:3], 0 offset:740
	;; [unrolled: 1-line block ×4, first 2 shown]
	s_waitcnt vmcnt(2)
	v_add_f64 v[12:13], v[12:13], -v[14:15]
	s_waitcnt vmcnt(0)
	v_add_f64 v[10:11], v[45:46], -v[10:11]
	buffer_store_dword v13, off, s[0:3], 0 offset:740
	buffer_store_dword v12, off, s[0:3], 0 offset:736
	;; [unrolled: 1-line block ×4, first 2 shown]
	ds_read2_b64 v[10:13], v6 offset0:94 offset1:95
	s_waitcnt lgkmcnt(0)
	v_mul_f64 v[14:15], v[12:13], v[3:4]
	v_mul_f64 v[3:4], v[10:11], v[3:4]
	v_fma_f64 v[14:15], v[10:11], v[1:2], -v[14:15]
	v_fma_f64 v[1:2], v[12:13], v[1:2], v[3:4]
	buffer_load_dword v3, off, s[0:3], 0 offset:752
	buffer_load_dword v4, off, s[0:3], 0 offset:756
	;; [unrolled: 1-line block ×4, first 2 shown]
	s_waitcnt vmcnt(2)
	v_add_f64 v[3:4], v[3:4], -v[14:15]
	s_waitcnt vmcnt(0)
	v_add_f64 v[1:2], v[10:11], -v[1:2]
	buffer_store_dword v4, off, s[0:3], 0 offset:756
	buffer_store_dword v3, off, s[0:3], 0 offset:752
	;; [unrolled: 1-line block ×4, first 2 shown]
	ds_read2_b64 v[10:13], v6 offset0:96 offset1:97
	buffer_load_dword v1, off, s[0:3], 0 offset:656
	buffer_load_dword v2, off, s[0:3], 0 offset:660
	;; [unrolled: 1-line block ×4, first 2 shown]
	s_waitcnt vmcnt(0) lgkmcnt(0)
	v_mul_f64 v[14:15], v[12:13], v[3:4]
	v_fma_f64 v[14:15], v[10:11], v[1:2], -v[14:15]
	v_mul_f64 v[10:11], v[10:11], v[3:4]
	v_fma_f64 v[10:11], v[12:13], v[1:2], v[10:11]
	buffer_load_dword v13, off, s[0:3], 0 offset:772
	buffer_load_dword v12, off, s[0:3], 0 offset:768
	s_waitcnt vmcnt(0)
	v_add_f64 v[12:13], v[12:13], -v[14:15]
	buffer_load_dword v15, off, s[0:3], 0 offset:780
	buffer_load_dword v14, off, s[0:3], 0 offset:776
	s_waitcnt vmcnt(0)
	v_add_f64 v[10:11], v[14:15], -v[10:11]
	buffer_store_dword v13, off, s[0:3], 0 offset:772
	buffer_store_dword v12, off, s[0:3], 0 offset:768
	buffer_store_dword v11, off, s[0:3], 0 offset:780
	buffer_store_dword v10, off, s[0:3], 0 offset:776
	ds_read2_b64 v[10:13], v6 offset0:98 offset1:99
	s_waitcnt lgkmcnt(0)
	v_mul_f64 v[14:15], v[12:13], v[3:4]
	v_fma_f64 v[14:15], v[10:11], v[1:2], -v[14:15]
	v_mul_f64 v[10:11], v[10:11], v[3:4]
	v_fma_f64 v[10:11], v[12:13], v[1:2], v[10:11]
	buffer_load_dword v12, off, s[0:3], 0 offset:784
	buffer_load_dword v13, off, s[0:3], 0 offset:788
	buffer_load_dword v45, off, s[0:3], 0 offset:792
	buffer_load_dword v46, off, s[0:3], 0 offset:796
	s_waitcnt vmcnt(2)
	v_add_f64 v[12:13], v[12:13], -v[14:15]
	s_waitcnt vmcnt(0)
	v_add_f64 v[10:11], v[45:46], -v[10:11]
	buffer_store_dword v13, off, s[0:3], 0 offset:788
	buffer_store_dword v12, off, s[0:3], 0 offset:784
	buffer_store_dword v11, off, s[0:3], 0 offset:796
	buffer_store_dword v10, off, s[0:3], 0 offset:792
	ds_read2_b64 v[10:13], v6 offset0:100 offset1:101
	s_waitcnt lgkmcnt(0)
	v_mul_f64 v[14:15], v[12:13], v[3:4]
	v_fma_f64 v[14:15], v[10:11], v[1:2], -v[14:15]
	v_mul_f64 v[10:11], v[10:11], v[3:4]
	v_fma_f64 v[10:11], v[12:13], v[1:2], v[10:11]
	buffer_load_dword v12, off, s[0:3], 0 offset:800
	buffer_load_dword v13, off, s[0:3], 0 offset:804
	buffer_load_dword v45, off, s[0:3], 0 offset:808
	buffer_load_dword v46, off, s[0:3], 0 offset:812
	s_waitcnt vmcnt(2)
	v_add_f64 v[12:13], v[12:13], -v[14:15]
	;; [unrolled: 18-line block ×4, first 2 shown]
	s_waitcnt vmcnt(0)
	v_add_f64 v[10:11], v[45:46], -v[10:11]
	buffer_store_dword v13, off, s[0:3], 0 offset:836
	buffer_store_dword v12, off, s[0:3], 0 offset:832
	;; [unrolled: 1-line block ×4, first 2 shown]
	ds_read2_b64 v[10:13], v6 offset0:106 offset1:107
	s_waitcnt lgkmcnt(0)
	v_mul_f64 v[14:15], v[12:13], v[3:4]
	v_mul_f64 v[3:4], v[10:11], v[3:4]
	v_fma_f64 v[14:15], v[10:11], v[1:2], -v[14:15]
	v_fma_f64 v[1:2], v[12:13], v[1:2], v[3:4]
	buffer_load_dword v3, off, s[0:3], 0 offset:848
	buffer_load_dword v4, off, s[0:3], 0 offset:852
	;; [unrolled: 1-line block ×4, first 2 shown]
	s_waitcnt vmcnt(2)
	v_add_f64 v[3:4], v[3:4], -v[14:15]
	s_waitcnt vmcnt(0)
	v_add_f64 v[1:2], v[10:11], -v[1:2]
	buffer_store_dword v4, off, s[0:3], 0 offset:852
	buffer_store_dword v3, off, s[0:3], 0 offset:848
	;; [unrolled: 1-line block ×4, first 2 shown]
	ds_read2_b64 v[10:13], v6 offset0:108 offset1:109
	buffer_load_dword v1, off, s[0:3], 0 offset:656
	buffer_load_dword v2, off, s[0:3], 0 offset:660
	;; [unrolled: 1-line block ×4, first 2 shown]
	s_waitcnt vmcnt(0) lgkmcnt(0)
	v_mul_f64 v[14:15], v[12:13], v[3:4]
	v_fma_f64 v[14:15], v[10:11], v[1:2], -v[14:15]
	v_mul_f64 v[10:11], v[10:11], v[3:4]
	v_fma_f64 v[10:11], v[12:13], v[1:2], v[10:11]
	buffer_load_dword v13, off, s[0:3], 0 offset:868
	buffer_load_dword v12, off, s[0:3], 0 offset:864
	s_waitcnt vmcnt(0)
	v_add_f64 v[12:13], v[12:13], -v[14:15]
	buffer_load_dword v15, off, s[0:3], 0 offset:876
	buffer_load_dword v14, off, s[0:3], 0 offset:872
	s_waitcnt vmcnt(0)
	v_add_f64 v[10:11], v[14:15], -v[10:11]
	buffer_store_dword v13, off, s[0:3], 0 offset:868
	buffer_store_dword v12, off, s[0:3], 0 offset:864
	buffer_store_dword v11, off, s[0:3], 0 offset:876
	buffer_store_dword v10, off, s[0:3], 0 offset:872
	ds_read2_b64 v[10:13], v6 offset0:110 offset1:111
	s_waitcnt lgkmcnt(0)
	v_mul_f64 v[14:15], v[12:13], v[3:4]
	v_fma_f64 v[14:15], v[10:11], v[1:2], -v[14:15]
	v_mul_f64 v[10:11], v[10:11], v[3:4]
	v_fma_f64 v[10:11], v[12:13], v[1:2], v[10:11]
	buffer_load_dword v12, off, s[0:3], 0 offset:880
	buffer_load_dword v13, off, s[0:3], 0 offset:884
	buffer_load_dword v45, off, s[0:3], 0 offset:888
	buffer_load_dword v46, off, s[0:3], 0 offset:892
	s_waitcnt vmcnt(2)
	v_add_f64 v[12:13], v[12:13], -v[14:15]
	s_waitcnt vmcnt(0)
	v_add_f64 v[10:11], v[45:46], -v[10:11]
	buffer_store_dword v13, off, s[0:3], 0 offset:884
	buffer_store_dword v12, off, s[0:3], 0 offset:880
	buffer_store_dword v11, off, s[0:3], 0 offset:892
	buffer_store_dword v10, off, s[0:3], 0 offset:888
	ds_read2_b64 v[10:13], v6 offset0:112 offset1:113
	s_waitcnt lgkmcnt(0)
	v_mul_f64 v[14:15], v[12:13], v[3:4]
	v_fma_f64 v[14:15], v[10:11], v[1:2], -v[14:15]
	v_mul_f64 v[10:11], v[10:11], v[3:4]
	v_fma_f64 v[10:11], v[12:13], v[1:2], v[10:11]
	buffer_load_dword v12, off, s[0:3], 0 offset:896
	buffer_load_dword v13, off, s[0:3], 0 offset:900
	buffer_load_dword v45, off, s[0:3], 0 offset:904
	buffer_load_dword v46, off, s[0:3], 0 offset:908
	s_waitcnt vmcnt(2)
	v_add_f64 v[12:13], v[12:13], -v[14:15]
	s_waitcnt vmcnt(0)
	v_add_f64 v[10:11], v[45:46], -v[10:11]
	buffer_store_dword v13, off, s[0:3], 0 offset:900
	buffer_store_dword v12, off, s[0:3], 0 offset:896
	buffer_store_dword v11, off, s[0:3], 0 offset:908
	buffer_store_dword v10, off, s[0:3], 0 offset:904
	ds_read2_b64 v[10:13], v6 offset0:114 offset1:115
	s_waitcnt lgkmcnt(0)
	v_mul_f64 v[14:15], v[12:13], v[3:4]
	v_fma_f64 v[14:15], v[10:11], v[1:2], -v[14:15]
	v_mul_f64 v[10:11], v[10:11], v[3:4]
	v_fma_f64 v[10:11], v[12:13], v[1:2], v[10:11]
	buffer_load_dword v12, off, s[0:3], 0 offset:912
	buffer_load_dword v13, off, s[0:3], 0 offset:916
	buffer_load_dword v45, off, s[0:3], 0 offset:920
	buffer_load_dword v46, off, s[0:3], 0 offset:924
	s_waitcnt vmcnt(2)
	v_add_f64 v[12:13], v[12:13], -v[14:15]
	s_waitcnt vmcnt(0)
	v_add_f64 v[10:11], v[45:46], -v[10:11]
	buffer_store_dword v13, off, s[0:3], 0 offset:916
	buffer_store_dword v12, off, s[0:3], 0 offset:912
	buffer_store_dword v11, off, s[0:3], 0 offset:924
	buffer_store_dword v10, off, s[0:3], 0 offset:920
	ds_read2_b64 v[10:13], v6 offset0:116 offset1:117
	s_waitcnt lgkmcnt(0)
	v_mul_f64 v[14:15], v[12:13], v[3:4]
	v_fma_f64 v[14:15], v[10:11], v[1:2], -v[14:15]
	v_mul_f64 v[10:11], v[10:11], v[3:4]
	v_fma_f64 v[10:11], v[12:13], v[1:2], v[10:11]
	buffer_load_dword v12, off, s[0:3], 0 offset:928
	buffer_load_dword v13, off, s[0:3], 0 offset:932
	buffer_load_dword v45, off, s[0:3], 0 offset:936
	buffer_load_dword v46, off, s[0:3], 0 offset:940
	s_waitcnt vmcnt(2)
	v_add_f64 v[12:13], v[12:13], -v[14:15]
	s_waitcnt vmcnt(0)
	v_add_f64 v[10:11], v[45:46], -v[10:11]
	buffer_store_dword v13, off, s[0:3], 0 offset:932
	buffer_store_dword v12, off, s[0:3], 0 offset:928
	;; [unrolled: 1-line block ×4, first 2 shown]
	ds_read2_b64 v[10:13], v6 offset0:118 offset1:119
	s_waitcnt lgkmcnt(0)
	v_mul_f64 v[14:15], v[12:13], v[3:4]
	v_mul_f64 v[3:4], v[10:11], v[3:4]
	v_fma_f64 v[14:15], v[10:11], v[1:2], -v[14:15]
	v_fma_f64 v[1:2], v[12:13], v[1:2], v[3:4]
	buffer_load_dword v3, off, s[0:3], 0 offset:944
	buffer_load_dword v4, off, s[0:3], 0 offset:948
	;; [unrolled: 1-line block ×4, first 2 shown]
	s_waitcnt vmcnt(2)
	v_add_f64 v[3:4], v[3:4], -v[14:15]
	s_waitcnt vmcnt(0)
	v_add_f64 v[1:2], v[10:11], -v[1:2]
	buffer_store_dword v4, off, s[0:3], 0 offset:948
	buffer_store_dword v3, off, s[0:3], 0 offset:944
	buffer_store_dword v2, off, s[0:3], 0 offset:956
	buffer_store_dword v1, off, s[0:3], 0 offset:952
	ds_read2_b64 v[1:4], v6 offset0:120 offset1:121
	buffer_load_dword v45, off, s[0:3], 0 offset:656
	buffer_load_dword v46, off, s[0:3], 0 offset:660
	;; [unrolled: 1-line block ×4, first 2 shown]
	s_waitcnt vmcnt(0) lgkmcnt(0)
	v_mul_f64 v[10:11], v[3:4], v[47:48]
	v_fma_f64 v[49:50], v[1:2], v[45:46], -v[10:11]
	v_mul_f64 v[1:2], v[1:2], v[47:48]
	v_fma_f64 v[1:2], v[3:4], v[45:46], v[1:2]
	buffer_load_dword v4, off, s[0:3], 0 offset:964
	buffer_load_dword v3, off, s[0:3], 0 offset:960
	;; [unrolled: 1-line block ×4, first 2 shown]
	s_waitcnt vmcnt(2)
	v_add_f64 v[3:4], v[3:4], -v[49:50]
	s_waitcnt vmcnt(0)
	v_add_f64 v[1:2], v[10:11], -v[1:2]
	buffer_store_dword v4, off, s[0:3], 0 offset:964
	buffer_store_dword v3, off, s[0:3], 0 offset:960
	;; [unrolled: 1-line block ×4, first 2 shown]
	ds_read2_b64 v[1:4], v6 offset0:122 offset1:123
	s_waitcnt lgkmcnt(0)
	v_mul_f64 v[10:11], v[3:4], v[47:48]
	v_fma_f64 v[10:11], v[1:2], v[45:46], -v[10:11]
	v_mul_f64 v[1:2], v[1:2], v[47:48]
	v_fma_f64 v[1:2], v[3:4], v[45:46], v[1:2]
	buffer_load_dword v3, off, s[0:3], 0 offset:976
	buffer_load_dword v4, off, s[0:3], 0 offset:980
	;; [unrolled: 1-line block ×4, first 2 shown]
	s_waitcnt vmcnt(2)
	v_add_f64 v[3:4], v[3:4], -v[10:11]
	s_waitcnt vmcnt(0)
	v_add_f64 v[1:2], v[12:13], -v[1:2]
	buffer_store_dword v4, off, s[0:3], 0 offset:980
	buffer_store_dword v3, off, s[0:3], 0 offset:976
	;; [unrolled: 1-line block ×4, first 2 shown]
	ds_read2_b64 v[10:13], v6 offset0:124 offset1:125
	s_waitcnt lgkmcnt(0)
	v_mul_f64 v[1:2], v[12:13], v[47:48]
	v_fma_f64 v[3:4], v[10:11], v[45:46], -v[1:2]
	v_mul_f64 v[1:2], v[10:11], v[47:48]
	v_fma_f64 v[1:2], v[12:13], v[45:46], v[1:2]
	buffer_load_dword v10, off, s[0:3], 0 offset:992
	buffer_load_dword v11, off, s[0:3], 0 offset:996
	;; [unrolled: 1-line block ×4, first 2 shown]
	s_waitcnt vmcnt(2)
	v_add_f64 v[3:4], v[10:11], -v[3:4]
	s_waitcnt vmcnt(0)
	v_add_f64 v[1:2], v[12:13], -v[1:2]
	buffer_store_dword v4, off, s[0:3], 0 offset:996
	buffer_store_dword v3, off, s[0:3], 0 offset:992
	;; [unrolled: 1-line block ×4, first 2 shown]
.LBB125_494:
	s_or_b64 exec, exec, s[6:7]
	v_cmp_eq_u32_e32 vcc, 42, v0
	s_waitcnt vmcnt(0) lgkmcnt(0)
	s_barrier
	s_and_saveexec_b64 s[8:9], vcc
	s_cbranch_execz .LBB125_501
; %bb.495:
	v_mov_b32_e32 v4, s36
	buffer_load_dword v1, v4, s[0:3], 0 offen
	buffer_load_dword v2, v4, s[0:3], 0 offen offset:4
	buffer_load_dword v3, v4, s[0:3], 0 offen offset:8
	s_nop 0
	buffer_load_dword v4, v4, s[0:3], 0 offen offset:12
	s_waitcnt vmcnt(0)
	ds_write2_b64 v125, v[1:2], v[3:4] offset1:1
	v_mov_b32_e32 v4, s35
	buffer_load_dword v1, v4, s[0:3], 0 offen
	buffer_load_dword v2, v4, s[0:3], 0 offen offset:4
	buffer_load_dword v3, v4, s[0:3], 0 offen offset:8
	s_nop 0
	buffer_load_dword v4, v4, s[0:3], 0 offen offset:12
	s_waitcnt vmcnt(0)
	ds_write2_b64 v6, v[1:2], v[3:4] offset0:86 offset1:87
	v_mov_b32_e32 v4, s34
	buffer_load_dword v1, v4, s[0:3], 0 offen
	buffer_load_dword v2, v4, s[0:3], 0 offen offset:4
	buffer_load_dword v3, v4, s[0:3], 0 offen offset:8
	s_nop 0
	buffer_load_dword v4, v4, s[0:3], 0 offen offset:12
	s_waitcnt vmcnt(0)
	ds_write2_b64 v6, v[1:2], v[3:4] offset0:88 offset1:89
	;; [unrolled: 8-line block ×20, first 2 shown]
	ds_read2_b64 v[1:4], v125 offset1:1
	s_waitcnt lgkmcnt(0)
	v_cmp_neq_f64_e32 vcc, 0, v[1:2]
	v_cmp_neq_f64_e64 s[6:7], 0, v[3:4]
	s_or_b64 s[6:7], vcc, s[6:7]
	s_and_b64 exec, exec, s[6:7]
	s_cbranch_execz .LBB125_501
; %bb.496:
	v_cmp_ngt_f64_e64 s[6:7], |v[1:2]|, |v[3:4]|
                                        ; implicit-def: $vgpr10_vgpr11
	s_and_saveexec_b64 s[10:11], s[6:7]
	s_xor_b64 s[6:7], exec, s[10:11]
                                        ; implicit-def: $vgpr12_vgpr13
	s_cbranch_execz .LBB125_498
; %bb.497:
	v_div_scale_f64 v[10:11], s[10:11], v[3:4], v[3:4], v[1:2]
	v_rcp_f64_e32 v[12:13], v[10:11]
	v_fma_f64 v[14:15], -v[10:11], v[12:13], 1.0
	v_fma_f64 v[12:13], v[12:13], v[14:15], v[12:13]
	v_div_scale_f64 v[14:15], vcc, v[1:2], v[3:4], v[1:2]
	v_fma_f64 v[45:46], -v[10:11], v[12:13], 1.0
	v_fma_f64 v[12:13], v[12:13], v[45:46], v[12:13]
	v_mul_f64 v[45:46], v[14:15], v[12:13]
	v_fma_f64 v[10:11], -v[10:11], v[45:46], v[14:15]
	v_div_fmas_f64 v[10:11], v[10:11], v[12:13], v[45:46]
	v_div_fixup_f64 v[10:11], v[10:11], v[3:4], v[1:2]
	v_fma_f64 v[1:2], v[1:2], v[10:11], v[3:4]
	v_div_scale_f64 v[3:4], s[10:11], v[1:2], v[1:2], 1.0
	v_div_scale_f64 v[45:46], vcc, 1.0, v[1:2], 1.0
	v_rcp_f64_e32 v[12:13], v[3:4]
	v_fma_f64 v[14:15], -v[3:4], v[12:13], 1.0
	v_fma_f64 v[12:13], v[12:13], v[14:15], v[12:13]
	v_fma_f64 v[14:15], -v[3:4], v[12:13], 1.0
	v_fma_f64 v[12:13], v[12:13], v[14:15], v[12:13]
	v_mul_f64 v[14:15], v[45:46], v[12:13]
	v_fma_f64 v[3:4], -v[3:4], v[14:15], v[45:46]
	v_div_fmas_f64 v[3:4], v[3:4], v[12:13], v[14:15]
	v_div_fixup_f64 v[12:13], v[3:4], v[1:2], 1.0
                                        ; implicit-def: $vgpr1_vgpr2
	v_mul_f64 v[10:11], v[10:11], v[12:13]
	v_xor_b32_e32 v13, 0x80000000, v13
.LBB125_498:
	s_andn2_saveexec_b64 s[6:7], s[6:7]
	s_cbranch_execz .LBB125_500
; %bb.499:
	v_div_scale_f64 v[10:11], s[10:11], v[1:2], v[1:2], v[3:4]
	v_rcp_f64_e32 v[12:13], v[10:11]
	v_fma_f64 v[14:15], -v[10:11], v[12:13], 1.0
	v_fma_f64 v[12:13], v[12:13], v[14:15], v[12:13]
	v_div_scale_f64 v[14:15], vcc, v[3:4], v[1:2], v[3:4]
	v_fma_f64 v[45:46], -v[10:11], v[12:13], 1.0
	v_fma_f64 v[12:13], v[12:13], v[45:46], v[12:13]
	v_mul_f64 v[45:46], v[14:15], v[12:13]
	v_fma_f64 v[10:11], -v[10:11], v[45:46], v[14:15]
	v_div_fmas_f64 v[10:11], v[10:11], v[12:13], v[45:46]
	v_div_fixup_f64 v[12:13], v[10:11], v[1:2], v[3:4]
	v_fma_f64 v[1:2], v[3:4], v[12:13], v[1:2]
	v_div_scale_f64 v[3:4], s[10:11], v[1:2], v[1:2], 1.0
	v_div_scale_f64 v[45:46], vcc, 1.0, v[1:2], 1.0
	v_rcp_f64_e32 v[10:11], v[3:4]
	v_fma_f64 v[14:15], -v[3:4], v[10:11], 1.0
	v_fma_f64 v[10:11], v[10:11], v[14:15], v[10:11]
	v_fma_f64 v[14:15], -v[3:4], v[10:11], 1.0
	v_fma_f64 v[10:11], v[10:11], v[14:15], v[10:11]
	v_mul_f64 v[14:15], v[45:46], v[10:11]
	v_fma_f64 v[3:4], -v[3:4], v[14:15], v[45:46]
	v_div_fmas_f64 v[3:4], v[3:4], v[10:11], v[14:15]
	v_div_fixup_f64 v[10:11], v[3:4], v[1:2], 1.0
	v_mul_f64 v[12:13], v[12:13], -v[10:11]
.LBB125_500:
	s_or_b64 exec, exec, s[6:7]
	ds_write2_b64 v125, v[10:11], v[12:13] offset1:1
.LBB125_501:
	s_or_b64 exec, exec, s[8:9]
	s_waitcnt lgkmcnt(0)
	s_barrier
	ds_read2_b64 v[45:48], v125 offset1:1
	v_cmp_lt_u32_e32 vcc, 42, v0
	s_and_saveexec_b64 s[6:7], vcc
	s_cbranch_execz .LBB125_503
; %bb.502:
	buffer_load_dword v3, off, s[0:3], 0 offset:672
	buffer_load_dword v4, off, s[0:3], 0 offset:676
	;; [unrolled: 1-line block ×16, first 2 shown]
	s_waitcnt vmcnt(12) lgkmcnt(0)
	v_mul_f64 v[1:2], v[47:48], v[10:11]
	v_mul_f64 v[10:11], v[45:46], v[10:11]
	v_fma_f64 v[1:2], v[45:46], v[3:4], -v[1:2]
	v_fma_f64 v[3:4], v[47:48], v[3:4], v[10:11]
	buffer_store_dword v1, off, s[0:3], 0 offset:672
	buffer_store_dword v2, off, s[0:3], 0 offset:676
	buffer_store_dword v3, off, s[0:3], 0 offset:680
	buffer_store_dword v4, off, s[0:3], 0 offset:684
	ds_read2_b64 v[10:13], v6 offset0:86 offset1:87
	s_waitcnt lgkmcnt(0)
	v_mul_f64 v[59:60], v[12:13], v[3:4]
	v_fma_f64 v[59:60], v[10:11], v[1:2], -v[59:60]
	v_mul_f64 v[10:11], v[10:11], v[3:4]
	v_fma_f64 v[10:11], v[12:13], v[1:2], v[10:11]
	s_waitcnt vmcnt(14)
	v_add_f64 v[12:13], v[14:15], -v[59:60]
	s_waitcnt vmcnt(12)
	v_add_f64 v[10:11], v[49:50], -v[10:11]
	buffer_store_dword v12, off, s[0:3], 0 offset:688
	buffer_store_dword v13, off, s[0:3], 0 offset:692
	buffer_store_dword v10, off, s[0:3], 0 offset:696
	buffer_store_dword v11, off, s[0:3], 0 offset:700
	ds_read2_b64 v[10:13], v6 offset0:88 offset1:89
	s_waitcnt lgkmcnt(0)
	v_mul_f64 v[14:15], v[12:13], v[3:4]
	v_fma_f64 v[14:15], v[10:11], v[1:2], -v[14:15]
	v_mul_f64 v[10:11], v[10:11], v[3:4]
	v_fma_f64 v[10:11], v[12:13], v[1:2], v[10:11]
	s_waitcnt vmcnt(14)
	v_add_f64 v[12:13], v[51:52], -v[14:15]
	s_waitcnt vmcnt(12)
	v_add_f64 v[10:11], v[53:54], -v[10:11]
	buffer_store_dword v12, off, s[0:3], 0 offset:704
	buffer_store_dword v13, off, s[0:3], 0 offset:708
	buffer_store_dword v10, off, s[0:3], 0 offset:712
	buffer_store_dword v11, off, s[0:3], 0 offset:716
	ds_read2_b64 v[10:13], v6 offset0:90 offset1:91
	s_waitcnt lgkmcnt(0)
	v_mul_f64 v[14:15], v[12:13], v[3:4]
	v_fma_f64 v[14:15], v[10:11], v[1:2], -v[14:15]
	v_mul_f64 v[10:11], v[10:11], v[3:4]
	v_fma_f64 v[10:11], v[12:13], v[1:2], v[10:11]
	s_waitcnt vmcnt(14)
	v_add_f64 v[12:13], v[55:56], -v[14:15]
	s_waitcnt vmcnt(12)
	v_add_f64 v[10:11], v[57:58], -v[10:11]
	buffer_store_dword v13, off, s[0:3], 0 offset:724
	buffer_store_dword v12, off, s[0:3], 0 offset:720
	;; [unrolled: 1-line block ×4, first 2 shown]
	ds_read2_b64 v[10:13], v6 offset0:92 offset1:93
	s_waitcnt lgkmcnt(0)
	v_mul_f64 v[14:15], v[12:13], v[3:4]
	v_fma_f64 v[14:15], v[10:11], v[1:2], -v[14:15]
	v_mul_f64 v[10:11], v[10:11], v[3:4]
	v_fma_f64 v[10:11], v[12:13], v[1:2], v[10:11]
	buffer_load_dword v12, off, s[0:3], 0 offset:736
	buffer_load_dword v13, off, s[0:3], 0 offset:740
	;; [unrolled: 1-line block ×4, first 2 shown]
	s_waitcnt vmcnt(2)
	v_add_f64 v[12:13], v[12:13], -v[14:15]
	s_waitcnt vmcnt(0)
	v_add_f64 v[10:11], v[49:50], -v[10:11]
	buffer_store_dword v13, off, s[0:3], 0 offset:740
	buffer_store_dword v12, off, s[0:3], 0 offset:736
	;; [unrolled: 1-line block ×4, first 2 shown]
	ds_read2_b64 v[10:13], v6 offset0:94 offset1:95
	s_waitcnt lgkmcnt(0)
	v_mul_f64 v[14:15], v[12:13], v[3:4]
	v_fma_f64 v[14:15], v[10:11], v[1:2], -v[14:15]
	v_mul_f64 v[10:11], v[10:11], v[3:4]
	v_fma_f64 v[10:11], v[12:13], v[1:2], v[10:11]
	buffer_load_dword v12, off, s[0:3], 0 offset:752
	buffer_load_dword v13, off, s[0:3], 0 offset:756
	;; [unrolled: 1-line block ×4, first 2 shown]
	s_waitcnt vmcnt(2)
	v_add_f64 v[12:13], v[12:13], -v[14:15]
	s_waitcnt vmcnt(0)
	v_add_f64 v[10:11], v[49:50], -v[10:11]
	buffer_store_dword v13, off, s[0:3], 0 offset:756
	buffer_store_dword v12, off, s[0:3], 0 offset:752
	;; [unrolled: 1-line block ×4, first 2 shown]
	ds_read2_b64 v[10:13], v6 offset0:96 offset1:97
	s_waitcnt lgkmcnt(0)
	v_mul_f64 v[14:15], v[12:13], v[3:4]
	v_mul_f64 v[3:4], v[10:11], v[3:4]
	v_fma_f64 v[14:15], v[10:11], v[1:2], -v[14:15]
	v_fma_f64 v[1:2], v[12:13], v[1:2], v[3:4]
	buffer_load_dword v3, off, s[0:3], 0 offset:768
	buffer_load_dword v4, off, s[0:3], 0 offset:772
	;; [unrolled: 1-line block ×4, first 2 shown]
	s_waitcnt vmcnt(2)
	v_add_f64 v[3:4], v[3:4], -v[14:15]
	s_waitcnt vmcnt(0)
	v_add_f64 v[1:2], v[10:11], -v[1:2]
	buffer_store_dword v4, off, s[0:3], 0 offset:772
	buffer_store_dword v3, off, s[0:3], 0 offset:768
	;; [unrolled: 1-line block ×4, first 2 shown]
	ds_read2_b64 v[10:13], v6 offset0:98 offset1:99
	buffer_load_dword v1, off, s[0:3], 0 offset:672
	buffer_load_dword v2, off, s[0:3], 0 offset:676
	buffer_load_dword v3, off, s[0:3], 0 offset:680
	buffer_load_dword v4, off, s[0:3], 0 offset:684
	s_waitcnt vmcnt(0) lgkmcnt(0)
	v_mul_f64 v[14:15], v[12:13], v[3:4]
	v_fma_f64 v[14:15], v[10:11], v[1:2], -v[14:15]
	v_mul_f64 v[10:11], v[10:11], v[3:4]
	v_fma_f64 v[10:11], v[12:13], v[1:2], v[10:11]
	buffer_load_dword v13, off, s[0:3], 0 offset:788
	buffer_load_dword v12, off, s[0:3], 0 offset:784
	s_waitcnt vmcnt(0)
	v_add_f64 v[12:13], v[12:13], -v[14:15]
	buffer_load_dword v15, off, s[0:3], 0 offset:796
	buffer_load_dword v14, off, s[0:3], 0 offset:792
	s_waitcnt vmcnt(0)
	v_add_f64 v[10:11], v[14:15], -v[10:11]
	buffer_store_dword v13, off, s[0:3], 0 offset:788
	buffer_store_dword v12, off, s[0:3], 0 offset:784
	buffer_store_dword v11, off, s[0:3], 0 offset:796
	buffer_store_dword v10, off, s[0:3], 0 offset:792
	ds_read2_b64 v[10:13], v6 offset0:100 offset1:101
	s_waitcnt lgkmcnt(0)
	v_mul_f64 v[14:15], v[12:13], v[3:4]
	v_fma_f64 v[14:15], v[10:11], v[1:2], -v[14:15]
	v_mul_f64 v[10:11], v[10:11], v[3:4]
	v_fma_f64 v[10:11], v[12:13], v[1:2], v[10:11]
	buffer_load_dword v12, off, s[0:3], 0 offset:800
	buffer_load_dword v13, off, s[0:3], 0 offset:804
	buffer_load_dword v49, off, s[0:3], 0 offset:808
	buffer_load_dword v50, off, s[0:3], 0 offset:812
	s_waitcnt vmcnt(2)
	v_add_f64 v[12:13], v[12:13], -v[14:15]
	s_waitcnt vmcnt(0)
	v_add_f64 v[10:11], v[49:50], -v[10:11]
	buffer_store_dword v13, off, s[0:3], 0 offset:804
	buffer_store_dword v12, off, s[0:3], 0 offset:800
	buffer_store_dword v11, off, s[0:3], 0 offset:812
	buffer_store_dword v10, off, s[0:3], 0 offset:808
	ds_read2_b64 v[10:13], v6 offset0:102 offset1:103
	s_waitcnt lgkmcnt(0)
	v_mul_f64 v[14:15], v[12:13], v[3:4]
	v_fma_f64 v[14:15], v[10:11], v[1:2], -v[14:15]
	v_mul_f64 v[10:11], v[10:11], v[3:4]
	v_fma_f64 v[10:11], v[12:13], v[1:2], v[10:11]
	buffer_load_dword v12, off, s[0:3], 0 offset:816
	buffer_load_dword v13, off, s[0:3], 0 offset:820
	buffer_load_dword v49, off, s[0:3], 0 offset:824
	buffer_load_dword v50, off, s[0:3], 0 offset:828
	s_waitcnt vmcnt(2)
	v_add_f64 v[12:13], v[12:13], -v[14:15]
	;; [unrolled: 18-line block ×4, first 2 shown]
	s_waitcnt vmcnt(0)
	v_add_f64 v[10:11], v[49:50], -v[10:11]
	buffer_store_dword v13, off, s[0:3], 0 offset:852
	buffer_store_dword v12, off, s[0:3], 0 offset:848
	buffer_store_dword v11, off, s[0:3], 0 offset:860
	buffer_store_dword v10, off, s[0:3], 0 offset:856
	ds_read2_b64 v[10:13], v6 offset0:108 offset1:109
	s_waitcnt lgkmcnt(0)
	v_mul_f64 v[14:15], v[12:13], v[3:4]
	v_mul_f64 v[3:4], v[10:11], v[3:4]
	v_fma_f64 v[14:15], v[10:11], v[1:2], -v[14:15]
	v_fma_f64 v[1:2], v[12:13], v[1:2], v[3:4]
	buffer_load_dword v3, off, s[0:3], 0 offset:864
	buffer_load_dword v4, off, s[0:3], 0 offset:868
	;; [unrolled: 1-line block ×4, first 2 shown]
	s_waitcnt vmcnt(2)
	v_add_f64 v[3:4], v[3:4], -v[14:15]
	s_waitcnt vmcnt(0)
	v_add_f64 v[1:2], v[10:11], -v[1:2]
	buffer_store_dword v4, off, s[0:3], 0 offset:868
	buffer_store_dword v3, off, s[0:3], 0 offset:864
	;; [unrolled: 1-line block ×4, first 2 shown]
	ds_read2_b64 v[10:13], v6 offset0:110 offset1:111
	buffer_load_dword v1, off, s[0:3], 0 offset:672
	buffer_load_dword v2, off, s[0:3], 0 offset:676
	;; [unrolled: 1-line block ×4, first 2 shown]
	s_waitcnt vmcnt(0) lgkmcnt(0)
	v_mul_f64 v[14:15], v[12:13], v[3:4]
	v_fma_f64 v[14:15], v[10:11], v[1:2], -v[14:15]
	v_mul_f64 v[10:11], v[10:11], v[3:4]
	v_fma_f64 v[10:11], v[12:13], v[1:2], v[10:11]
	buffer_load_dword v13, off, s[0:3], 0 offset:884
	buffer_load_dword v12, off, s[0:3], 0 offset:880
	s_waitcnt vmcnt(0)
	v_add_f64 v[12:13], v[12:13], -v[14:15]
	buffer_load_dword v15, off, s[0:3], 0 offset:892
	buffer_load_dword v14, off, s[0:3], 0 offset:888
	s_waitcnt vmcnt(0)
	v_add_f64 v[10:11], v[14:15], -v[10:11]
	buffer_store_dword v13, off, s[0:3], 0 offset:884
	buffer_store_dword v12, off, s[0:3], 0 offset:880
	buffer_store_dword v11, off, s[0:3], 0 offset:892
	buffer_store_dword v10, off, s[0:3], 0 offset:888
	ds_read2_b64 v[10:13], v6 offset0:112 offset1:113
	s_waitcnt lgkmcnt(0)
	v_mul_f64 v[14:15], v[12:13], v[3:4]
	v_fma_f64 v[14:15], v[10:11], v[1:2], -v[14:15]
	v_mul_f64 v[10:11], v[10:11], v[3:4]
	v_fma_f64 v[10:11], v[12:13], v[1:2], v[10:11]
	buffer_load_dword v12, off, s[0:3], 0 offset:896
	buffer_load_dword v13, off, s[0:3], 0 offset:900
	buffer_load_dword v49, off, s[0:3], 0 offset:904
	buffer_load_dword v50, off, s[0:3], 0 offset:908
	s_waitcnt vmcnt(2)
	v_add_f64 v[12:13], v[12:13], -v[14:15]
	s_waitcnt vmcnt(0)
	v_add_f64 v[10:11], v[49:50], -v[10:11]
	buffer_store_dword v13, off, s[0:3], 0 offset:900
	buffer_store_dword v12, off, s[0:3], 0 offset:896
	buffer_store_dword v11, off, s[0:3], 0 offset:908
	buffer_store_dword v10, off, s[0:3], 0 offset:904
	ds_read2_b64 v[10:13], v6 offset0:114 offset1:115
	s_waitcnt lgkmcnt(0)
	v_mul_f64 v[14:15], v[12:13], v[3:4]
	v_fma_f64 v[14:15], v[10:11], v[1:2], -v[14:15]
	v_mul_f64 v[10:11], v[10:11], v[3:4]
	v_fma_f64 v[10:11], v[12:13], v[1:2], v[10:11]
	buffer_load_dword v12, off, s[0:3], 0 offset:912
	buffer_load_dword v13, off, s[0:3], 0 offset:916
	buffer_load_dword v49, off, s[0:3], 0 offset:920
	buffer_load_dword v50, off, s[0:3], 0 offset:924
	s_waitcnt vmcnt(2)
	v_add_f64 v[12:13], v[12:13], -v[14:15]
	;; [unrolled: 18-line block ×4, first 2 shown]
	s_waitcnt vmcnt(0)
	v_add_f64 v[10:11], v[49:50], -v[10:11]
	buffer_store_dword v13, off, s[0:3], 0 offset:948
	buffer_store_dword v12, off, s[0:3], 0 offset:944
	;; [unrolled: 1-line block ×4, first 2 shown]
	ds_read2_b64 v[10:13], v6 offset0:120 offset1:121
	s_waitcnt lgkmcnt(0)
	v_mul_f64 v[14:15], v[12:13], v[3:4]
	v_mul_f64 v[3:4], v[10:11], v[3:4]
	v_fma_f64 v[14:15], v[10:11], v[1:2], -v[14:15]
	v_fma_f64 v[1:2], v[12:13], v[1:2], v[3:4]
	buffer_load_dword v3, off, s[0:3], 0 offset:960
	buffer_load_dword v4, off, s[0:3], 0 offset:964
	;; [unrolled: 1-line block ×4, first 2 shown]
	s_waitcnt vmcnt(2)
	v_add_f64 v[3:4], v[3:4], -v[14:15]
	s_waitcnt vmcnt(0)
	v_add_f64 v[1:2], v[10:11], -v[1:2]
	buffer_store_dword v4, off, s[0:3], 0 offset:964
	buffer_store_dword v3, off, s[0:3], 0 offset:960
	;; [unrolled: 1-line block ×4, first 2 shown]
	ds_read2_b64 v[10:13], v6 offset0:122 offset1:123
	buffer_load_dword v1, off, s[0:3], 0 offset:672
	buffer_load_dword v2, off, s[0:3], 0 offset:676
	;; [unrolled: 1-line block ×4, first 2 shown]
	s_waitcnt vmcnt(0) lgkmcnt(0)
	v_mul_f64 v[14:15], v[12:13], v[3:4]
	v_fma_f64 v[14:15], v[10:11], v[1:2], -v[14:15]
	v_mul_f64 v[10:11], v[10:11], v[3:4]
	v_fma_f64 v[49:50], v[12:13], v[1:2], v[10:11]
	buffer_load_dword v11, off, s[0:3], 0 offset:980
	buffer_load_dword v10, off, s[0:3], 0 offset:976
	;; [unrolled: 1-line block ×4, first 2 shown]
	s_waitcnt vmcnt(2)
	v_add_f64 v[10:11], v[10:11], -v[14:15]
	s_waitcnt vmcnt(0)
	v_add_f64 v[12:13], v[12:13], -v[49:50]
	buffer_store_dword v11, off, s[0:3], 0 offset:980
	buffer_store_dword v10, off, s[0:3], 0 offset:976
	;; [unrolled: 1-line block ×4, first 2 shown]
	ds_read2_b64 v[10:13], v6 offset0:124 offset1:125
	s_waitcnt lgkmcnt(0)
	v_mul_f64 v[14:15], v[12:13], v[3:4]
	v_mul_f64 v[3:4], v[10:11], v[3:4]
	v_fma_f64 v[49:50], v[10:11], v[1:2], -v[14:15]
	v_fma_f64 v[1:2], v[12:13], v[1:2], v[3:4]
	buffer_load_dword v51, off, s[0:3], 0 offset:992
	buffer_load_dword v52, off, s[0:3], 0 offset:996
	;; [unrolled: 1-line block ×4, first 2 shown]
	s_waitcnt vmcnt(2)
	v_add_f64 v[10:11], v[51:52], -v[49:50]
	s_waitcnt vmcnt(0)
	v_add_f64 v[1:2], v[3:4], -v[1:2]
	buffer_store_dword v11, off, s[0:3], 0 offset:996
	buffer_store_dword v10, off, s[0:3], 0 offset:992
	;; [unrolled: 1-line block ×4, first 2 shown]
.LBB125_503:
	s_or_b64 exec, exec, s[6:7]
	v_cmp_eq_u32_e32 vcc, 43, v0
	s_waitcnt vmcnt(0) lgkmcnt(0)
	s_barrier
	s_and_saveexec_b64 s[8:9], vcc
	s_cbranch_execz .LBB125_510
; %bb.504:
	v_mov_b32_e32 v4, s35
	buffer_load_dword v1, v4, s[0:3], 0 offen
	buffer_load_dword v2, v4, s[0:3], 0 offen offset:4
	buffer_load_dword v3, v4, s[0:3], 0 offen offset:8
	s_nop 0
	buffer_load_dword v4, v4, s[0:3], 0 offen offset:12
	s_waitcnt vmcnt(0)
	ds_write2_b64 v125, v[1:2], v[3:4] offset1:1
	v_mov_b32_e32 v4, s34
	buffer_load_dword v1, v4, s[0:3], 0 offen
	buffer_load_dword v2, v4, s[0:3], 0 offen offset:4
	buffer_load_dword v3, v4, s[0:3], 0 offen offset:8
	s_nop 0
	buffer_load_dword v4, v4, s[0:3], 0 offen offset:12
	s_waitcnt vmcnt(0)
	ds_write2_b64 v6, v[1:2], v[3:4] offset0:88 offset1:89
	v_mov_b32_e32 v4, s31
	buffer_load_dword v1, v4, s[0:3], 0 offen
	buffer_load_dword v2, v4, s[0:3], 0 offen offset:4
	buffer_load_dword v3, v4, s[0:3], 0 offen offset:8
	s_nop 0
	buffer_load_dword v4, v4, s[0:3], 0 offen offset:12
	s_waitcnt vmcnt(0)
	ds_write2_b64 v6, v[1:2], v[3:4] offset0:90 offset1:91
	;; [unrolled: 8-line block ×19, first 2 shown]
	ds_read2_b64 v[1:4], v125 offset1:1
	s_waitcnt lgkmcnt(0)
	v_cmp_neq_f64_e32 vcc, 0, v[1:2]
	v_cmp_neq_f64_e64 s[6:7], 0, v[3:4]
	s_or_b64 s[6:7], vcc, s[6:7]
	s_and_b64 exec, exec, s[6:7]
	s_cbranch_execz .LBB125_510
; %bb.505:
	v_cmp_ngt_f64_e64 s[6:7], |v[1:2]|, |v[3:4]|
                                        ; implicit-def: $vgpr10_vgpr11
	s_and_saveexec_b64 s[10:11], s[6:7]
	s_xor_b64 s[6:7], exec, s[10:11]
                                        ; implicit-def: $vgpr12_vgpr13
	s_cbranch_execz .LBB125_507
; %bb.506:
	v_div_scale_f64 v[10:11], s[10:11], v[3:4], v[3:4], v[1:2]
	v_rcp_f64_e32 v[12:13], v[10:11]
	v_fma_f64 v[14:15], -v[10:11], v[12:13], 1.0
	v_fma_f64 v[12:13], v[12:13], v[14:15], v[12:13]
	v_div_scale_f64 v[14:15], vcc, v[1:2], v[3:4], v[1:2]
	v_fma_f64 v[49:50], -v[10:11], v[12:13], 1.0
	v_fma_f64 v[12:13], v[12:13], v[49:50], v[12:13]
	v_mul_f64 v[49:50], v[14:15], v[12:13]
	v_fma_f64 v[10:11], -v[10:11], v[49:50], v[14:15]
	v_div_fmas_f64 v[10:11], v[10:11], v[12:13], v[49:50]
	v_div_fixup_f64 v[10:11], v[10:11], v[3:4], v[1:2]
	v_fma_f64 v[1:2], v[1:2], v[10:11], v[3:4]
	v_div_scale_f64 v[3:4], s[10:11], v[1:2], v[1:2], 1.0
	v_div_scale_f64 v[49:50], vcc, 1.0, v[1:2], 1.0
	v_rcp_f64_e32 v[12:13], v[3:4]
	v_fma_f64 v[14:15], -v[3:4], v[12:13], 1.0
	v_fma_f64 v[12:13], v[12:13], v[14:15], v[12:13]
	v_fma_f64 v[14:15], -v[3:4], v[12:13], 1.0
	v_fma_f64 v[12:13], v[12:13], v[14:15], v[12:13]
	v_mul_f64 v[14:15], v[49:50], v[12:13]
	v_fma_f64 v[3:4], -v[3:4], v[14:15], v[49:50]
	v_div_fmas_f64 v[3:4], v[3:4], v[12:13], v[14:15]
	v_div_fixup_f64 v[12:13], v[3:4], v[1:2], 1.0
                                        ; implicit-def: $vgpr1_vgpr2
	v_mul_f64 v[10:11], v[10:11], v[12:13]
	v_xor_b32_e32 v13, 0x80000000, v13
.LBB125_507:
	s_andn2_saveexec_b64 s[6:7], s[6:7]
	s_cbranch_execz .LBB125_509
; %bb.508:
	v_div_scale_f64 v[10:11], s[10:11], v[1:2], v[1:2], v[3:4]
	v_rcp_f64_e32 v[12:13], v[10:11]
	v_fma_f64 v[14:15], -v[10:11], v[12:13], 1.0
	v_fma_f64 v[12:13], v[12:13], v[14:15], v[12:13]
	v_div_scale_f64 v[14:15], vcc, v[3:4], v[1:2], v[3:4]
	v_fma_f64 v[49:50], -v[10:11], v[12:13], 1.0
	v_fma_f64 v[12:13], v[12:13], v[49:50], v[12:13]
	v_mul_f64 v[49:50], v[14:15], v[12:13]
	v_fma_f64 v[10:11], -v[10:11], v[49:50], v[14:15]
	v_div_fmas_f64 v[10:11], v[10:11], v[12:13], v[49:50]
	v_div_fixup_f64 v[12:13], v[10:11], v[1:2], v[3:4]
	v_fma_f64 v[1:2], v[3:4], v[12:13], v[1:2]
	v_div_scale_f64 v[3:4], s[10:11], v[1:2], v[1:2], 1.0
	v_div_scale_f64 v[49:50], vcc, 1.0, v[1:2], 1.0
	v_rcp_f64_e32 v[10:11], v[3:4]
	v_fma_f64 v[14:15], -v[3:4], v[10:11], 1.0
	v_fma_f64 v[10:11], v[10:11], v[14:15], v[10:11]
	v_fma_f64 v[14:15], -v[3:4], v[10:11], 1.0
	v_fma_f64 v[10:11], v[10:11], v[14:15], v[10:11]
	v_mul_f64 v[14:15], v[49:50], v[10:11]
	v_fma_f64 v[3:4], -v[3:4], v[14:15], v[49:50]
	v_div_fmas_f64 v[3:4], v[3:4], v[10:11], v[14:15]
	v_div_fixup_f64 v[10:11], v[3:4], v[1:2], 1.0
	v_mul_f64 v[12:13], v[12:13], -v[10:11]
.LBB125_509:
	s_or_b64 exec, exec, s[6:7]
	ds_write2_b64 v125, v[10:11], v[12:13] offset1:1
.LBB125_510:
	s_or_b64 exec, exec, s[8:9]
	s_waitcnt lgkmcnt(0)
	s_barrier
	ds_read2_b64 v[49:52], v125 offset1:1
	v_cmp_lt_u32_e32 vcc, 43, v0
	s_and_saveexec_b64 s[6:7], vcc
	s_cbranch_execz .LBB125_512
; %bb.511:
	buffer_load_dword v3, off, s[0:3], 0 offset:688
	buffer_load_dword v4, off, s[0:3], 0 offset:692
	;; [unrolled: 1-line block ×16, first 2 shown]
	s_waitcnt vmcnt(12) lgkmcnt(0)
	v_mul_f64 v[1:2], v[51:52], v[10:11]
	v_mul_f64 v[10:11], v[49:50], v[10:11]
	v_fma_f64 v[1:2], v[49:50], v[3:4], -v[1:2]
	v_fma_f64 v[3:4], v[51:52], v[3:4], v[10:11]
	buffer_store_dword v1, off, s[0:3], 0 offset:688
	buffer_store_dword v2, off, s[0:3], 0 offset:692
	buffer_store_dword v3, off, s[0:3], 0 offset:696
	buffer_store_dword v4, off, s[0:3], 0 offset:700
	ds_read2_b64 v[10:13], v6 offset0:88 offset1:89
	s_waitcnt lgkmcnt(0)
	v_mul_f64 v[63:64], v[12:13], v[3:4]
	v_fma_f64 v[63:64], v[10:11], v[1:2], -v[63:64]
	v_mul_f64 v[10:11], v[10:11], v[3:4]
	v_fma_f64 v[10:11], v[12:13], v[1:2], v[10:11]
	s_waitcnt vmcnt(14)
	v_add_f64 v[12:13], v[14:15], -v[63:64]
	s_waitcnt vmcnt(12)
	v_add_f64 v[10:11], v[53:54], -v[10:11]
	buffer_store_dword v12, off, s[0:3], 0 offset:704
	buffer_store_dword v13, off, s[0:3], 0 offset:708
	buffer_store_dword v10, off, s[0:3], 0 offset:712
	buffer_store_dword v11, off, s[0:3], 0 offset:716
	ds_read2_b64 v[10:13], v6 offset0:90 offset1:91
	s_waitcnt lgkmcnt(0)
	v_mul_f64 v[14:15], v[12:13], v[3:4]
	v_fma_f64 v[14:15], v[10:11], v[1:2], -v[14:15]
	v_mul_f64 v[10:11], v[10:11], v[3:4]
	v_fma_f64 v[10:11], v[12:13], v[1:2], v[10:11]
	s_waitcnt vmcnt(14)
	v_add_f64 v[12:13], v[55:56], -v[14:15]
	s_waitcnt vmcnt(12)
	v_add_f64 v[10:11], v[57:58], -v[10:11]
	;; [unrolled: 14-line block ×3, first 2 shown]
	buffer_store_dword v13, off, s[0:3], 0 offset:740
	buffer_store_dword v12, off, s[0:3], 0 offset:736
	buffer_store_dword v10, off, s[0:3], 0 offset:744
	buffer_store_dword v11, off, s[0:3], 0 offset:748
	ds_read2_b64 v[10:13], v6 offset0:94 offset1:95
	s_waitcnt lgkmcnt(0)
	v_mul_f64 v[14:15], v[12:13], v[3:4]
	v_fma_f64 v[14:15], v[10:11], v[1:2], -v[14:15]
	v_mul_f64 v[10:11], v[10:11], v[3:4]
	v_fma_f64 v[10:11], v[12:13], v[1:2], v[10:11]
	buffer_load_dword v12, off, s[0:3], 0 offset:752
	buffer_load_dword v13, off, s[0:3], 0 offset:756
	;; [unrolled: 1-line block ×4, first 2 shown]
	s_waitcnt vmcnt(2)
	v_add_f64 v[12:13], v[12:13], -v[14:15]
	s_waitcnt vmcnt(0)
	v_add_f64 v[10:11], v[53:54], -v[10:11]
	buffer_store_dword v13, off, s[0:3], 0 offset:756
	buffer_store_dword v12, off, s[0:3], 0 offset:752
	;; [unrolled: 1-line block ×4, first 2 shown]
	ds_read2_b64 v[10:13], v6 offset0:96 offset1:97
	s_waitcnt lgkmcnt(0)
	v_mul_f64 v[14:15], v[12:13], v[3:4]
	v_fma_f64 v[14:15], v[10:11], v[1:2], -v[14:15]
	v_mul_f64 v[10:11], v[10:11], v[3:4]
	v_fma_f64 v[10:11], v[12:13], v[1:2], v[10:11]
	buffer_load_dword v12, off, s[0:3], 0 offset:768
	buffer_load_dword v13, off, s[0:3], 0 offset:772
	;; [unrolled: 1-line block ×4, first 2 shown]
	s_waitcnt vmcnt(2)
	v_add_f64 v[12:13], v[12:13], -v[14:15]
	s_waitcnt vmcnt(0)
	v_add_f64 v[10:11], v[53:54], -v[10:11]
	buffer_store_dword v13, off, s[0:3], 0 offset:772
	buffer_store_dword v12, off, s[0:3], 0 offset:768
	;; [unrolled: 1-line block ×4, first 2 shown]
	ds_read2_b64 v[10:13], v6 offset0:98 offset1:99
	s_waitcnt lgkmcnt(0)
	v_mul_f64 v[14:15], v[12:13], v[3:4]
	v_mul_f64 v[3:4], v[10:11], v[3:4]
	v_fma_f64 v[14:15], v[10:11], v[1:2], -v[14:15]
	v_fma_f64 v[1:2], v[12:13], v[1:2], v[3:4]
	buffer_load_dword v3, off, s[0:3], 0 offset:784
	buffer_load_dword v4, off, s[0:3], 0 offset:788
	;; [unrolled: 1-line block ×4, first 2 shown]
	s_waitcnt vmcnt(2)
	v_add_f64 v[3:4], v[3:4], -v[14:15]
	s_waitcnt vmcnt(0)
	v_add_f64 v[1:2], v[10:11], -v[1:2]
	buffer_store_dword v4, off, s[0:3], 0 offset:788
	buffer_store_dword v3, off, s[0:3], 0 offset:784
	;; [unrolled: 1-line block ×4, first 2 shown]
	ds_read2_b64 v[10:13], v6 offset0:100 offset1:101
	buffer_load_dword v1, off, s[0:3], 0 offset:688
	buffer_load_dword v2, off, s[0:3], 0 offset:692
	;; [unrolled: 1-line block ×4, first 2 shown]
	s_waitcnt vmcnt(0) lgkmcnt(0)
	v_mul_f64 v[14:15], v[12:13], v[3:4]
	v_fma_f64 v[14:15], v[10:11], v[1:2], -v[14:15]
	v_mul_f64 v[10:11], v[10:11], v[3:4]
	v_fma_f64 v[10:11], v[12:13], v[1:2], v[10:11]
	buffer_load_dword v13, off, s[0:3], 0 offset:804
	buffer_load_dword v12, off, s[0:3], 0 offset:800
	s_waitcnt vmcnt(0)
	v_add_f64 v[12:13], v[12:13], -v[14:15]
	buffer_load_dword v15, off, s[0:3], 0 offset:812
	buffer_load_dword v14, off, s[0:3], 0 offset:808
	s_waitcnt vmcnt(0)
	v_add_f64 v[10:11], v[14:15], -v[10:11]
	buffer_store_dword v13, off, s[0:3], 0 offset:804
	buffer_store_dword v12, off, s[0:3], 0 offset:800
	buffer_store_dword v11, off, s[0:3], 0 offset:812
	buffer_store_dword v10, off, s[0:3], 0 offset:808
	ds_read2_b64 v[10:13], v6 offset0:102 offset1:103
	s_waitcnt lgkmcnt(0)
	v_mul_f64 v[14:15], v[12:13], v[3:4]
	v_fma_f64 v[14:15], v[10:11], v[1:2], -v[14:15]
	v_mul_f64 v[10:11], v[10:11], v[3:4]
	v_fma_f64 v[10:11], v[12:13], v[1:2], v[10:11]
	buffer_load_dword v12, off, s[0:3], 0 offset:816
	buffer_load_dword v13, off, s[0:3], 0 offset:820
	buffer_load_dword v53, off, s[0:3], 0 offset:824
	buffer_load_dword v54, off, s[0:3], 0 offset:828
	s_waitcnt vmcnt(2)
	v_add_f64 v[12:13], v[12:13], -v[14:15]
	s_waitcnt vmcnt(0)
	v_add_f64 v[10:11], v[53:54], -v[10:11]
	buffer_store_dword v13, off, s[0:3], 0 offset:820
	buffer_store_dword v12, off, s[0:3], 0 offset:816
	buffer_store_dword v11, off, s[0:3], 0 offset:828
	buffer_store_dword v10, off, s[0:3], 0 offset:824
	ds_read2_b64 v[10:13], v6 offset0:104 offset1:105
	s_waitcnt lgkmcnt(0)
	v_mul_f64 v[14:15], v[12:13], v[3:4]
	v_fma_f64 v[14:15], v[10:11], v[1:2], -v[14:15]
	v_mul_f64 v[10:11], v[10:11], v[3:4]
	v_fma_f64 v[10:11], v[12:13], v[1:2], v[10:11]
	buffer_load_dword v12, off, s[0:3], 0 offset:832
	buffer_load_dword v13, off, s[0:3], 0 offset:836
	buffer_load_dword v53, off, s[0:3], 0 offset:840
	buffer_load_dword v54, off, s[0:3], 0 offset:844
	s_waitcnt vmcnt(2)
	v_add_f64 v[12:13], v[12:13], -v[14:15]
	;; [unrolled: 18-line block ×4, first 2 shown]
	s_waitcnt vmcnt(0)
	v_add_f64 v[10:11], v[53:54], -v[10:11]
	buffer_store_dword v13, off, s[0:3], 0 offset:868
	buffer_store_dword v12, off, s[0:3], 0 offset:864
	;; [unrolled: 1-line block ×4, first 2 shown]
	ds_read2_b64 v[10:13], v6 offset0:110 offset1:111
	s_waitcnt lgkmcnt(0)
	v_mul_f64 v[14:15], v[12:13], v[3:4]
	v_mul_f64 v[3:4], v[10:11], v[3:4]
	v_fma_f64 v[14:15], v[10:11], v[1:2], -v[14:15]
	v_fma_f64 v[1:2], v[12:13], v[1:2], v[3:4]
	buffer_load_dword v3, off, s[0:3], 0 offset:880
	buffer_load_dword v4, off, s[0:3], 0 offset:884
	;; [unrolled: 1-line block ×4, first 2 shown]
	s_waitcnt vmcnt(2)
	v_add_f64 v[3:4], v[3:4], -v[14:15]
	s_waitcnt vmcnt(0)
	v_add_f64 v[1:2], v[10:11], -v[1:2]
	buffer_store_dword v4, off, s[0:3], 0 offset:884
	buffer_store_dword v3, off, s[0:3], 0 offset:880
	;; [unrolled: 1-line block ×4, first 2 shown]
	ds_read2_b64 v[10:13], v6 offset0:112 offset1:113
	buffer_load_dword v1, off, s[0:3], 0 offset:688
	buffer_load_dword v2, off, s[0:3], 0 offset:692
	buffer_load_dword v3, off, s[0:3], 0 offset:696
	buffer_load_dword v4, off, s[0:3], 0 offset:700
	s_waitcnt vmcnt(0) lgkmcnt(0)
	v_mul_f64 v[14:15], v[12:13], v[3:4]
	v_fma_f64 v[14:15], v[10:11], v[1:2], -v[14:15]
	v_mul_f64 v[10:11], v[10:11], v[3:4]
	v_fma_f64 v[10:11], v[12:13], v[1:2], v[10:11]
	buffer_load_dword v13, off, s[0:3], 0 offset:900
	buffer_load_dword v12, off, s[0:3], 0 offset:896
	s_waitcnt vmcnt(0)
	v_add_f64 v[12:13], v[12:13], -v[14:15]
	buffer_load_dword v15, off, s[0:3], 0 offset:908
	buffer_load_dword v14, off, s[0:3], 0 offset:904
	s_waitcnt vmcnt(0)
	v_add_f64 v[10:11], v[14:15], -v[10:11]
	buffer_store_dword v13, off, s[0:3], 0 offset:900
	buffer_store_dword v12, off, s[0:3], 0 offset:896
	buffer_store_dword v11, off, s[0:3], 0 offset:908
	buffer_store_dword v10, off, s[0:3], 0 offset:904
	ds_read2_b64 v[10:13], v6 offset0:114 offset1:115
	s_waitcnt lgkmcnt(0)
	v_mul_f64 v[14:15], v[12:13], v[3:4]
	v_fma_f64 v[14:15], v[10:11], v[1:2], -v[14:15]
	v_mul_f64 v[10:11], v[10:11], v[3:4]
	v_fma_f64 v[10:11], v[12:13], v[1:2], v[10:11]
	buffer_load_dword v12, off, s[0:3], 0 offset:912
	buffer_load_dword v13, off, s[0:3], 0 offset:916
	buffer_load_dword v53, off, s[0:3], 0 offset:920
	buffer_load_dword v54, off, s[0:3], 0 offset:924
	s_waitcnt vmcnt(2)
	v_add_f64 v[12:13], v[12:13], -v[14:15]
	s_waitcnt vmcnt(0)
	v_add_f64 v[10:11], v[53:54], -v[10:11]
	buffer_store_dword v13, off, s[0:3], 0 offset:916
	buffer_store_dword v12, off, s[0:3], 0 offset:912
	buffer_store_dword v11, off, s[0:3], 0 offset:924
	buffer_store_dword v10, off, s[0:3], 0 offset:920
	ds_read2_b64 v[10:13], v6 offset0:116 offset1:117
	s_waitcnt lgkmcnt(0)
	v_mul_f64 v[14:15], v[12:13], v[3:4]
	v_fma_f64 v[14:15], v[10:11], v[1:2], -v[14:15]
	v_mul_f64 v[10:11], v[10:11], v[3:4]
	v_fma_f64 v[10:11], v[12:13], v[1:2], v[10:11]
	buffer_load_dword v12, off, s[0:3], 0 offset:928
	buffer_load_dword v13, off, s[0:3], 0 offset:932
	buffer_load_dword v53, off, s[0:3], 0 offset:936
	buffer_load_dword v54, off, s[0:3], 0 offset:940
	s_waitcnt vmcnt(2)
	v_add_f64 v[12:13], v[12:13], -v[14:15]
	;; [unrolled: 18-line block ×4, first 2 shown]
	s_waitcnt vmcnt(0)
	v_add_f64 v[10:11], v[53:54], -v[10:11]
	buffer_store_dword v13, off, s[0:3], 0 offset:964
	buffer_store_dword v12, off, s[0:3], 0 offset:960
	;; [unrolled: 1-line block ×4, first 2 shown]
	ds_read2_b64 v[10:13], v6 offset0:122 offset1:123
	s_waitcnt lgkmcnt(0)
	v_mul_f64 v[14:15], v[12:13], v[3:4]
	v_mul_f64 v[3:4], v[10:11], v[3:4]
	v_fma_f64 v[14:15], v[10:11], v[1:2], -v[14:15]
	v_fma_f64 v[1:2], v[12:13], v[1:2], v[3:4]
	buffer_load_dword v3, off, s[0:3], 0 offset:976
	buffer_load_dword v4, off, s[0:3], 0 offset:980
	;; [unrolled: 1-line block ×4, first 2 shown]
	s_waitcnt vmcnt(2)
	v_add_f64 v[3:4], v[3:4], -v[14:15]
	s_waitcnt vmcnt(0)
	v_add_f64 v[1:2], v[10:11], -v[1:2]
	buffer_store_dword v4, off, s[0:3], 0 offset:980
	buffer_store_dword v3, off, s[0:3], 0 offset:976
	;; [unrolled: 1-line block ×4, first 2 shown]
	ds_read2_b64 v[10:13], v6 offset0:124 offset1:125
	buffer_load_dword v1, off, s[0:3], 0 offset:688
	buffer_load_dword v2, off, s[0:3], 0 offset:692
	;; [unrolled: 1-line block ×4, first 2 shown]
	s_waitcnt vmcnt(0) lgkmcnt(0)
	v_mul_f64 v[3:4], v[12:13], v[14:15]
	v_fma_f64 v[3:4], v[10:11], v[1:2], -v[3:4]
	v_mul_f64 v[10:11], v[10:11], v[14:15]
	v_fma_f64 v[1:2], v[12:13], v[1:2], v[10:11]
	buffer_load_dword v11, off, s[0:3], 0 offset:996
	buffer_load_dword v10, off, s[0:3], 0 offset:992
	s_waitcnt vmcnt(0)
	v_add_f64 v[3:4], v[10:11], -v[3:4]
	buffer_load_dword v11, off, s[0:3], 0 offset:1004
	buffer_load_dword v10, off, s[0:3], 0 offset:1000
	s_waitcnt vmcnt(0)
	v_add_f64 v[1:2], v[10:11], -v[1:2]
	buffer_store_dword v4, off, s[0:3], 0 offset:996
	buffer_store_dword v3, off, s[0:3], 0 offset:992
	;; [unrolled: 1-line block ×4, first 2 shown]
.LBB125_512:
	s_or_b64 exec, exec, s[6:7]
	v_cmp_eq_u32_e32 vcc, 44, v0
	s_waitcnt vmcnt(0) lgkmcnt(0)
	s_barrier
	s_and_saveexec_b64 s[8:9], vcc
	s_cbranch_execz .LBB125_519
; %bb.513:
	v_mov_b32_e32 v4, s34
	buffer_load_dword v1, v4, s[0:3], 0 offen
	buffer_load_dword v2, v4, s[0:3], 0 offen offset:4
	buffer_load_dword v3, v4, s[0:3], 0 offen offset:8
	s_nop 0
	buffer_load_dword v4, v4, s[0:3], 0 offen offset:12
	s_waitcnt vmcnt(0)
	ds_write2_b64 v125, v[1:2], v[3:4] offset1:1
	v_mov_b32_e32 v4, s31
	buffer_load_dword v1, v4, s[0:3], 0 offen
	buffer_load_dword v2, v4, s[0:3], 0 offen offset:4
	buffer_load_dword v3, v4, s[0:3], 0 offen offset:8
	s_nop 0
	buffer_load_dword v4, v4, s[0:3], 0 offen offset:12
	s_waitcnt vmcnt(0)
	ds_write2_b64 v6, v[1:2], v[3:4] offset0:90 offset1:91
	v_mov_b32_e32 v4, s30
	buffer_load_dword v1, v4, s[0:3], 0 offen
	buffer_load_dword v2, v4, s[0:3], 0 offen offset:4
	buffer_load_dword v3, v4, s[0:3], 0 offen offset:8
	s_nop 0
	buffer_load_dword v4, v4, s[0:3], 0 offen offset:12
	s_waitcnt vmcnt(0)
	ds_write2_b64 v6, v[1:2], v[3:4] offset0:92 offset1:93
	v_mov_b32_e32 v4, s29
	buffer_load_dword v1, v4, s[0:3], 0 offen
	buffer_load_dword v2, v4, s[0:3], 0 offen offset:4
	buffer_load_dword v3, v4, s[0:3], 0 offen offset:8
	s_nop 0
	buffer_load_dword v4, v4, s[0:3], 0 offen offset:12
	s_waitcnt vmcnt(0)
	ds_write2_b64 v6, v[1:2], v[3:4] offset0:94 offset1:95
	v_mov_b32_e32 v4, s28
	buffer_load_dword v1, v4, s[0:3], 0 offen
	buffer_load_dword v2, v4, s[0:3], 0 offen offset:4
	buffer_load_dword v3, v4, s[0:3], 0 offen offset:8
	s_nop 0
	buffer_load_dword v4, v4, s[0:3], 0 offen offset:12
	s_waitcnt vmcnt(0)
	ds_write2_b64 v6, v[1:2], v[3:4] offset0:96 offset1:97
	v_mov_b32_e32 v4, s27
	buffer_load_dword v1, v4, s[0:3], 0 offen
	buffer_load_dword v2, v4, s[0:3], 0 offen offset:4
	buffer_load_dword v3, v4, s[0:3], 0 offen offset:8
	s_nop 0
	buffer_load_dword v4, v4, s[0:3], 0 offen offset:12
	s_waitcnt vmcnt(0)
	ds_write2_b64 v6, v[1:2], v[3:4] offset0:98 offset1:99
	v_mov_b32_e32 v4, s26
	buffer_load_dword v1, v4, s[0:3], 0 offen
	buffer_load_dword v2, v4, s[0:3], 0 offen offset:4
	buffer_load_dword v3, v4, s[0:3], 0 offen offset:8
	s_nop 0
	buffer_load_dword v4, v4, s[0:3], 0 offen offset:12
	s_waitcnt vmcnt(0)
	ds_write2_b64 v6, v[1:2], v[3:4] offset0:100 offset1:101
	v_mov_b32_e32 v4, s25
	buffer_load_dword v1, v4, s[0:3], 0 offen
	buffer_load_dword v2, v4, s[0:3], 0 offen offset:4
	buffer_load_dword v3, v4, s[0:3], 0 offen offset:8
	s_nop 0
	buffer_load_dword v4, v4, s[0:3], 0 offen offset:12
	s_waitcnt vmcnt(0)
	ds_write2_b64 v6, v[1:2], v[3:4] offset0:102 offset1:103
	v_mov_b32_e32 v4, s24
	buffer_load_dword v1, v4, s[0:3], 0 offen
	buffer_load_dword v2, v4, s[0:3], 0 offen offset:4
	buffer_load_dword v3, v4, s[0:3], 0 offen offset:8
	s_nop 0
	buffer_load_dword v4, v4, s[0:3], 0 offen offset:12
	s_waitcnt vmcnt(0)
	ds_write2_b64 v6, v[1:2], v[3:4] offset0:104 offset1:105
	v_mov_b32_e32 v4, s23
	buffer_load_dword v1, v4, s[0:3], 0 offen
	buffer_load_dword v2, v4, s[0:3], 0 offen offset:4
	buffer_load_dword v3, v4, s[0:3], 0 offen offset:8
	s_nop 0
	buffer_load_dword v4, v4, s[0:3], 0 offen offset:12
	s_waitcnt vmcnt(0)
	ds_write2_b64 v6, v[1:2], v[3:4] offset0:106 offset1:107
	v_mov_b32_e32 v4, s22
	buffer_load_dword v1, v4, s[0:3], 0 offen
	buffer_load_dword v2, v4, s[0:3], 0 offen offset:4
	buffer_load_dword v3, v4, s[0:3], 0 offen offset:8
	s_nop 0
	buffer_load_dword v4, v4, s[0:3], 0 offen offset:12
	s_waitcnt vmcnt(0)
	ds_write2_b64 v6, v[1:2], v[3:4] offset0:108 offset1:109
	v_mov_b32_e32 v4, s21
	buffer_load_dword v1, v4, s[0:3], 0 offen
	buffer_load_dword v2, v4, s[0:3], 0 offen offset:4
	buffer_load_dword v3, v4, s[0:3], 0 offen offset:8
	s_nop 0
	buffer_load_dword v4, v4, s[0:3], 0 offen offset:12
	s_waitcnt vmcnt(0)
	ds_write2_b64 v6, v[1:2], v[3:4] offset0:110 offset1:111
	v_mov_b32_e32 v4, s20
	buffer_load_dword v1, v4, s[0:3], 0 offen
	buffer_load_dword v2, v4, s[0:3], 0 offen offset:4
	buffer_load_dword v3, v4, s[0:3], 0 offen offset:8
	s_nop 0
	buffer_load_dword v4, v4, s[0:3], 0 offen offset:12
	s_waitcnt vmcnt(0)
	ds_write2_b64 v6, v[1:2], v[3:4] offset0:112 offset1:113
	v_mov_b32_e32 v4, s19
	buffer_load_dword v1, v4, s[0:3], 0 offen
	buffer_load_dword v2, v4, s[0:3], 0 offen offset:4
	buffer_load_dword v3, v4, s[0:3], 0 offen offset:8
	s_nop 0
	buffer_load_dword v4, v4, s[0:3], 0 offen offset:12
	s_waitcnt vmcnt(0)
	ds_write2_b64 v6, v[1:2], v[3:4] offset0:114 offset1:115
	v_mov_b32_e32 v4, s18
	buffer_load_dword v1, v4, s[0:3], 0 offen
	buffer_load_dword v2, v4, s[0:3], 0 offen offset:4
	buffer_load_dword v3, v4, s[0:3], 0 offen offset:8
	s_nop 0
	buffer_load_dword v4, v4, s[0:3], 0 offen offset:12
	s_waitcnt vmcnt(0)
	ds_write2_b64 v6, v[1:2], v[3:4] offset0:116 offset1:117
	v_mov_b32_e32 v4, s17
	buffer_load_dword v1, v4, s[0:3], 0 offen
	buffer_load_dword v2, v4, s[0:3], 0 offen offset:4
	buffer_load_dword v3, v4, s[0:3], 0 offen offset:8
	s_nop 0
	buffer_load_dword v4, v4, s[0:3], 0 offen offset:12
	s_waitcnt vmcnt(0)
	ds_write2_b64 v6, v[1:2], v[3:4] offset0:118 offset1:119
	v_mov_b32_e32 v4, s14
	buffer_load_dword v1, v4, s[0:3], 0 offen
	buffer_load_dword v2, v4, s[0:3], 0 offen offset:4
	buffer_load_dword v3, v4, s[0:3], 0 offen offset:8
	s_nop 0
	buffer_load_dword v4, v4, s[0:3], 0 offen offset:12
	s_waitcnt vmcnt(0)
	ds_write2_b64 v6, v[1:2], v[3:4] offset0:120 offset1:121
	v_mov_b32_e32 v4, s16
	buffer_load_dword v1, v4, s[0:3], 0 offen
	buffer_load_dword v2, v4, s[0:3], 0 offen offset:4
	buffer_load_dword v3, v4, s[0:3], 0 offen offset:8
	s_nop 0
	buffer_load_dword v4, v4, s[0:3], 0 offen offset:12
	s_waitcnt vmcnt(0)
	ds_write2_b64 v6, v[1:2], v[3:4] offset0:122 offset1:123
	v_mov_b32_e32 v4, s33
	buffer_load_dword v1, v4, s[0:3], 0 offen
	buffer_load_dword v2, v4, s[0:3], 0 offen offset:4
	buffer_load_dword v3, v4, s[0:3], 0 offen offset:8
	s_nop 0
	buffer_load_dword v4, v4, s[0:3], 0 offen offset:12
	s_waitcnt vmcnt(0)
	ds_write2_b64 v6, v[1:2], v[3:4] offset0:124 offset1:125
	ds_read2_b64 v[1:4], v125 offset1:1
	s_waitcnt lgkmcnt(0)
	v_cmp_neq_f64_e32 vcc, 0, v[1:2]
	v_cmp_neq_f64_e64 s[6:7], 0, v[3:4]
	s_or_b64 s[6:7], vcc, s[6:7]
	s_and_b64 exec, exec, s[6:7]
	s_cbranch_execz .LBB125_519
; %bb.514:
	v_cmp_ngt_f64_e64 s[6:7], |v[1:2]|, |v[3:4]|
                                        ; implicit-def: $vgpr10_vgpr11
	s_and_saveexec_b64 s[10:11], s[6:7]
	s_xor_b64 s[6:7], exec, s[10:11]
                                        ; implicit-def: $vgpr12_vgpr13
	s_cbranch_execz .LBB125_516
; %bb.515:
	v_div_scale_f64 v[10:11], s[10:11], v[3:4], v[3:4], v[1:2]
	v_rcp_f64_e32 v[12:13], v[10:11]
	v_fma_f64 v[14:15], -v[10:11], v[12:13], 1.0
	v_fma_f64 v[12:13], v[12:13], v[14:15], v[12:13]
	v_div_scale_f64 v[14:15], vcc, v[1:2], v[3:4], v[1:2]
	v_fma_f64 v[53:54], -v[10:11], v[12:13], 1.0
	v_fma_f64 v[12:13], v[12:13], v[53:54], v[12:13]
	v_mul_f64 v[53:54], v[14:15], v[12:13]
	v_fma_f64 v[10:11], -v[10:11], v[53:54], v[14:15]
	v_div_fmas_f64 v[10:11], v[10:11], v[12:13], v[53:54]
	v_div_fixup_f64 v[10:11], v[10:11], v[3:4], v[1:2]
	v_fma_f64 v[1:2], v[1:2], v[10:11], v[3:4]
	v_div_scale_f64 v[3:4], s[10:11], v[1:2], v[1:2], 1.0
	v_div_scale_f64 v[53:54], vcc, 1.0, v[1:2], 1.0
	v_rcp_f64_e32 v[12:13], v[3:4]
	v_fma_f64 v[14:15], -v[3:4], v[12:13], 1.0
	v_fma_f64 v[12:13], v[12:13], v[14:15], v[12:13]
	v_fma_f64 v[14:15], -v[3:4], v[12:13], 1.0
	v_fma_f64 v[12:13], v[12:13], v[14:15], v[12:13]
	v_mul_f64 v[14:15], v[53:54], v[12:13]
	v_fma_f64 v[3:4], -v[3:4], v[14:15], v[53:54]
	v_div_fmas_f64 v[3:4], v[3:4], v[12:13], v[14:15]
	v_div_fixup_f64 v[12:13], v[3:4], v[1:2], 1.0
                                        ; implicit-def: $vgpr1_vgpr2
	v_mul_f64 v[10:11], v[10:11], v[12:13]
	v_xor_b32_e32 v13, 0x80000000, v13
.LBB125_516:
	s_andn2_saveexec_b64 s[6:7], s[6:7]
	s_cbranch_execz .LBB125_518
; %bb.517:
	v_div_scale_f64 v[10:11], s[10:11], v[1:2], v[1:2], v[3:4]
	v_rcp_f64_e32 v[12:13], v[10:11]
	v_fma_f64 v[14:15], -v[10:11], v[12:13], 1.0
	v_fma_f64 v[12:13], v[12:13], v[14:15], v[12:13]
	v_div_scale_f64 v[14:15], vcc, v[3:4], v[1:2], v[3:4]
	v_fma_f64 v[53:54], -v[10:11], v[12:13], 1.0
	v_fma_f64 v[12:13], v[12:13], v[53:54], v[12:13]
	v_mul_f64 v[53:54], v[14:15], v[12:13]
	v_fma_f64 v[10:11], -v[10:11], v[53:54], v[14:15]
	v_div_fmas_f64 v[10:11], v[10:11], v[12:13], v[53:54]
	v_div_fixup_f64 v[12:13], v[10:11], v[1:2], v[3:4]
	v_fma_f64 v[1:2], v[3:4], v[12:13], v[1:2]
	v_div_scale_f64 v[3:4], s[10:11], v[1:2], v[1:2], 1.0
	v_div_scale_f64 v[53:54], vcc, 1.0, v[1:2], 1.0
	v_rcp_f64_e32 v[10:11], v[3:4]
	v_fma_f64 v[14:15], -v[3:4], v[10:11], 1.0
	v_fma_f64 v[10:11], v[10:11], v[14:15], v[10:11]
	v_fma_f64 v[14:15], -v[3:4], v[10:11], 1.0
	v_fma_f64 v[10:11], v[10:11], v[14:15], v[10:11]
	v_mul_f64 v[14:15], v[53:54], v[10:11]
	v_fma_f64 v[3:4], -v[3:4], v[14:15], v[53:54]
	v_div_fmas_f64 v[3:4], v[3:4], v[10:11], v[14:15]
	v_div_fixup_f64 v[10:11], v[3:4], v[1:2], 1.0
	v_mul_f64 v[12:13], v[12:13], -v[10:11]
.LBB125_518:
	s_or_b64 exec, exec, s[6:7]
	ds_write2_b64 v125, v[10:11], v[12:13] offset1:1
.LBB125_519:
	s_or_b64 exec, exec, s[8:9]
	s_waitcnt lgkmcnt(0)
	s_barrier
	ds_read2_b64 v[53:56], v125 offset1:1
	v_cmp_lt_u32_e32 vcc, 44, v0
	s_and_saveexec_b64 s[6:7], vcc
	s_cbranch_execz .LBB125_521
; %bb.520:
	buffer_load_dword v3, off, s[0:3], 0 offset:704
	buffer_load_dword v4, off, s[0:3], 0 offset:708
	;; [unrolled: 1-line block ×16, first 2 shown]
	s_waitcnt vmcnt(12) lgkmcnt(0)
	v_mul_f64 v[1:2], v[55:56], v[10:11]
	v_mul_f64 v[10:11], v[53:54], v[10:11]
	v_fma_f64 v[1:2], v[53:54], v[3:4], -v[1:2]
	v_fma_f64 v[3:4], v[55:56], v[3:4], v[10:11]
	buffer_store_dword v1, off, s[0:3], 0 offset:704
	buffer_store_dword v2, off, s[0:3], 0 offset:708
	buffer_store_dword v3, off, s[0:3], 0 offset:712
	buffer_store_dword v4, off, s[0:3], 0 offset:716
	ds_read2_b64 v[10:13], v6 offset0:90 offset1:91
	s_waitcnt lgkmcnt(0)
	v_mul_f64 v[67:68], v[12:13], v[3:4]
	v_fma_f64 v[67:68], v[10:11], v[1:2], -v[67:68]
	v_mul_f64 v[10:11], v[10:11], v[3:4]
	v_fma_f64 v[10:11], v[12:13], v[1:2], v[10:11]
	s_waitcnt vmcnt(14)
	v_add_f64 v[12:13], v[14:15], -v[67:68]
	s_waitcnt vmcnt(12)
	v_add_f64 v[10:11], v[57:58], -v[10:11]
	buffer_store_dword v12, off, s[0:3], 0 offset:720
	buffer_store_dword v13, off, s[0:3], 0 offset:724
	buffer_store_dword v10, off, s[0:3], 0 offset:728
	buffer_store_dword v11, off, s[0:3], 0 offset:732
	ds_read2_b64 v[10:13], v6 offset0:92 offset1:93
	s_waitcnt lgkmcnt(0)
	v_mul_f64 v[14:15], v[12:13], v[3:4]
	v_fma_f64 v[14:15], v[10:11], v[1:2], -v[14:15]
	v_mul_f64 v[10:11], v[10:11], v[3:4]
	v_fma_f64 v[10:11], v[12:13], v[1:2], v[10:11]
	s_waitcnt vmcnt(14)
	v_add_f64 v[12:13], v[59:60], -v[14:15]
	s_waitcnt vmcnt(12)
	v_add_f64 v[10:11], v[61:62], -v[10:11]
	;; [unrolled: 14-line block ×3, first 2 shown]
	buffer_store_dword v13, off, s[0:3], 0 offset:756
	buffer_store_dword v12, off, s[0:3], 0 offset:752
	;; [unrolled: 1-line block ×4, first 2 shown]
	ds_read2_b64 v[10:13], v6 offset0:96 offset1:97
	s_waitcnt lgkmcnt(0)
	v_mul_f64 v[14:15], v[12:13], v[3:4]
	v_fma_f64 v[14:15], v[10:11], v[1:2], -v[14:15]
	v_mul_f64 v[10:11], v[10:11], v[3:4]
	v_fma_f64 v[10:11], v[12:13], v[1:2], v[10:11]
	buffer_load_dword v12, off, s[0:3], 0 offset:768
	buffer_load_dword v13, off, s[0:3], 0 offset:772
	;; [unrolled: 1-line block ×4, first 2 shown]
	s_waitcnt vmcnt(2)
	v_add_f64 v[12:13], v[12:13], -v[14:15]
	s_waitcnt vmcnt(0)
	v_add_f64 v[10:11], v[57:58], -v[10:11]
	buffer_store_dword v13, off, s[0:3], 0 offset:772
	buffer_store_dword v12, off, s[0:3], 0 offset:768
	;; [unrolled: 1-line block ×4, first 2 shown]
	ds_read2_b64 v[10:13], v6 offset0:98 offset1:99
	s_waitcnt lgkmcnt(0)
	v_mul_f64 v[14:15], v[12:13], v[3:4]
	v_fma_f64 v[14:15], v[10:11], v[1:2], -v[14:15]
	v_mul_f64 v[10:11], v[10:11], v[3:4]
	v_fma_f64 v[10:11], v[12:13], v[1:2], v[10:11]
	buffer_load_dword v12, off, s[0:3], 0 offset:784
	buffer_load_dword v13, off, s[0:3], 0 offset:788
	;; [unrolled: 1-line block ×4, first 2 shown]
	s_waitcnt vmcnt(2)
	v_add_f64 v[12:13], v[12:13], -v[14:15]
	s_waitcnt vmcnt(0)
	v_add_f64 v[10:11], v[57:58], -v[10:11]
	buffer_store_dword v13, off, s[0:3], 0 offset:788
	buffer_store_dword v12, off, s[0:3], 0 offset:784
	;; [unrolled: 1-line block ×4, first 2 shown]
	ds_read2_b64 v[10:13], v6 offset0:100 offset1:101
	s_waitcnt lgkmcnt(0)
	v_mul_f64 v[14:15], v[12:13], v[3:4]
	v_mul_f64 v[3:4], v[10:11], v[3:4]
	v_fma_f64 v[14:15], v[10:11], v[1:2], -v[14:15]
	v_fma_f64 v[1:2], v[12:13], v[1:2], v[3:4]
	buffer_load_dword v3, off, s[0:3], 0 offset:800
	buffer_load_dword v4, off, s[0:3], 0 offset:804
	;; [unrolled: 1-line block ×4, first 2 shown]
	s_waitcnt vmcnt(2)
	v_add_f64 v[3:4], v[3:4], -v[14:15]
	s_waitcnt vmcnt(0)
	v_add_f64 v[1:2], v[10:11], -v[1:2]
	buffer_store_dword v4, off, s[0:3], 0 offset:804
	buffer_store_dword v3, off, s[0:3], 0 offset:800
	;; [unrolled: 1-line block ×4, first 2 shown]
	ds_read2_b64 v[10:13], v6 offset0:102 offset1:103
	buffer_load_dword v1, off, s[0:3], 0 offset:704
	buffer_load_dword v2, off, s[0:3], 0 offset:708
	;; [unrolled: 1-line block ×4, first 2 shown]
	s_waitcnt vmcnt(0) lgkmcnt(0)
	v_mul_f64 v[14:15], v[12:13], v[3:4]
	v_fma_f64 v[14:15], v[10:11], v[1:2], -v[14:15]
	v_mul_f64 v[10:11], v[10:11], v[3:4]
	v_fma_f64 v[10:11], v[12:13], v[1:2], v[10:11]
	buffer_load_dword v13, off, s[0:3], 0 offset:820
	buffer_load_dword v12, off, s[0:3], 0 offset:816
	s_waitcnt vmcnt(0)
	v_add_f64 v[12:13], v[12:13], -v[14:15]
	buffer_load_dword v15, off, s[0:3], 0 offset:828
	buffer_load_dword v14, off, s[0:3], 0 offset:824
	s_waitcnt vmcnt(0)
	v_add_f64 v[10:11], v[14:15], -v[10:11]
	buffer_store_dword v13, off, s[0:3], 0 offset:820
	buffer_store_dword v12, off, s[0:3], 0 offset:816
	buffer_store_dword v11, off, s[0:3], 0 offset:828
	buffer_store_dword v10, off, s[0:3], 0 offset:824
	ds_read2_b64 v[10:13], v6 offset0:104 offset1:105
	s_waitcnt lgkmcnt(0)
	v_mul_f64 v[14:15], v[12:13], v[3:4]
	v_fma_f64 v[14:15], v[10:11], v[1:2], -v[14:15]
	v_mul_f64 v[10:11], v[10:11], v[3:4]
	v_fma_f64 v[10:11], v[12:13], v[1:2], v[10:11]
	buffer_load_dword v12, off, s[0:3], 0 offset:832
	buffer_load_dword v13, off, s[0:3], 0 offset:836
	buffer_load_dword v57, off, s[0:3], 0 offset:840
	buffer_load_dword v58, off, s[0:3], 0 offset:844
	s_waitcnt vmcnt(2)
	v_add_f64 v[12:13], v[12:13], -v[14:15]
	s_waitcnt vmcnt(0)
	v_add_f64 v[10:11], v[57:58], -v[10:11]
	buffer_store_dword v13, off, s[0:3], 0 offset:836
	buffer_store_dword v12, off, s[0:3], 0 offset:832
	buffer_store_dword v11, off, s[0:3], 0 offset:844
	buffer_store_dword v10, off, s[0:3], 0 offset:840
	ds_read2_b64 v[10:13], v6 offset0:106 offset1:107
	s_waitcnt lgkmcnt(0)
	v_mul_f64 v[14:15], v[12:13], v[3:4]
	v_fma_f64 v[14:15], v[10:11], v[1:2], -v[14:15]
	v_mul_f64 v[10:11], v[10:11], v[3:4]
	v_fma_f64 v[10:11], v[12:13], v[1:2], v[10:11]
	buffer_load_dword v12, off, s[0:3], 0 offset:848
	buffer_load_dword v13, off, s[0:3], 0 offset:852
	buffer_load_dword v57, off, s[0:3], 0 offset:856
	buffer_load_dword v58, off, s[0:3], 0 offset:860
	s_waitcnt vmcnt(2)
	v_add_f64 v[12:13], v[12:13], -v[14:15]
	s_waitcnt vmcnt(0)
	v_add_f64 v[10:11], v[57:58], -v[10:11]
	buffer_store_dword v13, off, s[0:3], 0 offset:852
	buffer_store_dword v12, off, s[0:3], 0 offset:848
	buffer_store_dword v11, off, s[0:3], 0 offset:860
	buffer_store_dword v10, off, s[0:3], 0 offset:856
	ds_read2_b64 v[10:13], v6 offset0:108 offset1:109
	s_waitcnt lgkmcnt(0)
	v_mul_f64 v[14:15], v[12:13], v[3:4]
	v_fma_f64 v[14:15], v[10:11], v[1:2], -v[14:15]
	v_mul_f64 v[10:11], v[10:11], v[3:4]
	v_fma_f64 v[10:11], v[12:13], v[1:2], v[10:11]
	buffer_load_dword v12, off, s[0:3], 0 offset:864
	buffer_load_dword v13, off, s[0:3], 0 offset:868
	buffer_load_dword v57, off, s[0:3], 0 offset:872
	buffer_load_dword v58, off, s[0:3], 0 offset:876
	s_waitcnt vmcnt(2)
	v_add_f64 v[12:13], v[12:13], -v[14:15]
	s_waitcnt vmcnt(0)
	v_add_f64 v[10:11], v[57:58], -v[10:11]
	buffer_store_dword v13, off, s[0:3], 0 offset:868
	buffer_store_dword v12, off, s[0:3], 0 offset:864
	buffer_store_dword v11, off, s[0:3], 0 offset:876
	buffer_store_dword v10, off, s[0:3], 0 offset:872
	ds_read2_b64 v[10:13], v6 offset0:110 offset1:111
	s_waitcnt lgkmcnt(0)
	v_mul_f64 v[14:15], v[12:13], v[3:4]
	v_fma_f64 v[14:15], v[10:11], v[1:2], -v[14:15]
	v_mul_f64 v[10:11], v[10:11], v[3:4]
	v_fma_f64 v[10:11], v[12:13], v[1:2], v[10:11]
	buffer_load_dword v12, off, s[0:3], 0 offset:880
	buffer_load_dword v13, off, s[0:3], 0 offset:884
	buffer_load_dword v57, off, s[0:3], 0 offset:888
	buffer_load_dword v58, off, s[0:3], 0 offset:892
	s_waitcnt vmcnt(2)
	v_add_f64 v[12:13], v[12:13], -v[14:15]
	s_waitcnt vmcnt(0)
	v_add_f64 v[10:11], v[57:58], -v[10:11]
	buffer_store_dword v13, off, s[0:3], 0 offset:884
	buffer_store_dword v12, off, s[0:3], 0 offset:880
	buffer_store_dword v11, off, s[0:3], 0 offset:892
	buffer_store_dword v10, off, s[0:3], 0 offset:888
	ds_read2_b64 v[10:13], v6 offset0:112 offset1:113
	s_waitcnt lgkmcnt(0)
	v_mul_f64 v[14:15], v[12:13], v[3:4]
	v_mul_f64 v[3:4], v[10:11], v[3:4]
	v_fma_f64 v[14:15], v[10:11], v[1:2], -v[14:15]
	v_fma_f64 v[1:2], v[12:13], v[1:2], v[3:4]
	buffer_load_dword v3, off, s[0:3], 0 offset:896
	buffer_load_dword v4, off, s[0:3], 0 offset:900
	;; [unrolled: 1-line block ×4, first 2 shown]
	s_waitcnt vmcnt(2)
	v_add_f64 v[3:4], v[3:4], -v[14:15]
	s_waitcnt vmcnt(0)
	v_add_f64 v[1:2], v[10:11], -v[1:2]
	buffer_store_dword v4, off, s[0:3], 0 offset:900
	buffer_store_dword v3, off, s[0:3], 0 offset:896
	;; [unrolled: 1-line block ×4, first 2 shown]
	ds_read2_b64 v[10:13], v6 offset0:114 offset1:115
	buffer_load_dword v1, off, s[0:3], 0 offset:704
	buffer_load_dword v2, off, s[0:3], 0 offset:708
	;; [unrolled: 1-line block ×4, first 2 shown]
	s_waitcnt vmcnt(0) lgkmcnt(0)
	v_mul_f64 v[3:4], v[12:13], v[57:58]
	v_fma_f64 v[3:4], v[10:11], v[1:2], -v[3:4]
	v_mul_f64 v[10:11], v[10:11], v[57:58]
	v_fma_f64 v[10:11], v[12:13], v[1:2], v[10:11]
	buffer_load_dword v13, off, s[0:3], 0 offset:916
	buffer_load_dword v12, off, s[0:3], 0 offset:912
	s_waitcnt vmcnt(0)
	v_add_f64 v[3:4], v[12:13], -v[3:4]
	buffer_load_dword v13, off, s[0:3], 0 offset:924
	buffer_load_dword v12, off, s[0:3], 0 offset:920
	s_waitcnt vmcnt(0)
	v_add_f64 v[10:11], v[12:13], -v[10:11]
	buffer_store_dword v4, off, s[0:3], 0 offset:916
	buffer_store_dword v3, off, s[0:3], 0 offset:912
	buffer_store_dword v11, off, s[0:3], 0 offset:924
	buffer_store_dword v10, off, s[0:3], 0 offset:920
	ds_read2_b64 v[10:13], v6 offset0:116 offset1:117
	s_waitcnt lgkmcnt(0)
	v_mul_f64 v[3:4], v[12:13], v[57:58]
	v_fma_f64 v[3:4], v[10:11], v[1:2], -v[3:4]
	v_mul_f64 v[10:11], v[10:11], v[57:58]
	v_fma_f64 v[10:11], v[12:13], v[1:2], v[10:11]
	buffer_load_dword v12, off, s[0:3], 0 offset:928
	buffer_load_dword v13, off, s[0:3], 0 offset:932
	buffer_load_dword v14, off, s[0:3], 0 offset:936
	buffer_load_dword v15, off, s[0:3], 0 offset:940
	s_waitcnt vmcnt(2)
	v_add_f64 v[3:4], v[12:13], -v[3:4]
	s_waitcnt vmcnt(0)
	v_add_f64 v[10:11], v[14:15], -v[10:11]
	buffer_store_dword v4, off, s[0:3], 0 offset:932
	buffer_store_dword v3, off, s[0:3], 0 offset:928
	buffer_store_dword v11, off, s[0:3], 0 offset:940
	buffer_store_dword v10, off, s[0:3], 0 offset:936
	ds_read2_b64 v[10:13], v6 offset0:118 offset1:119
	s_waitcnt lgkmcnt(0)
	v_mul_f64 v[3:4], v[12:13], v[57:58]
	v_fma_f64 v[3:4], v[10:11], v[1:2], -v[3:4]
	v_mul_f64 v[10:11], v[10:11], v[57:58]
	v_fma_f64 v[10:11], v[12:13], v[1:2], v[10:11]
	buffer_load_dword v12, off, s[0:3], 0 offset:944
	buffer_load_dword v13, off, s[0:3], 0 offset:948
	buffer_load_dword v14, off, s[0:3], 0 offset:952
	buffer_load_dword v15, off, s[0:3], 0 offset:956
	s_waitcnt vmcnt(2)
	v_add_f64 v[3:4], v[12:13], -v[3:4]
	;; [unrolled: 18-line block ×4, first 2 shown]
	s_waitcnt vmcnt(0)
	v_add_f64 v[10:11], v[14:15], -v[10:11]
	buffer_store_dword v4, off, s[0:3], 0 offset:980
	buffer_store_dword v3, off, s[0:3], 0 offset:976
	;; [unrolled: 1-line block ×4, first 2 shown]
	ds_read2_b64 v[10:13], v6 offset0:124 offset1:125
	s_waitcnt lgkmcnt(0)
	v_mul_f64 v[3:4], v[12:13], v[57:58]
	v_fma_f64 v[3:4], v[10:11], v[1:2], -v[3:4]
	v_mul_f64 v[10:11], v[10:11], v[57:58]
	buffer_load_dword v59, off, s[0:3], 0 offset:992
	buffer_load_dword v60, off, s[0:3], 0 offset:996
	;; [unrolled: 1-line block ×4, first 2 shown]
	v_fma_f64 v[1:2], v[12:13], v[1:2], v[10:11]
	s_waitcnt vmcnt(2)
	v_add_f64 v[3:4], v[59:60], -v[3:4]
	s_waitcnt vmcnt(0)
	v_add_f64 v[1:2], v[57:58], -v[1:2]
	buffer_store_dword v4, off, s[0:3], 0 offset:996
	buffer_store_dword v3, off, s[0:3], 0 offset:992
	;; [unrolled: 1-line block ×4, first 2 shown]
.LBB125_521:
	s_or_b64 exec, exec, s[6:7]
	v_cmp_eq_u32_e32 vcc, 45, v0
	s_waitcnt vmcnt(0) lgkmcnt(0)
	s_barrier
	s_and_saveexec_b64 s[8:9], vcc
	s_cbranch_execz .LBB125_528
; %bb.522:
	v_mov_b32_e32 v4, s31
	buffer_load_dword v1, v4, s[0:3], 0 offen
	buffer_load_dword v2, v4, s[0:3], 0 offen offset:4
	buffer_load_dword v3, v4, s[0:3], 0 offen offset:8
	s_nop 0
	buffer_load_dword v4, v4, s[0:3], 0 offen offset:12
	s_waitcnt vmcnt(0)
	ds_write2_b64 v125, v[1:2], v[3:4] offset1:1
	v_mov_b32_e32 v4, s30
	buffer_load_dword v1, v4, s[0:3], 0 offen
	buffer_load_dword v2, v4, s[0:3], 0 offen offset:4
	buffer_load_dword v3, v4, s[0:3], 0 offen offset:8
	s_nop 0
	buffer_load_dword v4, v4, s[0:3], 0 offen offset:12
	s_waitcnt vmcnt(0)
	ds_write2_b64 v6, v[1:2], v[3:4] offset0:92 offset1:93
	v_mov_b32_e32 v4, s29
	buffer_load_dword v1, v4, s[0:3], 0 offen
	buffer_load_dword v2, v4, s[0:3], 0 offen offset:4
	buffer_load_dword v3, v4, s[0:3], 0 offen offset:8
	s_nop 0
	buffer_load_dword v4, v4, s[0:3], 0 offen offset:12
	s_waitcnt vmcnt(0)
	ds_write2_b64 v6, v[1:2], v[3:4] offset0:94 offset1:95
	;; [unrolled: 8-line block ×17, first 2 shown]
	ds_read2_b64 v[1:4], v125 offset1:1
	s_waitcnt lgkmcnt(0)
	v_cmp_neq_f64_e32 vcc, 0, v[1:2]
	v_cmp_neq_f64_e64 s[6:7], 0, v[3:4]
	s_or_b64 s[6:7], vcc, s[6:7]
	s_and_b64 exec, exec, s[6:7]
	s_cbranch_execz .LBB125_528
; %bb.523:
	v_cmp_ngt_f64_e64 s[6:7], |v[1:2]|, |v[3:4]|
                                        ; implicit-def: $vgpr10_vgpr11
	s_and_saveexec_b64 s[10:11], s[6:7]
	s_xor_b64 s[6:7], exec, s[10:11]
                                        ; implicit-def: $vgpr12_vgpr13
	s_cbranch_execz .LBB125_525
; %bb.524:
	v_div_scale_f64 v[10:11], s[10:11], v[3:4], v[3:4], v[1:2]
	v_rcp_f64_e32 v[12:13], v[10:11]
	v_fma_f64 v[14:15], -v[10:11], v[12:13], 1.0
	v_fma_f64 v[12:13], v[12:13], v[14:15], v[12:13]
	v_div_scale_f64 v[14:15], vcc, v[1:2], v[3:4], v[1:2]
	v_fma_f64 v[57:58], -v[10:11], v[12:13], 1.0
	v_fma_f64 v[12:13], v[12:13], v[57:58], v[12:13]
	v_mul_f64 v[57:58], v[14:15], v[12:13]
	v_fma_f64 v[10:11], -v[10:11], v[57:58], v[14:15]
	v_div_fmas_f64 v[10:11], v[10:11], v[12:13], v[57:58]
	v_div_fixup_f64 v[10:11], v[10:11], v[3:4], v[1:2]
	v_fma_f64 v[1:2], v[1:2], v[10:11], v[3:4]
	v_div_scale_f64 v[3:4], s[10:11], v[1:2], v[1:2], 1.0
	v_div_scale_f64 v[57:58], vcc, 1.0, v[1:2], 1.0
	v_rcp_f64_e32 v[12:13], v[3:4]
	v_fma_f64 v[14:15], -v[3:4], v[12:13], 1.0
	v_fma_f64 v[12:13], v[12:13], v[14:15], v[12:13]
	v_fma_f64 v[14:15], -v[3:4], v[12:13], 1.0
	v_fma_f64 v[12:13], v[12:13], v[14:15], v[12:13]
	v_mul_f64 v[14:15], v[57:58], v[12:13]
	v_fma_f64 v[3:4], -v[3:4], v[14:15], v[57:58]
	v_div_fmas_f64 v[3:4], v[3:4], v[12:13], v[14:15]
	v_div_fixup_f64 v[12:13], v[3:4], v[1:2], 1.0
                                        ; implicit-def: $vgpr1_vgpr2
	v_mul_f64 v[10:11], v[10:11], v[12:13]
	v_xor_b32_e32 v13, 0x80000000, v13
.LBB125_525:
	s_andn2_saveexec_b64 s[6:7], s[6:7]
	s_cbranch_execz .LBB125_527
; %bb.526:
	v_div_scale_f64 v[10:11], s[10:11], v[1:2], v[1:2], v[3:4]
	v_rcp_f64_e32 v[12:13], v[10:11]
	v_fma_f64 v[14:15], -v[10:11], v[12:13], 1.0
	v_fma_f64 v[12:13], v[12:13], v[14:15], v[12:13]
	v_div_scale_f64 v[14:15], vcc, v[3:4], v[1:2], v[3:4]
	v_fma_f64 v[57:58], -v[10:11], v[12:13], 1.0
	v_fma_f64 v[12:13], v[12:13], v[57:58], v[12:13]
	v_mul_f64 v[57:58], v[14:15], v[12:13]
	v_fma_f64 v[10:11], -v[10:11], v[57:58], v[14:15]
	v_div_fmas_f64 v[10:11], v[10:11], v[12:13], v[57:58]
	v_div_fixup_f64 v[12:13], v[10:11], v[1:2], v[3:4]
	v_fma_f64 v[1:2], v[3:4], v[12:13], v[1:2]
	v_div_scale_f64 v[3:4], s[10:11], v[1:2], v[1:2], 1.0
	v_div_scale_f64 v[57:58], vcc, 1.0, v[1:2], 1.0
	v_rcp_f64_e32 v[10:11], v[3:4]
	v_fma_f64 v[14:15], -v[3:4], v[10:11], 1.0
	v_fma_f64 v[10:11], v[10:11], v[14:15], v[10:11]
	v_fma_f64 v[14:15], -v[3:4], v[10:11], 1.0
	v_fma_f64 v[10:11], v[10:11], v[14:15], v[10:11]
	v_mul_f64 v[14:15], v[57:58], v[10:11]
	v_fma_f64 v[3:4], -v[3:4], v[14:15], v[57:58]
	v_div_fmas_f64 v[3:4], v[3:4], v[10:11], v[14:15]
	v_div_fixup_f64 v[10:11], v[3:4], v[1:2], 1.0
	v_mul_f64 v[12:13], v[12:13], -v[10:11]
.LBB125_527:
	s_or_b64 exec, exec, s[6:7]
	ds_write2_b64 v125, v[10:11], v[12:13] offset1:1
.LBB125_528:
	s_or_b64 exec, exec, s[8:9]
	s_waitcnt lgkmcnt(0)
	s_barrier
	ds_read2_b64 v[57:60], v125 offset1:1
	v_cmp_lt_u32_e32 vcc, 45, v0
	s_and_saveexec_b64 s[6:7], vcc
	s_cbranch_execz .LBB125_530
; %bb.529:
	buffer_load_dword v3, off, s[0:3], 0 offset:720
	buffer_load_dword v4, off, s[0:3], 0 offset:724
	;; [unrolled: 1-line block ×16, first 2 shown]
	s_waitcnt vmcnt(12) lgkmcnt(0)
	v_mul_f64 v[1:2], v[59:60], v[10:11]
	v_mul_f64 v[10:11], v[57:58], v[10:11]
	v_fma_f64 v[1:2], v[57:58], v[3:4], -v[1:2]
	v_fma_f64 v[3:4], v[59:60], v[3:4], v[10:11]
	buffer_store_dword v1, off, s[0:3], 0 offset:720
	buffer_store_dword v2, off, s[0:3], 0 offset:724
	buffer_store_dword v3, off, s[0:3], 0 offset:728
	buffer_store_dword v4, off, s[0:3], 0 offset:732
	ds_read2_b64 v[10:13], v6 offset0:92 offset1:93
	s_waitcnt lgkmcnt(0)
	v_mul_f64 v[71:72], v[12:13], v[3:4]
	v_fma_f64 v[71:72], v[10:11], v[1:2], -v[71:72]
	v_mul_f64 v[10:11], v[10:11], v[3:4]
	v_fma_f64 v[10:11], v[12:13], v[1:2], v[10:11]
	s_waitcnt vmcnt(14)
	v_add_f64 v[12:13], v[14:15], -v[71:72]
	s_waitcnt vmcnt(12)
	v_add_f64 v[10:11], v[61:62], -v[10:11]
	buffer_store_dword v12, off, s[0:3], 0 offset:736
	buffer_store_dword v13, off, s[0:3], 0 offset:740
	buffer_store_dword v10, off, s[0:3], 0 offset:744
	buffer_store_dword v11, off, s[0:3], 0 offset:748
	ds_read2_b64 v[10:13], v6 offset0:94 offset1:95
	s_waitcnt lgkmcnt(0)
	v_mul_f64 v[14:15], v[12:13], v[3:4]
	v_fma_f64 v[14:15], v[10:11], v[1:2], -v[14:15]
	v_mul_f64 v[10:11], v[10:11], v[3:4]
	v_fma_f64 v[10:11], v[12:13], v[1:2], v[10:11]
	s_waitcnt vmcnt(14)
	v_add_f64 v[12:13], v[63:64], -v[14:15]
	s_waitcnt vmcnt(12)
	v_add_f64 v[10:11], v[65:66], -v[10:11]
	;; [unrolled: 14-line block ×3, first 2 shown]
	buffer_store_dword v13, off, s[0:3], 0 offset:772
	buffer_store_dword v12, off, s[0:3], 0 offset:768
	;; [unrolled: 1-line block ×4, first 2 shown]
	ds_read2_b64 v[10:13], v6 offset0:98 offset1:99
	s_waitcnt lgkmcnt(0)
	v_mul_f64 v[14:15], v[12:13], v[3:4]
	v_fma_f64 v[14:15], v[10:11], v[1:2], -v[14:15]
	v_mul_f64 v[10:11], v[10:11], v[3:4]
	v_fma_f64 v[10:11], v[12:13], v[1:2], v[10:11]
	buffer_load_dword v12, off, s[0:3], 0 offset:784
	buffer_load_dword v13, off, s[0:3], 0 offset:788
	;; [unrolled: 1-line block ×4, first 2 shown]
	s_waitcnt vmcnt(2)
	v_add_f64 v[12:13], v[12:13], -v[14:15]
	s_waitcnt vmcnt(0)
	v_add_f64 v[10:11], v[61:62], -v[10:11]
	buffer_store_dword v13, off, s[0:3], 0 offset:788
	buffer_store_dword v12, off, s[0:3], 0 offset:784
	;; [unrolled: 1-line block ×4, first 2 shown]
	ds_read2_b64 v[10:13], v6 offset0:100 offset1:101
	s_waitcnt lgkmcnt(0)
	v_mul_f64 v[14:15], v[12:13], v[3:4]
	v_fma_f64 v[14:15], v[10:11], v[1:2], -v[14:15]
	v_mul_f64 v[10:11], v[10:11], v[3:4]
	v_fma_f64 v[10:11], v[12:13], v[1:2], v[10:11]
	buffer_load_dword v12, off, s[0:3], 0 offset:800
	buffer_load_dword v13, off, s[0:3], 0 offset:804
	;; [unrolled: 1-line block ×4, first 2 shown]
	s_waitcnt vmcnt(2)
	v_add_f64 v[12:13], v[12:13], -v[14:15]
	s_waitcnt vmcnt(0)
	v_add_f64 v[10:11], v[61:62], -v[10:11]
	buffer_store_dword v13, off, s[0:3], 0 offset:804
	buffer_store_dword v12, off, s[0:3], 0 offset:800
	;; [unrolled: 1-line block ×4, first 2 shown]
	ds_read2_b64 v[10:13], v6 offset0:102 offset1:103
	s_waitcnt lgkmcnt(0)
	v_mul_f64 v[14:15], v[12:13], v[3:4]
	v_mul_f64 v[3:4], v[10:11], v[3:4]
	v_fma_f64 v[14:15], v[10:11], v[1:2], -v[14:15]
	v_fma_f64 v[1:2], v[12:13], v[1:2], v[3:4]
	buffer_load_dword v3, off, s[0:3], 0 offset:816
	buffer_load_dword v4, off, s[0:3], 0 offset:820
	;; [unrolled: 1-line block ×4, first 2 shown]
	s_waitcnt vmcnt(2)
	v_add_f64 v[3:4], v[3:4], -v[14:15]
	s_waitcnt vmcnt(0)
	v_add_f64 v[1:2], v[10:11], -v[1:2]
	buffer_store_dword v4, off, s[0:3], 0 offset:820
	buffer_store_dword v3, off, s[0:3], 0 offset:816
	;; [unrolled: 1-line block ×4, first 2 shown]
	ds_read2_b64 v[10:13], v6 offset0:104 offset1:105
	buffer_load_dword v1, off, s[0:3], 0 offset:720
	buffer_load_dword v2, off, s[0:3], 0 offset:724
	;; [unrolled: 1-line block ×4, first 2 shown]
	s_waitcnt vmcnt(0) lgkmcnt(0)
	v_mul_f64 v[14:15], v[12:13], v[3:4]
	v_fma_f64 v[14:15], v[10:11], v[1:2], -v[14:15]
	v_mul_f64 v[10:11], v[10:11], v[3:4]
	v_fma_f64 v[10:11], v[12:13], v[1:2], v[10:11]
	buffer_load_dword v13, off, s[0:3], 0 offset:836
	buffer_load_dword v12, off, s[0:3], 0 offset:832
	s_waitcnt vmcnt(0)
	v_add_f64 v[12:13], v[12:13], -v[14:15]
	buffer_load_dword v15, off, s[0:3], 0 offset:844
	buffer_load_dword v14, off, s[0:3], 0 offset:840
	s_waitcnt vmcnt(0)
	v_add_f64 v[10:11], v[14:15], -v[10:11]
	buffer_store_dword v13, off, s[0:3], 0 offset:836
	buffer_store_dword v12, off, s[0:3], 0 offset:832
	buffer_store_dword v11, off, s[0:3], 0 offset:844
	buffer_store_dword v10, off, s[0:3], 0 offset:840
	ds_read2_b64 v[10:13], v6 offset0:106 offset1:107
	s_waitcnt lgkmcnt(0)
	v_mul_f64 v[14:15], v[12:13], v[3:4]
	v_fma_f64 v[14:15], v[10:11], v[1:2], -v[14:15]
	v_mul_f64 v[10:11], v[10:11], v[3:4]
	v_fma_f64 v[10:11], v[12:13], v[1:2], v[10:11]
	buffer_load_dword v12, off, s[0:3], 0 offset:848
	buffer_load_dword v13, off, s[0:3], 0 offset:852
	buffer_load_dword v61, off, s[0:3], 0 offset:856
	buffer_load_dword v62, off, s[0:3], 0 offset:860
	s_waitcnt vmcnt(2)
	v_add_f64 v[12:13], v[12:13], -v[14:15]
	s_waitcnt vmcnt(0)
	v_add_f64 v[10:11], v[61:62], -v[10:11]
	buffer_store_dword v13, off, s[0:3], 0 offset:852
	buffer_store_dword v12, off, s[0:3], 0 offset:848
	buffer_store_dword v11, off, s[0:3], 0 offset:860
	buffer_store_dword v10, off, s[0:3], 0 offset:856
	ds_read2_b64 v[10:13], v6 offset0:108 offset1:109
	s_waitcnt lgkmcnt(0)
	v_mul_f64 v[14:15], v[12:13], v[3:4]
	v_fma_f64 v[14:15], v[10:11], v[1:2], -v[14:15]
	v_mul_f64 v[10:11], v[10:11], v[3:4]
	v_fma_f64 v[10:11], v[12:13], v[1:2], v[10:11]
	buffer_load_dword v12, off, s[0:3], 0 offset:864
	buffer_load_dword v13, off, s[0:3], 0 offset:868
	buffer_load_dword v61, off, s[0:3], 0 offset:872
	buffer_load_dword v62, off, s[0:3], 0 offset:876
	s_waitcnt vmcnt(2)
	v_add_f64 v[12:13], v[12:13], -v[14:15]
	;; [unrolled: 18-line block ×4, first 2 shown]
	s_waitcnt vmcnt(0)
	v_add_f64 v[10:11], v[61:62], -v[10:11]
	buffer_store_dword v13, off, s[0:3], 0 offset:900
	buffer_store_dword v12, off, s[0:3], 0 offset:896
	;; [unrolled: 1-line block ×4, first 2 shown]
	ds_read2_b64 v[10:13], v6 offset0:114 offset1:115
	s_waitcnt lgkmcnt(0)
	v_mul_f64 v[14:15], v[12:13], v[3:4]
	v_mul_f64 v[3:4], v[10:11], v[3:4]
	v_fma_f64 v[14:15], v[10:11], v[1:2], -v[14:15]
	v_fma_f64 v[1:2], v[12:13], v[1:2], v[3:4]
	buffer_load_dword v3, off, s[0:3], 0 offset:912
	buffer_load_dword v4, off, s[0:3], 0 offset:916
	;; [unrolled: 1-line block ×4, first 2 shown]
	s_waitcnt vmcnt(2)
	v_add_f64 v[3:4], v[3:4], -v[14:15]
	s_waitcnt vmcnt(0)
	v_add_f64 v[1:2], v[10:11], -v[1:2]
	buffer_store_dword v4, off, s[0:3], 0 offset:916
	buffer_store_dword v3, off, s[0:3], 0 offset:912
	buffer_store_dword v2, off, s[0:3], 0 offset:924
	buffer_store_dword v1, off, s[0:3], 0 offset:920
	ds_read2_b64 v[10:13], v6 offset0:116 offset1:117
	buffer_load_dword v1, off, s[0:3], 0 offset:720
	buffer_load_dword v2, off, s[0:3], 0 offset:724
	;; [unrolled: 1-line block ×4, first 2 shown]
	s_waitcnt vmcnt(0) lgkmcnt(0)
	v_mul_f64 v[3:4], v[12:13], v[61:62]
	v_fma_f64 v[3:4], v[10:11], v[1:2], -v[3:4]
	v_mul_f64 v[10:11], v[10:11], v[61:62]
	v_fma_f64 v[10:11], v[12:13], v[1:2], v[10:11]
	buffer_load_dword v13, off, s[0:3], 0 offset:932
	buffer_load_dword v12, off, s[0:3], 0 offset:928
	s_waitcnt vmcnt(0)
	v_add_f64 v[3:4], v[12:13], -v[3:4]
	buffer_load_dword v13, off, s[0:3], 0 offset:940
	buffer_load_dword v12, off, s[0:3], 0 offset:936
	s_waitcnt vmcnt(0)
	v_add_f64 v[10:11], v[12:13], -v[10:11]
	buffer_store_dword v4, off, s[0:3], 0 offset:932
	buffer_store_dword v3, off, s[0:3], 0 offset:928
	buffer_store_dword v11, off, s[0:3], 0 offset:940
	buffer_store_dword v10, off, s[0:3], 0 offset:936
	ds_read2_b64 v[10:13], v6 offset0:118 offset1:119
	s_waitcnt lgkmcnt(0)
	v_mul_f64 v[3:4], v[12:13], v[61:62]
	v_fma_f64 v[3:4], v[10:11], v[1:2], -v[3:4]
	v_mul_f64 v[10:11], v[10:11], v[61:62]
	v_fma_f64 v[10:11], v[12:13], v[1:2], v[10:11]
	buffer_load_dword v12, off, s[0:3], 0 offset:944
	buffer_load_dword v13, off, s[0:3], 0 offset:948
	buffer_load_dword v14, off, s[0:3], 0 offset:952
	buffer_load_dword v15, off, s[0:3], 0 offset:956
	s_waitcnt vmcnt(2)
	v_add_f64 v[3:4], v[12:13], -v[3:4]
	s_waitcnt vmcnt(0)
	v_add_f64 v[10:11], v[14:15], -v[10:11]
	buffer_store_dword v4, off, s[0:3], 0 offset:948
	buffer_store_dword v3, off, s[0:3], 0 offset:944
	buffer_store_dword v11, off, s[0:3], 0 offset:956
	buffer_store_dword v10, off, s[0:3], 0 offset:952
	ds_read2_b64 v[10:13], v6 offset0:120 offset1:121
	s_waitcnt lgkmcnt(0)
	v_mul_f64 v[3:4], v[12:13], v[61:62]
	v_fma_f64 v[3:4], v[10:11], v[1:2], -v[3:4]
	v_mul_f64 v[10:11], v[10:11], v[61:62]
	v_fma_f64 v[10:11], v[12:13], v[1:2], v[10:11]
	buffer_load_dword v12, off, s[0:3], 0 offset:960
	buffer_load_dword v13, off, s[0:3], 0 offset:964
	buffer_load_dword v14, off, s[0:3], 0 offset:968
	buffer_load_dword v15, off, s[0:3], 0 offset:972
	s_waitcnt vmcnt(2)
	v_add_f64 v[3:4], v[12:13], -v[3:4]
	;; [unrolled: 18-line block ×3, first 2 shown]
	s_waitcnt vmcnt(0)
	v_add_f64 v[10:11], v[14:15], -v[10:11]
	buffer_store_dword v4, off, s[0:3], 0 offset:980
	buffer_store_dword v3, off, s[0:3], 0 offset:976
	;; [unrolled: 1-line block ×4, first 2 shown]
	ds_read2_b64 v[10:13], v6 offset0:124 offset1:125
	s_waitcnt lgkmcnt(0)
	v_mul_f64 v[3:4], v[12:13], v[61:62]
	v_fma_f64 v[3:4], v[10:11], v[1:2], -v[3:4]
	v_mul_f64 v[10:11], v[10:11], v[61:62]
	buffer_load_dword v63, off, s[0:3], 0 offset:992
	buffer_load_dword v64, off, s[0:3], 0 offset:996
	;; [unrolled: 1-line block ×4, first 2 shown]
	v_fma_f64 v[1:2], v[12:13], v[1:2], v[10:11]
	s_waitcnt vmcnt(2)
	v_add_f64 v[3:4], v[63:64], -v[3:4]
	s_waitcnt vmcnt(0)
	v_add_f64 v[1:2], v[61:62], -v[1:2]
	buffer_store_dword v4, off, s[0:3], 0 offset:996
	buffer_store_dword v3, off, s[0:3], 0 offset:992
	;; [unrolled: 1-line block ×4, first 2 shown]
.LBB125_530:
	s_or_b64 exec, exec, s[6:7]
	v_cmp_eq_u32_e32 vcc, 46, v0
	s_waitcnt vmcnt(0) lgkmcnt(0)
	s_barrier
	s_and_saveexec_b64 s[8:9], vcc
	s_cbranch_execz .LBB125_537
; %bb.531:
	v_mov_b32_e32 v4, s30
	buffer_load_dword v1, v4, s[0:3], 0 offen
	buffer_load_dword v2, v4, s[0:3], 0 offen offset:4
	buffer_load_dword v3, v4, s[0:3], 0 offen offset:8
	s_nop 0
	buffer_load_dword v4, v4, s[0:3], 0 offen offset:12
	s_waitcnt vmcnt(0)
	ds_write2_b64 v125, v[1:2], v[3:4] offset1:1
	v_mov_b32_e32 v4, s29
	buffer_load_dword v1, v4, s[0:3], 0 offen
	buffer_load_dword v2, v4, s[0:3], 0 offen offset:4
	buffer_load_dword v3, v4, s[0:3], 0 offen offset:8
	s_nop 0
	buffer_load_dword v4, v4, s[0:3], 0 offen offset:12
	s_waitcnt vmcnt(0)
	ds_write2_b64 v6, v[1:2], v[3:4] offset0:94 offset1:95
	v_mov_b32_e32 v4, s28
	buffer_load_dword v1, v4, s[0:3], 0 offen
	buffer_load_dword v2, v4, s[0:3], 0 offen offset:4
	buffer_load_dword v3, v4, s[0:3], 0 offen offset:8
	s_nop 0
	buffer_load_dword v4, v4, s[0:3], 0 offen offset:12
	s_waitcnt vmcnt(0)
	ds_write2_b64 v6, v[1:2], v[3:4] offset0:96 offset1:97
	;; [unrolled: 8-line block ×16, first 2 shown]
	ds_read2_b64 v[1:4], v125 offset1:1
	s_waitcnt lgkmcnt(0)
	v_cmp_neq_f64_e32 vcc, 0, v[1:2]
	v_cmp_neq_f64_e64 s[6:7], 0, v[3:4]
	s_or_b64 s[6:7], vcc, s[6:7]
	s_and_b64 exec, exec, s[6:7]
	s_cbranch_execz .LBB125_537
; %bb.532:
	v_cmp_ngt_f64_e64 s[6:7], |v[1:2]|, |v[3:4]|
                                        ; implicit-def: $vgpr10_vgpr11
	s_and_saveexec_b64 s[10:11], s[6:7]
	s_xor_b64 s[6:7], exec, s[10:11]
                                        ; implicit-def: $vgpr12_vgpr13
	s_cbranch_execz .LBB125_534
; %bb.533:
	v_div_scale_f64 v[10:11], s[10:11], v[3:4], v[3:4], v[1:2]
	v_rcp_f64_e32 v[12:13], v[10:11]
	v_fma_f64 v[14:15], -v[10:11], v[12:13], 1.0
	v_fma_f64 v[12:13], v[12:13], v[14:15], v[12:13]
	v_div_scale_f64 v[14:15], vcc, v[1:2], v[3:4], v[1:2]
	v_fma_f64 v[61:62], -v[10:11], v[12:13], 1.0
	v_fma_f64 v[12:13], v[12:13], v[61:62], v[12:13]
	v_mul_f64 v[61:62], v[14:15], v[12:13]
	v_fma_f64 v[10:11], -v[10:11], v[61:62], v[14:15]
	v_div_fmas_f64 v[10:11], v[10:11], v[12:13], v[61:62]
	v_div_fixup_f64 v[10:11], v[10:11], v[3:4], v[1:2]
	v_fma_f64 v[1:2], v[1:2], v[10:11], v[3:4]
	v_div_scale_f64 v[3:4], s[10:11], v[1:2], v[1:2], 1.0
	v_div_scale_f64 v[61:62], vcc, 1.0, v[1:2], 1.0
	v_rcp_f64_e32 v[12:13], v[3:4]
	v_fma_f64 v[14:15], -v[3:4], v[12:13], 1.0
	v_fma_f64 v[12:13], v[12:13], v[14:15], v[12:13]
	v_fma_f64 v[14:15], -v[3:4], v[12:13], 1.0
	v_fma_f64 v[12:13], v[12:13], v[14:15], v[12:13]
	v_mul_f64 v[14:15], v[61:62], v[12:13]
	v_fma_f64 v[3:4], -v[3:4], v[14:15], v[61:62]
	v_div_fmas_f64 v[3:4], v[3:4], v[12:13], v[14:15]
	v_div_fixup_f64 v[12:13], v[3:4], v[1:2], 1.0
                                        ; implicit-def: $vgpr1_vgpr2
	v_mul_f64 v[10:11], v[10:11], v[12:13]
	v_xor_b32_e32 v13, 0x80000000, v13
.LBB125_534:
	s_andn2_saveexec_b64 s[6:7], s[6:7]
	s_cbranch_execz .LBB125_536
; %bb.535:
	v_div_scale_f64 v[10:11], s[10:11], v[1:2], v[1:2], v[3:4]
	v_rcp_f64_e32 v[12:13], v[10:11]
	v_fma_f64 v[14:15], -v[10:11], v[12:13], 1.0
	v_fma_f64 v[12:13], v[12:13], v[14:15], v[12:13]
	v_div_scale_f64 v[14:15], vcc, v[3:4], v[1:2], v[3:4]
	v_fma_f64 v[61:62], -v[10:11], v[12:13], 1.0
	v_fma_f64 v[12:13], v[12:13], v[61:62], v[12:13]
	v_mul_f64 v[61:62], v[14:15], v[12:13]
	v_fma_f64 v[10:11], -v[10:11], v[61:62], v[14:15]
	v_div_fmas_f64 v[10:11], v[10:11], v[12:13], v[61:62]
	v_div_fixup_f64 v[12:13], v[10:11], v[1:2], v[3:4]
	v_fma_f64 v[1:2], v[3:4], v[12:13], v[1:2]
	v_div_scale_f64 v[3:4], s[10:11], v[1:2], v[1:2], 1.0
	v_div_scale_f64 v[61:62], vcc, 1.0, v[1:2], 1.0
	v_rcp_f64_e32 v[10:11], v[3:4]
	v_fma_f64 v[14:15], -v[3:4], v[10:11], 1.0
	v_fma_f64 v[10:11], v[10:11], v[14:15], v[10:11]
	v_fma_f64 v[14:15], -v[3:4], v[10:11], 1.0
	v_fma_f64 v[10:11], v[10:11], v[14:15], v[10:11]
	v_mul_f64 v[14:15], v[61:62], v[10:11]
	v_fma_f64 v[3:4], -v[3:4], v[14:15], v[61:62]
	v_div_fmas_f64 v[3:4], v[3:4], v[10:11], v[14:15]
	v_div_fixup_f64 v[10:11], v[3:4], v[1:2], 1.0
	v_mul_f64 v[12:13], v[12:13], -v[10:11]
.LBB125_536:
	s_or_b64 exec, exec, s[6:7]
	ds_write2_b64 v125, v[10:11], v[12:13] offset1:1
.LBB125_537:
	s_or_b64 exec, exec, s[8:9]
	s_waitcnt lgkmcnt(0)
	s_barrier
	ds_read2_b64 v[61:64], v125 offset1:1
	v_cmp_lt_u32_e32 vcc, 46, v0
	s_and_saveexec_b64 s[6:7], vcc
	s_cbranch_execz .LBB125_539
; %bb.538:
	buffer_load_dword v3, off, s[0:3], 0 offset:736
	buffer_load_dword v4, off, s[0:3], 0 offset:740
	;; [unrolled: 1-line block ×16, first 2 shown]
	s_waitcnt vmcnt(12) lgkmcnt(0)
	v_mul_f64 v[1:2], v[63:64], v[10:11]
	v_mul_f64 v[10:11], v[61:62], v[10:11]
	v_fma_f64 v[1:2], v[61:62], v[3:4], -v[1:2]
	v_fma_f64 v[3:4], v[63:64], v[3:4], v[10:11]
	buffer_store_dword v1, off, s[0:3], 0 offset:736
	buffer_store_dword v2, off, s[0:3], 0 offset:740
	buffer_store_dword v3, off, s[0:3], 0 offset:744
	buffer_store_dword v4, off, s[0:3], 0 offset:748
	ds_read2_b64 v[10:13], v6 offset0:94 offset1:95
	s_waitcnt lgkmcnt(0)
	v_mul_f64 v[75:76], v[12:13], v[3:4]
	v_fma_f64 v[75:76], v[10:11], v[1:2], -v[75:76]
	v_mul_f64 v[10:11], v[10:11], v[3:4]
	v_fma_f64 v[10:11], v[12:13], v[1:2], v[10:11]
	s_waitcnt vmcnt(14)
	v_add_f64 v[12:13], v[14:15], -v[75:76]
	s_waitcnt vmcnt(12)
	v_add_f64 v[10:11], v[65:66], -v[10:11]
	buffer_store_dword v12, off, s[0:3], 0 offset:752
	buffer_store_dword v13, off, s[0:3], 0 offset:756
	buffer_store_dword v10, off, s[0:3], 0 offset:760
	buffer_store_dword v11, off, s[0:3], 0 offset:764
	ds_read2_b64 v[10:13], v6 offset0:96 offset1:97
	s_waitcnt lgkmcnt(0)
	v_mul_f64 v[14:15], v[12:13], v[3:4]
	v_fma_f64 v[14:15], v[10:11], v[1:2], -v[14:15]
	v_mul_f64 v[10:11], v[10:11], v[3:4]
	v_fma_f64 v[10:11], v[12:13], v[1:2], v[10:11]
	s_waitcnt vmcnt(14)
	v_add_f64 v[12:13], v[67:68], -v[14:15]
	s_waitcnt vmcnt(12)
	v_add_f64 v[10:11], v[69:70], -v[10:11]
	;; [unrolled: 14-line block ×3, first 2 shown]
	buffer_store_dword v13, off, s[0:3], 0 offset:788
	buffer_store_dword v12, off, s[0:3], 0 offset:784
	;; [unrolled: 1-line block ×4, first 2 shown]
	ds_read2_b64 v[10:13], v6 offset0:100 offset1:101
	s_waitcnt lgkmcnt(0)
	v_mul_f64 v[14:15], v[12:13], v[3:4]
	v_fma_f64 v[14:15], v[10:11], v[1:2], -v[14:15]
	v_mul_f64 v[10:11], v[10:11], v[3:4]
	v_fma_f64 v[10:11], v[12:13], v[1:2], v[10:11]
	buffer_load_dword v12, off, s[0:3], 0 offset:800
	buffer_load_dword v13, off, s[0:3], 0 offset:804
	;; [unrolled: 1-line block ×4, first 2 shown]
	s_waitcnt vmcnt(2)
	v_add_f64 v[12:13], v[12:13], -v[14:15]
	s_waitcnt vmcnt(0)
	v_add_f64 v[10:11], v[65:66], -v[10:11]
	buffer_store_dword v13, off, s[0:3], 0 offset:804
	buffer_store_dword v12, off, s[0:3], 0 offset:800
	;; [unrolled: 1-line block ×4, first 2 shown]
	ds_read2_b64 v[10:13], v6 offset0:102 offset1:103
	s_waitcnt lgkmcnt(0)
	v_mul_f64 v[14:15], v[12:13], v[3:4]
	v_fma_f64 v[14:15], v[10:11], v[1:2], -v[14:15]
	v_mul_f64 v[10:11], v[10:11], v[3:4]
	v_fma_f64 v[10:11], v[12:13], v[1:2], v[10:11]
	buffer_load_dword v12, off, s[0:3], 0 offset:816
	buffer_load_dword v13, off, s[0:3], 0 offset:820
	buffer_load_dword v65, off, s[0:3], 0 offset:824
	buffer_load_dword v66, off, s[0:3], 0 offset:828
	s_waitcnt vmcnt(2)
	v_add_f64 v[12:13], v[12:13], -v[14:15]
	s_waitcnt vmcnt(0)
	v_add_f64 v[10:11], v[65:66], -v[10:11]
	buffer_store_dword v13, off, s[0:3], 0 offset:820
	buffer_store_dword v12, off, s[0:3], 0 offset:816
	;; [unrolled: 1-line block ×4, first 2 shown]
	ds_read2_b64 v[10:13], v6 offset0:104 offset1:105
	s_waitcnt lgkmcnt(0)
	v_mul_f64 v[14:15], v[12:13], v[3:4]
	v_mul_f64 v[3:4], v[10:11], v[3:4]
	v_fma_f64 v[14:15], v[10:11], v[1:2], -v[14:15]
	v_fma_f64 v[1:2], v[12:13], v[1:2], v[3:4]
	buffer_load_dword v3, off, s[0:3], 0 offset:832
	buffer_load_dword v4, off, s[0:3], 0 offset:836
	;; [unrolled: 1-line block ×4, first 2 shown]
	s_waitcnt vmcnt(2)
	v_add_f64 v[3:4], v[3:4], -v[14:15]
	s_waitcnt vmcnt(0)
	v_add_f64 v[1:2], v[10:11], -v[1:2]
	buffer_store_dword v4, off, s[0:3], 0 offset:836
	buffer_store_dword v3, off, s[0:3], 0 offset:832
	;; [unrolled: 1-line block ×4, first 2 shown]
	ds_read2_b64 v[10:13], v6 offset0:106 offset1:107
	buffer_load_dword v1, off, s[0:3], 0 offset:736
	buffer_load_dword v2, off, s[0:3], 0 offset:740
	;; [unrolled: 1-line block ×4, first 2 shown]
	s_waitcnt vmcnt(0) lgkmcnt(0)
	v_mul_f64 v[14:15], v[12:13], v[3:4]
	v_fma_f64 v[14:15], v[10:11], v[1:2], -v[14:15]
	v_mul_f64 v[10:11], v[10:11], v[3:4]
	v_fma_f64 v[10:11], v[12:13], v[1:2], v[10:11]
	buffer_load_dword v13, off, s[0:3], 0 offset:852
	buffer_load_dword v12, off, s[0:3], 0 offset:848
	s_waitcnt vmcnt(0)
	v_add_f64 v[12:13], v[12:13], -v[14:15]
	buffer_load_dword v15, off, s[0:3], 0 offset:860
	buffer_load_dword v14, off, s[0:3], 0 offset:856
	s_waitcnt vmcnt(0)
	v_add_f64 v[10:11], v[14:15], -v[10:11]
	buffer_store_dword v13, off, s[0:3], 0 offset:852
	buffer_store_dword v12, off, s[0:3], 0 offset:848
	buffer_store_dword v11, off, s[0:3], 0 offset:860
	buffer_store_dword v10, off, s[0:3], 0 offset:856
	ds_read2_b64 v[10:13], v6 offset0:108 offset1:109
	s_waitcnt lgkmcnt(0)
	v_mul_f64 v[14:15], v[12:13], v[3:4]
	v_fma_f64 v[14:15], v[10:11], v[1:2], -v[14:15]
	v_mul_f64 v[10:11], v[10:11], v[3:4]
	v_fma_f64 v[10:11], v[12:13], v[1:2], v[10:11]
	buffer_load_dword v12, off, s[0:3], 0 offset:864
	buffer_load_dword v13, off, s[0:3], 0 offset:868
	buffer_load_dword v65, off, s[0:3], 0 offset:872
	buffer_load_dword v66, off, s[0:3], 0 offset:876
	s_waitcnt vmcnt(2)
	v_add_f64 v[12:13], v[12:13], -v[14:15]
	s_waitcnt vmcnt(0)
	v_add_f64 v[10:11], v[65:66], -v[10:11]
	buffer_store_dword v13, off, s[0:3], 0 offset:868
	buffer_store_dword v12, off, s[0:3], 0 offset:864
	buffer_store_dword v11, off, s[0:3], 0 offset:876
	buffer_store_dword v10, off, s[0:3], 0 offset:872
	ds_read2_b64 v[10:13], v6 offset0:110 offset1:111
	s_waitcnt lgkmcnt(0)
	v_mul_f64 v[14:15], v[12:13], v[3:4]
	v_fma_f64 v[14:15], v[10:11], v[1:2], -v[14:15]
	v_mul_f64 v[10:11], v[10:11], v[3:4]
	v_fma_f64 v[10:11], v[12:13], v[1:2], v[10:11]
	buffer_load_dword v12, off, s[0:3], 0 offset:880
	buffer_load_dword v13, off, s[0:3], 0 offset:884
	buffer_load_dword v65, off, s[0:3], 0 offset:888
	buffer_load_dword v66, off, s[0:3], 0 offset:892
	s_waitcnt vmcnt(2)
	v_add_f64 v[12:13], v[12:13], -v[14:15]
	;; [unrolled: 18-line block ×4, first 2 shown]
	s_waitcnt vmcnt(0)
	v_add_f64 v[10:11], v[65:66], -v[10:11]
	buffer_store_dword v13, off, s[0:3], 0 offset:916
	buffer_store_dword v12, off, s[0:3], 0 offset:912
	;; [unrolled: 1-line block ×4, first 2 shown]
	ds_read2_b64 v[10:13], v6 offset0:116 offset1:117
	s_waitcnt lgkmcnt(0)
	v_mul_f64 v[14:15], v[12:13], v[3:4]
	v_mul_f64 v[3:4], v[10:11], v[3:4]
	v_fma_f64 v[14:15], v[10:11], v[1:2], -v[14:15]
	v_fma_f64 v[1:2], v[12:13], v[1:2], v[3:4]
	buffer_load_dword v3, off, s[0:3], 0 offset:928
	buffer_load_dword v4, off, s[0:3], 0 offset:932
	;; [unrolled: 1-line block ×4, first 2 shown]
	s_waitcnt vmcnt(2)
	v_add_f64 v[3:4], v[3:4], -v[14:15]
	s_waitcnt vmcnt(0)
	v_add_f64 v[1:2], v[10:11], -v[1:2]
	buffer_store_dword v4, off, s[0:3], 0 offset:932
	buffer_store_dword v3, off, s[0:3], 0 offset:928
	;; [unrolled: 1-line block ×4, first 2 shown]
	ds_read2_b64 v[1:4], v6 offset0:118 offset1:119
	buffer_load_dword v14, off, s[0:3], 0 offset:736
	buffer_load_dword v15, off, s[0:3], 0 offset:740
	;; [unrolled: 1-line block ×4, first 2 shown]
	s_waitcnt vmcnt(0) lgkmcnt(0)
	v_mul_f64 v[10:11], v[3:4], v[65:66]
	v_fma_f64 v[10:11], v[1:2], v[14:15], -v[10:11]
	v_mul_f64 v[1:2], v[1:2], v[65:66]
	v_fma_f64 v[1:2], v[3:4], v[14:15], v[1:2]
	buffer_load_dword v4, off, s[0:3], 0 offset:948
	buffer_load_dword v3, off, s[0:3], 0 offset:944
	s_waitcnt vmcnt(0)
	v_add_f64 v[3:4], v[3:4], -v[10:11]
	buffer_load_dword v11, off, s[0:3], 0 offset:956
	buffer_load_dword v10, off, s[0:3], 0 offset:952
	s_waitcnt vmcnt(0)
	v_add_f64 v[1:2], v[10:11], -v[1:2]
	buffer_store_dword v4, off, s[0:3], 0 offset:948
	buffer_store_dword v3, off, s[0:3], 0 offset:944
	;; [unrolled: 1-line block ×4, first 2 shown]
	ds_read2_b64 v[1:4], v6 offset0:120 offset1:121
	s_waitcnt lgkmcnt(0)
	v_mul_f64 v[10:11], v[3:4], v[65:66]
	v_fma_f64 v[10:11], v[1:2], v[14:15], -v[10:11]
	v_mul_f64 v[1:2], v[1:2], v[65:66]
	v_fma_f64 v[1:2], v[3:4], v[14:15], v[1:2]
	buffer_load_dword v3, off, s[0:3], 0 offset:960
	buffer_load_dword v4, off, s[0:3], 0 offset:964
	;; [unrolled: 1-line block ×4, first 2 shown]
	s_waitcnt vmcnt(2)
	v_add_f64 v[3:4], v[3:4], -v[10:11]
	s_waitcnt vmcnt(0)
	v_add_f64 v[1:2], v[12:13], -v[1:2]
	buffer_store_dword v4, off, s[0:3], 0 offset:964
	buffer_store_dword v3, off, s[0:3], 0 offset:960
	;; [unrolled: 1-line block ×4, first 2 shown]
	ds_read2_b64 v[1:4], v6 offset0:122 offset1:123
	s_waitcnt lgkmcnt(0)
	v_mul_f64 v[10:11], v[3:4], v[65:66]
	v_fma_f64 v[10:11], v[1:2], v[14:15], -v[10:11]
	v_mul_f64 v[1:2], v[1:2], v[65:66]
	v_fma_f64 v[1:2], v[3:4], v[14:15], v[1:2]
	buffer_load_dword v3, off, s[0:3], 0 offset:976
	buffer_load_dword v4, off, s[0:3], 0 offset:980
	buffer_load_dword v12, off, s[0:3], 0 offset:984
	buffer_load_dword v13, off, s[0:3], 0 offset:988
	s_waitcnt vmcnt(2)
	v_add_f64 v[3:4], v[3:4], -v[10:11]
	s_waitcnt vmcnt(0)
	v_add_f64 v[1:2], v[12:13], -v[1:2]
	buffer_store_dword v4, off, s[0:3], 0 offset:980
	buffer_store_dword v3, off, s[0:3], 0 offset:976
	;; [unrolled: 1-line block ×4, first 2 shown]
	ds_read2_b64 v[10:13], v6 offset0:124 offset1:125
	s_waitcnt lgkmcnt(0)
	v_mul_f64 v[1:2], v[12:13], v[65:66]
	v_fma_f64 v[3:4], v[10:11], v[14:15], -v[1:2]
	v_mul_f64 v[1:2], v[10:11], v[65:66]
	buffer_load_dword v67, off, s[0:3], 0 offset:992
	buffer_load_dword v68, off, s[0:3], 0 offset:996
	;; [unrolled: 1-line block ×4, first 2 shown]
	v_fma_f64 v[1:2], v[12:13], v[14:15], v[1:2]
	s_waitcnt vmcnt(2)
	v_add_f64 v[3:4], v[67:68], -v[3:4]
	s_waitcnt vmcnt(0)
	v_add_f64 v[1:2], v[65:66], -v[1:2]
	buffer_store_dword v4, off, s[0:3], 0 offset:996
	buffer_store_dword v3, off, s[0:3], 0 offset:992
	;; [unrolled: 1-line block ×4, first 2 shown]
.LBB125_539:
	s_or_b64 exec, exec, s[6:7]
	v_cmp_eq_u32_e32 vcc, 47, v0
	s_waitcnt vmcnt(0) lgkmcnt(0)
	s_barrier
	s_and_saveexec_b64 s[8:9], vcc
	s_cbranch_execz .LBB125_546
; %bb.540:
	v_mov_b32_e32 v4, s29
	buffer_load_dword v1, v4, s[0:3], 0 offen
	buffer_load_dword v2, v4, s[0:3], 0 offen offset:4
	buffer_load_dword v3, v4, s[0:3], 0 offen offset:8
	s_nop 0
	buffer_load_dword v4, v4, s[0:3], 0 offen offset:12
	s_waitcnt vmcnt(0)
	ds_write2_b64 v125, v[1:2], v[3:4] offset1:1
	v_mov_b32_e32 v4, s28
	buffer_load_dword v1, v4, s[0:3], 0 offen
	buffer_load_dword v2, v4, s[0:3], 0 offen offset:4
	buffer_load_dword v3, v4, s[0:3], 0 offen offset:8
	s_nop 0
	buffer_load_dword v4, v4, s[0:3], 0 offen offset:12
	s_waitcnt vmcnt(0)
	ds_write2_b64 v6, v[1:2], v[3:4] offset0:96 offset1:97
	v_mov_b32_e32 v4, s27
	buffer_load_dword v1, v4, s[0:3], 0 offen
	buffer_load_dword v2, v4, s[0:3], 0 offen offset:4
	buffer_load_dword v3, v4, s[0:3], 0 offen offset:8
	s_nop 0
	buffer_load_dword v4, v4, s[0:3], 0 offen offset:12
	s_waitcnt vmcnt(0)
	ds_write2_b64 v6, v[1:2], v[3:4] offset0:98 offset1:99
	;; [unrolled: 8-line block ×15, first 2 shown]
	ds_read2_b64 v[1:4], v125 offset1:1
	s_waitcnt lgkmcnt(0)
	v_cmp_neq_f64_e32 vcc, 0, v[1:2]
	v_cmp_neq_f64_e64 s[6:7], 0, v[3:4]
	s_or_b64 s[6:7], vcc, s[6:7]
	s_and_b64 exec, exec, s[6:7]
	s_cbranch_execz .LBB125_546
; %bb.541:
	v_cmp_ngt_f64_e64 s[6:7], |v[1:2]|, |v[3:4]|
                                        ; implicit-def: $vgpr10_vgpr11
	s_and_saveexec_b64 s[10:11], s[6:7]
	s_xor_b64 s[6:7], exec, s[10:11]
                                        ; implicit-def: $vgpr12_vgpr13
	s_cbranch_execz .LBB125_543
; %bb.542:
	v_div_scale_f64 v[10:11], s[10:11], v[3:4], v[3:4], v[1:2]
	v_rcp_f64_e32 v[12:13], v[10:11]
	v_fma_f64 v[14:15], -v[10:11], v[12:13], 1.0
	v_fma_f64 v[12:13], v[12:13], v[14:15], v[12:13]
	v_div_scale_f64 v[14:15], vcc, v[1:2], v[3:4], v[1:2]
	v_fma_f64 v[65:66], -v[10:11], v[12:13], 1.0
	v_fma_f64 v[12:13], v[12:13], v[65:66], v[12:13]
	v_mul_f64 v[65:66], v[14:15], v[12:13]
	v_fma_f64 v[10:11], -v[10:11], v[65:66], v[14:15]
	v_div_fmas_f64 v[10:11], v[10:11], v[12:13], v[65:66]
	v_div_fixup_f64 v[10:11], v[10:11], v[3:4], v[1:2]
	v_fma_f64 v[1:2], v[1:2], v[10:11], v[3:4]
	v_div_scale_f64 v[3:4], s[10:11], v[1:2], v[1:2], 1.0
	v_div_scale_f64 v[65:66], vcc, 1.0, v[1:2], 1.0
	v_rcp_f64_e32 v[12:13], v[3:4]
	v_fma_f64 v[14:15], -v[3:4], v[12:13], 1.0
	v_fma_f64 v[12:13], v[12:13], v[14:15], v[12:13]
	v_fma_f64 v[14:15], -v[3:4], v[12:13], 1.0
	v_fma_f64 v[12:13], v[12:13], v[14:15], v[12:13]
	v_mul_f64 v[14:15], v[65:66], v[12:13]
	v_fma_f64 v[3:4], -v[3:4], v[14:15], v[65:66]
	v_div_fmas_f64 v[3:4], v[3:4], v[12:13], v[14:15]
	v_div_fixup_f64 v[12:13], v[3:4], v[1:2], 1.0
                                        ; implicit-def: $vgpr1_vgpr2
	v_mul_f64 v[10:11], v[10:11], v[12:13]
	v_xor_b32_e32 v13, 0x80000000, v13
.LBB125_543:
	s_andn2_saveexec_b64 s[6:7], s[6:7]
	s_cbranch_execz .LBB125_545
; %bb.544:
	v_div_scale_f64 v[10:11], s[10:11], v[1:2], v[1:2], v[3:4]
	v_rcp_f64_e32 v[12:13], v[10:11]
	v_fma_f64 v[14:15], -v[10:11], v[12:13], 1.0
	v_fma_f64 v[12:13], v[12:13], v[14:15], v[12:13]
	v_div_scale_f64 v[14:15], vcc, v[3:4], v[1:2], v[3:4]
	v_fma_f64 v[65:66], -v[10:11], v[12:13], 1.0
	v_fma_f64 v[12:13], v[12:13], v[65:66], v[12:13]
	v_mul_f64 v[65:66], v[14:15], v[12:13]
	v_fma_f64 v[10:11], -v[10:11], v[65:66], v[14:15]
	v_div_fmas_f64 v[10:11], v[10:11], v[12:13], v[65:66]
	v_div_fixup_f64 v[12:13], v[10:11], v[1:2], v[3:4]
	v_fma_f64 v[1:2], v[3:4], v[12:13], v[1:2]
	v_div_scale_f64 v[3:4], s[10:11], v[1:2], v[1:2], 1.0
	v_div_scale_f64 v[65:66], vcc, 1.0, v[1:2], 1.0
	v_rcp_f64_e32 v[10:11], v[3:4]
	v_fma_f64 v[14:15], -v[3:4], v[10:11], 1.0
	v_fma_f64 v[10:11], v[10:11], v[14:15], v[10:11]
	v_fma_f64 v[14:15], -v[3:4], v[10:11], 1.0
	v_fma_f64 v[10:11], v[10:11], v[14:15], v[10:11]
	v_mul_f64 v[14:15], v[65:66], v[10:11]
	v_fma_f64 v[3:4], -v[3:4], v[14:15], v[65:66]
	v_div_fmas_f64 v[3:4], v[3:4], v[10:11], v[14:15]
	v_div_fixup_f64 v[10:11], v[3:4], v[1:2], 1.0
	v_mul_f64 v[12:13], v[12:13], -v[10:11]
.LBB125_545:
	s_or_b64 exec, exec, s[6:7]
	ds_write2_b64 v125, v[10:11], v[12:13] offset1:1
.LBB125_546:
	s_or_b64 exec, exec, s[8:9]
	s_waitcnt lgkmcnt(0)
	s_barrier
	ds_read2_b64 v[65:68], v125 offset1:1
	v_cmp_lt_u32_e32 vcc, 47, v0
	s_and_saveexec_b64 s[6:7], vcc
	s_cbranch_execz .LBB125_548
; %bb.547:
	buffer_load_dword v3, off, s[0:3], 0 offset:752
	buffer_load_dword v4, off, s[0:3], 0 offset:756
	;; [unrolled: 1-line block ×16, first 2 shown]
	s_waitcnt vmcnt(12) lgkmcnt(0)
	v_mul_f64 v[1:2], v[67:68], v[10:11]
	v_mul_f64 v[10:11], v[65:66], v[10:11]
	v_fma_f64 v[1:2], v[65:66], v[3:4], -v[1:2]
	v_fma_f64 v[3:4], v[67:68], v[3:4], v[10:11]
	buffer_store_dword v1, off, s[0:3], 0 offset:752
	buffer_store_dword v2, off, s[0:3], 0 offset:756
	buffer_store_dword v3, off, s[0:3], 0 offset:760
	buffer_store_dword v4, off, s[0:3], 0 offset:764
	ds_read2_b64 v[10:13], v6 offset0:96 offset1:97
	s_waitcnt lgkmcnt(0)
	v_mul_f64 v[79:80], v[12:13], v[3:4]
	v_fma_f64 v[79:80], v[10:11], v[1:2], -v[79:80]
	v_mul_f64 v[10:11], v[10:11], v[3:4]
	v_fma_f64 v[10:11], v[12:13], v[1:2], v[10:11]
	s_waitcnt vmcnt(14)
	v_add_f64 v[12:13], v[14:15], -v[79:80]
	s_waitcnt vmcnt(12)
	v_add_f64 v[10:11], v[69:70], -v[10:11]
	buffer_store_dword v12, off, s[0:3], 0 offset:768
	buffer_store_dword v13, off, s[0:3], 0 offset:772
	buffer_store_dword v10, off, s[0:3], 0 offset:776
	buffer_store_dword v11, off, s[0:3], 0 offset:780
	ds_read2_b64 v[10:13], v6 offset0:98 offset1:99
	s_waitcnt lgkmcnt(0)
	v_mul_f64 v[14:15], v[12:13], v[3:4]
	v_fma_f64 v[14:15], v[10:11], v[1:2], -v[14:15]
	v_mul_f64 v[10:11], v[10:11], v[3:4]
	v_fma_f64 v[10:11], v[12:13], v[1:2], v[10:11]
	s_waitcnt vmcnt(14)
	v_add_f64 v[12:13], v[71:72], -v[14:15]
	s_waitcnt vmcnt(12)
	v_add_f64 v[10:11], v[73:74], -v[10:11]
	buffer_store_dword v12, off, s[0:3], 0 offset:784
	buffer_store_dword v13, off, s[0:3], 0 offset:788
	buffer_store_dword v10, off, s[0:3], 0 offset:792
	buffer_store_dword v11, off, s[0:3], 0 offset:796
	ds_read2_b64 v[10:13], v6 offset0:100 offset1:101
	s_waitcnt lgkmcnt(0)
	v_mul_f64 v[14:15], v[12:13], v[3:4]
	v_fma_f64 v[14:15], v[10:11], v[1:2], -v[14:15]
	v_mul_f64 v[10:11], v[10:11], v[3:4]
	v_fma_f64 v[10:11], v[12:13], v[1:2], v[10:11]
	s_waitcnt vmcnt(14)
	v_add_f64 v[12:13], v[75:76], -v[14:15]
	s_waitcnt vmcnt(12)
	v_add_f64 v[10:11], v[77:78], -v[10:11]
	buffer_store_dword v13, off, s[0:3], 0 offset:804
	buffer_store_dword v12, off, s[0:3], 0 offset:800
	buffer_store_dword v10, off, s[0:3], 0 offset:808
	buffer_store_dword v11, off, s[0:3], 0 offset:812
	ds_read2_b64 v[10:13], v6 offset0:102 offset1:103
	s_waitcnt lgkmcnt(0)
	v_mul_f64 v[14:15], v[12:13], v[3:4]
	v_fma_f64 v[14:15], v[10:11], v[1:2], -v[14:15]
	v_mul_f64 v[10:11], v[10:11], v[3:4]
	v_fma_f64 v[10:11], v[12:13], v[1:2], v[10:11]
	buffer_load_dword v12, off, s[0:3], 0 offset:816
	buffer_load_dword v13, off, s[0:3], 0 offset:820
	buffer_load_dword v69, off, s[0:3], 0 offset:824
	buffer_load_dword v70, off, s[0:3], 0 offset:828
	s_waitcnt vmcnt(2)
	v_add_f64 v[12:13], v[12:13], -v[14:15]
	s_waitcnt vmcnt(0)
	v_add_f64 v[10:11], v[69:70], -v[10:11]
	buffer_store_dword v13, off, s[0:3], 0 offset:820
	buffer_store_dword v12, off, s[0:3], 0 offset:816
	;; [unrolled: 1-line block ×4, first 2 shown]
	ds_read2_b64 v[10:13], v6 offset0:104 offset1:105
	s_waitcnt lgkmcnt(0)
	v_mul_f64 v[14:15], v[12:13], v[3:4]
	v_fma_f64 v[14:15], v[10:11], v[1:2], -v[14:15]
	v_mul_f64 v[10:11], v[10:11], v[3:4]
	v_fma_f64 v[10:11], v[12:13], v[1:2], v[10:11]
	buffer_load_dword v12, off, s[0:3], 0 offset:832
	buffer_load_dword v13, off, s[0:3], 0 offset:836
	buffer_load_dword v69, off, s[0:3], 0 offset:840
	buffer_load_dword v70, off, s[0:3], 0 offset:844
	s_waitcnt vmcnt(2)
	v_add_f64 v[12:13], v[12:13], -v[14:15]
	s_waitcnt vmcnt(0)
	v_add_f64 v[10:11], v[69:70], -v[10:11]
	buffer_store_dword v13, off, s[0:3], 0 offset:836
	buffer_store_dword v12, off, s[0:3], 0 offset:832
	;; [unrolled: 1-line block ×4, first 2 shown]
	ds_read2_b64 v[10:13], v6 offset0:106 offset1:107
	s_waitcnt lgkmcnt(0)
	v_mul_f64 v[14:15], v[12:13], v[3:4]
	v_mul_f64 v[3:4], v[10:11], v[3:4]
	v_fma_f64 v[14:15], v[10:11], v[1:2], -v[14:15]
	v_fma_f64 v[1:2], v[12:13], v[1:2], v[3:4]
	buffer_load_dword v3, off, s[0:3], 0 offset:848
	buffer_load_dword v4, off, s[0:3], 0 offset:852
	;; [unrolled: 1-line block ×4, first 2 shown]
	s_waitcnt vmcnt(2)
	v_add_f64 v[3:4], v[3:4], -v[14:15]
	s_waitcnt vmcnt(0)
	v_add_f64 v[1:2], v[10:11], -v[1:2]
	buffer_store_dword v4, off, s[0:3], 0 offset:852
	buffer_store_dword v3, off, s[0:3], 0 offset:848
	;; [unrolled: 1-line block ×4, first 2 shown]
	ds_read2_b64 v[10:13], v6 offset0:108 offset1:109
	buffer_load_dword v1, off, s[0:3], 0 offset:752
	buffer_load_dword v2, off, s[0:3], 0 offset:756
	buffer_load_dword v3, off, s[0:3], 0 offset:760
	buffer_load_dword v4, off, s[0:3], 0 offset:764
	s_waitcnt vmcnt(0) lgkmcnt(0)
	v_mul_f64 v[14:15], v[12:13], v[3:4]
	v_fma_f64 v[14:15], v[10:11], v[1:2], -v[14:15]
	v_mul_f64 v[10:11], v[10:11], v[3:4]
	v_fma_f64 v[10:11], v[12:13], v[1:2], v[10:11]
	buffer_load_dword v13, off, s[0:3], 0 offset:868
	buffer_load_dword v12, off, s[0:3], 0 offset:864
	s_waitcnt vmcnt(0)
	v_add_f64 v[12:13], v[12:13], -v[14:15]
	buffer_load_dword v15, off, s[0:3], 0 offset:876
	buffer_load_dword v14, off, s[0:3], 0 offset:872
	s_waitcnt vmcnt(0)
	v_add_f64 v[10:11], v[14:15], -v[10:11]
	buffer_store_dword v13, off, s[0:3], 0 offset:868
	buffer_store_dword v12, off, s[0:3], 0 offset:864
	buffer_store_dword v11, off, s[0:3], 0 offset:876
	buffer_store_dword v10, off, s[0:3], 0 offset:872
	ds_read2_b64 v[10:13], v6 offset0:110 offset1:111
	s_waitcnt lgkmcnt(0)
	v_mul_f64 v[14:15], v[12:13], v[3:4]
	v_fma_f64 v[14:15], v[10:11], v[1:2], -v[14:15]
	v_mul_f64 v[10:11], v[10:11], v[3:4]
	v_fma_f64 v[10:11], v[12:13], v[1:2], v[10:11]
	buffer_load_dword v12, off, s[0:3], 0 offset:880
	buffer_load_dword v13, off, s[0:3], 0 offset:884
	buffer_load_dword v69, off, s[0:3], 0 offset:888
	buffer_load_dword v70, off, s[0:3], 0 offset:892
	s_waitcnt vmcnt(2)
	v_add_f64 v[12:13], v[12:13], -v[14:15]
	s_waitcnt vmcnt(0)
	v_add_f64 v[10:11], v[69:70], -v[10:11]
	buffer_store_dword v13, off, s[0:3], 0 offset:884
	buffer_store_dword v12, off, s[0:3], 0 offset:880
	buffer_store_dword v11, off, s[0:3], 0 offset:892
	buffer_store_dword v10, off, s[0:3], 0 offset:888
	ds_read2_b64 v[10:13], v6 offset0:112 offset1:113
	s_waitcnt lgkmcnt(0)
	v_mul_f64 v[14:15], v[12:13], v[3:4]
	v_fma_f64 v[14:15], v[10:11], v[1:2], -v[14:15]
	v_mul_f64 v[10:11], v[10:11], v[3:4]
	v_fma_f64 v[10:11], v[12:13], v[1:2], v[10:11]
	buffer_load_dword v12, off, s[0:3], 0 offset:896
	buffer_load_dword v13, off, s[0:3], 0 offset:900
	buffer_load_dword v69, off, s[0:3], 0 offset:904
	buffer_load_dword v70, off, s[0:3], 0 offset:908
	s_waitcnt vmcnt(2)
	v_add_f64 v[12:13], v[12:13], -v[14:15]
	;; [unrolled: 18-line block ×4, first 2 shown]
	s_waitcnt vmcnt(0)
	v_add_f64 v[10:11], v[69:70], -v[10:11]
	buffer_store_dword v13, off, s[0:3], 0 offset:932
	buffer_store_dword v12, off, s[0:3], 0 offset:928
	;; [unrolled: 1-line block ×4, first 2 shown]
	ds_read2_b64 v[10:13], v6 offset0:118 offset1:119
	s_waitcnt lgkmcnt(0)
	v_mul_f64 v[14:15], v[12:13], v[3:4]
	v_mul_f64 v[3:4], v[10:11], v[3:4]
	v_fma_f64 v[14:15], v[10:11], v[1:2], -v[14:15]
	v_fma_f64 v[1:2], v[12:13], v[1:2], v[3:4]
	buffer_load_dword v3, off, s[0:3], 0 offset:944
	buffer_load_dword v4, off, s[0:3], 0 offset:948
	;; [unrolled: 1-line block ×4, first 2 shown]
	s_waitcnt vmcnt(2)
	v_add_f64 v[3:4], v[3:4], -v[14:15]
	s_waitcnt vmcnt(0)
	v_add_f64 v[1:2], v[10:11], -v[1:2]
	buffer_store_dword v4, off, s[0:3], 0 offset:948
	buffer_store_dword v3, off, s[0:3], 0 offset:944
	;; [unrolled: 1-line block ×4, first 2 shown]
	ds_read2_b64 v[1:4], v6 offset0:120 offset1:121
	buffer_load_dword v14, off, s[0:3], 0 offset:752
	buffer_load_dword v15, off, s[0:3], 0 offset:756
	;; [unrolled: 1-line block ×4, first 2 shown]
	s_waitcnt vmcnt(0) lgkmcnt(0)
	v_mul_f64 v[10:11], v[3:4], v[69:70]
	v_fma_f64 v[10:11], v[1:2], v[14:15], -v[10:11]
	v_mul_f64 v[1:2], v[1:2], v[69:70]
	v_fma_f64 v[1:2], v[3:4], v[14:15], v[1:2]
	buffer_load_dword v4, off, s[0:3], 0 offset:964
	buffer_load_dword v3, off, s[0:3], 0 offset:960
	s_waitcnt vmcnt(0)
	v_add_f64 v[3:4], v[3:4], -v[10:11]
	buffer_load_dword v11, off, s[0:3], 0 offset:972
	buffer_load_dword v10, off, s[0:3], 0 offset:968
	s_waitcnt vmcnt(0)
	v_add_f64 v[1:2], v[10:11], -v[1:2]
	buffer_store_dword v4, off, s[0:3], 0 offset:964
	buffer_store_dword v3, off, s[0:3], 0 offset:960
	;; [unrolled: 1-line block ×4, first 2 shown]
	ds_read2_b64 v[1:4], v6 offset0:122 offset1:123
	s_waitcnt lgkmcnt(0)
	v_mul_f64 v[10:11], v[3:4], v[69:70]
	v_fma_f64 v[10:11], v[1:2], v[14:15], -v[10:11]
	v_mul_f64 v[1:2], v[1:2], v[69:70]
	v_fma_f64 v[1:2], v[3:4], v[14:15], v[1:2]
	buffer_load_dword v3, off, s[0:3], 0 offset:976
	buffer_load_dword v4, off, s[0:3], 0 offset:980
	;; [unrolled: 1-line block ×4, first 2 shown]
	s_waitcnt vmcnt(2)
	v_add_f64 v[3:4], v[3:4], -v[10:11]
	s_waitcnt vmcnt(0)
	v_add_f64 v[1:2], v[12:13], -v[1:2]
	buffer_store_dword v4, off, s[0:3], 0 offset:980
	buffer_store_dword v3, off, s[0:3], 0 offset:976
	;; [unrolled: 1-line block ×4, first 2 shown]
	ds_read2_b64 v[10:13], v6 offset0:124 offset1:125
	s_waitcnt lgkmcnt(0)
	v_mul_f64 v[1:2], v[12:13], v[69:70]
	v_fma_f64 v[3:4], v[10:11], v[14:15], -v[1:2]
	v_mul_f64 v[1:2], v[10:11], v[69:70]
	buffer_load_dword v71, off, s[0:3], 0 offset:992
	buffer_load_dword v72, off, s[0:3], 0 offset:996
	;; [unrolled: 1-line block ×4, first 2 shown]
	v_fma_f64 v[1:2], v[12:13], v[14:15], v[1:2]
	s_waitcnt vmcnt(2)
	v_add_f64 v[3:4], v[71:72], -v[3:4]
	s_waitcnt vmcnt(0)
	v_add_f64 v[1:2], v[69:70], -v[1:2]
	buffer_store_dword v4, off, s[0:3], 0 offset:996
	buffer_store_dword v3, off, s[0:3], 0 offset:992
	buffer_store_dword v2, off, s[0:3], 0 offset:1004
	buffer_store_dword v1, off, s[0:3], 0 offset:1000
.LBB125_548:
	s_or_b64 exec, exec, s[6:7]
	v_cmp_eq_u32_e32 vcc, 48, v0
	s_waitcnt vmcnt(0) lgkmcnt(0)
	s_barrier
	s_and_saveexec_b64 s[8:9], vcc
	s_cbranch_execz .LBB125_555
; %bb.549:
	v_mov_b32_e32 v4, s28
	buffer_load_dword v1, v4, s[0:3], 0 offen
	buffer_load_dword v2, v4, s[0:3], 0 offen offset:4
	buffer_load_dword v3, v4, s[0:3], 0 offen offset:8
	s_nop 0
	buffer_load_dword v4, v4, s[0:3], 0 offen offset:12
	s_waitcnt vmcnt(0)
	ds_write2_b64 v125, v[1:2], v[3:4] offset1:1
	v_mov_b32_e32 v4, s27
	buffer_load_dword v1, v4, s[0:3], 0 offen
	buffer_load_dword v2, v4, s[0:3], 0 offen offset:4
	buffer_load_dword v3, v4, s[0:3], 0 offen offset:8
	s_nop 0
	buffer_load_dword v4, v4, s[0:3], 0 offen offset:12
	s_waitcnt vmcnt(0)
	ds_write2_b64 v6, v[1:2], v[3:4] offset0:98 offset1:99
	v_mov_b32_e32 v4, s26
	buffer_load_dword v1, v4, s[0:3], 0 offen
	buffer_load_dword v2, v4, s[0:3], 0 offen offset:4
	buffer_load_dword v3, v4, s[0:3], 0 offen offset:8
	s_nop 0
	buffer_load_dword v4, v4, s[0:3], 0 offen offset:12
	s_waitcnt vmcnt(0)
	ds_write2_b64 v6, v[1:2], v[3:4] offset0:100 offset1:101
	;; [unrolled: 8-line block ×14, first 2 shown]
	ds_read2_b64 v[1:4], v125 offset1:1
	s_waitcnt lgkmcnt(0)
	v_cmp_neq_f64_e32 vcc, 0, v[1:2]
	v_cmp_neq_f64_e64 s[6:7], 0, v[3:4]
	s_or_b64 s[6:7], vcc, s[6:7]
	s_and_b64 exec, exec, s[6:7]
	s_cbranch_execz .LBB125_555
; %bb.550:
	v_cmp_ngt_f64_e64 s[6:7], |v[1:2]|, |v[3:4]|
                                        ; implicit-def: $vgpr10_vgpr11
	s_and_saveexec_b64 s[10:11], s[6:7]
	s_xor_b64 s[6:7], exec, s[10:11]
                                        ; implicit-def: $vgpr12_vgpr13
	s_cbranch_execz .LBB125_552
; %bb.551:
	v_div_scale_f64 v[10:11], s[10:11], v[3:4], v[3:4], v[1:2]
	v_rcp_f64_e32 v[12:13], v[10:11]
	v_fma_f64 v[14:15], -v[10:11], v[12:13], 1.0
	v_fma_f64 v[12:13], v[12:13], v[14:15], v[12:13]
	v_div_scale_f64 v[14:15], vcc, v[1:2], v[3:4], v[1:2]
	v_fma_f64 v[69:70], -v[10:11], v[12:13], 1.0
	v_fma_f64 v[12:13], v[12:13], v[69:70], v[12:13]
	v_mul_f64 v[69:70], v[14:15], v[12:13]
	v_fma_f64 v[10:11], -v[10:11], v[69:70], v[14:15]
	v_div_fmas_f64 v[10:11], v[10:11], v[12:13], v[69:70]
	v_div_fixup_f64 v[10:11], v[10:11], v[3:4], v[1:2]
	v_fma_f64 v[1:2], v[1:2], v[10:11], v[3:4]
	v_div_scale_f64 v[3:4], s[10:11], v[1:2], v[1:2], 1.0
	v_div_scale_f64 v[69:70], vcc, 1.0, v[1:2], 1.0
	v_rcp_f64_e32 v[12:13], v[3:4]
	v_fma_f64 v[14:15], -v[3:4], v[12:13], 1.0
	v_fma_f64 v[12:13], v[12:13], v[14:15], v[12:13]
	v_fma_f64 v[14:15], -v[3:4], v[12:13], 1.0
	v_fma_f64 v[12:13], v[12:13], v[14:15], v[12:13]
	v_mul_f64 v[14:15], v[69:70], v[12:13]
	v_fma_f64 v[3:4], -v[3:4], v[14:15], v[69:70]
	v_div_fmas_f64 v[3:4], v[3:4], v[12:13], v[14:15]
	v_div_fixup_f64 v[12:13], v[3:4], v[1:2], 1.0
                                        ; implicit-def: $vgpr1_vgpr2
	v_mul_f64 v[10:11], v[10:11], v[12:13]
	v_xor_b32_e32 v13, 0x80000000, v13
.LBB125_552:
	s_andn2_saveexec_b64 s[6:7], s[6:7]
	s_cbranch_execz .LBB125_554
; %bb.553:
	v_div_scale_f64 v[10:11], s[10:11], v[1:2], v[1:2], v[3:4]
	v_rcp_f64_e32 v[12:13], v[10:11]
	v_fma_f64 v[14:15], -v[10:11], v[12:13], 1.0
	v_fma_f64 v[12:13], v[12:13], v[14:15], v[12:13]
	v_div_scale_f64 v[14:15], vcc, v[3:4], v[1:2], v[3:4]
	v_fma_f64 v[69:70], -v[10:11], v[12:13], 1.0
	v_fma_f64 v[12:13], v[12:13], v[69:70], v[12:13]
	v_mul_f64 v[69:70], v[14:15], v[12:13]
	v_fma_f64 v[10:11], -v[10:11], v[69:70], v[14:15]
	v_div_fmas_f64 v[10:11], v[10:11], v[12:13], v[69:70]
	v_div_fixup_f64 v[12:13], v[10:11], v[1:2], v[3:4]
	v_fma_f64 v[1:2], v[3:4], v[12:13], v[1:2]
	v_div_scale_f64 v[3:4], s[10:11], v[1:2], v[1:2], 1.0
	v_div_scale_f64 v[69:70], vcc, 1.0, v[1:2], 1.0
	v_rcp_f64_e32 v[10:11], v[3:4]
	v_fma_f64 v[14:15], -v[3:4], v[10:11], 1.0
	v_fma_f64 v[10:11], v[10:11], v[14:15], v[10:11]
	v_fma_f64 v[14:15], -v[3:4], v[10:11], 1.0
	v_fma_f64 v[10:11], v[10:11], v[14:15], v[10:11]
	v_mul_f64 v[14:15], v[69:70], v[10:11]
	v_fma_f64 v[3:4], -v[3:4], v[14:15], v[69:70]
	v_div_fmas_f64 v[3:4], v[3:4], v[10:11], v[14:15]
	v_div_fixup_f64 v[10:11], v[3:4], v[1:2], 1.0
	v_mul_f64 v[12:13], v[12:13], -v[10:11]
.LBB125_554:
	s_or_b64 exec, exec, s[6:7]
	ds_write2_b64 v125, v[10:11], v[12:13] offset1:1
.LBB125_555:
	s_or_b64 exec, exec, s[8:9]
	s_waitcnt lgkmcnt(0)
	s_barrier
	ds_read2_b64 v[69:72], v125 offset1:1
	v_cmp_lt_u32_e32 vcc, 48, v0
	s_and_saveexec_b64 s[6:7], vcc
	s_cbranch_execz .LBB125_557
; %bb.556:
	buffer_load_dword v3, off, s[0:3], 0 offset:768
	buffer_load_dword v4, off, s[0:3], 0 offset:772
	buffer_load_dword v10, off, s[0:3], 0 offset:776
	buffer_load_dword v11, off, s[0:3], 0 offset:780
	buffer_load_dword v14, off, s[0:3], 0 offset:784
	buffer_load_dword v15, off, s[0:3], 0 offset:788
	buffer_load_dword v73, off, s[0:3], 0 offset:792
	buffer_load_dword v74, off, s[0:3], 0 offset:796
	buffer_load_dword v75, off, s[0:3], 0 offset:800
	buffer_load_dword v76, off, s[0:3], 0 offset:804
	buffer_load_dword v77, off, s[0:3], 0 offset:808
	buffer_load_dword v78, off, s[0:3], 0 offset:812
	buffer_load_dword v79, off, s[0:3], 0 offset:816
	buffer_load_dword v80, off, s[0:3], 0 offset:820
	buffer_load_dword v81, off, s[0:3], 0 offset:824
	buffer_load_dword v82, off, s[0:3], 0 offset:828
	s_waitcnt vmcnt(12) lgkmcnt(0)
	v_mul_f64 v[1:2], v[71:72], v[10:11]
	v_mul_f64 v[10:11], v[69:70], v[10:11]
	v_fma_f64 v[1:2], v[69:70], v[3:4], -v[1:2]
	v_fma_f64 v[3:4], v[71:72], v[3:4], v[10:11]
	buffer_store_dword v1, off, s[0:3], 0 offset:768
	buffer_store_dword v2, off, s[0:3], 0 offset:772
	buffer_store_dword v3, off, s[0:3], 0 offset:776
	buffer_store_dword v4, off, s[0:3], 0 offset:780
	ds_read2_b64 v[10:13], v6 offset0:98 offset1:99
	s_waitcnt lgkmcnt(0)
	v_mul_f64 v[83:84], v[12:13], v[3:4]
	v_fma_f64 v[83:84], v[10:11], v[1:2], -v[83:84]
	v_mul_f64 v[10:11], v[10:11], v[3:4]
	v_fma_f64 v[10:11], v[12:13], v[1:2], v[10:11]
	s_waitcnt vmcnt(14)
	v_add_f64 v[12:13], v[14:15], -v[83:84]
	s_waitcnt vmcnt(12)
	v_add_f64 v[10:11], v[73:74], -v[10:11]
	buffer_store_dword v12, off, s[0:3], 0 offset:784
	buffer_store_dword v13, off, s[0:3], 0 offset:788
	buffer_store_dword v10, off, s[0:3], 0 offset:792
	buffer_store_dword v11, off, s[0:3], 0 offset:796
	ds_read2_b64 v[10:13], v6 offset0:100 offset1:101
	s_waitcnt lgkmcnt(0)
	v_mul_f64 v[14:15], v[12:13], v[3:4]
	v_fma_f64 v[14:15], v[10:11], v[1:2], -v[14:15]
	v_mul_f64 v[10:11], v[10:11], v[3:4]
	v_fma_f64 v[10:11], v[12:13], v[1:2], v[10:11]
	s_waitcnt vmcnt(14)
	v_add_f64 v[12:13], v[75:76], -v[14:15]
	s_waitcnt vmcnt(12)
	v_add_f64 v[10:11], v[77:78], -v[10:11]
	;; [unrolled: 14-line block ×3, first 2 shown]
	buffer_store_dword v13, off, s[0:3], 0 offset:820
	buffer_store_dword v12, off, s[0:3], 0 offset:816
	;; [unrolled: 1-line block ×4, first 2 shown]
	ds_read2_b64 v[10:13], v6 offset0:104 offset1:105
	s_waitcnt lgkmcnt(0)
	v_mul_f64 v[14:15], v[12:13], v[3:4]
	v_fma_f64 v[14:15], v[10:11], v[1:2], -v[14:15]
	v_mul_f64 v[10:11], v[10:11], v[3:4]
	v_fma_f64 v[10:11], v[12:13], v[1:2], v[10:11]
	buffer_load_dword v12, off, s[0:3], 0 offset:832
	buffer_load_dword v13, off, s[0:3], 0 offset:836
	;; [unrolled: 1-line block ×4, first 2 shown]
	s_waitcnt vmcnt(2)
	v_add_f64 v[12:13], v[12:13], -v[14:15]
	s_waitcnt vmcnt(0)
	v_add_f64 v[10:11], v[73:74], -v[10:11]
	buffer_store_dword v13, off, s[0:3], 0 offset:836
	buffer_store_dword v12, off, s[0:3], 0 offset:832
	buffer_store_dword v11, off, s[0:3], 0 offset:844
	buffer_store_dword v10, off, s[0:3], 0 offset:840
	ds_read2_b64 v[10:13], v6 offset0:106 offset1:107
	s_waitcnt lgkmcnt(0)
	v_mul_f64 v[14:15], v[12:13], v[3:4]
	v_fma_f64 v[14:15], v[10:11], v[1:2], -v[14:15]
	v_mul_f64 v[10:11], v[10:11], v[3:4]
	v_fma_f64 v[10:11], v[12:13], v[1:2], v[10:11]
	buffer_load_dword v12, off, s[0:3], 0 offset:848
	buffer_load_dword v13, off, s[0:3], 0 offset:852
	;; [unrolled: 1-line block ×4, first 2 shown]
	s_waitcnt vmcnt(2)
	v_add_f64 v[12:13], v[12:13], -v[14:15]
	s_waitcnt vmcnt(0)
	v_add_f64 v[10:11], v[73:74], -v[10:11]
	buffer_store_dword v13, off, s[0:3], 0 offset:852
	buffer_store_dword v12, off, s[0:3], 0 offset:848
	;; [unrolled: 1-line block ×4, first 2 shown]
	ds_read2_b64 v[10:13], v6 offset0:108 offset1:109
	s_waitcnt lgkmcnt(0)
	v_mul_f64 v[14:15], v[12:13], v[3:4]
	v_mul_f64 v[3:4], v[10:11], v[3:4]
	v_fma_f64 v[14:15], v[10:11], v[1:2], -v[14:15]
	v_fma_f64 v[1:2], v[12:13], v[1:2], v[3:4]
	buffer_load_dword v3, off, s[0:3], 0 offset:864
	buffer_load_dword v4, off, s[0:3], 0 offset:868
	;; [unrolled: 1-line block ×4, first 2 shown]
	s_waitcnt vmcnt(2)
	v_add_f64 v[3:4], v[3:4], -v[14:15]
	s_waitcnt vmcnt(0)
	v_add_f64 v[1:2], v[10:11], -v[1:2]
	buffer_store_dword v4, off, s[0:3], 0 offset:868
	buffer_store_dword v3, off, s[0:3], 0 offset:864
	;; [unrolled: 1-line block ×4, first 2 shown]
	ds_read2_b64 v[10:13], v6 offset0:110 offset1:111
	buffer_load_dword v1, off, s[0:3], 0 offset:768
	buffer_load_dword v2, off, s[0:3], 0 offset:772
	;; [unrolled: 1-line block ×4, first 2 shown]
	s_waitcnt vmcnt(0) lgkmcnt(0)
	v_mul_f64 v[14:15], v[12:13], v[3:4]
	v_fma_f64 v[14:15], v[10:11], v[1:2], -v[14:15]
	v_mul_f64 v[10:11], v[10:11], v[3:4]
	v_fma_f64 v[10:11], v[12:13], v[1:2], v[10:11]
	buffer_load_dword v13, off, s[0:3], 0 offset:884
	buffer_load_dword v12, off, s[0:3], 0 offset:880
	s_waitcnt vmcnt(0)
	v_add_f64 v[12:13], v[12:13], -v[14:15]
	buffer_load_dword v15, off, s[0:3], 0 offset:892
	buffer_load_dword v14, off, s[0:3], 0 offset:888
	s_waitcnt vmcnt(0)
	v_add_f64 v[10:11], v[14:15], -v[10:11]
	buffer_store_dword v13, off, s[0:3], 0 offset:884
	buffer_store_dword v12, off, s[0:3], 0 offset:880
	buffer_store_dword v11, off, s[0:3], 0 offset:892
	buffer_store_dword v10, off, s[0:3], 0 offset:888
	ds_read2_b64 v[10:13], v6 offset0:112 offset1:113
	s_waitcnt lgkmcnt(0)
	v_mul_f64 v[14:15], v[12:13], v[3:4]
	v_fma_f64 v[14:15], v[10:11], v[1:2], -v[14:15]
	v_mul_f64 v[10:11], v[10:11], v[3:4]
	v_fma_f64 v[10:11], v[12:13], v[1:2], v[10:11]
	buffer_load_dword v12, off, s[0:3], 0 offset:896
	buffer_load_dword v13, off, s[0:3], 0 offset:900
	buffer_load_dword v73, off, s[0:3], 0 offset:904
	buffer_load_dword v74, off, s[0:3], 0 offset:908
	s_waitcnt vmcnt(2)
	v_add_f64 v[12:13], v[12:13], -v[14:15]
	s_waitcnt vmcnt(0)
	v_add_f64 v[10:11], v[73:74], -v[10:11]
	buffer_store_dword v13, off, s[0:3], 0 offset:900
	buffer_store_dword v12, off, s[0:3], 0 offset:896
	buffer_store_dword v11, off, s[0:3], 0 offset:908
	buffer_store_dword v10, off, s[0:3], 0 offset:904
	ds_read2_b64 v[10:13], v6 offset0:114 offset1:115
	s_waitcnt lgkmcnt(0)
	v_mul_f64 v[14:15], v[12:13], v[3:4]
	v_fma_f64 v[14:15], v[10:11], v[1:2], -v[14:15]
	v_mul_f64 v[10:11], v[10:11], v[3:4]
	v_fma_f64 v[10:11], v[12:13], v[1:2], v[10:11]
	buffer_load_dword v12, off, s[0:3], 0 offset:912
	buffer_load_dword v13, off, s[0:3], 0 offset:916
	buffer_load_dword v73, off, s[0:3], 0 offset:920
	buffer_load_dword v74, off, s[0:3], 0 offset:924
	s_waitcnt vmcnt(2)
	v_add_f64 v[12:13], v[12:13], -v[14:15]
	;; [unrolled: 18-line block ×4, first 2 shown]
	s_waitcnt vmcnt(0)
	v_add_f64 v[10:11], v[73:74], -v[10:11]
	buffer_store_dword v13, off, s[0:3], 0 offset:948
	buffer_store_dword v12, off, s[0:3], 0 offset:944
	;; [unrolled: 1-line block ×4, first 2 shown]
	ds_read2_b64 v[10:13], v6 offset0:120 offset1:121
	s_waitcnt lgkmcnt(0)
	v_mul_f64 v[14:15], v[12:13], v[3:4]
	v_mul_f64 v[3:4], v[10:11], v[3:4]
	v_fma_f64 v[14:15], v[10:11], v[1:2], -v[14:15]
	v_fma_f64 v[1:2], v[12:13], v[1:2], v[3:4]
	buffer_load_dword v3, off, s[0:3], 0 offset:960
	buffer_load_dword v4, off, s[0:3], 0 offset:964
	;; [unrolled: 1-line block ×4, first 2 shown]
	s_waitcnt vmcnt(2)
	v_add_f64 v[3:4], v[3:4], -v[14:15]
	s_waitcnt vmcnt(0)
	v_add_f64 v[1:2], v[10:11], -v[1:2]
	buffer_store_dword v4, off, s[0:3], 0 offset:964
	buffer_store_dword v3, off, s[0:3], 0 offset:960
	;; [unrolled: 1-line block ×4, first 2 shown]
	ds_read2_b64 v[10:13], v6 offset0:122 offset1:123
	buffer_load_dword v1, off, s[0:3], 0 offset:768
	buffer_load_dword v2, off, s[0:3], 0 offset:772
	;; [unrolled: 1-line block ×4, first 2 shown]
	s_waitcnt vmcnt(0) lgkmcnt(0)
	v_mul_f64 v[3:4], v[12:13], v[73:74]
	v_fma_f64 v[3:4], v[10:11], v[1:2], -v[3:4]
	v_mul_f64 v[10:11], v[10:11], v[73:74]
	v_fma_f64 v[10:11], v[12:13], v[1:2], v[10:11]
	buffer_load_dword v13, off, s[0:3], 0 offset:980
	buffer_load_dword v12, off, s[0:3], 0 offset:976
	s_waitcnt vmcnt(0)
	v_add_f64 v[3:4], v[12:13], -v[3:4]
	buffer_load_dword v13, off, s[0:3], 0 offset:988
	buffer_load_dword v12, off, s[0:3], 0 offset:984
	s_waitcnt vmcnt(0)
	v_add_f64 v[10:11], v[12:13], -v[10:11]
	buffer_store_dword v4, off, s[0:3], 0 offset:980
	buffer_store_dword v3, off, s[0:3], 0 offset:976
	;; [unrolled: 1-line block ×4, first 2 shown]
	ds_read2_b64 v[10:13], v6 offset0:124 offset1:125
	s_waitcnt lgkmcnt(0)
	v_mul_f64 v[3:4], v[12:13], v[73:74]
	v_fma_f64 v[3:4], v[10:11], v[1:2], -v[3:4]
	v_mul_f64 v[10:11], v[10:11], v[73:74]
	buffer_load_dword v75, off, s[0:3], 0 offset:992
	buffer_load_dword v76, off, s[0:3], 0 offset:996
	;; [unrolled: 1-line block ×4, first 2 shown]
	v_fma_f64 v[1:2], v[12:13], v[1:2], v[10:11]
	s_waitcnt vmcnt(2)
	v_add_f64 v[3:4], v[75:76], -v[3:4]
	s_waitcnt vmcnt(0)
	v_add_f64 v[1:2], v[73:74], -v[1:2]
	buffer_store_dword v4, off, s[0:3], 0 offset:996
	buffer_store_dword v3, off, s[0:3], 0 offset:992
	;; [unrolled: 1-line block ×4, first 2 shown]
.LBB125_557:
	s_or_b64 exec, exec, s[6:7]
	v_cmp_eq_u32_e32 vcc, 49, v0
	s_waitcnt vmcnt(0) lgkmcnt(0)
	s_barrier
	s_and_saveexec_b64 s[8:9], vcc
	s_cbranch_execz .LBB125_564
; %bb.558:
	v_mov_b32_e32 v4, s27
	buffer_load_dword v1, v4, s[0:3], 0 offen
	buffer_load_dword v2, v4, s[0:3], 0 offen offset:4
	buffer_load_dword v3, v4, s[0:3], 0 offen offset:8
	s_nop 0
	buffer_load_dword v4, v4, s[0:3], 0 offen offset:12
	s_waitcnt vmcnt(0)
	ds_write2_b64 v125, v[1:2], v[3:4] offset1:1
	v_mov_b32_e32 v4, s26
	buffer_load_dword v1, v4, s[0:3], 0 offen
	buffer_load_dword v2, v4, s[0:3], 0 offen offset:4
	buffer_load_dword v3, v4, s[0:3], 0 offen offset:8
	s_nop 0
	buffer_load_dword v4, v4, s[0:3], 0 offen offset:12
	s_waitcnt vmcnt(0)
	ds_write2_b64 v6, v[1:2], v[3:4] offset0:100 offset1:101
	v_mov_b32_e32 v4, s25
	buffer_load_dword v1, v4, s[0:3], 0 offen
	buffer_load_dword v2, v4, s[0:3], 0 offen offset:4
	buffer_load_dword v3, v4, s[0:3], 0 offen offset:8
	s_nop 0
	buffer_load_dword v4, v4, s[0:3], 0 offen offset:12
	s_waitcnt vmcnt(0)
	ds_write2_b64 v6, v[1:2], v[3:4] offset0:102 offset1:103
	;; [unrolled: 8-line block ×13, first 2 shown]
	ds_read2_b64 v[1:4], v125 offset1:1
	s_waitcnt lgkmcnt(0)
	v_cmp_neq_f64_e32 vcc, 0, v[1:2]
	v_cmp_neq_f64_e64 s[6:7], 0, v[3:4]
	s_or_b64 s[6:7], vcc, s[6:7]
	s_and_b64 exec, exec, s[6:7]
	s_cbranch_execz .LBB125_564
; %bb.559:
	v_cmp_ngt_f64_e64 s[6:7], |v[1:2]|, |v[3:4]|
                                        ; implicit-def: $vgpr10_vgpr11
	s_and_saveexec_b64 s[10:11], s[6:7]
	s_xor_b64 s[6:7], exec, s[10:11]
                                        ; implicit-def: $vgpr12_vgpr13
	s_cbranch_execz .LBB125_561
; %bb.560:
	v_div_scale_f64 v[10:11], s[10:11], v[3:4], v[3:4], v[1:2]
	v_rcp_f64_e32 v[12:13], v[10:11]
	v_fma_f64 v[14:15], -v[10:11], v[12:13], 1.0
	v_fma_f64 v[12:13], v[12:13], v[14:15], v[12:13]
	v_div_scale_f64 v[14:15], vcc, v[1:2], v[3:4], v[1:2]
	v_fma_f64 v[73:74], -v[10:11], v[12:13], 1.0
	v_fma_f64 v[12:13], v[12:13], v[73:74], v[12:13]
	v_mul_f64 v[73:74], v[14:15], v[12:13]
	v_fma_f64 v[10:11], -v[10:11], v[73:74], v[14:15]
	v_div_fmas_f64 v[10:11], v[10:11], v[12:13], v[73:74]
	v_div_fixup_f64 v[10:11], v[10:11], v[3:4], v[1:2]
	v_fma_f64 v[1:2], v[1:2], v[10:11], v[3:4]
	v_div_scale_f64 v[3:4], s[10:11], v[1:2], v[1:2], 1.0
	v_div_scale_f64 v[73:74], vcc, 1.0, v[1:2], 1.0
	v_rcp_f64_e32 v[12:13], v[3:4]
	v_fma_f64 v[14:15], -v[3:4], v[12:13], 1.0
	v_fma_f64 v[12:13], v[12:13], v[14:15], v[12:13]
	v_fma_f64 v[14:15], -v[3:4], v[12:13], 1.0
	v_fma_f64 v[12:13], v[12:13], v[14:15], v[12:13]
	v_mul_f64 v[14:15], v[73:74], v[12:13]
	v_fma_f64 v[3:4], -v[3:4], v[14:15], v[73:74]
	v_div_fmas_f64 v[3:4], v[3:4], v[12:13], v[14:15]
	v_div_fixup_f64 v[12:13], v[3:4], v[1:2], 1.0
                                        ; implicit-def: $vgpr1_vgpr2
	v_mul_f64 v[10:11], v[10:11], v[12:13]
	v_xor_b32_e32 v13, 0x80000000, v13
.LBB125_561:
	s_andn2_saveexec_b64 s[6:7], s[6:7]
	s_cbranch_execz .LBB125_563
; %bb.562:
	v_div_scale_f64 v[10:11], s[10:11], v[1:2], v[1:2], v[3:4]
	v_rcp_f64_e32 v[12:13], v[10:11]
	v_fma_f64 v[14:15], -v[10:11], v[12:13], 1.0
	v_fma_f64 v[12:13], v[12:13], v[14:15], v[12:13]
	v_div_scale_f64 v[14:15], vcc, v[3:4], v[1:2], v[3:4]
	v_fma_f64 v[73:74], -v[10:11], v[12:13], 1.0
	v_fma_f64 v[12:13], v[12:13], v[73:74], v[12:13]
	v_mul_f64 v[73:74], v[14:15], v[12:13]
	v_fma_f64 v[10:11], -v[10:11], v[73:74], v[14:15]
	v_div_fmas_f64 v[10:11], v[10:11], v[12:13], v[73:74]
	v_div_fixup_f64 v[12:13], v[10:11], v[1:2], v[3:4]
	v_fma_f64 v[1:2], v[3:4], v[12:13], v[1:2]
	v_div_scale_f64 v[3:4], s[10:11], v[1:2], v[1:2], 1.0
	v_div_scale_f64 v[73:74], vcc, 1.0, v[1:2], 1.0
	v_rcp_f64_e32 v[10:11], v[3:4]
	v_fma_f64 v[14:15], -v[3:4], v[10:11], 1.0
	v_fma_f64 v[10:11], v[10:11], v[14:15], v[10:11]
	v_fma_f64 v[14:15], -v[3:4], v[10:11], 1.0
	v_fma_f64 v[10:11], v[10:11], v[14:15], v[10:11]
	v_mul_f64 v[14:15], v[73:74], v[10:11]
	v_fma_f64 v[3:4], -v[3:4], v[14:15], v[73:74]
	v_div_fmas_f64 v[3:4], v[3:4], v[10:11], v[14:15]
	v_div_fixup_f64 v[10:11], v[3:4], v[1:2], 1.0
	v_mul_f64 v[12:13], v[12:13], -v[10:11]
.LBB125_563:
	s_or_b64 exec, exec, s[6:7]
	ds_write2_b64 v125, v[10:11], v[12:13] offset1:1
.LBB125_564:
	s_or_b64 exec, exec, s[8:9]
	s_waitcnt lgkmcnt(0)
	s_barrier
	ds_read2_b64 v[73:76], v125 offset1:1
	v_cmp_lt_u32_e32 vcc, 49, v0
	s_and_saveexec_b64 s[6:7], vcc
	s_cbranch_execz .LBB125_566
; %bb.565:
	buffer_load_dword v3, off, s[0:3], 0 offset:784
	buffer_load_dword v4, off, s[0:3], 0 offset:788
	;; [unrolled: 1-line block ×16, first 2 shown]
	s_waitcnt vmcnt(12) lgkmcnt(0)
	v_mul_f64 v[1:2], v[75:76], v[10:11]
	v_mul_f64 v[10:11], v[73:74], v[10:11]
	v_fma_f64 v[1:2], v[73:74], v[3:4], -v[1:2]
	v_fma_f64 v[3:4], v[75:76], v[3:4], v[10:11]
	buffer_store_dword v1, off, s[0:3], 0 offset:784
	buffer_store_dword v2, off, s[0:3], 0 offset:788
	buffer_store_dword v3, off, s[0:3], 0 offset:792
	buffer_store_dword v4, off, s[0:3], 0 offset:796
	ds_read2_b64 v[10:13], v6 offset0:100 offset1:101
	s_waitcnt lgkmcnt(0)
	v_mul_f64 v[87:88], v[12:13], v[3:4]
	v_fma_f64 v[87:88], v[10:11], v[1:2], -v[87:88]
	v_mul_f64 v[10:11], v[10:11], v[3:4]
	v_fma_f64 v[10:11], v[12:13], v[1:2], v[10:11]
	s_waitcnt vmcnt(14)
	v_add_f64 v[12:13], v[14:15], -v[87:88]
	s_waitcnt vmcnt(12)
	v_add_f64 v[10:11], v[77:78], -v[10:11]
	buffer_store_dword v12, off, s[0:3], 0 offset:800
	buffer_store_dword v13, off, s[0:3], 0 offset:804
	buffer_store_dword v10, off, s[0:3], 0 offset:808
	buffer_store_dword v11, off, s[0:3], 0 offset:812
	ds_read2_b64 v[10:13], v6 offset0:102 offset1:103
	s_waitcnt lgkmcnt(0)
	v_mul_f64 v[14:15], v[12:13], v[3:4]
	v_fma_f64 v[14:15], v[10:11], v[1:2], -v[14:15]
	v_mul_f64 v[10:11], v[10:11], v[3:4]
	v_fma_f64 v[10:11], v[12:13], v[1:2], v[10:11]
	s_waitcnt vmcnt(14)
	v_add_f64 v[12:13], v[79:80], -v[14:15]
	s_waitcnt vmcnt(12)
	v_add_f64 v[10:11], v[81:82], -v[10:11]
	;; [unrolled: 14-line block ×3, first 2 shown]
	buffer_store_dword v13, off, s[0:3], 0 offset:836
	buffer_store_dword v12, off, s[0:3], 0 offset:832
	;; [unrolled: 1-line block ×4, first 2 shown]
	ds_read2_b64 v[10:13], v6 offset0:106 offset1:107
	s_waitcnt lgkmcnt(0)
	v_mul_f64 v[14:15], v[12:13], v[3:4]
	v_fma_f64 v[14:15], v[10:11], v[1:2], -v[14:15]
	v_mul_f64 v[10:11], v[10:11], v[3:4]
	v_fma_f64 v[10:11], v[12:13], v[1:2], v[10:11]
	buffer_load_dword v12, off, s[0:3], 0 offset:848
	buffer_load_dword v13, off, s[0:3], 0 offset:852
	;; [unrolled: 1-line block ×4, first 2 shown]
	s_waitcnt vmcnt(2)
	v_add_f64 v[12:13], v[12:13], -v[14:15]
	s_waitcnt vmcnt(0)
	v_add_f64 v[10:11], v[77:78], -v[10:11]
	buffer_store_dword v13, off, s[0:3], 0 offset:852
	buffer_store_dword v12, off, s[0:3], 0 offset:848
	buffer_store_dword v11, off, s[0:3], 0 offset:860
	buffer_store_dword v10, off, s[0:3], 0 offset:856
	ds_read2_b64 v[10:13], v6 offset0:108 offset1:109
	s_waitcnt lgkmcnt(0)
	v_mul_f64 v[14:15], v[12:13], v[3:4]
	v_fma_f64 v[14:15], v[10:11], v[1:2], -v[14:15]
	v_mul_f64 v[10:11], v[10:11], v[3:4]
	v_fma_f64 v[10:11], v[12:13], v[1:2], v[10:11]
	buffer_load_dword v12, off, s[0:3], 0 offset:864
	buffer_load_dword v13, off, s[0:3], 0 offset:868
	;; [unrolled: 1-line block ×4, first 2 shown]
	s_waitcnt vmcnt(2)
	v_add_f64 v[12:13], v[12:13], -v[14:15]
	s_waitcnt vmcnt(0)
	v_add_f64 v[10:11], v[77:78], -v[10:11]
	buffer_store_dword v13, off, s[0:3], 0 offset:868
	buffer_store_dword v12, off, s[0:3], 0 offset:864
	buffer_store_dword v11, off, s[0:3], 0 offset:876
	buffer_store_dword v10, off, s[0:3], 0 offset:872
	ds_read2_b64 v[10:13], v6 offset0:110 offset1:111
	s_waitcnt lgkmcnt(0)
	v_mul_f64 v[14:15], v[12:13], v[3:4]
	v_mul_f64 v[3:4], v[10:11], v[3:4]
	v_fma_f64 v[14:15], v[10:11], v[1:2], -v[14:15]
	v_fma_f64 v[1:2], v[12:13], v[1:2], v[3:4]
	buffer_load_dword v3, off, s[0:3], 0 offset:880
	buffer_load_dword v4, off, s[0:3], 0 offset:884
	;; [unrolled: 1-line block ×4, first 2 shown]
	s_waitcnt vmcnt(2)
	v_add_f64 v[3:4], v[3:4], -v[14:15]
	s_waitcnt vmcnt(0)
	v_add_f64 v[1:2], v[10:11], -v[1:2]
	buffer_store_dword v4, off, s[0:3], 0 offset:884
	buffer_store_dword v3, off, s[0:3], 0 offset:880
	buffer_store_dword v2, off, s[0:3], 0 offset:892
	buffer_store_dword v1, off, s[0:3], 0 offset:888
	ds_read2_b64 v[10:13], v6 offset0:112 offset1:113
	buffer_load_dword v1, off, s[0:3], 0 offset:784
	buffer_load_dword v2, off, s[0:3], 0 offset:788
	;; [unrolled: 1-line block ×4, first 2 shown]
	s_waitcnt vmcnt(0) lgkmcnt(0)
	v_mul_f64 v[14:15], v[12:13], v[3:4]
	v_fma_f64 v[14:15], v[10:11], v[1:2], -v[14:15]
	v_mul_f64 v[10:11], v[10:11], v[3:4]
	v_fma_f64 v[10:11], v[12:13], v[1:2], v[10:11]
	buffer_load_dword v13, off, s[0:3], 0 offset:900
	buffer_load_dword v12, off, s[0:3], 0 offset:896
	s_waitcnt vmcnt(0)
	v_add_f64 v[12:13], v[12:13], -v[14:15]
	buffer_load_dword v15, off, s[0:3], 0 offset:908
	buffer_load_dword v14, off, s[0:3], 0 offset:904
	s_waitcnt vmcnt(0)
	v_add_f64 v[10:11], v[14:15], -v[10:11]
	buffer_store_dword v13, off, s[0:3], 0 offset:900
	buffer_store_dword v12, off, s[0:3], 0 offset:896
	buffer_store_dword v11, off, s[0:3], 0 offset:908
	buffer_store_dword v10, off, s[0:3], 0 offset:904
	ds_read2_b64 v[10:13], v6 offset0:114 offset1:115
	s_waitcnt lgkmcnt(0)
	v_mul_f64 v[14:15], v[12:13], v[3:4]
	v_fma_f64 v[14:15], v[10:11], v[1:2], -v[14:15]
	v_mul_f64 v[10:11], v[10:11], v[3:4]
	v_fma_f64 v[10:11], v[12:13], v[1:2], v[10:11]
	buffer_load_dword v12, off, s[0:3], 0 offset:912
	buffer_load_dword v13, off, s[0:3], 0 offset:916
	buffer_load_dword v77, off, s[0:3], 0 offset:920
	buffer_load_dword v78, off, s[0:3], 0 offset:924
	s_waitcnt vmcnt(2)
	v_add_f64 v[12:13], v[12:13], -v[14:15]
	s_waitcnt vmcnt(0)
	v_add_f64 v[10:11], v[77:78], -v[10:11]
	buffer_store_dword v13, off, s[0:3], 0 offset:916
	buffer_store_dword v12, off, s[0:3], 0 offset:912
	buffer_store_dword v11, off, s[0:3], 0 offset:924
	buffer_store_dword v10, off, s[0:3], 0 offset:920
	ds_read2_b64 v[10:13], v6 offset0:116 offset1:117
	s_waitcnt lgkmcnt(0)
	v_mul_f64 v[14:15], v[12:13], v[3:4]
	v_fma_f64 v[14:15], v[10:11], v[1:2], -v[14:15]
	v_mul_f64 v[10:11], v[10:11], v[3:4]
	v_fma_f64 v[10:11], v[12:13], v[1:2], v[10:11]
	buffer_load_dword v12, off, s[0:3], 0 offset:928
	buffer_load_dword v13, off, s[0:3], 0 offset:932
	buffer_load_dword v77, off, s[0:3], 0 offset:936
	buffer_load_dword v78, off, s[0:3], 0 offset:940
	s_waitcnt vmcnt(2)
	v_add_f64 v[12:13], v[12:13], -v[14:15]
	;; [unrolled: 18-line block ×4, first 2 shown]
	s_waitcnt vmcnt(0)
	v_add_f64 v[10:11], v[77:78], -v[10:11]
	buffer_store_dword v13, off, s[0:3], 0 offset:964
	buffer_store_dword v12, off, s[0:3], 0 offset:960
	;; [unrolled: 1-line block ×4, first 2 shown]
	ds_read2_b64 v[10:13], v6 offset0:122 offset1:123
	s_waitcnt lgkmcnt(0)
	v_mul_f64 v[14:15], v[12:13], v[3:4]
	v_mul_f64 v[3:4], v[10:11], v[3:4]
	v_fma_f64 v[14:15], v[10:11], v[1:2], -v[14:15]
	v_fma_f64 v[1:2], v[12:13], v[1:2], v[3:4]
	buffer_load_dword v3, off, s[0:3], 0 offset:976
	buffer_load_dword v4, off, s[0:3], 0 offset:980
	;; [unrolled: 1-line block ×4, first 2 shown]
	s_waitcnt vmcnt(2)
	v_add_f64 v[3:4], v[3:4], -v[14:15]
	s_waitcnt vmcnt(0)
	v_add_f64 v[1:2], v[10:11], -v[1:2]
	buffer_store_dword v4, off, s[0:3], 0 offset:980
	buffer_store_dword v3, off, s[0:3], 0 offset:976
	;; [unrolled: 1-line block ×4, first 2 shown]
	ds_read2_b64 v[1:4], v6 offset0:124 offset1:125
	buffer_load_dword v10, off, s[0:3], 0 offset:784
	buffer_load_dword v11, off, s[0:3], 0 offset:788
	;; [unrolled: 1-line block ×4, first 2 shown]
	s_waitcnt vmcnt(0) lgkmcnt(0)
	v_mul_f64 v[14:15], v[3:4], v[12:13]
	v_fma_f64 v[14:15], v[1:2], v[10:11], -v[14:15]
	v_mul_f64 v[1:2], v[1:2], v[12:13]
	v_fma_f64 v[1:2], v[3:4], v[10:11], v[1:2]
	buffer_load_dword v4, off, s[0:3], 0 offset:996
	buffer_load_dword v3, off, s[0:3], 0 offset:992
	;; [unrolled: 1-line block ×4, first 2 shown]
	s_waitcnt vmcnt(2)
	v_add_f64 v[3:4], v[3:4], -v[14:15]
	s_waitcnt vmcnt(0)
	v_add_f64 v[1:2], v[77:78], -v[1:2]
	buffer_store_dword v4, off, s[0:3], 0 offset:996
	buffer_store_dword v3, off, s[0:3], 0 offset:992
	;; [unrolled: 1-line block ×4, first 2 shown]
.LBB125_566:
	s_or_b64 exec, exec, s[6:7]
	v_cmp_eq_u32_e32 vcc, 50, v0
	s_waitcnt vmcnt(0) lgkmcnt(0)
	s_barrier
	s_and_saveexec_b64 s[8:9], vcc
	s_cbranch_execz .LBB125_573
; %bb.567:
	v_mov_b32_e32 v4, s26
	buffer_load_dword v1, v4, s[0:3], 0 offen
	buffer_load_dword v2, v4, s[0:3], 0 offen offset:4
	buffer_load_dword v3, v4, s[0:3], 0 offen offset:8
	s_nop 0
	buffer_load_dword v4, v4, s[0:3], 0 offen offset:12
	s_waitcnt vmcnt(0)
	ds_write2_b64 v125, v[1:2], v[3:4] offset1:1
	v_mov_b32_e32 v4, s25
	buffer_load_dword v1, v4, s[0:3], 0 offen
	buffer_load_dword v2, v4, s[0:3], 0 offen offset:4
	buffer_load_dword v3, v4, s[0:3], 0 offen offset:8
	s_nop 0
	buffer_load_dword v4, v4, s[0:3], 0 offen offset:12
	s_waitcnt vmcnt(0)
	ds_write2_b64 v6, v[1:2], v[3:4] offset0:102 offset1:103
	v_mov_b32_e32 v4, s24
	buffer_load_dword v1, v4, s[0:3], 0 offen
	buffer_load_dword v2, v4, s[0:3], 0 offen offset:4
	buffer_load_dword v3, v4, s[0:3], 0 offen offset:8
	s_nop 0
	buffer_load_dword v4, v4, s[0:3], 0 offen offset:12
	s_waitcnt vmcnt(0)
	ds_write2_b64 v6, v[1:2], v[3:4] offset0:104 offset1:105
	;; [unrolled: 8-line block ×12, first 2 shown]
	ds_read2_b64 v[1:4], v125 offset1:1
	s_waitcnt lgkmcnt(0)
	v_cmp_neq_f64_e32 vcc, 0, v[1:2]
	v_cmp_neq_f64_e64 s[6:7], 0, v[3:4]
	s_or_b64 s[6:7], vcc, s[6:7]
	s_and_b64 exec, exec, s[6:7]
	s_cbranch_execz .LBB125_573
; %bb.568:
	v_cmp_ngt_f64_e64 s[6:7], |v[1:2]|, |v[3:4]|
                                        ; implicit-def: $vgpr10_vgpr11
	s_and_saveexec_b64 s[10:11], s[6:7]
	s_xor_b64 s[6:7], exec, s[10:11]
                                        ; implicit-def: $vgpr12_vgpr13
	s_cbranch_execz .LBB125_570
; %bb.569:
	v_div_scale_f64 v[10:11], s[10:11], v[3:4], v[3:4], v[1:2]
	v_rcp_f64_e32 v[12:13], v[10:11]
	v_fma_f64 v[14:15], -v[10:11], v[12:13], 1.0
	v_fma_f64 v[12:13], v[12:13], v[14:15], v[12:13]
	v_div_scale_f64 v[14:15], vcc, v[1:2], v[3:4], v[1:2]
	v_fma_f64 v[77:78], -v[10:11], v[12:13], 1.0
	v_fma_f64 v[12:13], v[12:13], v[77:78], v[12:13]
	v_mul_f64 v[77:78], v[14:15], v[12:13]
	v_fma_f64 v[10:11], -v[10:11], v[77:78], v[14:15]
	v_div_fmas_f64 v[10:11], v[10:11], v[12:13], v[77:78]
	v_div_fixup_f64 v[10:11], v[10:11], v[3:4], v[1:2]
	v_fma_f64 v[1:2], v[1:2], v[10:11], v[3:4]
	v_div_scale_f64 v[3:4], s[10:11], v[1:2], v[1:2], 1.0
	v_div_scale_f64 v[77:78], vcc, 1.0, v[1:2], 1.0
	v_rcp_f64_e32 v[12:13], v[3:4]
	v_fma_f64 v[14:15], -v[3:4], v[12:13], 1.0
	v_fma_f64 v[12:13], v[12:13], v[14:15], v[12:13]
	v_fma_f64 v[14:15], -v[3:4], v[12:13], 1.0
	v_fma_f64 v[12:13], v[12:13], v[14:15], v[12:13]
	v_mul_f64 v[14:15], v[77:78], v[12:13]
	v_fma_f64 v[3:4], -v[3:4], v[14:15], v[77:78]
	v_div_fmas_f64 v[3:4], v[3:4], v[12:13], v[14:15]
	v_div_fixup_f64 v[12:13], v[3:4], v[1:2], 1.0
                                        ; implicit-def: $vgpr1_vgpr2
	v_mul_f64 v[10:11], v[10:11], v[12:13]
	v_xor_b32_e32 v13, 0x80000000, v13
.LBB125_570:
	s_andn2_saveexec_b64 s[6:7], s[6:7]
	s_cbranch_execz .LBB125_572
; %bb.571:
	v_div_scale_f64 v[10:11], s[10:11], v[1:2], v[1:2], v[3:4]
	v_rcp_f64_e32 v[12:13], v[10:11]
	v_fma_f64 v[14:15], -v[10:11], v[12:13], 1.0
	v_fma_f64 v[12:13], v[12:13], v[14:15], v[12:13]
	v_div_scale_f64 v[14:15], vcc, v[3:4], v[1:2], v[3:4]
	v_fma_f64 v[77:78], -v[10:11], v[12:13], 1.0
	v_fma_f64 v[12:13], v[12:13], v[77:78], v[12:13]
	v_mul_f64 v[77:78], v[14:15], v[12:13]
	v_fma_f64 v[10:11], -v[10:11], v[77:78], v[14:15]
	v_div_fmas_f64 v[10:11], v[10:11], v[12:13], v[77:78]
	v_div_fixup_f64 v[12:13], v[10:11], v[1:2], v[3:4]
	v_fma_f64 v[1:2], v[3:4], v[12:13], v[1:2]
	v_div_scale_f64 v[3:4], s[10:11], v[1:2], v[1:2], 1.0
	v_div_scale_f64 v[77:78], vcc, 1.0, v[1:2], 1.0
	v_rcp_f64_e32 v[10:11], v[3:4]
	v_fma_f64 v[14:15], -v[3:4], v[10:11], 1.0
	v_fma_f64 v[10:11], v[10:11], v[14:15], v[10:11]
	v_fma_f64 v[14:15], -v[3:4], v[10:11], 1.0
	v_fma_f64 v[10:11], v[10:11], v[14:15], v[10:11]
	v_mul_f64 v[14:15], v[77:78], v[10:11]
	v_fma_f64 v[3:4], -v[3:4], v[14:15], v[77:78]
	v_div_fmas_f64 v[3:4], v[3:4], v[10:11], v[14:15]
	v_div_fixup_f64 v[10:11], v[3:4], v[1:2], 1.0
	v_mul_f64 v[12:13], v[12:13], -v[10:11]
.LBB125_572:
	s_or_b64 exec, exec, s[6:7]
	ds_write2_b64 v125, v[10:11], v[12:13] offset1:1
.LBB125_573:
	s_or_b64 exec, exec, s[8:9]
	s_waitcnt lgkmcnt(0)
	s_barrier
	ds_read2_b64 v[77:80], v125 offset1:1
	v_cmp_lt_u32_e32 vcc, 50, v0
	s_and_saveexec_b64 s[6:7], vcc
	s_cbranch_execz .LBB125_575
; %bb.574:
	buffer_load_dword v3, off, s[0:3], 0 offset:800
	buffer_load_dword v4, off, s[0:3], 0 offset:804
	;; [unrolled: 1-line block ×16, first 2 shown]
	s_waitcnt vmcnt(12) lgkmcnt(0)
	v_mul_f64 v[1:2], v[79:80], v[10:11]
	v_mul_f64 v[10:11], v[77:78], v[10:11]
	v_fma_f64 v[1:2], v[77:78], v[3:4], -v[1:2]
	v_fma_f64 v[3:4], v[79:80], v[3:4], v[10:11]
	buffer_store_dword v1, off, s[0:3], 0 offset:800
	buffer_store_dword v2, off, s[0:3], 0 offset:804
	buffer_store_dword v3, off, s[0:3], 0 offset:808
	buffer_store_dword v4, off, s[0:3], 0 offset:812
	ds_read2_b64 v[10:13], v6 offset0:102 offset1:103
	s_waitcnt lgkmcnt(0)
	v_mul_f64 v[91:92], v[12:13], v[3:4]
	v_fma_f64 v[91:92], v[10:11], v[1:2], -v[91:92]
	v_mul_f64 v[10:11], v[10:11], v[3:4]
	v_fma_f64 v[10:11], v[12:13], v[1:2], v[10:11]
	s_waitcnt vmcnt(14)
	v_add_f64 v[12:13], v[14:15], -v[91:92]
	s_waitcnt vmcnt(12)
	v_add_f64 v[10:11], v[81:82], -v[10:11]
	buffer_store_dword v12, off, s[0:3], 0 offset:816
	buffer_store_dword v13, off, s[0:3], 0 offset:820
	buffer_store_dword v10, off, s[0:3], 0 offset:824
	buffer_store_dword v11, off, s[0:3], 0 offset:828
	ds_read2_b64 v[10:13], v6 offset0:104 offset1:105
	s_waitcnt lgkmcnt(0)
	v_mul_f64 v[14:15], v[12:13], v[3:4]
	v_fma_f64 v[14:15], v[10:11], v[1:2], -v[14:15]
	v_mul_f64 v[10:11], v[10:11], v[3:4]
	v_fma_f64 v[10:11], v[12:13], v[1:2], v[10:11]
	s_waitcnt vmcnt(14)
	v_add_f64 v[12:13], v[83:84], -v[14:15]
	s_waitcnt vmcnt(12)
	v_add_f64 v[10:11], v[85:86], -v[10:11]
	;; [unrolled: 14-line block ×3, first 2 shown]
	buffer_store_dword v13, off, s[0:3], 0 offset:852
	buffer_store_dword v12, off, s[0:3], 0 offset:848
	;; [unrolled: 1-line block ×4, first 2 shown]
	ds_read2_b64 v[10:13], v6 offset0:108 offset1:109
	s_waitcnt lgkmcnt(0)
	v_mul_f64 v[14:15], v[12:13], v[3:4]
	v_fma_f64 v[14:15], v[10:11], v[1:2], -v[14:15]
	v_mul_f64 v[10:11], v[10:11], v[3:4]
	v_fma_f64 v[10:11], v[12:13], v[1:2], v[10:11]
	buffer_load_dword v12, off, s[0:3], 0 offset:864
	buffer_load_dword v13, off, s[0:3], 0 offset:868
	;; [unrolled: 1-line block ×4, first 2 shown]
	s_waitcnt vmcnt(2)
	v_add_f64 v[12:13], v[12:13], -v[14:15]
	s_waitcnt vmcnt(0)
	v_add_f64 v[10:11], v[81:82], -v[10:11]
	buffer_store_dword v13, off, s[0:3], 0 offset:868
	buffer_store_dword v12, off, s[0:3], 0 offset:864
	;; [unrolled: 1-line block ×4, first 2 shown]
	ds_read2_b64 v[10:13], v6 offset0:110 offset1:111
	s_waitcnt lgkmcnt(0)
	v_mul_f64 v[14:15], v[12:13], v[3:4]
	v_fma_f64 v[14:15], v[10:11], v[1:2], -v[14:15]
	v_mul_f64 v[10:11], v[10:11], v[3:4]
	v_fma_f64 v[10:11], v[12:13], v[1:2], v[10:11]
	buffer_load_dword v12, off, s[0:3], 0 offset:880
	buffer_load_dword v13, off, s[0:3], 0 offset:884
	;; [unrolled: 1-line block ×4, first 2 shown]
	s_waitcnt vmcnt(2)
	v_add_f64 v[12:13], v[12:13], -v[14:15]
	s_waitcnt vmcnt(0)
	v_add_f64 v[10:11], v[81:82], -v[10:11]
	buffer_store_dword v13, off, s[0:3], 0 offset:884
	buffer_store_dword v12, off, s[0:3], 0 offset:880
	buffer_store_dword v11, off, s[0:3], 0 offset:892
	buffer_store_dword v10, off, s[0:3], 0 offset:888
	ds_read2_b64 v[10:13], v6 offset0:112 offset1:113
	s_waitcnt lgkmcnt(0)
	v_mul_f64 v[14:15], v[12:13], v[3:4]
	v_mul_f64 v[3:4], v[10:11], v[3:4]
	v_fma_f64 v[14:15], v[10:11], v[1:2], -v[14:15]
	v_fma_f64 v[1:2], v[12:13], v[1:2], v[3:4]
	buffer_load_dword v3, off, s[0:3], 0 offset:896
	buffer_load_dword v4, off, s[0:3], 0 offset:900
	;; [unrolled: 1-line block ×4, first 2 shown]
	s_waitcnt vmcnt(2)
	v_add_f64 v[3:4], v[3:4], -v[14:15]
	s_waitcnt vmcnt(0)
	v_add_f64 v[1:2], v[10:11], -v[1:2]
	buffer_store_dword v4, off, s[0:3], 0 offset:900
	buffer_store_dword v3, off, s[0:3], 0 offset:896
	buffer_store_dword v2, off, s[0:3], 0 offset:908
	buffer_store_dword v1, off, s[0:3], 0 offset:904
	ds_read2_b64 v[10:13], v6 offset0:114 offset1:115
	buffer_load_dword v1, off, s[0:3], 0 offset:800
	buffer_load_dword v2, off, s[0:3], 0 offset:804
	;; [unrolled: 1-line block ×4, first 2 shown]
	s_waitcnt vmcnt(0) lgkmcnt(0)
	v_mul_f64 v[14:15], v[12:13], v[3:4]
	v_fma_f64 v[14:15], v[10:11], v[1:2], -v[14:15]
	v_mul_f64 v[10:11], v[10:11], v[3:4]
	v_fma_f64 v[10:11], v[12:13], v[1:2], v[10:11]
	buffer_load_dword v13, off, s[0:3], 0 offset:916
	buffer_load_dword v12, off, s[0:3], 0 offset:912
	s_waitcnt vmcnt(0)
	v_add_f64 v[12:13], v[12:13], -v[14:15]
	buffer_load_dword v15, off, s[0:3], 0 offset:924
	buffer_load_dword v14, off, s[0:3], 0 offset:920
	s_waitcnt vmcnt(0)
	v_add_f64 v[10:11], v[14:15], -v[10:11]
	buffer_store_dword v13, off, s[0:3], 0 offset:916
	buffer_store_dword v12, off, s[0:3], 0 offset:912
	buffer_store_dword v11, off, s[0:3], 0 offset:924
	buffer_store_dword v10, off, s[0:3], 0 offset:920
	ds_read2_b64 v[10:13], v6 offset0:116 offset1:117
	s_waitcnt lgkmcnt(0)
	v_mul_f64 v[14:15], v[12:13], v[3:4]
	v_fma_f64 v[14:15], v[10:11], v[1:2], -v[14:15]
	v_mul_f64 v[10:11], v[10:11], v[3:4]
	v_fma_f64 v[10:11], v[12:13], v[1:2], v[10:11]
	buffer_load_dword v12, off, s[0:3], 0 offset:928
	buffer_load_dword v13, off, s[0:3], 0 offset:932
	buffer_load_dword v81, off, s[0:3], 0 offset:936
	buffer_load_dword v82, off, s[0:3], 0 offset:940
	s_waitcnt vmcnt(2)
	v_add_f64 v[12:13], v[12:13], -v[14:15]
	s_waitcnt vmcnt(0)
	v_add_f64 v[10:11], v[81:82], -v[10:11]
	buffer_store_dword v13, off, s[0:3], 0 offset:932
	buffer_store_dword v12, off, s[0:3], 0 offset:928
	buffer_store_dword v11, off, s[0:3], 0 offset:940
	buffer_store_dword v10, off, s[0:3], 0 offset:936
	ds_read2_b64 v[10:13], v6 offset0:118 offset1:119
	s_waitcnt lgkmcnt(0)
	v_mul_f64 v[14:15], v[12:13], v[3:4]
	v_fma_f64 v[14:15], v[10:11], v[1:2], -v[14:15]
	v_mul_f64 v[10:11], v[10:11], v[3:4]
	v_fma_f64 v[10:11], v[12:13], v[1:2], v[10:11]
	buffer_load_dword v12, off, s[0:3], 0 offset:944
	buffer_load_dword v13, off, s[0:3], 0 offset:948
	buffer_load_dword v81, off, s[0:3], 0 offset:952
	buffer_load_dword v82, off, s[0:3], 0 offset:956
	s_waitcnt vmcnt(2)
	v_add_f64 v[12:13], v[12:13], -v[14:15]
	;; [unrolled: 18-line block ×4, first 2 shown]
	s_waitcnt vmcnt(0)
	v_add_f64 v[10:11], v[81:82], -v[10:11]
	buffer_store_dword v13, off, s[0:3], 0 offset:980
	buffer_store_dword v12, off, s[0:3], 0 offset:976
	;; [unrolled: 1-line block ×4, first 2 shown]
	ds_read2_b64 v[10:13], v6 offset0:124 offset1:125
	s_waitcnt lgkmcnt(0)
	v_mul_f64 v[14:15], v[12:13], v[3:4]
	v_mul_f64 v[3:4], v[10:11], v[3:4]
	v_fma_f64 v[81:82], v[10:11], v[1:2], -v[14:15]
	v_fma_f64 v[1:2], v[12:13], v[1:2], v[3:4]
	buffer_load_dword v83, off, s[0:3], 0 offset:992
	buffer_load_dword v84, off, s[0:3], 0 offset:996
	buffer_load_dword v3, off, s[0:3], 0 offset:1000
	buffer_load_dword v4, off, s[0:3], 0 offset:1004
	s_waitcnt vmcnt(2)
	v_add_f64 v[10:11], v[83:84], -v[81:82]
	s_waitcnt vmcnt(0)
	v_add_f64 v[1:2], v[3:4], -v[1:2]
	buffer_store_dword v11, off, s[0:3], 0 offset:996
	buffer_store_dword v10, off, s[0:3], 0 offset:992
	;; [unrolled: 1-line block ×4, first 2 shown]
.LBB125_575:
	s_or_b64 exec, exec, s[6:7]
	v_cmp_eq_u32_e32 vcc, 51, v0
	s_waitcnt vmcnt(0) lgkmcnt(0)
	s_barrier
	s_and_saveexec_b64 s[8:9], vcc
	s_cbranch_execz .LBB125_582
; %bb.576:
	v_mov_b32_e32 v4, s25
	buffer_load_dword v1, v4, s[0:3], 0 offen
	buffer_load_dword v2, v4, s[0:3], 0 offen offset:4
	buffer_load_dword v3, v4, s[0:3], 0 offen offset:8
	s_nop 0
	buffer_load_dword v4, v4, s[0:3], 0 offen offset:12
	s_waitcnt vmcnt(0)
	ds_write2_b64 v125, v[1:2], v[3:4] offset1:1
	v_mov_b32_e32 v4, s24
	buffer_load_dword v1, v4, s[0:3], 0 offen
	buffer_load_dword v2, v4, s[0:3], 0 offen offset:4
	buffer_load_dword v3, v4, s[0:3], 0 offen offset:8
	s_nop 0
	buffer_load_dword v4, v4, s[0:3], 0 offen offset:12
	s_waitcnt vmcnt(0)
	ds_write2_b64 v6, v[1:2], v[3:4] offset0:104 offset1:105
	v_mov_b32_e32 v4, s23
	buffer_load_dword v1, v4, s[0:3], 0 offen
	buffer_load_dword v2, v4, s[0:3], 0 offen offset:4
	buffer_load_dword v3, v4, s[0:3], 0 offen offset:8
	s_nop 0
	buffer_load_dword v4, v4, s[0:3], 0 offen offset:12
	s_waitcnt vmcnt(0)
	ds_write2_b64 v6, v[1:2], v[3:4] offset0:106 offset1:107
	;; [unrolled: 8-line block ×11, first 2 shown]
	ds_read2_b64 v[1:4], v125 offset1:1
	s_waitcnt lgkmcnt(0)
	v_cmp_neq_f64_e32 vcc, 0, v[1:2]
	v_cmp_neq_f64_e64 s[6:7], 0, v[3:4]
	s_or_b64 s[6:7], vcc, s[6:7]
	s_and_b64 exec, exec, s[6:7]
	s_cbranch_execz .LBB125_582
; %bb.577:
	v_cmp_ngt_f64_e64 s[6:7], |v[1:2]|, |v[3:4]|
                                        ; implicit-def: $vgpr10_vgpr11
	s_and_saveexec_b64 s[10:11], s[6:7]
	s_xor_b64 s[6:7], exec, s[10:11]
                                        ; implicit-def: $vgpr12_vgpr13
	s_cbranch_execz .LBB125_579
; %bb.578:
	v_div_scale_f64 v[10:11], s[10:11], v[3:4], v[3:4], v[1:2]
	v_rcp_f64_e32 v[12:13], v[10:11]
	v_fma_f64 v[14:15], -v[10:11], v[12:13], 1.0
	v_fma_f64 v[12:13], v[12:13], v[14:15], v[12:13]
	v_div_scale_f64 v[14:15], vcc, v[1:2], v[3:4], v[1:2]
	v_fma_f64 v[81:82], -v[10:11], v[12:13], 1.0
	v_fma_f64 v[12:13], v[12:13], v[81:82], v[12:13]
	v_mul_f64 v[81:82], v[14:15], v[12:13]
	v_fma_f64 v[10:11], -v[10:11], v[81:82], v[14:15]
	v_div_fmas_f64 v[10:11], v[10:11], v[12:13], v[81:82]
	v_div_fixup_f64 v[10:11], v[10:11], v[3:4], v[1:2]
	v_fma_f64 v[1:2], v[1:2], v[10:11], v[3:4]
	v_div_scale_f64 v[3:4], s[10:11], v[1:2], v[1:2], 1.0
	v_div_scale_f64 v[81:82], vcc, 1.0, v[1:2], 1.0
	v_rcp_f64_e32 v[12:13], v[3:4]
	v_fma_f64 v[14:15], -v[3:4], v[12:13], 1.0
	v_fma_f64 v[12:13], v[12:13], v[14:15], v[12:13]
	v_fma_f64 v[14:15], -v[3:4], v[12:13], 1.0
	v_fma_f64 v[12:13], v[12:13], v[14:15], v[12:13]
	v_mul_f64 v[14:15], v[81:82], v[12:13]
	v_fma_f64 v[3:4], -v[3:4], v[14:15], v[81:82]
	v_div_fmas_f64 v[3:4], v[3:4], v[12:13], v[14:15]
	v_div_fixup_f64 v[12:13], v[3:4], v[1:2], 1.0
                                        ; implicit-def: $vgpr1_vgpr2
	v_mul_f64 v[10:11], v[10:11], v[12:13]
	v_xor_b32_e32 v13, 0x80000000, v13
.LBB125_579:
	s_andn2_saveexec_b64 s[6:7], s[6:7]
	s_cbranch_execz .LBB125_581
; %bb.580:
	v_div_scale_f64 v[10:11], s[10:11], v[1:2], v[1:2], v[3:4]
	v_rcp_f64_e32 v[12:13], v[10:11]
	v_fma_f64 v[14:15], -v[10:11], v[12:13], 1.0
	v_fma_f64 v[12:13], v[12:13], v[14:15], v[12:13]
	v_div_scale_f64 v[14:15], vcc, v[3:4], v[1:2], v[3:4]
	v_fma_f64 v[81:82], -v[10:11], v[12:13], 1.0
	v_fma_f64 v[12:13], v[12:13], v[81:82], v[12:13]
	v_mul_f64 v[81:82], v[14:15], v[12:13]
	v_fma_f64 v[10:11], -v[10:11], v[81:82], v[14:15]
	v_div_fmas_f64 v[10:11], v[10:11], v[12:13], v[81:82]
	v_div_fixup_f64 v[12:13], v[10:11], v[1:2], v[3:4]
	v_fma_f64 v[1:2], v[3:4], v[12:13], v[1:2]
	v_div_scale_f64 v[3:4], s[10:11], v[1:2], v[1:2], 1.0
	v_div_scale_f64 v[81:82], vcc, 1.0, v[1:2], 1.0
	v_rcp_f64_e32 v[10:11], v[3:4]
	v_fma_f64 v[14:15], -v[3:4], v[10:11], 1.0
	v_fma_f64 v[10:11], v[10:11], v[14:15], v[10:11]
	v_fma_f64 v[14:15], -v[3:4], v[10:11], 1.0
	v_fma_f64 v[10:11], v[10:11], v[14:15], v[10:11]
	v_mul_f64 v[14:15], v[81:82], v[10:11]
	v_fma_f64 v[3:4], -v[3:4], v[14:15], v[81:82]
	v_div_fmas_f64 v[3:4], v[3:4], v[10:11], v[14:15]
	v_div_fixup_f64 v[10:11], v[3:4], v[1:2], 1.0
	v_mul_f64 v[12:13], v[12:13], -v[10:11]
.LBB125_581:
	s_or_b64 exec, exec, s[6:7]
	ds_write2_b64 v125, v[10:11], v[12:13] offset1:1
.LBB125_582:
	s_or_b64 exec, exec, s[8:9]
	s_waitcnt lgkmcnt(0)
	s_barrier
	ds_read2_b64 v[81:84], v125 offset1:1
	v_cmp_lt_u32_e32 vcc, 51, v0
	s_and_saveexec_b64 s[6:7], vcc
	s_cbranch_execz .LBB125_584
; %bb.583:
	buffer_load_dword v3, off, s[0:3], 0 offset:816
	buffer_load_dword v4, off, s[0:3], 0 offset:820
	;; [unrolled: 1-line block ×16, first 2 shown]
	s_waitcnt vmcnt(12) lgkmcnt(0)
	v_mul_f64 v[1:2], v[83:84], v[10:11]
	v_mul_f64 v[10:11], v[81:82], v[10:11]
	v_fma_f64 v[1:2], v[81:82], v[3:4], -v[1:2]
	v_fma_f64 v[3:4], v[83:84], v[3:4], v[10:11]
	buffer_store_dword v1, off, s[0:3], 0 offset:816
	buffer_store_dword v2, off, s[0:3], 0 offset:820
	buffer_store_dword v3, off, s[0:3], 0 offset:824
	buffer_store_dword v4, off, s[0:3], 0 offset:828
	ds_read2_b64 v[10:13], v6 offset0:104 offset1:105
	s_waitcnt lgkmcnt(0)
	v_mul_f64 v[95:96], v[12:13], v[3:4]
	v_fma_f64 v[95:96], v[10:11], v[1:2], -v[95:96]
	v_mul_f64 v[10:11], v[10:11], v[3:4]
	v_fma_f64 v[10:11], v[12:13], v[1:2], v[10:11]
	s_waitcnt vmcnt(14)
	v_add_f64 v[12:13], v[14:15], -v[95:96]
	s_waitcnt vmcnt(12)
	v_add_f64 v[10:11], v[85:86], -v[10:11]
	buffer_store_dword v12, off, s[0:3], 0 offset:832
	buffer_store_dword v13, off, s[0:3], 0 offset:836
	buffer_store_dword v10, off, s[0:3], 0 offset:840
	buffer_store_dword v11, off, s[0:3], 0 offset:844
	ds_read2_b64 v[10:13], v6 offset0:106 offset1:107
	s_waitcnt lgkmcnt(0)
	v_mul_f64 v[14:15], v[12:13], v[3:4]
	v_fma_f64 v[14:15], v[10:11], v[1:2], -v[14:15]
	v_mul_f64 v[10:11], v[10:11], v[3:4]
	v_fma_f64 v[10:11], v[12:13], v[1:2], v[10:11]
	s_waitcnt vmcnt(14)
	v_add_f64 v[12:13], v[87:88], -v[14:15]
	s_waitcnt vmcnt(12)
	v_add_f64 v[10:11], v[89:90], -v[10:11]
	;; [unrolled: 14-line block ×3, first 2 shown]
	buffer_store_dword v13, off, s[0:3], 0 offset:868
	buffer_store_dword v12, off, s[0:3], 0 offset:864
	;; [unrolled: 1-line block ×4, first 2 shown]
	ds_read2_b64 v[10:13], v6 offset0:110 offset1:111
	s_waitcnt lgkmcnt(0)
	v_mul_f64 v[14:15], v[12:13], v[3:4]
	v_fma_f64 v[14:15], v[10:11], v[1:2], -v[14:15]
	v_mul_f64 v[10:11], v[10:11], v[3:4]
	v_fma_f64 v[10:11], v[12:13], v[1:2], v[10:11]
	buffer_load_dword v12, off, s[0:3], 0 offset:880
	buffer_load_dword v13, off, s[0:3], 0 offset:884
	buffer_load_dword v85, off, s[0:3], 0 offset:888
	buffer_load_dword v86, off, s[0:3], 0 offset:892
	s_waitcnt vmcnt(2)
	v_add_f64 v[12:13], v[12:13], -v[14:15]
	s_waitcnt vmcnt(0)
	v_add_f64 v[10:11], v[85:86], -v[10:11]
	buffer_store_dword v13, off, s[0:3], 0 offset:884
	buffer_store_dword v12, off, s[0:3], 0 offset:880
	;; [unrolled: 1-line block ×4, first 2 shown]
	ds_read2_b64 v[10:13], v6 offset0:112 offset1:113
	s_waitcnt lgkmcnt(0)
	v_mul_f64 v[14:15], v[12:13], v[3:4]
	v_fma_f64 v[14:15], v[10:11], v[1:2], -v[14:15]
	v_mul_f64 v[10:11], v[10:11], v[3:4]
	v_fma_f64 v[10:11], v[12:13], v[1:2], v[10:11]
	buffer_load_dword v12, off, s[0:3], 0 offset:896
	buffer_load_dword v13, off, s[0:3], 0 offset:900
	;; [unrolled: 1-line block ×4, first 2 shown]
	s_waitcnt vmcnt(2)
	v_add_f64 v[12:13], v[12:13], -v[14:15]
	s_waitcnt vmcnt(0)
	v_add_f64 v[10:11], v[85:86], -v[10:11]
	buffer_store_dword v13, off, s[0:3], 0 offset:900
	buffer_store_dword v12, off, s[0:3], 0 offset:896
	;; [unrolled: 1-line block ×4, first 2 shown]
	ds_read2_b64 v[10:13], v6 offset0:114 offset1:115
	s_waitcnt lgkmcnt(0)
	v_mul_f64 v[14:15], v[12:13], v[3:4]
	v_mul_f64 v[3:4], v[10:11], v[3:4]
	v_fma_f64 v[14:15], v[10:11], v[1:2], -v[14:15]
	v_fma_f64 v[1:2], v[12:13], v[1:2], v[3:4]
	buffer_load_dword v3, off, s[0:3], 0 offset:912
	buffer_load_dword v4, off, s[0:3], 0 offset:916
	;; [unrolled: 1-line block ×4, first 2 shown]
	s_waitcnt vmcnt(2)
	v_add_f64 v[3:4], v[3:4], -v[14:15]
	s_waitcnt vmcnt(0)
	v_add_f64 v[1:2], v[10:11], -v[1:2]
	buffer_store_dword v4, off, s[0:3], 0 offset:916
	buffer_store_dword v3, off, s[0:3], 0 offset:912
	buffer_store_dword v2, off, s[0:3], 0 offset:924
	buffer_store_dword v1, off, s[0:3], 0 offset:920
	ds_read2_b64 v[10:13], v6 offset0:116 offset1:117
	buffer_load_dword v1, off, s[0:3], 0 offset:816
	buffer_load_dword v2, off, s[0:3], 0 offset:820
	;; [unrolled: 1-line block ×4, first 2 shown]
	s_waitcnt vmcnt(0) lgkmcnt(0)
	v_mul_f64 v[3:4], v[12:13], v[85:86]
	v_fma_f64 v[3:4], v[10:11], v[1:2], -v[3:4]
	v_mul_f64 v[10:11], v[10:11], v[85:86]
	v_fma_f64 v[10:11], v[12:13], v[1:2], v[10:11]
	buffer_load_dword v13, off, s[0:3], 0 offset:932
	buffer_load_dword v12, off, s[0:3], 0 offset:928
	s_waitcnt vmcnt(0)
	v_add_f64 v[3:4], v[12:13], -v[3:4]
	buffer_load_dword v13, off, s[0:3], 0 offset:940
	buffer_load_dword v12, off, s[0:3], 0 offset:936
	s_waitcnt vmcnt(0)
	v_add_f64 v[10:11], v[12:13], -v[10:11]
	buffer_store_dword v4, off, s[0:3], 0 offset:932
	buffer_store_dword v3, off, s[0:3], 0 offset:928
	buffer_store_dword v11, off, s[0:3], 0 offset:940
	buffer_store_dword v10, off, s[0:3], 0 offset:936
	ds_read2_b64 v[10:13], v6 offset0:118 offset1:119
	s_waitcnt lgkmcnt(0)
	v_mul_f64 v[3:4], v[12:13], v[85:86]
	v_fma_f64 v[3:4], v[10:11], v[1:2], -v[3:4]
	v_mul_f64 v[10:11], v[10:11], v[85:86]
	v_fma_f64 v[10:11], v[12:13], v[1:2], v[10:11]
	buffer_load_dword v12, off, s[0:3], 0 offset:944
	buffer_load_dword v13, off, s[0:3], 0 offset:948
	buffer_load_dword v14, off, s[0:3], 0 offset:952
	buffer_load_dword v15, off, s[0:3], 0 offset:956
	s_waitcnt vmcnt(2)
	v_add_f64 v[3:4], v[12:13], -v[3:4]
	s_waitcnt vmcnt(0)
	v_add_f64 v[10:11], v[14:15], -v[10:11]
	buffer_store_dword v4, off, s[0:3], 0 offset:948
	buffer_store_dword v3, off, s[0:3], 0 offset:944
	buffer_store_dword v11, off, s[0:3], 0 offset:956
	buffer_store_dword v10, off, s[0:3], 0 offset:952
	ds_read2_b64 v[10:13], v6 offset0:120 offset1:121
	s_waitcnt lgkmcnt(0)
	v_mul_f64 v[3:4], v[12:13], v[85:86]
	v_fma_f64 v[3:4], v[10:11], v[1:2], -v[3:4]
	v_mul_f64 v[10:11], v[10:11], v[85:86]
	v_fma_f64 v[10:11], v[12:13], v[1:2], v[10:11]
	buffer_load_dword v12, off, s[0:3], 0 offset:960
	buffer_load_dword v13, off, s[0:3], 0 offset:964
	buffer_load_dword v14, off, s[0:3], 0 offset:968
	buffer_load_dword v15, off, s[0:3], 0 offset:972
	s_waitcnt vmcnt(2)
	v_add_f64 v[3:4], v[12:13], -v[3:4]
	;; [unrolled: 18-line block ×3, first 2 shown]
	s_waitcnt vmcnt(0)
	v_add_f64 v[10:11], v[14:15], -v[10:11]
	buffer_store_dword v4, off, s[0:3], 0 offset:980
	buffer_store_dword v3, off, s[0:3], 0 offset:976
	;; [unrolled: 1-line block ×4, first 2 shown]
	ds_read2_b64 v[10:13], v6 offset0:124 offset1:125
	s_waitcnt lgkmcnt(0)
	v_mul_f64 v[3:4], v[12:13], v[85:86]
	v_fma_f64 v[3:4], v[10:11], v[1:2], -v[3:4]
	v_mul_f64 v[10:11], v[10:11], v[85:86]
	buffer_load_dword v87, off, s[0:3], 0 offset:992
	buffer_load_dword v88, off, s[0:3], 0 offset:996
	;; [unrolled: 1-line block ×4, first 2 shown]
	v_fma_f64 v[1:2], v[12:13], v[1:2], v[10:11]
	s_waitcnt vmcnt(2)
	v_add_f64 v[3:4], v[87:88], -v[3:4]
	s_waitcnt vmcnt(0)
	v_add_f64 v[1:2], v[85:86], -v[1:2]
	buffer_store_dword v4, off, s[0:3], 0 offset:996
	buffer_store_dword v3, off, s[0:3], 0 offset:992
	;; [unrolled: 1-line block ×4, first 2 shown]
.LBB125_584:
	s_or_b64 exec, exec, s[6:7]
	v_cmp_eq_u32_e32 vcc, 52, v0
	s_waitcnt vmcnt(0) lgkmcnt(0)
	s_barrier
	s_and_saveexec_b64 s[8:9], vcc
	s_cbranch_execz .LBB125_591
; %bb.585:
	v_mov_b32_e32 v4, s24
	buffer_load_dword v1, v4, s[0:3], 0 offen
	buffer_load_dword v2, v4, s[0:3], 0 offen offset:4
	buffer_load_dword v3, v4, s[0:3], 0 offen offset:8
	s_nop 0
	buffer_load_dword v4, v4, s[0:3], 0 offen offset:12
	s_waitcnt vmcnt(0)
	ds_write2_b64 v125, v[1:2], v[3:4] offset1:1
	v_mov_b32_e32 v4, s23
	buffer_load_dword v1, v4, s[0:3], 0 offen
	buffer_load_dword v2, v4, s[0:3], 0 offen offset:4
	buffer_load_dword v3, v4, s[0:3], 0 offen offset:8
	s_nop 0
	buffer_load_dword v4, v4, s[0:3], 0 offen offset:12
	s_waitcnt vmcnt(0)
	ds_write2_b64 v6, v[1:2], v[3:4] offset0:106 offset1:107
	v_mov_b32_e32 v4, s22
	buffer_load_dword v1, v4, s[0:3], 0 offen
	buffer_load_dword v2, v4, s[0:3], 0 offen offset:4
	buffer_load_dword v3, v4, s[0:3], 0 offen offset:8
	s_nop 0
	buffer_load_dword v4, v4, s[0:3], 0 offen offset:12
	s_waitcnt vmcnt(0)
	ds_write2_b64 v6, v[1:2], v[3:4] offset0:108 offset1:109
	;; [unrolled: 8-line block ×10, first 2 shown]
	ds_read2_b64 v[1:4], v125 offset1:1
	s_waitcnt lgkmcnt(0)
	v_cmp_neq_f64_e32 vcc, 0, v[1:2]
	v_cmp_neq_f64_e64 s[6:7], 0, v[3:4]
	s_or_b64 s[6:7], vcc, s[6:7]
	s_and_b64 exec, exec, s[6:7]
	s_cbranch_execz .LBB125_591
; %bb.586:
	v_cmp_ngt_f64_e64 s[6:7], |v[1:2]|, |v[3:4]|
                                        ; implicit-def: $vgpr10_vgpr11
	s_and_saveexec_b64 s[10:11], s[6:7]
	s_xor_b64 s[6:7], exec, s[10:11]
                                        ; implicit-def: $vgpr12_vgpr13
	s_cbranch_execz .LBB125_588
; %bb.587:
	v_div_scale_f64 v[10:11], s[10:11], v[3:4], v[3:4], v[1:2]
	v_rcp_f64_e32 v[12:13], v[10:11]
	v_fma_f64 v[14:15], -v[10:11], v[12:13], 1.0
	v_fma_f64 v[12:13], v[12:13], v[14:15], v[12:13]
	v_div_scale_f64 v[14:15], vcc, v[1:2], v[3:4], v[1:2]
	v_fma_f64 v[85:86], -v[10:11], v[12:13], 1.0
	v_fma_f64 v[12:13], v[12:13], v[85:86], v[12:13]
	v_mul_f64 v[85:86], v[14:15], v[12:13]
	v_fma_f64 v[10:11], -v[10:11], v[85:86], v[14:15]
	v_div_fmas_f64 v[10:11], v[10:11], v[12:13], v[85:86]
	v_div_fixup_f64 v[10:11], v[10:11], v[3:4], v[1:2]
	v_fma_f64 v[1:2], v[1:2], v[10:11], v[3:4]
	v_div_scale_f64 v[3:4], s[10:11], v[1:2], v[1:2], 1.0
	v_div_scale_f64 v[85:86], vcc, 1.0, v[1:2], 1.0
	v_rcp_f64_e32 v[12:13], v[3:4]
	v_fma_f64 v[14:15], -v[3:4], v[12:13], 1.0
	v_fma_f64 v[12:13], v[12:13], v[14:15], v[12:13]
	v_fma_f64 v[14:15], -v[3:4], v[12:13], 1.0
	v_fma_f64 v[12:13], v[12:13], v[14:15], v[12:13]
	v_mul_f64 v[14:15], v[85:86], v[12:13]
	v_fma_f64 v[3:4], -v[3:4], v[14:15], v[85:86]
	v_div_fmas_f64 v[3:4], v[3:4], v[12:13], v[14:15]
	v_div_fixup_f64 v[12:13], v[3:4], v[1:2], 1.0
                                        ; implicit-def: $vgpr1_vgpr2
	v_mul_f64 v[10:11], v[10:11], v[12:13]
	v_xor_b32_e32 v13, 0x80000000, v13
.LBB125_588:
	s_andn2_saveexec_b64 s[6:7], s[6:7]
	s_cbranch_execz .LBB125_590
; %bb.589:
	v_div_scale_f64 v[10:11], s[10:11], v[1:2], v[1:2], v[3:4]
	v_rcp_f64_e32 v[12:13], v[10:11]
	v_fma_f64 v[14:15], -v[10:11], v[12:13], 1.0
	v_fma_f64 v[12:13], v[12:13], v[14:15], v[12:13]
	v_div_scale_f64 v[14:15], vcc, v[3:4], v[1:2], v[3:4]
	v_fma_f64 v[85:86], -v[10:11], v[12:13], 1.0
	v_fma_f64 v[12:13], v[12:13], v[85:86], v[12:13]
	v_mul_f64 v[85:86], v[14:15], v[12:13]
	v_fma_f64 v[10:11], -v[10:11], v[85:86], v[14:15]
	v_div_fmas_f64 v[10:11], v[10:11], v[12:13], v[85:86]
	v_div_fixup_f64 v[12:13], v[10:11], v[1:2], v[3:4]
	v_fma_f64 v[1:2], v[3:4], v[12:13], v[1:2]
	v_div_scale_f64 v[3:4], s[10:11], v[1:2], v[1:2], 1.0
	v_div_scale_f64 v[85:86], vcc, 1.0, v[1:2], 1.0
	v_rcp_f64_e32 v[10:11], v[3:4]
	v_fma_f64 v[14:15], -v[3:4], v[10:11], 1.0
	v_fma_f64 v[10:11], v[10:11], v[14:15], v[10:11]
	v_fma_f64 v[14:15], -v[3:4], v[10:11], 1.0
	v_fma_f64 v[10:11], v[10:11], v[14:15], v[10:11]
	v_mul_f64 v[14:15], v[85:86], v[10:11]
	v_fma_f64 v[3:4], -v[3:4], v[14:15], v[85:86]
	v_div_fmas_f64 v[3:4], v[3:4], v[10:11], v[14:15]
	v_div_fixup_f64 v[10:11], v[3:4], v[1:2], 1.0
	v_mul_f64 v[12:13], v[12:13], -v[10:11]
.LBB125_590:
	s_or_b64 exec, exec, s[6:7]
	ds_write2_b64 v125, v[10:11], v[12:13] offset1:1
.LBB125_591:
	s_or_b64 exec, exec, s[8:9]
	s_waitcnt lgkmcnt(0)
	s_barrier
	ds_read2_b64 v[85:88], v125 offset1:1
	v_cmp_lt_u32_e32 vcc, 52, v0
	s_and_saveexec_b64 s[6:7], vcc
	s_cbranch_execz .LBB125_593
; %bb.592:
	buffer_load_dword v3, off, s[0:3], 0 offset:832
	buffer_load_dword v4, off, s[0:3], 0 offset:836
	;; [unrolled: 1-line block ×16, first 2 shown]
	s_waitcnt vmcnt(12) lgkmcnt(0)
	v_mul_f64 v[1:2], v[87:88], v[10:11]
	v_mul_f64 v[10:11], v[85:86], v[10:11]
	v_fma_f64 v[1:2], v[85:86], v[3:4], -v[1:2]
	v_fma_f64 v[3:4], v[87:88], v[3:4], v[10:11]
	buffer_store_dword v1, off, s[0:3], 0 offset:832
	buffer_store_dword v2, off, s[0:3], 0 offset:836
	buffer_store_dword v3, off, s[0:3], 0 offset:840
	buffer_store_dword v4, off, s[0:3], 0 offset:844
	ds_read2_b64 v[10:13], v6 offset0:106 offset1:107
	s_waitcnt lgkmcnt(0)
	v_mul_f64 v[99:100], v[12:13], v[3:4]
	v_fma_f64 v[99:100], v[10:11], v[1:2], -v[99:100]
	v_mul_f64 v[10:11], v[10:11], v[3:4]
	v_fma_f64 v[10:11], v[12:13], v[1:2], v[10:11]
	s_waitcnt vmcnt(14)
	v_add_f64 v[12:13], v[14:15], -v[99:100]
	s_waitcnt vmcnt(12)
	v_add_f64 v[10:11], v[89:90], -v[10:11]
	buffer_store_dword v12, off, s[0:3], 0 offset:848
	buffer_store_dword v13, off, s[0:3], 0 offset:852
	buffer_store_dword v10, off, s[0:3], 0 offset:856
	buffer_store_dword v11, off, s[0:3], 0 offset:860
	ds_read2_b64 v[10:13], v6 offset0:108 offset1:109
	s_waitcnt lgkmcnt(0)
	v_mul_f64 v[14:15], v[12:13], v[3:4]
	v_fma_f64 v[14:15], v[10:11], v[1:2], -v[14:15]
	v_mul_f64 v[10:11], v[10:11], v[3:4]
	v_fma_f64 v[10:11], v[12:13], v[1:2], v[10:11]
	s_waitcnt vmcnt(14)
	v_add_f64 v[12:13], v[91:92], -v[14:15]
	s_waitcnt vmcnt(12)
	v_add_f64 v[10:11], v[93:94], -v[10:11]
	;; [unrolled: 14-line block ×3, first 2 shown]
	buffer_store_dword v13, off, s[0:3], 0 offset:884
	buffer_store_dword v12, off, s[0:3], 0 offset:880
	;; [unrolled: 1-line block ×4, first 2 shown]
	ds_read2_b64 v[10:13], v6 offset0:112 offset1:113
	s_waitcnt lgkmcnt(0)
	v_mul_f64 v[14:15], v[12:13], v[3:4]
	v_fma_f64 v[14:15], v[10:11], v[1:2], -v[14:15]
	v_mul_f64 v[10:11], v[10:11], v[3:4]
	v_fma_f64 v[10:11], v[12:13], v[1:2], v[10:11]
	buffer_load_dword v12, off, s[0:3], 0 offset:896
	buffer_load_dword v13, off, s[0:3], 0 offset:900
	;; [unrolled: 1-line block ×4, first 2 shown]
	s_waitcnt vmcnt(2)
	v_add_f64 v[12:13], v[12:13], -v[14:15]
	s_waitcnt vmcnt(0)
	v_add_f64 v[10:11], v[89:90], -v[10:11]
	buffer_store_dword v13, off, s[0:3], 0 offset:900
	buffer_store_dword v12, off, s[0:3], 0 offset:896
	;; [unrolled: 1-line block ×4, first 2 shown]
	ds_read2_b64 v[10:13], v6 offset0:114 offset1:115
	s_waitcnt lgkmcnt(0)
	v_mul_f64 v[14:15], v[12:13], v[3:4]
	v_fma_f64 v[14:15], v[10:11], v[1:2], -v[14:15]
	v_mul_f64 v[10:11], v[10:11], v[3:4]
	v_fma_f64 v[10:11], v[12:13], v[1:2], v[10:11]
	buffer_load_dword v12, off, s[0:3], 0 offset:912
	buffer_load_dword v13, off, s[0:3], 0 offset:916
	;; [unrolled: 1-line block ×4, first 2 shown]
	s_waitcnt vmcnt(2)
	v_add_f64 v[12:13], v[12:13], -v[14:15]
	s_waitcnt vmcnt(0)
	v_add_f64 v[10:11], v[89:90], -v[10:11]
	buffer_store_dword v13, off, s[0:3], 0 offset:916
	buffer_store_dword v12, off, s[0:3], 0 offset:912
	;; [unrolled: 1-line block ×4, first 2 shown]
	ds_read2_b64 v[10:13], v6 offset0:116 offset1:117
	s_waitcnt lgkmcnt(0)
	v_mul_f64 v[14:15], v[12:13], v[3:4]
	v_mul_f64 v[3:4], v[10:11], v[3:4]
	v_fma_f64 v[14:15], v[10:11], v[1:2], -v[14:15]
	v_fma_f64 v[1:2], v[12:13], v[1:2], v[3:4]
	buffer_load_dword v3, off, s[0:3], 0 offset:928
	buffer_load_dword v4, off, s[0:3], 0 offset:932
	;; [unrolled: 1-line block ×4, first 2 shown]
	s_waitcnt vmcnt(2)
	v_add_f64 v[3:4], v[3:4], -v[14:15]
	s_waitcnt vmcnt(0)
	v_add_f64 v[1:2], v[10:11], -v[1:2]
	buffer_store_dword v4, off, s[0:3], 0 offset:932
	buffer_store_dword v3, off, s[0:3], 0 offset:928
	;; [unrolled: 1-line block ×4, first 2 shown]
	ds_read2_b64 v[1:4], v6 offset0:118 offset1:119
	buffer_load_dword v14, off, s[0:3], 0 offset:832
	buffer_load_dword v15, off, s[0:3], 0 offset:836
	;; [unrolled: 1-line block ×4, first 2 shown]
	s_waitcnt vmcnt(0) lgkmcnt(0)
	v_mul_f64 v[10:11], v[3:4], v[89:90]
	v_fma_f64 v[10:11], v[1:2], v[14:15], -v[10:11]
	v_mul_f64 v[1:2], v[1:2], v[89:90]
	v_fma_f64 v[1:2], v[3:4], v[14:15], v[1:2]
	buffer_load_dword v4, off, s[0:3], 0 offset:948
	buffer_load_dword v3, off, s[0:3], 0 offset:944
	s_waitcnt vmcnt(0)
	v_add_f64 v[3:4], v[3:4], -v[10:11]
	buffer_load_dword v11, off, s[0:3], 0 offset:956
	buffer_load_dword v10, off, s[0:3], 0 offset:952
	s_waitcnt vmcnt(0)
	v_add_f64 v[1:2], v[10:11], -v[1:2]
	buffer_store_dword v4, off, s[0:3], 0 offset:948
	buffer_store_dword v3, off, s[0:3], 0 offset:944
	;; [unrolled: 1-line block ×4, first 2 shown]
	ds_read2_b64 v[1:4], v6 offset0:120 offset1:121
	s_waitcnt lgkmcnt(0)
	v_mul_f64 v[10:11], v[3:4], v[89:90]
	v_fma_f64 v[10:11], v[1:2], v[14:15], -v[10:11]
	v_mul_f64 v[1:2], v[1:2], v[89:90]
	v_fma_f64 v[1:2], v[3:4], v[14:15], v[1:2]
	buffer_load_dword v3, off, s[0:3], 0 offset:960
	buffer_load_dword v4, off, s[0:3], 0 offset:964
	buffer_load_dword v12, off, s[0:3], 0 offset:968
	buffer_load_dword v13, off, s[0:3], 0 offset:972
	s_waitcnt vmcnt(2)
	v_add_f64 v[3:4], v[3:4], -v[10:11]
	s_waitcnt vmcnt(0)
	v_add_f64 v[1:2], v[12:13], -v[1:2]
	buffer_store_dword v4, off, s[0:3], 0 offset:964
	buffer_store_dword v3, off, s[0:3], 0 offset:960
	;; [unrolled: 1-line block ×4, first 2 shown]
	ds_read2_b64 v[1:4], v6 offset0:122 offset1:123
	s_waitcnt lgkmcnt(0)
	v_mul_f64 v[10:11], v[3:4], v[89:90]
	v_fma_f64 v[10:11], v[1:2], v[14:15], -v[10:11]
	v_mul_f64 v[1:2], v[1:2], v[89:90]
	v_fma_f64 v[1:2], v[3:4], v[14:15], v[1:2]
	buffer_load_dword v3, off, s[0:3], 0 offset:976
	buffer_load_dword v4, off, s[0:3], 0 offset:980
	;; [unrolled: 1-line block ×4, first 2 shown]
	s_waitcnt vmcnt(2)
	v_add_f64 v[3:4], v[3:4], -v[10:11]
	s_waitcnt vmcnt(0)
	v_add_f64 v[1:2], v[12:13], -v[1:2]
	buffer_store_dword v4, off, s[0:3], 0 offset:980
	buffer_store_dword v3, off, s[0:3], 0 offset:976
	;; [unrolled: 1-line block ×4, first 2 shown]
	ds_read2_b64 v[10:13], v6 offset0:124 offset1:125
	s_waitcnt lgkmcnt(0)
	v_mul_f64 v[1:2], v[12:13], v[89:90]
	v_fma_f64 v[3:4], v[10:11], v[14:15], -v[1:2]
	v_mul_f64 v[1:2], v[10:11], v[89:90]
	buffer_load_dword v91, off, s[0:3], 0 offset:992
	buffer_load_dword v92, off, s[0:3], 0 offset:996
	;; [unrolled: 1-line block ×4, first 2 shown]
	v_fma_f64 v[1:2], v[12:13], v[14:15], v[1:2]
	s_waitcnt vmcnt(2)
	v_add_f64 v[3:4], v[91:92], -v[3:4]
	s_waitcnt vmcnt(0)
	v_add_f64 v[1:2], v[89:90], -v[1:2]
	buffer_store_dword v4, off, s[0:3], 0 offset:996
	buffer_store_dword v3, off, s[0:3], 0 offset:992
	;; [unrolled: 1-line block ×4, first 2 shown]
.LBB125_593:
	s_or_b64 exec, exec, s[6:7]
	v_cmp_eq_u32_e32 vcc, 53, v0
	s_waitcnt vmcnt(0) lgkmcnt(0)
	s_barrier
	s_and_saveexec_b64 s[8:9], vcc
	s_cbranch_execz .LBB125_600
; %bb.594:
	v_mov_b32_e32 v4, s23
	buffer_load_dword v1, v4, s[0:3], 0 offen
	buffer_load_dword v2, v4, s[0:3], 0 offen offset:4
	buffer_load_dword v3, v4, s[0:3], 0 offen offset:8
	s_nop 0
	buffer_load_dword v4, v4, s[0:3], 0 offen offset:12
	s_waitcnt vmcnt(0)
	ds_write2_b64 v125, v[1:2], v[3:4] offset1:1
	v_mov_b32_e32 v4, s22
	buffer_load_dword v1, v4, s[0:3], 0 offen
	buffer_load_dword v2, v4, s[0:3], 0 offen offset:4
	buffer_load_dword v3, v4, s[0:3], 0 offen offset:8
	s_nop 0
	buffer_load_dword v4, v4, s[0:3], 0 offen offset:12
	s_waitcnt vmcnt(0)
	ds_write2_b64 v6, v[1:2], v[3:4] offset0:108 offset1:109
	v_mov_b32_e32 v4, s21
	buffer_load_dword v1, v4, s[0:3], 0 offen
	buffer_load_dword v2, v4, s[0:3], 0 offen offset:4
	buffer_load_dword v3, v4, s[0:3], 0 offen offset:8
	s_nop 0
	buffer_load_dword v4, v4, s[0:3], 0 offen offset:12
	s_waitcnt vmcnt(0)
	ds_write2_b64 v6, v[1:2], v[3:4] offset0:110 offset1:111
	;; [unrolled: 8-line block ×9, first 2 shown]
	ds_read2_b64 v[1:4], v125 offset1:1
	s_waitcnt lgkmcnt(0)
	v_cmp_neq_f64_e32 vcc, 0, v[1:2]
	v_cmp_neq_f64_e64 s[6:7], 0, v[3:4]
	s_or_b64 s[6:7], vcc, s[6:7]
	s_and_b64 exec, exec, s[6:7]
	s_cbranch_execz .LBB125_600
; %bb.595:
	v_cmp_ngt_f64_e64 s[6:7], |v[1:2]|, |v[3:4]|
                                        ; implicit-def: $vgpr10_vgpr11
	s_and_saveexec_b64 s[10:11], s[6:7]
	s_xor_b64 s[6:7], exec, s[10:11]
                                        ; implicit-def: $vgpr12_vgpr13
	s_cbranch_execz .LBB125_597
; %bb.596:
	v_div_scale_f64 v[10:11], s[10:11], v[3:4], v[3:4], v[1:2]
	v_rcp_f64_e32 v[12:13], v[10:11]
	v_fma_f64 v[14:15], -v[10:11], v[12:13], 1.0
	v_fma_f64 v[12:13], v[12:13], v[14:15], v[12:13]
	v_div_scale_f64 v[14:15], vcc, v[1:2], v[3:4], v[1:2]
	v_fma_f64 v[89:90], -v[10:11], v[12:13], 1.0
	v_fma_f64 v[12:13], v[12:13], v[89:90], v[12:13]
	v_mul_f64 v[89:90], v[14:15], v[12:13]
	v_fma_f64 v[10:11], -v[10:11], v[89:90], v[14:15]
	v_div_fmas_f64 v[10:11], v[10:11], v[12:13], v[89:90]
	v_div_fixup_f64 v[10:11], v[10:11], v[3:4], v[1:2]
	v_fma_f64 v[1:2], v[1:2], v[10:11], v[3:4]
	v_div_scale_f64 v[3:4], s[10:11], v[1:2], v[1:2], 1.0
	v_div_scale_f64 v[89:90], vcc, 1.0, v[1:2], 1.0
	v_rcp_f64_e32 v[12:13], v[3:4]
	v_fma_f64 v[14:15], -v[3:4], v[12:13], 1.0
	v_fma_f64 v[12:13], v[12:13], v[14:15], v[12:13]
	v_fma_f64 v[14:15], -v[3:4], v[12:13], 1.0
	v_fma_f64 v[12:13], v[12:13], v[14:15], v[12:13]
	v_mul_f64 v[14:15], v[89:90], v[12:13]
	v_fma_f64 v[3:4], -v[3:4], v[14:15], v[89:90]
	v_div_fmas_f64 v[3:4], v[3:4], v[12:13], v[14:15]
	v_div_fixup_f64 v[12:13], v[3:4], v[1:2], 1.0
                                        ; implicit-def: $vgpr1_vgpr2
	v_mul_f64 v[10:11], v[10:11], v[12:13]
	v_xor_b32_e32 v13, 0x80000000, v13
.LBB125_597:
	s_andn2_saveexec_b64 s[6:7], s[6:7]
	s_cbranch_execz .LBB125_599
; %bb.598:
	v_div_scale_f64 v[10:11], s[10:11], v[1:2], v[1:2], v[3:4]
	v_rcp_f64_e32 v[12:13], v[10:11]
	v_fma_f64 v[14:15], -v[10:11], v[12:13], 1.0
	v_fma_f64 v[12:13], v[12:13], v[14:15], v[12:13]
	v_div_scale_f64 v[14:15], vcc, v[3:4], v[1:2], v[3:4]
	v_fma_f64 v[89:90], -v[10:11], v[12:13], 1.0
	v_fma_f64 v[12:13], v[12:13], v[89:90], v[12:13]
	v_mul_f64 v[89:90], v[14:15], v[12:13]
	v_fma_f64 v[10:11], -v[10:11], v[89:90], v[14:15]
	v_div_fmas_f64 v[10:11], v[10:11], v[12:13], v[89:90]
	v_div_fixup_f64 v[12:13], v[10:11], v[1:2], v[3:4]
	v_fma_f64 v[1:2], v[3:4], v[12:13], v[1:2]
	v_div_scale_f64 v[3:4], s[10:11], v[1:2], v[1:2], 1.0
	v_div_scale_f64 v[89:90], vcc, 1.0, v[1:2], 1.0
	v_rcp_f64_e32 v[10:11], v[3:4]
	v_fma_f64 v[14:15], -v[3:4], v[10:11], 1.0
	v_fma_f64 v[10:11], v[10:11], v[14:15], v[10:11]
	v_fma_f64 v[14:15], -v[3:4], v[10:11], 1.0
	v_fma_f64 v[10:11], v[10:11], v[14:15], v[10:11]
	v_mul_f64 v[14:15], v[89:90], v[10:11]
	v_fma_f64 v[3:4], -v[3:4], v[14:15], v[89:90]
	v_div_fmas_f64 v[3:4], v[3:4], v[10:11], v[14:15]
	v_div_fixup_f64 v[10:11], v[3:4], v[1:2], 1.0
	v_mul_f64 v[12:13], v[12:13], -v[10:11]
.LBB125_599:
	s_or_b64 exec, exec, s[6:7]
	ds_write2_b64 v125, v[10:11], v[12:13] offset1:1
.LBB125_600:
	s_or_b64 exec, exec, s[8:9]
	s_waitcnt lgkmcnt(0)
	s_barrier
	ds_read2_b64 v[89:92], v125 offset1:1
	v_cmp_lt_u32_e32 vcc, 53, v0
	s_and_saveexec_b64 s[6:7], vcc
	s_cbranch_execz .LBB125_602
; %bb.601:
	buffer_load_dword v3, off, s[0:3], 0 offset:848
	buffer_load_dword v4, off, s[0:3], 0 offset:852
	;; [unrolled: 1-line block ×16, first 2 shown]
	s_waitcnt vmcnt(12) lgkmcnt(0)
	v_mul_f64 v[1:2], v[91:92], v[10:11]
	v_mul_f64 v[10:11], v[89:90], v[10:11]
	v_fma_f64 v[1:2], v[89:90], v[3:4], -v[1:2]
	v_fma_f64 v[3:4], v[91:92], v[3:4], v[10:11]
	buffer_store_dword v1, off, s[0:3], 0 offset:848
	buffer_store_dword v2, off, s[0:3], 0 offset:852
	buffer_store_dword v3, off, s[0:3], 0 offset:856
	buffer_store_dword v4, off, s[0:3], 0 offset:860
	ds_read2_b64 v[10:13], v6 offset0:108 offset1:109
	s_waitcnt lgkmcnt(0)
	v_mul_f64 v[103:104], v[12:13], v[3:4]
	v_fma_f64 v[103:104], v[10:11], v[1:2], -v[103:104]
	v_mul_f64 v[10:11], v[10:11], v[3:4]
	v_fma_f64 v[10:11], v[12:13], v[1:2], v[10:11]
	s_waitcnt vmcnt(14)
	v_add_f64 v[12:13], v[14:15], -v[103:104]
	s_waitcnt vmcnt(12)
	v_add_f64 v[10:11], v[93:94], -v[10:11]
	buffer_store_dword v12, off, s[0:3], 0 offset:864
	buffer_store_dword v13, off, s[0:3], 0 offset:868
	buffer_store_dword v10, off, s[0:3], 0 offset:872
	buffer_store_dword v11, off, s[0:3], 0 offset:876
	ds_read2_b64 v[10:13], v6 offset0:110 offset1:111
	s_waitcnt lgkmcnt(0)
	v_mul_f64 v[14:15], v[12:13], v[3:4]
	v_fma_f64 v[14:15], v[10:11], v[1:2], -v[14:15]
	v_mul_f64 v[10:11], v[10:11], v[3:4]
	v_fma_f64 v[10:11], v[12:13], v[1:2], v[10:11]
	s_waitcnt vmcnt(14)
	v_add_f64 v[12:13], v[95:96], -v[14:15]
	s_waitcnt vmcnt(12)
	v_add_f64 v[10:11], v[97:98], -v[10:11]
	buffer_store_dword v12, off, s[0:3], 0 offset:880
	buffer_store_dword v13, off, s[0:3], 0 offset:884
	buffer_store_dword v10, off, s[0:3], 0 offset:888
	buffer_store_dword v11, off, s[0:3], 0 offset:892
	ds_read2_b64 v[10:13], v6 offset0:112 offset1:113
	s_waitcnt lgkmcnt(0)
	v_mul_f64 v[14:15], v[12:13], v[3:4]
	v_fma_f64 v[14:15], v[10:11], v[1:2], -v[14:15]
	v_mul_f64 v[10:11], v[10:11], v[3:4]
	v_fma_f64 v[10:11], v[12:13], v[1:2], v[10:11]
	s_waitcnt vmcnt(14)
	v_add_f64 v[12:13], v[99:100], -v[14:15]
	s_waitcnt vmcnt(12)
	v_add_f64 v[10:11], v[101:102], -v[10:11]
	buffer_store_dword v13, off, s[0:3], 0 offset:900
	buffer_store_dword v12, off, s[0:3], 0 offset:896
	;; [unrolled: 1-line block ×4, first 2 shown]
	ds_read2_b64 v[10:13], v6 offset0:114 offset1:115
	s_waitcnt lgkmcnt(0)
	v_mul_f64 v[14:15], v[12:13], v[3:4]
	v_fma_f64 v[14:15], v[10:11], v[1:2], -v[14:15]
	v_mul_f64 v[10:11], v[10:11], v[3:4]
	v_fma_f64 v[10:11], v[12:13], v[1:2], v[10:11]
	buffer_load_dword v12, off, s[0:3], 0 offset:912
	buffer_load_dword v13, off, s[0:3], 0 offset:916
	;; [unrolled: 1-line block ×4, first 2 shown]
	s_waitcnt vmcnt(2)
	v_add_f64 v[12:13], v[12:13], -v[14:15]
	s_waitcnt vmcnt(0)
	v_add_f64 v[10:11], v[93:94], -v[10:11]
	buffer_store_dword v13, off, s[0:3], 0 offset:916
	buffer_store_dword v12, off, s[0:3], 0 offset:912
	;; [unrolled: 1-line block ×4, first 2 shown]
	ds_read2_b64 v[10:13], v6 offset0:116 offset1:117
	s_waitcnt lgkmcnt(0)
	v_mul_f64 v[14:15], v[12:13], v[3:4]
	v_fma_f64 v[14:15], v[10:11], v[1:2], -v[14:15]
	v_mul_f64 v[10:11], v[10:11], v[3:4]
	v_fma_f64 v[10:11], v[12:13], v[1:2], v[10:11]
	buffer_load_dword v12, off, s[0:3], 0 offset:928
	buffer_load_dword v13, off, s[0:3], 0 offset:932
	;; [unrolled: 1-line block ×4, first 2 shown]
	s_waitcnt vmcnt(2)
	v_add_f64 v[12:13], v[12:13], -v[14:15]
	s_waitcnt vmcnt(0)
	v_add_f64 v[10:11], v[93:94], -v[10:11]
	buffer_store_dword v13, off, s[0:3], 0 offset:932
	buffer_store_dword v12, off, s[0:3], 0 offset:928
	;; [unrolled: 1-line block ×4, first 2 shown]
	ds_read2_b64 v[10:13], v6 offset0:118 offset1:119
	s_waitcnt lgkmcnt(0)
	v_mul_f64 v[14:15], v[12:13], v[3:4]
	v_mul_f64 v[3:4], v[10:11], v[3:4]
	v_fma_f64 v[14:15], v[10:11], v[1:2], -v[14:15]
	v_fma_f64 v[1:2], v[12:13], v[1:2], v[3:4]
	buffer_load_dword v3, off, s[0:3], 0 offset:944
	buffer_load_dword v4, off, s[0:3], 0 offset:948
	buffer_load_dword v10, off, s[0:3], 0 offset:952
	buffer_load_dword v11, off, s[0:3], 0 offset:956
	s_waitcnt vmcnt(2)
	v_add_f64 v[3:4], v[3:4], -v[14:15]
	s_waitcnt vmcnt(0)
	v_add_f64 v[1:2], v[10:11], -v[1:2]
	buffer_store_dword v4, off, s[0:3], 0 offset:948
	buffer_store_dword v3, off, s[0:3], 0 offset:944
	buffer_store_dword v2, off, s[0:3], 0 offset:956
	buffer_store_dword v1, off, s[0:3], 0 offset:952
	ds_read2_b64 v[1:4], v6 offset0:120 offset1:121
	buffer_load_dword v14, off, s[0:3], 0 offset:848
	buffer_load_dword v15, off, s[0:3], 0 offset:852
	;; [unrolled: 1-line block ×4, first 2 shown]
	s_waitcnt vmcnt(0) lgkmcnt(0)
	v_mul_f64 v[10:11], v[3:4], v[93:94]
	v_fma_f64 v[10:11], v[1:2], v[14:15], -v[10:11]
	v_mul_f64 v[1:2], v[1:2], v[93:94]
	v_fma_f64 v[1:2], v[3:4], v[14:15], v[1:2]
	buffer_load_dword v4, off, s[0:3], 0 offset:964
	buffer_load_dword v3, off, s[0:3], 0 offset:960
	s_waitcnt vmcnt(0)
	v_add_f64 v[3:4], v[3:4], -v[10:11]
	buffer_load_dword v11, off, s[0:3], 0 offset:972
	buffer_load_dword v10, off, s[0:3], 0 offset:968
	s_waitcnt vmcnt(0)
	v_add_f64 v[1:2], v[10:11], -v[1:2]
	buffer_store_dword v4, off, s[0:3], 0 offset:964
	buffer_store_dword v3, off, s[0:3], 0 offset:960
	;; [unrolled: 1-line block ×4, first 2 shown]
	ds_read2_b64 v[1:4], v6 offset0:122 offset1:123
	s_waitcnt lgkmcnt(0)
	v_mul_f64 v[10:11], v[3:4], v[93:94]
	v_fma_f64 v[10:11], v[1:2], v[14:15], -v[10:11]
	v_mul_f64 v[1:2], v[1:2], v[93:94]
	v_fma_f64 v[1:2], v[3:4], v[14:15], v[1:2]
	buffer_load_dword v3, off, s[0:3], 0 offset:976
	buffer_load_dword v4, off, s[0:3], 0 offset:980
	;; [unrolled: 1-line block ×4, first 2 shown]
	s_waitcnt vmcnt(2)
	v_add_f64 v[3:4], v[3:4], -v[10:11]
	s_waitcnt vmcnt(0)
	v_add_f64 v[1:2], v[12:13], -v[1:2]
	buffer_store_dword v4, off, s[0:3], 0 offset:980
	buffer_store_dword v3, off, s[0:3], 0 offset:976
	;; [unrolled: 1-line block ×4, first 2 shown]
	ds_read2_b64 v[10:13], v6 offset0:124 offset1:125
	s_waitcnt lgkmcnt(0)
	v_mul_f64 v[1:2], v[12:13], v[93:94]
	v_fma_f64 v[3:4], v[10:11], v[14:15], -v[1:2]
	v_mul_f64 v[1:2], v[10:11], v[93:94]
	v_fma_f64 v[1:2], v[12:13], v[14:15], v[1:2]
	buffer_load_dword v10, off, s[0:3], 0 offset:992
	buffer_load_dword v11, off, s[0:3], 0 offset:996
	buffer_load_dword v12, off, s[0:3], 0 offset:1000
	buffer_load_dword v13, off, s[0:3], 0 offset:1004
	s_waitcnt vmcnt(2)
	v_add_f64 v[3:4], v[10:11], -v[3:4]
	s_waitcnt vmcnt(0)
	v_add_f64 v[1:2], v[12:13], -v[1:2]
	buffer_store_dword v4, off, s[0:3], 0 offset:996
	buffer_store_dword v3, off, s[0:3], 0 offset:992
	;; [unrolled: 1-line block ×4, first 2 shown]
.LBB125_602:
	s_or_b64 exec, exec, s[6:7]
	v_cmp_eq_u32_e32 vcc, 54, v0
	s_waitcnt vmcnt(0) lgkmcnt(0)
	s_barrier
	s_and_saveexec_b64 s[8:9], vcc
	s_cbranch_execz .LBB125_609
; %bb.603:
	v_mov_b32_e32 v4, s22
	buffer_load_dword v1, v4, s[0:3], 0 offen
	buffer_load_dword v2, v4, s[0:3], 0 offen offset:4
	buffer_load_dword v3, v4, s[0:3], 0 offen offset:8
	s_nop 0
	buffer_load_dword v4, v4, s[0:3], 0 offen offset:12
	s_waitcnt vmcnt(0)
	ds_write2_b64 v125, v[1:2], v[3:4] offset1:1
	v_mov_b32_e32 v4, s21
	buffer_load_dword v1, v4, s[0:3], 0 offen
	buffer_load_dword v2, v4, s[0:3], 0 offen offset:4
	buffer_load_dword v3, v4, s[0:3], 0 offen offset:8
	s_nop 0
	buffer_load_dword v4, v4, s[0:3], 0 offen offset:12
	s_waitcnt vmcnt(0)
	ds_write2_b64 v6, v[1:2], v[3:4] offset0:110 offset1:111
	v_mov_b32_e32 v4, s20
	buffer_load_dword v1, v4, s[0:3], 0 offen
	buffer_load_dword v2, v4, s[0:3], 0 offen offset:4
	buffer_load_dword v3, v4, s[0:3], 0 offen offset:8
	s_nop 0
	buffer_load_dword v4, v4, s[0:3], 0 offen offset:12
	s_waitcnt vmcnt(0)
	ds_write2_b64 v6, v[1:2], v[3:4] offset0:112 offset1:113
	;; [unrolled: 8-line block ×8, first 2 shown]
	ds_read2_b64 v[1:4], v125 offset1:1
	s_waitcnt lgkmcnt(0)
	v_cmp_neq_f64_e32 vcc, 0, v[1:2]
	v_cmp_neq_f64_e64 s[6:7], 0, v[3:4]
	s_or_b64 s[6:7], vcc, s[6:7]
	s_and_b64 exec, exec, s[6:7]
	s_cbranch_execz .LBB125_609
; %bb.604:
	v_cmp_ngt_f64_e64 s[6:7], |v[1:2]|, |v[3:4]|
                                        ; implicit-def: $vgpr10_vgpr11
	s_and_saveexec_b64 s[10:11], s[6:7]
	s_xor_b64 s[6:7], exec, s[10:11]
                                        ; implicit-def: $vgpr12_vgpr13
	s_cbranch_execz .LBB125_606
; %bb.605:
	v_div_scale_f64 v[10:11], s[10:11], v[3:4], v[3:4], v[1:2]
	v_rcp_f64_e32 v[12:13], v[10:11]
	v_fma_f64 v[14:15], -v[10:11], v[12:13], 1.0
	v_fma_f64 v[12:13], v[12:13], v[14:15], v[12:13]
	v_div_scale_f64 v[14:15], vcc, v[1:2], v[3:4], v[1:2]
	v_fma_f64 v[93:94], -v[10:11], v[12:13], 1.0
	v_fma_f64 v[12:13], v[12:13], v[93:94], v[12:13]
	v_mul_f64 v[93:94], v[14:15], v[12:13]
	v_fma_f64 v[10:11], -v[10:11], v[93:94], v[14:15]
	v_div_fmas_f64 v[10:11], v[10:11], v[12:13], v[93:94]
	v_div_fixup_f64 v[10:11], v[10:11], v[3:4], v[1:2]
	v_fma_f64 v[1:2], v[1:2], v[10:11], v[3:4]
	v_div_scale_f64 v[3:4], s[10:11], v[1:2], v[1:2], 1.0
	v_div_scale_f64 v[93:94], vcc, 1.0, v[1:2], 1.0
	v_rcp_f64_e32 v[12:13], v[3:4]
	v_fma_f64 v[14:15], -v[3:4], v[12:13], 1.0
	v_fma_f64 v[12:13], v[12:13], v[14:15], v[12:13]
	v_fma_f64 v[14:15], -v[3:4], v[12:13], 1.0
	v_fma_f64 v[12:13], v[12:13], v[14:15], v[12:13]
	v_mul_f64 v[14:15], v[93:94], v[12:13]
	v_fma_f64 v[3:4], -v[3:4], v[14:15], v[93:94]
	v_div_fmas_f64 v[3:4], v[3:4], v[12:13], v[14:15]
	v_div_fixup_f64 v[12:13], v[3:4], v[1:2], 1.0
                                        ; implicit-def: $vgpr1_vgpr2
	v_mul_f64 v[10:11], v[10:11], v[12:13]
	v_xor_b32_e32 v13, 0x80000000, v13
.LBB125_606:
	s_andn2_saveexec_b64 s[6:7], s[6:7]
	s_cbranch_execz .LBB125_608
; %bb.607:
	v_div_scale_f64 v[10:11], s[10:11], v[1:2], v[1:2], v[3:4]
	v_rcp_f64_e32 v[12:13], v[10:11]
	v_fma_f64 v[14:15], -v[10:11], v[12:13], 1.0
	v_fma_f64 v[12:13], v[12:13], v[14:15], v[12:13]
	v_div_scale_f64 v[14:15], vcc, v[3:4], v[1:2], v[3:4]
	v_fma_f64 v[93:94], -v[10:11], v[12:13], 1.0
	v_fma_f64 v[12:13], v[12:13], v[93:94], v[12:13]
	v_mul_f64 v[93:94], v[14:15], v[12:13]
	v_fma_f64 v[10:11], -v[10:11], v[93:94], v[14:15]
	v_div_fmas_f64 v[10:11], v[10:11], v[12:13], v[93:94]
	v_div_fixup_f64 v[12:13], v[10:11], v[1:2], v[3:4]
	v_fma_f64 v[1:2], v[3:4], v[12:13], v[1:2]
	v_div_scale_f64 v[3:4], s[10:11], v[1:2], v[1:2], 1.0
	v_div_scale_f64 v[93:94], vcc, 1.0, v[1:2], 1.0
	v_rcp_f64_e32 v[10:11], v[3:4]
	v_fma_f64 v[14:15], -v[3:4], v[10:11], 1.0
	v_fma_f64 v[10:11], v[10:11], v[14:15], v[10:11]
	v_fma_f64 v[14:15], -v[3:4], v[10:11], 1.0
	v_fma_f64 v[10:11], v[10:11], v[14:15], v[10:11]
	v_mul_f64 v[14:15], v[93:94], v[10:11]
	v_fma_f64 v[3:4], -v[3:4], v[14:15], v[93:94]
	v_div_fmas_f64 v[3:4], v[3:4], v[10:11], v[14:15]
	v_div_fixup_f64 v[10:11], v[3:4], v[1:2], 1.0
	v_mul_f64 v[12:13], v[12:13], -v[10:11]
.LBB125_608:
	s_or_b64 exec, exec, s[6:7]
	ds_write2_b64 v125, v[10:11], v[12:13] offset1:1
.LBB125_609:
	s_or_b64 exec, exec, s[8:9]
	s_waitcnt lgkmcnt(0)
	s_barrier
	ds_read2_b64 v[93:96], v125 offset1:1
	v_cmp_lt_u32_e32 vcc, 54, v0
	s_and_saveexec_b64 s[6:7], vcc
	s_cbranch_execz .LBB125_611
; %bb.610:
	buffer_load_dword v3, off, s[0:3], 0 offset:864
	buffer_load_dword v4, off, s[0:3], 0 offset:868
	;; [unrolled: 1-line block ×16, first 2 shown]
	s_waitcnt vmcnt(12) lgkmcnt(0)
	v_mul_f64 v[1:2], v[95:96], v[10:11]
	v_mul_f64 v[10:11], v[93:94], v[10:11]
	v_fma_f64 v[1:2], v[93:94], v[3:4], -v[1:2]
	v_fma_f64 v[3:4], v[95:96], v[3:4], v[10:11]
	buffer_store_dword v1, off, s[0:3], 0 offset:864
	buffer_store_dword v2, off, s[0:3], 0 offset:868
	buffer_store_dword v3, off, s[0:3], 0 offset:872
	buffer_store_dword v4, off, s[0:3], 0 offset:876
	ds_read2_b64 v[10:13], v6 offset0:110 offset1:111
	s_waitcnt lgkmcnt(0)
	v_mul_f64 v[107:108], v[12:13], v[3:4]
	v_fma_f64 v[107:108], v[10:11], v[1:2], -v[107:108]
	v_mul_f64 v[10:11], v[10:11], v[3:4]
	v_fma_f64 v[10:11], v[12:13], v[1:2], v[10:11]
	s_waitcnt vmcnt(14)
	v_add_f64 v[12:13], v[14:15], -v[107:108]
	s_waitcnt vmcnt(12)
	v_add_f64 v[10:11], v[97:98], -v[10:11]
	buffer_store_dword v12, off, s[0:3], 0 offset:880
	buffer_store_dword v13, off, s[0:3], 0 offset:884
	buffer_store_dword v10, off, s[0:3], 0 offset:888
	buffer_store_dword v11, off, s[0:3], 0 offset:892
	ds_read2_b64 v[10:13], v6 offset0:112 offset1:113
	s_waitcnt lgkmcnt(0)
	v_mul_f64 v[14:15], v[12:13], v[3:4]
	v_fma_f64 v[14:15], v[10:11], v[1:2], -v[14:15]
	v_mul_f64 v[10:11], v[10:11], v[3:4]
	v_fma_f64 v[10:11], v[12:13], v[1:2], v[10:11]
	s_waitcnt vmcnt(14)
	v_add_f64 v[12:13], v[99:100], -v[14:15]
	s_waitcnt vmcnt(12)
	v_add_f64 v[10:11], v[101:102], -v[10:11]
	;; [unrolled: 14-line block ×3, first 2 shown]
	buffer_store_dword v13, off, s[0:3], 0 offset:916
	buffer_store_dword v12, off, s[0:3], 0 offset:912
	;; [unrolled: 1-line block ×4, first 2 shown]
	ds_read2_b64 v[10:13], v6 offset0:116 offset1:117
	s_waitcnt lgkmcnt(0)
	v_mul_f64 v[14:15], v[12:13], v[3:4]
	v_fma_f64 v[14:15], v[10:11], v[1:2], -v[14:15]
	v_mul_f64 v[10:11], v[10:11], v[3:4]
	v_fma_f64 v[10:11], v[12:13], v[1:2], v[10:11]
	buffer_load_dword v12, off, s[0:3], 0 offset:928
	buffer_load_dword v13, off, s[0:3], 0 offset:932
	;; [unrolled: 1-line block ×4, first 2 shown]
	s_waitcnt vmcnt(2)
	v_add_f64 v[12:13], v[12:13], -v[14:15]
	s_waitcnt vmcnt(0)
	v_add_f64 v[10:11], v[97:98], -v[10:11]
	buffer_store_dword v13, off, s[0:3], 0 offset:932
	buffer_store_dword v12, off, s[0:3], 0 offset:928
	;; [unrolled: 1-line block ×4, first 2 shown]
	ds_read2_b64 v[10:13], v6 offset0:118 offset1:119
	s_waitcnt lgkmcnt(0)
	v_mul_f64 v[14:15], v[12:13], v[3:4]
	v_fma_f64 v[14:15], v[10:11], v[1:2], -v[14:15]
	v_mul_f64 v[10:11], v[10:11], v[3:4]
	v_fma_f64 v[10:11], v[12:13], v[1:2], v[10:11]
	buffer_load_dword v12, off, s[0:3], 0 offset:944
	buffer_load_dword v13, off, s[0:3], 0 offset:948
	;; [unrolled: 1-line block ×4, first 2 shown]
	s_waitcnt vmcnt(2)
	v_add_f64 v[12:13], v[12:13], -v[14:15]
	s_waitcnt vmcnt(0)
	v_add_f64 v[10:11], v[97:98], -v[10:11]
	buffer_store_dword v13, off, s[0:3], 0 offset:948
	buffer_store_dword v12, off, s[0:3], 0 offset:944
	;; [unrolled: 1-line block ×4, first 2 shown]
	ds_read2_b64 v[10:13], v6 offset0:120 offset1:121
	s_waitcnt lgkmcnt(0)
	v_mul_f64 v[14:15], v[12:13], v[3:4]
	v_mul_f64 v[3:4], v[10:11], v[3:4]
	v_fma_f64 v[14:15], v[10:11], v[1:2], -v[14:15]
	v_fma_f64 v[1:2], v[12:13], v[1:2], v[3:4]
	buffer_load_dword v3, off, s[0:3], 0 offset:960
	buffer_load_dword v4, off, s[0:3], 0 offset:964
	;; [unrolled: 1-line block ×4, first 2 shown]
	s_waitcnt vmcnt(2)
	v_add_f64 v[3:4], v[3:4], -v[14:15]
	s_waitcnt vmcnt(0)
	v_add_f64 v[1:2], v[10:11], -v[1:2]
	buffer_store_dword v4, off, s[0:3], 0 offset:964
	buffer_store_dword v3, off, s[0:3], 0 offset:960
	;; [unrolled: 1-line block ×4, first 2 shown]
	ds_read2_b64 v[1:4], v6 offset0:122 offset1:123
	buffer_load_dword v14, off, s[0:3], 0 offset:864
	buffer_load_dword v15, off, s[0:3], 0 offset:868
	;; [unrolled: 1-line block ×4, first 2 shown]
	s_waitcnt vmcnt(0) lgkmcnt(0)
	v_mul_f64 v[10:11], v[3:4], v[97:98]
	v_fma_f64 v[10:11], v[1:2], v[14:15], -v[10:11]
	v_mul_f64 v[1:2], v[1:2], v[97:98]
	v_fma_f64 v[1:2], v[3:4], v[14:15], v[1:2]
	buffer_load_dword v4, off, s[0:3], 0 offset:980
	buffer_load_dword v3, off, s[0:3], 0 offset:976
	s_waitcnt vmcnt(0)
	v_add_f64 v[3:4], v[3:4], -v[10:11]
	buffer_load_dword v11, off, s[0:3], 0 offset:988
	buffer_load_dword v10, off, s[0:3], 0 offset:984
	s_waitcnt vmcnt(0)
	v_add_f64 v[1:2], v[10:11], -v[1:2]
	buffer_store_dword v4, off, s[0:3], 0 offset:980
	buffer_store_dword v3, off, s[0:3], 0 offset:976
	;; [unrolled: 1-line block ×4, first 2 shown]
	ds_read2_b64 v[10:13], v6 offset0:124 offset1:125
	s_waitcnt lgkmcnt(0)
	v_mul_f64 v[1:2], v[12:13], v[97:98]
	v_fma_f64 v[3:4], v[10:11], v[14:15], -v[1:2]
	v_mul_f64 v[1:2], v[10:11], v[97:98]
	v_fma_f64 v[1:2], v[12:13], v[14:15], v[1:2]
	buffer_load_dword v10, off, s[0:3], 0 offset:992
	buffer_load_dword v11, off, s[0:3], 0 offset:996
	;; [unrolled: 1-line block ×4, first 2 shown]
	s_waitcnt vmcnt(2)
	v_add_f64 v[3:4], v[10:11], -v[3:4]
	s_waitcnt vmcnt(0)
	v_add_f64 v[1:2], v[12:13], -v[1:2]
	buffer_store_dword v4, off, s[0:3], 0 offset:996
	buffer_store_dword v3, off, s[0:3], 0 offset:992
	buffer_store_dword v2, off, s[0:3], 0 offset:1004
	buffer_store_dword v1, off, s[0:3], 0 offset:1000
.LBB125_611:
	s_or_b64 exec, exec, s[6:7]
	v_cmp_eq_u32_e32 vcc, 55, v0
	s_waitcnt vmcnt(0) lgkmcnt(0)
	s_barrier
	s_and_saveexec_b64 s[8:9], vcc
	s_cbranch_execz .LBB125_618
; %bb.612:
	v_mov_b32_e32 v4, s21
	buffer_load_dword v1, v4, s[0:3], 0 offen
	buffer_load_dword v2, v4, s[0:3], 0 offen offset:4
	buffer_load_dword v3, v4, s[0:3], 0 offen offset:8
	s_nop 0
	buffer_load_dword v4, v4, s[0:3], 0 offen offset:12
	s_waitcnt vmcnt(0)
	ds_write2_b64 v125, v[1:2], v[3:4] offset1:1
	v_mov_b32_e32 v4, s20
	buffer_load_dword v1, v4, s[0:3], 0 offen
	buffer_load_dword v2, v4, s[0:3], 0 offen offset:4
	buffer_load_dword v3, v4, s[0:3], 0 offen offset:8
	s_nop 0
	buffer_load_dword v4, v4, s[0:3], 0 offen offset:12
	s_waitcnt vmcnt(0)
	ds_write2_b64 v6, v[1:2], v[3:4] offset0:112 offset1:113
	v_mov_b32_e32 v4, s19
	buffer_load_dword v1, v4, s[0:3], 0 offen
	buffer_load_dword v2, v4, s[0:3], 0 offen offset:4
	buffer_load_dword v3, v4, s[0:3], 0 offen offset:8
	s_nop 0
	buffer_load_dword v4, v4, s[0:3], 0 offen offset:12
	s_waitcnt vmcnt(0)
	ds_write2_b64 v6, v[1:2], v[3:4] offset0:114 offset1:115
	v_mov_b32_e32 v4, s18
	buffer_load_dword v1, v4, s[0:3], 0 offen
	buffer_load_dword v2, v4, s[0:3], 0 offen offset:4
	buffer_load_dword v3, v4, s[0:3], 0 offen offset:8
	s_nop 0
	buffer_load_dword v4, v4, s[0:3], 0 offen offset:12
	s_waitcnt vmcnt(0)
	ds_write2_b64 v6, v[1:2], v[3:4] offset0:116 offset1:117
	v_mov_b32_e32 v4, s17
	buffer_load_dword v1, v4, s[0:3], 0 offen
	buffer_load_dword v2, v4, s[0:3], 0 offen offset:4
	buffer_load_dword v3, v4, s[0:3], 0 offen offset:8
	s_nop 0
	buffer_load_dword v4, v4, s[0:3], 0 offen offset:12
	s_waitcnt vmcnt(0)
	ds_write2_b64 v6, v[1:2], v[3:4] offset0:118 offset1:119
	v_mov_b32_e32 v4, s14
	buffer_load_dword v1, v4, s[0:3], 0 offen
	buffer_load_dword v2, v4, s[0:3], 0 offen offset:4
	buffer_load_dword v3, v4, s[0:3], 0 offen offset:8
	s_nop 0
	buffer_load_dword v4, v4, s[0:3], 0 offen offset:12
	s_waitcnt vmcnt(0)
	ds_write2_b64 v6, v[1:2], v[3:4] offset0:120 offset1:121
	v_mov_b32_e32 v4, s16
	buffer_load_dword v1, v4, s[0:3], 0 offen
	buffer_load_dword v2, v4, s[0:3], 0 offen offset:4
	buffer_load_dword v3, v4, s[0:3], 0 offen offset:8
	s_nop 0
	buffer_load_dword v4, v4, s[0:3], 0 offen offset:12
	s_waitcnt vmcnt(0)
	ds_write2_b64 v6, v[1:2], v[3:4] offset0:122 offset1:123
	v_mov_b32_e32 v4, s33
	buffer_load_dword v1, v4, s[0:3], 0 offen
	buffer_load_dword v2, v4, s[0:3], 0 offen offset:4
	buffer_load_dword v3, v4, s[0:3], 0 offen offset:8
	s_nop 0
	buffer_load_dword v4, v4, s[0:3], 0 offen offset:12
	s_waitcnt vmcnt(0)
	ds_write2_b64 v6, v[1:2], v[3:4] offset0:124 offset1:125
	ds_read2_b64 v[1:4], v125 offset1:1
	s_waitcnt lgkmcnt(0)
	v_cmp_neq_f64_e32 vcc, 0, v[1:2]
	v_cmp_neq_f64_e64 s[6:7], 0, v[3:4]
	s_or_b64 s[6:7], vcc, s[6:7]
	s_and_b64 exec, exec, s[6:7]
	s_cbranch_execz .LBB125_618
; %bb.613:
	v_cmp_ngt_f64_e64 s[6:7], |v[1:2]|, |v[3:4]|
                                        ; implicit-def: $vgpr10_vgpr11
	s_and_saveexec_b64 s[10:11], s[6:7]
	s_xor_b64 s[6:7], exec, s[10:11]
                                        ; implicit-def: $vgpr12_vgpr13
	s_cbranch_execz .LBB125_615
; %bb.614:
	v_div_scale_f64 v[10:11], s[10:11], v[3:4], v[3:4], v[1:2]
	v_rcp_f64_e32 v[12:13], v[10:11]
	v_fma_f64 v[14:15], -v[10:11], v[12:13], 1.0
	v_fma_f64 v[12:13], v[12:13], v[14:15], v[12:13]
	v_div_scale_f64 v[14:15], vcc, v[1:2], v[3:4], v[1:2]
	v_fma_f64 v[97:98], -v[10:11], v[12:13], 1.0
	v_fma_f64 v[12:13], v[12:13], v[97:98], v[12:13]
	v_mul_f64 v[97:98], v[14:15], v[12:13]
	v_fma_f64 v[10:11], -v[10:11], v[97:98], v[14:15]
	v_div_fmas_f64 v[10:11], v[10:11], v[12:13], v[97:98]
	v_div_fixup_f64 v[10:11], v[10:11], v[3:4], v[1:2]
	v_fma_f64 v[1:2], v[1:2], v[10:11], v[3:4]
	v_div_scale_f64 v[3:4], s[10:11], v[1:2], v[1:2], 1.0
	v_div_scale_f64 v[97:98], vcc, 1.0, v[1:2], 1.0
	v_rcp_f64_e32 v[12:13], v[3:4]
	v_fma_f64 v[14:15], -v[3:4], v[12:13], 1.0
	v_fma_f64 v[12:13], v[12:13], v[14:15], v[12:13]
	v_fma_f64 v[14:15], -v[3:4], v[12:13], 1.0
	v_fma_f64 v[12:13], v[12:13], v[14:15], v[12:13]
	v_mul_f64 v[14:15], v[97:98], v[12:13]
	v_fma_f64 v[3:4], -v[3:4], v[14:15], v[97:98]
	v_div_fmas_f64 v[3:4], v[3:4], v[12:13], v[14:15]
	v_div_fixup_f64 v[12:13], v[3:4], v[1:2], 1.0
                                        ; implicit-def: $vgpr1_vgpr2
	v_mul_f64 v[10:11], v[10:11], v[12:13]
	v_xor_b32_e32 v13, 0x80000000, v13
.LBB125_615:
	s_andn2_saveexec_b64 s[6:7], s[6:7]
	s_cbranch_execz .LBB125_617
; %bb.616:
	v_div_scale_f64 v[10:11], s[10:11], v[1:2], v[1:2], v[3:4]
	v_rcp_f64_e32 v[12:13], v[10:11]
	v_fma_f64 v[14:15], -v[10:11], v[12:13], 1.0
	v_fma_f64 v[12:13], v[12:13], v[14:15], v[12:13]
	v_div_scale_f64 v[14:15], vcc, v[3:4], v[1:2], v[3:4]
	v_fma_f64 v[97:98], -v[10:11], v[12:13], 1.0
	v_fma_f64 v[12:13], v[12:13], v[97:98], v[12:13]
	v_mul_f64 v[97:98], v[14:15], v[12:13]
	v_fma_f64 v[10:11], -v[10:11], v[97:98], v[14:15]
	v_div_fmas_f64 v[10:11], v[10:11], v[12:13], v[97:98]
	v_div_fixup_f64 v[12:13], v[10:11], v[1:2], v[3:4]
	v_fma_f64 v[1:2], v[3:4], v[12:13], v[1:2]
	v_div_scale_f64 v[3:4], s[10:11], v[1:2], v[1:2], 1.0
	v_div_scale_f64 v[97:98], vcc, 1.0, v[1:2], 1.0
	v_rcp_f64_e32 v[10:11], v[3:4]
	v_fma_f64 v[14:15], -v[3:4], v[10:11], 1.0
	v_fma_f64 v[10:11], v[10:11], v[14:15], v[10:11]
	v_fma_f64 v[14:15], -v[3:4], v[10:11], 1.0
	v_fma_f64 v[10:11], v[10:11], v[14:15], v[10:11]
	v_mul_f64 v[14:15], v[97:98], v[10:11]
	v_fma_f64 v[3:4], -v[3:4], v[14:15], v[97:98]
	v_div_fmas_f64 v[3:4], v[3:4], v[10:11], v[14:15]
	v_div_fixup_f64 v[10:11], v[3:4], v[1:2], 1.0
	v_mul_f64 v[12:13], v[12:13], -v[10:11]
.LBB125_617:
	s_or_b64 exec, exec, s[6:7]
	ds_write2_b64 v125, v[10:11], v[12:13] offset1:1
.LBB125_618:
	s_or_b64 exec, exec, s[8:9]
	s_waitcnt lgkmcnt(0)
	s_barrier
	ds_read2_b64 v[97:100], v125 offset1:1
	v_cmp_lt_u32_e32 vcc, 55, v0
	s_and_saveexec_b64 s[6:7], vcc
	s_cbranch_execz .LBB125_620
; %bb.619:
	buffer_load_dword v3, off, s[0:3], 0 offset:880
	buffer_load_dword v4, off, s[0:3], 0 offset:884
	;; [unrolled: 1-line block ×16, first 2 shown]
	s_waitcnt vmcnt(12) lgkmcnt(0)
	v_mul_f64 v[1:2], v[99:100], v[10:11]
	v_mul_f64 v[10:11], v[97:98], v[10:11]
	v_fma_f64 v[1:2], v[97:98], v[3:4], -v[1:2]
	v_fma_f64 v[3:4], v[99:100], v[3:4], v[10:11]
	buffer_store_dword v1, off, s[0:3], 0 offset:880
	buffer_store_dword v2, off, s[0:3], 0 offset:884
	buffer_store_dword v3, off, s[0:3], 0 offset:888
	buffer_store_dword v4, off, s[0:3], 0 offset:892
	ds_read2_b64 v[10:13], v6 offset0:112 offset1:113
	s_waitcnt lgkmcnt(0)
	v_mul_f64 v[111:112], v[12:13], v[3:4]
	v_fma_f64 v[111:112], v[10:11], v[1:2], -v[111:112]
	v_mul_f64 v[10:11], v[10:11], v[3:4]
	v_fma_f64 v[10:11], v[12:13], v[1:2], v[10:11]
	s_waitcnt vmcnt(14)
	v_add_f64 v[12:13], v[14:15], -v[111:112]
	s_waitcnt vmcnt(12)
	v_add_f64 v[10:11], v[101:102], -v[10:11]
	buffer_store_dword v12, off, s[0:3], 0 offset:896
	buffer_store_dword v13, off, s[0:3], 0 offset:900
	buffer_store_dword v10, off, s[0:3], 0 offset:904
	buffer_store_dword v11, off, s[0:3], 0 offset:908
	ds_read2_b64 v[10:13], v6 offset0:114 offset1:115
	s_waitcnt lgkmcnt(0)
	v_mul_f64 v[14:15], v[12:13], v[3:4]
	v_fma_f64 v[14:15], v[10:11], v[1:2], -v[14:15]
	v_mul_f64 v[10:11], v[10:11], v[3:4]
	v_fma_f64 v[10:11], v[12:13], v[1:2], v[10:11]
	s_waitcnt vmcnt(14)
	v_add_f64 v[12:13], v[103:104], -v[14:15]
	s_waitcnt vmcnt(12)
	v_add_f64 v[10:11], v[105:106], -v[10:11]
	;; [unrolled: 14-line block ×3, first 2 shown]
	buffer_store_dword v13, off, s[0:3], 0 offset:932
	buffer_store_dword v12, off, s[0:3], 0 offset:928
	;; [unrolled: 1-line block ×4, first 2 shown]
	ds_read2_b64 v[10:13], v6 offset0:118 offset1:119
	s_waitcnt lgkmcnt(0)
	v_mul_f64 v[14:15], v[12:13], v[3:4]
	v_fma_f64 v[14:15], v[10:11], v[1:2], -v[14:15]
	v_mul_f64 v[10:11], v[10:11], v[3:4]
	v_fma_f64 v[10:11], v[12:13], v[1:2], v[10:11]
	buffer_load_dword v12, off, s[0:3], 0 offset:944
	buffer_load_dword v13, off, s[0:3], 0 offset:948
	;; [unrolled: 1-line block ×4, first 2 shown]
	s_waitcnt vmcnt(2)
	v_add_f64 v[12:13], v[12:13], -v[14:15]
	s_waitcnt vmcnt(0)
	v_add_f64 v[10:11], v[101:102], -v[10:11]
	buffer_store_dword v13, off, s[0:3], 0 offset:948
	buffer_store_dword v12, off, s[0:3], 0 offset:944
	;; [unrolled: 1-line block ×4, first 2 shown]
	ds_read2_b64 v[10:13], v6 offset0:120 offset1:121
	s_waitcnt lgkmcnt(0)
	v_mul_f64 v[14:15], v[12:13], v[3:4]
	v_fma_f64 v[14:15], v[10:11], v[1:2], -v[14:15]
	v_mul_f64 v[10:11], v[10:11], v[3:4]
	v_fma_f64 v[10:11], v[12:13], v[1:2], v[10:11]
	buffer_load_dword v12, off, s[0:3], 0 offset:960
	buffer_load_dword v13, off, s[0:3], 0 offset:964
	buffer_load_dword v101, off, s[0:3], 0 offset:968
	buffer_load_dword v102, off, s[0:3], 0 offset:972
	s_waitcnt vmcnt(2)
	v_add_f64 v[12:13], v[12:13], -v[14:15]
	s_waitcnt vmcnt(0)
	v_add_f64 v[10:11], v[101:102], -v[10:11]
	buffer_store_dword v13, off, s[0:3], 0 offset:964
	buffer_store_dword v12, off, s[0:3], 0 offset:960
	;; [unrolled: 1-line block ×4, first 2 shown]
	ds_read2_b64 v[10:13], v6 offset0:122 offset1:123
	s_waitcnt lgkmcnt(0)
	v_mul_f64 v[14:15], v[12:13], v[3:4]
	v_mul_f64 v[3:4], v[10:11], v[3:4]
	v_fma_f64 v[14:15], v[10:11], v[1:2], -v[14:15]
	v_fma_f64 v[1:2], v[12:13], v[1:2], v[3:4]
	buffer_load_dword v3, off, s[0:3], 0 offset:976
	buffer_load_dword v4, off, s[0:3], 0 offset:980
	;; [unrolled: 1-line block ×4, first 2 shown]
	s_waitcnt vmcnt(2)
	v_add_f64 v[3:4], v[3:4], -v[14:15]
	s_waitcnt vmcnt(0)
	v_add_f64 v[1:2], v[10:11], -v[1:2]
	buffer_store_dword v4, off, s[0:3], 0 offset:980
	buffer_store_dword v3, off, s[0:3], 0 offset:976
	;; [unrolled: 1-line block ×4, first 2 shown]
	ds_read2_b64 v[1:4], v6 offset0:124 offset1:125
	buffer_load_dword v10, off, s[0:3], 0 offset:880
	buffer_load_dword v11, off, s[0:3], 0 offset:884
	;; [unrolled: 1-line block ×4, first 2 shown]
	s_waitcnt vmcnt(0) lgkmcnt(0)
	v_mul_f64 v[14:15], v[3:4], v[12:13]
	v_fma_f64 v[14:15], v[1:2], v[10:11], -v[14:15]
	v_mul_f64 v[1:2], v[1:2], v[12:13]
	v_fma_f64 v[1:2], v[3:4], v[10:11], v[1:2]
	buffer_load_dword v4, off, s[0:3], 0 offset:996
	buffer_load_dword v3, off, s[0:3], 0 offset:992
	;; [unrolled: 1-line block ×4, first 2 shown]
	s_waitcnt vmcnt(2)
	v_add_f64 v[3:4], v[3:4], -v[14:15]
	s_waitcnt vmcnt(0)
	v_add_f64 v[1:2], v[10:11], -v[1:2]
	buffer_store_dword v4, off, s[0:3], 0 offset:996
	buffer_store_dword v3, off, s[0:3], 0 offset:992
	;; [unrolled: 1-line block ×4, first 2 shown]
.LBB125_620:
	s_or_b64 exec, exec, s[6:7]
	v_cmp_eq_u32_e32 vcc, 56, v0
	s_waitcnt vmcnt(0) lgkmcnt(0)
	s_barrier
	s_and_saveexec_b64 s[8:9], vcc
	s_cbranch_execz .LBB125_627
; %bb.621:
	v_mov_b32_e32 v4, s20
	buffer_load_dword v1, v4, s[0:3], 0 offen
	buffer_load_dword v2, v4, s[0:3], 0 offen offset:4
	buffer_load_dword v3, v4, s[0:3], 0 offen offset:8
	s_nop 0
	buffer_load_dword v4, v4, s[0:3], 0 offen offset:12
	s_waitcnt vmcnt(0)
	ds_write2_b64 v125, v[1:2], v[3:4] offset1:1
	v_mov_b32_e32 v4, s19
	buffer_load_dword v1, v4, s[0:3], 0 offen
	buffer_load_dword v2, v4, s[0:3], 0 offen offset:4
	buffer_load_dword v3, v4, s[0:3], 0 offen offset:8
	s_nop 0
	buffer_load_dword v4, v4, s[0:3], 0 offen offset:12
	s_waitcnt vmcnt(0)
	ds_write2_b64 v6, v[1:2], v[3:4] offset0:114 offset1:115
	v_mov_b32_e32 v4, s18
	buffer_load_dword v1, v4, s[0:3], 0 offen
	buffer_load_dword v2, v4, s[0:3], 0 offen offset:4
	buffer_load_dword v3, v4, s[0:3], 0 offen offset:8
	s_nop 0
	buffer_load_dword v4, v4, s[0:3], 0 offen offset:12
	s_waitcnt vmcnt(0)
	ds_write2_b64 v6, v[1:2], v[3:4] offset0:116 offset1:117
	;; [unrolled: 8-line block ×6, first 2 shown]
	ds_read2_b64 v[1:4], v125 offset1:1
	s_waitcnt lgkmcnt(0)
	v_cmp_neq_f64_e32 vcc, 0, v[1:2]
	v_cmp_neq_f64_e64 s[6:7], 0, v[3:4]
	s_or_b64 s[6:7], vcc, s[6:7]
	s_and_b64 exec, exec, s[6:7]
	s_cbranch_execz .LBB125_627
; %bb.622:
	v_cmp_ngt_f64_e64 s[6:7], |v[1:2]|, |v[3:4]|
                                        ; implicit-def: $vgpr10_vgpr11
	s_and_saveexec_b64 s[10:11], s[6:7]
	s_xor_b64 s[6:7], exec, s[10:11]
                                        ; implicit-def: $vgpr12_vgpr13
	s_cbranch_execz .LBB125_624
; %bb.623:
	v_div_scale_f64 v[10:11], s[10:11], v[3:4], v[3:4], v[1:2]
	v_rcp_f64_e32 v[12:13], v[10:11]
	v_fma_f64 v[14:15], -v[10:11], v[12:13], 1.0
	v_fma_f64 v[12:13], v[12:13], v[14:15], v[12:13]
	v_div_scale_f64 v[14:15], vcc, v[1:2], v[3:4], v[1:2]
	v_fma_f64 v[101:102], -v[10:11], v[12:13], 1.0
	v_fma_f64 v[12:13], v[12:13], v[101:102], v[12:13]
	v_mul_f64 v[101:102], v[14:15], v[12:13]
	v_fma_f64 v[10:11], -v[10:11], v[101:102], v[14:15]
	v_div_fmas_f64 v[10:11], v[10:11], v[12:13], v[101:102]
	v_div_fixup_f64 v[10:11], v[10:11], v[3:4], v[1:2]
	v_fma_f64 v[1:2], v[1:2], v[10:11], v[3:4]
	v_div_scale_f64 v[3:4], s[10:11], v[1:2], v[1:2], 1.0
	v_div_scale_f64 v[101:102], vcc, 1.0, v[1:2], 1.0
	v_rcp_f64_e32 v[12:13], v[3:4]
	v_fma_f64 v[14:15], -v[3:4], v[12:13], 1.0
	v_fma_f64 v[12:13], v[12:13], v[14:15], v[12:13]
	v_fma_f64 v[14:15], -v[3:4], v[12:13], 1.0
	v_fma_f64 v[12:13], v[12:13], v[14:15], v[12:13]
	v_mul_f64 v[14:15], v[101:102], v[12:13]
	v_fma_f64 v[3:4], -v[3:4], v[14:15], v[101:102]
	v_div_fmas_f64 v[3:4], v[3:4], v[12:13], v[14:15]
	v_div_fixup_f64 v[12:13], v[3:4], v[1:2], 1.0
                                        ; implicit-def: $vgpr1_vgpr2
	v_mul_f64 v[10:11], v[10:11], v[12:13]
	v_xor_b32_e32 v13, 0x80000000, v13
.LBB125_624:
	s_andn2_saveexec_b64 s[6:7], s[6:7]
	s_cbranch_execz .LBB125_626
; %bb.625:
	v_div_scale_f64 v[10:11], s[10:11], v[1:2], v[1:2], v[3:4]
	v_rcp_f64_e32 v[12:13], v[10:11]
	v_fma_f64 v[14:15], -v[10:11], v[12:13], 1.0
	v_fma_f64 v[12:13], v[12:13], v[14:15], v[12:13]
	v_div_scale_f64 v[14:15], vcc, v[3:4], v[1:2], v[3:4]
	v_fma_f64 v[101:102], -v[10:11], v[12:13], 1.0
	v_fma_f64 v[12:13], v[12:13], v[101:102], v[12:13]
	v_mul_f64 v[101:102], v[14:15], v[12:13]
	v_fma_f64 v[10:11], -v[10:11], v[101:102], v[14:15]
	v_div_fmas_f64 v[10:11], v[10:11], v[12:13], v[101:102]
	v_div_fixup_f64 v[12:13], v[10:11], v[1:2], v[3:4]
	v_fma_f64 v[1:2], v[3:4], v[12:13], v[1:2]
	v_div_scale_f64 v[3:4], s[10:11], v[1:2], v[1:2], 1.0
	v_div_scale_f64 v[101:102], vcc, 1.0, v[1:2], 1.0
	v_rcp_f64_e32 v[10:11], v[3:4]
	v_fma_f64 v[14:15], -v[3:4], v[10:11], 1.0
	v_fma_f64 v[10:11], v[10:11], v[14:15], v[10:11]
	v_fma_f64 v[14:15], -v[3:4], v[10:11], 1.0
	v_fma_f64 v[10:11], v[10:11], v[14:15], v[10:11]
	v_mul_f64 v[14:15], v[101:102], v[10:11]
	v_fma_f64 v[3:4], -v[3:4], v[14:15], v[101:102]
	v_div_fmas_f64 v[3:4], v[3:4], v[10:11], v[14:15]
	v_div_fixup_f64 v[10:11], v[3:4], v[1:2], 1.0
	v_mul_f64 v[12:13], v[12:13], -v[10:11]
.LBB125_626:
	s_or_b64 exec, exec, s[6:7]
	ds_write2_b64 v125, v[10:11], v[12:13] offset1:1
.LBB125_627:
	s_or_b64 exec, exec, s[8:9]
	s_waitcnt lgkmcnt(0)
	s_barrier
	ds_read2_b64 v[101:104], v125 offset1:1
	v_cmp_lt_u32_e32 vcc, 56, v0
	s_and_saveexec_b64 s[6:7], vcc
	s_cbranch_execz .LBB125_629
; %bb.628:
	buffer_load_dword v3, off, s[0:3], 0 offset:896
	buffer_load_dword v4, off, s[0:3], 0 offset:900
	;; [unrolled: 1-line block ×16, first 2 shown]
	s_waitcnt vmcnt(12) lgkmcnt(0)
	v_mul_f64 v[1:2], v[103:104], v[10:11]
	v_mul_f64 v[10:11], v[101:102], v[10:11]
	v_fma_f64 v[1:2], v[101:102], v[3:4], -v[1:2]
	v_fma_f64 v[3:4], v[103:104], v[3:4], v[10:11]
	buffer_store_dword v1, off, s[0:3], 0 offset:896
	buffer_store_dword v2, off, s[0:3], 0 offset:900
	buffer_store_dword v3, off, s[0:3], 0 offset:904
	buffer_store_dword v4, off, s[0:3], 0 offset:908
	ds_read2_b64 v[10:13], v6 offset0:114 offset1:115
	s_waitcnt lgkmcnt(0)
	v_mul_f64 v[115:116], v[12:13], v[3:4]
	v_fma_f64 v[115:116], v[10:11], v[1:2], -v[115:116]
	v_mul_f64 v[10:11], v[10:11], v[3:4]
	v_fma_f64 v[10:11], v[12:13], v[1:2], v[10:11]
	s_waitcnt vmcnt(14)
	v_add_f64 v[12:13], v[14:15], -v[115:116]
	s_waitcnt vmcnt(12)
	v_add_f64 v[10:11], v[105:106], -v[10:11]
	buffer_store_dword v12, off, s[0:3], 0 offset:912
	buffer_store_dword v13, off, s[0:3], 0 offset:916
	buffer_store_dword v10, off, s[0:3], 0 offset:920
	buffer_store_dword v11, off, s[0:3], 0 offset:924
	ds_read2_b64 v[10:13], v6 offset0:116 offset1:117
	s_waitcnt lgkmcnt(0)
	v_mul_f64 v[14:15], v[12:13], v[3:4]
	v_fma_f64 v[14:15], v[10:11], v[1:2], -v[14:15]
	v_mul_f64 v[10:11], v[10:11], v[3:4]
	v_fma_f64 v[10:11], v[12:13], v[1:2], v[10:11]
	s_waitcnt vmcnt(14)
	v_add_f64 v[12:13], v[107:108], -v[14:15]
	s_waitcnt vmcnt(12)
	v_add_f64 v[10:11], v[109:110], -v[10:11]
	;; [unrolled: 14-line block ×3, first 2 shown]
	buffer_store_dword v13, off, s[0:3], 0 offset:948
	buffer_store_dword v12, off, s[0:3], 0 offset:944
	;; [unrolled: 1-line block ×4, first 2 shown]
	ds_read2_b64 v[10:13], v6 offset0:120 offset1:121
	s_waitcnt lgkmcnt(0)
	v_mul_f64 v[14:15], v[12:13], v[3:4]
	v_fma_f64 v[14:15], v[10:11], v[1:2], -v[14:15]
	v_mul_f64 v[10:11], v[10:11], v[3:4]
	v_fma_f64 v[10:11], v[12:13], v[1:2], v[10:11]
	buffer_load_dword v12, off, s[0:3], 0 offset:960
	buffer_load_dword v13, off, s[0:3], 0 offset:964
	;; [unrolled: 1-line block ×4, first 2 shown]
	s_waitcnt vmcnt(2)
	v_add_f64 v[12:13], v[12:13], -v[14:15]
	s_waitcnt vmcnt(0)
	v_add_f64 v[10:11], v[105:106], -v[10:11]
	buffer_store_dword v13, off, s[0:3], 0 offset:964
	buffer_store_dword v12, off, s[0:3], 0 offset:960
	;; [unrolled: 1-line block ×4, first 2 shown]
	ds_read2_b64 v[10:13], v6 offset0:122 offset1:123
	s_waitcnt lgkmcnt(0)
	v_mul_f64 v[14:15], v[12:13], v[3:4]
	v_fma_f64 v[14:15], v[10:11], v[1:2], -v[14:15]
	v_mul_f64 v[10:11], v[10:11], v[3:4]
	v_fma_f64 v[10:11], v[12:13], v[1:2], v[10:11]
	buffer_load_dword v12, off, s[0:3], 0 offset:976
	buffer_load_dword v13, off, s[0:3], 0 offset:980
	;; [unrolled: 1-line block ×4, first 2 shown]
	s_waitcnt vmcnt(2)
	v_add_f64 v[12:13], v[12:13], -v[14:15]
	s_waitcnt vmcnt(0)
	v_add_f64 v[10:11], v[105:106], -v[10:11]
	buffer_store_dword v13, off, s[0:3], 0 offset:980
	buffer_store_dword v12, off, s[0:3], 0 offset:976
	;; [unrolled: 1-line block ×4, first 2 shown]
	ds_read2_b64 v[10:13], v6 offset0:124 offset1:125
	s_waitcnt lgkmcnt(0)
	v_mul_f64 v[14:15], v[12:13], v[3:4]
	v_mul_f64 v[3:4], v[10:11], v[3:4]
	v_fma_f64 v[14:15], v[10:11], v[1:2], -v[14:15]
	v_fma_f64 v[1:2], v[12:13], v[1:2], v[3:4]
	buffer_load_dword v3, off, s[0:3], 0 offset:992
	buffer_load_dword v4, off, s[0:3], 0 offset:996
	;; [unrolled: 1-line block ×4, first 2 shown]
	s_waitcnt vmcnt(2)
	v_add_f64 v[3:4], v[3:4], -v[14:15]
	s_waitcnt vmcnt(0)
	v_add_f64 v[1:2], v[10:11], -v[1:2]
	buffer_store_dword v4, off, s[0:3], 0 offset:996
	buffer_store_dword v3, off, s[0:3], 0 offset:992
	;; [unrolled: 1-line block ×4, first 2 shown]
.LBB125_629:
	s_or_b64 exec, exec, s[6:7]
	v_cmp_eq_u32_e32 vcc, 57, v0
	s_waitcnt vmcnt(0) lgkmcnt(0)
	s_barrier
	s_and_saveexec_b64 s[8:9], vcc
	s_cbranch_execz .LBB125_636
; %bb.630:
	v_mov_b32_e32 v4, s19
	buffer_load_dword v1, v4, s[0:3], 0 offen
	buffer_load_dword v2, v4, s[0:3], 0 offen offset:4
	buffer_load_dword v3, v4, s[0:3], 0 offen offset:8
	s_nop 0
	buffer_load_dword v4, v4, s[0:3], 0 offen offset:12
	s_waitcnt vmcnt(0)
	ds_write2_b64 v125, v[1:2], v[3:4] offset1:1
	v_mov_b32_e32 v4, s18
	buffer_load_dword v1, v4, s[0:3], 0 offen
	buffer_load_dword v2, v4, s[0:3], 0 offen offset:4
	buffer_load_dword v3, v4, s[0:3], 0 offen offset:8
	s_nop 0
	buffer_load_dword v4, v4, s[0:3], 0 offen offset:12
	s_waitcnt vmcnt(0)
	ds_write2_b64 v6, v[1:2], v[3:4] offset0:116 offset1:117
	v_mov_b32_e32 v4, s17
	buffer_load_dword v1, v4, s[0:3], 0 offen
	buffer_load_dword v2, v4, s[0:3], 0 offen offset:4
	buffer_load_dword v3, v4, s[0:3], 0 offen offset:8
	s_nop 0
	buffer_load_dword v4, v4, s[0:3], 0 offen offset:12
	s_waitcnt vmcnt(0)
	ds_write2_b64 v6, v[1:2], v[3:4] offset0:118 offset1:119
	;; [unrolled: 8-line block ×5, first 2 shown]
	ds_read2_b64 v[1:4], v125 offset1:1
	s_waitcnt lgkmcnt(0)
	v_cmp_neq_f64_e32 vcc, 0, v[1:2]
	v_cmp_neq_f64_e64 s[6:7], 0, v[3:4]
	s_or_b64 s[6:7], vcc, s[6:7]
	s_and_b64 exec, exec, s[6:7]
	s_cbranch_execz .LBB125_636
; %bb.631:
	v_cmp_ngt_f64_e64 s[6:7], |v[1:2]|, |v[3:4]|
                                        ; implicit-def: $vgpr10_vgpr11
	s_and_saveexec_b64 s[10:11], s[6:7]
	s_xor_b64 s[6:7], exec, s[10:11]
                                        ; implicit-def: $vgpr12_vgpr13
	s_cbranch_execz .LBB125_633
; %bb.632:
	v_div_scale_f64 v[10:11], s[10:11], v[3:4], v[3:4], v[1:2]
	v_rcp_f64_e32 v[12:13], v[10:11]
	v_fma_f64 v[14:15], -v[10:11], v[12:13], 1.0
	v_fma_f64 v[12:13], v[12:13], v[14:15], v[12:13]
	v_div_scale_f64 v[14:15], vcc, v[1:2], v[3:4], v[1:2]
	v_fma_f64 v[105:106], -v[10:11], v[12:13], 1.0
	v_fma_f64 v[12:13], v[12:13], v[105:106], v[12:13]
	v_mul_f64 v[105:106], v[14:15], v[12:13]
	v_fma_f64 v[10:11], -v[10:11], v[105:106], v[14:15]
	v_div_fmas_f64 v[10:11], v[10:11], v[12:13], v[105:106]
	v_div_fixup_f64 v[10:11], v[10:11], v[3:4], v[1:2]
	v_fma_f64 v[1:2], v[1:2], v[10:11], v[3:4]
	v_div_scale_f64 v[3:4], s[10:11], v[1:2], v[1:2], 1.0
	v_div_scale_f64 v[105:106], vcc, 1.0, v[1:2], 1.0
	v_rcp_f64_e32 v[12:13], v[3:4]
	v_fma_f64 v[14:15], -v[3:4], v[12:13], 1.0
	v_fma_f64 v[12:13], v[12:13], v[14:15], v[12:13]
	v_fma_f64 v[14:15], -v[3:4], v[12:13], 1.0
	v_fma_f64 v[12:13], v[12:13], v[14:15], v[12:13]
	v_mul_f64 v[14:15], v[105:106], v[12:13]
	v_fma_f64 v[3:4], -v[3:4], v[14:15], v[105:106]
	v_div_fmas_f64 v[3:4], v[3:4], v[12:13], v[14:15]
	v_div_fixup_f64 v[12:13], v[3:4], v[1:2], 1.0
                                        ; implicit-def: $vgpr1_vgpr2
	v_mul_f64 v[10:11], v[10:11], v[12:13]
	v_xor_b32_e32 v13, 0x80000000, v13
.LBB125_633:
	s_andn2_saveexec_b64 s[6:7], s[6:7]
	s_cbranch_execz .LBB125_635
; %bb.634:
	v_div_scale_f64 v[10:11], s[10:11], v[1:2], v[1:2], v[3:4]
	v_rcp_f64_e32 v[12:13], v[10:11]
	v_fma_f64 v[14:15], -v[10:11], v[12:13], 1.0
	v_fma_f64 v[12:13], v[12:13], v[14:15], v[12:13]
	v_div_scale_f64 v[14:15], vcc, v[3:4], v[1:2], v[3:4]
	v_fma_f64 v[105:106], -v[10:11], v[12:13], 1.0
	v_fma_f64 v[12:13], v[12:13], v[105:106], v[12:13]
	v_mul_f64 v[105:106], v[14:15], v[12:13]
	v_fma_f64 v[10:11], -v[10:11], v[105:106], v[14:15]
	v_div_fmas_f64 v[10:11], v[10:11], v[12:13], v[105:106]
	v_div_fixup_f64 v[12:13], v[10:11], v[1:2], v[3:4]
	v_fma_f64 v[1:2], v[3:4], v[12:13], v[1:2]
	v_div_scale_f64 v[3:4], s[10:11], v[1:2], v[1:2], 1.0
	v_div_scale_f64 v[105:106], vcc, 1.0, v[1:2], 1.0
	v_rcp_f64_e32 v[10:11], v[3:4]
	v_fma_f64 v[14:15], -v[3:4], v[10:11], 1.0
	v_fma_f64 v[10:11], v[10:11], v[14:15], v[10:11]
	v_fma_f64 v[14:15], -v[3:4], v[10:11], 1.0
	v_fma_f64 v[10:11], v[10:11], v[14:15], v[10:11]
	v_mul_f64 v[14:15], v[105:106], v[10:11]
	v_fma_f64 v[3:4], -v[3:4], v[14:15], v[105:106]
	v_div_fmas_f64 v[3:4], v[3:4], v[10:11], v[14:15]
	v_div_fixup_f64 v[10:11], v[3:4], v[1:2], 1.0
	v_mul_f64 v[12:13], v[12:13], -v[10:11]
.LBB125_635:
	s_or_b64 exec, exec, s[6:7]
	ds_write2_b64 v125, v[10:11], v[12:13] offset1:1
.LBB125_636:
	s_or_b64 exec, exec, s[8:9]
	s_waitcnt lgkmcnt(0)
	s_barrier
	ds_read2_b64 v[105:108], v125 offset1:1
	v_cmp_lt_u32_e32 vcc, 57, v0
	s_and_saveexec_b64 s[6:7], vcc
	s_cbranch_execz .LBB125_638
; %bb.637:
	buffer_load_dword v1, off, s[0:3], 0 offset:912
	buffer_load_dword v2, off, s[0:3], 0 offset:916
	;; [unrolled: 1-line block ×16, first 2 shown]
	s_waitcnt vmcnt(12) lgkmcnt(0)
	v_mul_f64 v[115:116], v[107:108], v[3:4]
	v_mul_f64 v[3:4], v[105:106], v[3:4]
	v_fma_f64 v[115:116], v[105:106], v[1:2], -v[115:116]
	v_fma_f64 v[117:118], v[107:108], v[1:2], v[3:4]
	buffer_store_dword v115, off, s[0:3], 0 offset:912
	buffer_store_dword v116, off, s[0:3], 0 offset:916
	buffer_store_dword v117, off, s[0:3], 0 offset:920
	buffer_store_dword v118, off, s[0:3], 0 offset:924
	ds_read2_b64 v[1:4], v6 offset0:116 offset1:117
	s_waitcnt lgkmcnt(0)
	v_mul_f64 v[119:120], v[3:4], v[117:118]
	v_fma_f64 v[119:120], v[1:2], v[115:116], -v[119:120]
	v_mul_f64 v[1:2], v[1:2], v[117:118]
	v_fma_f64 v[1:2], v[3:4], v[115:116], v[1:2]
	s_waitcnt vmcnt(14)
	v_add_f64 v[3:4], v[10:11], -v[119:120]
	s_waitcnt vmcnt(12)
	v_add_f64 v[1:2], v[12:13], -v[1:2]
	buffer_store_dword v3, off, s[0:3], 0 offset:928
	buffer_store_dword v4, off, s[0:3], 0 offset:932
	buffer_store_dword v1, off, s[0:3], 0 offset:936
	buffer_store_dword v2, off, s[0:3], 0 offset:940
	ds_read2_b64 v[1:4], v6 offset0:118 offset1:119
	s_waitcnt lgkmcnt(0)
	v_mul_f64 v[10:11], v[3:4], v[117:118]
	v_fma_f64 v[10:11], v[1:2], v[115:116], -v[10:11]
	v_mul_f64 v[1:2], v[1:2], v[117:118]
	v_fma_f64 v[1:2], v[3:4], v[115:116], v[1:2]
	s_waitcnt vmcnt(14)
	v_add_f64 v[3:4], v[14:15], -v[10:11]
	s_waitcnt vmcnt(12)
	v_add_f64 v[1:2], v[109:110], -v[1:2]
	;; [unrolled: 14-line block ×3, first 2 shown]
	buffer_store_dword v4, off, s[0:3], 0 offset:964
	buffer_store_dword v3, off, s[0:3], 0 offset:960
	;; [unrolled: 1-line block ×4, first 2 shown]
	ds_read2_b64 v[1:4], v6 offset0:122 offset1:123
	s_waitcnt lgkmcnt(0)
	v_mul_f64 v[10:11], v[3:4], v[117:118]
	v_fma_f64 v[10:11], v[1:2], v[115:116], -v[10:11]
	v_mul_f64 v[1:2], v[1:2], v[117:118]
	v_fma_f64 v[1:2], v[3:4], v[115:116], v[1:2]
	buffer_load_dword v3, off, s[0:3], 0 offset:976
	buffer_load_dword v4, off, s[0:3], 0 offset:980
	;; [unrolled: 1-line block ×4, first 2 shown]
	s_waitcnt vmcnt(2)
	v_add_f64 v[3:4], v[3:4], -v[10:11]
	s_waitcnt vmcnt(0)
	v_add_f64 v[1:2], v[12:13], -v[1:2]
	buffer_store_dword v4, off, s[0:3], 0 offset:980
	buffer_store_dword v3, off, s[0:3], 0 offset:976
	;; [unrolled: 1-line block ×4, first 2 shown]
	ds_read2_b64 v[1:4], v6 offset0:124 offset1:125
	s_waitcnt lgkmcnt(0)
	v_mul_f64 v[10:11], v[3:4], v[117:118]
	v_fma_f64 v[10:11], v[1:2], v[115:116], -v[10:11]
	v_mul_f64 v[1:2], v[1:2], v[117:118]
	v_fma_f64 v[1:2], v[3:4], v[115:116], v[1:2]
	buffer_load_dword v3, off, s[0:3], 0 offset:992
	buffer_load_dword v4, off, s[0:3], 0 offset:996
	buffer_load_dword v12, off, s[0:3], 0 offset:1000
	buffer_load_dword v13, off, s[0:3], 0 offset:1004
	s_waitcnt vmcnt(2)
	v_add_f64 v[3:4], v[3:4], -v[10:11]
	s_waitcnt vmcnt(0)
	v_add_f64 v[1:2], v[12:13], -v[1:2]
	buffer_store_dword v4, off, s[0:3], 0 offset:996
	buffer_store_dword v3, off, s[0:3], 0 offset:992
	;; [unrolled: 1-line block ×4, first 2 shown]
.LBB125_638:
	s_or_b64 exec, exec, s[6:7]
	v_cmp_eq_u32_e32 vcc, 58, v0
	s_waitcnt vmcnt(0) lgkmcnt(0)
	s_barrier
	s_and_saveexec_b64 s[8:9], vcc
	s_cbranch_execz .LBB125_645
; %bb.639:
	v_mov_b32_e32 v4, s18
	buffer_load_dword v1, v4, s[0:3], 0 offen
	buffer_load_dword v2, v4, s[0:3], 0 offen offset:4
	buffer_load_dword v3, v4, s[0:3], 0 offen offset:8
	s_nop 0
	buffer_load_dword v4, v4, s[0:3], 0 offen offset:12
	s_waitcnt vmcnt(0)
	ds_write2_b64 v125, v[1:2], v[3:4] offset1:1
	v_mov_b32_e32 v4, s17
	buffer_load_dword v1, v4, s[0:3], 0 offen
	buffer_load_dword v2, v4, s[0:3], 0 offen offset:4
	buffer_load_dword v3, v4, s[0:3], 0 offen offset:8
	s_nop 0
	buffer_load_dword v4, v4, s[0:3], 0 offen offset:12
	s_waitcnt vmcnt(0)
	ds_write2_b64 v6, v[1:2], v[3:4] offset0:118 offset1:119
	v_mov_b32_e32 v4, s14
	buffer_load_dword v1, v4, s[0:3], 0 offen
	buffer_load_dword v2, v4, s[0:3], 0 offen offset:4
	buffer_load_dword v3, v4, s[0:3], 0 offen offset:8
	s_nop 0
	buffer_load_dword v4, v4, s[0:3], 0 offen offset:12
	s_waitcnt vmcnt(0)
	ds_write2_b64 v6, v[1:2], v[3:4] offset0:120 offset1:121
	;; [unrolled: 8-line block ×4, first 2 shown]
	ds_read2_b64 v[1:4], v125 offset1:1
	s_waitcnt lgkmcnt(0)
	v_cmp_neq_f64_e32 vcc, 0, v[1:2]
	v_cmp_neq_f64_e64 s[6:7], 0, v[3:4]
	s_or_b64 s[6:7], vcc, s[6:7]
	s_and_b64 exec, exec, s[6:7]
	s_cbranch_execz .LBB125_645
; %bb.640:
	v_cmp_ngt_f64_e64 s[6:7], |v[1:2]|, |v[3:4]|
                                        ; implicit-def: $vgpr10_vgpr11
	s_and_saveexec_b64 s[10:11], s[6:7]
	s_xor_b64 s[6:7], exec, s[10:11]
                                        ; implicit-def: $vgpr12_vgpr13
	s_cbranch_execz .LBB125_642
; %bb.641:
	v_div_scale_f64 v[10:11], s[10:11], v[3:4], v[3:4], v[1:2]
	v_rcp_f64_e32 v[12:13], v[10:11]
	v_fma_f64 v[14:15], -v[10:11], v[12:13], 1.0
	v_fma_f64 v[12:13], v[12:13], v[14:15], v[12:13]
	v_div_scale_f64 v[14:15], vcc, v[1:2], v[3:4], v[1:2]
	v_fma_f64 v[109:110], -v[10:11], v[12:13], 1.0
	v_fma_f64 v[12:13], v[12:13], v[109:110], v[12:13]
	v_mul_f64 v[109:110], v[14:15], v[12:13]
	v_fma_f64 v[10:11], -v[10:11], v[109:110], v[14:15]
	v_div_fmas_f64 v[10:11], v[10:11], v[12:13], v[109:110]
	v_div_fixup_f64 v[10:11], v[10:11], v[3:4], v[1:2]
	v_fma_f64 v[1:2], v[1:2], v[10:11], v[3:4]
	v_div_scale_f64 v[3:4], s[10:11], v[1:2], v[1:2], 1.0
	v_div_scale_f64 v[109:110], vcc, 1.0, v[1:2], 1.0
	v_rcp_f64_e32 v[12:13], v[3:4]
	v_fma_f64 v[14:15], -v[3:4], v[12:13], 1.0
	v_fma_f64 v[12:13], v[12:13], v[14:15], v[12:13]
	v_fma_f64 v[14:15], -v[3:4], v[12:13], 1.0
	v_fma_f64 v[12:13], v[12:13], v[14:15], v[12:13]
	v_mul_f64 v[14:15], v[109:110], v[12:13]
	v_fma_f64 v[3:4], -v[3:4], v[14:15], v[109:110]
	v_div_fmas_f64 v[3:4], v[3:4], v[12:13], v[14:15]
	v_div_fixup_f64 v[12:13], v[3:4], v[1:2], 1.0
                                        ; implicit-def: $vgpr1_vgpr2
	v_mul_f64 v[10:11], v[10:11], v[12:13]
	v_xor_b32_e32 v13, 0x80000000, v13
.LBB125_642:
	s_andn2_saveexec_b64 s[6:7], s[6:7]
	s_cbranch_execz .LBB125_644
; %bb.643:
	v_div_scale_f64 v[10:11], s[10:11], v[1:2], v[1:2], v[3:4]
	v_rcp_f64_e32 v[12:13], v[10:11]
	v_fma_f64 v[14:15], -v[10:11], v[12:13], 1.0
	v_fma_f64 v[12:13], v[12:13], v[14:15], v[12:13]
	v_div_scale_f64 v[14:15], vcc, v[3:4], v[1:2], v[3:4]
	v_fma_f64 v[109:110], -v[10:11], v[12:13], 1.0
	v_fma_f64 v[12:13], v[12:13], v[109:110], v[12:13]
	v_mul_f64 v[109:110], v[14:15], v[12:13]
	v_fma_f64 v[10:11], -v[10:11], v[109:110], v[14:15]
	v_div_fmas_f64 v[10:11], v[10:11], v[12:13], v[109:110]
	v_div_fixup_f64 v[12:13], v[10:11], v[1:2], v[3:4]
	v_fma_f64 v[1:2], v[3:4], v[12:13], v[1:2]
	v_div_scale_f64 v[3:4], s[10:11], v[1:2], v[1:2], 1.0
	v_div_scale_f64 v[109:110], vcc, 1.0, v[1:2], 1.0
	v_rcp_f64_e32 v[10:11], v[3:4]
	v_fma_f64 v[14:15], -v[3:4], v[10:11], 1.0
	v_fma_f64 v[10:11], v[10:11], v[14:15], v[10:11]
	v_fma_f64 v[14:15], -v[3:4], v[10:11], 1.0
	v_fma_f64 v[10:11], v[10:11], v[14:15], v[10:11]
	v_mul_f64 v[14:15], v[109:110], v[10:11]
	v_fma_f64 v[3:4], -v[3:4], v[14:15], v[109:110]
	v_div_fmas_f64 v[3:4], v[3:4], v[10:11], v[14:15]
	v_div_fixup_f64 v[10:11], v[3:4], v[1:2], 1.0
	v_mul_f64 v[12:13], v[12:13], -v[10:11]
.LBB125_644:
	s_or_b64 exec, exec, s[6:7]
	ds_write2_b64 v125, v[10:11], v[12:13] offset1:1
.LBB125_645:
	s_or_b64 exec, exec, s[8:9]
	s_waitcnt lgkmcnt(0)
	s_barrier
	ds_read2_b64 v[109:112], v125 offset1:1
	v_cmp_lt_u32_e32 vcc, 58, v0
	s_and_saveexec_b64 s[6:7], vcc
	s_cbranch_execz .LBB125_647
; %bb.646:
	buffer_load_dword v1, off, s[0:3], 0 offset:928
	buffer_load_dword v2, off, s[0:3], 0 offset:932
	buffer_load_dword v3, off, s[0:3], 0 offset:936
	buffer_load_dword v4, off, s[0:3], 0 offset:940
	buffer_load_dword v10, off, s[0:3], 0 offset:944
	buffer_load_dword v11, off, s[0:3], 0 offset:948
	buffer_load_dword v12, off, s[0:3], 0 offset:952
	buffer_load_dword v13, off, s[0:3], 0 offset:956
	buffer_load_dword v14, off, s[0:3], 0 offset:960
	buffer_load_dword v15, off, s[0:3], 0 offset:964
	buffer_load_dword v113, off, s[0:3], 0 offset:968
	buffer_load_dword v114, off, s[0:3], 0 offset:972
	buffer_load_dword v115, off, s[0:3], 0 offset:976
	buffer_load_dword v116, off, s[0:3], 0 offset:980
	buffer_load_dword v117, off, s[0:3], 0 offset:984
	buffer_load_dword v118, off, s[0:3], 0 offset:988
	s_waitcnt vmcnt(12) lgkmcnt(0)
	v_mul_f64 v[119:120], v[111:112], v[3:4]
	v_mul_f64 v[3:4], v[109:110], v[3:4]
	v_fma_f64 v[119:120], v[109:110], v[1:2], -v[119:120]
	v_fma_f64 v[121:122], v[111:112], v[1:2], v[3:4]
	buffer_store_dword v119, off, s[0:3], 0 offset:928
	buffer_store_dword v120, off, s[0:3], 0 offset:932
	buffer_store_dword v121, off, s[0:3], 0 offset:936
	buffer_store_dword v122, off, s[0:3], 0 offset:940
	ds_read2_b64 v[1:4], v6 offset0:118 offset1:119
	s_waitcnt lgkmcnt(0)
	v_mul_f64 v[123:124], v[3:4], v[121:122]
	v_fma_f64 v[123:124], v[1:2], v[119:120], -v[123:124]
	v_mul_f64 v[1:2], v[1:2], v[121:122]
	v_fma_f64 v[1:2], v[3:4], v[119:120], v[1:2]
	s_waitcnt vmcnt(14)
	v_add_f64 v[3:4], v[10:11], -v[123:124]
	s_waitcnt vmcnt(12)
	v_add_f64 v[1:2], v[12:13], -v[1:2]
	buffer_store_dword v3, off, s[0:3], 0 offset:944
	buffer_store_dword v4, off, s[0:3], 0 offset:948
	buffer_store_dword v1, off, s[0:3], 0 offset:952
	buffer_store_dword v2, off, s[0:3], 0 offset:956
	ds_read2_b64 v[1:4], v6 offset0:120 offset1:121
	s_waitcnt lgkmcnt(0)
	v_mul_f64 v[10:11], v[3:4], v[121:122]
	v_fma_f64 v[10:11], v[1:2], v[119:120], -v[10:11]
	v_mul_f64 v[1:2], v[1:2], v[121:122]
	v_fma_f64 v[1:2], v[3:4], v[119:120], v[1:2]
	s_waitcnt vmcnt(14)
	v_add_f64 v[3:4], v[14:15], -v[10:11]
	s_waitcnt vmcnt(12)
	v_add_f64 v[1:2], v[113:114], -v[1:2]
	;; [unrolled: 14-line block ×3, first 2 shown]
	buffer_store_dword v4, off, s[0:3], 0 offset:980
	buffer_store_dword v3, off, s[0:3], 0 offset:976
	;; [unrolled: 1-line block ×4, first 2 shown]
	ds_read2_b64 v[10:13], v6 offset0:124 offset1:125
	s_waitcnt lgkmcnt(0)
	v_mul_f64 v[1:2], v[12:13], v[121:122]
	v_fma_f64 v[3:4], v[10:11], v[119:120], -v[1:2]
	v_mul_f64 v[1:2], v[10:11], v[121:122]
	v_fma_f64 v[1:2], v[12:13], v[119:120], v[1:2]
	buffer_load_dword v10, off, s[0:3], 0 offset:992
	buffer_load_dword v11, off, s[0:3], 0 offset:996
	buffer_load_dword v12, off, s[0:3], 0 offset:1000
	buffer_load_dword v13, off, s[0:3], 0 offset:1004
	s_waitcnt vmcnt(2)
	v_add_f64 v[3:4], v[10:11], -v[3:4]
	s_waitcnt vmcnt(0)
	v_add_f64 v[1:2], v[12:13], -v[1:2]
	buffer_store_dword v4, off, s[0:3], 0 offset:996
	buffer_store_dword v3, off, s[0:3], 0 offset:992
	buffer_store_dword v2, off, s[0:3], 0 offset:1004
	buffer_store_dword v1, off, s[0:3], 0 offset:1000
.LBB125_647:
	s_or_b64 exec, exec, s[6:7]
	v_cmp_eq_u32_e32 vcc, 59, v0
	s_waitcnt vmcnt(0) lgkmcnt(0)
	s_barrier
	s_and_saveexec_b64 s[8:9], vcc
	s_cbranch_execz .LBB125_654
; %bb.648:
	v_mov_b32_e32 v4, s17
	buffer_load_dword v1, v4, s[0:3], 0 offen
	buffer_load_dword v2, v4, s[0:3], 0 offen offset:4
	buffer_load_dword v3, v4, s[0:3], 0 offen offset:8
	s_nop 0
	buffer_load_dword v4, v4, s[0:3], 0 offen offset:12
	s_waitcnt vmcnt(0)
	ds_write2_b64 v125, v[1:2], v[3:4] offset1:1
	v_mov_b32_e32 v4, s14
	buffer_load_dword v1, v4, s[0:3], 0 offen
	buffer_load_dword v2, v4, s[0:3], 0 offen offset:4
	buffer_load_dword v3, v4, s[0:3], 0 offen offset:8
	s_nop 0
	buffer_load_dword v4, v4, s[0:3], 0 offen offset:12
	s_waitcnt vmcnt(0)
	ds_write2_b64 v6, v[1:2], v[3:4] offset0:120 offset1:121
	v_mov_b32_e32 v4, s16
	buffer_load_dword v1, v4, s[0:3], 0 offen
	buffer_load_dword v2, v4, s[0:3], 0 offen offset:4
	buffer_load_dword v3, v4, s[0:3], 0 offen offset:8
	s_nop 0
	buffer_load_dword v4, v4, s[0:3], 0 offen offset:12
	s_waitcnt vmcnt(0)
	ds_write2_b64 v6, v[1:2], v[3:4] offset0:122 offset1:123
	;; [unrolled: 8-line block ×3, first 2 shown]
	ds_read2_b64 v[1:4], v125 offset1:1
	s_waitcnt lgkmcnt(0)
	v_cmp_neq_f64_e32 vcc, 0, v[1:2]
	v_cmp_neq_f64_e64 s[6:7], 0, v[3:4]
	s_or_b64 s[6:7], vcc, s[6:7]
	s_and_b64 exec, exec, s[6:7]
	s_cbranch_execz .LBB125_654
; %bb.649:
	v_cmp_ngt_f64_e64 s[6:7], |v[1:2]|, |v[3:4]|
                                        ; implicit-def: $vgpr10_vgpr11
	s_and_saveexec_b64 s[10:11], s[6:7]
	s_xor_b64 s[6:7], exec, s[10:11]
                                        ; implicit-def: $vgpr12_vgpr13
	s_cbranch_execz .LBB125_651
; %bb.650:
	v_div_scale_f64 v[10:11], s[10:11], v[3:4], v[3:4], v[1:2]
	v_rcp_f64_e32 v[12:13], v[10:11]
	v_fma_f64 v[14:15], -v[10:11], v[12:13], 1.0
	v_fma_f64 v[12:13], v[12:13], v[14:15], v[12:13]
	v_div_scale_f64 v[14:15], vcc, v[1:2], v[3:4], v[1:2]
	v_fma_f64 v[113:114], -v[10:11], v[12:13], 1.0
	v_fma_f64 v[12:13], v[12:13], v[113:114], v[12:13]
	v_mul_f64 v[113:114], v[14:15], v[12:13]
	v_fma_f64 v[10:11], -v[10:11], v[113:114], v[14:15]
	v_div_fmas_f64 v[10:11], v[10:11], v[12:13], v[113:114]
	v_div_fixup_f64 v[10:11], v[10:11], v[3:4], v[1:2]
	v_fma_f64 v[1:2], v[1:2], v[10:11], v[3:4]
	v_div_scale_f64 v[3:4], s[10:11], v[1:2], v[1:2], 1.0
	v_div_scale_f64 v[113:114], vcc, 1.0, v[1:2], 1.0
	v_rcp_f64_e32 v[12:13], v[3:4]
	v_fma_f64 v[14:15], -v[3:4], v[12:13], 1.0
	v_fma_f64 v[12:13], v[12:13], v[14:15], v[12:13]
	v_fma_f64 v[14:15], -v[3:4], v[12:13], 1.0
	v_fma_f64 v[12:13], v[12:13], v[14:15], v[12:13]
	v_mul_f64 v[14:15], v[113:114], v[12:13]
	v_fma_f64 v[3:4], -v[3:4], v[14:15], v[113:114]
	v_div_fmas_f64 v[3:4], v[3:4], v[12:13], v[14:15]
	v_div_fixup_f64 v[12:13], v[3:4], v[1:2], 1.0
                                        ; implicit-def: $vgpr1_vgpr2
	v_mul_f64 v[10:11], v[10:11], v[12:13]
	v_xor_b32_e32 v13, 0x80000000, v13
.LBB125_651:
	s_andn2_saveexec_b64 s[6:7], s[6:7]
	s_cbranch_execz .LBB125_653
; %bb.652:
	v_div_scale_f64 v[10:11], s[10:11], v[1:2], v[1:2], v[3:4]
	v_rcp_f64_e32 v[12:13], v[10:11]
	v_fma_f64 v[14:15], -v[10:11], v[12:13], 1.0
	v_fma_f64 v[12:13], v[12:13], v[14:15], v[12:13]
	v_div_scale_f64 v[14:15], vcc, v[3:4], v[1:2], v[3:4]
	v_fma_f64 v[113:114], -v[10:11], v[12:13], 1.0
	v_fma_f64 v[12:13], v[12:13], v[113:114], v[12:13]
	v_mul_f64 v[113:114], v[14:15], v[12:13]
	v_fma_f64 v[10:11], -v[10:11], v[113:114], v[14:15]
	v_div_fmas_f64 v[10:11], v[10:11], v[12:13], v[113:114]
	v_div_fixup_f64 v[12:13], v[10:11], v[1:2], v[3:4]
	v_fma_f64 v[1:2], v[3:4], v[12:13], v[1:2]
	v_div_scale_f64 v[3:4], s[10:11], v[1:2], v[1:2], 1.0
	v_div_scale_f64 v[113:114], vcc, 1.0, v[1:2], 1.0
	v_rcp_f64_e32 v[10:11], v[3:4]
	v_fma_f64 v[14:15], -v[3:4], v[10:11], 1.0
	v_fma_f64 v[10:11], v[10:11], v[14:15], v[10:11]
	v_fma_f64 v[14:15], -v[3:4], v[10:11], 1.0
	v_fma_f64 v[10:11], v[10:11], v[14:15], v[10:11]
	v_mul_f64 v[14:15], v[113:114], v[10:11]
	v_fma_f64 v[3:4], -v[3:4], v[14:15], v[113:114]
	v_div_fmas_f64 v[3:4], v[3:4], v[10:11], v[14:15]
	v_div_fixup_f64 v[10:11], v[3:4], v[1:2], 1.0
	v_mul_f64 v[12:13], v[12:13], -v[10:11]
.LBB125_653:
	s_or_b64 exec, exec, s[6:7]
	ds_write2_b64 v125, v[10:11], v[12:13] offset1:1
.LBB125_654:
	s_or_b64 exec, exec, s[8:9]
	s_waitcnt lgkmcnt(0)
	s_barrier
	ds_read2_b64 v[113:116], v125 offset1:1
	v_cmp_lt_u32_e32 vcc, 59, v0
	s_and_saveexec_b64 s[6:7], vcc
	s_cbranch_execz .LBB125_656
; %bb.655:
	buffer_load_dword v1, off, s[0:3], 0 offset:944
	buffer_load_dword v2, off, s[0:3], 0 offset:948
	;; [unrolled: 1-line block ×16, first 2 shown]
	s_waitcnt vmcnt(12) lgkmcnt(0)
	v_mul_f64 v[123:124], v[115:116], v[3:4]
	v_mul_f64 v[3:4], v[113:114], v[3:4]
	v_fma_f64 v[123:124], v[113:114], v[1:2], -v[123:124]
	v_fma_f64 v[16:17], v[115:116], v[1:2], v[3:4]
	buffer_store_dword v123, off, s[0:3], 0 offset:944
	buffer_store_dword v124, off, s[0:3], 0 offset:948
	buffer_store_dword v16, off, s[0:3], 0 offset:952
	buffer_store_dword v17, off, s[0:3], 0 offset:956
	ds_read2_b64 v[1:4], v6 offset0:120 offset1:121
	s_waitcnt lgkmcnt(0)
	v_mul_f64 v[18:19], v[3:4], v[16:17]
	v_fma_f64 v[18:19], v[1:2], v[123:124], -v[18:19]
	v_mul_f64 v[1:2], v[1:2], v[16:17]
	v_fma_f64 v[1:2], v[3:4], v[123:124], v[1:2]
	s_waitcnt vmcnt(14)
	v_add_f64 v[3:4], v[10:11], -v[18:19]
	s_waitcnt vmcnt(12)
	v_add_f64 v[1:2], v[12:13], -v[1:2]
	buffer_store_dword v3, off, s[0:3], 0 offset:960
	buffer_store_dword v4, off, s[0:3], 0 offset:964
	buffer_store_dword v1, off, s[0:3], 0 offset:968
	buffer_store_dword v2, off, s[0:3], 0 offset:972
	ds_read2_b64 v[1:4], v6 offset0:122 offset1:123
	s_waitcnt lgkmcnt(0)
	v_mul_f64 v[10:11], v[3:4], v[16:17]
	v_fma_f64 v[10:11], v[1:2], v[123:124], -v[10:11]
	v_mul_f64 v[1:2], v[1:2], v[16:17]
	v_fma_f64 v[1:2], v[3:4], v[123:124], v[1:2]
	s_waitcnt vmcnt(14)
	v_add_f64 v[3:4], v[14:15], -v[10:11]
	s_waitcnt vmcnt(12)
	v_add_f64 v[1:2], v[117:118], -v[1:2]
	;; [unrolled: 14-line block ×3, first 2 shown]
	buffer_store_dword v4, off, s[0:3], 0 offset:996
	buffer_store_dword v3, off, s[0:3], 0 offset:992
	;; [unrolled: 1-line block ×4, first 2 shown]
.LBB125_656:
	s_or_b64 exec, exec, s[6:7]
	v_cmp_eq_u32_e32 vcc, 60, v0
	s_waitcnt vmcnt(0) lgkmcnt(0)
	s_barrier
	s_and_saveexec_b64 s[8:9], vcc
	s_cbranch_execz .LBB125_663
; %bb.657:
	v_mov_b32_e32 v4, s14
	buffer_load_dword v1, v4, s[0:3], 0 offen
	buffer_load_dword v2, v4, s[0:3], 0 offen offset:4
	buffer_load_dword v3, v4, s[0:3], 0 offen offset:8
	s_nop 0
	buffer_load_dword v4, v4, s[0:3], 0 offen offset:12
	s_waitcnt vmcnt(0)
	ds_write2_b64 v125, v[1:2], v[3:4] offset1:1
	v_mov_b32_e32 v4, s16
	buffer_load_dword v1, v4, s[0:3], 0 offen
	buffer_load_dword v2, v4, s[0:3], 0 offen offset:4
	buffer_load_dword v3, v4, s[0:3], 0 offen offset:8
	s_nop 0
	buffer_load_dword v4, v4, s[0:3], 0 offen offset:12
	s_waitcnt vmcnt(0)
	ds_write2_b64 v6, v[1:2], v[3:4] offset0:122 offset1:123
	v_mov_b32_e32 v4, s33
	buffer_load_dword v1, v4, s[0:3], 0 offen
	buffer_load_dword v2, v4, s[0:3], 0 offen offset:4
	buffer_load_dword v3, v4, s[0:3], 0 offen offset:8
	s_nop 0
	buffer_load_dword v4, v4, s[0:3], 0 offen offset:12
	s_waitcnt vmcnt(0)
	ds_write2_b64 v6, v[1:2], v[3:4] offset0:124 offset1:125
	ds_read2_b64 v[1:4], v125 offset1:1
	s_waitcnt lgkmcnt(0)
	v_cmp_neq_f64_e32 vcc, 0, v[1:2]
	v_cmp_neq_f64_e64 s[6:7], 0, v[3:4]
	s_or_b64 s[6:7], vcc, s[6:7]
	s_and_b64 exec, exec, s[6:7]
	s_cbranch_execz .LBB125_663
; %bb.658:
	v_cmp_ngt_f64_e64 s[6:7], |v[1:2]|, |v[3:4]|
                                        ; implicit-def: $vgpr10_vgpr11
	s_and_saveexec_b64 s[10:11], s[6:7]
	s_xor_b64 s[6:7], exec, s[10:11]
                                        ; implicit-def: $vgpr12_vgpr13
	s_cbranch_execz .LBB125_660
; %bb.659:
	v_div_scale_f64 v[10:11], s[10:11], v[3:4], v[3:4], v[1:2]
	v_rcp_f64_e32 v[12:13], v[10:11]
	v_fma_f64 v[14:15], -v[10:11], v[12:13], 1.0
	v_fma_f64 v[12:13], v[12:13], v[14:15], v[12:13]
	v_div_scale_f64 v[14:15], vcc, v[1:2], v[3:4], v[1:2]
	v_fma_f64 v[16:17], -v[10:11], v[12:13], 1.0
	v_fma_f64 v[12:13], v[12:13], v[16:17], v[12:13]
	v_mul_f64 v[16:17], v[14:15], v[12:13]
	v_fma_f64 v[10:11], -v[10:11], v[16:17], v[14:15]
	v_div_fmas_f64 v[10:11], v[10:11], v[12:13], v[16:17]
	v_div_fixup_f64 v[10:11], v[10:11], v[3:4], v[1:2]
	v_fma_f64 v[1:2], v[1:2], v[10:11], v[3:4]
	v_div_scale_f64 v[3:4], s[10:11], v[1:2], v[1:2], 1.0
	v_div_scale_f64 v[16:17], vcc, 1.0, v[1:2], 1.0
	v_rcp_f64_e32 v[12:13], v[3:4]
	v_fma_f64 v[14:15], -v[3:4], v[12:13], 1.0
	v_fma_f64 v[12:13], v[12:13], v[14:15], v[12:13]
	v_fma_f64 v[14:15], -v[3:4], v[12:13], 1.0
	v_fma_f64 v[12:13], v[12:13], v[14:15], v[12:13]
	v_mul_f64 v[14:15], v[16:17], v[12:13]
	v_fma_f64 v[3:4], -v[3:4], v[14:15], v[16:17]
	v_div_fmas_f64 v[3:4], v[3:4], v[12:13], v[14:15]
	v_div_fixup_f64 v[12:13], v[3:4], v[1:2], 1.0
                                        ; implicit-def: $vgpr1_vgpr2
	v_mul_f64 v[10:11], v[10:11], v[12:13]
	v_xor_b32_e32 v13, 0x80000000, v13
.LBB125_660:
	s_andn2_saveexec_b64 s[6:7], s[6:7]
	s_cbranch_execz .LBB125_662
; %bb.661:
	v_div_scale_f64 v[10:11], s[10:11], v[1:2], v[1:2], v[3:4]
	v_rcp_f64_e32 v[12:13], v[10:11]
	v_fma_f64 v[14:15], -v[10:11], v[12:13], 1.0
	v_fma_f64 v[12:13], v[12:13], v[14:15], v[12:13]
	v_div_scale_f64 v[14:15], vcc, v[3:4], v[1:2], v[3:4]
	v_fma_f64 v[16:17], -v[10:11], v[12:13], 1.0
	v_fma_f64 v[12:13], v[12:13], v[16:17], v[12:13]
	v_mul_f64 v[16:17], v[14:15], v[12:13]
	v_fma_f64 v[10:11], -v[10:11], v[16:17], v[14:15]
	v_div_fmas_f64 v[10:11], v[10:11], v[12:13], v[16:17]
	v_div_fixup_f64 v[12:13], v[10:11], v[1:2], v[3:4]
	v_fma_f64 v[1:2], v[3:4], v[12:13], v[1:2]
	v_div_scale_f64 v[3:4], s[10:11], v[1:2], v[1:2], 1.0
	v_div_scale_f64 v[16:17], vcc, 1.0, v[1:2], 1.0
	v_rcp_f64_e32 v[10:11], v[3:4]
	v_fma_f64 v[14:15], -v[3:4], v[10:11], 1.0
	v_fma_f64 v[10:11], v[10:11], v[14:15], v[10:11]
	v_fma_f64 v[14:15], -v[3:4], v[10:11], 1.0
	v_fma_f64 v[10:11], v[10:11], v[14:15], v[10:11]
	v_mul_f64 v[14:15], v[16:17], v[10:11]
	v_fma_f64 v[3:4], -v[3:4], v[14:15], v[16:17]
	v_div_fmas_f64 v[3:4], v[3:4], v[10:11], v[14:15]
	v_div_fixup_f64 v[10:11], v[3:4], v[1:2], 1.0
	v_mul_f64 v[12:13], v[12:13], -v[10:11]
.LBB125_662:
	s_or_b64 exec, exec, s[6:7]
	ds_write2_b64 v125, v[10:11], v[12:13] offset1:1
.LBB125_663:
	s_or_b64 exec, exec, s[8:9]
	s_waitcnt lgkmcnt(0)
	s_barrier
	ds_read2_b64 v[117:120], v125 offset1:1
	v_cmp_lt_u32_e32 vcc, 60, v0
	s_and_saveexec_b64 s[6:7], vcc
	s_cbranch_execz .LBB125_665
; %bb.664:
	buffer_load_dword v1, off, s[0:3], 0 offset:960
	buffer_load_dword v2, off, s[0:3], 0 offset:964
	;; [unrolled: 1-line block ×12, first 2 shown]
	s_waitcnt vmcnt(8) lgkmcnt(0)
	v_mul_f64 v[18:19], v[119:120], v[3:4]
	v_mul_f64 v[3:4], v[117:118], v[3:4]
	v_fma_f64 v[18:19], v[117:118], v[1:2], -v[18:19]
	v_fma_f64 v[121:122], v[119:120], v[1:2], v[3:4]
	buffer_store_dword v18, off, s[0:3], 0 offset:960
	buffer_store_dword v19, off, s[0:3], 0 offset:964
	;; [unrolled: 1-line block ×4, first 2 shown]
	ds_read2_b64 v[1:4], v6 offset0:122 offset1:123
	s_waitcnt lgkmcnt(0)
	v_mul_f64 v[123:124], v[3:4], v[121:122]
	v_fma_f64 v[123:124], v[1:2], v[18:19], -v[123:124]
	v_mul_f64 v[1:2], v[1:2], v[121:122]
	v_fma_f64 v[1:2], v[3:4], v[18:19], v[1:2]
	s_waitcnt vmcnt(10)
	v_add_f64 v[3:4], v[10:11], -v[123:124]
	s_waitcnt vmcnt(8)
	v_add_f64 v[1:2], v[12:13], -v[1:2]
	buffer_store_dword v3, off, s[0:3], 0 offset:976
	buffer_store_dword v4, off, s[0:3], 0 offset:980
	;; [unrolled: 1-line block ×4, first 2 shown]
	ds_read2_b64 v[1:4], v6 offset0:124 offset1:125
	s_waitcnt lgkmcnt(0)
	v_mul_f64 v[10:11], v[3:4], v[121:122]
	v_fma_f64 v[10:11], v[1:2], v[18:19], -v[10:11]
	v_mul_f64 v[1:2], v[1:2], v[121:122]
	v_fma_f64 v[1:2], v[3:4], v[18:19], v[1:2]
	s_waitcnt vmcnt(10)
	v_add_f64 v[3:4], v[14:15], -v[10:11]
	s_waitcnt vmcnt(8)
	v_add_f64 v[1:2], v[16:17], -v[1:2]
	buffer_store_dword v3, off, s[0:3], 0 offset:992
	buffer_store_dword v4, off, s[0:3], 0 offset:996
	;; [unrolled: 1-line block ×4, first 2 shown]
.LBB125_665:
	s_or_b64 exec, exec, s[6:7]
	v_cmp_eq_u32_e32 vcc, 61, v0
	s_waitcnt vmcnt(0) lgkmcnt(0)
	s_barrier
	s_and_saveexec_b64 s[8:9], vcc
	s_cbranch_execz .LBB125_672
; %bb.666:
	v_mov_b32_e32 v4, s16
	buffer_load_dword v1, v4, s[0:3], 0 offen
	buffer_load_dword v2, v4, s[0:3], 0 offen offset:4
	buffer_load_dword v3, v4, s[0:3], 0 offen offset:8
	s_nop 0
	buffer_load_dword v4, v4, s[0:3], 0 offen offset:12
	s_waitcnt vmcnt(0)
	ds_write2_b64 v125, v[1:2], v[3:4] offset1:1
	v_mov_b32_e32 v4, s33
	buffer_load_dword v1, v4, s[0:3], 0 offen
	buffer_load_dword v2, v4, s[0:3], 0 offen offset:4
	buffer_load_dword v3, v4, s[0:3], 0 offen offset:8
	s_nop 0
	buffer_load_dword v4, v4, s[0:3], 0 offen offset:12
	s_waitcnt vmcnt(0)
	ds_write2_b64 v6, v[1:2], v[3:4] offset0:124 offset1:125
	ds_read2_b64 v[1:4], v125 offset1:1
	s_waitcnt lgkmcnt(0)
	v_cmp_neq_f64_e32 vcc, 0, v[1:2]
	v_cmp_neq_f64_e64 s[6:7], 0, v[3:4]
	s_or_b64 s[6:7], vcc, s[6:7]
	s_and_b64 exec, exec, s[6:7]
	s_cbranch_execz .LBB125_672
; %bb.667:
	v_cmp_ngt_f64_e64 s[6:7], |v[1:2]|, |v[3:4]|
                                        ; implicit-def: $vgpr10_vgpr11
	s_and_saveexec_b64 s[10:11], s[6:7]
	s_xor_b64 s[6:7], exec, s[10:11]
                                        ; implicit-def: $vgpr12_vgpr13
	s_cbranch_execz .LBB125_669
; %bb.668:
	v_div_scale_f64 v[10:11], s[10:11], v[3:4], v[3:4], v[1:2]
	v_rcp_f64_e32 v[12:13], v[10:11]
	v_fma_f64 v[14:15], -v[10:11], v[12:13], 1.0
	v_fma_f64 v[12:13], v[12:13], v[14:15], v[12:13]
	v_div_scale_f64 v[14:15], vcc, v[1:2], v[3:4], v[1:2]
	v_fma_f64 v[16:17], -v[10:11], v[12:13], 1.0
	v_fma_f64 v[12:13], v[12:13], v[16:17], v[12:13]
	v_mul_f64 v[16:17], v[14:15], v[12:13]
	v_fma_f64 v[10:11], -v[10:11], v[16:17], v[14:15]
	v_div_fmas_f64 v[10:11], v[10:11], v[12:13], v[16:17]
	v_div_fixup_f64 v[10:11], v[10:11], v[3:4], v[1:2]
	v_fma_f64 v[1:2], v[1:2], v[10:11], v[3:4]
	v_div_scale_f64 v[3:4], s[10:11], v[1:2], v[1:2], 1.0
	v_div_scale_f64 v[16:17], vcc, 1.0, v[1:2], 1.0
	v_rcp_f64_e32 v[12:13], v[3:4]
	v_fma_f64 v[14:15], -v[3:4], v[12:13], 1.0
	v_fma_f64 v[12:13], v[12:13], v[14:15], v[12:13]
	v_fma_f64 v[14:15], -v[3:4], v[12:13], 1.0
	v_fma_f64 v[12:13], v[12:13], v[14:15], v[12:13]
	v_mul_f64 v[14:15], v[16:17], v[12:13]
	v_fma_f64 v[3:4], -v[3:4], v[14:15], v[16:17]
	v_div_fmas_f64 v[3:4], v[3:4], v[12:13], v[14:15]
	v_div_fixup_f64 v[12:13], v[3:4], v[1:2], 1.0
                                        ; implicit-def: $vgpr1_vgpr2
	v_mul_f64 v[10:11], v[10:11], v[12:13]
	v_xor_b32_e32 v13, 0x80000000, v13
.LBB125_669:
	s_andn2_saveexec_b64 s[6:7], s[6:7]
	s_cbranch_execz .LBB125_671
; %bb.670:
	v_div_scale_f64 v[10:11], s[10:11], v[1:2], v[1:2], v[3:4]
	v_rcp_f64_e32 v[12:13], v[10:11]
	v_fma_f64 v[14:15], -v[10:11], v[12:13], 1.0
	v_fma_f64 v[12:13], v[12:13], v[14:15], v[12:13]
	v_div_scale_f64 v[14:15], vcc, v[3:4], v[1:2], v[3:4]
	v_fma_f64 v[16:17], -v[10:11], v[12:13], 1.0
	v_fma_f64 v[12:13], v[12:13], v[16:17], v[12:13]
	v_mul_f64 v[16:17], v[14:15], v[12:13]
	v_fma_f64 v[10:11], -v[10:11], v[16:17], v[14:15]
	v_div_fmas_f64 v[10:11], v[10:11], v[12:13], v[16:17]
	v_div_fixup_f64 v[12:13], v[10:11], v[1:2], v[3:4]
	v_fma_f64 v[1:2], v[3:4], v[12:13], v[1:2]
	v_div_scale_f64 v[3:4], s[10:11], v[1:2], v[1:2], 1.0
	v_div_scale_f64 v[16:17], vcc, 1.0, v[1:2], 1.0
	v_rcp_f64_e32 v[10:11], v[3:4]
	v_fma_f64 v[14:15], -v[3:4], v[10:11], 1.0
	v_fma_f64 v[10:11], v[10:11], v[14:15], v[10:11]
	v_fma_f64 v[14:15], -v[3:4], v[10:11], 1.0
	v_fma_f64 v[10:11], v[10:11], v[14:15], v[10:11]
	v_mul_f64 v[14:15], v[16:17], v[10:11]
	v_fma_f64 v[3:4], -v[3:4], v[14:15], v[16:17]
	v_div_fmas_f64 v[3:4], v[3:4], v[10:11], v[14:15]
	v_div_fixup_f64 v[10:11], v[3:4], v[1:2], 1.0
	v_mul_f64 v[12:13], v[12:13], -v[10:11]
.LBB125_671:
	s_or_b64 exec, exec, s[6:7]
	ds_write2_b64 v125, v[10:11], v[12:13] offset1:1
.LBB125_672:
	s_or_b64 exec, exec, s[8:9]
	s_waitcnt lgkmcnt(0)
	s_barrier
	ds_read2_b64 v[121:124], v125 offset1:1
	v_cmp_lt_u32_e32 vcc, 61, v0
	s_and_saveexec_b64 s[6:7], vcc
	s_cbranch_execz .LBB125_674
; %bb.673:
	buffer_load_dword v1, off, s[0:3], 0 offset:976
	buffer_load_dword v2, off, s[0:3], 0 offset:980
	;; [unrolled: 1-line block ×8, first 2 shown]
	s_waitcnt vmcnt(4) lgkmcnt(0)
	v_mul_f64 v[14:15], v[123:124], v[3:4]
	v_mul_f64 v[3:4], v[121:122], v[3:4]
	v_fma_f64 v[14:15], v[121:122], v[1:2], -v[14:15]
	v_fma_f64 v[16:17], v[123:124], v[1:2], v[3:4]
	buffer_store_dword v14, off, s[0:3], 0 offset:976
	buffer_store_dword v15, off, s[0:3], 0 offset:980
	buffer_store_dword v16, off, s[0:3], 0 offset:984
	buffer_store_dword v17, off, s[0:3], 0 offset:988
	ds_read2_b64 v[1:4], v6 offset0:124 offset1:125
	s_waitcnt lgkmcnt(0)
	v_mul_f64 v[5:6], v[3:4], v[16:17]
	v_fma_f64 v[5:6], v[1:2], v[14:15], -v[5:6]
	v_mul_f64 v[1:2], v[1:2], v[16:17]
	v_fma_f64 v[1:2], v[3:4], v[14:15], v[1:2]
	s_waitcnt vmcnt(6)
	v_add_f64 v[3:4], v[10:11], -v[5:6]
	s_waitcnt vmcnt(4)
	v_add_f64 v[1:2], v[12:13], -v[1:2]
	buffer_store_dword v3, off, s[0:3], 0 offset:992
	buffer_store_dword v4, off, s[0:3], 0 offset:996
	buffer_store_dword v1, off, s[0:3], 0 offset:1000
	buffer_store_dword v2, off, s[0:3], 0 offset:1004
.LBB125_674:
	s_or_b64 exec, exec, s[6:7]
	v_cmp_eq_u32_e32 vcc, 62, v0
	s_waitcnt vmcnt(0) lgkmcnt(0)
	s_barrier
	s_and_saveexec_b64 s[8:9], vcc
	s_cbranch_execz .LBB125_681
; %bb.675:
	v_mov_b32_e32 v4, s33
	buffer_load_dword v1, v4, s[0:3], 0 offen
	buffer_load_dword v2, v4, s[0:3], 0 offen offset:4
	buffer_load_dword v3, v4, s[0:3], 0 offen offset:8
	s_nop 0
	buffer_load_dword v4, v4, s[0:3], 0 offen offset:12
	s_waitcnt vmcnt(2)
	v_cmp_neq_f64_e32 vcc, 0, v[1:2]
	s_waitcnt vmcnt(0)
	v_cmp_neq_f64_e64 s[6:7], 0, v[3:4]
	ds_write2_b64 v125, v[1:2], v[3:4] offset1:1
	s_or_b64 s[6:7], vcc, s[6:7]
	s_and_b64 exec, exec, s[6:7]
	s_cbranch_execz .LBB125_681
; %bb.676:
	v_cmp_ngt_f64_e64 s[6:7], |v[1:2]|, |v[3:4]|
                                        ; implicit-def: $vgpr10_vgpr11
	s_and_saveexec_b64 s[10:11], s[6:7]
	s_xor_b64 s[6:7], exec, s[10:11]
                                        ; implicit-def: $vgpr12_vgpr13
	s_cbranch_execz .LBB125_678
; %bb.677:
	v_div_scale_f64 v[5:6], s[10:11], v[3:4], v[3:4], v[1:2]
	v_rcp_f64_e32 v[10:11], v[5:6]
	v_fma_f64 v[12:13], -v[5:6], v[10:11], 1.0
	v_fma_f64 v[10:11], v[10:11], v[12:13], v[10:11]
	v_div_scale_f64 v[12:13], vcc, v[1:2], v[3:4], v[1:2]
	v_fma_f64 v[14:15], -v[5:6], v[10:11], 1.0
	v_fma_f64 v[10:11], v[10:11], v[14:15], v[10:11]
	v_mul_f64 v[14:15], v[12:13], v[10:11]
	v_fma_f64 v[5:6], -v[5:6], v[14:15], v[12:13]
	v_div_fmas_f64 v[5:6], v[5:6], v[10:11], v[14:15]
	v_div_fixup_f64 v[5:6], v[5:6], v[3:4], v[1:2]
	v_fma_f64 v[1:2], v[1:2], v[5:6], v[3:4]
	v_div_scale_f64 v[3:4], s[10:11], v[1:2], v[1:2], 1.0
	v_div_scale_f64 v[14:15], vcc, 1.0, v[1:2], 1.0
	v_rcp_f64_e32 v[10:11], v[3:4]
	v_fma_f64 v[12:13], -v[3:4], v[10:11], 1.0
	v_fma_f64 v[10:11], v[10:11], v[12:13], v[10:11]
	v_fma_f64 v[12:13], -v[3:4], v[10:11], 1.0
	v_fma_f64 v[10:11], v[10:11], v[12:13], v[10:11]
	v_mul_f64 v[12:13], v[14:15], v[10:11]
	v_fma_f64 v[3:4], -v[3:4], v[12:13], v[14:15]
	v_div_fmas_f64 v[3:4], v[3:4], v[10:11], v[12:13]
	v_div_fixup_f64 v[12:13], v[3:4], v[1:2], 1.0
                                        ; implicit-def: $vgpr1_vgpr2
                                        ; implicit-def: $vgpr3_vgpr4
	v_mul_f64 v[10:11], v[5:6], v[12:13]
	v_xor_b32_e32 v13, 0x80000000, v13
.LBB125_678:
	s_andn2_saveexec_b64 s[6:7], s[6:7]
	s_cbranch_execz .LBB125_680
; %bb.679:
	v_div_scale_f64 v[5:6], s[10:11], v[1:2], v[1:2], v[3:4]
	v_rcp_f64_e32 v[10:11], v[5:6]
	v_fma_f64 v[12:13], -v[5:6], v[10:11], 1.0
	v_fma_f64 v[10:11], v[10:11], v[12:13], v[10:11]
	v_div_scale_f64 v[12:13], vcc, v[3:4], v[1:2], v[3:4]
	v_fma_f64 v[14:15], -v[5:6], v[10:11], 1.0
	v_fma_f64 v[10:11], v[10:11], v[14:15], v[10:11]
	v_mul_f64 v[14:15], v[12:13], v[10:11]
	v_fma_f64 v[5:6], -v[5:6], v[14:15], v[12:13]
	v_div_fmas_f64 v[5:6], v[5:6], v[10:11], v[14:15]
	v_div_fixup_f64 v[5:6], v[5:6], v[1:2], v[3:4]
	v_fma_f64 v[1:2], v[3:4], v[5:6], v[1:2]
	v_div_scale_f64 v[3:4], s[10:11], v[1:2], v[1:2], 1.0
	v_div_scale_f64 v[14:15], vcc, 1.0, v[1:2], 1.0
	v_rcp_f64_e32 v[10:11], v[3:4]
	v_fma_f64 v[12:13], -v[3:4], v[10:11], 1.0
	v_fma_f64 v[10:11], v[10:11], v[12:13], v[10:11]
	v_fma_f64 v[12:13], -v[3:4], v[10:11], 1.0
	v_fma_f64 v[10:11], v[10:11], v[12:13], v[10:11]
	v_mul_f64 v[12:13], v[14:15], v[10:11]
	v_fma_f64 v[3:4], -v[3:4], v[12:13], v[14:15]
	v_div_fmas_f64 v[3:4], v[3:4], v[10:11], v[12:13]
	v_div_fixup_f64 v[10:11], v[3:4], v[1:2], 1.0
	v_mul_f64 v[12:13], v[5:6], -v[10:11]
.LBB125_680:
	s_or_b64 exec, exec, s[6:7]
	ds_write2_b64 v125, v[10:11], v[12:13] offset1:1
.LBB125_681:
	s_or_b64 exec, exec, s[8:9]
	s_waitcnt lgkmcnt(0)
	s_barrier
	ds_read2_b64 v[1:4], v125 offset1:1
	v_cmp_lt_u32_e32 vcc, 62, v0
	s_and_saveexec_b64 s[6:7], vcc
	s_cbranch_execz .LBB125_683
; %bb.682:
	buffer_load_dword v5, off, s[0:3], 0 offset:1000
	buffer_load_dword v6, off, s[0:3], 0 offset:1004
	;; [unrolled: 1-line block ×4, first 2 shown]
	s_waitcnt vmcnt(2) lgkmcnt(0)
	v_mul_f64 v[12:13], v[3:4], v[5:6]
	v_mul_f64 v[5:6], v[1:2], v[5:6]
	s_waitcnt vmcnt(0)
	v_fma_f64 v[12:13], v[1:2], v[10:11], -v[12:13]
	v_fma_f64 v[5:6], v[3:4], v[10:11], v[5:6]
	buffer_store_dword v12, off, s[0:3], 0 offset:992
	buffer_store_dword v13, off, s[0:3], 0 offset:996
	;; [unrolled: 1-line block ×4, first 2 shown]
.LBB125_683:
	s_or_b64 exec, exec, s[6:7]
	s_waitcnt vmcnt(0) lgkmcnt(0)
	s_barrier
	s_and_saveexec_b64 s[6:7], s[4:5]
	s_cbranch_execz .LBB125_686
; %bb.684:
	buffer_load_dword v10, off, s[0:3], 0 offset:1912 ; 4-byte Folded Reload
	buffer_load_dword v11, off, s[0:3], 0 offset:1916 ; 4-byte Folded Reload
	;; [unrolled: 1-line block ×4, first 2 shown]
                                        ; implicit-def: $vgpr127 : SGPR spill to VGPR lane
	v_lshlrev_b64 v[5:6], 2, v[8:9]
	v_mov_b32_e32 v0, s83
	v_add_co_u32_e32 v8, vcc, s82, v5
	v_addc_co_u32_e32 v9, vcc, v0, v6, vcc
	s_waitcnt vmcnt(2)
	v_cmp_eq_f64_e64 s[4:5], 0, v[10:11]
	v_writelane_b32 v126, s4, 9
	v_writelane_b32 v126, s5, 10
	s_waitcnt vmcnt(0)
	v_cmp_eq_f64_e64 s[4:5], 0, v[12:13]
	buffer_load_dword v10, off, s[0:3], 0 offset:1512 ; 4-byte Folded Reload
	buffer_load_dword v11, off, s[0:3], 0 offset:1516 ; 4-byte Folded Reload
	;; [unrolled: 1-line block ×4, first 2 shown]
	v_writelane_b32 v126, s4, 11
	v_writelane_b32 v126, s5, 12
	s_waitcnt vmcnt(2)
	v_cmp_neq_f64_e64 s[4:5], 0, v[10:11]
	v_writelane_b32 v126, s4, 13
	v_writelane_b32 v126, s5, 14
	s_waitcnt vmcnt(0)
	v_cmp_neq_f64_e64 s[4:5], 0, v[12:13]
	buffer_load_dword v10, off, s[0:3], 0 offset:1528 ; 4-byte Folded Reload
	buffer_load_dword v11, off, s[0:3], 0 offset:1532 ; 4-byte Folded Reload
	buffer_load_dword v12, off, s[0:3], 0 offset:1536 ; 4-byte Folded Reload
	buffer_load_dword v13, off, s[0:3], 0 offset:1540 ; 4-byte Folded Reload
	v_writelane_b32 v126, s4, 15
	v_writelane_b32 v126, s5, 16
	s_waitcnt vmcnt(2)
	v_cmp_eq_f64_e64 s[4:5], 0, v[10:11]
	v_writelane_b32 v126, s4, 17
	v_writelane_b32 v126, s5, 18
	s_waitcnt vmcnt(0)
	v_cmp_eq_f64_e64 s[4:5], 0, v[12:13]
	buffer_load_dword v10, off, s[0:3], 0 offset:1928 ; 4-byte Folded Reload
	buffer_load_dword v11, off, s[0:3], 0 offset:1932 ; 4-byte Folded Reload
	buffer_load_dword v12, off, s[0:3], 0 offset:1936 ; 4-byte Folded Reload
	buffer_load_dword v13, off, s[0:3], 0 offset:1940 ; 4-byte Folded Reload
	v_writelane_b32 v126, s4, 19
	v_writelane_b32 v126, s5, 20
	s_waitcnt vmcnt(2)
	v_cmp_eq_f64_e64 s[4:5], 0, v[10:11]
	v_writelane_b32 v126, s4, 21
	v_writelane_b32 v126, s5, 22
	s_waitcnt vmcnt(0)
	v_cmp_eq_f64_e64 s[4:5], 0, v[12:13]
	;; [unrolled: 12-line block ×12, first 2 shown]
	buffer_load_dword v10, off, s[0:3], 0 offset:1672 ; 4-byte Folded Reload
	buffer_load_dword v11, off, s[0:3], 0 offset:1676 ; 4-byte Folded Reload
	;; [unrolled: 1-line block ×4, first 2 shown]
	v_writelane_b32 v126, s4, 63
	v_writelane_b32 v127, s5, 0
	v_readlane_b32 s82, v126, 15
	v_readlane_b32 s83, v126, 16
	s_waitcnt vmcnt(2)
	v_cmp_eq_f64_e64 s[4:5], 0, v[10:11]
	v_writelane_b32 v127, s4, 1
	v_writelane_b32 v127, s5, 2
	s_waitcnt vmcnt(0)
	v_cmp_eq_f64_e64 s[4:5], 0, v[12:13]
	buffer_load_dword v10, off, s[0:3], 0 offset:1976 ; 4-byte Folded Reload
	buffer_load_dword v11, off, s[0:3], 0 offset:1980 ; 4-byte Folded Reload
	buffer_load_dword v12, off, s[0:3], 0 offset:1984 ; 4-byte Folded Reload
	buffer_load_dword v13, off, s[0:3], 0 offset:1988 ; 4-byte Folded Reload
	v_writelane_b32 v127, s4, 3
	v_writelane_b32 v127, s5, 4
	s_waitcnt vmcnt(2)
	v_cmp_eq_f64_e64 s[4:5], 0, v[10:11]
	v_writelane_b32 v127, s4, 5
	v_writelane_b32 v127, s5, 6
	s_waitcnt vmcnt(0)
	v_cmp_eq_f64_e64 s[4:5], 0, v[12:13]
	buffer_load_dword v10, off, s[0:3], 0 offset:1688 ; 4-byte Folded Reload
	buffer_load_dword v11, off, s[0:3], 0 offset:1692 ; 4-byte Folded Reload
	buffer_load_dword v12, off, s[0:3], 0 offset:1696 ; 4-byte Folded Reload
	buffer_load_dword v13, off, s[0:3], 0 offset:1700 ; 4-byte Folded Reload
	v_writelane_b32 v127, s4, 7
	v_writelane_b32 v127, s5, 8
	;; [unrolled: 12-line block ×3, first 2 shown]
	v_writelane_b32 v127, s76, 13
	v_writelane_b32 v127, s77, 14
	s_waitcnt vmcnt(2)
	v_cmp_eq_f64_e64 s[4:5], 0, v[10:11]
	v_writelane_b32 v127, s4, 15
	v_writelane_b32 v127, s5, 16
	;; [unrolled: 1-line block ×3, first 2 shown]
	s_waitcnt vmcnt(0)
	v_cmp_eq_f64_e64 s[76:77], 0, v[12:13]
	buffer_load_dword v10, off, s[0:3], 0 offset:1720 ; 4-byte Folded Reload
	buffer_load_dword v11, off, s[0:3], 0 offset:1724 ; 4-byte Folded Reload
	;; [unrolled: 1-line block ×4, first 2 shown]
	s_waitcnt vmcnt(2)
	v_cmp_eq_f64_e64 s[4:5], 0, v[10:11]
	v_writelane_b32 v127, s4, 18
	v_writelane_b32 v127, s5, 19
	s_waitcnt vmcnt(0)
	v_cmp_eq_f64_e64 s[4:5], 0, v[12:13]
	buffer_load_dword v10, off, s[0:3], 0 offset:1992 ; 4-byte Folded Reload
	buffer_load_dword v11, off, s[0:3], 0 offset:1996 ; 4-byte Folded Reload
	buffer_load_dword v12, off, s[0:3], 0 offset:2000 ; 4-byte Folded Reload
	buffer_load_dword v13, off, s[0:3], 0 offset:2004 ; 4-byte Folded Reload
	v_writelane_b32 v127, s4, 20
	v_writelane_b32 v127, s5, 21
	s_waitcnt vmcnt(2)
	v_cmp_eq_f64_e64 s[4:5], 0, v[10:11]
	v_writelane_b32 v127, s4, 22
	v_writelane_b32 v127, s5, 23
	s_waitcnt vmcnt(0)
	v_cmp_eq_f64_e64 s[4:5], 0, v[12:13]
	buffer_load_dword v10, off, s[0:3], 0 offset:1736 ; 4-byte Folded Reload
	buffer_load_dword v11, off, s[0:3], 0 offset:1740 ; 4-byte Folded Reload
	buffer_load_dword v12, off, s[0:3], 0 offset:1744 ; 4-byte Folded Reload
	buffer_load_dword v13, off, s[0:3], 0 offset:1748 ; 4-byte Folded Reload
	v_writelane_b32 v127, s4, 24
	v_writelane_b32 v127, s5, 25
	;; [unrolled: 12-line block ×5, first 2 shown]
	v_writelane_b32 v127, s75, 38
	s_mov_b32 s75, s73
	s_mov_b32 s73, s15
	;; [unrolled: 1-line block ×17, first 2 shown]
	v_writelane_b32 v127, s6, 39
	v_writelane_b32 v127, s7, 40
	s_waitcnt vmcnt(2)
	v_cmp_eq_f64_e64 s[70:71], 0, v[10:11]
	s_waitcnt vmcnt(0)
	v_cmp_eq_f64_e64 s[68:69], 0, v[12:13]
	buffer_load_dword v10, off, s[0:3], 0 offset:1784 ; 4-byte Folded Reload
	buffer_load_dword v11, off, s[0:3], 0 offset:1788 ; 4-byte Folded Reload
	buffer_load_dword v12, off, s[0:3], 0 offset:1792 ; 4-byte Folded Reload
	buffer_load_dword v13, off, s[0:3], 0 offset:1796 ; 4-byte Folded Reload
	s_waitcnt vmcnt(2)
	v_cmp_eq_f64_e64 s[66:67], 0, v[10:11]
	s_waitcnt vmcnt(0)
	v_cmp_eq_f64_e64 s[64:65], 0, v[12:13]
	buffer_load_dword v10, off, s[0:3], 0 offset:2024 ; 4-byte Folded Reload
	buffer_load_dword v11, off, s[0:3], 0 offset:2028 ; 4-byte Folded Reload
	buffer_load_dword v12, off, s[0:3], 0 offset:2032 ; 4-byte Folded Reload
	buffer_load_dword v13, off, s[0:3], 0 offset:2036 ; 4-byte Folded Reload
	;; [unrolled: 8-line block ×9, first 2 shown]
	s_and_b64 s[8:9], s[8:9], s[6:7]
	s_waitcnt vmcnt(2)
	v_cmp_eq_f64_e64 s[4:5], 0, v[10:11]
	v_writelane_b32 v127, s4, 41
	v_writelane_b32 v127, s5, 42
	s_waitcnt vmcnt(0)
	v_cmp_eq_f64_e64 s[4:5], 0, v[12:13]
	buffer_load_dword v10, off, s[0:3], 0 offset:1864 ; 4-byte Folded Reload
	buffer_load_dword v11, off, s[0:3], 0 offset:1868 ; 4-byte Folded Reload
	;; [unrolled: 1-line block ×4, first 2 shown]
	v_writelane_b32 v127, s4, 43
	v_writelane_b32 v127, s5, 44
	v_readlane_b32 s4, v126, 13
	v_readlane_b32 s5, v126, 14
	s_or_b64 vcc, s[4:5], s[82:83]
	v_readlane_b32 s4, v126, 9
	v_readlane_b32 s82, v126, 11
	v_readlane_b32 s5, v126, 10
	v_readlane_b32 s83, v126, 12
	s_and_b64 s[4:5], s[4:5], s[82:83]
	v_cndmask_b32_e64 v0, 0, 1, s[4:5]
	s_or_b64 vcc, vcc, s[4:5]
	v_readlane_b32 s4, v126, 17
	v_readlane_b32 s82, v126, 19
	v_cndmask_b32_e32 v0, 2, v0, vcc
	v_readlane_b32 s5, v126, 18
	v_readlane_b32 s83, v126, 20
	s_and_b64 s[4:5], s[4:5], s[82:83]
	v_cmp_eq_u32_e32 vcc, 0, v0
	s_and_b64 s[4:5], s[4:5], vcc
	v_cndmask_b32_e64 v0, v0, 3, s[4:5]
	v_readlane_b32 s4, v126, 21
	v_readlane_b32 s82, v126, 23
	v_readlane_b32 s5, v126, 22
	v_readlane_b32 s83, v126, 24
	s_and_b64 s[4:5], s[4:5], s[82:83]
	v_cmp_eq_u32_e32 vcc, 0, v0
	s_and_b64 s[4:5], s[4:5], vcc
	v_cndmask_b32_e64 v0, v0, 4, s[4:5]
	v_readlane_b32 s4, v126, 25
	v_readlane_b32 s82, v126, 27
	;; [unrolled: 8-line block ×15, first 2 shown]
	s_and_b64 s[4:5], s[4:5], s[76:77]
	v_cmp_eq_u32_e32 vcc, 0, v0
	s_and_b64 s[4:5], s[4:5], vcc
	v_cndmask_b32_e64 v0, v0, 18, s[4:5]
	v_readlane_b32 s4, v127, 18
	v_readlane_b32 s82, v127, 20
	v_readlane_b32 s5, v127, 19
	v_readlane_b32 s83, v127, 21
	s_and_b64 s[4:5], s[4:5], s[82:83]
	v_cmp_eq_u32_e32 vcc, 0, v0
	s_and_b64 s[4:5], s[4:5], vcc
	v_cndmask_b32_e64 v0, v0, 19, s[4:5]
	v_readlane_b32 s4, v127, 22
	v_readlane_b32 s82, v127, 24
	v_readlane_b32 s5, v127, 23
	v_readlane_b32 s83, v127, 25
	;; [unrolled: 8-line block ×5, first 2 shown]
	s_and_b64 s[4:5], s[4:5], s[82:83]
	v_cmp_eq_u32_e32 vcc, 0, v0
	s_and_b64 s[4:5], s[4:5], vcc
	v_cndmask_b32_e64 v0, v0, 23, s[4:5]
	s_and_b64 s[4:5], s[70:71], s[68:69]
	v_cmp_eq_u32_e32 vcc, 0, v0
	s_and_b64 s[4:5], s[4:5], vcc
	v_cndmask_b32_e64 v0, v0, 24, s[4:5]
	;; [unrolled: 4-line block ×9, first 2 shown]
	s_waitcnt vmcnt(2)
	v_cmp_eq_f64_e32 vcc, 0, v[10:11]
	s_waitcnt vmcnt(0)
	v_cmp_eq_f64_e64 s[4:5], 0, v[12:13]
	buffer_load_dword v10, off, s[0:3], 0 offset:1880 ; 4-byte Folded Reload
	buffer_load_dword v11, off, s[0:3], 0 offset:1884 ; 4-byte Folded Reload
	;; [unrolled: 1-line block ×4, first 2 shown]
	v_cmp_eq_u32_e64 s[6:7], 0, v0
	s_and_b64 s[6:7], s[8:9], s[6:7]
	v_cndmask_b32_e64 v0, v0, 32, s[6:7]
	v_readlane_b32 s6, v127, 41
	v_readlane_b32 s8, v127, 43
	;; [unrolled: 1-line block ×4, first 2 shown]
	s_and_b64 s[12:13], s[6:7], s[8:9]
	v_cmp_eq_u32_e64 s[10:11], 0, v0
	s_and_b64 s[10:11], s[12:13], s[10:11]
	v_cndmask_b32_e64 v0, v0, 33, s[10:11]
	s_and_b64 s[12:13], vcc, s[4:5]
	v_cmp_eq_u32_e32 vcc, 0, v0
	s_and_b64 s[12:13], s[12:13], vcc
	v_cndmask_b32_e64 v0, v0, 34, s[12:13]
	v_cmp_eq_u32_e32 vcc, 0, v0
	v_readlane_b32 s76, v127, 13
	v_readlane_b32 s77, v127, 14
	;; [unrolled: 1-line block ×3, first 2 shown]
	s_mov_b32 s71, s43
	s_mov_b32 s43, s41
	;; [unrolled: 1-line block ×17, first 2 shown]
	v_readlane_b32 s75, v127, 38
	s_waitcnt vmcnt(2)
	v_cmp_eq_f64_e64 s[6:7], 0, v[10:11]
	s_waitcnt vmcnt(0)
	v_cmp_eq_f64_e64 s[8:9], 0, v[12:13]
	buffer_load_dword v10, off, s[0:3], 0 offset:1896 ; 4-byte Folded Reload
	buffer_load_dword v11, off, s[0:3], 0 offset:1900 ; 4-byte Folded Reload
	buffer_load_dword v12, off, s[0:3], 0 offset:1904 ; 4-byte Folded Reload
	buffer_load_dword v13, off, s[0:3], 0 offset:1908 ; 4-byte Folded Reload
	global_load_dword v5, v[8:9], off
	s_and_b64 s[12:13], s[6:7], s[8:9]
	v_cmp_eq_f64_e64 s[6:7], 0, v[21:22]
	v_cmp_eq_f64_e64 s[8:9], 0, v[23:24]
	s_and_b64 s[12:13], s[12:13], vcc
	v_cndmask_b32_e64 v0, v0, 35, s[12:13]
	v_cmp_eq_u32_e32 vcc, 0, v0
	s_waitcnt vmcnt(3)
	v_cmp_eq_f64_e64 s[4:5], 0, v[10:11]
	s_waitcnt vmcnt(1)
	v_cmp_eq_f64_e64 s[10:11], 0, v[12:13]
	s_and_b64 s[12:13], s[4:5], s[10:11]
	v_cmp_eq_f64_e64 s[4:5], 0, v[25:26]
	v_cmp_eq_f64_e64 s[10:11], 0, v[27:28]
	s_and_b64 s[12:13], s[12:13], vcc
	v_cndmask_b32_e64 v0, v0, 36, s[12:13]
	s_and_b64 s[12:13], s[6:7], s[8:9]
	v_cmp_eq_f64_e64 s[6:7], 0, v[29:30]
	v_cmp_eq_f64_e64 s[8:9], 0, v[31:32]
	v_cmp_eq_u32_e32 vcc, 0, v0
	s_and_b64 s[12:13], s[12:13], vcc
	v_cndmask_b32_e64 v0, v0, 37, s[12:13]
	s_and_b64 s[12:13], s[4:5], s[10:11]
	v_cmp_eq_f64_e64 s[4:5], 0, v[33:34]
	v_cmp_eq_f64_e64 s[10:11], 0, v[35:36]
	v_cmp_eq_u32_e32 vcc, 0, v0
	s_and_b64 s[12:13], s[12:13], vcc
	v_cndmask_b32_e64 v0, v0, 38, s[12:13]
	s_and_b64 s[12:13], s[6:7], s[8:9]
	v_cmp_eq_f64_e64 s[6:7], 0, v[37:38]
	v_cmp_eq_f64_e64 s[8:9], 0, v[39:40]
	v_cmp_eq_u32_e32 vcc, 0, v0
	s_and_b64 s[12:13], s[12:13], vcc
	v_cndmask_b32_e64 v0, v0, 39, s[12:13]
	s_and_b64 s[12:13], s[4:5], s[10:11]
	v_cmp_eq_f64_e64 s[4:5], 0, v[41:42]
	v_cmp_eq_f64_e64 s[10:11], 0, v[43:44]
	v_cmp_eq_u32_e32 vcc, 0, v0
	s_and_b64 s[12:13], s[12:13], vcc
	v_cndmask_b32_e64 v0, v0, 40, s[12:13]
	s_and_b64 s[12:13], s[6:7], s[8:9]
	v_cmp_eq_f64_e64 s[6:7], 0, v[45:46]
	v_cmp_eq_f64_e64 s[8:9], 0, v[47:48]
	v_cmp_eq_u32_e32 vcc, 0, v0
	s_and_b64 s[12:13], s[12:13], vcc
	v_cndmask_b32_e64 v0, v0, 41, s[12:13]
	s_and_b64 s[12:13], s[4:5], s[10:11]
	v_cmp_eq_f64_e64 s[4:5], 0, v[49:50]
	v_cmp_eq_f64_e64 s[10:11], 0, v[51:52]
	v_cmp_eq_u32_e32 vcc, 0, v0
	s_and_b64 s[12:13], s[12:13], vcc
	v_cndmask_b32_e64 v0, v0, 42, s[12:13]
	s_and_b64 s[12:13], s[6:7], s[8:9]
	v_cmp_eq_f64_e64 s[6:7], 0, v[53:54]
	v_cmp_eq_f64_e64 s[8:9], 0, v[55:56]
	v_cmp_eq_u32_e32 vcc, 0, v0
	s_and_b64 s[12:13], s[12:13], vcc
	v_cndmask_b32_e64 v0, v0, 43, s[12:13]
	s_and_b64 s[12:13], s[4:5], s[10:11]
	v_cmp_eq_f64_e64 s[4:5], 0, v[57:58]
	v_cmp_eq_f64_e64 s[10:11], 0, v[59:60]
	v_cmp_eq_u32_e32 vcc, 0, v0
	s_and_b64 s[12:13], s[12:13], vcc
	v_cndmask_b32_e64 v0, v0, 44, s[12:13]
	s_and_b64 s[12:13], s[6:7], s[8:9]
	v_cmp_eq_f64_e64 s[6:7], 0, v[61:62]
	v_cmp_eq_f64_e64 s[8:9], 0, v[63:64]
	v_cmp_eq_u32_e32 vcc, 0, v0
	s_and_b64 s[12:13], s[12:13], vcc
	v_cndmask_b32_e64 v0, v0, 45, s[12:13]
	s_and_b64 s[12:13], s[4:5], s[10:11]
	v_cmp_eq_f64_e64 s[4:5], 0, v[65:66]
	v_cmp_eq_f64_e64 s[10:11], 0, v[67:68]
	v_cmp_eq_u32_e32 vcc, 0, v0
	s_and_b64 s[12:13], s[12:13], vcc
	v_cndmask_b32_e64 v0, v0, 46, s[12:13]
	s_and_b64 s[12:13], s[6:7], s[8:9]
	v_cmp_eq_f64_e64 s[6:7], 0, v[69:70]
	v_cmp_eq_f64_e64 s[8:9], 0, v[71:72]
	v_cmp_eq_u32_e32 vcc, 0, v0
	s_and_b64 s[12:13], s[12:13], vcc
	v_cndmask_b32_e64 v0, v0, 47, s[12:13]
	s_and_b64 s[12:13], s[4:5], s[10:11]
	v_cmp_eq_u32_e32 vcc, 0, v0
	s_and_b64 s[12:13], s[12:13], vcc
	v_cmp_eq_f64_e64 s[4:5], 0, v[73:74]
	v_cmp_eq_f64_e64 s[10:11], 0, v[75:76]
	v_cndmask_b32_e64 v0, v0, 48, s[12:13]
	s_and_b64 s[6:7], s[6:7], s[8:9]
	v_cmp_eq_u32_e32 vcc, 0, v0
	s_and_b64 s[6:7], s[6:7], vcc
	v_cndmask_b32_e64 v0, v0, 49, s[6:7]
	v_cmp_eq_f64_e32 vcc, 0, v[77:78]
	v_cmp_eq_f64_e64 s[6:7], 0, v[79:80]
	s_and_b64 s[12:13], s[4:5], s[10:11]
	v_cmp_eq_f64_e64 s[8:9], 0, v[81:82]
	v_cmp_eq_f64_e64 s[10:11], 0, v[83:84]
	v_cmp_eq_u32_e64 s[4:5], 0, v0
	s_and_b64 s[4:5], s[12:13], s[4:5]
	v_cndmask_b32_e64 v0, v0, 50, s[4:5]
	v_cmp_eq_f64_e64 s[4:5], 0, v[85:86]
	s_and_b64 s[12:13], vcc, s[6:7]
	v_cmp_eq_f64_e64 s[6:7], 0, v[87:88]
	v_cmp_eq_u32_e32 vcc, 0, v0
	s_and_b64 s[12:13], s[12:13], vcc
	v_cndmask_b32_e64 v0, v0, 51, s[12:13]
	s_and_b64 s[12:13], s[8:9], s[10:11]
	v_cmp_eq_f64_e64 s[8:9], 0, v[89:90]
	v_cmp_eq_f64_e64 s[10:11], 0, v[91:92]
	v_cmp_eq_u32_e32 vcc, 0, v0
	s_and_b64 s[12:13], s[12:13], vcc
	v_cndmask_b32_e64 v0, v0, 52, s[12:13]
	s_and_b64 s[12:13], s[4:5], s[6:7]
	v_cmp_eq_f64_e64 s[4:5], 0, v[93:94]
	;; [unrolled: 6-line block ×9, first 2 shown]
	v_cmp_eq_f64_e64 s[10:11], 0, v[123:124]
	v_cmp_eq_u32_e32 vcc, 0, v0
	s_and_b64 s[12:13], s[12:13], vcc
	v_cndmask_b32_e64 v0, v0, 60, s[12:13]
	s_and_b64 s[12:13], s[4:5], s[6:7]
	v_cmp_eq_f64_e32 vcc, 0, v[1:2]
	v_cmp_eq_f64_e64 s[4:5], 0, v[3:4]
	v_cmp_eq_u32_e64 s[6:7], 0, v0
	s_and_b64 s[6:7], s[12:13], s[6:7]
	v_cndmask_b32_e64 v0, v0, 61, s[6:7]
	s_and_b64 s[8:9], s[8:9], s[10:11]
	v_cmp_eq_u32_e64 s[6:7], 0, v0
	s_and_b64 s[6:7], s[8:9], s[6:7]
	v_cndmask_b32_e64 v0, v0, 62, s[6:7]
	s_and_b64 s[4:5], vcc, s[4:5]
	v_cmp_eq_u32_e32 vcc, 0, v0
	s_and_b64 s[4:5], s[4:5], vcc
	v_cndmask_b32_e64 v0, v0, 63, s[4:5]
	v_readlane_b32 s6, v127, 39
	s_waitcnt vmcnt(0)
	v_cmp_eq_u32_e32 vcc, 0, v5
	v_cmp_ne_u32_e64 s[4:5], 0, v0
	v_readlane_b32 s7, v127, 40
	s_and_b64 s[4:5], vcc, s[4:5]
	s_and_b64 exec, exec, s[4:5]
	s_cbranch_execz .LBB125_686
; %bb.685:
	v_add_u32_e32 v0, s77, v0
	global_store_dword v[8:9], v0, off
.LBB125_686:
	s_or_b64 exec, exec, s[6:7]
	buffer_load_dword v0, off, s[0:3], 0
	buffer_load_dword v1, off, s[0:3], 0 offset:4
	buffer_load_dword v2, off, s[0:3], 0 offset:8
	;; [unrolled: 1-line block ×3, first 2 shown]
	buffer_load_dword v4, off, s[0:3], 0 offset:1008 ; 4-byte Folded Reload
	buffer_load_dword v5, off, s[0:3], 0 offset:1012 ; 4-byte Folded Reload
	v_readlane_b32 s4, v126, 0
	s_waitcnt vmcnt(0)
	global_store_dwordx4 v[4:5], v[0:3], off
	s_nop 0
	v_mov_b32_e32 v3, s4
	buffer_load_dword v0, v3, s[0:3], 0 offen
	buffer_load_dword v1, v3, s[0:3], 0 offen offset:4
	buffer_load_dword v2, v3, s[0:3], 0 offen offset:8
	s_nop 0
	buffer_load_dword v3, v3, s[0:3], 0 offen offset:12
	s_nop 0
	buffer_load_dword v4, off, s[0:3], 0 offset:1016 ; 4-byte Folded Reload
	buffer_load_dword v5, off, s[0:3], 0 offset:1020 ; 4-byte Folded Reload
	v_readlane_b32 s4, v126, 1
	s_waitcnt vmcnt(0)
	global_store_dwordx4 v[4:5], v[0:3], off
	s_nop 0
	v_mov_b32_e32 v3, s4
	buffer_load_dword v0, v3, s[0:3], 0 offen
	buffer_load_dword v1, v3, s[0:3], 0 offen offset:4
	buffer_load_dword v2, v3, s[0:3], 0 offen offset:8
	s_nop 0
	buffer_load_dword v3, v3, s[0:3], 0 offen offset:12
	s_nop 0
	;; [unrolled: 13-line block ×9, first 2 shown]
	buffer_load_dword v4, off, s[0:3], 0 offset:1080 ; 4-byte Folded Reload
	buffer_load_dword v5, off, s[0:3], 0 offset:1084 ; 4-byte Folded Reload
	s_waitcnt vmcnt(0)
	global_store_dwordx4 v[4:5], v[0:3], off
	s_nop 0
	v_mov_b32_e32 v3, s97
	buffer_load_dword v0, v3, s[0:3], 0 offen
	buffer_load_dword v1, v3, s[0:3], 0 offen offset:4
	buffer_load_dword v2, v3, s[0:3], 0 offen offset:8
	s_nop 0
	buffer_load_dword v3, v3, s[0:3], 0 offen offset:12
	s_nop 0
	buffer_load_dword v4, off, s[0:3], 0 offset:1088 ; 4-byte Folded Reload
	buffer_load_dword v5, off, s[0:3], 0 offset:1092 ; 4-byte Folded Reload
	s_waitcnt vmcnt(0)
	global_store_dwordx4 v[4:5], v[0:3], off
	s_nop 0
	v_mov_b32_e32 v3, s96
	buffer_load_dword v0, v3, s[0:3], 0 offen
	buffer_load_dword v1, v3, s[0:3], 0 offen offset:4
	buffer_load_dword v2, v3, s[0:3], 0 offen offset:8
	s_nop 0
	buffer_load_dword v3, v3, s[0:3], 0 offen offset:12
	s_nop 0
	;; [unrolled: 12-line block ×24, first 2 shown]
	buffer_load_dword v4, off, s[0:3], 0 offset:1272 ; 4-byte Folded Reload
	buffer_load_dword v5, off, s[0:3], 0 offset:1276 ; 4-byte Folded Reload
	s_waitcnt vmcnt(0)
	global_store_dwordx4 v[4:5], v[0:3], off
	v_mov_b32_e32 v4, s71
	buffer_load_dword v0, v4, s[0:3], 0 offen
	buffer_load_dword v1, v4, s[0:3], 0 offen offset:4
	buffer_load_dword v2, v4, s[0:3], 0 offen offset:8
	buffer_load_dword v3, v4, s[0:3], 0 offen offset:12
                                        ; kill: killed $vgpr4
	s_nop 0
	buffer_load_dword v4, off, s[0:3], 0 offset:1280 ; 4-byte Folded Reload
	buffer_load_dword v5, off, s[0:3], 0 offset:1284 ; 4-byte Folded Reload
	s_waitcnt vmcnt(0)
	global_store_dwordx4 v[4:5], v[0:3], off
	v_mov_b32_e32 v4, s43
	buffer_load_dword v0, v4, s[0:3], 0 offen
	buffer_load_dword v1, v4, s[0:3], 0 offen offset:4
	buffer_load_dword v2, v4, s[0:3], 0 offen offset:8
	buffer_load_dword v3, v4, s[0:3], 0 offen offset:12
                                        ; kill: killed $vgpr4
	s_nop 0
	;; [unrolled: 11-line block ×29, first 2 shown]
	buffer_load_dword v4, off, s[0:3], 0 offset:1432 ; 4-byte Folded Reload
	buffer_load_dword v5, off, s[0:3], 0 offset:1436 ; 4-byte Folded Reload
	s_waitcnt vmcnt(0)
	global_store_dwordx4 v[4:5], v[0:3], off
.LBB125_687:
	s_endpgm
	.section	.rodata,"a",@progbits
	.p2align	6, 0x0
	.amdhsa_kernel _ZN9rocsolver6v33100L23getf2_npvt_small_kernelILi63E19rocblas_complex_numIdEiiPS3_EEvT1_T3_lS5_lPT2_S5_S5_
		.amdhsa_group_segment_fixed_size 0
		.amdhsa_private_segment_fixed_size 2096
		.amdhsa_kernarg_size 312
		.amdhsa_user_sgpr_count 6
		.amdhsa_user_sgpr_private_segment_buffer 1
		.amdhsa_user_sgpr_dispatch_ptr 0
		.amdhsa_user_sgpr_queue_ptr 0
		.amdhsa_user_sgpr_kernarg_segment_ptr 1
		.amdhsa_user_sgpr_dispatch_id 0
		.amdhsa_user_sgpr_flat_scratch_init 0
		.amdhsa_user_sgpr_private_segment_size 0
		.amdhsa_uses_dynamic_stack 0
		.amdhsa_system_sgpr_private_segment_wavefront_offset 1
		.amdhsa_system_sgpr_workgroup_id_x 1
		.amdhsa_system_sgpr_workgroup_id_y 1
		.amdhsa_system_sgpr_workgroup_id_z 0
		.amdhsa_system_sgpr_workgroup_info 0
		.amdhsa_system_vgpr_workitem_id 1
		.amdhsa_next_free_vgpr 128
		.amdhsa_next_free_sgpr 100
		.amdhsa_reserve_vcc 1
		.amdhsa_reserve_flat_scratch 0
		.amdhsa_float_round_mode_32 0
		.amdhsa_float_round_mode_16_64 0
		.amdhsa_float_denorm_mode_32 3
		.amdhsa_float_denorm_mode_16_64 3
		.amdhsa_dx10_clamp 1
		.amdhsa_ieee_mode 1
		.amdhsa_fp16_overflow 0
		.amdhsa_exception_fp_ieee_invalid_op 0
		.amdhsa_exception_fp_denorm_src 0
		.amdhsa_exception_fp_ieee_div_zero 0
		.amdhsa_exception_fp_ieee_overflow 0
		.amdhsa_exception_fp_ieee_underflow 0
		.amdhsa_exception_fp_ieee_inexact 0
		.amdhsa_exception_int_div_zero 0
	.end_amdhsa_kernel
	.section	.text._ZN9rocsolver6v33100L23getf2_npvt_small_kernelILi63E19rocblas_complex_numIdEiiPS3_EEvT1_T3_lS5_lPT2_S5_S5_,"axG",@progbits,_ZN9rocsolver6v33100L23getf2_npvt_small_kernelILi63E19rocblas_complex_numIdEiiPS3_EEvT1_T3_lS5_lPT2_S5_S5_,comdat
.Lfunc_end125:
	.size	_ZN9rocsolver6v33100L23getf2_npvt_small_kernelILi63E19rocblas_complex_numIdEiiPS3_EEvT1_T3_lS5_lPT2_S5_S5_, .Lfunc_end125-_ZN9rocsolver6v33100L23getf2_npvt_small_kernelILi63E19rocblas_complex_numIdEiiPS3_EEvT1_T3_lS5_lPT2_S5_S5_
                                        ; -- End function
	.set _ZN9rocsolver6v33100L23getf2_npvt_small_kernelILi63E19rocblas_complex_numIdEiiPS3_EEvT1_T3_lS5_lPT2_S5_S5_.num_vgpr, 128
	.set _ZN9rocsolver6v33100L23getf2_npvt_small_kernelILi63E19rocblas_complex_numIdEiiPS3_EEvT1_T3_lS5_lPT2_S5_S5_.num_agpr, 0
	.set _ZN9rocsolver6v33100L23getf2_npvt_small_kernelILi63E19rocblas_complex_numIdEiiPS3_EEvT1_T3_lS5_lPT2_S5_S5_.numbered_sgpr, 100
	.set _ZN9rocsolver6v33100L23getf2_npvt_small_kernelILi63E19rocblas_complex_numIdEiiPS3_EEvT1_T3_lS5_lPT2_S5_S5_.num_named_barrier, 0
	.set _ZN9rocsolver6v33100L23getf2_npvt_small_kernelILi63E19rocblas_complex_numIdEiiPS3_EEvT1_T3_lS5_lPT2_S5_S5_.private_seg_size, 2096
	.set _ZN9rocsolver6v33100L23getf2_npvt_small_kernelILi63E19rocblas_complex_numIdEiiPS3_EEvT1_T3_lS5_lPT2_S5_S5_.uses_vcc, 1
	.set _ZN9rocsolver6v33100L23getf2_npvt_small_kernelILi63E19rocblas_complex_numIdEiiPS3_EEvT1_T3_lS5_lPT2_S5_S5_.uses_flat_scratch, 0
	.set _ZN9rocsolver6v33100L23getf2_npvt_small_kernelILi63E19rocblas_complex_numIdEiiPS3_EEvT1_T3_lS5_lPT2_S5_S5_.has_dyn_sized_stack, 0
	.set _ZN9rocsolver6v33100L23getf2_npvt_small_kernelILi63E19rocblas_complex_numIdEiiPS3_EEvT1_T3_lS5_lPT2_S5_S5_.has_recursion, 0
	.set _ZN9rocsolver6v33100L23getf2_npvt_small_kernelILi63E19rocblas_complex_numIdEiiPS3_EEvT1_T3_lS5_lPT2_S5_S5_.has_indirect_call, 0
	.section	.AMDGPU.csdata,"",@progbits
; Kernel info:
; codeLenInByte = 190220
; TotalNumSgprs: 104
; NumVgprs: 128
; ScratchSize: 2096
; MemoryBound: 0
; FloatMode: 240
; IeeeMode: 1
; LDSByteSize: 0 bytes/workgroup (compile time only)
; SGPRBlocks: 12
; VGPRBlocks: 31
; NumSGPRsForWavesPerEU: 104
; NumVGPRsForWavesPerEU: 128
; Occupancy: 2
; WaveLimiterHint : 1
; COMPUTE_PGM_RSRC2:SCRATCH_EN: 1
; COMPUTE_PGM_RSRC2:USER_SGPR: 6
; COMPUTE_PGM_RSRC2:TRAP_HANDLER: 0
; COMPUTE_PGM_RSRC2:TGID_X_EN: 1
; COMPUTE_PGM_RSRC2:TGID_Y_EN: 1
; COMPUTE_PGM_RSRC2:TGID_Z_EN: 0
; COMPUTE_PGM_RSRC2:TIDIG_COMP_CNT: 1
	.section	.text._ZN9rocsolver6v33100L18getf2_small_kernelILi64E19rocblas_complex_numIdEiiPS3_EEvT1_T3_lS5_lPS5_llPT2_S5_S5_S7_l,"axG",@progbits,_ZN9rocsolver6v33100L18getf2_small_kernelILi64E19rocblas_complex_numIdEiiPS3_EEvT1_T3_lS5_lPS5_llPT2_S5_S5_S7_l,comdat
	.globl	_ZN9rocsolver6v33100L18getf2_small_kernelILi64E19rocblas_complex_numIdEiiPS3_EEvT1_T3_lS5_lPS5_llPT2_S5_S5_S7_l ; -- Begin function _ZN9rocsolver6v33100L18getf2_small_kernelILi64E19rocblas_complex_numIdEiiPS3_EEvT1_T3_lS5_lPS5_llPT2_S5_S5_S7_l
	.p2align	8
	.type	_ZN9rocsolver6v33100L18getf2_small_kernelILi64E19rocblas_complex_numIdEiiPS3_EEvT1_T3_lS5_lPS5_llPT2_S5_S5_S7_l,@function
_ZN9rocsolver6v33100L18getf2_small_kernelILi64E19rocblas_complex_numIdEiiPS3_EEvT1_T3_lS5_lPS5_llPT2_S5_S5_S7_l: ; @_ZN9rocsolver6v33100L18getf2_small_kernelILi64E19rocblas_complex_numIdEiiPS3_EEvT1_T3_lS5_lPS5_llPT2_S5_S5_S7_l
; %bb.0:
	s_load_dword s6, s[4:5], 0x6c
	s_load_dwordx2 s[12:13], s[4:5], 0x48
	s_add_u32 s0, s0, s8
	s_addc_u32 s1, s1, 0
	s_waitcnt lgkmcnt(0)
	s_lshr_b32 s6, s6, 16
	s_mul_i32 s7, s7, s6
	v_add_u32_e32 v6, s7, v1
	v_cmp_gt_i32_e32 vcc, s12, v6
	s_and_saveexec_b64 s[6:7], vcc
	s_cbranch_execnz .LBB126_1
; %bb.1466:
	s_getpc_b64 s[98:99]
.Lpost_getpc40:
	s_add_u32 s98, s98, (.LBB126_1465-.Lpost_getpc40)&4294967295
	s_addc_u32 s99, s99, (.LBB126_1465-.Lpost_getpc40)>>32
	s_setpc_b64 s[98:99]
.LBB126_1:
	s_load_dwordx4 s[8:11], s[4:5], 0x50
	v_mov_b32_e32 v8, 0
                                        ; implicit-def: $vgpr61 : SGPR spill to VGPR lane
	v_ashrrev_i32_e32 v7, 31, v6
	v_mov_b32_e32 v9, 0
	s_waitcnt lgkmcnt(0)
	s_cmp_eq_u64 s[8:9], 0
	s_cselect_b64 s[6:7], -1, 0
	v_writelane_b32 v61, s6, 0
	s_and_b64 vcc, exec, s[6:7]
	v_writelane_b32 v61, s7, 1
	s_cbranch_vccnz .LBB126_3
; %bb.2:
	v_mul_lo_u32 v4, s11, v6
	v_mul_lo_u32 v5, s10, v7
	v_mad_u64_u32 v[2:3], s[6:7], s10, v6, 0
	v_add3_u32 v3, v3, v5, v4
	v_lshlrev_b64 v[2:3], 2, v[2:3]
	v_mov_b32_e32 v4, s9
	v_add_co_u32_e32 v8, vcc, s8, v2
	v_addc_co_u32_e32 v9, vcc, v4, v3, vcc
.LBB126_3:
	s_load_dwordx8 s[24:31], s[4:5], 0x20
	s_load_dwordx4 s[16:19], s[4:5], 0x8
	v_lshlrev_b32_e32 v11, 4, v0
	s_movk_i32 s20, 0x80
	s_movk_i32 s33, 0x110
	s_waitcnt lgkmcnt(0)
	s_mov_b64 s[8:9], s[28:29]
	s_mov_b64 s[10:11], s[30:31]
	s_mov_b64 s[6:7], s[26:27]
	v_writelane_b32 v61, s4, 2
	v_writelane_b32 v61, s5, 3
	;; [unrolled: 1-line block ×7, first 2 shown]
	v_mul_lo_u32 v4, s25, v6
	v_mul_lo_u32 v5, s24, v7
	v_writelane_b32 v61, s11, 9
	v_mad_u64_u32 v[2:3], s[6:7], s24, v6, 0
	s_load_dword s6, s[4:5], 0x18
	s_load_dword s66, s[4:5], 0x0
	v_mov_b32_e32 v10, s17
	v_add3_u32 v3, v3, v5, v4
	v_lshlrev_b64 v[2:3], 4, v[2:3]
	s_lshl_b64 s[8:9], s[18:19], 4
	v_add_co_u32_e32 v2, vcc, s16, v2
	v_addc_co_u32_e32 v3, vcc, v10, v3, vcc
	s_waitcnt lgkmcnt(0)
	s_add_i32 s7, s6, s6
	v_mov_b32_e32 v4, s9
	v_add_co_u32_e32 v14, vcc, s8, v2
	v_add_u32_e32 v2, s7, v0
	v_addc_co_u32_e32 v15, vcc, v3, v4, vcc
	v_add_u32_e32 v3, s6, v2
	v_ashrrev_i32_e32 v4, 31, v3
	v_add_co_u32_e32 v12, vcc, v14, v11
	v_lshlrev_b64 v[4:5], 4, v[3:4]
	v_add_u32_e32 v32, s6, v3
	v_addc_co_u32_e32 v13, vcc, 0, v15, vcc
	v_ashrrev_i32_e32 v33, 31, v32
	v_add_co_u32_e32 v4, vcc, v14, v4
	v_lshlrev_b64 v[20:21], 4, v[32:33]
	v_addc_co_u32_e32 v5, vcc, v15, v5, vcc
	v_add_co_u32_e32 v28, vcc, v14, v20
	global_load_dwordx4 v[16:19], v[12:13], off
	v_addc_co_u32_e32 v29, vcc, v15, v21, vcc
	global_load_dwordx4 v[20:23], v[4:5], off
	global_load_dwordx4 v[24:27], v[28:29], off
	v_writelane_b32 v61, s7, 10
	s_ashr_i32 s7, s6, 31
	s_lshl_b64 s[8:9], s[6:7], 4
	v_mov_b32_e32 v4, s9
	v_writelane_b32 v61, s8, 11
	v_add_co_u32_e32 v3, vcc, s8, v12
	v_addc_co_u32_e32 v4, vcc, v13, v4, vcc
	global_load_dwordx4 v[28:31], v[3:4], off
	v_ashrrev_i32_e32 v3, 31, v2
	v_lshlrev_b64 v[2:3], 4, v[2:3]
	v_add_u32_e32 v4, s6, v32
	v_ashrrev_i32_e32 v5, 31, v4
	v_add_u32_e32 v32, s6, v4
	v_lshlrev_b64 v[4:5], 4, v[4:5]
	v_add_co_u32_e32 v47, vcc, v14, v2
	v_ashrrev_i32_e32 v33, 31, v32
	v_addc_co_u32_e32 v48, vcc, v15, v3, vcc
	v_add_u32_e32 v44, s6, v32
	v_lshlrev_b64 v[32:33], 4, v[32:33]
	v_add_co_u32_e32 v49, vcc, v14, v4
	v_addc_co_u32_e32 v50, vcc, v15, v5, vcc
	v_add_co_u32_e32 v51, vcc, v14, v32
	v_addc_co_u32_e32 v52, vcc, v15, v33, vcc
	global_load_dwordx4 v[2:5], v[12:13], off
	global_load_dwordx4 v[32:35], v[47:48], off
	;; [unrolled: 1-line block ×4, first 2 shown]
	v_ashrrev_i32_e32 v45, 31, v44
	v_lshlrev_b64 v[45:46], 4, v[44:45]
	s_max_i32 s7, s66, 64
	v_add_co_u32_e32 v12, vcc, v14, v45
	v_addc_co_u32_e32 v13, vcc, v15, v46, vcc
	s_load_dwordx2 s[4:5], s[4:5], 0x40
	v_writelane_b32 v61, s9, 12
	v_mov_b32_e32 v10, 0
	s_movk_i32 s18, 0x60
	s_movk_i32 s19, 0x70
	s_waitcnt lgkmcnt(0)
	v_writelane_b32 v61, s4, 13
	s_movk_i32 s24, 0x90
	s_movk_i32 s25, 0xa0
	;; [unrolled: 1-line block ×10, first 2 shown]
	s_waitcnt vmcnt(7)
	buffer_store_dword v19, off, s[0:3], 0 offset:12
	buffer_store_dword v18, off, s[0:3], 0 offset:8
	;; [unrolled: 1-line block ×3, first 2 shown]
	buffer_store_dword v16, off, s[0:3], 0
	s_waitcnt vmcnt(10)
	buffer_store_dword v23, off, s[0:3], 0 offset:60
	buffer_store_dword v22, off, s[0:3], 0 offset:56
	buffer_store_dword v21, off, s[0:3], 0 offset:52
	buffer_store_dword v20, off, s[0:3], 0 offset:48
	s_waitcnt vmcnt(13)
	buffer_store_dword v27, off, s[0:3], 0 offset:76
	buffer_store_dword v26, off, s[0:3], 0 offset:72
	buffer_store_dword v25, off, s[0:3], 0 offset:68
	buffer_store_dword v24, off, s[0:3], 0 offset:64
	;; [unrolled: 5-line block ×3, first 2 shown]
	v_add_u32_e32 v24, s6, v44
	v_ashrrev_i32_e32 v25, 31, v24
	v_lshlrev_b64 v[16:17], 4, v[24:25]
	s_movk_i32 s36, 0x140
	v_add_co_u32_e32 v25, vcc, v14, v16
	v_addc_co_u32_e32 v26, vcc, v15, v17, vcc
	global_load_dwordx4 v[16:19], v[12:13], off
	global_load_dwordx4 v[20:23], v[25:26], off
	v_add_u32_e32 v12, s6, v24
	v_ashrrev_i32_e32 v13, 31, v12
	v_lshlrev_b64 v[24:25], 4, v[12:13]
	v_add_u32_e32 v12, s6, v12
	v_add_co_u32_e32 v44, vcc, v14, v24
	v_ashrrev_i32_e32 v13, 31, v12
	v_addc_co_u32_e32 v45, vcc, v15, v25, vcc
	v_lshlrev_b64 v[24:25], 4, v[12:13]
	v_add_u32_e32 v12, s6, v12
	v_add_co_u32_e32 v46, vcc, v14, v24
	v_ashrrev_i32_e32 v13, 31, v12
	v_addc_co_u32_e32 v47, vcc, v15, v25, vcc
	global_load_dwordx4 v[24:27], v[44:45], off
	global_load_dwordx4 v[28:31], v[46:47], off
	v_lshlrev_b64 v[44:45], 4, v[12:13]
	v_add_u32_e32 v12, s6, v12
	v_add_co_u32_e32 v52, vcc, v14, v44
	v_ashrrev_i32_e32 v13, 31, v12
	v_addc_co_u32_e32 v53, vcc, v15, v45, vcc
	v_lshlrev_b64 v[44:45], 4, v[12:13]
	v_add_u32_e32 v12, s6, v12
	v_add_co_u32_e32 v54, vcc, v14, v44
	v_addc_co_u32_e32 v55, vcc, v15, v45, vcc
	global_load_dwordx4 v[44:47], v[52:53], off
	global_load_dwordx4 v[48:51], v[54:55], off
	v_ashrrev_i32_e32 v13, 31, v12
	v_lshlrev_b64 v[52:53], 4, v[12:13]
	v_add_u32_e32 v12, s6, v12
	v_add_co_u32_e32 v52, vcc, v14, v52
	v_addc_co_u32_e32 v53, vcc, v15, v53, vcc
	v_ashrrev_i32_e32 v13, 31, v12
	v_lshlrev_b64 v[56:57], 4, v[12:13]
	global_load_dwordx4 v[52:55], v[52:53], off
	v_add_co_u32_e32 v56, vcc, v14, v56
	v_addc_co_u32_e32 v57, vcc, v15, v57, vcc
	global_load_dwordx4 v[56:59], v[56:57], off
	v_add_u32_e32 v12, s6, v12
	v_ashrrev_i32_e32 v13, 31, v12
	s_waitcnt vmcnt(26)
	buffer_store_dword v35, off, s[0:3], 0 offset:44
	buffer_store_dword v34, off, s[0:3], 0 offset:40
	;; [unrolled: 1-line block ×4, first 2 shown]
	v_lshlrev_b64 v[32:33], 4, v[12:13]
	v_add_u32_e32 v12, s6, v12
	v_add_co_u32_e32 v32, vcc, v14, v32
	v_addc_co_u32_e32 v33, vcc, v15, v33, vcc
	global_load_dwordx4 v[32:35], v[32:33], off
	v_ashrrev_i32_e32 v13, 31, v12
	s_movk_i32 s37, 0x150
	s_movk_i32 s38, 0x160
	;; [unrolled: 1-line block ×8, first 2 shown]
	s_waitcnt vmcnt(30)
	buffer_store_dword v39, off, s[0:3], 0 offset:92
	buffer_store_dword v38, off, s[0:3], 0 offset:88
	buffer_store_dword v37, off, s[0:3], 0 offset:84
	buffer_store_dword v36, off, s[0:3], 0 offset:80
	s_waitcnt vmcnt(33)
	buffer_store_dword v43, off, s[0:3], 0 offset:108
	buffer_store_dword v42, off, s[0:3], 0 offset:104
	buffer_store_dword v41, off, s[0:3], 0 offset:100
	buffer_store_dword v40, off, s[0:3], 0 offset:96
	;; [unrolled: 5-line block ×10, first 2 shown]
	v_lshlrev_b64 v[16:17], 4, v[12:13]
	v_add_u32_e32 v12, s6, v12
	v_add_co_u32_e32 v16, vcc, v14, v16
	v_addc_co_u32_e32 v17, vcc, v15, v17, vcc
	global_load_dwordx4 v[16:19], v[16:17], off
	v_ashrrev_i32_e32 v13, 31, v12
	v_lshlrev_b64 v[20:21], 4, v[12:13]
	v_add_u32_e32 v12, s6, v12
	v_add_co_u32_e32 v28, vcc, v14, v20
	v_ashrrev_i32_e32 v13, 31, v12
	v_addc_co_u32_e32 v29, vcc, v15, v21, vcc
	v_lshlrev_b64 v[20:21], 4, v[12:13]
	v_add_u32_e32 v12, s6, v12
	s_waitcnt vmcnt(41)
	buffer_store_dword v35, off, s[0:3], 0 offset:252
	buffer_store_dword v34, off, s[0:3], 0 offset:248
	buffer_store_dword v33, off, s[0:3], 0 offset:244
	buffer_store_dword v32, off, s[0:3], 0 offset:240
	v_add_co_u32_e32 v30, vcc, v14, v20
	v_ashrrev_i32_e32 v13, 31, v12
	v_addc_co_u32_e32 v31, vcc, v15, v21, vcc
	global_load_dwordx4 v[20:23], v[28:29], off
	global_load_dwordx4 v[24:27], v[30:31], off
	v_lshlrev_b64 v[28:29], 4, v[12:13]
	v_add_u32_e32 v12, s6, v12
	v_add_co_u32_e32 v36, vcc, v14, v28
	v_ashrrev_i32_e32 v13, 31, v12
	v_addc_co_u32_e32 v37, vcc, v15, v29, vcc
	v_lshlrev_b64 v[28:29], 4, v[12:13]
	v_add_u32_e32 v12, s6, v12
	v_add_co_u32_e32 v38, vcc, v14, v28
	v_ashrrev_i32_e32 v13, 31, v12
	v_addc_co_u32_e32 v39, vcc, v15, v29, vcc
	global_load_dwordx4 v[28:31], v[36:37], off
	global_load_dwordx4 v[32:35], v[38:39], off
	v_lshlrev_b64 v[36:37], 4, v[12:13]
	v_add_u32_e32 v12, s6, v12
	v_add_co_u32_e32 v44, vcc, v14, v36
	v_ashrrev_i32_e32 v13, 31, v12
	v_addc_co_u32_e32 v45, vcc, v15, v37, vcc
	v_lshlrev_b64 v[36:37], 4, v[12:13]
	v_add_u32_e32 v12, s6, v12
	;; [unrolled: 12-line block ×3, first 2 shown]
	v_add_co_u32_e32 v54, vcc, v14, v44
	v_ashrrev_i32_e32 v13, 31, v12
	v_addc_co_u32_e32 v55, vcc, v15, v45, vcc
	global_load_dwordx4 v[44:47], v[52:53], off
	global_load_dwordx4 v[48:51], v[54:55], off
	v_lshlrev_b64 v[52:53], 4, v[12:13]
	v_add_u32_e32 v12, s6, v12
	v_ashrrev_i32_e32 v13, 31, v12
	v_add_co_u32_e32 v52, vcc, v14, v52
	v_lshlrev_b64 v[56:57], 4, v[12:13]
	v_addc_co_u32_e32 v53, vcc, v15, v53, vcc
	v_add_co_u32_e32 v56, vcc, v14, v56
	v_add_u32_e32 v12, s6, v12
	v_addc_co_u32_e32 v57, vcc, v15, v57, vcc
	v_ashrrev_i32_e32 v13, 31, v12
	global_load_dwordx4 v[52:55], v[52:53], off
	s_movk_i32 s45, 0x1d0
	global_load_dwordx4 v[56:59], v[56:57], off
	s_waitcnt vmcnt(14)
	buffer_store_dword v19, off, s[0:3], 0 offset:268
	buffer_store_dword v18, off, s[0:3], 0 offset:264
	;; [unrolled: 1-line block ×4, first 2 shown]
	v_lshlrev_b64 v[16:17], 4, v[12:13]
	v_add_u32_e32 v12, s6, v12
	v_add_co_u32_e32 v16, vcc, v14, v16
	v_addc_co_u32_e32 v17, vcc, v15, v17, vcc
	global_load_dwordx4 v[16:19], v[16:17], off
	v_ashrrev_i32_e32 v13, 31, v12
	s_waitcnt vmcnt(14)
	buffer_store_dword v20, off, s[0:3], 0 offset:272
	buffer_store_dword v21, off, s[0:3], 0 offset:276
	buffer_store_dword v22, off, s[0:3], 0 offset:280
	buffer_store_dword v23, off, s[0:3], 0 offset:284
	s_waitcnt vmcnt(17)
	buffer_store_dword v24, off, s[0:3], 0 offset:288
	buffer_store_dword v25, off, s[0:3], 0 offset:292
	buffer_store_dword v26, off, s[0:3], 0 offset:296
	buffer_store_dword v27, off, s[0:3], 0 offset:300
	;; [unrolled: 5-line block ×10, first 2 shown]
	v_lshlrev_b64 v[20:21], 4, v[12:13]
	v_add_u32_e32 v12, s6, v12
	v_add_co_u32_e32 v20, vcc, v14, v20
	v_addc_co_u32_e32 v21, vcc, v15, v21, vcc
	global_load_dwordx4 v[20:23], v[20:21], off
	v_ashrrev_i32_e32 v13, 31, v12
	s_waitcnt vmcnt(41)
	buffer_store_dword v19, off, s[0:3], 0 offset:444
	buffer_store_dword v18, off, s[0:3], 0 offset:440
	;; [unrolled: 1-line block ×4, first 2 shown]
	v_lshlrev_b64 v[16:17], 4, v[12:13]
	v_add_u32_e32 v12, s6, v12
	v_add_co_u32_e32 v28, vcc, v14, v16
	v_ashrrev_i32_e32 v13, 31, v12
	v_addc_co_u32_e32 v29, vcc, v15, v17, vcc
	v_lshlrev_b64 v[16:17], 4, v[12:13]
	v_add_u32_e32 v12, s6, v12
	v_add_co_u32_e32 v30, vcc, v14, v16
	v_ashrrev_i32_e32 v13, 31, v12
	v_addc_co_u32_e32 v31, vcc, v15, v17, vcc
	global_load_dwordx4 v[16:19], v[28:29], off
	global_load_dwordx4 v[24:27], v[30:31], off
	v_lshlrev_b64 v[28:29], 4, v[12:13]
	v_add_u32_e32 v12, s6, v12
	v_add_co_u32_e32 v36, vcc, v14, v28
	v_ashrrev_i32_e32 v13, 31, v12
	v_addc_co_u32_e32 v37, vcc, v15, v29, vcc
	v_lshlrev_b64 v[28:29], 4, v[12:13]
	v_add_u32_e32 v12, s6, v12
	v_add_co_u32_e32 v38, vcc, v14, v28
	v_ashrrev_i32_e32 v13, 31, v12
	v_addc_co_u32_e32 v39, vcc, v15, v29, vcc
	global_load_dwordx4 v[28:31], v[36:37], off
	global_load_dwordx4 v[32:35], v[38:39], off
	;; [unrolled: 12-line block ×3, first 2 shown]
	v_lshlrev_b64 v[44:45], 4, v[12:13]
	v_add_u32_e32 v12, s6, v12
	v_add_co_u32_e32 v52, vcc, v14, v44
	v_ashrrev_i32_e32 v13, 31, v12
	v_addc_co_u32_e32 v53, vcc, v15, v45, vcc
	v_lshlrev_b64 v[44:45], 4, v[12:13]
	v_add_u32_e32 v12, s6, v12
	v_add_co_u32_e32 v54, vcc, v14, v44
	v_addc_co_u32_e32 v55, vcc, v15, v45, vcc
	global_load_dwordx4 v[44:47], v[52:53], off
	global_load_dwordx4 v[48:51], v[54:55], off
	v_ashrrev_i32_e32 v13, 31, v12
	v_lshlrev_b64 v[52:53], 4, v[12:13]
	v_add_u32_e32 v12, s6, v12
	v_add_co_u32_e32 v52, vcc, v14, v52
	v_addc_co_u32_e32 v53, vcc, v15, v53, vcc
	v_ashrrev_i32_e32 v13, 31, v12
	v_lshlrev_b64 v[56:57], 4, v[12:13]
	global_load_dwordx4 v[52:55], v[52:53], off
	v_add_co_u32_e32 v56, vcc, v14, v56
	v_addc_co_u32_e32 v57, vcc, v15, v57, vcc
	global_load_dwordx4 v[56:59], v[56:57], off
	v_add_u32_e32 v12, s6, v12
	v_ashrrev_i32_e32 v13, 31, v12
	s_waitcnt vmcnt(14)
	buffer_store_dword v23, off, s[0:3], 0 offset:460
	buffer_store_dword v22, off, s[0:3], 0 offset:456
	;; [unrolled: 1-line block ×4, first 2 shown]
	v_lshlrev_b64 v[20:21], 4, v[12:13]
	v_add_u32_e32 v12, s6, v12
	v_add_co_u32_e32 v20, vcc, v14, v20
	v_addc_co_u32_e32 v21, vcc, v15, v21, vcc
	global_load_dwordx4 v[20:23], v[20:21], off
	v_ashrrev_i32_e32 v13, 31, v12
	s_waitcnt vmcnt(14)
	buffer_store_dword v19, off, s[0:3], 0 offset:476
	buffer_store_dword v18, off, s[0:3], 0 offset:472
	buffer_store_dword v17, off, s[0:3], 0 offset:468
	buffer_store_dword v16, off, s[0:3], 0 offset:464
	s_waitcnt vmcnt(17)
	buffer_store_dword v27, off, s[0:3], 0 offset:492
	buffer_store_dword v26, off, s[0:3], 0 offset:488
	buffer_store_dword v25, off, s[0:3], 0 offset:484
	buffer_store_dword v24, off, s[0:3], 0 offset:480
	;; [unrolled: 5-line block ×10, first 2 shown]
	v_lshlrev_b64 v[16:17], 4, v[12:13]
	v_add_u32_e32 v12, s6, v12
	v_add_co_u32_e32 v16, vcc, v14, v16
	v_addc_co_u32_e32 v17, vcc, v15, v17, vcc
	global_load_dwordx4 v[16:19], v[16:17], off
	v_ashrrev_i32_e32 v13, 31, v12
	s_waitcnt vmcnt(41)
	buffer_store_dword v23, off, s[0:3], 0 offset:636
	buffer_store_dword v22, off, s[0:3], 0 offset:632
	;; [unrolled: 1-line block ×4, first 2 shown]
	v_lshlrev_b64 v[20:21], 4, v[12:13]
	v_add_u32_e32 v12, s6, v12
	v_add_co_u32_e32 v28, vcc, v14, v20
	v_ashrrev_i32_e32 v13, 31, v12
	v_addc_co_u32_e32 v29, vcc, v15, v21, vcc
	v_lshlrev_b64 v[20:21], 4, v[12:13]
	v_add_u32_e32 v12, s6, v12
	v_add_co_u32_e32 v30, vcc, v14, v20
	v_ashrrev_i32_e32 v13, 31, v12
	v_addc_co_u32_e32 v31, vcc, v15, v21, vcc
	global_load_dwordx4 v[20:23], v[28:29], off
	global_load_dwordx4 v[24:27], v[30:31], off
	v_lshlrev_b64 v[28:29], 4, v[12:13]
	v_add_u32_e32 v12, s6, v12
	v_add_co_u32_e32 v36, vcc, v14, v28
	v_ashrrev_i32_e32 v13, 31, v12
	v_addc_co_u32_e32 v37, vcc, v15, v29, vcc
	v_lshlrev_b64 v[28:29], 4, v[12:13]
	v_add_u32_e32 v12, s6, v12
	v_add_co_u32_e32 v38, vcc, v14, v28
	v_ashrrev_i32_e32 v13, 31, v12
	v_addc_co_u32_e32 v39, vcc, v15, v29, vcc
	global_load_dwordx4 v[28:31], v[36:37], off
	global_load_dwordx4 v[32:35], v[38:39], off
	;; [unrolled: 12-line block ×4, first 2 shown]
	v_lshlrev_b64 v[52:53], 4, v[12:13]
	v_add_u32_e32 v12, s6, v12
	v_ashrrev_i32_e32 v13, 31, v12
	v_add_co_u32_e32 v52, vcc, v14, v52
	v_lshlrev_b64 v[56:57], 4, v[12:13]
	v_addc_co_u32_e32 v53, vcc, v15, v53, vcc
	v_add_co_u32_e32 v56, vcc, v14, v56
	v_add_u32_e32 v12, s6, v12
	v_addc_co_u32_e32 v57, vcc, v15, v57, vcc
	v_ashrrev_i32_e32 v13, 31, v12
	global_load_dwordx4 v[52:55], v[52:53], off
	s_movk_i32 s46, 0x1e0
	global_load_dwordx4 v[56:59], v[56:57], off
	s_waitcnt vmcnt(14)
	buffer_store_dword v19, off, s[0:3], 0 offset:652
	buffer_store_dword v18, off, s[0:3], 0 offset:648
	;; [unrolled: 1-line block ×4, first 2 shown]
	v_lshlrev_b64 v[16:17], 4, v[12:13]
	v_add_u32_e32 v12, s6, v12
	v_add_co_u32_e32 v16, vcc, v14, v16
	v_addc_co_u32_e32 v17, vcc, v15, v17, vcc
	global_load_dwordx4 v[16:19], v[16:17], off
	v_ashrrev_i32_e32 v13, 31, v12
	s_waitcnt vmcnt(14)
	buffer_store_dword v23, off, s[0:3], 0 offset:668
	buffer_store_dword v22, off, s[0:3], 0 offset:664
	buffer_store_dword v21, off, s[0:3], 0 offset:660
	buffer_store_dword v20, off, s[0:3], 0 offset:656
	s_waitcnt vmcnt(17)
	buffer_store_dword v27, off, s[0:3], 0 offset:684
	buffer_store_dword v26, off, s[0:3], 0 offset:680
	buffer_store_dword v25, off, s[0:3], 0 offset:676
	buffer_store_dword v24, off, s[0:3], 0 offset:672
	;; [unrolled: 5-line block ×10, first 2 shown]
	v_lshlrev_b64 v[20:21], 4, v[12:13]
	v_add_u32_e32 v12, s6, v12
	v_add_co_u32_e32 v20, vcc, v14, v20
	v_addc_co_u32_e32 v21, vcc, v15, v21, vcc
	v_ashrrev_i32_e32 v13, 31, v12
	global_load_dwordx4 v[20:23], v[20:21], off
	s_waitcnt vmcnt(41)
	buffer_store_dword v19, off, s[0:3], 0 offset:828
	buffer_store_dword v18, off, s[0:3], 0 offset:824
	;; [unrolled: 1-line block ×4, first 2 shown]
	v_lshlrev_b64 v[16:17], 4, v[12:13]
	v_add_u32_e32 v12, s6, v12
	v_add_co_u32_e32 v28, vcc, v14, v16
	v_ashrrev_i32_e32 v13, 31, v12
	v_addc_co_u32_e32 v29, vcc, v15, v17, vcc
	v_lshlrev_b64 v[16:17], 4, v[12:13]
	v_add_u32_e32 v12, s6, v12
	v_add_co_u32_e32 v30, vcc, v14, v16
	v_ashrrev_i32_e32 v13, 31, v12
	v_addc_co_u32_e32 v31, vcc, v15, v17, vcc
	global_load_dwordx4 v[16:19], v[28:29], off
	global_load_dwordx4 v[24:27], v[30:31], off
	v_lshlrev_b64 v[28:29], 4, v[12:13]
	v_add_u32_e32 v12, s6, v12
	v_add_co_u32_e32 v36, vcc, v14, v28
	v_ashrrev_i32_e32 v13, 31, v12
	v_addc_co_u32_e32 v37, vcc, v15, v29, vcc
	v_lshlrev_b64 v[28:29], 4, v[12:13]
	v_add_u32_e32 v12, s6, v12
	v_add_co_u32_e32 v38, vcc, v14, v28
	v_addc_co_u32_e32 v39, vcc, v15, v29, vcc
	global_load_dwordx4 v[28:31], v[36:37], off
	global_load_dwordx4 v[32:35], v[38:39], off
	v_ashrrev_i32_e32 v13, 31, v12
	v_lshlrev_b64 v[36:37], 4, v[12:13]
	v_add_u32_e32 v12, s6, v12
	v_add_co_u32_e32 v44, vcc, v14, v36
	v_ashrrev_i32_e32 v13, 31, v12
	v_addc_co_u32_e32 v45, vcc, v15, v37, vcc
	v_lshlrev_b64 v[36:37], 4, v[12:13]
	v_add_u32_e32 v12, s6, v12
	v_add_co_u32_e32 v46, vcc, v14, v36
	v_ashrrev_i32_e32 v13, 31, v12
	v_addc_co_u32_e32 v47, vcc, v15, v37, vcc
	global_load_dwordx4 v[36:39], v[44:45], off
	global_load_dwordx4 v[40:43], v[46:47], off
	v_lshlrev_b64 v[44:45], 4, v[12:13]
	v_add_u32_e32 v12, s6, v12
	v_add_co_u32_e32 v52, vcc, v14, v44
	v_ashrrev_i32_e32 v13, 31, v12
	v_addc_co_u32_e32 v53, vcc, v15, v45, vcc
	v_lshlrev_b64 v[44:45], 4, v[12:13]
	v_add_u32_e32 v12, s6, v12
	v_add_co_u32_e32 v54, vcc, v14, v44
	v_ashrrev_i32_e32 v13, 31, v12
	v_addc_co_u32_e32 v55, vcc, v15, v45, vcc
	global_load_dwordx4 v[44:47], v[52:53], off
	global_load_dwordx4 v[48:51], v[54:55], off
	v_lshlrev_b64 v[52:53], 4, v[12:13]
	v_add_u32_e32 v12, s6, v12
	v_ashrrev_i32_e32 v13, 31, v12
	v_add_co_u32_e32 v52, vcc, v14, v52
	v_lshlrev_b64 v[56:57], 4, v[12:13]
	v_add_u32_e32 v12, s6, v12
	v_addc_co_u32_e32 v53, vcc, v15, v53, vcc
	v_ashrrev_i32_e32 v13, 31, v12
	v_add_co_u32_e32 v56, vcc, v14, v56
	v_lshlrev_b64 v[12:13], 4, v[12:13]
	v_addc_co_u32_e32 v57, vcc, v15, v57, vcc
	v_add_co_u32_e32 v12, vcc, v14, v12
	global_load_dwordx4 v[52:55], v[52:53], off
	v_addc_co_u32_e32 v13, vcc, v15, v13, vcc
	global_load_dwordx4 v[56:59], v[56:57], off
	s_waitcnt vmcnt(14)
	buffer_store_dword v23, off, s[0:3], 0 offset:844
	buffer_store_dword v22, off, s[0:3], 0 offset:840
	buffer_store_dword v21, off, s[0:3], 0 offset:836
	buffer_store_dword v20, off, s[0:3], 0 offset:832
	s_waitcnt vmcnt(13)
	buffer_store_dword v19, off, s[0:3], 0 offset:860
	buffer_store_dword v18, off, s[0:3], 0 offset:856
	buffer_store_dword v17, off, s[0:3], 0 offset:852
	buffer_store_dword v16, off, s[0:3], 0 offset:848
	;; [unrolled: 5-line block ×3, first 2 shown]
	s_waitcnt vmcnt(19)
	buffer_store_dword v31, off, s[0:3], 0 offset:892
	buffer_store_dword v30, off, s[0:3], 0 offset:888
	global_load_dwordx4 v[17:20], v[12:13], off
	v_mul_lo_u32 v12, s7, v1
	buffer_store_dword v29, off, s[0:3], 0 offset:884
	buffer_store_dword v28, off, s[0:3], 0 offset:880
	s_waitcnt vmcnt(23)
	buffer_store_dword v35, off, s[0:3], 0 offset:908
	buffer_store_dword v34, off, s[0:3], 0 offset:904
	buffer_store_dword v33, off, s[0:3], 0 offset:900
	buffer_store_dword v32, off, s[0:3], 0 offset:896
	s_waitcnt vmcnt(26)
	buffer_store_dword v39, off, s[0:3], 0 offset:924
	buffer_store_dword v38, off, s[0:3], 0 offset:920
	;; [unrolled: 5-line block ×6, first 2 shown]
	v_lshl_add_u32 v16, v12, 4, 0
	v_add_u32_e32 v1, v16, v11
	buffer_store_dword v53, off, s[0:3], 0 offset:980
	buffer_store_dword v52, off, s[0:3], 0 offset:976
	s_waitcnt vmcnt(41)
	buffer_store_dword v59, off, s[0:3], 0 offset:1004
	buffer_store_dword v58, off, s[0:3], 0 offset:1000
	;; [unrolled: 1-line block ×4, first 2 shown]
	s_waitcnt vmcnt(30)
	buffer_store_dword v20, off, s[0:3], 0 offset:1020
	buffer_store_dword v19, off, s[0:3], 0 offset:1016
	;; [unrolled: 1-line block ×4, first 2 shown]
	ds_write2_b64 v1, v[2:3], v[4:5] offset1:1
	s_waitcnt vmcnt(0) lgkmcnt(0)
	s_barrier
	ds_read2_b64 v[1:4], v16 offset1:1
	s_movk_i32 s7, 0x50
	s_movk_i32 s47, 0x1f0
	s_movk_i32 s49, 0x200
	s_movk_i32 s50, 0x210
	s_movk_i32 s51, 0x220
	s_movk_i32 s52, 0x230
	s_movk_i32 s53, 0x240
	s_movk_i32 s87, 0x250
	s_movk_i32 s88, 0x260
	s_movk_i32 s89, 0x270
	s_movk_i32 s90, 0x280
	s_movk_i32 s91, 0x290
	s_movk_i32 s92, 0x2a0
	s_movk_i32 s93, 0x2b0
	s_movk_i32 s94, 0x2c0
	s_movk_i32 s95, 0x2d0
	s_movk_i32 s96, 0x2e0
	s_movk_i32 s97, 0x2f0
	s_movk_i32 s16, 0x300
	s_cmp_lt_i32 s66, 2
	v_lshlrev_b32_e32 v12, 4, v12
	s_movk_i32 s17, 0x310
	s_movk_i32 s48, 0x320
	;; [unrolled: 1-line block ×15, first 2 shown]
	v_writelane_b32 v61, s5, 14
	s_cbranch_scc1 .LBB126_6
; %bb.4:
	v_add3_u32 v5, v12, 0, 16
	s_mov_b32 s54, 1
	v_mov_b32_e32 v10, 0
.LBB126_5:                              ; =>This Inner Loop Header: Depth=1
	s_waitcnt lgkmcnt(0)
	v_cmp_gt_f64_e32 vcc, 0, v[3:4]
	v_cmp_gt_f64_e64 s[4:5], 0, v[1:2]
	ds_read2_b64 v[17:20], v5 offset1:1
	v_xor_b32_e32 v11, 0x80000000, v2
	v_xor_b32_e32 v13, 0x80000000, v4
	v_mov_b32_e32 v21, v1
	v_mov_b32_e32 v23, v3
	s_waitcnt lgkmcnt(0)
	v_mov_b32_e32 v25, v19
	v_cndmask_b32_e32 v24, v4, v13, vcc
	v_cndmask_b32_e64 v22, v2, v11, s[4:5]
	v_cmp_gt_f64_e32 vcc, 0, v[19:20]
	v_cmp_gt_f64_e64 s[4:5], 0, v[17:18]
	v_xor_b32_e32 v11, 0x80000000, v18
	v_xor_b32_e32 v13, 0x80000000, v20
	v_add_f64 v[21:22], v[21:22], v[23:24]
	v_mov_b32_e32 v23, v17
	v_add_u32_e32 v5, 16, v5
	v_cndmask_b32_e32 v26, v20, v13, vcc
	v_cndmask_b32_e64 v24, v18, v11, s[4:5]
	v_add_f64 v[23:24], v[23:24], v[25:26]
	v_mov_b32_e32 v11, s54
	s_add_i32 s54, s54, 1
	s_cmp_eq_u32 s66, s54
	v_cmp_lt_f64_e32 vcc, v[21:22], v[23:24]
	v_cndmask_b32_e32 v2, v2, v18, vcc
	v_cndmask_b32_e32 v1, v1, v17, vcc
	;; [unrolled: 1-line block ×5, first 2 shown]
	s_cbranch_scc0 .LBB126_5
.LBB126_6:
	s_waitcnt lgkmcnt(0)
	v_cmp_neq_f64_e32 vcc, 0, v[1:2]
	v_cmp_neq_f64_e64 s[4:5], 0, v[3:4]
	s_mov_b32 s83, 16
	s_mov_b32 s15, s7
	;; [unrolled: 1-line block ×62, first 2 shown]
	v_mov_b32_e32 v17, 1
	s_or_b64 s[16:17], vcc, s[4:5]
	v_mov_b32_e32 v5, 1
	s_and_saveexec_b64 s[4:5], s[16:17]
	s_mov_b32 s78, s10
	s_mov_b32 s79, s11
	v_readlane_b32 s10, v61, 0
	s_mov_b32 s48, s18
	s_mov_b32 s63, s19
	s_mov_b32 s64, s24
	s_mov_b32 s65, s25
	s_mov_b32 s21, s13
	s_mov_b32 s80, s12
	s_mov_b32 s81, s14
	s_mov_b32 s82, s15
	v_readlane_b32 s11, v61, 1
	s_cbranch_execz .LBB126_12
; %bb.7:
	v_cmp_ngt_f64_e64 s[16:17], |v[1:2]|, |v[3:4]|
	s_and_saveexec_b64 s[18:19], s[16:17]
	s_xor_b64 s[18:19], exec, s[18:19]
	s_cbranch_execz .LBB126_9
; %bb.8:
	v_div_scale_f64 v[17:18], s[16:17], v[3:4], v[3:4], v[1:2]
	v_rcp_f64_e32 v[19:20], v[17:18]
	v_fma_f64 v[21:22], -v[17:18], v[19:20], 1.0
	v_fma_f64 v[19:20], v[19:20], v[21:22], v[19:20]
	v_div_scale_f64 v[21:22], vcc, v[1:2], v[3:4], v[1:2]
	v_fma_f64 v[23:24], -v[17:18], v[19:20], 1.0
	v_fma_f64 v[19:20], v[19:20], v[23:24], v[19:20]
	v_mul_f64 v[23:24], v[21:22], v[19:20]
	v_fma_f64 v[17:18], -v[17:18], v[23:24], v[21:22]
	v_div_fmas_f64 v[17:18], v[17:18], v[19:20], v[23:24]
	v_div_fixup_f64 v[17:18], v[17:18], v[3:4], v[1:2]
	v_fma_f64 v[1:2], v[1:2], v[17:18], v[3:4]
	v_div_scale_f64 v[3:4], s[16:17], v[1:2], v[1:2], 1.0
	v_div_scale_f64 v[23:24], vcc, 1.0, v[1:2], 1.0
	v_rcp_f64_e32 v[19:20], v[3:4]
	v_fma_f64 v[21:22], -v[3:4], v[19:20], 1.0
	v_fma_f64 v[19:20], v[19:20], v[21:22], v[19:20]
	v_fma_f64 v[21:22], -v[3:4], v[19:20], 1.0
	v_fma_f64 v[19:20], v[19:20], v[21:22], v[19:20]
	v_mul_f64 v[21:22], v[23:24], v[19:20]
	v_fma_f64 v[3:4], -v[3:4], v[21:22], v[23:24]
	v_div_fmas_f64 v[3:4], v[3:4], v[19:20], v[21:22]
	v_div_fixup_f64 v[3:4], v[3:4], v[1:2], 1.0
	v_mul_f64 v[1:2], v[17:18], v[3:4]
	v_xor_b32_e32 v4, 0x80000000, v4
.LBB126_9:
	s_andn2_saveexec_b64 s[18:19], s[18:19]
	s_cbranch_execz .LBB126_11
; %bb.10:
	v_div_scale_f64 v[17:18], s[16:17], v[1:2], v[1:2], v[3:4]
	v_rcp_f64_e32 v[19:20], v[17:18]
	v_fma_f64 v[21:22], -v[17:18], v[19:20], 1.0
	v_fma_f64 v[19:20], v[19:20], v[21:22], v[19:20]
	v_div_scale_f64 v[21:22], vcc, v[3:4], v[1:2], v[3:4]
	v_fma_f64 v[23:24], -v[17:18], v[19:20], 1.0
	v_fma_f64 v[19:20], v[19:20], v[23:24], v[19:20]
	v_mul_f64 v[23:24], v[21:22], v[19:20]
	v_fma_f64 v[17:18], -v[17:18], v[23:24], v[21:22]
	v_div_fmas_f64 v[17:18], v[17:18], v[19:20], v[23:24]
	v_div_fixup_f64 v[17:18], v[17:18], v[1:2], v[3:4]
	v_fma_f64 v[1:2], v[3:4], v[17:18], v[1:2]
	v_div_scale_f64 v[3:4], s[16:17], v[1:2], v[1:2], 1.0
	v_div_scale_f64 v[23:24], vcc, 1.0, v[1:2], 1.0
	v_rcp_f64_e32 v[19:20], v[3:4]
	v_fma_f64 v[21:22], -v[3:4], v[19:20], 1.0
	v_fma_f64 v[19:20], v[19:20], v[21:22], v[19:20]
	v_fma_f64 v[21:22], -v[3:4], v[19:20], 1.0
	v_fma_f64 v[19:20], v[19:20], v[21:22], v[19:20]
	v_mul_f64 v[21:22], v[23:24], v[19:20]
	v_fma_f64 v[3:4], -v[3:4], v[21:22], v[23:24]
	v_div_fmas_f64 v[3:4], v[3:4], v[19:20], v[21:22]
	v_div_fixup_f64 v[1:2], v[3:4], v[1:2], 1.0
	v_mul_f64 v[3:4], v[17:18], -v[1:2]
.LBB126_11:
	s_or_b64 exec, exec, s[18:19]
	v_mov_b32_e32 v5, 0
	v_mov_b32_e32 v17, 2
.LBB126_12:
	s_or_b64 exec, exec, s[4:5]
	v_cmp_ne_u32_e32 vcc, v0, v10
                                        ; implicit-def: $vgpr19
	s_and_saveexec_b64 s[4:5], vcc
	s_xor_b64 s[4:5], exec, s[4:5]
	s_cbranch_execz .LBB126_18
; %bb.13:
	v_cmp_eq_u32_e32 vcc, 0, v0
	s_and_saveexec_b64 s[18:19], vcc
	s_cbranch_execz .LBB126_17
; %bb.14:
	v_cmp_ne_u32_e32 vcc, 0, v10
	s_xor_b64 s[16:17], s[10:11], -1
	s_and_b64 s[16:17], s[16:17], vcc
	s_and_saveexec_b64 s[24:25], s[16:17]
	s_cbranch_execz .LBB126_16
; %bb.15:
	v_ashrrev_i32_e32 v11, 31, v10
	v_lshlrev_b64 v[18:19], 2, v[10:11]
	v_add_co_u32_e32 v18, vcc, v8, v18
	v_addc_co_u32_e32 v19, vcc, v9, v19, vcc
	global_load_dword v0, v[18:19], off
	global_load_dword v11, v[8:9], off
	s_waitcnt vmcnt(1)
	global_store_dword v[8:9], v0, off
	s_waitcnt vmcnt(1)
	global_store_dword v[18:19], v11, off
.LBB126_16:
	s_or_b64 exec, exec, s[24:25]
	v_mov_b32_e32 v0, v10
.LBB126_17:
	s_or_b64 exec, exec, s[18:19]
	v_mov_b32_e32 v19, v0
                                        ; implicit-def: $vgpr0
.LBB126_18:
	s_or_saveexec_b64 s[4:5], s[4:5]
	v_mov_b32_e32 v18, v19
	s_xor_b64 exec, exec, s[4:5]
	s_cbranch_execz .LBB126_22
; %bb.19:
	s_mov_b32 s16, 16
.LBB126_20:                             ; =>This Inner Loop Header: Depth=1
	v_mov_b32_e32 v13, s16
	buffer_load_dword v10, v13, s[0:3], 0 offen
	buffer_load_dword v11, v13, s[0:3], 0 offen offset:4
	buffer_load_dword v18, v13, s[0:3], 0 offen offset:8
	;; [unrolled: 1-line block ×35, first 2 shown]
	v_add_u32_e32 v13, s16, v16
	s_addk_i32 s16, 0x90
	s_cmpk_eq_i32 s16, 0x400
	s_waitcnt vmcnt(32)
	ds_write2_b64 v13, v[10:11], v[18:19] offset1:1
	s_waitcnt vmcnt(28)
	ds_write2_b64 v13, v[20:21], v[22:23] offset0:2 offset1:3
	s_waitcnt vmcnt(24)
	ds_write2_b64 v13, v[24:25], v[26:27] offset0:4 offset1:5
	;; [unrolled: 2-line block ×4, first 2 shown]
	ds_write2_b64 v13, v[36:37], v[34:35] offset0:10 offset1:11
	s_waitcnt vmcnt(4)
	ds_write2_b64 v13, v[46:47], v[40:41] offset0:12 offset1:13
	ds_write2_b64 v13, v[44:45], v[42:43] offset0:14 offset1:15
	s_waitcnt vmcnt(0)
	ds_write2_b64 v13, v[48:49], v[50:51] offset0:16 offset1:17
	s_cbranch_scc0 .LBB126_20
; %bb.21:
	v_mov_b32_e32 v19, 0
	v_mov_b32_e32 v18, v0
.LBB126_22:
	s_or_b64 exec, exec, s[4:5]
	v_cmp_lt_i32_e32 vcc, 0, v19
	s_waitcnt vmcnt(0) lgkmcnt(0)
	s_barrier
	s_and_saveexec_b64 s[4:5], vcc
	s_cbranch_execz .LBB126_25
; %bb.23:
	buffer_load_dword v10, off, s[0:3], 0 offset:8
	buffer_load_dword v11, off, s[0:3], 0 offset:12
	buffer_load_dword v20, off, s[0:3], 0
	buffer_load_dword v21, off, s[0:3], 0 offset:4
	s_mov_b32 s18, 16
	s_waitcnt vmcnt(2)
	v_mul_f64 v[22:23], v[3:4], v[10:11]
	v_mul_f64 v[10:11], v[1:2], v[10:11]
	s_waitcnt vmcnt(0)
	v_fma_f64 v[0:1], v[1:2], v[20:21], -v[22:23]
	v_fma_f64 v[2:3], v[3:4], v[20:21], v[10:11]
	buffer_store_dword v0, off, s[0:3], 0
	buffer_store_dword v1, off, s[0:3], 0 offset:4
	buffer_store_dword v2, off, s[0:3], 0 offset:8
	;; [unrolled: 1-line block ×3, first 2 shown]
.LBB126_24:                             ; =>This Inner Loop Header: Depth=1
	v_add_u32_e32 v13, s18, v16
	v_mov_b32_e32 v4, s18
	buffer_load_dword v10, v4, s[0:3], 0 offen
	buffer_load_dword v11, v4, s[0:3], 0 offen offset:4
	buffer_load_dword v48, v4, s[0:3], 0 offen offset:8
	;; [unrolled: 1-line block ×5, first 2 shown]
	ds_read2_b64 v[20:23], v13 offset1:1
	ds_read2_b64 v[24:27], v13 offset0:2 offset1:3
	ds_read2_b64 v[28:31], v13 offset0:4 offset1:5
	;; [unrolled: 1-line block ×6, first 2 shown]
	s_waitcnt lgkmcnt(6)
	v_mul_f64 v[52:53], v[22:23], v[2:3]
	v_mul_f64 v[54:55], v[20:21], v[2:3]
	s_addk_i32 s18, 0x70
	s_cmpk_lg_i32 s18, 0x400
	v_fma_f64 v[20:21], v[20:21], v[0:1], -v[52:53]
	v_fma_f64 v[22:23], v[22:23], v[0:1], v[54:55]
	s_waitcnt lgkmcnt(5)
	v_mul_f64 v[52:53], v[26:27], v[2:3]
	v_mul_f64 v[54:55], v[24:25], v[2:3]
	v_fma_f64 v[24:25], v[24:25], v[0:1], -v[52:53]
	v_fma_f64 v[26:27], v[26:27], v[0:1], v[54:55]
	s_waitcnt lgkmcnt(4)
	v_mul_f64 v[52:53], v[30:31], v[2:3]
	v_mul_f64 v[54:55], v[28:29], v[2:3]
	;; [unrolled: 5-line block ×6, first 2 shown]
	v_fma_f64 v[44:45], v[44:45], v[0:1], -v[52:53]
	v_fma_f64 v[46:47], v[46:47], v[0:1], v[54:55]
	buffer_load_dword v52, v4, s[0:3], 0 offen offset:24
	buffer_load_dword v53, v4, s[0:3], 0 offen offset:28
	;; [unrolled: 1-line block ×4, first 2 shown]
	s_waitcnt vmcnt(8)
	v_add_f64 v[10:11], v[10:11], -v[20:21]
	buffer_load_dword v20, v4, s[0:3], 0 offen offset:40
	buffer_load_dword v21, v4, s[0:3], 0 offen offset:44
	s_waitcnt vmcnt(8)
	v_add_f64 v[22:23], v[48:49], -v[22:23]
	buffer_load_dword v48, v4, s[0:3], 0 offen offset:48
	buffer_load_dword v49, v4, s[0:3], 0 offen offset:52
	;; [unrolled: 4-line block ×9, first 2 shown]
	s_waitcnt vmcnt(8)
	v_add_f64 v[38:39], v[54:55], -v[38:39]
	s_waitcnt vmcnt(6)
	v_add_f64 v[30:31], v[30:31], -v[40:41]
	;; [unrolled: 2-line block ×5, first 2 shown]
	buffer_store_dword v10, v4, s[0:3], 0 offen
	buffer_store_dword v11, v4, s[0:3], 0 offen offset:4
	buffer_store_dword v22, v4, s[0:3], 0 offen offset:8
	;; [unrolled: 1-line block ×27, first 2 shown]
	s_cbranch_scc1 .LBB126_24
.LBB126_25:
	s_or_b64 exec, exec, s[4:5]
	v_mov_b32_e32 v3, s83
	s_waitcnt vmcnt(0)
	s_barrier
	buffer_load_dword v0, v3, s[0:3], 0 offen
	buffer_load_dword v1, v3, s[0:3], 0 offen offset:4
	buffer_load_dword v2, v3, s[0:3], 0 offen offset:8
	s_nop 0
	buffer_load_dword v3, v3, s[0:3], 0 offen offset:12
	v_lshl_add_u32 v4, v19, 4, v16
	s_cmp_lt_i32 s66, 3
	s_waitcnt vmcnt(0)
	ds_write2_b64 v4, v[0:1], v[2:3] offset1:1
	s_waitcnt lgkmcnt(0)
	s_barrier
	ds_read2_b64 v[0:3], v16 offset0:2 offset1:3
	v_mov_b32_e32 v4, 1
	s_cbranch_scc1 .LBB126_28
; %bb.26:
	v_add3_u32 v10, v12, 0, 32
	s_mov_b32 s16, 2
	v_mov_b32_e32 v4, 1
.LBB126_27:                             ; =>This Inner Loop Header: Depth=1
	s_waitcnt lgkmcnt(0)
	v_cmp_gt_f64_e32 vcc, 0, v[2:3]
	v_cmp_gt_f64_e64 s[4:5], 0, v[0:1]
	ds_read2_b64 v[20:23], v10 offset1:1
	v_xor_b32_e32 v11, 0x80000000, v1
	v_xor_b32_e32 v13, 0x80000000, v3
	v_mov_b32_e32 v24, v0
	v_mov_b32_e32 v26, v2
	s_waitcnt lgkmcnt(0)
	v_mov_b32_e32 v28, v22
	v_cndmask_b32_e32 v27, v3, v13, vcc
	v_cndmask_b32_e64 v25, v1, v11, s[4:5]
	v_cmp_gt_f64_e32 vcc, 0, v[22:23]
	v_cmp_gt_f64_e64 s[4:5], 0, v[20:21]
	v_xor_b32_e32 v11, 0x80000000, v21
	v_xor_b32_e32 v13, 0x80000000, v23
	v_add_f64 v[24:25], v[24:25], v[26:27]
	v_mov_b32_e32 v26, v20
	v_add_u32_e32 v10, 16, v10
	v_cndmask_b32_e32 v29, v23, v13, vcc
	v_cndmask_b32_e64 v27, v21, v11, s[4:5]
	v_add_f64 v[26:27], v[26:27], v[28:29]
	v_mov_b32_e32 v11, s16
	s_add_i32 s16, s16, 1
	s_cmp_lg_u32 s66, s16
	v_cmp_lt_f64_e32 vcc, v[24:25], v[26:27]
	v_cndmask_b32_e32 v1, v1, v21, vcc
	v_cndmask_b32_e32 v0, v0, v20, vcc
	;; [unrolled: 1-line block ×5, first 2 shown]
	s_cbranch_scc1 .LBB126_27
.LBB126_28:
	s_waitcnt lgkmcnt(0)
	v_cmp_neq_f64_e32 vcc, 0, v[0:1]
	v_cmp_neq_f64_e64 s[4:5], 0, v[2:3]
	s_or_b64 s[16:17], vcc, s[4:5]
	s_and_saveexec_b64 s[4:5], s[16:17]
	s_cbranch_execz .LBB126_34
; %bb.29:
	v_cmp_ngt_f64_e64 s[16:17], |v[0:1]|, |v[2:3]|
	s_and_saveexec_b64 s[18:19], s[16:17]
	s_xor_b64 s[18:19], exec, s[18:19]
	s_cbranch_execz .LBB126_31
; %bb.30:
	v_div_scale_f64 v[10:11], s[16:17], v[2:3], v[2:3], v[0:1]
	v_rcp_f64_e32 v[20:21], v[10:11]
	v_fma_f64 v[22:23], -v[10:11], v[20:21], 1.0
	v_fma_f64 v[20:21], v[20:21], v[22:23], v[20:21]
	v_div_scale_f64 v[22:23], vcc, v[0:1], v[2:3], v[0:1]
	v_fma_f64 v[24:25], -v[10:11], v[20:21], 1.0
	v_fma_f64 v[20:21], v[20:21], v[24:25], v[20:21]
	v_mul_f64 v[24:25], v[22:23], v[20:21]
	v_fma_f64 v[10:11], -v[10:11], v[24:25], v[22:23]
	v_div_fmas_f64 v[10:11], v[10:11], v[20:21], v[24:25]
	v_div_fixup_f64 v[10:11], v[10:11], v[2:3], v[0:1]
	v_fma_f64 v[0:1], v[0:1], v[10:11], v[2:3]
	v_div_scale_f64 v[2:3], s[16:17], v[0:1], v[0:1], 1.0
	v_div_scale_f64 v[24:25], vcc, 1.0, v[0:1], 1.0
	v_rcp_f64_e32 v[20:21], v[2:3]
	v_fma_f64 v[22:23], -v[2:3], v[20:21], 1.0
	v_fma_f64 v[20:21], v[20:21], v[22:23], v[20:21]
	v_fma_f64 v[22:23], -v[2:3], v[20:21], 1.0
	v_fma_f64 v[20:21], v[20:21], v[22:23], v[20:21]
	v_mul_f64 v[22:23], v[24:25], v[20:21]
	v_fma_f64 v[2:3], -v[2:3], v[22:23], v[24:25]
	v_div_fmas_f64 v[2:3], v[2:3], v[20:21], v[22:23]
	v_div_fixup_f64 v[2:3], v[2:3], v[0:1], 1.0
	v_mul_f64 v[0:1], v[10:11], v[2:3]
	v_xor_b32_e32 v3, 0x80000000, v3
.LBB126_31:
	s_andn2_saveexec_b64 s[18:19], s[18:19]
	s_cbranch_execz .LBB126_33
; %bb.32:
	v_div_scale_f64 v[10:11], s[16:17], v[0:1], v[0:1], v[2:3]
	v_rcp_f64_e32 v[20:21], v[10:11]
	v_fma_f64 v[22:23], -v[10:11], v[20:21], 1.0
	v_fma_f64 v[20:21], v[20:21], v[22:23], v[20:21]
	v_div_scale_f64 v[22:23], vcc, v[2:3], v[0:1], v[2:3]
	v_fma_f64 v[24:25], -v[10:11], v[20:21], 1.0
	v_fma_f64 v[20:21], v[20:21], v[24:25], v[20:21]
	v_mul_f64 v[24:25], v[22:23], v[20:21]
	v_fma_f64 v[10:11], -v[10:11], v[24:25], v[22:23]
	v_div_fmas_f64 v[10:11], v[10:11], v[20:21], v[24:25]
	v_div_fixup_f64 v[10:11], v[10:11], v[0:1], v[2:3]
	v_fma_f64 v[0:1], v[2:3], v[10:11], v[0:1]
	v_div_scale_f64 v[2:3], s[16:17], v[0:1], v[0:1], 1.0
	v_div_scale_f64 v[24:25], vcc, 1.0, v[0:1], 1.0
	v_rcp_f64_e32 v[20:21], v[2:3]
	v_fma_f64 v[22:23], -v[2:3], v[20:21], 1.0
	v_fma_f64 v[20:21], v[20:21], v[22:23], v[20:21]
	v_fma_f64 v[22:23], -v[2:3], v[20:21], 1.0
	v_fma_f64 v[20:21], v[20:21], v[22:23], v[20:21]
	v_mul_f64 v[22:23], v[24:25], v[20:21]
	v_fma_f64 v[2:3], -v[2:3], v[22:23], v[24:25]
	v_div_fmas_f64 v[2:3], v[2:3], v[20:21], v[22:23]
	v_div_fixup_f64 v[0:1], v[2:3], v[0:1], 1.0
	v_mul_f64 v[2:3], v[10:11], -v[0:1]
.LBB126_33:
	s_or_b64 exec, exec, s[18:19]
	v_mov_b32_e32 v17, v5
.LBB126_34:
	s_or_b64 exec, exec, s[4:5]
	v_cmp_ne_u32_e32 vcc, v19, v4
	s_and_saveexec_b64 s[4:5], vcc
	s_xor_b64 s[4:5], exec, s[4:5]
	s_cbranch_execz .LBB126_40
; %bb.35:
	v_cmp_eq_u32_e32 vcc, 1, v19
	s_and_saveexec_b64 s[18:19], vcc
	s_cbranch_execz .LBB126_39
; %bb.36:
	v_cmp_ne_u32_e32 vcc, 1, v4
	s_xor_b64 s[16:17], s[10:11], -1
	s_and_b64 s[16:17], s[16:17], vcc
	s_and_saveexec_b64 s[24:25], s[16:17]
	s_cbranch_execz .LBB126_38
; %bb.37:
	v_ashrrev_i32_e32 v5, 31, v4
	v_lshlrev_b64 v[10:11], 2, v[4:5]
	v_add_co_u32_e32 v10, vcc, v8, v10
	v_addc_co_u32_e32 v11, vcc, v9, v11, vcc
	global_load_dword v5, v[10:11], off
	global_load_dword v13, v[8:9], off offset:4
	s_waitcnt vmcnt(1)
	global_store_dword v[8:9], v5, off offset:4
	s_waitcnt vmcnt(1)
	global_store_dword v[10:11], v13, off
.LBB126_38:
	s_or_b64 exec, exec, s[24:25]
	v_mov_b32_e32 v19, v4
	v_mov_b32_e32 v18, v4
.LBB126_39:
	s_or_b64 exec, exec, s[18:19]
.LBB126_40:
	s_andn2_saveexec_b64 s[4:5], s[4:5]
	s_cbranch_execz .LBB126_44
; %bb.41:
	s_mov_b32 s16, 32
.LBB126_42:                             ; =>This Inner Loop Header: Depth=1
	v_mov_b32_e32 v13, s16
	buffer_load_dword v4, v13, s[0:3], 0 offen
	buffer_load_dword v5, v13, s[0:3], 0 offen offset:4
	buffer_load_dword v10, v13, s[0:3], 0 offen offset:8
	;; [unrolled: 1-line block ×7, first 2 shown]
	v_add_u32_e32 v13, s16, v16
	s_add_i32 s16, s16, 32
	s_cmpk_eq_i32 s16, 0x400
	s_waitcnt vmcnt(4)
	ds_write2_b64 v13, v[4:5], v[10:11] offset1:1
	s_waitcnt vmcnt(0)
	ds_write2_b64 v13, v[19:20], v[21:22] offset0:2 offset1:3
	s_cbranch_scc0 .LBB126_42
; %bb.43:
	v_mov_b32_e32 v19, 1
.LBB126_44:
	s_or_b64 exec, exec, s[4:5]
	v_cmp_lt_i32_e32 vcc, 1, v19
	s_waitcnt vmcnt(0) lgkmcnt(0)
	s_barrier
	s_and_saveexec_b64 s[4:5], vcc
	s_cbranch_execz .LBB126_47
; %bb.45:
	buffer_load_dword v4, off, s[0:3], 0 offset:24
	buffer_load_dword v5, off, s[0:3], 0 offset:28
	;; [unrolled: 1-line block ×4, first 2 shown]
	s_mov_b32 s16, 32
	s_waitcnt vmcnt(2)
	v_mul_f64 v[20:21], v[2:3], v[4:5]
	v_mul_f64 v[4:5], v[0:1], v[4:5]
	s_waitcnt vmcnt(0)
	v_fma_f64 v[0:1], v[0:1], v[10:11], -v[20:21]
	v_fma_f64 v[2:3], v[2:3], v[10:11], v[4:5]
	buffer_store_dword v0, off, s[0:3], 0 offset:16
	buffer_store_dword v1, off, s[0:3], 0 offset:20
	buffer_store_dword v2, off, s[0:3], 0 offset:24
	buffer_store_dword v3, off, s[0:3], 0 offset:28
.LBB126_46:                             ; =>This Inner Loop Header: Depth=1
	v_mov_b32_e32 v13, s16
	buffer_load_dword v4, v13, s[0:3], 0 offen
	buffer_load_dword v5, v13, s[0:3], 0 offen offset:4
	buffer_load_dword v10, v13, s[0:3], 0 offen offset:8
	;; [unrolled: 1-line block ×3, first 2 shown]
	v_add_u32_e32 v24, s16, v16
	ds_read2_b64 v[20:23], v24 offset1:1
	buffer_load_dword v28, v13, s[0:3], 0 offen offset:16
	buffer_load_dword v30, v13, s[0:3], 0 offen offset:24
	;; [unrolled: 1-line block ×4, first 2 shown]
	ds_read2_b64 v[24:27], v24 offset0:2 offset1:3
	s_add_i32 s16, s16, 32
	s_cmpk_lg_i32 s16, 0x400
	s_waitcnt lgkmcnt(1)
	v_mul_f64 v[32:33], v[22:23], v[2:3]
	v_mul_f64 v[2:3], v[20:21], v[2:3]
	v_fma_f64 v[20:21], v[20:21], v[0:1], -v[32:33]
	v_fma_f64 v[0:1], v[22:23], v[0:1], v[2:3]
	s_waitcnt vmcnt(6)
	v_add_f64 v[2:3], v[4:5], -v[20:21]
	s_waitcnt vmcnt(4)
	v_add_f64 v[0:1], v[10:11], -v[0:1]
	buffer_store_dword v3, v13, s[0:3], 0 offen offset:4
	buffer_store_dword v2, v13, s[0:3], 0 offen
	buffer_store_dword v1, v13, s[0:3], 0 offen offset:12
	buffer_store_dword v0, v13, s[0:3], 0 offen offset:8
	buffer_load_dword v3, off, s[0:3], 0 offset:28
	s_nop 0
	buffer_load_dword v2, off, s[0:3], 0 offset:24
	buffer_load_dword v1, off, s[0:3], 0 offset:20
	;; [unrolled: 1-line block ×3, first 2 shown]
	s_waitcnt vmcnt(2) lgkmcnt(0)
	v_mul_f64 v[4:5], v[26:27], v[2:3]
	v_mul_f64 v[10:11], v[24:25], v[2:3]
	s_waitcnt vmcnt(0)
	v_fma_f64 v[4:5], v[24:25], v[0:1], -v[4:5]
	v_fma_f64 v[10:11], v[26:27], v[0:1], v[10:11]
	v_add_f64 v[4:5], v[28:29], -v[4:5]
	v_add_f64 v[10:11], v[30:31], -v[10:11]
	buffer_store_dword v4, v13, s[0:3], 0 offen offset:16
	buffer_store_dword v5, v13, s[0:3], 0 offen offset:20
	;; [unrolled: 1-line block ×4, first 2 shown]
	s_cbranch_scc1 .LBB126_46
.LBB126_47:
	s_or_b64 exec, exec, s[4:5]
	v_mov_b32_e32 v3, s89
	s_waitcnt vmcnt(0)
	s_barrier
	buffer_load_dword v0, v3, s[0:3], 0 offen
	buffer_load_dword v1, v3, s[0:3], 0 offen offset:4
	buffer_load_dword v2, v3, s[0:3], 0 offen offset:8
	s_nop 0
	buffer_load_dword v3, v3, s[0:3], 0 offen offset:12
	v_lshl_add_u32 v4, v19, 4, v16
	s_cmp_lt_i32 s66, 4
	s_waitcnt vmcnt(0)
	ds_write2_b64 v4, v[0:1], v[2:3] offset1:1
	s_waitcnt lgkmcnt(0)
	s_barrier
	ds_read2_b64 v[0:3], v16 offset0:4 offset1:5
	v_mov_b32_e32 v4, 2
	s_cbranch_scc1 .LBB126_50
; %bb.48:
	v_add3_u32 v5, v12, 0, 48
	s_mov_b32 s16, 3
	v_mov_b32_e32 v4, 2
.LBB126_49:                             ; =>This Inner Loop Header: Depth=1
	s_waitcnt lgkmcnt(0)
	v_cmp_gt_f64_e32 vcc, 0, v[2:3]
	v_cmp_gt_f64_e64 s[4:5], 0, v[0:1]
	ds_read2_b64 v[20:23], v5 offset1:1
	v_xor_b32_e32 v11, 0x80000000, v1
	v_xor_b32_e32 v13, 0x80000000, v3
	v_mov_b32_e32 v10, v0
	v_mov_b32_e32 v24, v2
	s_waitcnt lgkmcnt(0)
	v_xor_b32_e32 v27, 0x80000000, v23
	v_cndmask_b32_e32 v25, v3, v13, vcc
	v_cndmask_b32_e64 v11, v1, v11, s[4:5]
	v_cmp_gt_f64_e32 vcc, 0, v[22:23]
	v_cmp_gt_f64_e64 s[4:5], 0, v[20:21]
	v_xor_b32_e32 v13, 0x80000000, v21
	v_add_f64 v[10:11], v[10:11], v[24:25]
	v_mov_b32_e32 v24, v20
	v_mov_b32_e32 v26, v22
	v_add_u32_e32 v5, 16, v5
	v_cndmask_b32_e32 v27, v23, v27, vcc
	v_cndmask_b32_e64 v25, v21, v13, s[4:5]
	v_add_f64 v[24:25], v[24:25], v[26:27]
	v_mov_b32_e32 v13, s16
	s_add_i32 s16, s16, 1
	s_cmp_lg_u32 s66, s16
	v_cmp_lt_f64_e32 vcc, v[10:11], v[24:25]
	v_cndmask_b32_e32 v1, v1, v21, vcc
	v_cndmask_b32_e32 v0, v0, v20, vcc
	;; [unrolled: 1-line block ×5, first 2 shown]
	s_cbranch_scc1 .LBB126_49
.LBB126_50:
	s_waitcnt lgkmcnt(0)
	v_cmp_eq_f64_e32 vcc, 0, v[0:1]
	v_cmp_eq_f64_e64 s[4:5], 0, v[2:3]
	s_and_b64 s[4:5], vcc, s[4:5]
	s_and_saveexec_b64 s[16:17], s[4:5]
	s_xor_b64 s[4:5], exec, s[16:17]
; %bb.51:
	v_cmp_ne_u32_e32 vcc, 0, v17
	v_cndmask_b32_e32 v17, 3, v17, vcc
; %bb.52:
	s_andn2_saveexec_b64 s[4:5], s[4:5]
	s_cbranch_execz .LBB126_58
; %bb.53:
	v_cmp_ngt_f64_e64 s[16:17], |v[0:1]|, |v[2:3]|
	s_and_saveexec_b64 s[18:19], s[16:17]
	s_xor_b64 s[18:19], exec, s[18:19]
	s_cbranch_execz .LBB126_55
; %bb.54:
	v_div_scale_f64 v[10:11], s[16:17], v[2:3], v[2:3], v[0:1]
	v_rcp_f64_e32 v[20:21], v[10:11]
	v_fma_f64 v[22:23], -v[10:11], v[20:21], 1.0
	v_fma_f64 v[20:21], v[20:21], v[22:23], v[20:21]
	v_div_scale_f64 v[22:23], vcc, v[0:1], v[2:3], v[0:1]
	v_fma_f64 v[24:25], -v[10:11], v[20:21], 1.0
	v_fma_f64 v[20:21], v[20:21], v[24:25], v[20:21]
	v_mul_f64 v[24:25], v[22:23], v[20:21]
	v_fma_f64 v[10:11], -v[10:11], v[24:25], v[22:23]
	v_div_fmas_f64 v[10:11], v[10:11], v[20:21], v[24:25]
	v_div_fixup_f64 v[10:11], v[10:11], v[2:3], v[0:1]
	v_fma_f64 v[0:1], v[0:1], v[10:11], v[2:3]
	v_div_scale_f64 v[2:3], s[16:17], v[0:1], v[0:1], 1.0
	v_div_scale_f64 v[24:25], vcc, 1.0, v[0:1], 1.0
	v_rcp_f64_e32 v[20:21], v[2:3]
	v_fma_f64 v[22:23], -v[2:3], v[20:21], 1.0
	v_fma_f64 v[20:21], v[20:21], v[22:23], v[20:21]
	v_fma_f64 v[22:23], -v[2:3], v[20:21], 1.0
	v_fma_f64 v[20:21], v[20:21], v[22:23], v[20:21]
	v_mul_f64 v[22:23], v[24:25], v[20:21]
	v_fma_f64 v[2:3], -v[2:3], v[22:23], v[24:25]
	v_div_fmas_f64 v[2:3], v[2:3], v[20:21], v[22:23]
	v_div_fixup_f64 v[2:3], v[2:3], v[0:1], 1.0
	v_mul_f64 v[0:1], v[10:11], v[2:3]
	v_xor_b32_e32 v3, 0x80000000, v3
.LBB126_55:
	s_andn2_saveexec_b64 s[18:19], s[18:19]
	s_cbranch_execz .LBB126_57
; %bb.56:
	v_div_scale_f64 v[10:11], s[16:17], v[0:1], v[0:1], v[2:3]
	v_rcp_f64_e32 v[20:21], v[10:11]
	v_fma_f64 v[22:23], -v[10:11], v[20:21], 1.0
	v_fma_f64 v[20:21], v[20:21], v[22:23], v[20:21]
	v_div_scale_f64 v[22:23], vcc, v[2:3], v[0:1], v[2:3]
	v_fma_f64 v[24:25], -v[10:11], v[20:21], 1.0
	v_fma_f64 v[20:21], v[20:21], v[24:25], v[20:21]
	v_mul_f64 v[24:25], v[22:23], v[20:21]
	v_fma_f64 v[10:11], -v[10:11], v[24:25], v[22:23]
	v_div_fmas_f64 v[10:11], v[10:11], v[20:21], v[24:25]
	v_div_fixup_f64 v[10:11], v[10:11], v[0:1], v[2:3]
	v_fma_f64 v[0:1], v[2:3], v[10:11], v[0:1]
	v_div_scale_f64 v[2:3], s[16:17], v[0:1], v[0:1], 1.0
	v_div_scale_f64 v[24:25], vcc, 1.0, v[0:1], 1.0
	v_rcp_f64_e32 v[20:21], v[2:3]
	v_fma_f64 v[22:23], -v[2:3], v[20:21], 1.0
	v_fma_f64 v[20:21], v[20:21], v[22:23], v[20:21]
	v_fma_f64 v[22:23], -v[2:3], v[20:21], 1.0
	v_fma_f64 v[20:21], v[20:21], v[22:23], v[20:21]
	v_mul_f64 v[22:23], v[24:25], v[20:21]
	v_fma_f64 v[2:3], -v[2:3], v[22:23], v[24:25]
	v_div_fmas_f64 v[2:3], v[2:3], v[20:21], v[22:23]
	v_div_fixup_f64 v[0:1], v[2:3], v[0:1], 1.0
	v_mul_f64 v[2:3], v[10:11], -v[0:1]
.LBB126_57:
	s_or_b64 exec, exec, s[18:19]
.LBB126_58:
	s_or_b64 exec, exec, s[4:5]
	v_cmp_ne_u32_e32 vcc, v19, v4
	s_and_saveexec_b64 s[4:5], vcc
	s_xor_b64 s[4:5], exec, s[4:5]
	s_cbranch_execz .LBB126_64
; %bb.59:
	v_cmp_eq_u32_e32 vcc, 2, v19
	s_and_saveexec_b64 s[18:19], vcc
	s_cbranch_execz .LBB126_63
; %bb.60:
	v_cmp_ne_u32_e32 vcc, 2, v4
	s_xor_b64 s[16:17], s[10:11], -1
	s_and_b64 s[16:17], s[16:17], vcc
	s_and_saveexec_b64 s[24:25], s[16:17]
	s_cbranch_execz .LBB126_62
; %bb.61:
	v_ashrrev_i32_e32 v5, 31, v4
	v_lshlrev_b64 v[10:11], 2, v[4:5]
	v_add_co_u32_e32 v10, vcc, v8, v10
	v_addc_co_u32_e32 v11, vcc, v9, v11, vcc
	global_load_dword v5, v[10:11], off
	global_load_dword v13, v[8:9], off offset:8
	s_waitcnt vmcnt(1)
	global_store_dword v[8:9], v5, off offset:8
	s_waitcnt vmcnt(1)
	global_store_dword v[10:11], v13, off
.LBB126_62:
	s_or_b64 exec, exec, s[24:25]
	v_mov_b32_e32 v19, v4
	v_mov_b32_e32 v18, v4
.LBB126_63:
	s_or_b64 exec, exec, s[18:19]
.LBB126_64:
	s_andn2_saveexec_b64 s[4:5], s[4:5]
	s_cbranch_execz .LBB126_70
; %bb.65:
	s_mov_b32 s16, 48
	s_branch .LBB126_67
.LBB126_66:                             ;   in Loop: Header=BB126_67 Depth=1
	s_andn2_b64 vcc, exec, s[18:19]
	s_cbranch_vccz .LBB126_69
.LBB126_67:                             ; =>This Inner Loop Header: Depth=1
	v_mov_b32_e32 v4, s16
	buffer_load_dword v10, v4, s[0:3], 0 offen
	buffer_load_dword v11, v4, s[0:3], 0 offen offset:4
	buffer_load_dword v19, v4, s[0:3], 0 offen offset:8
	;; [unrolled: 1-line block ×19, first 2 shown]
	s_mov_b32 s17, s16
	v_add_u32_e32 v4, s16, v16
	s_cmpk_eq_i32 s16, 0x3b0
	s_mov_b64 s[18:19], -1
	s_waitcnt vmcnt(16)
	ds_write2_b64 v4, v[10:11], v[19:20] offset1:1
	s_waitcnt vmcnt(12)
	ds_write2_b64 v4, v[21:22], v[23:24] offset0:2 offset1:3
	s_waitcnt vmcnt(8)
	ds_write2_b64 v4, v[25:26], v[27:28] offset0:4 offset1:5
	;; [unrolled: 2-line block ×4, first 2 shown]
	s_cbranch_scc1 .LBB126_66
; %bb.68:                               ;   in Loop: Header=BB126_67 Depth=1
	v_mov_b32_e32 v5, s17
	buffer_load_dword v10, v5, s[0:3], 0 offen offset:80
	buffer_load_dword v11, v5, s[0:3], 0 offen offset:84
	;; [unrolled: 1-line block ×12, first 2 shown]
	s_addk_i32 s16, 0x80
	s_mov_b64 s[18:19], 0
	s_waitcnt vmcnt(8)
	ds_write2_b64 v4, v[10:11], v[19:20] offset0:10 offset1:11
	s_waitcnt vmcnt(4)
	ds_write2_b64 v4, v[21:22], v[23:24] offset0:12 offset1:13
	s_waitcnt vmcnt(0)
	ds_write2_b64 v4, v[25:26], v[27:28] offset0:14 offset1:15
	s_branch .LBB126_66
.LBB126_69:
	v_mov_b32_e32 v19, 2
.LBB126_70:
	s_or_b64 exec, exec, s[4:5]
	v_cmp_lt_i32_e32 vcc, 2, v19
	s_waitcnt vmcnt(0) lgkmcnt(0)
	s_barrier
	s_and_saveexec_b64 s[4:5], vcc
	s_cbranch_execz .LBB126_75
; %bb.71:
	buffer_load_dword v4, off, s[0:3], 0 offset:40
	buffer_load_dword v5, off, s[0:3], 0 offset:44
	buffer_load_dword v10, off, s[0:3], 0 offset:32
	buffer_load_dword v11, off, s[0:3], 0 offset:36
	s_mov_b32 s24, 48
	s_waitcnt vmcnt(2)
	v_mul_f64 v[20:21], v[2:3], v[4:5]
	v_mul_f64 v[4:5], v[0:1], v[4:5]
	s_waitcnt vmcnt(0)
	v_fma_f64 v[0:1], v[0:1], v[10:11], -v[20:21]
	v_fma_f64 v[2:3], v[2:3], v[10:11], v[4:5]
	buffer_store_dword v0, off, s[0:3], 0 offset:32
	buffer_store_dword v1, off, s[0:3], 0 offset:36
	buffer_store_dword v2, off, s[0:3], 0 offset:40
	buffer_store_dword v3, off, s[0:3], 0 offset:44
	s_branch .LBB126_73
.LBB126_72:                             ;   in Loop: Header=BB126_73 Depth=1
	s_andn2_b64 vcc, exec, s[18:19]
	s_cbranch_vccz .LBB126_75
.LBB126_73:                             ; =>This Inner Loop Header: Depth=1
	v_mov_b32_e32 v5, s24
	buffer_load_dword v10, v5, s[0:3], 0 offen
	buffer_load_dword v11, v5, s[0:3], 0 offen offset:4
	buffer_load_dword v24, v5, s[0:3], 0 offen offset:8
	;; [unrolled: 1-line block ×3, first 2 shown]
	v_add_u32_e32 v4, s24, v16
	ds_read2_b64 v[20:23], v4 offset1:1
	s_mov_b32 s16, s24
	s_cmpk_eq_i32 s24, 0x3f0
	s_mov_b64 s[18:19], -1
	s_waitcnt lgkmcnt(0)
	v_mul_f64 v[26:27], v[22:23], v[2:3]
	v_mul_f64 v[2:3], v[20:21], v[2:3]
	v_fma_f64 v[20:21], v[20:21], v[0:1], -v[26:27]
	v_fma_f64 v[0:1], v[22:23], v[0:1], v[2:3]
	s_waitcnt vmcnt(2)
	v_add_f64 v[2:3], v[10:11], -v[20:21]
	s_waitcnt vmcnt(0)
	v_add_f64 v[0:1], v[24:25], -v[0:1]
	buffer_store_dword v2, v5, s[0:3], 0 offen
	buffer_store_dword v3, v5, s[0:3], 0 offen offset:4
	buffer_store_dword v0, v5, s[0:3], 0 offen offset:8
	;; [unrolled: 1-line block ×3, first 2 shown]
                                        ; implicit-def: $vgpr0_vgpr1
                                        ; implicit-def: $vgpr2_vgpr3
	s_cbranch_scc1 .LBB126_72
; %bb.74:                               ;   in Loop: Header=BB126_73 Depth=1
	buffer_load_dword v10, off, s[0:3], 0 offset:40
	buffer_load_dword v11, off, s[0:3], 0 offset:44
	;; [unrolled: 1-line block ×4, first 2 shown]
	v_mov_b32_e32 v13, s16
	buffer_load_dword v26, v13, s[0:3], 0 offen offset:16
	buffer_load_dword v27, v13, s[0:3], 0 offen offset:20
	;; [unrolled: 1-line block ×4, first 2 shown]
	ds_read2_b64 v[0:3], v4 offset0:2 offset1:3
	ds_read2_b64 v[20:23], v4 offset0:4 offset1:5
	s_add_i32 s24, s24, 64
	s_mov_b64 s[18:19], 0
	s_waitcnt vmcnt(6) lgkmcnt(1)
	v_mul_f64 v[30:31], v[2:3], v[10:11]
	v_mul_f64 v[10:11], v[0:1], v[10:11]
	s_waitcnt vmcnt(4)
	v_fma_f64 v[0:1], v[0:1], v[24:25], -v[30:31]
	v_fma_f64 v[2:3], v[2:3], v[24:25], v[10:11]
	s_waitcnt vmcnt(2)
	v_add_f64 v[0:1], v[26:27], -v[0:1]
	s_waitcnt vmcnt(0)
	v_add_f64 v[2:3], v[28:29], -v[2:3]
	buffer_store_dword v1, v13, s[0:3], 0 offen offset:20
	buffer_store_dword v0, v13, s[0:3], 0 offen offset:16
	;; [unrolled: 1-line block ×4, first 2 shown]
	buffer_load_dword v11, v13, s[0:3], 0 offen offset:36
	buffer_load_dword v28, v13, s[0:3], 0 offen offset:40
	;; [unrolled: 1-line block ×3, first 2 shown]
	s_nop 0
	buffer_load_dword v3, off, s[0:3], 0 offset:44
	buffer_load_dword v2, off, s[0:3], 0 offset:40
	;; [unrolled: 1-line block ×4, first 2 shown]
	buffer_load_dword v10, v13, s[0:3], 0 offen offset:32
	buffer_load_dword v30, v13, s[0:3], 0 offen offset:48
	;; [unrolled: 1-line block ×5, first 2 shown]
	ds_read2_b64 v[24:27], v4 offset0:6 offset1:7
	s_waitcnt vmcnt(7) lgkmcnt(1)
	v_mul_f64 v[4:5], v[22:23], v[2:3]
	v_mul_f64 v[34:35], v[20:21], v[2:3]
	s_waitcnt lgkmcnt(0)
	v_mul_f64 v[36:37], v[26:27], v[2:3]
	v_mul_f64 v[38:39], v[24:25], v[2:3]
	s_waitcnt vmcnt(5)
	v_fma_f64 v[4:5], v[20:21], v[0:1], -v[4:5]
	v_fma_f64 v[20:21], v[22:23], v[0:1], v[34:35]
	v_fma_f64 v[22:23], v[24:25], v[0:1], -v[36:37]
	v_fma_f64 v[24:25], v[26:27], v[0:1], v[38:39]
	s_waitcnt vmcnt(4)
	v_add_f64 v[4:5], v[10:11], -v[4:5]
	v_add_f64 v[10:11], v[28:29], -v[20:21]
	s_waitcnt vmcnt(2)
	v_add_f64 v[20:21], v[30:31], -v[22:23]
	s_waitcnt vmcnt(0)
	v_add_f64 v[22:23], v[32:33], -v[24:25]
	buffer_store_dword v5, v13, s[0:3], 0 offen offset:36
	buffer_store_dword v4, v13, s[0:3], 0 offen offset:32
	;; [unrolled: 1-line block ×8, first 2 shown]
	s_branch .LBB126_72
.LBB126_75:
	s_or_b64 exec, exec, s[4:5]
	v_mov_b32_e32 v3, s88
	s_waitcnt vmcnt(0)
	s_barrier
	buffer_load_dword v0, v3, s[0:3], 0 offen
	buffer_load_dword v1, v3, s[0:3], 0 offen offset:4
	buffer_load_dword v2, v3, s[0:3], 0 offen offset:8
	s_nop 0
	buffer_load_dword v3, v3, s[0:3], 0 offen offset:12
	v_lshl_add_u32 v4, v19, 4, v16
	s_mov_b32 s16, 4
	s_cmp_lt_i32 s66, 5
	s_waitcnt vmcnt(0)
	ds_write2_b64 v4, v[0:1], v[2:3] offset1:1
	s_waitcnt lgkmcnt(0)
	s_barrier
	ds_read2_b64 v[0:3], v16 offset0:6 offset1:7
	v_mov_b32_e32 v4, 3
	s_cbranch_scc1 .LBB126_78
; %bb.76:
	v_add3_u32 v5, v12, 0, 64
	v_mov_b32_e32 v4, 3
.LBB126_77:                             ; =>This Inner Loop Header: Depth=1
	s_waitcnt lgkmcnt(0)
	v_cmp_gt_f64_e32 vcc, 0, v[2:3]
	v_cmp_gt_f64_e64 s[4:5], 0, v[0:1]
	ds_read2_b64 v[10:13], v5 offset1:1
	v_xor_b32_e32 v21, 0x80000000, v1
	v_xor_b32_e32 v23, 0x80000000, v3
	v_mov_b32_e32 v20, v0
	v_mov_b32_e32 v22, v2
	s_waitcnt lgkmcnt(0)
	v_xor_b32_e32 v25, 0x80000000, v13
	v_cndmask_b32_e32 v23, v3, v23, vcc
	v_cndmask_b32_e64 v21, v1, v21, s[4:5]
	v_cmp_gt_f64_e32 vcc, 0, v[12:13]
	v_cmp_gt_f64_e64 s[4:5], 0, v[10:11]
	v_add_f64 v[20:21], v[20:21], v[22:23]
	v_xor_b32_e32 v23, 0x80000000, v11
	v_mov_b32_e32 v22, v10
	v_mov_b32_e32 v24, v12
	v_add_u32_e32 v5, 16, v5
	v_cndmask_b32_e32 v25, v13, v25, vcc
	v_cndmask_b32_e64 v23, v11, v23, s[4:5]
	v_add_f64 v[22:23], v[22:23], v[24:25]
	v_mov_b32_e32 v24, s16
	s_add_i32 s16, s16, 1
	s_cmp_lg_u32 s66, s16
	v_cmp_lt_f64_e32 vcc, v[20:21], v[22:23]
	v_cndmask_b32_e32 v1, v1, v11, vcc
	v_cndmask_b32_e32 v0, v0, v10, vcc
	;; [unrolled: 1-line block ×5, first 2 shown]
	s_cbranch_scc1 .LBB126_77
.LBB126_78:
	s_waitcnt lgkmcnt(0)
	v_cmp_eq_f64_e32 vcc, 0, v[0:1]
	v_cmp_eq_f64_e64 s[4:5], 0, v[2:3]
	s_and_b64 s[4:5], vcc, s[4:5]
	s_and_saveexec_b64 s[16:17], s[4:5]
	s_xor_b64 s[4:5], exec, s[16:17]
; %bb.79:
	v_cmp_ne_u32_e32 vcc, 0, v17
	v_cndmask_b32_e32 v17, 4, v17, vcc
; %bb.80:
	s_andn2_saveexec_b64 s[4:5], s[4:5]
	s_cbranch_execz .LBB126_86
; %bb.81:
	v_cmp_ngt_f64_e64 s[16:17], |v[0:1]|, |v[2:3]|
	s_and_saveexec_b64 s[18:19], s[16:17]
	s_xor_b64 s[18:19], exec, s[18:19]
	s_cbranch_execz .LBB126_83
; %bb.82:
	v_div_scale_f64 v[10:11], s[16:17], v[2:3], v[2:3], v[0:1]
	v_rcp_f64_e32 v[12:13], v[10:11]
	v_fma_f64 v[20:21], -v[10:11], v[12:13], 1.0
	v_fma_f64 v[12:13], v[12:13], v[20:21], v[12:13]
	v_div_scale_f64 v[20:21], vcc, v[0:1], v[2:3], v[0:1]
	v_fma_f64 v[22:23], -v[10:11], v[12:13], 1.0
	v_fma_f64 v[12:13], v[12:13], v[22:23], v[12:13]
	v_mul_f64 v[22:23], v[20:21], v[12:13]
	v_fma_f64 v[10:11], -v[10:11], v[22:23], v[20:21]
	v_div_fmas_f64 v[10:11], v[10:11], v[12:13], v[22:23]
	v_div_fixup_f64 v[10:11], v[10:11], v[2:3], v[0:1]
	v_fma_f64 v[0:1], v[0:1], v[10:11], v[2:3]
	v_div_scale_f64 v[2:3], s[16:17], v[0:1], v[0:1], 1.0
	v_div_scale_f64 v[22:23], vcc, 1.0, v[0:1], 1.0
	v_rcp_f64_e32 v[12:13], v[2:3]
	v_fma_f64 v[20:21], -v[2:3], v[12:13], 1.0
	v_fma_f64 v[12:13], v[12:13], v[20:21], v[12:13]
	v_fma_f64 v[20:21], -v[2:3], v[12:13], 1.0
	v_fma_f64 v[12:13], v[12:13], v[20:21], v[12:13]
	v_mul_f64 v[20:21], v[22:23], v[12:13]
	v_fma_f64 v[2:3], -v[2:3], v[20:21], v[22:23]
	v_div_fmas_f64 v[2:3], v[2:3], v[12:13], v[20:21]
	v_div_fixup_f64 v[2:3], v[2:3], v[0:1], 1.0
	v_mul_f64 v[0:1], v[10:11], v[2:3]
	v_xor_b32_e32 v3, 0x80000000, v3
.LBB126_83:
	s_andn2_saveexec_b64 s[18:19], s[18:19]
	s_cbranch_execz .LBB126_85
; %bb.84:
	v_div_scale_f64 v[10:11], s[16:17], v[0:1], v[0:1], v[2:3]
	v_rcp_f64_e32 v[12:13], v[10:11]
	v_fma_f64 v[20:21], -v[10:11], v[12:13], 1.0
	v_fma_f64 v[12:13], v[12:13], v[20:21], v[12:13]
	v_div_scale_f64 v[20:21], vcc, v[2:3], v[0:1], v[2:3]
	v_fma_f64 v[22:23], -v[10:11], v[12:13], 1.0
	v_fma_f64 v[12:13], v[12:13], v[22:23], v[12:13]
	v_mul_f64 v[22:23], v[20:21], v[12:13]
	v_fma_f64 v[10:11], -v[10:11], v[22:23], v[20:21]
	v_div_fmas_f64 v[10:11], v[10:11], v[12:13], v[22:23]
	v_div_fixup_f64 v[10:11], v[10:11], v[0:1], v[2:3]
	v_fma_f64 v[0:1], v[2:3], v[10:11], v[0:1]
	v_div_scale_f64 v[2:3], s[16:17], v[0:1], v[0:1], 1.0
	v_div_scale_f64 v[22:23], vcc, 1.0, v[0:1], 1.0
	v_rcp_f64_e32 v[12:13], v[2:3]
	v_fma_f64 v[20:21], -v[2:3], v[12:13], 1.0
	v_fma_f64 v[12:13], v[12:13], v[20:21], v[12:13]
	v_fma_f64 v[20:21], -v[2:3], v[12:13], 1.0
	v_fma_f64 v[12:13], v[12:13], v[20:21], v[12:13]
	v_mul_f64 v[20:21], v[22:23], v[12:13]
	v_fma_f64 v[2:3], -v[2:3], v[20:21], v[22:23]
	v_div_fmas_f64 v[2:3], v[2:3], v[12:13], v[20:21]
	v_div_fixup_f64 v[0:1], v[2:3], v[0:1], 1.0
	v_mul_f64 v[2:3], v[10:11], -v[0:1]
.LBB126_85:
	s_or_b64 exec, exec, s[18:19]
.LBB126_86:
	s_or_b64 exec, exec, s[4:5]
	v_cmp_ne_u32_e32 vcc, v19, v4
	s_and_saveexec_b64 s[4:5], vcc
	s_xor_b64 s[4:5], exec, s[4:5]
	s_cbranch_execz .LBB126_92
; %bb.87:
	v_cmp_eq_u32_e32 vcc, 3, v19
	s_and_saveexec_b64 s[18:19], vcc
	s_cbranch_execz .LBB126_91
; %bb.88:
	v_cmp_ne_u32_e32 vcc, 3, v4
	s_xor_b64 s[16:17], s[10:11], -1
	s_and_b64 s[16:17], s[16:17], vcc
	s_and_saveexec_b64 s[24:25], s[16:17]
	s_cbranch_execz .LBB126_90
; %bb.89:
	v_ashrrev_i32_e32 v5, 31, v4
	v_lshlrev_b64 v[10:11], 2, v[4:5]
	v_add_co_u32_e32 v10, vcc, v8, v10
	v_addc_co_u32_e32 v11, vcc, v9, v11, vcc
	global_load_dword v5, v[10:11], off
	global_load_dword v12, v[8:9], off offset:12
	s_waitcnt vmcnt(1)
	global_store_dword v[8:9], v5, off offset:12
	s_waitcnt vmcnt(1)
	global_store_dword v[10:11], v12, off
.LBB126_90:
	s_or_b64 exec, exec, s[24:25]
	v_mov_b32_e32 v19, v4
	v_mov_b32_e32 v18, v4
.LBB126_91:
	s_or_b64 exec, exec, s[18:19]
.LBB126_92:
	s_andn2_saveexec_b64 s[4:5], s[4:5]
	s_cbranch_execz .LBB126_96
; %bb.93:
	s_mov_b32 s18, 64
.LBB126_94:                             ; =>This Inner Loop Header: Depth=1
	v_mov_b32_e32 v29, s18
	buffer_load_dword v4, v29, s[0:3], 0 offen
	buffer_load_dword v5, v29, s[0:3], 0 offen offset:4
	buffer_load_dword v10, v29, s[0:3], 0 offen offset:8
	;; [unrolled: 1-line block ×15, first 2 shown]
	v_add_u32_e32 v30, s18, v16
	s_addk_i32 s18, 0xf0
	s_cmpk_eq_i32 s18, 0x400
	s_waitcnt vmcnt(12)
	ds_write2_b64 v30, v[4:5], v[10:11] offset1:1
	s_waitcnt vmcnt(8)
	ds_write2_b64 v30, v[12:13], v[19:20] offset0:2 offset1:3
	s_waitcnt vmcnt(4)
	ds_write2_b64 v30, v[21:22], v[23:24] offset0:4 offset1:5
	;; [unrolled: 2-line block ×3, first 2 shown]
	buffer_load_dword v5, v29, s[0:3], 0 offen offset:76
	buffer_load_dword v4, v29, s[0:3], 0 offen offset:72
	buffer_load_dword v11, v29, s[0:3], 0 offen offset:68
	buffer_load_dword v10, v29, s[0:3], 0 offen offset:64
	s_waitcnt vmcnt(0)
	ds_write2_b64 v30, v[10:11], v[4:5] offset0:8 offset1:9
	buffer_load_dword v5, v29, s[0:3], 0 offen offset:92
	buffer_load_dword v4, v29, s[0:3], 0 offen offset:88
	buffer_load_dword v11, v29, s[0:3], 0 offen offset:84
	buffer_load_dword v10, v29, s[0:3], 0 offen offset:80
	s_waitcnt vmcnt(0)
	ds_write2_b64 v30, v[10:11], v[4:5] offset0:10 offset1:11
	;; [unrolled: 6-line block ×11, first 2 shown]
	s_cbranch_scc0 .LBB126_94
; %bb.95:
	v_mov_b32_e32 v19, 3
.LBB126_96:
	s_or_b64 exec, exec, s[4:5]
	v_cmp_lt_i32_e32 vcc, 3, v19
	s_waitcnt vmcnt(0) lgkmcnt(0)
	s_barrier
	s_and_saveexec_b64 s[4:5], vcc
	s_cbranch_execz .LBB126_99
; %bb.97:
	buffer_load_dword v4, off, s[0:3], 0 offset:56
	buffer_load_dword v5, off, s[0:3], 0 offset:60
	;; [unrolled: 1-line block ×4, first 2 shown]
	s_mov_b32 s18, 64
	s_waitcnt vmcnt(2)
	v_mul_f64 v[12:13], v[2:3], v[4:5]
	v_mul_f64 v[4:5], v[0:1], v[4:5]
	s_waitcnt vmcnt(0)
	v_fma_f64 v[0:1], v[0:1], v[10:11], -v[12:13]
	v_fma_f64 v[2:3], v[2:3], v[10:11], v[4:5]
	buffer_store_dword v0, off, s[0:3], 0 offset:48
	buffer_store_dword v1, off, s[0:3], 0 offset:52
	;; [unrolled: 1-line block ×4, first 2 shown]
.LBB126_98:                             ; =>This Inner Loop Header: Depth=1
	v_mov_b32_e32 v51, s18
	buffer_load_dword v4, v51, s[0:3], 0 offen
	buffer_load_dword v5, v51, s[0:3], 0 offen offset:4
	buffer_load_dword v24, v51, s[0:3], 0 offen offset:8
	;; [unrolled: 1-line block ×3, first 2 shown]
	v_add_u32_e32 v39, s18, v16
	ds_read2_b64 v[10:13], v39 offset1:1
	ds_read2_b64 v[20:23], v39 offset0:2 offset1:3
	buffer_load_dword v26, v51, s[0:3], 0 offen offset:16
	buffer_load_dword v28, v51, s[0:3], 0 offen offset:24
	;; [unrolled: 1-line block ×8, first 2 shown]
	s_addk_i32 s18, 0x60
	s_cmpk_lg_i32 s18, 0x400
	s_waitcnt lgkmcnt(1)
	v_mul_f64 v[36:37], v[12:13], v[2:3]
	v_mul_f64 v[2:3], v[10:11], v[2:3]
	v_fma_f64 v[10:11], v[10:11], v[0:1], -v[36:37]
	v_fma_f64 v[0:1], v[12:13], v[0:1], v[2:3]
	s_waitcnt vmcnt(10)
	v_add_f64 v[2:3], v[4:5], -v[10:11]
	s_waitcnt vmcnt(8)
	v_add_f64 v[0:1], v[24:25], -v[0:1]
	buffer_store_dword v3, v51, s[0:3], 0 offen offset:4
	buffer_store_dword v2, v51, s[0:3], 0 offen
	buffer_store_dword v1, v51, s[0:3], 0 offen offset:12
	buffer_store_dword v0, v51, s[0:3], 0 offen offset:8
	buffer_load_dword v1, off, s[0:3], 0 offset:60
	s_nop 0
	buffer_load_dword v0, off, s[0:3], 0 offset:56
	buffer_load_dword v3, off, s[0:3], 0 offset:52
	;; [unrolled: 1-line block ×3, first 2 shown]
	buffer_load_dword v30, v51, s[0:3], 0 offen offset:32
	buffer_load_dword v34, v51, s[0:3], 0 offen offset:44
	buffer_load_dword v36, v51, s[0:3], 0 offen offset:60
	buffer_load_dword v5, v51, s[0:3], 0 offen offset:68
	s_waitcnt vmcnt(6) lgkmcnt(0)
	v_mul_f64 v[10:11], v[22:23], v[0:1]
	v_mul_f64 v[0:1], v[20:21], v[0:1]
	s_waitcnt vmcnt(4)
	v_fma_f64 v[10:11], v[20:21], v[2:3], -v[10:11]
	v_fma_f64 v[0:1], v[22:23], v[2:3], v[0:1]
	v_add_f64 v[2:3], v[26:27], -v[10:11]
	v_add_f64 v[0:1], v[28:29], -v[0:1]
	buffer_store_dword v3, v51, s[0:3], 0 offen offset:20
	buffer_store_dword v2, v51, s[0:3], 0 offen offset:16
	;; [unrolled: 1-line block ×4, first 2 shown]
	buffer_load_dword v20, off, s[0:3], 0 offset:56
	buffer_load_dword v21, off, s[0:3], 0 offset:60
	;; [unrolled: 1-line block ×4, first 2 shown]
	ds_read2_b64 v[0:3], v39 offset0:4 offset1:5
	ds_read2_b64 v[10:13], v39 offset0:6 offset1:7
	s_waitcnt vmcnt(2) lgkmcnt(1)
	v_mul_f64 v[24:25], v[2:3], v[20:21]
	v_mul_f64 v[20:21], v[0:1], v[20:21]
	s_waitcnt vmcnt(0)
	v_fma_f64 v[0:1], v[0:1], v[22:23], -v[24:25]
	v_fma_f64 v[2:3], v[2:3], v[22:23], v[20:21]
	v_add_f64 v[0:1], v[30:31], -v[0:1]
	v_add_f64 v[2:3], v[33:34], -v[2:3]
	buffer_store_dword v1, v51, s[0:3], 0 offen offset:36
	buffer_store_dword v0, v51, s[0:3], 0 offen offset:32
	;; [unrolled: 1-line block ×4, first 2 shown]
	buffer_load_dword v2, off, s[0:3], 0 offset:56
	s_nop 0
	buffer_load_dword v3, off, s[0:3], 0 offset:60
	buffer_load_dword v0, off, s[0:3], 0 offset:48
	;; [unrolled: 1-line block ×3, first 2 shown]
	buffer_load_dword v28, v51, s[0:3], 0 offen offset:80
	buffer_load_dword v29, v51, s[0:3], 0 offen offset:84
	;; [unrolled: 1-line block ×8, first 2 shown]
	ds_read2_b64 v[20:23], v39 offset0:8 offset1:9
	ds_read2_b64 v[24:27], v39 offset0:10 offset1:11
	s_waitcnt vmcnt(10) lgkmcnt(2)
	v_mul_f64 v[39:40], v[12:13], v[2:3]
	v_mul_f64 v[41:42], v[10:11], v[2:3]
	s_waitcnt lgkmcnt(1)
	v_mul_f64 v[43:44], v[22:23], v[2:3]
	v_mul_f64 v[45:46], v[20:21], v[2:3]
	s_waitcnt lgkmcnt(0)
	v_mul_f64 v[47:48], v[26:27], v[2:3]
	v_mul_f64 v[49:50], v[24:25], v[2:3]
	s_waitcnt vmcnt(8)
	v_fma_f64 v[10:11], v[10:11], v[0:1], -v[39:40]
	v_fma_f64 v[12:13], v[12:13], v[0:1], v[41:42]
	v_fma_f64 v[20:21], v[20:21], v[0:1], -v[43:44]
	v_fma_f64 v[22:23], v[22:23], v[0:1], v[45:46]
	;; [unrolled: 2-line block ×3, first 2 shown]
	s_waitcnt vmcnt(3)
	v_add_f64 v[10:11], v[31:32], -v[10:11]
	v_add_f64 v[12:13], v[35:36], -v[12:13]
	s_waitcnt vmcnt(2)
	v_add_f64 v[4:5], v[4:5], -v[20:21]
	s_waitcnt vmcnt(0)
	v_add_f64 v[20:21], v[37:38], -v[22:23]
	v_add_f64 v[22:23], v[28:29], -v[24:25]
	;; [unrolled: 1-line block ×3, first 2 shown]
	buffer_store_dword v11, v51, s[0:3], 0 offen offset:52
	buffer_store_dword v10, v51, s[0:3], 0 offen offset:48
	;; [unrolled: 1-line block ×12, first 2 shown]
	s_cbranch_scc1 .LBB126_98
.LBB126_99:
	s_or_b64 exec, exec, s[4:5]
	v_mov_b32_e32 v3, s87
	s_waitcnt vmcnt(0)
	s_barrier
	buffer_load_dword v0, v3, s[0:3], 0 offen
	buffer_load_dword v1, v3, s[0:3], 0 offen offset:4
	buffer_load_dword v2, v3, s[0:3], 0 offen offset:8
	s_nop 0
	buffer_load_dword v3, v3, s[0:3], 0 offen offset:12
	v_lshl_add_u32 v4, v19, 4, v16
	s_cmp_lt_i32 s66, 6
	s_waitcnt vmcnt(0)
	ds_write2_b64 v4, v[0:1], v[2:3] offset1:1
	s_waitcnt lgkmcnt(0)
	s_barrier
	ds_read2_b64 v[0:3], v16 offset0:8 offset1:9
	v_mov_b32_e32 v4, 4
	s_cbranch_scc1 .LBB126_102
; %bb.100:
	v_mov_b32_e32 v4, 4
	v_add_u32_e32 v5, 0x50, v16
	s_mov_b32 s16, 5
.LBB126_101:                            ; =>This Inner Loop Header: Depth=1
	s_waitcnt lgkmcnt(0)
	v_cmp_gt_f64_e32 vcc, 0, v[2:3]
	v_cmp_gt_f64_e64 s[4:5], 0, v[0:1]
	ds_read2_b64 v[10:13], v5 offset1:1
	v_xor_b32_e32 v21, 0x80000000, v1
	v_xor_b32_e32 v23, 0x80000000, v3
	v_mov_b32_e32 v20, v0
	v_mov_b32_e32 v22, v2
	s_waitcnt lgkmcnt(0)
	v_xor_b32_e32 v25, 0x80000000, v13
	v_cndmask_b32_e32 v23, v3, v23, vcc
	v_cndmask_b32_e64 v21, v1, v21, s[4:5]
	v_cmp_gt_f64_e32 vcc, 0, v[12:13]
	v_cmp_gt_f64_e64 s[4:5], 0, v[10:11]
	v_add_f64 v[20:21], v[20:21], v[22:23]
	v_xor_b32_e32 v23, 0x80000000, v11
	v_mov_b32_e32 v22, v10
	v_mov_b32_e32 v24, v12
	v_add_u32_e32 v5, 16, v5
	v_cndmask_b32_e32 v25, v13, v25, vcc
	v_cndmask_b32_e64 v23, v11, v23, s[4:5]
	v_add_f64 v[22:23], v[22:23], v[24:25]
	v_mov_b32_e32 v24, s16
	s_add_i32 s16, s16, 1
	s_cmp_lg_u32 s66, s16
	v_cmp_lt_f64_e32 vcc, v[20:21], v[22:23]
	v_cndmask_b32_e32 v1, v1, v11, vcc
	v_cndmask_b32_e32 v0, v0, v10, vcc
	;; [unrolled: 1-line block ×5, first 2 shown]
	s_cbranch_scc1 .LBB126_101
.LBB126_102:
	s_waitcnt lgkmcnt(0)
	v_cmp_eq_f64_e32 vcc, 0, v[0:1]
	v_cmp_eq_f64_e64 s[4:5], 0, v[2:3]
	s_and_b64 s[4:5], vcc, s[4:5]
	s_and_saveexec_b64 s[16:17], s[4:5]
	s_xor_b64 s[4:5], exec, s[16:17]
; %bb.103:
	v_cmp_ne_u32_e32 vcc, 0, v17
	v_cndmask_b32_e32 v17, 5, v17, vcc
; %bb.104:
	s_andn2_saveexec_b64 s[4:5], s[4:5]
	s_cbranch_execz .LBB126_110
; %bb.105:
	v_cmp_ngt_f64_e64 s[16:17], |v[0:1]|, |v[2:3]|
	s_and_saveexec_b64 s[18:19], s[16:17]
	s_xor_b64 s[18:19], exec, s[18:19]
	s_cbranch_execz .LBB126_107
; %bb.106:
	v_div_scale_f64 v[10:11], s[16:17], v[2:3], v[2:3], v[0:1]
	v_rcp_f64_e32 v[12:13], v[10:11]
	v_fma_f64 v[20:21], -v[10:11], v[12:13], 1.0
	v_fma_f64 v[12:13], v[12:13], v[20:21], v[12:13]
	v_div_scale_f64 v[20:21], vcc, v[0:1], v[2:3], v[0:1]
	v_fma_f64 v[22:23], -v[10:11], v[12:13], 1.0
	v_fma_f64 v[12:13], v[12:13], v[22:23], v[12:13]
	v_mul_f64 v[22:23], v[20:21], v[12:13]
	v_fma_f64 v[10:11], -v[10:11], v[22:23], v[20:21]
	v_div_fmas_f64 v[10:11], v[10:11], v[12:13], v[22:23]
	v_div_fixup_f64 v[10:11], v[10:11], v[2:3], v[0:1]
	v_fma_f64 v[0:1], v[0:1], v[10:11], v[2:3]
	v_div_scale_f64 v[2:3], s[16:17], v[0:1], v[0:1], 1.0
	v_div_scale_f64 v[22:23], vcc, 1.0, v[0:1], 1.0
	v_rcp_f64_e32 v[12:13], v[2:3]
	v_fma_f64 v[20:21], -v[2:3], v[12:13], 1.0
	v_fma_f64 v[12:13], v[12:13], v[20:21], v[12:13]
	v_fma_f64 v[20:21], -v[2:3], v[12:13], 1.0
	v_fma_f64 v[12:13], v[12:13], v[20:21], v[12:13]
	v_mul_f64 v[20:21], v[22:23], v[12:13]
	v_fma_f64 v[2:3], -v[2:3], v[20:21], v[22:23]
	v_div_fmas_f64 v[2:3], v[2:3], v[12:13], v[20:21]
	v_div_fixup_f64 v[2:3], v[2:3], v[0:1], 1.0
	v_mul_f64 v[0:1], v[10:11], v[2:3]
	v_xor_b32_e32 v3, 0x80000000, v3
.LBB126_107:
	s_andn2_saveexec_b64 s[18:19], s[18:19]
	s_cbranch_execz .LBB126_109
; %bb.108:
	v_div_scale_f64 v[10:11], s[16:17], v[0:1], v[0:1], v[2:3]
	v_rcp_f64_e32 v[12:13], v[10:11]
	v_fma_f64 v[20:21], -v[10:11], v[12:13], 1.0
	v_fma_f64 v[12:13], v[12:13], v[20:21], v[12:13]
	v_div_scale_f64 v[20:21], vcc, v[2:3], v[0:1], v[2:3]
	v_fma_f64 v[22:23], -v[10:11], v[12:13], 1.0
	v_fma_f64 v[12:13], v[12:13], v[22:23], v[12:13]
	v_mul_f64 v[22:23], v[20:21], v[12:13]
	v_fma_f64 v[10:11], -v[10:11], v[22:23], v[20:21]
	v_div_fmas_f64 v[10:11], v[10:11], v[12:13], v[22:23]
	v_div_fixup_f64 v[10:11], v[10:11], v[0:1], v[2:3]
	v_fma_f64 v[0:1], v[2:3], v[10:11], v[0:1]
	v_div_scale_f64 v[2:3], s[16:17], v[0:1], v[0:1], 1.0
	v_div_scale_f64 v[22:23], vcc, 1.0, v[0:1], 1.0
	v_rcp_f64_e32 v[12:13], v[2:3]
	v_fma_f64 v[20:21], -v[2:3], v[12:13], 1.0
	v_fma_f64 v[12:13], v[12:13], v[20:21], v[12:13]
	v_fma_f64 v[20:21], -v[2:3], v[12:13], 1.0
	v_fma_f64 v[12:13], v[12:13], v[20:21], v[12:13]
	v_mul_f64 v[20:21], v[22:23], v[12:13]
	v_fma_f64 v[2:3], -v[2:3], v[20:21], v[22:23]
	v_div_fmas_f64 v[2:3], v[2:3], v[12:13], v[20:21]
	v_div_fixup_f64 v[0:1], v[2:3], v[0:1], 1.0
	v_mul_f64 v[2:3], v[10:11], -v[0:1]
.LBB126_109:
	s_or_b64 exec, exec, s[18:19]
.LBB126_110:
	s_or_b64 exec, exec, s[4:5]
	v_cmp_ne_u32_e32 vcc, v19, v4
	s_and_saveexec_b64 s[4:5], vcc
	s_xor_b64 s[4:5], exec, s[4:5]
	s_cbranch_execz .LBB126_116
; %bb.111:
	v_cmp_eq_u32_e32 vcc, 4, v19
	s_and_saveexec_b64 s[18:19], vcc
	s_cbranch_execz .LBB126_115
; %bb.112:
	v_cmp_ne_u32_e32 vcc, 4, v4
	s_xor_b64 s[16:17], s[10:11], -1
	s_and_b64 s[16:17], s[16:17], vcc
	s_and_saveexec_b64 s[24:25], s[16:17]
	s_cbranch_execz .LBB126_114
; %bb.113:
	v_ashrrev_i32_e32 v5, 31, v4
	v_lshlrev_b64 v[10:11], 2, v[4:5]
	v_add_co_u32_e32 v10, vcc, v8, v10
	v_addc_co_u32_e32 v11, vcc, v9, v11, vcc
	global_load_dword v5, v[10:11], off
	global_load_dword v12, v[8:9], off offset:16
	s_waitcnt vmcnt(1)
	global_store_dword v[8:9], v5, off offset:16
	s_waitcnt vmcnt(1)
	global_store_dword v[10:11], v12, off
.LBB126_114:
	s_or_b64 exec, exec, s[24:25]
	v_mov_b32_e32 v19, v4
	v_mov_b32_e32 v18, v4
.LBB126_115:
	s_or_b64 exec, exec, s[18:19]
.LBB126_116:
	s_andn2_saveexec_b64 s[4:5], s[4:5]
	s_cbranch_execz .LBB126_122
; %bb.117:
	s_movk_i32 s16, 0x50
	s_branch .LBB126_119
.LBB126_118:                            ;   in Loop: Header=BB126_119 Depth=1
	s_andn2_b64 vcc, exec, s[18:19]
	s_cbranch_vccz .LBB126_121
.LBB126_119:                            ; =>This Inner Loop Header: Depth=1
	v_mov_b32_e32 v4, s16
	buffer_load_dword v10, v4, s[0:3], 0 offen
	buffer_load_dword v11, v4, s[0:3], 0 offen offset:4
	buffer_load_dword v12, v4, s[0:3], 0 offen offset:8
	;; [unrolled: 1-line block ×11, first 2 shown]
	s_mov_b32 s17, s16
	v_add_u32_e32 v4, s16, v16
	s_cmpk_eq_i32 s16, 0x3d0
	s_mov_b64 s[18:19], -1
	s_waitcnt vmcnt(8)
	ds_write2_b64 v4, v[10:11], v[12:13] offset1:1
	s_waitcnt vmcnt(4)
	ds_write2_b64 v4, v[19:20], v[21:22] offset0:2 offset1:3
	s_waitcnt vmcnt(0)
	ds_write2_b64 v4, v[23:24], v[25:26] offset0:4 offset1:5
	s_cbranch_scc1 .LBB126_118
; %bb.120:                              ;   in Loop: Header=BB126_119 Depth=1
	v_mov_b32_e32 v5, s17
	buffer_load_dword v10, v5, s[0:3], 0 offen offset:48
	buffer_load_dword v11, v5, s[0:3], 0 offen offset:52
	;; [unrolled: 1-line block ×20, first 2 shown]
	s_addk_i32 s16, 0x80
	s_mov_b64 s[18:19], 0
	s_waitcnt vmcnt(16)
	ds_write2_b64 v4, v[10:11], v[12:13] offset0:6 offset1:7
	s_waitcnt vmcnt(12)
	ds_write2_b64 v4, v[19:20], v[21:22] offset0:8 offset1:9
	;; [unrolled: 2-line block ×5, first 2 shown]
	s_branch .LBB126_118
.LBB126_121:
	v_mov_b32_e32 v19, 4
.LBB126_122:
	s_or_b64 exec, exec, s[4:5]
	v_cmp_lt_i32_e32 vcc, 4, v19
	s_waitcnt vmcnt(0) lgkmcnt(0)
	s_barrier
	s_and_saveexec_b64 s[4:5], vcc
	s_cbranch_execz .LBB126_127
; %bb.123:
	buffer_load_dword v4, off, s[0:3], 0 offset:72
	buffer_load_dword v5, off, s[0:3], 0 offset:76
	;; [unrolled: 1-line block ×4, first 2 shown]
	s_movk_i32 s24, 0x50
	s_waitcnt vmcnt(2)
	v_mul_f64 v[12:13], v[2:3], v[4:5]
	v_mul_f64 v[4:5], v[0:1], v[4:5]
	s_waitcnt vmcnt(0)
	v_fma_f64 v[0:1], v[0:1], v[10:11], -v[12:13]
	v_fma_f64 v[2:3], v[2:3], v[10:11], v[4:5]
	buffer_store_dword v0, off, s[0:3], 0 offset:64
	buffer_store_dword v1, off, s[0:3], 0 offset:68
	;; [unrolled: 1-line block ×4, first 2 shown]
	s_branch .LBB126_125
.LBB126_124:                            ;   in Loop: Header=BB126_125 Depth=1
	s_andn2_b64 vcc, exec, s[18:19]
	s_cbranch_vccz .LBB126_127
.LBB126_125:                            ; =>This Inner Loop Header: Depth=1
	v_mov_b32_e32 v5, s24
	buffer_load_dword v24, v5, s[0:3], 0 offen
	buffer_load_dword v25, v5, s[0:3], 0 offen offset:4
	buffer_load_dword v26, v5, s[0:3], 0 offen offset:8
	;; [unrolled: 1-line block ×3, first 2 shown]
	v_add_u32_e32 v4, s24, v16
	ds_read2_b64 v[10:13], v4 offset1:1
	ds_read2_b64 v[20:23], v4 offset0:2 offset1:3
	s_mov_b32 s16, s24
	s_cmpk_eq_i32 s24, 0x3d0
	s_mov_b64 s[18:19], -1
	s_waitcnt vmcnt(5) lgkmcnt(1)
	v_mul_f64 v[28:29], v[12:13], v[2:3]
	v_mul_f64 v[2:3], v[10:11], v[2:3]
	s_waitcnt vmcnt(4)
	v_fma_f64 v[10:11], v[10:11], v[0:1], -v[28:29]
	v_fma_f64 v[0:1], v[12:13], v[0:1], v[2:3]
	buffer_load_dword v2, v5, s[0:3], 0 offen offset:20
	buffer_load_dword v12, v5, s[0:3], 0 offen offset:28
	;; [unrolled: 1-line block ×3, first 2 shown]
	s_waitcnt vmcnt(5)
	v_add_f64 v[10:11], v[24:25], -v[10:11]
	s_waitcnt vmcnt(3)
	v_add_f64 v[0:1], v[26:27], -v[0:1]
	buffer_store_dword v11, v5, s[0:3], 0 offen offset:4
	buffer_store_dword v10, v5, s[0:3], 0 offen
	buffer_store_dword v1, v5, s[0:3], 0 offen offset:12
	buffer_store_dword v0, v5, s[0:3], 0 offen offset:8
	buffer_load_dword v11, v5, s[0:3], 0 offen offset:24
	s_nop 0
	buffer_load_dword v13, v5, s[0:3], 0 offen offset:36
	buffer_load_dword v25, off, s[0:3], 0 offset:76
	buffer_load_dword v24, off, s[0:3], 0 offset:72
	;; [unrolled: 1-line block ×4, first 2 shown]
	buffer_load_dword v1, v5, s[0:3], 0 offen offset:16
	s_waitcnt vmcnt(3) lgkmcnt(0)
	v_mul_f64 v[29:30], v[22:23], v[24:25]
	v_mul_f64 v[24:25], v[20:21], v[24:25]
	s_waitcnt vmcnt(1)
	v_fma_f64 v[20:21], v[20:21], v[26:27], -v[29:30]
	v_fma_f64 v[22:23], v[22:23], v[26:27], v[24:25]
	s_waitcnt vmcnt(0)
	v_add_f64 v[0:1], v[1:2], -v[20:21]
	v_add_f64 v[2:3], v[11:12], -v[22:23]
	buffer_store_dword v1, v5, s[0:3], 0 offen offset:20
	buffer_store_dword v0, v5, s[0:3], 0 offen offset:16
	;; [unrolled: 1-line block ×4, first 2 shown]
	buffer_load_dword v29, v5, s[0:3], 0 offen offset:44
	buffer_load_dword v10, off, s[0:3], 0 offset:72
	buffer_load_dword v11, off, s[0:3], 0 offset:76
	;; [unrolled: 1-line block ×4, first 2 shown]
	buffer_load_dword v12, v5, s[0:3], 0 offen offset:32
	ds_read2_b64 v[0:3], v4 offset0:4 offset1:5
	s_waitcnt vmcnt(3) lgkmcnt(0)
	v_mul_f64 v[22:23], v[2:3], v[10:11]
	v_mul_f64 v[10:11], v[0:1], v[10:11]
	s_waitcnt vmcnt(1)
	v_fma_f64 v[0:1], v[0:1], v[20:21], -v[22:23]
	v_fma_f64 v[2:3], v[2:3], v[20:21], v[10:11]
	s_waitcnt vmcnt(0)
	v_add_f64 v[0:1], v[12:13], -v[0:1]
	v_add_f64 v[2:3], v[28:29], -v[2:3]
	buffer_store_dword v1, v5, s[0:3], 0 offen offset:36
	buffer_store_dword v0, v5, s[0:3], 0 offen offset:32
	;; [unrolled: 1-line block ×4, first 2 shown]
                                        ; implicit-def: $vgpr0_vgpr1
                                        ; implicit-def: $vgpr2_vgpr3
	s_cbranch_scc1 .LBB126_124
; %bb.126:                              ;   in Loop: Header=BB126_125 Depth=1
	buffer_load_dword v10, off, s[0:3], 0 offset:72
	buffer_load_dword v11, off, s[0:3], 0 offset:76
	;; [unrolled: 1-line block ×4, first 2 shown]
	v_mov_b32_e32 v24, s16
	buffer_load_dword v20, v24, s[0:3], 0 offen offset:48
	buffer_load_dword v21, v24, s[0:3], 0 offen offset:52
	;; [unrolled: 1-line block ×4, first 2 shown]
	ds_read2_b64 v[0:3], v4 offset0:6 offset1:7
	s_add_i32 s24, s24, 64
	s_mov_b64 s[18:19], 0
	s_waitcnt vmcnt(6) lgkmcnt(0)
	v_mul_f64 v[4:5], v[2:3], v[10:11]
	v_mul_f64 v[10:11], v[0:1], v[10:11]
	s_waitcnt vmcnt(4)
	v_fma_f64 v[0:1], v[0:1], v[12:13], -v[4:5]
	v_fma_f64 v[2:3], v[2:3], v[12:13], v[10:11]
	s_waitcnt vmcnt(2)
	v_add_f64 v[0:1], v[20:21], -v[0:1]
	s_waitcnt vmcnt(0)
	v_add_f64 v[2:3], v[22:23], -v[2:3]
	buffer_store_dword v1, v24, s[0:3], 0 offen offset:52
	buffer_store_dword v0, v24, s[0:3], 0 offen offset:48
	;; [unrolled: 1-line block ×4, first 2 shown]
	buffer_load_dword v1, off, s[0:3], 0 offset:68
	s_nop 0
	buffer_load_dword v3, off, s[0:3], 0 offset:76
	buffer_load_dword v2, off, s[0:3], 0 offset:72
	;; [unrolled: 1-line block ×3, first 2 shown]
	s_branch .LBB126_124
.LBB126_127:
	s_or_b64 exec, exec, s[4:5]
	s_waitcnt vmcnt(2)
	v_mov_b32_e32 v3, s82
	s_waitcnt vmcnt(0)
	s_barrier
	buffer_load_dword v0, v3, s[0:3], 0 offen
	buffer_load_dword v1, v3, s[0:3], 0 offen offset:4
	buffer_load_dword v2, v3, s[0:3], 0 offen offset:8
	s_nop 0
	buffer_load_dword v3, v3, s[0:3], 0 offen offset:12
	v_lshl_add_u32 v4, v19, 4, v16
	s_cmp_lt_i32 s66, 7
	s_waitcnt vmcnt(0)
	ds_write2_b64 v4, v[0:1], v[2:3] offset1:1
	s_waitcnt lgkmcnt(0)
	s_barrier
	ds_read2_b64 v[0:3], v16 offset0:10 offset1:11
	v_mov_b32_e32 v4, 5
	s_cbranch_scc1 .LBB126_130
; %bb.128:
	v_add_u32_e32 v5, 0x60, v16
	s_mov_b32 s16, 6
	v_mov_b32_e32 v4, 5
.LBB126_129:                            ; =>This Inner Loop Header: Depth=1
	s_waitcnt lgkmcnt(0)
	v_cmp_gt_f64_e32 vcc, 0, v[2:3]
	v_cmp_gt_f64_e64 s[4:5], 0, v[0:1]
	ds_read2_b64 v[10:13], v5 offset1:1
	v_xor_b32_e32 v21, 0x80000000, v1
	v_xor_b32_e32 v23, 0x80000000, v3
	v_mov_b32_e32 v20, v0
	v_mov_b32_e32 v22, v2
	s_waitcnt lgkmcnt(0)
	v_xor_b32_e32 v25, 0x80000000, v13
	v_cndmask_b32_e32 v23, v3, v23, vcc
	v_cndmask_b32_e64 v21, v1, v21, s[4:5]
	v_cmp_gt_f64_e32 vcc, 0, v[12:13]
	v_cmp_gt_f64_e64 s[4:5], 0, v[10:11]
	v_add_f64 v[20:21], v[20:21], v[22:23]
	v_xor_b32_e32 v23, 0x80000000, v11
	v_mov_b32_e32 v22, v10
	v_mov_b32_e32 v24, v12
	v_add_u32_e32 v5, 16, v5
	v_cndmask_b32_e32 v25, v13, v25, vcc
	v_cndmask_b32_e64 v23, v11, v23, s[4:5]
	v_add_f64 v[22:23], v[22:23], v[24:25]
	v_mov_b32_e32 v24, s16
	s_add_i32 s16, s16, 1
	s_cmp_lg_u32 s66, s16
	v_cmp_lt_f64_e32 vcc, v[20:21], v[22:23]
	v_cndmask_b32_e32 v1, v1, v11, vcc
	v_cndmask_b32_e32 v0, v0, v10, vcc
	;; [unrolled: 1-line block ×5, first 2 shown]
	s_cbranch_scc1 .LBB126_129
.LBB126_130:
	s_waitcnt lgkmcnt(0)
	v_cmp_eq_f64_e32 vcc, 0, v[0:1]
	v_cmp_eq_f64_e64 s[4:5], 0, v[2:3]
	s_and_b64 s[4:5], vcc, s[4:5]
	s_and_saveexec_b64 s[16:17], s[4:5]
	s_xor_b64 s[4:5], exec, s[16:17]
; %bb.131:
	v_cmp_ne_u32_e32 vcc, 0, v17
	v_cndmask_b32_e32 v17, 6, v17, vcc
; %bb.132:
	s_andn2_saveexec_b64 s[4:5], s[4:5]
	s_cbranch_execz .LBB126_138
; %bb.133:
	v_cmp_ngt_f64_e64 s[16:17], |v[0:1]|, |v[2:3]|
	s_and_saveexec_b64 s[18:19], s[16:17]
	s_xor_b64 s[18:19], exec, s[18:19]
	s_cbranch_execz .LBB126_135
; %bb.134:
	v_div_scale_f64 v[10:11], s[16:17], v[2:3], v[2:3], v[0:1]
	v_rcp_f64_e32 v[12:13], v[10:11]
	v_fma_f64 v[20:21], -v[10:11], v[12:13], 1.0
	v_fma_f64 v[12:13], v[12:13], v[20:21], v[12:13]
	v_div_scale_f64 v[20:21], vcc, v[0:1], v[2:3], v[0:1]
	v_fma_f64 v[22:23], -v[10:11], v[12:13], 1.0
	v_fma_f64 v[12:13], v[12:13], v[22:23], v[12:13]
	v_mul_f64 v[22:23], v[20:21], v[12:13]
	v_fma_f64 v[10:11], -v[10:11], v[22:23], v[20:21]
	v_div_fmas_f64 v[10:11], v[10:11], v[12:13], v[22:23]
	v_div_fixup_f64 v[10:11], v[10:11], v[2:3], v[0:1]
	v_fma_f64 v[0:1], v[0:1], v[10:11], v[2:3]
	v_div_scale_f64 v[2:3], s[16:17], v[0:1], v[0:1], 1.0
	v_div_scale_f64 v[22:23], vcc, 1.0, v[0:1], 1.0
	v_rcp_f64_e32 v[12:13], v[2:3]
	v_fma_f64 v[20:21], -v[2:3], v[12:13], 1.0
	v_fma_f64 v[12:13], v[12:13], v[20:21], v[12:13]
	v_fma_f64 v[20:21], -v[2:3], v[12:13], 1.0
	v_fma_f64 v[12:13], v[12:13], v[20:21], v[12:13]
	v_mul_f64 v[20:21], v[22:23], v[12:13]
	v_fma_f64 v[2:3], -v[2:3], v[20:21], v[22:23]
	v_div_fmas_f64 v[2:3], v[2:3], v[12:13], v[20:21]
	v_div_fixup_f64 v[2:3], v[2:3], v[0:1], 1.0
	v_mul_f64 v[0:1], v[10:11], v[2:3]
	v_xor_b32_e32 v3, 0x80000000, v3
.LBB126_135:
	s_andn2_saveexec_b64 s[18:19], s[18:19]
	s_cbranch_execz .LBB126_137
; %bb.136:
	v_div_scale_f64 v[10:11], s[16:17], v[0:1], v[0:1], v[2:3]
	v_rcp_f64_e32 v[12:13], v[10:11]
	v_fma_f64 v[20:21], -v[10:11], v[12:13], 1.0
	v_fma_f64 v[12:13], v[12:13], v[20:21], v[12:13]
	v_div_scale_f64 v[20:21], vcc, v[2:3], v[0:1], v[2:3]
	v_fma_f64 v[22:23], -v[10:11], v[12:13], 1.0
	v_fma_f64 v[12:13], v[12:13], v[22:23], v[12:13]
	v_mul_f64 v[22:23], v[20:21], v[12:13]
	v_fma_f64 v[10:11], -v[10:11], v[22:23], v[20:21]
	v_div_fmas_f64 v[10:11], v[10:11], v[12:13], v[22:23]
	v_div_fixup_f64 v[10:11], v[10:11], v[0:1], v[2:3]
	v_fma_f64 v[0:1], v[2:3], v[10:11], v[0:1]
	v_div_scale_f64 v[2:3], s[16:17], v[0:1], v[0:1], 1.0
	v_div_scale_f64 v[22:23], vcc, 1.0, v[0:1], 1.0
	v_rcp_f64_e32 v[12:13], v[2:3]
	v_fma_f64 v[20:21], -v[2:3], v[12:13], 1.0
	v_fma_f64 v[12:13], v[12:13], v[20:21], v[12:13]
	v_fma_f64 v[20:21], -v[2:3], v[12:13], 1.0
	v_fma_f64 v[12:13], v[12:13], v[20:21], v[12:13]
	v_mul_f64 v[20:21], v[22:23], v[12:13]
	v_fma_f64 v[2:3], -v[2:3], v[20:21], v[22:23]
	v_div_fmas_f64 v[2:3], v[2:3], v[12:13], v[20:21]
	v_div_fixup_f64 v[0:1], v[2:3], v[0:1], 1.0
	v_mul_f64 v[2:3], v[10:11], -v[0:1]
.LBB126_137:
	s_or_b64 exec, exec, s[18:19]
.LBB126_138:
	s_or_b64 exec, exec, s[4:5]
	v_cmp_ne_u32_e32 vcc, v19, v4
	s_and_saveexec_b64 s[4:5], vcc
	s_xor_b64 s[4:5], exec, s[4:5]
	s_cbranch_execz .LBB126_144
; %bb.139:
	v_cmp_eq_u32_e32 vcc, 5, v19
	s_and_saveexec_b64 s[18:19], vcc
	s_cbranch_execz .LBB126_143
; %bb.140:
	v_cmp_ne_u32_e32 vcc, 5, v4
	s_xor_b64 s[16:17], s[10:11], -1
	s_and_b64 s[16:17], s[16:17], vcc
	s_and_saveexec_b64 s[24:25], s[16:17]
	s_cbranch_execz .LBB126_142
; %bb.141:
	v_ashrrev_i32_e32 v5, 31, v4
	v_lshlrev_b64 v[10:11], 2, v[4:5]
	v_add_co_u32_e32 v10, vcc, v8, v10
	v_addc_co_u32_e32 v11, vcc, v9, v11, vcc
	global_load_dword v5, v[10:11], off
	global_load_dword v12, v[8:9], off offset:20
	s_waitcnt vmcnt(1)
	global_store_dword v[8:9], v5, off offset:20
	s_waitcnt vmcnt(1)
	global_store_dword v[10:11], v12, off
.LBB126_142:
	s_or_b64 exec, exec, s[24:25]
	v_mov_b32_e32 v19, v4
	v_mov_b32_e32 v18, v4
.LBB126_143:
	s_or_b64 exec, exec, s[18:19]
.LBB126_144:
	s_andn2_saveexec_b64 s[4:5], s[4:5]
	s_cbranch_execz .LBB126_148
; %bb.145:
	s_movk_i32 s16, 0x60
.LBB126_146:                            ; =>This Inner Loop Header: Depth=1
	v_mov_b32_e32 v20, s16
	buffer_load_dword v4, v20, s[0:3], 0 offen
	buffer_load_dword v5, v20, s[0:3], 0 offen offset:4
	buffer_load_dword v10, v20, s[0:3], 0 offen offset:8
	;; [unrolled: 1-line block ×6, first 2 shown]
	s_nop 0
	buffer_load_dword v20, v20, s[0:3], 0 offen offset:28
	v_add_u32_e32 v21, s16, v16
	s_add_i32 s16, s16, 32
	s_cmpk_eq_i32 s16, 0x400
	s_waitcnt vmcnt(4)
	ds_write2_b64 v21, v[4:5], v[10:11] offset1:1
	s_waitcnt vmcnt(0)
	ds_write2_b64 v21, v[12:13], v[19:20] offset0:2 offset1:3
	s_cbranch_scc0 .LBB126_146
; %bb.147:
	v_mov_b32_e32 v19, 5
.LBB126_148:
	s_or_b64 exec, exec, s[4:5]
	v_cmp_lt_i32_e32 vcc, 5, v19
	s_waitcnt vmcnt(0) lgkmcnt(0)
	s_barrier
	s_and_saveexec_b64 s[4:5], vcc
	s_cbranch_execz .LBB126_151
; %bb.149:
	buffer_load_dword v4, off, s[0:3], 0 offset:88
	buffer_load_dword v5, off, s[0:3], 0 offset:92
	;; [unrolled: 1-line block ×4, first 2 shown]
	s_movk_i32 s16, 0x60
	s_waitcnt vmcnt(2)
	v_mul_f64 v[12:13], v[2:3], v[4:5]
	v_mul_f64 v[4:5], v[0:1], v[4:5]
	s_waitcnt vmcnt(0)
	v_fma_f64 v[0:1], v[0:1], v[10:11], -v[12:13]
	v_fma_f64 v[2:3], v[2:3], v[10:11], v[4:5]
	buffer_store_dword v0, off, s[0:3], 0 offset:80
	buffer_store_dword v1, off, s[0:3], 0 offset:84
	buffer_store_dword v2, off, s[0:3], 0 offset:88
	buffer_store_dword v3, off, s[0:3], 0 offset:92
.LBB126_150:                            ; =>This Inner Loop Header: Depth=1
	buffer_load_dword v4, off, s[0:3], 0 offset:88
	buffer_load_dword v5, off, s[0:3], 0 offset:92
	;; [unrolled: 1-line block ×4, first 2 shown]
	v_mov_b32_e32 v32, s16
	buffer_load_dword v22, v32, s[0:3], 0 offen
	buffer_load_dword v23, v32, s[0:3], 0 offen offset:4
	buffer_load_dword v24, v32, s[0:3], 0 offen offset:8
	buffer_load_dword v25, v32, s[0:3], 0 offen offset:12
	v_add_u32_e32 v10, s16, v16
	ds_read2_b64 v[0:3], v10 offset1:1
	buffer_load_dword v26, v32, s[0:3], 0 offen offset:16
	buffer_load_dword v27, v32, s[0:3], 0 offen offset:20
	;; [unrolled: 1-line block ×4, first 2 shown]
	ds_read2_b64 v[10:13], v10 offset0:2 offset1:3
	s_add_i32 s16, s16, 32
	s_cmpk_lg_i32 s16, 0x400
	s_waitcnt vmcnt(10) lgkmcnt(1)
	v_mul_f64 v[30:31], v[2:3], v[4:5]
	v_mul_f64 v[4:5], v[0:1], v[4:5]
	s_waitcnt vmcnt(8)
	v_fma_f64 v[0:1], v[0:1], v[20:21], -v[30:31]
	v_fma_f64 v[2:3], v[2:3], v[20:21], v[4:5]
	s_waitcnt vmcnt(6)
	v_add_f64 v[0:1], v[22:23], -v[0:1]
	s_waitcnt vmcnt(4)
	v_add_f64 v[2:3], v[24:25], -v[2:3]
	buffer_store_dword v1, v32, s[0:3], 0 offen offset:4
	buffer_store_dword v0, v32, s[0:3], 0 offen
	buffer_store_dword v3, v32, s[0:3], 0 offen offset:12
	buffer_store_dword v2, v32, s[0:3], 0 offen offset:8
	buffer_load_dword v1, off, s[0:3], 0 offset:92
	s_nop 0
	buffer_load_dword v0, off, s[0:3], 0 offset:88
	buffer_load_dword v3, off, s[0:3], 0 offset:84
	buffer_load_dword v2, off, s[0:3], 0 offset:80
	s_waitcnt vmcnt(2) lgkmcnt(0)
	v_mul_f64 v[4:5], v[12:13], v[0:1]
	v_mul_f64 v[0:1], v[10:11], v[0:1]
	s_waitcnt vmcnt(0)
	v_fma_f64 v[4:5], v[10:11], v[2:3], -v[4:5]
	v_fma_f64 v[0:1], v[12:13], v[2:3], v[0:1]
	v_add_f64 v[2:3], v[26:27], -v[4:5]
	v_add_f64 v[0:1], v[28:29], -v[0:1]
	buffer_store_dword v3, v32, s[0:3], 0 offen offset:20
	buffer_store_dword v2, v32, s[0:3], 0 offen offset:16
	;; [unrolled: 1-line block ×4, first 2 shown]
	s_cbranch_scc1 .LBB126_150
.LBB126_151:
	s_or_b64 exec, exec, s[4:5]
	v_mov_b32_e32 v3, s81
	s_waitcnt vmcnt(0)
	s_barrier
	buffer_load_dword v0, v3, s[0:3], 0 offen
	buffer_load_dword v1, v3, s[0:3], 0 offen offset:4
	buffer_load_dword v2, v3, s[0:3], 0 offen offset:8
	s_nop 0
	buffer_load_dword v3, v3, s[0:3], 0 offen offset:12
	v_lshl_add_u32 v4, v19, 4, v16
	s_cmp_lt_i32 s66, 8
	s_waitcnt vmcnt(0)
	ds_write2_b64 v4, v[0:1], v[2:3] offset1:1
	s_waitcnt lgkmcnt(0)
	s_barrier
	ds_read2_b64 v[0:3], v16 offset0:12 offset1:13
	v_mov_b32_e32 v4, 6
	s_cbranch_scc1 .LBB126_154
; %bb.152:
	v_add_u32_e32 v5, 0x70, v16
	s_mov_b32 s16, 7
	v_mov_b32_e32 v4, 6
.LBB126_153:                            ; =>This Inner Loop Header: Depth=1
	s_waitcnt lgkmcnt(0)
	v_cmp_gt_f64_e32 vcc, 0, v[2:3]
	v_cmp_gt_f64_e64 s[4:5], 0, v[0:1]
	ds_read2_b64 v[10:13], v5 offset1:1
	v_xor_b32_e32 v21, 0x80000000, v1
	v_xor_b32_e32 v23, 0x80000000, v3
	v_mov_b32_e32 v20, v0
	v_mov_b32_e32 v22, v2
	s_waitcnt lgkmcnt(0)
	v_xor_b32_e32 v25, 0x80000000, v13
	v_cndmask_b32_e32 v23, v3, v23, vcc
	v_cndmask_b32_e64 v21, v1, v21, s[4:5]
	v_cmp_gt_f64_e32 vcc, 0, v[12:13]
	v_cmp_gt_f64_e64 s[4:5], 0, v[10:11]
	v_add_f64 v[20:21], v[20:21], v[22:23]
	v_xor_b32_e32 v23, 0x80000000, v11
	v_mov_b32_e32 v22, v10
	v_mov_b32_e32 v24, v12
	v_add_u32_e32 v5, 16, v5
	v_cndmask_b32_e32 v25, v13, v25, vcc
	v_cndmask_b32_e64 v23, v11, v23, s[4:5]
	v_add_f64 v[22:23], v[22:23], v[24:25]
	v_mov_b32_e32 v24, s16
	s_add_i32 s16, s16, 1
	s_cmp_lg_u32 s66, s16
	v_cmp_lt_f64_e32 vcc, v[20:21], v[22:23]
	v_cndmask_b32_e32 v1, v1, v11, vcc
	v_cndmask_b32_e32 v0, v0, v10, vcc
	;; [unrolled: 1-line block ×5, first 2 shown]
	s_cbranch_scc1 .LBB126_153
.LBB126_154:
	s_waitcnt lgkmcnt(0)
	v_cmp_eq_f64_e32 vcc, 0, v[0:1]
	v_cmp_eq_f64_e64 s[4:5], 0, v[2:3]
	s_and_b64 s[4:5], vcc, s[4:5]
	s_and_saveexec_b64 s[16:17], s[4:5]
	s_xor_b64 s[4:5], exec, s[16:17]
; %bb.155:
	v_cmp_ne_u32_e32 vcc, 0, v17
	v_cndmask_b32_e32 v17, 7, v17, vcc
; %bb.156:
	s_andn2_saveexec_b64 s[4:5], s[4:5]
	s_cbranch_execz .LBB126_162
; %bb.157:
	v_cmp_ngt_f64_e64 s[16:17], |v[0:1]|, |v[2:3]|
	s_and_saveexec_b64 s[18:19], s[16:17]
	s_xor_b64 s[18:19], exec, s[18:19]
	s_cbranch_execz .LBB126_159
; %bb.158:
	v_div_scale_f64 v[10:11], s[16:17], v[2:3], v[2:3], v[0:1]
	v_rcp_f64_e32 v[12:13], v[10:11]
	v_fma_f64 v[20:21], -v[10:11], v[12:13], 1.0
	v_fma_f64 v[12:13], v[12:13], v[20:21], v[12:13]
	v_div_scale_f64 v[20:21], vcc, v[0:1], v[2:3], v[0:1]
	v_fma_f64 v[22:23], -v[10:11], v[12:13], 1.0
	v_fma_f64 v[12:13], v[12:13], v[22:23], v[12:13]
	v_mul_f64 v[22:23], v[20:21], v[12:13]
	v_fma_f64 v[10:11], -v[10:11], v[22:23], v[20:21]
	v_div_fmas_f64 v[10:11], v[10:11], v[12:13], v[22:23]
	v_div_fixup_f64 v[10:11], v[10:11], v[2:3], v[0:1]
	v_fma_f64 v[0:1], v[0:1], v[10:11], v[2:3]
	v_div_scale_f64 v[2:3], s[16:17], v[0:1], v[0:1], 1.0
	v_div_scale_f64 v[22:23], vcc, 1.0, v[0:1], 1.0
	v_rcp_f64_e32 v[12:13], v[2:3]
	v_fma_f64 v[20:21], -v[2:3], v[12:13], 1.0
	v_fma_f64 v[12:13], v[12:13], v[20:21], v[12:13]
	v_fma_f64 v[20:21], -v[2:3], v[12:13], 1.0
	v_fma_f64 v[12:13], v[12:13], v[20:21], v[12:13]
	v_mul_f64 v[20:21], v[22:23], v[12:13]
	v_fma_f64 v[2:3], -v[2:3], v[20:21], v[22:23]
	v_div_fmas_f64 v[2:3], v[2:3], v[12:13], v[20:21]
	v_div_fixup_f64 v[2:3], v[2:3], v[0:1], 1.0
	v_mul_f64 v[0:1], v[10:11], v[2:3]
	v_xor_b32_e32 v3, 0x80000000, v3
.LBB126_159:
	s_andn2_saveexec_b64 s[18:19], s[18:19]
	s_cbranch_execz .LBB126_161
; %bb.160:
	v_div_scale_f64 v[10:11], s[16:17], v[0:1], v[0:1], v[2:3]
	v_rcp_f64_e32 v[12:13], v[10:11]
	v_fma_f64 v[20:21], -v[10:11], v[12:13], 1.0
	v_fma_f64 v[12:13], v[12:13], v[20:21], v[12:13]
	v_div_scale_f64 v[20:21], vcc, v[2:3], v[0:1], v[2:3]
	v_fma_f64 v[22:23], -v[10:11], v[12:13], 1.0
	v_fma_f64 v[12:13], v[12:13], v[22:23], v[12:13]
	v_mul_f64 v[22:23], v[20:21], v[12:13]
	v_fma_f64 v[10:11], -v[10:11], v[22:23], v[20:21]
	v_div_fmas_f64 v[10:11], v[10:11], v[12:13], v[22:23]
	v_div_fixup_f64 v[10:11], v[10:11], v[0:1], v[2:3]
	v_fma_f64 v[0:1], v[2:3], v[10:11], v[0:1]
	v_div_scale_f64 v[2:3], s[16:17], v[0:1], v[0:1], 1.0
	v_div_scale_f64 v[22:23], vcc, 1.0, v[0:1], 1.0
	v_rcp_f64_e32 v[12:13], v[2:3]
	v_fma_f64 v[20:21], -v[2:3], v[12:13], 1.0
	v_fma_f64 v[12:13], v[12:13], v[20:21], v[12:13]
	v_fma_f64 v[20:21], -v[2:3], v[12:13], 1.0
	v_fma_f64 v[12:13], v[12:13], v[20:21], v[12:13]
	v_mul_f64 v[20:21], v[22:23], v[12:13]
	v_fma_f64 v[2:3], -v[2:3], v[20:21], v[22:23]
	v_div_fmas_f64 v[2:3], v[2:3], v[12:13], v[20:21]
	v_div_fixup_f64 v[0:1], v[2:3], v[0:1], 1.0
	v_mul_f64 v[2:3], v[10:11], -v[0:1]
.LBB126_161:
	s_or_b64 exec, exec, s[18:19]
.LBB126_162:
	s_or_b64 exec, exec, s[4:5]
	v_cmp_ne_u32_e32 vcc, v19, v4
	s_and_saveexec_b64 s[4:5], vcc
	s_xor_b64 s[4:5], exec, s[4:5]
	s_cbranch_execz .LBB126_168
; %bb.163:
	v_cmp_eq_u32_e32 vcc, 6, v19
	s_and_saveexec_b64 s[18:19], vcc
	s_cbranch_execz .LBB126_167
; %bb.164:
	v_cmp_ne_u32_e32 vcc, 6, v4
	s_xor_b64 s[16:17], s[10:11], -1
	s_and_b64 s[16:17], s[16:17], vcc
	s_and_saveexec_b64 s[24:25], s[16:17]
	s_cbranch_execz .LBB126_166
; %bb.165:
	v_ashrrev_i32_e32 v5, 31, v4
	v_lshlrev_b64 v[10:11], 2, v[4:5]
	v_add_co_u32_e32 v10, vcc, v8, v10
	v_addc_co_u32_e32 v11, vcc, v9, v11, vcc
	global_load_dword v5, v[10:11], off
	global_load_dword v12, v[8:9], off offset:24
	s_waitcnt vmcnt(1)
	global_store_dword v[8:9], v5, off offset:24
	s_waitcnt vmcnt(1)
	global_store_dword v[10:11], v12, off
.LBB126_166:
	s_or_b64 exec, exec, s[24:25]
	v_mov_b32_e32 v19, v4
	v_mov_b32_e32 v18, v4
.LBB126_167:
	s_or_b64 exec, exec, s[18:19]
.LBB126_168:
	s_andn2_saveexec_b64 s[4:5], s[4:5]
	s_cbranch_execz .LBB126_172
; %bb.169:
	s_movk_i32 s16, 0x70
.LBB126_170:                            ; =>This Inner Loop Header: Depth=1
	v_mov_b32_e32 v24, s16
	buffer_load_dword v4, v24, s[0:3], 0 offen
	buffer_load_dword v5, v24, s[0:3], 0 offen offset:4
	buffer_load_dword v10, v24, s[0:3], 0 offen offset:8
	buffer_load_dword v11, v24, s[0:3], 0 offen offset:12
	buffer_load_dword v12, v24, s[0:3], 0 offen offset:16
	buffer_load_dword v13, v24, s[0:3], 0 offen offset:20
	buffer_load_dword v19, v24, s[0:3], 0 offen offset:24
	buffer_load_dword v20, v24, s[0:3], 0 offen offset:28
	buffer_load_dword v21, v24, s[0:3], 0 offen offset:32
	buffer_load_dword v22, v24, s[0:3], 0 offen offset:36
	buffer_load_dword v23, v24, s[0:3], 0 offen offset:40
	s_nop 0
	buffer_load_dword v24, v24, s[0:3], 0 offen offset:44
	v_add_u32_e32 v25, s16, v16
	s_add_i32 s16, s16, 48
	s_cmpk_eq_i32 s16, 0x400
	s_waitcnt vmcnt(8)
	ds_write2_b64 v25, v[4:5], v[10:11] offset1:1
	s_waitcnt vmcnt(4)
	ds_write2_b64 v25, v[12:13], v[19:20] offset0:2 offset1:3
	s_waitcnt vmcnt(0)
	ds_write2_b64 v25, v[21:22], v[23:24] offset0:4 offset1:5
	s_cbranch_scc0 .LBB126_170
; %bb.171:
	v_mov_b32_e32 v19, 6
.LBB126_172:
	s_or_b64 exec, exec, s[4:5]
	v_cmp_lt_i32_e32 vcc, 6, v19
	s_waitcnt vmcnt(0) lgkmcnt(0)
	s_barrier
	s_and_saveexec_b64 s[4:5], vcc
	s_cbranch_execz .LBB126_175
; %bb.173:
	buffer_load_dword v4, off, s[0:3], 0 offset:104
	buffer_load_dword v5, off, s[0:3], 0 offset:108
	;; [unrolled: 1-line block ×4, first 2 shown]
	s_movk_i32 s16, 0x70
	s_waitcnt vmcnt(2)
	v_mul_f64 v[12:13], v[2:3], v[4:5]
	v_mul_f64 v[4:5], v[0:1], v[4:5]
	s_waitcnt vmcnt(0)
	v_fma_f64 v[0:1], v[0:1], v[10:11], -v[12:13]
	v_fma_f64 v[2:3], v[2:3], v[10:11], v[4:5]
	buffer_store_dword v0, off, s[0:3], 0 offset:96
	buffer_store_dword v1, off, s[0:3], 0 offset:100
	;; [unrolled: 1-line block ×4, first 2 shown]
.LBB126_174:                            ; =>This Inner Loop Header: Depth=1
	buffer_load_dword v4, off, s[0:3], 0 offset:104
	buffer_load_dword v5, off, s[0:3], 0 offset:108
	;; [unrolled: 1-line block ×4, first 2 shown]
	v_mov_b32_e32 v32, s16
	buffer_load_dword v22, v32, s[0:3], 0 offen
	buffer_load_dword v23, v32, s[0:3], 0 offen offset:4
	buffer_load_dword v24, v32, s[0:3], 0 offen offset:8
	;; [unrolled: 1-line block ×3, first 2 shown]
	v_add_u32_e32 v33, s16, v16
	ds_read2_b64 v[0:3], v33 offset1:1
	buffer_load_dword v26, v32, s[0:3], 0 offen offset:16
	buffer_load_dword v27, v32, s[0:3], 0 offen offset:20
	;; [unrolled: 1-line block ×4, first 2 shown]
	ds_read2_b64 v[10:13], v33 offset0:2 offset1:3
	s_add_i32 s16, s16, 48
	s_cmpk_lg_i32 s16, 0x400
	s_waitcnt vmcnt(10) lgkmcnt(1)
	v_mul_f64 v[30:31], v[2:3], v[4:5]
	v_mul_f64 v[4:5], v[0:1], v[4:5]
	s_waitcnt vmcnt(8)
	v_fma_f64 v[0:1], v[0:1], v[20:21], -v[30:31]
	v_fma_f64 v[2:3], v[2:3], v[20:21], v[4:5]
	s_waitcnt vmcnt(6)
	v_add_f64 v[0:1], v[22:23], -v[0:1]
	s_waitcnt vmcnt(4)
	v_add_f64 v[2:3], v[24:25], -v[2:3]
	buffer_store_dword v1, v32, s[0:3], 0 offen offset:4
	buffer_store_dword v0, v32, s[0:3], 0 offen
	buffer_store_dword v3, v32, s[0:3], 0 offen offset:12
	buffer_store_dword v2, v32, s[0:3], 0 offen offset:8
	buffer_load_dword v1, off, s[0:3], 0 offset:108
	s_nop 0
	buffer_load_dword v0, off, s[0:3], 0 offset:104
	buffer_load_dword v3, off, s[0:3], 0 offset:100
	;; [unrolled: 1-line block ×3, first 2 shown]
	buffer_load_dword v4, v32, s[0:3], 0 offen offset:32
	buffer_load_dword v5, v32, s[0:3], 0 offen offset:36
	;; [unrolled: 1-line block ×4, first 2 shown]
	s_waitcnt vmcnt(6) lgkmcnt(0)
	v_mul_f64 v[22:23], v[12:13], v[0:1]
	v_mul_f64 v[0:1], v[10:11], v[0:1]
	s_waitcnt vmcnt(4)
	v_fma_f64 v[10:11], v[10:11], v[2:3], -v[22:23]
	v_fma_f64 v[0:1], v[12:13], v[2:3], v[0:1]
	v_add_f64 v[2:3], v[26:27], -v[10:11]
	v_add_f64 v[0:1], v[28:29], -v[0:1]
	buffer_store_dword v3, v32, s[0:3], 0 offen offset:20
	buffer_store_dword v2, v32, s[0:3], 0 offen offset:16
	;; [unrolled: 1-line block ×4, first 2 shown]
	buffer_load_dword v10, off, s[0:3], 0 offset:104
	buffer_load_dword v11, off, s[0:3], 0 offset:108
	;; [unrolled: 1-line block ×4, first 2 shown]
	ds_read2_b64 v[0:3], v33 offset0:4 offset1:5
	s_waitcnt vmcnt(2) lgkmcnt(0)
	v_mul_f64 v[22:23], v[2:3], v[10:11]
	v_mul_f64 v[10:11], v[0:1], v[10:11]
	s_waitcnt vmcnt(0)
	v_fma_f64 v[0:1], v[0:1], v[12:13], -v[22:23]
	v_fma_f64 v[2:3], v[2:3], v[12:13], v[10:11]
	v_add_f64 v[0:1], v[4:5], -v[0:1]
	v_add_f64 v[2:3], v[20:21], -v[2:3]
	buffer_store_dword v1, v32, s[0:3], 0 offen offset:36
	buffer_store_dword v0, v32, s[0:3], 0 offen offset:32
	;; [unrolled: 1-line block ×4, first 2 shown]
	s_cbranch_scc1 .LBB126_174
.LBB126_175:
	s_or_b64 exec, exec, s[4:5]
	v_mov_b32_e32 v3, s80
	s_waitcnt vmcnt(0)
	s_barrier
	buffer_load_dword v0, v3, s[0:3], 0 offen
	buffer_load_dword v1, v3, s[0:3], 0 offen offset:4
	buffer_load_dword v2, v3, s[0:3], 0 offen offset:8
	s_nop 0
	buffer_load_dword v3, v3, s[0:3], 0 offen offset:12
	v_lshl_add_u32 v4, v19, 4, v16
	s_cmp_lt_i32 s66, 9
	s_waitcnt vmcnt(0)
	ds_write2_b64 v4, v[0:1], v[2:3] offset1:1
	s_waitcnt lgkmcnt(0)
	s_barrier
	ds_read2_b64 v[0:3], v16 offset0:14 offset1:15
	v_mov_b32_e32 v4, 7
	s_cbranch_scc1 .LBB126_178
; %bb.176:
	v_add_u32_e32 v5, 0x80, v16
	s_mov_b32 s16, 8
	v_mov_b32_e32 v4, 7
.LBB126_177:                            ; =>This Inner Loop Header: Depth=1
	s_waitcnt lgkmcnt(0)
	v_cmp_gt_f64_e32 vcc, 0, v[2:3]
	v_cmp_gt_f64_e64 s[4:5], 0, v[0:1]
	ds_read2_b64 v[10:13], v5 offset1:1
	v_xor_b32_e32 v21, 0x80000000, v1
	v_xor_b32_e32 v23, 0x80000000, v3
	v_mov_b32_e32 v20, v0
	v_mov_b32_e32 v22, v2
	s_waitcnt lgkmcnt(0)
	v_xor_b32_e32 v25, 0x80000000, v13
	v_cndmask_b32_e32 v23, v3, v23, vcc
	v_cndmask_b32_e64 v21, v1, v21, s[4:5]
	v_cmp_gt_f64_e32 vcc, 0, v[12:13]
	v_cmp_gt_f64_e64 s[4:5], 0, v[10:11]
	v_add_f64 v[20:21], v[20:21], v[22:23]
	v_xor_b32_e32 v23, 0x80000000, v11
	v_mov_b32_e32 v22, v10
	v_mov_b32_e32 v24, v12
	v_add_u32_e32 v5, 16, v5
	v_cndmask_b32_e32 v25, v13, v25, vcc
	v_cndmask_b32_e64 v23, v11, v23, s[4:5]
	v_add_f64 v[22:23], v[22:23], v[24:25]
	v_mov_b32_e32 v24, s16
	s_add_i32 s16, s16, 1
	s_cmp_lg_u32 s66, s16
	v_cmp_lt_f64_e32 vcc, v[20:21], v[22:23]
	v_cndmask_b32_e32 v1, v1, v11, vcc
	v_cndmask_b32_e32 v0, v0, v10, vcc
	;; [unrolled: 1-line block ×5, first 2 shown]
	s_cbranch_scc1 .LBB126_177
.LBB126_178:
	s_waitcnt lgkmcnt(0)
	v_cmp_eq_f64_e32 vcc, 0, v[0:1]
	v_cmp_eq_f64_e64 s[4:5], 0, v[2:3]
	s_and_b64 s[4:5], vcc, s[4:5]
	s_and_saveexec_b64 s[16:17], s[4:5]
	s_xor_b64 s[4:5], exec, s[16:17]
; %bb.179:
	v_cmp_ne_u32_e32 vcc, 0, v17
	v_cndmask_b32_e32 v17, 8, v17, vcc
; %bb.180:
	s_andn2_saveexec_b64 s[4:5], s[4:5]
	s_cbranch_execz .LBB126_186
; %bb.181:
	v_cmp_ngt_f64_e64 s[16:17], |v[0:1]|, |v[2:3]|
	s_and_saveexec_b64 s[18:19], s[16:17]
	s_xor_b64 s[18:19], exec, s[18:19]
	s_cbranch_execz .LBB126_183
; %bb.182:
	v_div_scale_f64 v[10:11], s[16:17], v[2:3], v[2:3], v[0:1]
	v_rcp_f64_e32 v[12:13], v[10:11]
	v_fma_f64 v[20:21], -v[10:11], v[12:13], 1.0
	v_fma_f64 v[12:13], v[12:13], v[20:21], v[12:13]
	v_div_scale_f64 v[20:21], vcc, v[0:1], v[2:3], v[0:1]
	v_fma_f64 v[22:23], -v[10:11], v[12:13], 1.0
	v_fma_f64 v[12:13], v[12:13], v[22:23], v[12:13]
	v_mul_f64 v[22:23], v[20:21], v[12:13]
	v_fma_f64 v[10:11], -v[10:11], v[22:23], v[20:21]
	v_div_fmas_f64 v[10:11], v[10:11], v[12:13], v[22:23]
	v_div_fixup_f64 v[10:11], v[10:11], v[2:3], v[0:1]
	v_fma_f64 v[0:1], v[0:1], v[10:11], v[2:3]
	v_div_scale_f64 v[2:3], s[16:17], v[0:1], v[0:1], 1.0
	v_div_scale_f64 v[22:23], vcc, 1.0, v[0:1], 1.0
	v_rcp_f64_e32 v[12:13], v[2:3]
	v_fma_f64 v[20:21], -v[2:3], v[12:13], 1.0
	v_fma_f64 v[12:13], v[12:13], v[20:21], v[12:13]
	v_fma_f64 v[20:21], -v[2:3], v[12:13], 1.0
	v_fma_f64 v[12:13], v[12:13], v[20:21], v[12:13]
	v_mul_f64 v[20:21], v[22:23], v[12:13]
	v_fma_f64 v[2:3], -v[2:3], v[20:21], v[22:23]
	v_div_fmas_f64 v[2:3], v[2:3], v[12:13], v[20:21]
	v_div_fixup_f64 v[2:3], v[2:3], v[0:1], 1.0
	v_mul_f64 v[0:1], v[10:11], v[2:3]
	v_xor_b32_e32 v3, 0x80000000, v3
.LBB126_183:
	s_andn2_saveexec_b64 s[18:19], s[18:19]
	s_cbranch_execz .LBB126_185
; %bb.184:
	v_div_scale_f64 v[10:11], s[16:17], v[0:1], v[0:1], v[2:3]
	v_rcp_f64_e32 v[12:13], v[10:11]
	v_fma_f64 v[20:21], -v[10:11], v[12:13], 1.0
	v_fma_f64 v[12:13], v[12:13], v[20:21], v[12:13]
	v_div_scale_f64 v[20:21], vcc, v[2:3], v[0:1], v[2:3]
	v_fma_f64 v[22:23], -v[10:11], v[12:13], 1.0
	v_fma_f64 v[12:13], v[12:13], v[22:23], v[12:13]
	v_mul_f64 v[22:23], v[20:21], v[12:13]
	v_fma_f64 v[10:11], -v[10:11], v[22:23], v[20:21]
	v_div_fmas_f64 v[10:11], v[10:11], v[12:13], v[22:23]
	v_div_fixup_f64 v[10:11], v[10:11], v[0:1], v[2:3]
	v_fma_f64 v[0:1], v[2:3], v[10:11], v[0:1]
	v_div_scale_f64 v[2:3], s[16:17], v[0:1], v[0:1], 1.0
	v_div_scale_f64 v[22:23], vcc, 1.0, v[0:1], 1.0
	v_rcp_f64_e32 v[12:13], v[2:3]
	v_fma_f64 v[20:21], -v[2:3], v[12:13], 1.0
	v_fma_f64 v[12:13], v[12:13], v[20:21], v[12:13]
	v_fma_f64 v[20:21], -v[2:3], v[12:13], 1.0
	v_fma_f64 v[12:13], v[12:13], v[20:21], v[12:13]
	v_mul_f64 v[20:21], v[22:23], v[12:13]
	v_fma_f64 v[2:3], -v[2:3], v[20:21], v[22:23]
	v_div_fmas_f64 v[2:3], v[2:3], v[12:13], v[20:21]
	v_div_fixup_f64 v[0:1], v[2:3], v[0:1], 1.0
	v_mul_f64 v[2:3], v[10:11], -v[0:1]
.LBB126_185:
	s_or_b64 exec, exec, s[18:19]
.LBB126_186:
	s_or_b64 exec, exec, s[4:5]
	v_cmp_ne_u32_e32 vcc, v19, v4
	s_and_saveexec_b64 s[4:5], vcc
	s_xor_b64 s[4:5], exec, s[4:5]
	s_cbranch_execz .LBB126_192
; %bb.187:
	v_cmp_eq_u32_e32 vcc, 7, v19
	s_and_saveexec_b64 s[18:19], vcc
	s_cbranch_execz .LBB126_191
; %bb.188:
	v_cmp_ne_u32_e32 vcc, 7, v4
	s_xor_b64 s[16:17], s[10:11], -1
	s_and_b64 s[16:17], s[16:17], vcc
	s_and_saveexec_b64 s[24:25], s[16:17]
	s_cbranch_execz .LBB126_190
; %bb.189:
	v_ashrrev_i32_e32 v5, 31, v4
	v_lshlrev_b64 v[10:11], 2, v[4:5]
	v_add_co_u32_e32 v10, vcc, v8, v10
	v_addc_co_u32_e32 v11, vcc, v9, v11, vcc
	global_load_dword v5, v[10:11], off
	global_load_dword v12, v[8:9], off offset:28
	s_waitcnt vmcnt(1)
	global_store_dword v[8:9], v5, off offset:28
	s_waitcnt vmcnt(1)
	global_store_dword v[10:11], v12, off
.LBB126_190:
	s_or_b64 exec, exec, s[24:25]
	v_mov_b32_e32 v19, v4
	v_mov_b32_e32 v18, v4
.LBB126_191:
	s_or_b64 exec, exec, s[18:19]
.LBB126_192:
	s_andn2_saveexec_b64 s[4:5], s[4:5]
	s_cbranch_execz .LBB126_196
; %bb.193:
	s_movk_i32 s18, 0x80
.LBB126_194:                            ; =>This Inner Loop Header: Depth=1
	v_mov_b32_e32 v29, s18
	buffer_load_dword v4, v29, s[0:3], 0 offen
	buffer_load_dword v5, v29, s[0:3], 0 offen offset:4
	buffer_load_dword v10, v29, s[0:3], 0 offen offset:8
	;; [unrolled: 1-line block ×15, first 2 shown]
	v_add_u32_e32 v30, s18, v16
	s_addk_i32 s18, 0xe0
	s_cmpk_eq_i32 s18, 0x400
	s_waitcnt vmcnt(12)
	ds_write2_b64 v30, v[4:5], v[10:11] offset1:1
	s_waitcnt vmcnt(8)
	ds_write2_b64 v30, v[12:13], v[19:20] offset0:2 offset1:3
	s_waitcnt vmcnt(4)
	ds_write2_b64 v30, v[21:22], v[23:24] offset0:4 offset1:5
	;; [unrolled: 2-line block ×3, first 2 shown]
	buffer_load_dword v5, v29, s[0:3], 0 offen offset:76
	buffer_load_dword v4, v29, s[0:3], 0 offen offset:72
	buffer_load_dword v11, v29, s[0:3], 0 offen offset:68
	buffer_load_dword v10, v29, s[0:3], 0 offen offset:64
	s_waitcnt vmcnt(0)
	ds_write2_b64 v30, v[10:11], v[4:5] offset0:8 offset1:9
	buffer_load_dword v5, v29, s[0:3], 0 offen offset:92
	buffer_load_dword v4, v29, s[0:3], 0 offen offset:88
	buffer_load_dword v11, v29, s[0:3], 0 offen offset:84
	buffer_load_dword v10, v29, s[0:3], 0 offen offset:80
	s_waitcnt vmcnt(0)
	ds_write2_b64 v30, v[10:11], v[4:5] offset0:10 offset1:11
	;; [unrolled: 6-line block ×10, first 2 shown]
	s_cbranch_scc0 .LBB126_194
; %bb.195:
	v_mov_b32_e32 v19, 7
.LBB126_196:
	s_or_b64 exec, exec, s[4:5]
	v_cmp_lt_i32_e32 vcc, 7, v19
	s_waitcnt vmcnt(0) lgkmcnt(0)
	s_barrier
	s_and_saveexec_b64 s[4:5], vcc
	s_cbranch_execz .LBB126_199
; %bb.197:
	buffer_load_dword v4, off, s[0:3], 0 offset:120
	buffer_load_dword v5, off, s[0:3], 0 offset:124
	;; [unrolled: 1-line block ×4, first 2 shown]
	s_movk_i32 s18, 0x80
	s_waitcnt vmcnt(2)
	v_mul_f64 v[12:13], v[2:3], v[4:5]
	v_mul_f64 v[4:5], v[0:1], v[4:5]
	s_waitcnt vmcnt(0)
	v_fma_f64 v[0:1], v[0:1], v[10:11], -v[12:13]
	v_fma_f64 v[2:3], v[2:3], v[10:11], v[4:5]
	buffer_store_dword v0, off, s[0:3], 0 offset:112
	buffer_store_dword v1, off, s[0:3], 0 offset:116
	;; [unrolled: 1-line block ×4, first 2 shown]
.LBB126_198:                            ; =>This Inner Loop Header: Depth=1
	buffer_load_dword v20, off, s[0:3], 0 offset:120
	buffer_load_dword v21, off, s[0:3], 0 offset:124
	;; [unrolled: 1-line block ×4, first 2 shown]
	v_mov_b32_e32 v0, s18
	buffer_load_dword v24, v0, s[0:3], 0 offen
	buffer_load_dword v25, v0, s[0:3], 0 offen offset:4
	buffer_load_dword v26, v0, s[0:3], 0 offen offset:8
	buffer_load_dword v27, v0, s[0:3], 0 offen offset:12
	v_add_u32_e32 v5, s18, v16
	ds_read2_b64 v[1:4], v5 offset1:1
	buffer_load_dword v28, v0, s[0:3], 0 offen offset:16
	buffer_load_dword v29, v0, s[0:3], 0 offen offset:20
	;; [unrolled: 1-line block ×4, first 2 shown]
	ds_read2_b64 v[10:13], v5 offset0:2 offset1:3
	s_addk_i32 s18, 0x70
	s_cmpk_lg_i32 s18, 0x400
	s_waitcnt vmcnt(10) lgkmcnt(1)
	v_mul_f64 v[32:33], v[3:4], v[20:21]
	v_mul_f64 v[20:21], v[1:2], v[20:21]
	s_waitcnt vmcnt(8)
	v_fma_f64 v[1:2], v[1:2], v[22:23], -v[32:33]
	v_fma_f64 v[3:4], v[3:4], v[22:23], v[20:21]
	s_waitcnt vmcnt(6)
	v_add_f64 v[1:2], v[24:25], -v[1:2]
	s_waitcnt vmcnt(4)
	v_add_f64 v[3:4], v[26:27], -v[3:4]
	buffer_store_dword v2, v0, s[0:3], 0 offen offset:4
	buffer_store_dword v1, v0, s[0:3], 0 offen
	buffer_store_dword v4, v0, s[0:3], 0 offen offset:12
	buffer_store_dword v3, v0, s[0:3], 0 offen offset:8
	buffer_load_dword v2, off, s[0:3], 0 offset:124
	s_nop 0
	buffer_load_dword v1, off, s[0:3], 0 offset:120
	buffer_load_dword v4, off, s[0:3], 0 offset:116
	;; [unrolled: 1-line block ×3, first 2 shown]
	buffer_load_dword v20, v0, s[0:3], 0 offen offset:32
	buffer_load_dword v21, v0, s[0:3], 0 offen offset:36
	buffer_load_dword v22, v0, s[0:3], 0 offen offset:40
	buffer_load_dword v23, v0, s[0:3], 0 offen offset:44
	s_waitcnt vmcnt(6) lgkmcnt(0)
	v_mul_f64 v[24:25], v[12:13], v[1:2]
	v_mul_f64 v[1:2], v[10:11], v[1:2]
	s_waitcnt vmcnt(4)
	v_fma_f64 v[10:11], v[10:11], v[3:4], -v[24:25]
	v_fma_f64 v[1:2], v[12:13], v[3:4], v[1:2]
	v_add_f64 v[3:4], v[28:29], -v[10:11]
	v_add_f64 v[1:2], v[30:31], -v[1:2]
	buffer_store_dword v4, v0, s[0:3], 0 offen offset:20
	buffer_store_dword v3, v0, s[0:3], 0 offen offset:16
	;; [unrolled: 1-line block ×4, first 2 shown]
	buffer_load_dword v24, off, s[0:3], 0 offset:120
	buffer_load_dword v25, off, s[0:3], 0 offset:124
	;; [unrolled: 1-line block ×4, first 2 shown]
	ds_read2_b64 v[1:4], v5 offset0:4 offset1:5
	ds_read2_b64 v[10:13], v5 offset0:6 offset1:7
	s_waitcnt vmcnt(2) lgkmcnt(1)
	v_mul_f64 v[28:29], v[3:4], v[24:25]
	v_mul_f64 v[24:25], v[1:2], v[24:25]
	s_waitcnt vmcnt(0)
	v_fma_f64 v[1:2], v[1:2], v[26:27], -v[28:29]
	v_fma_f64 v[3:4], v[3:4], v[26:27], v[24:25]
	v_add_f64 v[1:2], v[20:21], -v[1:2]
	v_add_f64 v[3:4], v[22:23], -v[3:4]
	buffer_store_dword v2, v0, s[0:3], 0 offen offset:36
	buffer_store_dword v1, v0, s[0:3], 0 offen offset:32
	;; [unrolled: 1-line block ×4, first 2 shown]
	buffer_load_dword v1, off, s[0:3], 0 offset:120
	s_nop 0
	buffer_load_dword v2, off, s[0:3], 0 offset:124
	buffer_load_dword v3, off, s[0:3], 0 offset:112
	;; [unrolled: 1-line block ×3, first 2 shown]
	buffer_load_dword v20, v0, s[0:3], 0 offen offset:48
	buffer_load_dword v21, v0, s[0:3], 0 offen offset:52
	;; [unrolled: 1-line block ×4, first 2 shown]
	s_waitcnt vmcnt(6) lgkmcnt(0)
	v_mul_f64 v[24:25], v[12:13], v[1:2]
	v_mul_f64 v[1:2], v[10:11], v[1:2]
	s_waitcnt vmcnt(4)
	v_fma_f64 v[10:11], v[10:11], v[3:4], -v[24:25]
	v_fma_f64 v[1:2], v[12:13], v[3:4], v[1:2]
	s_waitcnt vmcnt(2)
	v_add_f64 v[3:4], v[20:21], -v[10:11]
	s_waitcnt vmcnt(0)
	v_add_f64 v[1:2], v[22:23], -v[1:2]
	buffer_store_dword v4, v0, s[0:3], 0 offen offset:52
	buffer_store_dword v3, v0, s[0:3], 0 offen offset:48
	;; [unrolled: 1-line block ×4, first 2 shown]
	buffer_load_dword v20, off, s[0:3], 0 offset:120
	buffer_load_dword v21, off, s[0:3], 0 offset:124
	;; [unrolled: 1-line block ×4, first 2 shown]
	buffer_load_dword v24, v0, s[0:3], 0 offen offset:64
	buffer_load_dword v25, v0, s[0:3], 0 offen offset:68
	;; [unrolled: 1-line block ×4, first 2 shown]
	ds_read2_b64 v[1:4], v5 offset0:8 offset1:9
	ds_read2_b64 v[10:13], v5 offset0:10 offset1:11
	s_waitcnt vmcnt(6) lgkmcnt(1)
	v_mul_f64 v[28:29], v[3:4], v[20:21]
	v_mul_f64 v[20:21], v[1:2], v[20:21]
	s_waitcnt vmcnt(4)
	v_fma_f64 v[1:2], v[1:2], v[22:23], -v[28:29]
	v_fma_f64 v[3:4], v[3:4], v[22:23], v[20:21]
	s_waitcnt vmcnt(2)
	v_add_f64 v[1:2], v[24:25], -v[1:2]
	s_waitcnt vmcnt(0)
	v_add_f64 v[3:4], v[26:27], -v[3:4]
	buffer_store_dword v2, v0, s[0:3], 0 offen offset:68
	buffer_store_dword v1, v0, s[0:3], 0 offen offset:64
	;; [unrolled: 1-line block ×4, first 2 shown]
	buffer_load_dword v1, off, s[0:3], 0 offset:120
	s_nop 0
	buffer_load_dword v2, off, s[0:3], 0 offset:124
	buffer_load_dword v3, off, s[0:3], 0 offset:112
	;; [unrolled: 1-line block ×3, first 2 shown]
	buffer_load_dword v20, v0, s[0:3], 0 offen offset:80
	buffer_load_dword v21, v0, s[0:3], 0 offen offset:84
	buffer_load_dword v22, v0, s[0:3], 0 offen offset:88
	buffer_load_dword v23, v0, s[0:3], 0 offen offset:92
	s_waitcnt vmcnt(6) lgkmcnt(0)
	v_mul_f64 v[24:25], v[12:13], v[1:2]
	v_mul_f64 v[1:2], v[10:11], v[1:2]
	s_waitcnt vmcnt(4)
	v_fma_f64 v[10:11], v[10:11], v[3:4], -v[24:25]
	v_fma_f64 v[1:2], v[12:13], v[3:4], v[1:2]
	s_waitcnt vmcnt(2)
	v_add_f64 v[3:4], v[20:21], -v[10:11]
	s_waitcnt vmcnt(0)
	v_add_f64 v[1:2], v[22:23], -v[1:2]
	buffer_store_dword v4, v0, s[0:3], 0 offen offset:84
	buffer_store_dword v3, v0, s[0:3], 0 offen offset:80
	;; [unrolled: 1-line block ×4, first 2 shown]
	buffer_load_dword v10, off, s[0:3], 0 offset:120
	buffer_load_dword v11, off, s[0:3], 0 offset:124
	;; [unrolled: 1-line block ×4, first 2 shown]
	buffer_load_dword v20, v0, s[0:3], 0 offen offset:96
	buffer_load_dword v21, v0, s[0:3], 0 offen offset:100
	;; [unrolled: 1-line block ×4, first 2 shown]
	ds_read2_b64 v[1:4], v5 offset0:12 offset1:13
	s_waitcnt vmcnt(6) lgkmcnt(0)
	v_mul_f64 v[24:25], v[3:4], v[10:11]
	v_mul_f64 v[10:11], v[1:2], v[10:11]
	s_waitcnt vmcnt(4)
	v_fma_f64 v[1:2], v[1:2], v[12:13], -v[24:25]
	v_fma_f64 v[3:4], v[3:4], v[12:13], v[10:11]
	s_waitcnt vmcnt(2)
	v_add_f64 v[1:2], v[20:21], -v[1:2]
	s_waitcnt vmcnt(0)
	v_add_f64 v[3:4], v[22:23], -v[3:4]
	buffer_store_dword v2, v0, s[0:3], 0 offen offset:100
	buffer_store_dword v1, v0, s[0:3], 0 offen offset:96
	;; [unrolled: 1-line block ×4, first 2 shown]
	s_cbranch_scc1 .LBB126_198
.LBB126_199:
	s_or_b64 exec, exec, s[4:5]
	v_mov_b32_e32 v3, s79
	s_waitcnt vmcnt(0)
	s_barrier
	buffer_load_dword v0, v3, s[0:3], 0 offen
	buffer_load_dword v1, v3, s[0:3], 0 offen offset:4
	buffer_load_dword v2, v3, s[0:3], 0 offen offset:8
	s_nop 0
	buffer_load_dword v3, v3, s[0:3], 0 offen offset:12
	v_lshl_add_u32 v4, v19, 4, v16
	s_cmp_lt_i32 s66, 10
	s_waitcnt vmcnt(0)
	ds_write2_b64 v4, v[0:1], v[2:3] offset1:1
	s_waitcnt lgkmcnt(0)
	s_barrier
	ds_read2_b64 v[0:3], v16 offset0:16 offset1:17
	v_mov_b32_e32 v4, 8
	s_cbranch_scc1 .LBB126_202
; %bb.200:
	v_add_u32_e32 v5, 0x90, v16
	s_mov_b32 s16, 9
	v_mov_b32_e32 v4, 8
.LBB126_201:                            ; =>This Inner Loop Header: Depth=1
	s_waitcnt lgkmcnt(0)
	v_cmp_gt_f64_e32 vcc, 0, v[2:3]
	v_cmp_gt_f64_e64 s[4:5], 0, v[0:1]
	ds_read2_b64 v[10:13], v5 offset1:1
	v_xor_b32_e32 v21, 0x80000000, v1
	v_xor_b32_e32 v23, 0x80000000, v3
	v_mov_b32_e32 v20, v0
	v_mov_b32_e32 v22, v2
	s_waitcnt lgkmcnt(0)
	v_xor_b32_e32 v25, 0x80000000, v13
	v_cndmask_b32_e32 v23, v3, v23, vcc
	v_cndmask_b32_e64 v21, v1, v21, s[4:5]
	v_cmp_gt_f64_e32 vcc, 0, v[12:13]
	v_cmp_gt_f64_e64 s[4:5], 0, v[10:11]
	v_add_f64 v[20:21], v[20:21], v[22:23]
	v_xor_b32_e32 v23, 0x80000000, v11
	v_mov_b32_e32 v22, v10
	v_mov_b32_e32 v24, v12
	v_add_u32_e32 v5, 16, v5
	v_cndmask_b32_e32 v25, v13, v25, vcc
	v_cndmask_b32_e64 v23, v11, v23, s[4:5]
	v_add_f64 v[22:23], v[22:23], v[24:25]
	v_mov_b32_e32 v24, s16
	s_add_i32 s16, s16, 1
	s_cmp_lg_u32 s66, s16
	v_cmp_lt_f64_e32 vcc, v[20:21], v[22:23]
	v_cndmask_b32_e32 v1, v1, v11, vcc
	v_cndmask_b32_e32 v0, v0, v10, vcc
	;; [unrolled: 1-line block ×5, first 2 shown]
	s_cbranch_scc1 .LBB126_201
.LBB126_202:
	s_waitcnt lgkmcnt(0)
	v_cmp_eq_f64_e32 vcc, 0, v[0:1]
	v_cmp_eq_f64_e64 s[4:5], 0, v[2:3]
	s_and_b64 s[4:5], vcc, s[4:5]
	s_and_saveexec_b64 s[16:17], s[4:5]
	s_xor_b64 s[4:5], exec, s[16:17]
; %bb.203:
	v_cmp_ne_u32_e32 vcc, 0, v17
	v_cndmask_b32_e32 v17, 9, v17, vcc
; %bb.204:
	s_andn2_saveexec_b64 s[4:5], s[4:5]
	s_cbranch_execz .LBB126_210
; %bb.205:
	v_cmp_ngt_f64_e64 s[16:17], |v[0:1]|, |v[2:3]|
	s_and_saveexec_b64 s[18:19], s[16:17]
	s_xor_b64 s[18:19], exec, s[18:19]
	s_cbranch_execz .LBB126_207
; %bb.206:
	v_div_scale_f64 v[10:11], s[16:17], v[2:3], v[2:3], v[0:1]
	v_rcp_f64_e32 v[12:13], v[10:11]
	v_fma_f64 v[20:21], -v[10:11], v[12:13], 1.0
	v_fma_f64 v[12:13], v[12:13], v[20:21], v[12:13]
	v_div_scale_f64 v[20:21], vcc, v[0:1], v[2:3], v[0:1]
	v_fma_f64 v[22:23], -v[10:11], v[12:13], 1.0
	v_fma_f64 v[12:13], v[12:13], v[22:23], v[12:13]
	v_mul_f64 v[22:23], v[20:21], v[12:13]
	v_fma_f64 v[10:11], -v[10:11], v[22:23], v[20:21]
	v_div_fmas_f64 v[10:11], v[10:11], v[12:13], v[22:23]
	v_div_fixup_f64 v[10:11], v[10:11], v[2:3], v[0:1]
	v_fma_f64 v[0:1], v[0:1], v[10:11], v[2:3]
	v_div_scale_f64 v[2:3], s[16:17], v[0:1], v[0:1], 1.0
	v_div_scale_f64 v[22:23], vcc, 1.0, v[0:1], 1.0
	v_rcp_f64_e32 v[12:13], v[2:3]
	v_fma_f64 v[20:21], -v[2:3], v[12:13], 1.0
	v_fma_f64 v[12:13], v[12:13], v[20:21], v[12:13]
	v_fma_f64 v[20:21], -v[2:3], v[12:13], 1.0
	v_fma_f64 v[12:13], v[12:13], v[20:21], v[12:13]
	v_mul_f64 v[20:21], v[22:23], v[12:13]
	v_fma_f64 v[2:3], -v[2:3], v[20:21], v[22:23]
	v_div_fmas_f64 v[2:3], v[2:3], v[12:13], v[20:21]
	v_div_fixup_f64 v[2:3], v[2:3], v[0:1], 1.0
	v_mul_f64 v[0:1], v[10:11], v[2:3]
	v_xor_b32_e32 v3, 0x80000000, v3
.LBB126_207:
	s_andn2_saveexec_b64 s[18:19], s[18:19]
	s_cbranch_execz .LBB126_209
; %bb.208:
	v_div_scale_f64 v[10:11], s[16:17], v[0:1], v[0:1], v[2:3]
	v_rcp_f64_e32 v[12:13], v[10:11]
	v_fma_f64 v[20:21], -v[10:11], v[12:13], 1.0
	v_fma_f64 v[12:13], v[12:13], v[20:21], v[12:13]
	v_div_scale_f64 v[20:21], vcc, v[2:3], v[0:1], v[2:3]
	v_fma_f64 v[22:23], -v[10:11], v[12:13], 1.0
	v_fma_f64 v[12:13], v[12:13], v[22:23], v[12:13]
	v_mul_f64 v[22:23], v[20:21], v[12:13]
	v_fma_f64 v[10:11], -v[10:11], v[22:23], v[20:21]
	v_div_fmas_f64 v[10:11], v[10:11], v[12:13], v[22:23]
	v_div_fixup_f64 v[10:11], v[10:11], v[0:1], v[2:3]
	v_fma_f64 v[0:1], v[2:3], v[10:11], v[0:1]
	v_div_scale_f64 v[2:3], s[16:17], v[0:1], v[0:1], 1.0
	v_div_scale_f64 v[22:23], vcc, 1.0, v[0:1], 1.0
	v_rcp_f64_e32 v[12:13], v[2:3]
	v_fma_f64 v[20:21], -v[2:3], v[12:13], 1.0
	v_fma_f64 v[12:13], v[12:13], v[20:21], v[12:13]
	v_fma_f64 v[20:21], -v[2:3], v[12:13], 1.0
	v_fma_f64 v[12:13], v[12:13], v[20:21], v[12:13]
	v_mul_f64 v[20:21], v[22:23], v[12:13]
	v_fma_f64 v[2:3], -v[2:3], v[20:21], v[22:23]
	v_div_fmas_f64 v[2:3], v[2:3], v[12:13], v[20:21]
	v_div_fixup_f64 v[0:1], v[2:3], v[0:1], 1.0
	v_mul_f64 v[2:3], v[10:11], -v[0:1]
.LBB126_209:
	s_or_b64 exec, exec, s[18:19]
.LBB126_210:
	s_or_b64 exec, exec, s[4:5]
	v_cmp_ne_u32_e32 vcc, v19, v4
	s_and_saveexec_b64 s[4:5], vcc
	s_xor_b64 s[4:5], exec, s[4:5]
	s_cbranch_execz .LBB126_216
; %bb.211:
	v_cmp_eq_u32_e32 vcc, 8, v19
	s_and_saveexec_b64 s[18:19], vcc
	s_cbranch_execz .LBB126_215
; %bb.212:
	v_cmp_ne_u32_e32 vcc, 8, v4
	s_xor_b64 s[16:17], s[10:11], -1
	s_and_b64 s[16:17], s[16:17], vcc
	s_and_saveexec_b64 s[24:25], s[16:17]
	s_cbranch_execz .LBB126_214
; %bb.213:
	v_ashrrev_i32_e32 v5, 31, v4
	v_lshlrev_b64 v[10:11], 2, v[4:5]
	v_add_co_u32_e32 v10, vcc, v8, v10
	v_addc_co_u32_e32 v11, vcc, v9, v11, vcc
	global_load_dword v5, v[10:11], off
	global_load_dword v12, v[8:9], off offset:32
	s_waitcnt vmcnt(1)
	global_store_dword v[8:9], v5, off offset:32
	s_waitcnt vmcnt(1)
	global_store_dword v[10:11], v12, off
.LBB126_214:
	s_or_b64 exec, exec, s[24:25]
	v_mov_b32_e32 v19, v4
	v_mov_b32_e32 v18, v4
.LBB126_215:
	s_or_b64 exec, exec, s[18:19]
.LBB126_216:
	s_andn2_saveexec_b64 s[4:5], s[4:5]
	s_cbranch_execz .LBB126_220
; %bb.217:
	s_movk_i32 s16, 0x90
.LBB126_218:                            ; =>This Inner Loop Header: Depth=1
	v_mov_b32_e32 v56, s16
	buffer_load_dword v4, v56, s[0:3], 0 offen
	buffer_load_dword v5, v56, s[0:3], 0 offen offset:4
	buffer_load_dword v10, v56, s[0:3], 0 offen offset:8
	;; [unrolled: 1-line block ×42, first 2 shown]
	s_nop 0
	buffer_load_dword v56, v56, s[0:3], 0 offen offset:172
	v_add_u32_e32 v57, s16, v16
	s_addk_i32 s16, 0xb0
	s_cmpk_eq_i32 s16, 0x400
	s_waitcnt vmcnt(40)
	ds_write2_b64 v57, v[4:5], v[10:11] offset1:1
	s_waitcnt vmcnt(36)
	ds_write2_b64 v57, v[12:13], v[19:20] offset0:2 offset1:3
	s_waitcnt vmcnt(32)
	ds_write2_b64 v57, v[21:22], v[23:24] offset0:4 offset1:5
	;; [unrolled: 2-line block ×4, first 2 shown]
	ds_write2_b64 v57, v[33:34], v[31:32] offset0:10 offset1:11
	s_waitcnt vmcnt(12)
	ds_write2_b64 v57, v[43:44], v[37:38] offset0:12 offset1:13
	ds_write2_b64 v57, v[41:42], v[39:40] offset0:14 offset1:15
	s_waitcnt vmcnt(8)
	ds_write2_b64 v57, v[45:46], v[47:48] offset0:16 offset1:17
	s_waitcnt vmcnt(4)
	ds_write2_b64 v57, v[49:50], v[51:52] offset0:18 offset1:19
	s_waitcnt vmcnt(0)
	ds_write2_b64 v57, v[53:54], v[55:56] offset0:20 offset1:21
	s_cbranch_scc0 .LBB126_218
; %bb.219:
	v_mov_b32_e32 v19, 8
.LBB126_220:
	s_or_b64 exec, exec, s[4:5]
	v_cmp_lt_i32_e32 vcc, 8, v19
	s_waitcnt vmcnt(0) lgkmcnt(0)
	s_barrier
	s_and_saveexec_b64 s[4:5], vcc
	s_cbranch_execz .LBB126_223
; %bb.221:
	buffer_load_dword v4, off, s[0:3], 0 offset:136
	buffer_load_dword v5, off, s[0:3], 0 offset:140
	;; [unrolled: 1-line block ×4, first 2 shown]
	s_movk_i32 s18, 0x90
	s_waitcnt vmcnt(2)
	v_mul_f64 v[12:13], v[2:3], v[4:5]
	v_mul_f64 v[4:5], v[0:1], v[4:5]
	s_waitcnt vmcnt(0)
	v_fma_f64 v[0:1], v[0:1], v[10:11], -v[12:13]
	v_fma_f64 v[2:3], v[2:3], v[10:11], v[4:5]
	buffer_store_dword v0, off, s[0:3], 0 offset:128
	buffer_store_dword v1, off, s[0:3], 0 offset:132
	;; [unrolled: 1-line block ×4, first 2 shown]
.LBB126_222:                            ; =>This Inner Loop Header: Depth=1
	buffer_load_dword v4, off, s[0:3], 0 offset:136
	buffer_load_dword v5, off, s[0:3], 0 offset:140
	;; [unrolled: 1-line block ×4, first 2 shown]
	v_mov_b32_e32 v32, s18
	buffer_load_dword v22, v32, s[0:3], 0 offen
	buffer_load_dword v23, v32, s[0:3], 0 offen offset:4
	buffer_load_dword v24, v32, s[0:3], 0 offen offset:8
	;; [unrolled: 1-line block ×3, first 2 shown]
	v_add_u32_e32 v33, s18, v16
	ds_read2_b64 v[0:3], v33 offset1:1
	buffer_load_dword v26, v32, s[0:3], 0 offen offset:16
	buffer_load_dword v27, v32, s[0:3], 0 offen offset:20
	;; [unrolled: 1-line block ×4, first 2 shown]
	ds_read2_b64 v[10:13], v33 offset0:2 offset1:3
	s_addk_i32 s18, 0x50
	s_cmpk_lg_i32 s18, 0x400
	s_waitcnt vmcnt(10) lgkmcnt(1)
	v_mul_f64 v[30:31], v[2:3], v[4:5]
	v_mul_f64 v[4:5], v[0:1], v[4:5]
	s_waitcnt vmcnt(8)
	v_fma_f64 v[0:1], v[0:1], v[20:21], -v[30:31]
	v_fma_f64 v[2:3], v[2:3], v[20:21], v[4:5]
	s_waitcnt vmcnt(6)
	v_add_f64 v[0:1], v[22:23], -v[0:1]
	s_waitcnt vmcnt(4)
	v_add_f64 v[2:3], v[24:25], -v[2:3]
	buffer_store_dword v1, v32, s[0:3], 0 offen offset:4
	buffer_store_dword v0, v32, s[0:3], 0 offen
	buffer_store_dword v3, v32, s[0:3], 0 offen offset:12
	buffer_store_dword v2, v32, s[0:3], 0 offen offset:8
	buffer_load_dword v1, off, s[0:3], 0 offset:140
	s_nop 0
	buffer_load_dword v0, off, s[0:3], 0 offset:136
	buffer_load_dword v3, off, s[0:3], 0 offset:132
	;; [unrolled: 1-line block ×3, first 2 shown]
	buffer_load_dword v4, v32, s[0:3], 0 offen offset:32
	buffer_load_dword v5, v32, s[0:3], 0 offen offset:36
	;; [unrolled: 1-line block ×4, first 2 shown]
	s_waitcnt vmcnt(6) lgkmcnt(0)
	v_mul_f64 v[22:23], v[12:13], v[0:1]
	v_mul_f64 v[0:1], v[10:11], v[0:1]
	s_waitcnt vmcnt(4)
	v_fma_f64 v[10:11], v[10:11], v[2:3], -v[22:23]
	v_fma_f64 v[0:1], v[12:13], v[2:3], v[0:1]
	v_add_f64 v[2:3], v[26:27], -v[10:11]
	v_add_f64 v[0:1], v[28:29], -v[0:1]
	buffer_store_dword v3, v32, s[0:3], 0 offen offset:20
	buffer_store_dword v2, v32, s[0:3], 0 offen offset:16
	;; [unrolled: 1-line block ×4, first 2 shown]
	buffer_load_dword v22, off, s[0:3], 0 offset:136
	buffer_load_dword v23, off, s[0:3], 0 offset:140
	;; [unrolled: 1-line block ×4, first 2 shown]
	ds_read2_b64 v[0:3], v33 offset0:4 offset1:5
	ds_read2_b64 v[10:13], v33 offset0:6 offset1:7
	s_waitcnt vmcnt(2) lgkmcnt(1)
	v_mul_f64 v[26:27], v[2:3], v[22:23]
	v_mul_f64 v[22:23], v[0:1], v[22:23]
	s_waitcnt vmcnt(0)
	v_fma_f64 v[0:1], v[0:1], v[24:25], -v[26:27]
	v_fma_f64 v[2:3], v[2:3], v[24:25], v[22:23]
	v_add_f64 v[0:1], v[4:5], -v[0:1]
	v_add_f64 v[2:3], v[20:21], -v[2:3]
	buffer_store_dword v1, v32, s[0:3], 0 offen offset:36
	buffer_store_dword v0, v32, s[0:3], 0 offen offset:32
	buffer_store_dword v3, v32, s[0:3], 0 offen offset:44
	buffer_store_dword v2, v32, s[0:3], 0 offen offset:40
	buffer_load_dword v0, off, s[0:3], 0 offset:136
	s_nop 0
	buffer_load_dword v1, off, s[0:3], 0 offset:140
	buffer_load_dword v2, off, s[0:3], 0 offset:128
	;; [unrolled: 1-line block ×3, first 2 shown]
	buffer_load_dword v4, v32, s[0:3], 0 offen offset:48
	buffer_load_dword v5, v32, s[0:3], 0 offen offset:52
	;; [unrolled: 1-line block ×4, first 2 shown]
	s_waitcnt vmcnt(6) lgkmcnt(0)
	v_mul_f64 v[22:23], v[12:13], v[0:1]
	v_mul_f64 v[0:1], v[10:11], v[0:1]
	s_waitcnt vmcnt(4)
	v_fma_f64 v[10:11], v[10:11], v[2:3], -v[22:23]
	v_fma_f64 v[0:1], v[12:13], v[2:3], v[0:1]
	s_waitcnt vmcnt(2)
	v_add_f64 v[2:3], v[4:5], -v[10:11]
	s_waitcnt vmcnt(0)
	v_add_f64 v[0:1], v[20:21], -v[0:1]
	buffer_store_dword v3, v32, s[0:3], 0 offen offset:52
	buffer_store_dword v2, v32, s[0:3], 0 offen offset:48
	;; [unrolled: 1-line block ×4, first 2 shown]
	buffer_load_dword v4, off, s[0:3], 0 offset:136
	buffer_load_dword v5, off, s[0:3], 0 offset:140
	;; [unrolled: 1-line block ×4, first 2 shown]
	buffer_load_dword v12, v32, s[0:3], 0 offen offset:64
	buffer_load_dword v13, v32, s[0:3], 0 offen offset:68
	;; [unrolled: 1-line block ×4, first 2 shown]
	ds_read2_b64 v[0:3], v33 offset0:8 offset1:9
	s_waitcnt vmcnt(6) lgkmcnt(0)
	v_mul_f64 v[22:23], v[2:3], v[4:5]
	v_mul_f64 v[4:5], v[0:1], v[4:5]
	s_waitcnt vmcnt(4)
	v_fma_f64 v[0:1], v[0:1], v[10:11], -v[22:23]
	v_fma_f64 v[2:3], v[2:3], v[10:11], v[4:5]
	s_waitcnt vmcnt(2)
	v_add_f64 v[0:1], v[12:13], -v[0:1]
	s_waitcnt vmcnt(0)
	v_add_f64 v[2:3], v[20:21], -v[2:3]
	buffer_store_dword v1, v32, s[0:3], 0 offen offset:68
	buffer_store_dword v0, v32, s[0:3], 0 offen offset:64
	buffer_store_dword v3, v32, s[0:3], 0 offen offset:76
	buffer_store_dword v2, v32, s[0:3], 0 offen offset:72
	s_cbranch_scc1 .LBB126_222
.LBB126_223:
	s_or_b64 exec, exec, s[4:5]
	v_mov_b32_e32 v3, s78
	s_waitcnt vmcnt(0)
	s_barrier
	buffer_load_dword v0, v3, s[0:3], 0 offen
	buffer_load_dword v1, v3, s[0:3], 0 offen offset:4
	buffer_load_dword v2, v3, s[0:3], 0 offen offset:8
	s_nop 0
	buffer_load_dword v3, v3, s[0:3], 0 offen offset:12
	v_lshl_add_u32 v4, v19, 4, v16
	s_cmp_lt_i32 s66, 11
	s_waitcnt vmcnt(0)
	ds_write2_b64 v4, v[0:1], v[2:3] offset1:1
	s_waitcnt lgkmcnt(0)
	s_barrier
	ds_read2_b64 v[0:3], v16 offset0:18 offset1:19
	v_mov_b32_e32 v4, 9
	s_cbranch_scc1 .LBB126_226
; %bb.224:
	v_add_u32_e32 v5, 0xa0, v16
	s_mov_b32 s16, 10
	v_mov_b32_e32 v4, 9
.LBB126_225:                            ; =>This Inner Loop Header: Depth=1
	s_waitcnt lgkmcnt(0)
	v_cmp_gt_f64_e32 vcc, 0, v[2:3]
	v_cmp_gt_f64_e64 s[4:5], 0, v[0:1]
	ds_read2_b64 v[10:13], v5 offset1:1
	v_xor_b32_e32 v21, 0x80000000, v1
	v_xor_b32_e32 v23, 0x80000000, v3
	v_mov_b32_e32 v20, v0
	v_mov_b32_e32 v22, v2
	s_waitcnt lgkmcnt(0)
	v_xor_b32_e32 v25, 0x80000000, v13
	v_cndmask_b32_e32 v23, v3, v23, vcc
	v_cndmask_b32_e64 v21, v1, v21, s[4:5]
	v_cmp_gt_f64_e32 vcc, 0, v[12:13]
	v_cmp_gt_f64_e64 s[4:5], 0, v[10:11]
	v_add_f64 v[20:21], v[20:21], v[22:23]
	v_xor_b32_e32 v23, 0x80000000, v11
	v_mov_b32_e32 v22, v10
	v_mov_b32_e32 v24, v12
	v_add_u32_e32 v5, 16, v5
	v_cndmask_b32_e32 v25, v13, v25, vcc
	v_cndmask_b32_e64 v23, v11, v23, s[4:5]
	v_add_f64 v[22:23], v[22:23], v[24:25]
	v_mov_b32_e32 v24, s16
	s_add_i32 s16, s16, 1
	s_cmp_lg_u32 s66, s16
	v_cmp_lt_f64_e32 vcc, v[20:21], v[22:23]
	v_cndmask_b32_e32 v1, v1, v11, vcc
	v_cndmask_b32_e32 v0, v0, v10, vcc
	;; [unrolled: 1-line block ×5, first 2 shown]
	s_cbranch_scc1 .LBB126_225
.LBB126_226:
	s_waitcnt lgkmcnt(0)
	v_cmp_eq_f64_e32 vcc, 0, v[0:1]
	v_cmp_eq_f64_e64 s[4:5], 0, v[2:3]
	s_and_b64 s[4:5], vcc, s[4:5]
	s_and_saveexec_b64 s[16:17], s[4:5]
	s_xor_b64 s[4:5], exec, s[16:17]
; %bb.227:
	v_cmp_ne_u32_e32 vcc, 0, v17
	v_cndmask_b32_e32 v17, 10, v17, vcc
; %bb.228:
	s_andn2_saveexec_b64 s[4:5], s[4:5]
	s_cbranch_execz .LBB126_234
; %bb.229:
	v_cmp_ngt_f64_e64 s[16:17], |v[0:1]|, |v[2:3]|
	s_and_saveexec_b64 s[18:19], s[16:17]
	s_xor_b64 s[18:19], exec, s[18:19]
	s_cbranch_execz .LBB126_231
; %bb.230:
	v_div_scale_f64 v[10:11], s[16:17], v[2:3], v[2:3], v[0:1]
	v_rcp_f64_e32 v[12:13], v[10:11]
	v_fma_f64 v[20:21], -v[10:11], v[12:13], 1.0
	v_fma_f64 v[12:13], v[12:13], v[20:21], v[12:13]
	v_div_scale_f64 v[20:21], vcc, v[0:1], v[2:3], v[0:1]
	v_fma_f64 v[22:23], -v[10:11], v[12:13], 1.0
	v_fma_f64 v[12:13], v[12:13], v[22:23], v[12:13]
	v_mul_f64 v[22:23], v[20:21], v[12:13]
	v_fma_f64 v[10:11], -v[10:11], v[22:23], v[20:21]
	v_div_fmas_f64 v[10:11], v[10:11], v[12:13], v[22:23]
	v_div_fixup_f64 v[10:11], v[10:11], v[2:3], v[0:1]
	v_fma_f64 v[0:1], v[0:1], v[10:11], v[2:3]
	v_div_scale_f64 v[2:3], s[16:17], v[0:1], v[0:1], 1.0
	v_div_scale_f64 v[22:23], vcc, 1.0, v[0:1], 1.0
	v_rcp_f64_e32 v[12:13], v[2:3]
	v_fma_f64 v[20:21], -v[2:3], v[12:13], 1.0
	v_fma_f64 v[12:13], v[12:13], v[20:21], v[12:13]
	v_fma_f64 v[20:21], -v[2:3], v[12:13], 1.0
	v_fma_f64 v[12:13], v[12:13], v[20:21], v[12:13]
	v_mul_f64 v[20:21], v[22:23], v[12:13]
	v_fma_f64 v[2:3], -v[2:3], v[20:21], v[22:23]
	v_div_fmas_f64 v[2:3], v[2:3], v[12:13], v[20:21]
	v_div_fixup_f64 v[2:3], v[2:3], v[0:1], 1.0
	v_mul_f64 v[0:1], v[10:11], v[2:3]
	v_xor_b32_e32 v3, 0x80000000, v3
.LBB126_231:
	s_andn2_saveexec_b64 s[18:19], s[18:19]
	s_cbranch_execz .LBB126_233
; %bb.232:
	v_div_scale_f64 v[10:11], s[16:17], v[0:1], v[0:1], v[2:3]
	v_rcp_f64_e32 v[12:13], v[10:11]
	v_fma_f64 v[20:21], -v[10:11], v[12:13], 1.0
	v_fma_f64 v[12:13], v[12:13], v[20:21], v[12:13]
	v_div_scale_f64 v[20:21], vcc, v[2:3], v[0:1], v[2:3]
	v_fma_f64 v[22:23], -v[10:11], v[12:13], 1.0
	v_fma_f64 v[12:13], v[12:13], v[22:23], v[12:13]
	v_mul_f64 v[22:23], v[20:21], v[12:13]
	v_fma_f64 v[10:11], -v[10:11], v[22:23], v[20:21]
	v_div_fmas_f64 v[10:11], v[10:11], v[12:13], v[22:23]
	v_div_fixup_f64 v[10:11], v[10:11], v[0:1], v[2:3]
	v_fma_f64 v[0:1], v[2:3], v[10:11], v[0:1]
	v_div_scale_f64 v[2:3], s[16:17], v[0:1], v[0:1], 1.0
	v_div_scale_f64 v[22:23], vcc, 1.0, v[0:1], 1.0
	v_rcp_f64_e32 v[12:13], v[2:3]
	v_fma_f64 v[20:21], -v[2:3], v[12:13], 1.0
	v_fma_f64 v[12:13], v[12:13], v[20:21], v[12:13]
	v_fma_f64 v[20:21], -v[2:3], v[12:13], 1.0
	v_fma_f64 v[12:13], v[12:13], v[20:21], v[12:13]
	v_mul_f64 v[20:21], v[22:23], v[12:13]
	v_fma_f64 v[2:3], -v[2:3], v[20:21], v[22:23]
	v_div_fmas_f64 v[2:3], v[2:3], v[12:13], v[20:21]
	v_div_fixup_f64 v[0:1], v[2:3], v[0:1], 1.0
	v_mul_f64 v[2:3], v[10:11], -v[0:1]
.LBB126_233:
	s_or_b64 exec, exec, s[18:19]
.LBB126_234:
	s_or_b64 exec, exec, s[4:5]
	v_cmp_ne_u32_e32 vcc, v19, v4
	s_and_saveexec_b64 s[4:5], vcc
	s_xor_b64 s[4:5], exec, s[4:5]
	s_cbranch_execz .LBB126_240
; %bb.235:
	v_cmp_eq_u32_e32 vcc, 9, v19
	s_and_saveexec_b64 s[18:19], vcc
	s_cbranch_execz .LBB126_239
; %bb.236:
	v_cmp_ne_u32_e32 vcc, 9, v4
	s_xor_b64 s[16:17], s[10:11], -1
	s_and_b64 s[16:17], s[16:17], vcc
	s_and_saveexec_b64 s[24:25], s[16:17]
	s_cbranch_execz .LBB126_238
; %bb.237:
	v_ashrrev_i32_e32 v5, 31, v4
	v_lshlrev_b64 v[10:11], 2, v[4:5]
	v_add_co_u32_e32 v10, vcc, v8, v10
	v_addc_co_u32_e32 v11, vcc, v9, v11, vcc
	global_load_dword v5, v[10:11], off
	global_load_dword v12, v[8:9], off offset:36
	s_waitcnt vmcnt(1)
	global_store_dword v[8:9], v5, off offset:36
	s_waitcnt vmcnt(1)
	global_store_dword v[10:11], v12, off
.LBB126_238:
	s_or_b64 exec, exec, s[24:25]
	v_mov_b32_e32 v19, v4
	v_mov_b32_e32 v18, v4
.LBB126_239:
	s_or_b64 exec, exec, s[18:19]
.LBB126_240:
	s_andn2_saveexec_b64 s[4:5], s[4:5]
	s_cbranch_execz .LBB126_244
; %bb.241:
	s_movk_i32 s18, 0xa0
.LBB126_242:                            ; =>This Inner Loop Header: Depth=1
	v_mov_b32_e32 v29, s18
	buffer_load_dword v4, v29, s[0:3], 0 offen
	buffer_load_dword v5, v29, s[0:3], 0 offen offset:4
	buffer_load_dword v10, v29, s[0:3], 0 offen offset:8
	;; [unrolled: 1-line block ×15, first 2 shown]
	v_add_u32_e32 v30, s18, v16
	s_addk_i32 s18, 0x120
	s_cmpk_eq_i32 s18, 0x400
	s_waitcnt vmcnt(12)
	ds_write2_b64 v30, v[4:5], v[10:11] offset1:1
	s_waitcnt vmcnt(8)
	ds_write2_b64 v30, v[12:13], v[19:20] offset0:2 offset1:3
	s_waitcnt vmcnt(4)
	ds_write2_b64 v30, v[21:22], v[23:24] offset0:4 offset1:5
	;; [unrolled: 2-line block ×3, first 2 shown]
	buffer_load_dword v5, v29, s[0:3], 0 offen offset:76
	buffer_load_dword v4, v29, s[0:3], 0 offen offset:72
	buffer_load_dword v11, v29, s[0:3], 0 offen offset:68
	buffer_load_dword v10, v29, s[0:3], 0 offen offset:64
	s_waitcnt vmcnt(0)
	ds_write2_b64 v30, v[10:11], v[4:5] offset0:8 offset1:9
	buffer_load_dword v5, v29, s[0:3], 0 offen offset:92
	buffer_load_dword v4, v29, s[0:3], 0 offen offset:88
	buffer_load_dword v11, v29, s[0:3], 0 offen offset:84
	buffer_load_dword v10, v29, s[0:3], 0 offen offset:80
	s_waitcnt vmcnt(0)
	ds_write2_b64 v30, v[10:11], v[4:5] offset0:10 offset1:11
	;; [unrolled: 6-line block ×14, first 2 shown]
	s_cbranch_scc0 .LBB126_242
; %bb.243:
	v_mov_b32_e32 v19, 9
.LBB126_244:
	s_or_b64 exec, exec, s[4:5]
	v_cmp_lt_i32_e32 vcc, 9, v19
	s_waitcnt vmcnt(0) lgkmcnt(0)
	s_barrier
	s_and_saveexec_b64 s[4:5], vcc
	s_cbranch_execz .LBB126_247
; %bb.245:
	buffer_load_dword v4, off, s[0:3], 0 offset:152
	buffer_load_dword v5, off, s[0:3], 0 offset:156
	buffer_load_dword v10, off, s[0:3], 0 offset:144
	buffer_load_dword v11, off, s[0:3], 0 offset:148
	s_movk_i32 s18, 0xa0
	s_waitcnt vmcnt(2)
	v_mul_f64 v[12:13], v[2:3], v[4:5]
	v_mul_f64 v[4:5], v[0:1], v[4:5]
	s_waitcnt vmcnt(0)
	v_fma_f64 v[0:1], v[0:1], v[10:11], -v[12:13]
	v_fma_f64 v[2:3], v[2:3], v[10:11], v[4:5]
	buffer_store_dword v0, off, s[0:3], 0 offset:144
	buffer_store_dword v1, off, s[0:3], 0 offset:148
	;; [unrolled: 1-line block ×4, first 2 shown]
.LBB126_246:                            ; =>This Inner Loop Header: Depth=1
	buffer_load_dword v4, off, s[0:3], 0 offset:152
	buffer_load_dword v5, off, s[0:3], 0 offset:156
	;; [unrolled: 1-line block ×4, first 2 shown]
	v_mov_b32_e32 v32, s18
	buffer_load_dword v22, v32, s[0:3], 0 offen
	buffer_load_dword v23, v32, s[0:3], 0 offen offset:4
	buffer_load_dword v24, v32, s[0:3], 0 offen offset:8
	;; [unrolled: 1-line block ×3, first 2 shown]
	v_add_u32_e32 v33, s18, v16
	ds_read2_b64 v[0:3], v33 offset1:1
	buffer_load_dword v26, v32, s[0:3], 0 offen offset:16
	buffer_load_dword v27, v32, s[0:3], 0 offen offset:20
	;; [unrolled: 1-line block ×4, first 2 shown]
	ds_read2_b64 v[10:13], v33 offset0:2 offset1:3
	s_addk_i32 s18, 0x60
	s_cmpk_lg_i32 s18, 0x400
	s_waitcnt vmcnt(10) lgkmcnt(1)
	v_mul_f64 v[30:31], v[2:3], v[4:5]
	v_mul_f64 v[4:5], v[0:1], v[4:5]
	s_waitcnt vmcnt(8)
	v_fma_f64 v[0:1], v[0:1], v[20:21], -v[30:31]
	v_fma_f64 v[2:3], v[2:3], v[20:21], v[4:5]
	s_waitcnt vmcnt(6)
	v_add_f64 v[0:1], v[22:23], -v[0:1]
	s_waitcnt vmcnt(4)
	v_add_f64 v[2:3], v[24:25], -v[2:3]
	buffer_store_dword v1, v32, s[0:3], 0 offen offset:4
	buffer_store_dword v0, v32, s[0:3], 0 offen
	buffer_store_dword v3, v32, s[0:3], 0 offen offset:12
	buffer_store_dword v2, v32, s[0:3], 0 offen offset:8
	buffer_load_dword v1, off, s[0:3], 0 offset:156
	s_nop 0
	buffer_load_dword v0, off, s[0:3], 0 offset:152
	buffer_load_dword v3, off, s[0:3], 0 offset:148
	;; [unrolled: 1-line block ×3, first 2 shown]
	buffer_load_dword v4, v32, s[0:3], 0 offen offset:32
	buffer_load_dword v5, v32, s[0:3], 0 offen offset:36
	;; [unrolled: 1-line block ×4, first 2 shown]
	s_waitcnt vmcnt(6) lgkmcnt(0)
	v_mul_f64 v[22:23], v[12:13], v[0:1]
	v_mul_f64 v[0:1], v[10:11], v[0:1]
	s_waitcnt vmcnt(4)
	v_fma_f64 v[10:11], v[10:11], v[2:3], -v[22:23]
	v_fma_f64 v[0:1], v[12:13], v[2:3], v[0:1]
	v_add_f64 v[2:3], v[26:27], -v[10:11]
	v_add_f64 v[0:1], v[28:29], -v[0:1]
	buffer_store_dword v3, v32, s[0:3], 0 offen offset:20
	buffer_store_dword v2, v32, s[0:3], 0 offen offset:16
	;; [unrolled: 1-line block ×4, first 2 shown]
	buffer_load_dword v22, off, s[0:3], 0 offset:152
	buffer_load_dword v23, off, s[0:3], 0 offset:156
	;; [unrolled: 1-line block ×4, first 2 shown]
	ds_read2_b64 v[0:3], v33 offset0:4 offset1:5
	ds_read2_b64 v[10:13], v33 offset0:6 offset1:7
	s_waitcnt vmcnt(2) lgkmcnt(1)
	v_mul_f64 v[26:27], v[2:3], v[22:23]
	v_mul_f64 v[22:23], v[0:1], v[22:23]
	s_waitcnt vmcnt(0)
	v_fma_f64 v[0:1], v[0:1], v[24:25], -v[26:27]
	v_fma_f64 v[2:3], v[2:3], v[24:25], v[22:23]
	v_add_f64 v[0:1], v[4:5], -v[0:1]
	v_add_f64 v[2:3], v[20:21], -v[2:3]
	buffer_store_dword v1, v32, s[0:3], 0 offen offset:36
	buffer_store_dword v0, v32, s[0:3], 0 offen offset:32
	;; [unrolled: 1-line block ×4, first 2 shown]
	buffer_load_dword v0, off, s[0:3], 0 offset:152
	s_nop 0
	buffer_load_dword v1, off, s[0:3], 0 offset:156
	buffer_load_dword v2, off, s[0:3], 0 offset:144
	;; [unrolled: 1-line block ×3, first 2 shown]
	buffer_load_dword v4, v32, s[0:3], 0 offen offset:48
	buffer_load_dword v5, v32, s[0:3], 0 offen offset:52
	;; [unrolled: 1-line block ×4, first 2 shown]
	s_waitcnt vmcnt(6) lgkmcnt(0)
	v_mul_f64 v[22:23], v[12:13], v[0:1]
	v_mul_f64 v[0:1], v[10:11], v[0:1]
	s_waitcnt vmcnt(4)
	v_fma_f64 v[10:11], v[10:11], v[2:3], -v[22:23]
	v_fma_f64 v[0:1], v[12:13], v[2:3], v[0:1]
	s_waitcnt vmcnt(2)
	v_add_f64 v[2:3], v[4:5], -v[10:11]
	s_waitcnt vmcnt(0)
	v_add_f64 v[0:1], v[20:21], -v[0:1]
	buffer_store_dword v3, v32, s[0:3], 0 offen offset:52
	buffer_store_dword v2, v32, s[0:3], 0 offen offset:48
	;; [unrolled: 1-line block ×4, first 2 shown]
	buffer_load_dword v4, off, s[0:3], 0 offset:152
	buffer_load_dword v5, off, s[0:3], 0 offset:156
	;; [unrolled: 1-line block ×4, first 2 shown]
	buffer_load_dword v22, v32, s[0:3], 0 offen offset:64
	buffer_load_dword v23, v32, s[0:3], 0 offen offset:68
	;; [unrolled: 1-line block ×4, first 2 shown]
	ds_read2_b64 v[0:3], v33 offset0:8 offset1:9
	ds_read2_b64 v[10:13], v33 offset0:10 offset1:11
	s_waitcnt vmcnt(6) lgkmcnt(1)
	v_mul_f64 v[26:27], v[2:3], v[4:5]
	v_mul_f64 v[4:5], v[0:1], v[4:5]
	s_waitcnt vmcnt(4)
	v_fma_f64 v[0:1], v[0:1], v[20:21], -v[26:27]
	v_fma_f64 v[2:3], v[2:3], v[20:21], v[4:5]
	s_waitcnt vmcnt(2)
	v_add_f64 v[0:1], v[22:23], -v[0:1]
	s_waitcnt vmcnt(0)
	v_add_f64 v[2:3], v[24:25], -v[2:3]
	buffer_store_dword v1, v32, s[0:3], 0 offen offset:68
	buffer_store_dword v0, v32, s[0:3], 0 offen offset:64
	buffer_store_dword v3, v32, s[0:3], 0 offen offset:76
	buffer_store_dword v2, v32, s[0:3], 0 offen offset:72
	buffer_load_dword v0, off, s[0:3], 0 offset:152
	s_nop 0
	buffer_load_dword v1, off, s[0:3], 0 offset:156
	buffer_load_dword v2, off, s[0:3], 0 offset:144
	;; [unrolled: 1-line block ×3, first 2 shown]
	buffer_load_dword v4, v32, s[0:3], 0 offen offset:80
	buffer_load_dword v5, v32, s[0:3], 0 offen offset:84
	;; [unrolled: 1-line block ×4, first 2 shown]
	s_waitcnt vmcnt(6) lgkmcnt(0)
	v_mul_f64 v[22:23], v[12:13], v[0:1]
	v_mul_f64 v[0:1], v[10:11], v[0:1]
	s_waitcnt vmcnt(4)
	v_fma_f64 v[10:11], v[10:11], v[2:3], -v[22:23]
	v_fma_f64 v[0:1], v[12:13], v[2:3], v[0:1]
	s_waitcnt vmcnt(2)
	v_add_f64 v[2:3], v[4:5], -v[10:11]
	s_waitcnt vmcnt(0)
	v_add_f64 v[0:1], v[20:21], -v[0:1]
	buffer_store_dword v3, v32, s[0:3], 0 offen offset:84
	buffer_store_dword v2, v32, s[0:3], 0 offen offset:80
	;; [unrolled: 1-line block ×4, first 2 shown]
	s_cbranch_scc1 .LBB126_246
.LBB126_247:
	s_or_b64 exec, exec, s[4:5]
	v_mov_b32_e32 v3, s57
	s_waitcnt vmcnt(0)
	s_barrier
	buffer_load_dword v0, v3, s[0:3], 0 offen
	buffer_load_dword v1, v3, s[0:3], 0 offen offset:4
	buffer_load_dword v2, v3, s[0:3], 0 offen offset:8
	s_nop 0
	buffer_load_dword v3, v3, s[0:3], 0 offen offset:12
	v_lshl_add_u32 v4, v19, 4, v16
	s_cmp_lt_i32 s66, 12
	s_waitcnt vmcnt(0)
	ds_write2_b64 v4, v[0:1], v[2:3] offset1:1
	s_waitcnt lgkmcnt(0)
	s_barrier
	ds_read2_b64 v[0:3], v16 offset0:20 offset1:21
	v_mov_b32_e32 v4, 10
	s_cbranch_scc1 .LBB126_250
; %bb.248:
	v_add_u32_e32 v5, 0xb0, v16
	s_mov_b32 s16, 11
	v_mov_b32_e32 v4, 10
.LBB126_249:                            ; =>This Inner Loop Header: Depth=1
	s_waitcnt lgkmcnt(0)
	v_cmp_gt_f64_e32 vcc, 0, v[2:3]
	v_cmp_gt_f64_e64 s[4:5], 0, v[0:1]
	ds_read2_b64 v[10:13], v5 offset1:1
	v_xor_b32_e32 v21, 0x80000000, v1
	v_xor_b32_e32 v23, 0x80000000, v3
	v_mov_b32_e32 v20, v0
	v_mov_b32_e32 v22, v2
	s_waitcnt lgkmcnt(0)
	v_xor_b32_e32 v25, 0x80000000, v13
	v_cndmask_b32_e32 v23, v3, v23, vcc
	v_cndmask_b32_e64 v21, v1, v21, s[4:5]
	v_cmp_gt_f64_e32 vcc, 0, v[12:13]
	v_cmp_gt_f64_e64 s[4:5], 0, v[10:11]
	v_add_f64 v[20:21], v[20:21], v[22:23]
	v_xor_b32_e32 v23, 0x80000000, v11
	v_mov_b32_e32 v22, v10
	v_mov_b32_e32 v24, v12
	v_add_u32_e32 v5, 16, v5
	v_cndmask_b32_e32 v25, v13, v25, vcc
	v_cndmask_b32_e64 v23, v11, v23, s[4:5]
	v_add_f64 v[22:23], v[22:23], v[24:25]
	v_mov_b32_e32 v24, s16
	s_add_i32 s16, s16, 1
	s_cmp_lg_u32 s66, s16
	v_cmp_lt_f64_e32 vcc, v[20:21], v[22:23]
	v_cndmask_b32_e32 v1, v1, v11, vcc
	v_cndmask_b32_e32 v0, v0, v10, vcc
	;; [unrolled: 1-line block ×5, first 2 shown]
	s_cbranch_scc1 .LBB126_249
.LBB126_250:
	s_waitcnt lgkmcnt(0)
	v_cmp_eq_f64_e32 vcc, 0, v[0:1]
	v_cmp_eq_f64_e64 s[4:5], 0, v[2:3]
	s_and_b64 s[4:5], vcc, s[4:5]
	s_and_saveexec_b64 s[16:17], s[4:5]
	s_xor_b64 s[4:5], exec, s[16:17]
; %bb.251:
	v_cmp_ne_u32_e32 vcc, 0, v17
	v_cndmask_b32_e32 v17, 11, v17, vcc
; %bb.252:
	s_andn2_saveexec_b64 s[4:5], s[4:5]
	s_cbranch_execz .LBB126_258
; %bb.253:
	v_cmp_ngt_f64_e64 s[16:17], |v[0:1]|, |v[2:3]|
	s_and_saveexec_b64 s[18:19], s[16:17]
	s_xor_b64 s[18:19], exec, s[18:19]
	s_cbranch_execz .LBB126_255
; %bb.254:
	v_div_scale_f64 v[10:11], s[16:17], v[2:3], v[2:3], v[0:1]
	v_rcp_f64_e32 v[12:13], v[10:11]
	v_fma_f64 v[20:21], -v[10:11], v[12:13], 1.0
	v_fma_f64 v[12:13], v[12:13], v[20:21], v[12:13]
	v_div_scale_f64 v[20:21], vcc, v[0:1], v[2:3], v[0:1]
	v_fma_f64 v[22:23], -v[10:11], v[12:13], 1.0
	v_fma_f64 v[12:13], v[12:13], v[22:23], v[12:13]
	v_mul_f64 v[22:23], v[20:21], v[12:13]
	v_fma_f64 v[10:11], -v[10:11], v[22:23], v[20:21]
	v_div_fmas_f64 v[10:11], v[10:11], v[12:13], v[22:23]
	v_div_fixup_f64 v[10:11], v[10:11], v[2:3], v[0:1]
	v_fma_f64 v[0:1], v[0:1], v[10:11], v[2:3]
	v_div_scale_f64 v[2:3], s[16:17], v[0:1], v[0:1], 1.0
	v_div_scale_f64 v[22:23], vcc, 1.0, v[0:1], 1.0
	v_rcp_f64_e32 v[12:13], v[2:3]
	v_fma_f64 v[20:21], -v[2:3], v[12:13], 1.0
	v_fma_f64 v[12:13], v[12:13], v[20:21], v[12:13]
	v_fma_f64 v[20:21], -v[2:3], v[12:13], 1.0
	v_fma_f64 v[12:13], v[12:13], v[20:21], v[12:13]
	v_mul_f64 v[20:21], v[22:23], v[12:13]
	v_fma_f64 v[2:3], -v[2:3], v[20:21], v[22:23]
	v_div_fmas_f64 v[2:3], v[2:3], v[12:13], v[20:21]
	v_div_fixup_f64 v[2:3], v[2:3], v[0:1], 1.0
	v_mul_f64 v[0:1], v[10:11], v[2:3]
	v_xor_b32_e32 v3, 0x80000000, v3
.LBB126_255:
	s_andn2_saveexec_b64 s[18:19], s[18:19]
	s_cbranch_execz .LBB126_257
; %bb.256:
	v_div_scale_f64 v[10:11], s[16:17], v[0:1], v[0:1], v[2:3]
	v_rcp_f64_e32 v[12:13], v[10:11]
	v_fma_f64 v[20:21], -v[10:11], v[12:13], 1.0
	v_fma_f64 v[12:13], v[12:13], v[20:21], v[12:13]
	v_div_scale_f64 v[20:21], vcc, v[2:3], v[0:1], v[2:3]
	v_fma_f64 v[22:23], -v[10:11], v[12:13], 1.0
	v_fma_f64 v[12:13], v[12:13], v[22:23], v[12:13]
	v_mul_f64 v[22:23], v[20:21], v[12:13]
	v_fma_f64 v[10:11], -v[10:11], v[22:23], v[20:21]
	v_div_fmas_f64 v[10:11], v[10:11], v[12:13], v[22:23]
	v_div_fixup_f64 v[10:11], v[10:11], v[0:1], v[2:3]
	v_fma_f64 v[0:1], v[2:3], v[10:11], v[0:1]
	v_div_scale_f64 v[2:3], s[16:17], v[0:1], v[0:1], 1.0
	v_div_scale_f64 v[22:23], vcc, 1.0, v[0:1], 1.0
	v_rcp_f64_e32 v[12:13], v[2:3]
	v_fma_f64 v[20:21], -v[2:3], v[12:13], 1.0
	v_fma_f64 v[12:13], v[12:13], v[20:21], v[12:13]
	v_fma_f64 v[20:21], -v[2:3], v[12:13], 1.0
	v_fma_f64 v[12:13], v[12:13], v[20:21], v[12:13]
	v_mul_f64 v[20:21], v[22:23], v[12:13]
	v_fma_f64 v[2:3], -v[2:3], v[20:21], v[22:23]
	v_div_fmas_f64 v[2:3], v[2:3], v[12:13], v[20:21]
	v_div_fixup_f64 v[0:1], v[2:3], v[0:1], 1.0
	v_mul_f64 v[2:3], v[10:11], -v[0:1]
.LBB126_257:
	s_or_b64 exec, exec, s[18:19]
.LBB126_258:
	s_or_b64 exec, exec, s[4:5]
	v_cmp_ne_u32_e32 vcc, v19, v4
	s_and_saveexec_b64 s[4:5], vcc
	s_xor_b64 s[4:5], exec, s[4:5]
	s_cbranch_execz .LBB126_264
; %bb.259:
	v_cmp_eq_u32_e32 vcc, 10, v19
	s_and_saveexec_b64 s[18:19], vcc
	s_cbranch_execz .LBB126_263
; %bb.260:
	v_cmp_ne_u32_e32 vcc, 10, v4
	s_xor_b64 s[16:17], s[10:11], -1
	s_and_b64 s[16:17], s[16:17], vcc
	s_and_saveexec_b64 s[24:25], s[16:17]
	s_cbranch_execz .LBB126_262
; %bb.261:
	v_ashrrev_i32_e32 v5, 31, v4
	v_lshlrev_b64 v[10:11], 2, v[4:5]
	v_add_co_u32_e32 v10, vcc, v8, v10
	v_addc_co_u32_e32 v11, vcc, v9, v11, vcc
	global_load_dword v5, v[10:11], off
	global_load_dword v12, v[8:9], off offset:40
	s_waitcnt vmcnt(1)
	global_store_dword v[8:9], v5, off offset:40
	s_waitcnt vmcnt(1)
	global_store_dword v[10:11], v12, off
.LBB126_262:
	s_or_b64 exec, exec, s[24:25]
	v_mov_b32_e32 v19, v4
	v_mov_b32_e32 v18, v4
.LBB126_263:
	s_or_b64 exec, exec, s[18:19]
.LBB126_264:
	s_andn2_saveexec_b64 s[4:5], s[4:5]
	s_cbranch_execz .LBB126_270
; %bb.265:
	s_movk_i32 s16, 0xb0
	s_branch .LBB126_267
.LBB126_266:                            ;   in Loop: Header=BB126_267 Depth=1
	s_andn2_b64 vcc, exec, s[18:19]
	s_cbranch_vccz .LBB126_269
.LBB126_267:                            ; =>This Inner Loop Header: Depth=1
	v_mov_b32_e32 v4, s16
	buffer_load_dword v10, v4, s[0:3], 0 offen
	buffer_load_dword v11, v4, s[0:3], 0 offen offset:4
	buffer_load_dword v12, v4, s[0:3], 0 offen offset:8
	;; [unrolled: 1-line block ×19, first 2 shown]
	s_mov_b32 s17, s16
	v_add_u32_e32 v4, s16, v16
	s_cmpk_eq_i32 s16, 0x3b0
	s_mov_b64 s[18:19], -1
	s_waitcnt vmcnt(16)
	ds_write2_b64 v4, v[10:11], v[12:13] offset1:1
	s_waitcnt vmcnt(12)
	ds_write2_b64 v4, v[19:20], v[21:22] offset0:2 offset1:3
	s_waitcnt vmcnt(8)
	ds_write2_b64 v4, v[23:24], v[25:26] offset0:4 offset1:5
	;; [unrolled: 2-line block ×4, first 2 shown]
	s_cbranch_scc1 .LBB126_266
; %bb.268:                              ;   in Loop: Header=BB126_267 Depth=1
	v_mov_b32_e32 v5, s17
	buffer_load_dword v10, v5, s[0:3], 0 offen offset:80
	buffer_load_dword v11, v5, s[0:3], 0 offen offset:84
	;; [unrolled: 1-line block ×12, first 2 shown]
	s_addk_i32 s16, 0x80
	s_mov_b64 s[18:19], 0
	s_waitcnt vmcnt(8)
	ds_write2_b64 v4, v[10:11], v[12:13] offset0:10 offset1:11
	s_waitcnt vmcnt(4)
	ds_write2_b64 v4, v[19:20], v[21:22] offset0:12 offset1:13
	s_waitcnt vmcnt(0)
	ds_write2_b64 v4, v[23:24], v[25:26] offset0:14 offset1:15
	s_branch .LBB126_266
.LBB126_269:
	v_mov_b32_e32 v19, 10
.LBB126_270:
	s_or_b64 exec, exec, s[4:5]
	v_cmp_lt_i32_e32 vcc, 10, v19
	s_waitcnt vmcnt(0) lgkmcnt(0)
	s_barrier
	s_and_saveexec_b64 s[4:5], vcc
	s_cbranch_execz .LBB126_275
; %bb.271:
	buffer_load_dword v4, off, s[0:3], 0 offset:168
	buffer_load_dword v5, off, s[0:3], 0 offset:172
	buffer_load_dword v10, off, s[0:3], 0 offset:160
	buffer_load_dword v11, off, s[0:3], 0 offset:164
	s_movk_i32 s24, 0xb0
	s_waitcnt vmcnt(2)
	v_mul_f64 v[12:13], v[2:3], v[4:5]
	v_mul_f64 v[4:5], v[0:1], v[4:5]
	s_waitcnt vmcnt(0)
	v_fma_f64 v[0:1], v[0:1], v[10:11], -v[12:13]
	v_fma_f64 v[2:3], v[2:3], v[10:11], v[4:5]
	buffer_store_dword v0, off, s[0:3], 0 offset:160
	buffer_store_dword v1, off, s[0:3], 0 offset:164
	;; [unrolled: 1-line block ×4, first 2 shown]
	s_branch .LBB126_273
.LBB126_272:                            ;   in Loop: Header=BB126_273 Depth=1
	s_andn2_b64 vcc, exec, s[18:19]
	s_cbranch_vccz .LBB126_275
.LBB126_273:                            ; =>This Inner Loop Header: Depth=1
	v_mov_b32_e32 v5, s24
	buffer_load_dword v20, v5, s[0:3], 0 offen
	buffer_load_dword v21, v5, s[0:3], 0 offen offset:4
	buffer_load_dword v22, v5, s[0:3], 0 offen offset:8
	;; [unrolled: 1-line block ×3, first 2 shown]
	v_add_u32_e32 v4, s24, v16
	ds_read2_b64 v[10:13], v4 offset1:1
	s_mov_b32 s16, s24
	s_cmpk_eq_i32 s24, 0x3f0
	s_mov_b64 s[18:19], -1
	s_waitcnt vmcnt(4) lgkmcnt(0)
	v_mul_f64 v[24:25], v[12:13], v[2:3]
	v_mul_f64 v[2:3], v[10:11], v[2:3]
	v_fma_f64 v[10:11], v[10:11], v[0:1], -v[24:25]
	v_fma_f64 v[0:1], v[12:13], v[0:1], v[2:3]
	s_waitcnt vmcnt(2)
	v_add_f64 v[2:3], v[20:21], -v[10:11]
	s_waitcnt vmcnt(0)
	v_add_f64 v[0:1], v[22:23], -v[0:1]
	buffer_store_dword v2, v5, s[0:3], 0 offen
	buffer_store_dword v3, v5, s[0:3], 0 offen offset:4
	buffer_store_dword v0, v5, s[0:3], 0 offen offset:8
	;; [unrolled: 1-line block ×3, first 2 shown]
                                        ; implicit-def: $vgpr0_vgpr1
                                        ; implicit-def: $vgpr2_vgpr3
	s_cbranch_scc1 .LBB126_272
; %bb.274:                              ;   in Loop: Header=BB126_273 Depth=1
	buffer_load_dword v20, off, s[0:3], 0 offset:168
	buffer_load_dword v21, off, s[0:3], 0 offset:172
	;; [unrolled: 1-line block ×4, first 2 shown]
	v_mov_b32_e32 v30, s16
	buffer_load_dword v24, v30, s[0:3], 0 offen offset:16
	buffer_load_dword v25, v30, s[0:3], 0 offen offset:20
	;; [unrolled: 1-line block ×4, first 2 shown]
	ds_read2_b64 v[0:3], v4 offset0:2 offset1:3
	ds_read2_b64 v[10:13], v4 offset0:4 offset1:5
	s_add_i32 s24, s24, 64
	s_mov_b64 s[18:19], 0
	s_waitcnt vmcnt(6) lgkmcnt(1)
	v_mul_f64 v[28:29], v[2:3], v[20:21]
	v_mul_f64 v[20:21], v[0:1], v[20:21]
	s_waitcnt vmcnt(4)
	v_fma_f64 v[0:1], v[0:1], v[22:23], -v[28:29]
	v_fma_f64 v[2:3], v[2:3], v[22:23], v[20:21]
	s_waitcnt vmcnt(2)
	v_add_f64 v[0:1], v[24:25], -v[0:1]
	s_waitcnt vmcnt(0)
	v_add_f64 v[2:3], v[26:27], -v[2:3]
	buffer_store_dword v1, v30, s[0:3], 0 offen offset:20
	buffer_store_dword v0, v30, s[0:3], 0 offen offset:16
	buffer_store_dword v3, v30, s[0:3], 0 offen offset:28
	buffer_store_dword v2, v30, s[0:3], 0 offen offset:24
	buffer_load_dword v1, v30, s[0:3], 0 offen offset:36
	s_nop 0
	buffer_load_dword v2, v30, s[0:3], 0 offen offset:40
	buffer_load_dword v3, v30, s[0:3], 0 offen offset:44
	buffer_load_dword v21, off, s[0:3], 0 offset:172
	buffer_load_dword v20, off, s[0:3], 0 offset:168
	;; [unrolled: 1-line block ×4, first 2 shown]
	buffer_load_dword v0, v30, s[0:3], 0 offen offset:32
	s_waitcnt vmcnt(3) lgkmcnt(0)
	v_mul_f64 v[24:25], v[12:13], v[20:21]
	v_mul_f64 v[20:21], v[10:11], v[20:21]
	s_waitcnt vmcnt(1)
	v_fma_f64 v[10:11], v[10:11], v[22:23], -v[24:25]
	v_fma_f64 v[12:13], v[12:13], v[22:23], v[20:21]
	s_waitcnt vmcnt(0)
	v_add_f64 v[0:1], v[0:1], -v[10:11]
	v_add_f64 v[2:3], v[2:3], -v[12:13]
	buffer_store_dword v1, v30, s[0:3], 0 offen offset:36
	buffer_store_dword v0, v30, s[0:3], 0 offen offset:32
	;; [unrolled: 1-line block ×4, first 2 shown]
	buffer_load_dword v11, v30, s[0:3], 0 offen offset:52
	buffer_load_dword v12, v30, s[0:3], 0 offen offset:56
	;; [unrolled: 1-line block ×3, first 2 shown]
	buffer_load_dword v20, off, s[0:3], 0 offset:168
	buffer_load_dword v21, off, s[0:3], 0 offset:172
	;; [unrolled: 1-line block ×4, first 2 shown]
	buffer_load_dword v10, v30, s[0:3], 0 offen offset:48
	ds_read2_b64 v[0:3], v4 offset0:6 offset1:7
	s_waitcnt vmcnt(3) lgkmcnt(0)
	v_mul_f64 v[4:5], v[2:3], v[20:21]
	v_mul_f64 v[20:21], v[0:1], v[20:21]
	s_waitcnt vmcnt(1)
	v_fma_f64 v[0:1], v[0:1], v[22:23], -v[4:5]
	v_fma_f64 v[2:3], v[2:3], v[22:23], v[20:21]
	s_waitcnt vmcnt(0)
	v_add_f64 v[0:1], v[10:11], -v[0:1]
	v_add_f64 v[2:3], v[12:13], -v[2:3]
	buffer_store_dword v1, v30, s[0:3], 0 offen offset:52
	buffer_store_dword v0, v30, s[0:3], 0 offen offset:48
	;; [unrolled: 1-line block ×4, first 2 shown]
	buffer_load_dword v0, off, s[0:3], 0 offset:160
	s_nop 0
	buffer_load_dword v1, off, s[0:3], 0 offset:164
	buffer_load_dword v2, off, s[0:3], 0 offset:168
	;; [unrolled: 1-line block ×3, first 2 shown]
	s_branch .LBB126_272
.LBB126_275:
	s_or_b64 exec, exec, s[4:5]
	s_waitcnt vmcnt(0)
	v_mov_b32_e32 v3, s9
	s_barrier
	buffer_load_dword v0, v3, s[0:3], 0 offen
	buffer_load_dword v1, v3, s[0:3], 0 offen offset:4
	buffer_load_dword v2, v3, s[0:3], 0 offen offset:8
	s_nop 0
	buffer_load_dword v3, v3, s[0:3], 0 offen offset:12
	v_lshl_add_u32 v4, v19, 4, v16
	s_cmp_lt_i32 s66, 13
	s_waitcnt vmcnt(0)
	ds_write2_b64 v4, v[0:1], v[2:3] offset1:1
	s_waitcnt lgkmcnt(0)
	s_barrier
	ds_read2_b64 v[0:3], v16 offset0:22 offset1:23
	v_mov_b32_e32 v4, 11
	s_cbranch_scc1 .LBB126_278
; %bb.276:
	v_add_u32_e32 v5, 0xc0, v16
	s_mov_b32 s16, 12
	v_mov_b32_e32 v4, 11
.LBB126_277:                            ; =>This Inner Loop Header: Depth=1
	s_waitcnt lgkmcnt(0)
	v_cmp_gt_f64_e32 vcc, 0, v[2:3]
	v_cmp_gt_f64_e64 s[4:5], 0, v[0:1]
	ds_read2_b64 v[10:13], v5 offset1:1
	v_xor_b32_e32 v21, 0x80000000, v1
	v_xor_b32_e32 v23, 0x80000000, v3
	v_mov_b32_e32 v20, v0
	v_mov_b32_e32 v22, v2
	s_waitcnt lgkmcnt(0)
	v_xor_b32_e32 v25, 0x80000000, v13
	v_cndmask_b32_e32 v23, v3, v23, vcc
	v_cndmask_b32_e64 v21, v1, v21, s[4:5]
	v_cmp_gt_f64_e32 vcc, 0, v[12:13]
	v_cmp_gt_f64_e64 s[4:5], 0, v[10:11]
	v_add_f64 v[20:21], v[20:21], v[22:23]
	v_xor_b32_e32 v23, 0x80000000, v11
	v_mov_b32_e32 v22, v10
	v_mov_b32_e32 v24, v12
	v_add_u32_e32 v5, 16, v5
	v_cndmask_b32_e32 v25, v13, v25, vcc
	v_cndmask_b32_e64 v23, v11, v23, s[4:5]
	v_add_f64 v[22:23], v[22:23], v[24:25]
	v_mov_b32_e32 v24, s16
	s_add_i32 s16, s16, 1
	s_cmp_lg_u32 s66, s16
	v_cmp_lt_f64_e32 vcc, v[20:21], v[22:23]
	v_cndmask_b32_e32 v1, v1, v11, vcc
	v_cndmask_b32_e32 v0, v0, v10, vcc
	;; [unrolled: 1-line block ×5, first 2 shown]
	s_cbranch_scc1 .LBB126_277
.LBB126_278:
	s_waitcnt lgkmcnt(0)
	v_cmp_eq_f64_e32 vcc, 0, v[0:1]
	v_cmp_eq_f64_e64 s[4:5], 0, v[2:3]
	s_and_b64 s[4:5], vcc, s[4:5]
	s_and_saveexec_b64 s[16:17], s[4:5]
	s_xor_b64 s[4:5], exec, s[16:17]
; %bb.279:
	v_cmp_ne_u32_e32 vcc, 0, v17
	v_cndmask_b32_e32 v17, 12, v17, vcc
; %bb.280:
	s_andn2_saveexec_b64 s[4:5], s[4:5]
	s_cbranch_execz .LBB126_286
; %bb.281:
	v_cmp_ngt_f64_e64 s[16:17], |v[0:1]|, |v[2:3]|
	s_and_saveexec_b64 s[18:19], s[16:17]
	s_xor_b64 s[18:19], exec, s[18:19]
	s_cbranch_execz .LBB126_283
; %bb.282:
	v_div_scale_f64 v[10:11], s[16:17], v[2:3], v[2:3], v[0:1]
	v_rcp_f64_e32 v[12:13], v[10:11]
	v_fma_f64 v[20:21], -v[10:11], v[12:13], 1.0
	v_fma_f64 v[12:13], v[12:13], v[20:21], v[12:13]
	v_div_scale_f64 v[20:21], vcc, v[0:1], v[2:3], v[0:1]
	v_fma_f64 v[22:23], -v[10:11], v[12:13], 1.0
	v_fma_f64 v[12:13], v[12:13], v[22:23], v[12:13]
	v_mul_f64 v[22:23], v[20:21], v[12:13]
	v_fma_f64 v[10:11], -v[10:11], v[22:23], v[20:21]
	v_div_fmas_f64 v[10:11], v[10:11], v[12:13], v[22:23]
	v_div_fixup_f64 v[10:11], v[10:11], v[2:3], v[0:1]
	v_fma_f64 v[0:1], v[0:1], v[10:11], v[2:3]
	v_div_scale_f64 v[2:3], s[16:17], v[0:1], v[0:1], 1.0
	v_div_scale_f64 v[22:23], vcc, 1.0, v[0:1], 1.0
	v_rcp_f64_e32 v[12:13], v[2:3]
	v_fma_f64 v[20:21], -v[2:3], v[12:13], 1.0
	v_fma_f64 v[12:13], v[12:13], v[20:21], v[12:13]
	v_fma_f64 v[20:21], -v[2:3], v[12:13], 1.0
	v_fma_f64 v[12:13], v[12:13], v[20:21], v[12:13]
	v_mul_f64 v[20:21], v[22:23], v[12:13]
	v_fma_f64 v[2:3], -v[2:3], v[20:21], v[22:23]
	v_div_fmas_f64 v[2:3], v[2:3], v[12:13], v[20:21]
	v_div_fixup_f64 v[2:3], v[2:3], v[0:1], 1.0
	v_mul_f64 v[0:1], v[10:11], v[2:3]
	v_xor_b32_e32 v3, 0x80000000, v3
.LBB126_283:
	s_andn2_saveexec_b64 s[18:19], s[18:19]
	s_cbranch_execz .LBB126_285
; %bb.284:
	v_div_scale_f64 v[10:11], s[16:17], v[0:1], v[0:1], v[2:3]
	v_rcp_f64_e32 v[12:13], v[10:11]
	v_fma_f64 v[20:21], -v[10:11], v[12:13], 1.0
	v_fma_f64 v[12:13], v[12:13], v[20:21], v[12:13]
	v_div_scale_f64 v[20:21], vcc, v[2:3], v[0:1], v[2:3]
	v_fma_f64 v[22:23], -v[10:11], v[12:13], 1.0
	v_fma_f64 v[12:13], v[12:13], v[22:23], v[12:13]
	v_mul_f64 v[22:23], v[20:21], v[12:13]
	v_fma_f64 v[10:11], -v[10:11], v[22:23], v[20:21]
	v_div_fmas_f64 v[10:11], v[10:11], v[12:13], v[22:23]
	v_div_fixup_f64 v[10:11], v[10:11], v[0:1], v[2:3]
	v_fma_f64 v[0:1], v[2:3], v[10:11], v[0:1]
	v_div_scale_f64 v[2:3], s[16:17], v[0:1], v[0:1], 1.0
	v_div_scale_f64 v[22:23], vcc, 1.0, v[0:1], 1.0
	v_rcp_f64_e32 v[12:13], v[2:3]
	v_fma_f64 v[20:21], -v[2:3], v[12:13], 1.0
	v_fma_f64 v[12:13], v[12:13], v[20:21], v[12:13]
	v_fma_f64 v[20:21], -v[2:3], v[12:13], 1.0
	v_fma_f64 v[12:13], v[12:13], v[20:21], v[12:13]
	v_mul_f64 v[20:21], v[22:23], v[12:13]
	v_fma_f64 v[2:3], -v[2:3], v[20:21], v[22:23]
	v_div_fmas_f64 v[2:3], v[2:3], v[12:13], v[20:21]
	v_div_fixup_f64 v[0:1], v[2:3], v[0:1], 1.0
	v_mul_f64 v[2:3], v[10:11], -v[0:1]
.LBB126_285:
	s_or_b64 exec, exec, s[18:19]
.LBB126_286:
	s_or_b64 exec, exec, s[4:5]
	v_cmp_ne_u32_e32 vcc, v19, v4
	s_and_saveexec_b64 s[4:5], vcc
	s_xor_b64 s[4:5], exec, s[4:5]
	s_cbranch_execz .LBB126_292
; %bb.287:
	v_cmp_eq_u32_e32 vcc, 11, v19
	s_and_saveexec_b64 s[18:19], vcc
	s_cbranch_execz .LBB126_291
; %bb.288:
	v_cmp_ne_u32_e32 vcc, 11, v4
	s_xor_b64 s[16:17], s[10:11], -1
	s_and_b64 s[16:17], s[16:17], vcc
	s_and_saveexec_b64 s[24:25], s[16:17]
	s_cbranch_execz .LBB126_290
; %bb.289:
	v_ashrrev_i32_e32 v5, 31, v4
	v_lshlrev_b64 v[10:11], 2, v[4:5]
	v_add_co_u32_e32 v10, vcc, v8, v10
	v_addc_co_u32_e32 v11, vcc, v9, v11, vcc
	global_load_dword v5, v[10:11], off
	global_load_dword v12, v[8:9], off offset:44
	s_waitcnt vmcnt(1)
	global_store_dword v[8:9], v5, off offset:44
	s_waitcnt vmcnt(1)
	global_store_dword v[10:11], v12, off
.LBB126_290:
	s_or_b64 exec, exec, s[24:25]
	v_mov_b32_e32 v19, v4
	v_mov_b32_e32 v18, v4
.LBB126_291:
	s_or_b64 exec, exec, s[18:19]
.LBB126_292:
	s_andn2_saveexec_b64 s[4:5], s[4:5]
	s_cbranch_execz .LBB126_296
; %bb.293:
	s_movk_i32 s16, 0xc0
.LBB126_294:                            ; =>This Inner Loop Header: Depth=1
	v_mov_b32_e32 v29, s16
	buffer_load_dword v4, v29, s[0:3], 0 offen
	buffer_load_dword v5, v29, s[0:3], 0 offen offset:4
	buffer_load_dword v10, v29, s[0:3], 0 offen offset:8
	;; [unrolled: 1-line block ×15, first 2 shown]
	v_add_u32_e32 v30, s16, v16
	s_addk_i32 s16, 0xd0
	s_cmpk_eq_i32 s16, 0x400
	s_waitcnt vmcnt(12)
	ds_write2_b64 v30, v[4:5], v[10:11] offset1:1
	s_waitcnt vmcnt(8)
	ds_write2_b64 v30, v[12:13], v[19:20] offset0:2 offset1:3
	s_waitcnt vmcnt(4)
	ds_write2_b64 v30, v[21:22], v[23:24] offset0:4 offset1:5
	;; [unrolled: 2-line block ×3, first 2 shown]
	buffer_load_dword v5, v29, s[0:3], 0 offen offset:76
	buffer_load_dword v4, v29, s[0:3], 0 offen offset:72
	buffer_load_dword v11, v29, s[0:3], 0 offen offset:68
	buffer_load_dword v10, v29, s[0:3], 0 offen offset:64
	s_waitcnt vmcnt(0)
	ds_write2_b64 v30, v[10:11], v[4:5] offset0:8 offset1:9
	buffer_load_dword v5, v29, s[0:3], 0 offen offset:92
	buffer_load_dword v4, v29, s[0:3], 0 offen offset:88
	buffer_load_dword v11, v29, s[0:3], 0 offen offset:84
	buffer_load_dword v10, v29, s[0:3], 0 offen offset:80
	s_waitcnt vmcnt(0)
	ds_write2_b64 v30, v[10:11], v[4:5] offset0:10 offset1:11
	;; [unrolled: 6-line block ×9, first 2 shown]
	s_cbranch_scc0 .LBB126_294
; %bb.295:
	v_mov_b32_e32 v19, 11
.LBB126_296:
	s_or_b64 exec, exec, s[4:5]
	v_cmp_lt_i32_e32 vcc, 11, v19
	s_waitcnt vmcnt(0) lgkmcnt(0)
	s_barrier
	s_and_saveexec_b64 s[4:5], vcc
	s_cbranch_execz .LBB126_299
; %bb.297:
	buffer_load_dword v4, off, s[0:3], 0 offset:184
	buffer_load_dword v5, off, s[0:3], 0 offset:188
	;; [unrolled: 1-line block ×4, first 2 shown]
	s_movk_i32 s18, 0xc0
	s_waitcnt vmcnt(2)
	v_mul_f64 v[12:13], v[2:3], v[4:5]
	v_mul_f64 v[4:5], v[0:1], v[4:5]
	s_waitcnt vmcnt(0)
	v_fma_f64 v[0:1], v[0:1], v[10:11], -v[12:13]
	v_fma_f64 v[2:3], v[2:3], v[10:11], v[4:5]
	buffer_store_dword v0, off, s[0:3], 0 offset:176
	buffer_store_dword v1, off, s[0:3], 0 offset:180
	;; [unrolled: 1-line block ×4, first 2 shown]
.LBB126_298:                            ; =>This Inner Loop Header: Depth=1
	buffer_load_dword v4, off, s[0:3], 0 offset:184
	buffer_load_dword v5, off, s[0:3], 0 offset:188
	buffer_load_dword v20, off, s[0:3], 0 offset:176
	buffer_load_dword v21, off, s[0:3], 0 offset:180
	v_mov_b32_e32 v32, s18
	buffer_load_dword v22, v32, s[0:3], 0 offen
	buffer_load_dword v23, v32, s[0:3], 0 offen offset:4
	buffer_load_dword v24, v32, s[0:3], 0 offen offset:8
	;; [unrolled: 1-line block ×3, first 2 shown]
	v_add_u32_e32 v33, s18, v16
	ds_read2_b64 v[0:3], v33 offset1:1
	buffer_load_dword v26, v32, s[0:3], 0 offen offset:16
	buffer_load_dword v27, v32, s[0:3], 0 offen offset:20
	;; [unrolled: 1-line block ×4, first 2 shown]
	ds_read2_b64 v[10:13], v33 offset0:2 offset1:3
	s_add_i32 s18, s18, 64
	s_cmpk_lg_i32 s18, 0x400
	s_waitcnt vmcnt(10) lgkmcnt(1)
	v_mul_f64 v[30:31], v[2:3], v[4:5]
	v_mul_f64 v[4:5], v[0:1], v[4:5]
	s_waitcnt vmcnt(8)
	v_fma_f64 v[0:1], v[0:1], v[20:21], -v[30:31]
	v_fma_f64 v[2:3], v[2:3], v[20:21], v[4:5]
	s_waitcnt vmcnt(6)
	v_add_f64 v[0:1], v[22:23], -v[0:1]
	s_waitcnt vmcnt(4)
	v_add_f64 v[2:3], v[24:25], -v[2:3]
	buffer_store_dword v1, v32, s[0:3], 0 offen offset:4
	buffer_store_dword v0, v32, s[0:3], 0 offen
	buffer_store_dword v3, v32, s[0:3], 0 offen offset:12
	buffer_store_dword v2, v32, s[0:3], 0 offen offset:8
	buffer_load_dword v1, off, s[0:3], 0 offset:188
	s_nop 0
	buffer_load_dword v0, off, s[0:3], 0 offset:184
	buffer_load_dword v3, off, s[0:3], 0 offset:180
	;; [unrolled: 1-line block ×3, first 2 shown]
	buffer_load_dword v4, v32, s[0:3], 0 offen offset:32
	buffer_load_dword v5, v32, s[0:3], 0 offen offset:36
	;; [unrolled: 1-line block ×4, first 2 shown]
	s_waitcnt vmcnt(6) lgkmcnt(0)
	v_mul_f64 v[22:23], v[12:13], v[0:1]
	v_mul_f64 v[0:1], v[10:11], v[0:1]
	s_waitcnt vmcnt(4)
	v_fma_f64 v[10:11], v[10:11], v[2:3], -v[22:23]
	v_fma_f64 v[0:1], v[12:13], v[2:3], v[0:1]
	v_add_f64 v[2:3], v[26:27], -v[10:11]
	v_add_f64 v[0:1], v[28:29], -v[0:1]
	buffer_store_dword v3, v32, s[0:3], 0 offen offset:20
	buffer_store_dword v2, v32, s[0:3], 0 offen offset:16
	;; [unrolled: 1-line block ×4, first 2 shown]
	buffer_load_dword v22, off, s[0:3], 0 offset:184
	buffer_load_dword v23, off, s[0:3], 0 offset:188
	;; [unrolled: 1-line block ×4, first 2 shown]
	ds_read2_b64 v[0:3], v33 offset0:4 offset1:5
	ds_read2_b64 v[10:13], v33 offset0:6 offset1:7
	s_waitcnt vmcnt(2) lgkmcnt(1)
	v_mul_f64 v[26:27], v[2:3], v[22:23]
	v_mul_f64 v[22:23], v[0:1], v[22:23]
	s_waitcnt vmcnt(0)
	v_fma_f64 v[0:1], v[0:1], v[24:25], -v[26:27]
	v_fma_f64 v[2:3], v[2:3], v[24:25], v[22:23]
	v_add_f64 v[0:1], v[4:5], -v[0:1]
	v_add_f64 v[2:3], v[20:21], -v[2:3]
	buffer_store_dword v1, v32, s[0:3], 0 offen offset:36
	buffer_store_dword v0, v32, s[0:3], 0 offen offset:32
	;; [unrolled: 1-line block ×4, first 2 shown]
	buffer_load_dword v0, off, s[0:3], 0 offset:184
	s_nop 0
	buffer_load_dword v1, off, s[0:3], 0 offset:188
	buffer_load_dword v2, off, s[0:3], 0 offset:176
	;; [unrolled: 1-line block ×3, first 2 shown]
	buffer_load_dword v4, v32, s[0:3], 0 offen offset:48
	buffer_load_dword v5, v32, s[0:3], 0 offen offset:52
	;; [unrolled: 1-line block ×4, first 2 shown]
	s_waitcnt vmcnt(6) lgkmcnt(0)
	v_mul_f64 v[22:23], v[12:13], v[0:1]
	v_mul_f64 v[0:1], v[10:11], v[0:1]
	s_waitcnt vmcnt(4)
	v_fma_f64 v[10:11], v[10:11], v[2:3], -v[22:23]
	v_fma_f64 v[0:1], v[12:13], v[2:3], v[0:1]
	s_waitcnt vmcnt(2)
	v_add_f64 v[2:3], v[4:5], -v[10:11]
	s_waitcnt vmcnt(0)
	v_add_f64 v[0:1], v[20:21], -v[0:1]
	buffer_store_dword v3, v32, s[0:3], 0 offen offset:52
	buffer_store_dword v2, v32, s[0:3], 0 offen offset:48
	;; [unrolled: 1-line block ×4, first 2 shown]
	s_cbranch_scc1 .LBB126_298
.LBB126_299:
	s_or_b64 exec, exec, s[4:5]
	v_mov_b32_e32 v3, s77
	s_waitcnt vmcnt(0)
	s_barrier
	buffer_load_dword v0, v3, s[0:3], 0 offen
	buffer_load_dword v1, v3, s[0:3], 0 offen offset:4
	buffer_load_dword v2, v3, s[0:3], 0 offen offset:8
	s_nop 0
	buffer_load_dword v3, v3, s[0:3], 0 offen offset:12
	v_lshl_add_u32 v4, v19, 4, v16
	s_cmp_lt_i32 s66, 14
	s_waitcnt vmcnt(0)
	ds_write2_b64 v4, v[0:1], v[2:3] offset1:1
	s_waitcnt lgkmcnt(0)
	s_barrier
	ds_read2_b64 v[0:3], v16 offset0:24 offset1:25
	v_mov_b32_e32 v4, 12
	s_cbranch_scc1 .LBB126_302
; %bb.300:
	v_add_u32_e32 v5, 0xd0, v16
	s_mov_b32 s16, 13
	v_mov_b32_e32 v4, 12
.LBB126_301:                            ; =>This Inner Loop Header: Depth=1
	s_waitcnt lgkmcnt(0)
	v_cmp_gt_f64_e32 vcc, 0, v[2:3]
	v_cmp_gt_f64_e64 s[4:5], 0, v[0:1]
	ds_read2_b64 v[10:13], v5 offset1:1
	v_xor_b32_e32 v21, 0x80000000, v1
	v_xor_b32_e32 v23, 0x80000000, v3
	v_mov_b32_e32 v20, v0
	v_mov_b32_e32 v22, v2
	s_waitcnt lgkmcnt(0)
	v_xor_b32_e32 v25, 0x80000000, v13
	v_cndmask_b32_e32 v23, v3, v23, vcc
	v_cndmask_b32_e64 v21, v1, v21, s[4:5]
	v_cmp_gt_f64_e32 vcc, 0, v[12:13]
	v_cmp_gt_f64_e64 s[4:5], 0, v[10:11]
	v_add_f64 v[20:21], v[20:21], v[22:23]
	v_xor_b32_e32 v23, 0x80000000, v11
	v_mov_b32_e32 v22, v10
	v_mov_b32_e32 v24, v12
	v_add_u32_e32 v5, 16, v5
	v_cndmask_b32_e32 v25, v13, v25, vcc
	v_cndmask_b32_e64 v23, v11, v23, s[4:5]
	v_add_f64 v[22:23], v[22:23], v[24:25]
	v_mov_b32_e32 v24, s16
	s_add_i32 s16, s16, 1
	s_cmp_lg_u32 s66, s16
	v_cmp_lt_f64_e32 vcc, v[20:21], v[22:23]
	v_cndmask_b32_e32 v1, v1, v11, vcc
	v_cndmask_b32_e32 v0, v0, v10, vcc
	;; [unrolled: 1-line block ×5, first 2 shown]
	s_cbranch_scc1 .LBB126_301
.LBB126_302:
	s_waitcnt lgkmcnt(0)
	v_cmp_eq_f64_e32 vcc, 0, v[0:1]
	v_cmp_eq_f64_e64 s[4:5], 0, v[2:3]
	s_and_b64 s[4:5], vcc, s[4:5]
	s_and_saveexec_b64 s[16:17], s[4:5]
	s_xor_b64 s[4:5], exec, s[16:17]
; %bb.303:
	v_cmp_ne_u32_e32 vcc, 0, v17
	v_cndmask_b32_e32 v17, 13, v17, vcc
; %bb.304:
	s_andn2_saveexec_b64 s[4:5], s[4:5]
	s_cbranch_execz .LBB126_310
; %bb.305:
	v_cmp_ngt_f64_e64 s[16:17], |v[0:1]|, |v[2:3]|
	s_and_saveexec_b64 s[18:19], s[16:17]
	s_xor_b64 s[18:19], exec, s[18:19]
	s_cbranch_execz .LBB126_307
; %bb.306:
	v_div_scale_f64 v[10:11], s[16:17], v[2:3], v[2:3], v[0:1]
	v_rcp_f64_e32 v[12:13], v[10:11]
	v_fma_f64 v[20:21], -v[10:11], v[12:13], 1.0
	v_fma_f64 v[12:13], v[12:13], v[20:21], v[12:13]
	v_div_scale_f64 v[20:21], vcc, v[0:1], v[2:3], v[0:1]
	v_fma_f64 v[22:23], -v[10:11], v[12:13], 1.0
	v_fma_f64 v[12:13], v[12:13], v[22:23], v[12:13]
	v_mul_f64 v[22:23], v[20:21], v[12:13]
	v_fma_f64 v[10:11], -v[10:11], v[22:23], v[20:21]
	v_div_fmas_f64 v[10:11], v[10:11], v[12:13], v[22:23]
	v_div_fixup_f64 v[10:11], v[10:11], v[2:3], v[0:1]
	v_fma_f64 v[0:1], v[0:1], v[10:11], v[2:3]
	v_div_scale_f64 v[2:3], s[16:17], v[0:1], v[0:1], 1.0
	v_div_scale_f64 v[22:23], vcc, 1.0, v[0:1], 1.0
	v_rcp_f64_e32 v[12:13], v[2:3]
	v_fma_f64 v[20:21], -v[2:3], v[12:13], 1.0
	v_fma_f64 v[12:13], v[12:13], v[20:21], v[12:13]
	v_fma_f64 v[20:21], -v[2:3], v[12:13], 1.0
	v_fma_f64 v[12:13], v[12:13], v[20:21], v[12:13]
	v_mul_f64 v[20:21], v[22:23], v[12:13]
	v_fma_f64 v[2:3], -v[2:3], v[20:21], v[22:23]
	v_div_fmas_f64 v[2:3], v[2:3], v[12:13], v[20:21]
	v_div_fixup_f64 v[2:3], v[2:3], v[0:1], 1.0
	v_mul_f64 v[0:1], v[10:11], v[2:3]
	v_xor_b32_e32 v3, 0x80000000, v3
.LBB126_307:
	s_andn2_saveexec_b64 s[18:19], s[18:19]
	s_cbranch_execz .LBB126_309
; %bb.308:
	v_div_scale_f64 v[10:11], s[16:17], v[0:1], v[0:1], v[2:3]
	v_rcp_f64_e32 v[12:13], v[10:11]
	v_fma_f64 v[20:21], -v[10:11], v[12:13], 1.0
	v_fma_f64 v[12:13], v[12:13], v[20:21], v[12:13]
	v_div_scale_f64 v[20:21], vcc, v[2:3], v[0:1], v[2:3]
	v_fma_f64 v[22:23], -v[10:11], v[12:13], 1.0
	v_fma_f64 v[12:13], v[12:13], v[22:23], v[12:13]
	v_mul_f64 v[22:23], v[20:21], v[12:13]
	v_fma_f64 v[10:11], -v[10:11], v[22:23], v[20:21]
	v_div_fmas_f64 v[10:11], v[10:11], v[12:13], v[22:23]
	v_div_fixup_f64 v[10:11], v[10:11], v[0:1], v[2:3]
	v_fma_f64 v[0:1], v[2:3], v[10:11], v[0:1]
	v_div_scale_f64 v[2:3], s[16:17], v[0:1], v[0:1], 1.0
	v_div_scale_f64 v[22:23], vcc, 1.0, v[0:1], 1.0
	v_rcp_f64_e32 v[12:13], v[2:3]
	v_fma_f64 v[20:21], -v[2:3], v[12:13], 1.0
	v_fma_f64 v[12:13], v[12:13], v[20:21], v[12:13]
	v_fma_f64 v[20:21], -v[2:3], v[12:13], 1.0
	v_fma_f64 v[12:13], v[12:13], v[20:21], v[12:13]
	v_mul_f64 v[20:21], v[22:23], v[12:13]
	v_fma_f64 v[2:3], -v[2:3], v[20:21], v[22:23]
	v_div_fmas_f64 v[2:3], v[2:3], v[12:13], v[20:21]
	v_div_fixup_f64 v[0:1], v[2:3], v[0:1], 1.0
	v_mul_f64 v[2:3], v[10:11], -v[0:1]
.LBB126_309:
	s_or_b64 exec, exec, s[18:19]
.LBB126_310:
	s_or_b64 exec, exec, s[4:5]
	v_cmp_ne_u32_e32 vcc, v19, v4
	s_and_saveexec_b64 s[4:5], vcc
	s_xor_b64 s[4:5], exec, s[4:5]
	s_cbranch_execz .LBB126_316
; %bb.311:
	v_cmp_eq_u32_e32 vcc, 12, v19
	s_and_saveexec_b64 s[18:19], vcc
	s_cbranch_execz .LBB126_315
; %bb.312:
	v_cmp_ne_u32_e32 vcc, 12, v4
	s_xor_b64 s[16:17], s[10:11], -1
	s_and_b64 s[16:17], s[16:17], vcc
	s_and_saveexec_b64 s[24:25], s[16:17]
	s_cbranch_execz .LBB126_314
; %bb.313:
	v_ashrrev_i32_e32 v5, 31, v4
	v_lshlrev_b64 v[10:11], 2, v[4:5]
	v_add_co_u32_e32 v10, vcc, v8, v10
	v_addc_co_u32_e32 v11, vcc, v9, v11, vcc
	global_load_dword v5, v[10:11], off
	global_load_dword v12, v[8:9], off offset:48
	s_waitcnt vmcnt(1)
	global_store_dword v[8:9], v5, off offset:48
	s_waitcnt vmcnt(1)
	global_store_dword v[10:11], v12, off
.LBB126_314:
	s_or_b64 exec, exec, s[24:25]
	v_mov_b32_e32 v19, v4
	v_mov_b32_e32 v18, v4
.LBB126_315:
	s_or_b64 exec, exec, s[18:19]
.LBB126_316:
	s_andn2_saveexec_b64 s[4:5], s[4:5]
	s_cbranch_execz .LBB126_320
; %bb.317:
	s_movk_i32 s18, 0xd0
.LBB126_318:                            ; =>This Inner Loop Header: Depth=1
	v_mov_b32_e32 v29, s18
	buffer_load_dword v4, v29, s[0:3], 0 offen
	buffer_load_dword v5, v29, s[0:3], 0 offen offset:4
	buffer_load_dword v10, v29, s[0:3], 0 offen offset:8
	;; [unrolled: 1-line block ×15, first 2 shown]
	v_add_u32_e32 v30, s18, v16
	s_addk_i32 s18, 0x110
	s_cmpk_eq_i32 s18, 0x400
	s_waitcnt vmcnt(12)
	ds_write2_b64 v30, v[4:5], v[10:11] offset1:1
	s_waitcnt vmcnt(8)
	ds_write2_b64 v30, v[12:13], v[19:20] offset0:2 offset1:3
	s_waitcnt vmcnt(4)
	ds_write2_b64 v30, v[21:22], v[23:24] offset0:4 offset1:5
	s_waitcnt vmcnt(0)
	ds_write2_b64 v30, v[25:26], v[27:28] offset0:6 offset1:7
	buffer_load_dword v5, v29, s[0:3], 0 offen offset:76
	buffer_load_dword v4, v29, s[0:3], 0 offen offset:72
	buffer_load_dword v11, v29, s[0:3], 0 offen offset:68
	buffer_load_dword v10, v29, s[0:3], 0 offen offset:64
	s_waitcnt vmcnt(0)
	ds_write2_b64 v30, v[10:11], v[4:5] offset0:8 offset1:9
	buffer_load_dword v5, v29, s[0:3], 0 offen offset:92
	buffer_load_dword v4, v29, s[0:3], 0 offen offset:88
	buffer_load_dword v11, v29, s[0:3], 0 offen offset:84
	buffer_load_dword v10, v29, s[0:3], 0 offen offset:80
	s_waitcnt vmcnt(0)
	ds_write2_b64 v30, v[10:11], v[4:5] offset0:10 offset1:11
	;; [unrolled: 6-line block ×13, first 2 shown]
	s_cbranch_scc0 .LBB126_318
; %bb.319:
	v_mov_b32_e32 v19, 12
.LBB126_320:
	s_or_b64 exec, exec, s[4:5]
	v_cmp_lt_i32_e32 vcc, 12, v19
	s_waitcnt vmcnt(0) lgkmcnt(0)
	s_barrier
	s_and_saveexec_b64 s[4:5], vcc
	s_cbranch_execz .LBB126_323
; %bb.321:
	buffer_load_dword v4, off, s[0:3], 0 offset:200
	buffer_load_dword v5, off, s[0:3], 0 offset:204
	;; [unrolled: 1-line block ×4, first 2 shown]
	s_movk_i32 s16, 0xd0
	s_waitcnt vmcnt(2)
	v_mul_f64 v[12:13], v[2:3], v[4:5]
	v_mul_f64 v[4:5], v[0:1], v[4:5]
	s_waitcnt vmcnt(0)
	v_fma_f64 v[0:1], v[0:1], v[10:11], -v[12:13]
	v_fma_f64 v[2:3], v[2:3], v[10:11], v[4:5]
	buffer_store_dword v0, off, s[0:3], 0 offset:192
	buffer_store_dword v1, off, s[0:3], 0 offset:196
	buffer_store_dword v2, off, s[0:3], 0 offset:200
	buffer_store_dword v3, off, s[0:3], 0 offset:204
.LBB126_322:                            ; =>This Inner Loop Header: Depth=1
	buffer_load_dword v4, off, s[0:3], 0 offset:200
	buffer_load_dword v5, off, s[0:3], 0 offset:204
	;; [unrolled: 1-line block ×4, first 2 shown]
	v_mov_b32_e32 v32, s16
	buffer_load_dword v22, v32, s[0:3], 0 offen
	buffer_load_dword v23, v32, s[0:3], 0 offen offset:4
	buffer_load_dword v24, v32, s[0:3], 0 offen offset:8
	;; [unrolled: 1-line block ×3, first 2 shown]
	v_add_u32_e32 v33, s16, v16
	ds_read2_b64 v[0:3], v33 offset1:1
	buffer_load_dword v26, v32, s[0:3], 0 offen offset:16
	buffer_load_dword v27, v32, s[0:3], 0 offen offset:20
	;; [unrolled: 1-line block ×4, first 2 shown]
	ds_read2_b64 v[10:13], v33 offset0:2 offset1:3
	s_add_i32 s16, s16, 48
	s_cmpk_lg_i32 s16, 0x400
	s_waitcnt vmcnt(10) lgkmcnt(1)
	v_mul_f64 v[30:31], v[2:3], v[4:5]
	v_mul_f64 v[4:5], v[0:1], v[4:5]
	s_waitcnt vmcnt(8)
	v_fma_f64 v[0:1], v[0:1], v[20:21], -v[30:31]
	v_fma_f64 v[2:3], v[2:3], v[20:21], v[4:5]
	s_waitcnt vmcnt(6)
	v_add_f64 v[0:1], v[22:23], -v[0:1]
	s_waitcnt vmcnt(4)
	v_add_f64 v[2:3], v[24:25], -v[2:3]
	buffer_store_dword v1, v32, s[0:3], 0 offen offset:4
	buffer_store_dword v0, v32, s[0:3], 0 offen
	buffer_store_dword v3, v32, s[0:3], 0 offen offset:12
	buffer_store_dword v2, v32, s[0:3], 0 offen offset:8
	buffer_load_dword v1, off, s[0:3], 0 offset:204
	s_nop 0
	buffer_load_dword v0, off, s[0:3], 0 offset:200
	buffer_load_dword v3, off, s[0:3], 0 offset:196
	;; [unrolled: 1-line block ×3, first 2 shown]
	buffer_load_dword v4, v32, s[0:3], 0 offen offset:32
	buffer_load_dword v5, v32, s[0:3], 0 offen offset:36
	;; [unrolled: 1-line block ×4, first 2 shown]
	s_waitcnt vmcnt(6) lgkmcnt(0)
	v_mul_f64 v[22:23], v[12:13], v[0:1]
	v_mul_f64 v[0:1], v[10:11], v[0:1]
	s_waitcnt vmcnt(4)
	v_fma_f64 v[10:11], v[10:11], v[2:3], -v[22:23]
	v_fma_f64 v[0:1], v[12:13], v[2:3], v[0:1]
	v_add_f64 v[2:3], v[26:27], -v[10:11]
	v_add_f64 v[0:1], v[28:29], -v[0:1]
	buffer_store_dword v3, v32, s[0:3], 0 offen offset:20
	buffer_store_dword v2, v32, s[0:3], 0 offen offset:16
	;; [unrolled: 1-line block ×4, first 2 shown]
	buffer_load_dword v10, off, s[0:3], 0 offset:200
	buffer_load_dword v11, off, s[0:3], 0 offset:204
	;; [unrolled: 1-line block ×4, first 2 shown]
	ds_read2_b64 v[0:3], v33 offset0:4 offset1:5
	s_waitcnt vmcnt(2) lgkmcnt(0)
	v_mul_f64 v[22:23], v[2:3], v[10:11]
	v_mul_f64 v[10:11], v[0:1], v[10:11]
	s_waitcnt vmcnt(0)
	v_fma_f64 v[0:1], v[0:1], v[12:13], -v[22:23]
	v_fma_f64 v[2:3], v[2:3], v[12:13], v[10:11]
	v_add_f64 v[0:1], v[4:5], -v[0:1]
	v_add_f64 v[2:3], v[20:21], -v[2:3]
	buffer_store_dword v1, v32, s[0:3], 0 offen offset:36
	buffer_store_dword v0, v32, s[0:3], 0 offen offset:32
	;; [unrolled: 1-line block ×4, first 2 shown]
	s_cbranch_scc1 .LBB126_322
.LBB126_323:
	s_or_b64 exec, exec, s[4:5]
	v_mov_b32_e32 v3, s76
	s_waitcnt vmcnt(0)
	s_barrier
	buffer_load_dword v0, v3, s[0:3], 0 offen
	buffer_load_dword v1, v3, s[0:3], 0 offen offset:4
	buffer_load_dword v2, v3, s[0:3], 0 offen offset:8
	s_nop 0
	buffer_load_dword v3, v3, s[0:3], 0 offen offset:12
	v_lshl_add_u32 v4, v19, 4, v16
	s_cmp_lt_i32 s66, 15
	s_waitcnt vmcnt(0)
	ds_write2_b64 v4, v[0:1], v[2:3] offset1:1
	s_waitcnt lgkmcnt(0)
	s_barrier
	ds_read2_b64 v[0:3], v16 offset0:26 offset1:27
	v_mov_b32_e32 v4, 13
	s_cbranch_scc1 .LBB126_326
; %bb.324:
	v_add_u32_e32 v5, 0xe0, v16
	s_mov_b32 s16, 14
	v_mov_b32_e32 v4, 13
.LBB126_325:                            ; =>This Inner Loop Header: Depth=1
	s_waitcnt lgkmcnt(0)
	v_cmp_gt_f64_e32 vcc, 0, v[2:3]
	v_cmp_gt_f64_e64 s[4:5], 0, v[0:1]
	ds_read2_b64 v[10:13], v5 offset1:1
	v_xor_b32_e32 v21, 0x80000000, v1
	v_xor_b32_e32 v23, 0x80000000, v3
	v_mov_b32_e32 v20, v0
	v_mov_b32_e32 v22, v2
	s_waitcnt lgkmcnt(0)
	v_xor_b32_e32 v25, 0x80000000, v13
	v_cndmask_b32_e32 v23, v3, v23, vcc
	v_cndmask_b32_e64 v21, v1, v21, s[4:5]
	v_cmp_gt_f64_e32 vcc, 0, v[12:13]
	v_cmp_gt_f64_e64 s[4:5], 0, v[10:11]
	v_add_f64 v[20:21], v[20:21], v[22:23]
	v_xor_b32_e32 v23, 0x80000000, v11
	v_mov_b32_e32 v22, v10
	v_mov_b32_e32 v24, v12
	v_add_u32_e32 v5, 16, v5
	v_cndmask_b32_e32 v25, v13, v25, vcc
	v_cndmask_b32_e64 v23, v11, v23, s[4:5]
	v_add_f64 v[22:23], v[22:23], v[24:25]
	v_mov_b32_e32 v24, s16
	s_add_i32 s16, s16, 1
	s_cmp_lg_u32 s66, s16
	v_cmp_lt_f64_e32 vcc, v[20:21], v[22:23]
	v_cndmask_b32_e32 v1, v1, v11, vcc
	v_cndmask_b32_e32 v0, v0, v10, vcc
	;; [unrolled: 1-line block ×5, first 2 shown]
	s_cbranch_scc1 .LBB126_325
.LBB126_326:
	s_waitcnt lgkmcnt(0)
	v_cmp_eq_f64_e32 vcc, 0, v[0:1]
	v_cmp_eq_f64_e64 s[4:5], 0, v[2:3]
	s_and_b64 s[4:5], vcc, s[4:5]
	s_and_saveexec_b64 s[16:17], s[4:5]
	s_xor_b64 s[4:5], exec, s[16:17]
; %bb.327:
	v_cmp_ne_u32_e32 vcc, 0, v17
	v_cndmask_b32_e32 v17, 14, v17, vcc
; %bb.328:
	s_andn2_saveexec_b64 s[4:5], s[4:5]
	s_cbranch_execz .LBB126_334
; %bb.329:
	v_cmp_ngt_f64_e64 s[16:17], |v[0:1]|, |v[2:3]|
	s_and_saveexec_b64 s[18:19], s[16:17]
	s_xor_b64 s[18:19], exec, s[18:19]
	s_cbranch_execz .LBB126_331
; %bb.330:
	v_div_scale_f64 v[10:11], s[16:17], v[2:3], v[2:3], v[0:1]
	v_rcp_f64_e32 v[12:13], v[10:11]
	v_fma_f64 v[20:21], -v[10:11], v[12:13], 1.0
	v_fma_f64 v[12:13], v[12:13], v[20:21], v[12:13]
	v_div_scale_f64 v[20:21], vcc, v[0:1], v[2:3], v[0:1]
	v_fma_f64 v[22:23], -v[10:11], v[12:13], 1.0
	v_fma_f64 v[12:13], v[12:13], v[22:23], v[12:13]
	v_mul_f64 v[22:23], v[20:21], v[12:13]
	v_fma_f64 v[10:11], -v[10:11], v[22:23], v[20:21]
	v_div_fmas_f64 v[10:11], v[10:11], v[12:13], v[22:23]
	v_div_fixup_f64 v[10:11], v[10:11], v[2:3], v[0:1]
	v_fma_f64 v[0:1], v[0:1], v[10:11], v[2:3]
	v_div_scale_f64 v[2:3], s[16:17], v[0:1], v[0:1], 1.0
	v_div_scale_f64 v[22:23], vcc, 1.0, v[0:1], 1.0
	v_rcp_f64_e32 v[12:13], v[2:3]
	v_fma_f64 v[20:21], -v[2:3], v[12:13], 1.0
	v_fma_f64 v[12:13], v[12:13], v[20:21], v[12:13]
	v_fma_f64 v[20:21], -v[2:3], v[12:13], 1.0
	v_fma_f64 v[12:13], v[12:13], v[20:21], v[12:13]
	v_mul_f64 v[20:21], v[22:23], v[12:13]
	v_fma_f64 v[2:3], -v[2:3], v[20:21], v[22:23]
	v_div_fmas_f64 v[2:3], v[2:3], v[12:13], v[20:21]
	v_div_fixup_f64 v[2:3], v[2:3], v[0:1], 1.0
	v_mul_f64 v[0:1], v[10:11], v[2:3]
	v_xor_b32_e32 v3, 0x80000000, v3
.LBB126_331:
	s_andn2_saveexec_b64 s[18:19], s[18:19]
	s_cbranch_execz .LBB126_333
; %bb.332:
	v_div_scale_f64 v[10:11], s[16:17], v[0:1], v[0:1], v[2:3]
	v_rcp_f64_e32 v[12:13], v[10:11]
	v_fma_f64 v[20:21], -v[10:11], v[12:13], 1.0
	v_fma_f64 v[12:13], v[12:13], v[20:21], v[12:13]
	v_div_scale_f64 v[20:21], vcc, v[2:3], v[0:1], v[2:3]
	v_fma_f64 v[22:23], -v[10:11], v[12:13], 1.0
	v_fma_f64 v[12:13], v[12:13], v[22:23], v[12:13]
	v_mul_f64 v[22:23], v[20:21], v[12:13]
	v_fma_f64 v[10:11], -v[10:11], v[22:23], v[20:21]
	v_div_fmas_f64 v[10:11], v[10:11], v[12:13], v[22:23]
	v_div_fixup_f64 v[10:11], v[10:11], v[0:1], v[2:3]
	v_fma_f64 v[0:1], v[2:3], v[10:11], v[0:1]
	v_div_scale_f64 v[2:3], s[16:17], v[0:1], v[0:1], 1.0
	v_div_scale_f64 v[22:23], vcc, 1.0, v[0:1], 1.0
	v_rcp_f64_e32 v[12:13], v[2:3]
	v_fma_f64 v[20:21], -v[2:3], v[12:13], 1.0
	v_fma_f64 v[12:13], v[12:13], v[20:21], v[12:13]
	v_fma_f64 v[20:21], -v[2:3], v[12:13], 1.0
	v_fma_f64 v[12:13], v[12:13], v[20:21], v[12:13]
	v_mul_f64 v[20:21], v[22:23], v[12:13]
	v_fma_f64 v[2:3], -v[2:3], v[20:21], v[22:23]
	v_div_fmas_f64 v[2:3], v[2:3], v[12:13], v[20:21]
	v_div_fixup_f64 v[0:1], v[2:3], v[0:1], 1.0
	v_mul_f64 v[2:3], v[10:11], -v[0:1]
.LBB126_333:
	s_or_b64 exec, exec, s[18:19]
.LBB126_334:
	s_or_b64 exec, exec, s[4:5]
	v_cmp_ne_u32_e32 vcc, v19, v4
	s_and_saveexec_b64 s[4:5], vcc
	s_xor_b64 s[4:5], exec, s[4:5]
	s_cbranch_execz .LBB126_340
; %bb.335:
	v_cmp_eq_u32_e32 vcc, 13, v19
	s_and_saveexec_b64 s[18:19], vcc
	s_cbranch_execz .LBB126_339
; %bb.336:
	v_cmp_ne_u32_e32 vcc, 13, v4
	s_xor_b64 s[16:17], s[10:11], -1
	s_and_b64 s[16:17], s[16:17], vcc
	s_and_saveexec_b64 s[24:25], s[16:17]
	s_cbranch_execz .LBB126_338
; %bb.337:
	v_ashrrev_i32_e32 v5, 31, v4
	v_lshlrev_b64 v[10:11], 2, v[4:5]
	v_add_co_u32_e32 v10, vcc, v8, v10
	v_addc_co_u32_e32 v11, vcc, v9, v11, vcc
	global_load_dword v5, v[10:11], off
	global_load_dword v12, v[8:9], off offset:52
	s_waitcnt vmcnt(1)
	global_store_dword v[8:9], v5, off offset:52
	s_waitcnt vmcnt(1)
	global_store_dword v[10:11], v12, off
.LBB126_338:
	s_or_b64 exec, exec, s[24:25]
	v_mov_b32_e32 v19, v4
	v_mov_b32_e32 v18, v4
.LBB126_339:
	s_or_b64 exec, exec, s[18:19]
.LBB126_340:
	s_andn2_saveexec_b64 s[4:5], s[4:5]
	s_cbranch_execz .LBB126_344
; %bb.341:
	s_movk_i32 s16, 0xe0
.LBB126_342:                            ; =>This Inner Loop Header: Depth=1
	v_mov_b32_e32 v52, s16
	buffer_load_dword v4, v52, s[0:3], 0 offen
	buffer_load_dword v5, v52, s[0:3], 0 offen offset:4
	buffer_load_dword v10, v52, s[0:3], 0 offen offset:8
	;; [unrolled: 1-line block ×38, first 2 shown]
	s_nop 0
	buffer_load_dword v52, v52, s[0:3], 0 offen offset:156
	v_add_u32_e32 v53, s16, v16
	s_addk_i32 s16, 0xa0
	s_cmpk_eq_i32 s16, 0x400
	s_waitcnt vmcnt(36)
	ds_write2_b64 v53, v[4:5], v[10:11] offset1:1
	s_waitcnt vmcnt(32)
	ds_write2_b64 v53, v[12:13], v[19:20] offset0:2 offset1:3
	s_waitcnt vmcnt(28)
	ds_write2_b64 v53, v[21:22], v[23:24] offset0:4 offset1:5
	;; [unrolled: 2-line block ×4, first 2 shown]
	ds_write2_b64 v53, v[33:34], v[31:32] offset0:10 offset1:11
	s_waitcnt vmcnt(8)
	ds_write2_b64 v53, v[43:44], v[37:38] offset0:12 offset1:13
	ds_write2_b64 v53, v[41:42], v[39:40] offset0:14 offset1:15
	s_waitcnt vmcnt(4)
	ds_write2_b64 v53, v[45:46], v[47:48] offset0:16 offset1:17
	s_waitcnt vmcnt(0)
	ds_write2_b64 v53, v[49:50], v[51:52] offset0:18 offset1:19
	s_cbranch_scc0 .LBB126_342
; %bb.343:
	v_mov_b32_e32 v19, 13
.LBB126_344:
	s_or_b64 exec, exec, s[4:5]
	v_cmp_lt_i32_e32 vcc, 13, v19
	s_waitcnt vmcnt(0) lgkmcnt(0)
	s_barrier
	s_and_saveexec_b64 s[4:5], vcc
	s_cbranch_execz .LBB126_347
; %bb.345:
	buffer_load_dword v4, off, s[0:3], 0 offset:216
	buffer_load_dword v5, off, s[0:3], 0 offset:220
	;; [unrolled: 1-line block ×4, first 2 shown]
	s_movk_i32 s18, 0xe0
	s_waitcnt vmcnt(2)
	v_mul_f64 v[12:13], v[2:3], v[4:5]
	v_mul_f64 v[4:5], v[0:1], v[4:5]
	s_waitcnt vmcnt(0)
	v_fma_f64 v[0:1], v[0:1], v[10:11], -v[12:13]
	v_fma_f64 v[2:3], v[2:3], v[10:11], v[4:5]
	buffer_store_dword v0, off, s[0:3], 0 offset:208
	buffer_store_dword v1, off, s[0:3], 0 offset:212
	;; [unrolled: 1-line block ×4, first 2 shown]
.LBB126_346:                            ; =>This Inner Loop Header: Depth=1
	buffer_load_dword v4, off, s[0:3], 0 offset:216
	buffer_load_dword v5, off, s[0:3], 0 offset:220
	;; [unrolled: 1-line block ×4, first 2 shown]
	v_mov_b32_e32 v32, s18
	buffer_load_dword v22, v32, s[0:3], 0 offen
	buffer_load_dword v23, v32, s[0:3], 0 offen offset:4
	buffer_load_dword v24, v32, s[0:3], 0 offen offset:8
	;; [unrolled: 1-line block ×3, first 2 shown]
	v_add_u32_e32 v33, s18, v16
	ds_read2_b64 v[0:3], v33 offset1:1
	buffer_load_dword v26, v32, s[0:3], 0 offen offset:16
	buffer_load_dword v27, v32, s[0:3], 0 offen offset:20
	;; [unrolled: 1-line block ×4, first 2 shown]
	ds_read2_b64 v[10:13], v33 offset0:2 offset1:3
	s_addk_i32 s18, 0x50
	s_cmpk_lg_i32 s18, 0x400
	s_waitcnt vmcnt(10) lgkmcnt(1)
	v_mul_f64 v[30:31], v[2:3], v[4:5]
	v_mul_f64 v[4:5], v[0:1], v[4:5]
	s_waitcnt vmcnt(8)
	v_fma_f64 v[0:1], v[0:1], v[20:21], -v[30:31]
	v_fma_f64 v[2:3], v[2:3], v[20:21], v[4:5]
	s_waitcnt vmcnt(6)
	v_add_f64 v[0:1], v[22:23], -v[0:1]
	s_waitcnt vmcnt(4)
	v_add_f64 v[2:3], v[24:25], -v[2:3]
	buffer_store_dword v1, v32, s[0:3], 0 offen offset:4
	buffer_store_dword v0, v32, s[0:3], 0 offen
	buffer_store_dword v3, v32, s[0:3], 0 offen offset:12
	buffer_store_dword v2, v32, s[0:3], 0 offen offset:8
	buffer_load_dword v1, off, s[0:3], 0 offset:220
	s_nop 0
	buffer_load_dword v0, off, s[0:3], 0 offset:216
	buffer_load_dword v3, off, s[0:3], 0 offset:212
	;; [unrolled: 1-line block ×3, first 2 shown]
	buffer_load_dword v4, v32, s[0:3], 0 offen offset:32
	buffer_load_dword v5, v32, s[0:3], 0 offen offset:36
	;; [unrolled: 1-line block ×4, first 2 shown]
	s_waitcnt vmcnt(6) lgkmcnt(0)
	v_mul_f64 v[22:23], v[12:13], v[0:1]
	v_mul_f64 v[0:1], v[10:11], v[0:1]
	s_waitcnt vmcnt(4)
	v_fma_f64 v[10:11], v[10:11], v[2:3], -v[22:23]
	v_fma_f64 v[0:1], v[12:13], v[2:3], v[0:1]
	v_add_f64 v[2:3], v[26:27], -v[10:11]
	v_add_f64 v[0:1], v[28:29], -v[0:1]
	buffer_store_dword v3, v32, s[0:3], 0 offen offset:20
	buffer_store_dword v2, v32, s[0:3], 0 offen offset:16
	;; [unrolled: 1-line block ×4, first 2 shown]
	buffer_load_dword v22, off, s[0:3], 0 offset:216
	buffer_load_dword v23, off, s[0:3], 0 offset:220
	;; [unrolled: 1-line block ×4, first 2 shown]
	ds_read2_b64 v[0:3], v33 offset0:4 offset1:5
	ds_read2_b64 v[10:13], v33 offset0:6 offset1:7
	s_waitcnt vmcnt(2) lgkmcnt(1)
	v_mul_f64 v[26:27], v[2:3], v[22:23]
	v_mul_f64 v[22:23], v[0:1], v[22:23]
	s_waitcnt vmcnt(0)
	v_fma_f64 v[0:1], v[0:1], v[24:25], -v[26:27]
	v_fma_f64 v[2:3], v[2:3], v[24:25], v[22:23]
	v_add_f64 v[0:1], v[4:5], -v[0:1]
	v_add_f64 v[2:3], v[20:21], -v[2:3]
	buffer_store_dword v1, v32, s[0:3], 0 offen offset:36
	buffer_store_dword v0, v32, s[0:3], 0 offen offset:32
	buffer_store_dword v3, v32, s[0:3], 0 offen offset:44
	buffer_store_dword v2, v32, s[0:3], 0 offen offset:40
	buffer_load_dword v0, off, s[0:3], 0 offset:216
	s_nop 0
	buffer_load_dword v1, off, s[0:3], 0 offset:220
	buffer_load_dword v2, off, s[0:3], 0 offset:208
	;; [unrolled: 1-line block ×3, first 2 shown]
	buffer_load_dword v4, v32, s[0:3], 0 offen offset:48
	buffer_load_dword v5, v32, s[0:3], 0 offen offset:52
	;; [unrolled: 1-line block ×4, first 2 shown]
	s_waitcnt vmcnt(6) lgkmcnt(0)
	v_mul_f64 v[22:23], v[12:13], v[0:1]
	v_mul_f64 v[0:1], v[10:11], v[0:1]
	s_waitcnt vmcnt(4)
	v_fma_f64 v[10:11], v[10:11], v[2:3], -v[22:23]
	v_fma_f64 v[0:1], v[12:13], v[2:3], v[0:1]
	s_waitcnt vmcnt(2)
	v_add_f64 v[2:3], v[4:5], -v[10:11]
	s_waitcnt vmcnt(0)
	v_add_f64 v[0:1], v[20:21], -v[0:1]
	buffer_store_dword v3, v32, s[0:3], 0 offen offset:52
	buffer_store_dword v2, v32, s[0:3], 0 offen offset:48
	;; [unrolled: 1-line block ×4, first 2 shown]
	buffer_load_dword v4, off, s[0:3], 0 offset:216
	buffer_load_dword v5, off, s[0:3], 0 offset:220
	;; [unrolled: 1-line block ×4, first 2 shown]
	buffer_load_dword v12, v32, s[0:3], 0 offen offset:64
	buffer_load_dword v13, v32, s[0:3], 0 offen offset:68
	;; [unrolled: 1-line block ×4, first 2 shown]
	ds_read2_b64 v[0:3], v33 offset0:8 offset1:9
	s_waitcnt vmcnt(6) lgkmcnt(0)
	v_mul_f64 v[22:23], v[2:3], v[4:5]
	v_mul_f64 v[4:5], v[0:1], v[4:5]
	s_waitcnt vmcnt(4)
	v_fma_f64 v[0:1], v[0:1], v[10:11], -v[22:23]
	v_fma_f64 v[2:3], v[2:3], v[10:11], v[4:5]
	s_waitcnt vmcnt(2)
	v_add_f64 v[0:1], v[12:13], -v[0:1]
	s_waitcnt vmcnt(0)
	v_add_f64 v[2:3], v[20:21], -v[2:3]
	buffer_store_dword v1, v32, s[0:3], 0 offen offset:68
	buffer_store_dword v0, v32, s[0:3], 0 offen offset:64
	;; [unrolled: 1-line block ×4, first 2 shown]
	s_cbranch_scc1 .LBB126_346
.LBB126_347:
	s_or_b64 exec, exec, s[4:5]
	v_mov_b32_e32 v3, s75
	s_waitcnt vmcnt(0)
	s_barrier
	buffer_load_dword v0, v3, s[0:3], 0 offen
	buffer_load_dword v1, v3, s[0:3], 0 offen offset:4
	buffer_load_dword v2, v3, s[0:3], 0 offen offset:8
	s_nop 0
	buffer_load_dword v3, v3, s[0:3], 0 offen offset:12
	v_lshl_add_u32 v4, v19, 4, v16
	s_cmp_lt_i32 s66, 16
	s_waitcnt vmcnt(0)
	ds_write2_b64 v4, v[0:1], v[2:3] offset1:1
	s_waitcnt lgkmcnt(0)
	s_barrier
	ds_read2_b64 v[0:3], v16 offset0:28 offset1:29
	v_mov_b32_e32 v4, 14
	s_cbranch_scc1 .LBB126_350
; %bb.348:
	v_add_u32_e32 v5, 0xf0, v16
	s_mov_b32 s16, 15
	v_mov_b32_e32 v4, 14
.LBB126_349:                            ; =>This Inner Loop Header: Depth=1
	s_waitcnt lgkmcnt(0)
	v_cmp_gt_f64_e32 vcc, 0, v[2:3]
	v_cmp_gt_f64_e64 s[4:5], 0, v[0:1]
	ds_read2_b64 v[10:13], v5 offset1:1
	v_xor_b32_e32 v21, 0x80000000, v1
	v_xor_b32_e32 v23, 0x80000000, v3
	v_mov_b32_e32 v20, v0
	v_mov_b32_e32 v22, v2
	s_waitcnt lgkmcnt(0)
	v_xor_b32_e32 v25, 0x80000000, v13
	v_cndmask_b32_e32 v23, v3, v23, vcc
	v_cndmask_b32_e64 v21, v1, v21, s[4:5]
	v_cmp_gt_f64_e32 vcc, 0, v[12:13]
	v_cmp_gt_f64_e64 s[4:5], 0, v[10:11]
	v_add_f64 v[20:21], v[20:21], v[22:23]
	v_xor_b32_e32 v23, 0x80000000, v11
	v_mov_b32_e32 v22, v10
	v_mov_b32_e32 v24, v12
	v_add_u32_e32 v5, 16, v5
	v_cndmask_b32_e32 v25, v13, v25, vcc
	v_cndmask_b32_e64 v23, v11, v23, s[4:5]
	v_add_f64 v[22:23], v[22:23], v[24:25]
	v_mov_b32_e32 v24, s16
	s_add_i32 s16, s16, 1
	s_cmp_lg_u32 s66, s16
	v_cmp_lt_f64_e32 vcc, v[20:21], v[22:23]
	v_cndmask_b32_e32 v1, v1, v11, vcc
	v_cndmask_b32_e32 v0, v0, v10, vcc
	v_cndmask_b32_e32 v3, v3, v13, vcc
	v_cndmask_b32_e32 v2, v2, v12, vcc
	v_cndmask_b32_e32 v4, v4, v24, vcc
	s_cbranch_scc1 .LBB126_349
.LBB126_350:
	s_waitcnt lgkmcnt(0)
	v_cmp_eq_f64_e32 vcc, 0, v[0:1]
	v_cmp_eq_f64_e64 s[4:5], 0, v[2:3]
	s_and_b64 s[4:5], vcc, s[4:5]
	s_and_saveexec_b64 s[16:17], s[4:5]
	s_xor_b64 s[4:5], exec, s[16:17]
; %bb.351:
	v_cmp_ne_u32_e32 vcc, 0, v17
	v_cndmask_b32_e32 v17, 15, v17, vcc
; %bb.352:
	s_andn2_saveexec_b64 s[4:5], s[4:5]
	s_cbranch_execz .LBB126_358
; %bb.353:
	v_cmp_ngt_f64_e64 s[16:17], |v[0:1]|, |v[2:3]|
	s_and_saveexec_b64 s[18:19], s[16:17]
	s_xor_b64 s[18:19], exec, s[18:19]
	s_cbranch_execz .LBB126_355
; %bb.354:
	v_div_scale_f64 v[10:11], s[16:17], v[2:3], v[2:3], v[0:1]
	v_rcp_f64_e32 v[12:13], v[10:11]
	v_fma_f64 v[20:21], -v[10:11], v[12:13], 1.0
	v_fma_f64 v[12:13], v[12:13], v[20:21], v[12:13]
	v_div_scale_f64 v[20:21], vcc, v[0:1], v[2:3], v[0:1]
	v_fma_f64 v[22:23], -v[10:11], v[12:13], 1.0
	v_fma_f64 v[12:13], v[12:13], v[22:23], v[12:13]
	v_mul_f64 v[22:23], v[20:21], v[12:13]
	v_fma_f64 v[10:11], -v[10:11], v[22:23], v[20:21]
	v_div_fmas_f64 v[10:11], v[10:11], v[12:13], v[22:23]
	v_div_fixup_f64 v[10:11], v[10:11], v[2:3], v[0:1]
	v_fma_f64 v[0:1], v[0:1], v[10:11], v[2:3]
	v_div_scale_f64 v[2:3], s[16:17], v[0:1], v[0:1], 1.0
	v_div_scale_f64 v[22:23], vcc, 1.0, v[0:1], 1.0
	v_rcp_f64_e32 v[12:13], v[2:3]
	v_fma_f64 v[20:21], -v[2:3], v[12:13], 1.0
	v_fma_f64 v[12:13], v[12:13], v[20:21], v[12:13]
	v_fma_f64 v[20:21], -v[2:3], v[12:13], 1.0
	v_fma_f64 v[12:13], v[12:13], v[20:21], v[12:13]
	v_mul_f64 v[20:21], v[22:23], v[12:13]
	v_fma_f64 v[2:3], -v[2:3], v[20:21], v[22:23]
	v_div_fmas_f64 v[2:3], v[2:3], v[12:13], v[20:21]
	v_div_fixup_f64 v[2:3], v[2:3], v[0:1], 1.0
	v_mul_f64 v[0:1], v[10:11], v[2:3]
	v_xor_b32_e32 v3, 0x80000000, v3
.LBB126_355:
	s_andn2_saveexec_b64 s[18:19], s[18:19]
	s_cbranch_execz .LBB126_357
; %bb.356:
	v_div_scale_f64 v[10:11], s[16:17], v[0:1], v[0:1], v[2:3]
	v_rcp_f64_e32 v[12:13], v[10:11]
	v_fma_f64 v[20:21], -v[10:11], v[12:13], 1.0
	v_fma_f64 v[12:13], v[12:13], v[20:21], v[12:13]
	v_div_scale_f64 v[20:21], vcc, v[2:3], v[0:1], v[2:3]
	v_fma_f64 v[22:23], -v[10:11], v[12:13], 1.0
	v_fma_f64 v[12:13], v[12:13], v[22:23], v[12:13]
	v_mul_f64 v[22:23], v[20:21], v[12:13]
	v_fma_f64 v[10:11], -v[10:11], v[22:23], v[20:21]
	v_div_fmas_f64 v[10:11], v[10:11], v[12:13], v[22:23]
	v_div_fixup_f64 v[10:11], v[10:11], v[0:1], v[2:3]
	v_fma_f64 v[0:1], v[2:3], v[10:11], v[0:1]
	v_div_scale_f64 v[2:3], s[16:17], v[0:1], v[0:1], 1.0
	v_div_scale_f64 v[22:23], vcc, 1.0, v[0:1], 1.0
	v_rcp_f64_e32 v[12:13], v[2:3]
	v_fma_f64 v[20:21], -v[2:3], v[12:13], 1.0
	v_fma_f64 v[12:13], v[12:13], v[20:21], v[12:13]
	v_fma_f64 v[20:21], -v[2:3], v[12:13], 1.0
	v_fma_f64 v[12:13], v[12:13], v[20:21], v[12:13]
	v_mul_f64 v[20:21], v[22:23], v[12:13]
	v_fma_f64 v[2:3], -v[2:3], v[20:21], v[22:23]
	v_div_fmas_f64 v[2:3], v[2:3], v[12:13], v[20:21]
	v_div_fixup_f64 v[0:1], v[2:3], v[0:1], 1.0
	v_mul_f64 v[2:3], v[10:11], -v[0:1]
.LBB126_357:
	s_or_b64 exec, exec, s[18:19]
.LBB126_358:
	s_or_b64 exec, exec, s[4:5]
	v_cmp_ne_u32_e32 vcc, v19, v4
	s_and_saveexec_b64 s[4:5], vcc
	s_xor_b64 s[4:5], exec, s[4:5]
	s_cbranch_execz .LBB126_364
; %bb.359:
	v_cmp_eq_u32_e32 vcc, 14, v19
	s_and_saveexec_b64 s[18:19], vcc
	s_cbranch_execz .LBB126_363
; %bb.360:
	v_cmp_ne_u32_e32 vcc, 14, v4
	s_xor_b64 s[16:17], s[10:11], -1
	s_and_b64 s[16:17], s[16:17], vcc
	s_and_saveexec_b64 s[24:25], s[16:17]
	s_cbranch_execz .LBB126_362
; %bb.361:
	v_ashrrev_i32_e32 v5, 31, v4
	v_lshlrev_b64 v[10:11], 2, v[4:5]
	v_add_co_u32_e32 v10, vcc, v8, v10
	v_addc_co_u32_e32 v11, vcc, v9, v11, vcc
	global_load_dword v5, v[10:11], off
	global_load_dword v12, v[8:9], off offset:56
	s_waitcnt vmcnt(1)
	global_store_dword v[8:9], v5, off offset:56
	s_waitcnt vmcnt(1)
	global_store_dword v[10:11], v12, off
.LBB126_362:
	s_or_b64 exec, exec, s[24:25]
	v_mov_b32_e32 v19, v4
	v_mov_b32_e32 v18, v4
.LBB126_363:
	s_or_b64 exec, exec, s[18:19]
.LBB126_364:
	s_andn2_saveexec_b64 s[4:5], s[4:5]
	s_cbranch_execz .LBB126_368
; %bb.365:
	s_movk_i32 s16, 0xf0
.LBB126_366:                            ; =>This Inner Loop Header: Depth=1
	v_mov_b32_e32 v39, s16
	buffer_load_dword v4, v39, s[0:3], 0 offen
	buffer_load_dword v5, v39, s[0:3], 0 offen offset:4
	buffer_load_dword v10, v39, s[0:3], 0 offen offset:8
	;; [unrolled: 1-line block ×26, first 2 shown]
	s_nop 0
	buffer_load_dword v39, v39, s[0:3], 0 offen offset:96
	v_add_u32_e32 v41, s16, v16
	s_addk_i32 s16, 0x70
	s_cmpk_eq_i32 s16, 0x400
	s_waitcnt vmcnt(24)
	ds_write2_b64 v41, v[4:5], v[10:11] offset1:1
	s_waitcnt vmcnt(20)
	ds_write2_b64 v41, v[12:13], v[19:20] offset0:2 offset1:3
	s_waitcnt vmcnt(16)
	ds_write2_b64 v41, v[21:22], v[23:24] offset0:4 offset1:5
	;; [unrolled: 2-line block ×4, first 2 shown]
	ds_write2_b64 v41, v[33:34], v[31:32] offset0:10 offset1:11
	s_waitcnt vmcnt(0)
	ds_write2_b64 v41, v[39:40], v[37:38] offset0:12 offset1:13
	s_cbranch_scc0 .LBB126_366
; %bb.367:
	v_mov_b32_e32 v19, 14
.LBB126_368:
	s_or_b64 exec, exec, s[4:5]
	v_cmp_lt_i32_e32 vcc, 14, v19
	s_waitcnt vmcnt(0) lgkmcnt(0)
	s_barrier
	s_and_saveexec_b64 s[4:5], vcc
	s_cbranch_execz .LBB126_371
; %bb.369:
	buffer_load_dword v4, off, s[0:3], 0 offset:232
	buffer_load_dword v5, off, s[0:3], 0 offset:236
	;; [unrolled: 1-line block ×4, first 2 shown]
	s_movk_i32 s18, 0xf0
	s_waitcnt vmcnt(2)
	v_mul_f64 v[12:13], v[2:3], v[4:5]
	v_mul_f64 v[4:5], v[0:1], v[4:5]
	s_waitcnt vmcnt(0)
	v_fma_f64 v[0:1], v[0:1], v[10:11], -v[12:13]
	v_fma_f64 v[2:3], v[2:3], v[10:11], v[4:5]
	buffer_store_dword v0, off, s[0:3], 0 offset:224
	buffer_store_dword v1, off, s[0:3], 0 offset:228
	;; [unrolled: 1-line block ×4, first 2 shown]
.LBB126_370:                            ; =>This Inner Loop Header: Depth=1
	buffer_load_dword v20, off, s[0:3], 0 offset:232
	buffer_load_dword v21, off, s[0:3], 0 offset:236
	;; [unrolled: 1-line block ×4, first 2 shown]
	v_mov_b32_e32 v0, s18
	buffer_load_dword v24, v0, s[0:3], 0 offen
	buffer_load_dword v25, v0, s[0:3], 0 offen offset:4
	buffer_load_dword v26, v0, s[0:3], 0 offen offset:8
	;; [unrolled: 1-line block ×3, first 2 shown]
	v_add_u32_e32 v5, s18, v16
	ds_read2_b64 v[1:4], v5 offset1:1
	buffer_load_dword v28, v0, s[0:3], 0 offen offset:16
	buffer_load_dword v29, v0, s[0:3], 0 offen offset:20
	;; [unrolled: 1-line block ×4, first 2 shown]
	ds_read2_b64 v[10:13], v5 offset0:2 offset1:3
	s_addk_i32 s18, 0x70
	s_cmpk_lg_i32 s18, 0x400
	s_waitcnt vmcnt(10) lgkmcnt(1)
	v_mul_f64 v[32:33], v[3:4], v[20:21]
	v_mul_f64 v[20:21], v[1:2], v[20:21]
	s_waitcnt vmcnt(8)
	v_fma_f64 v[1:2], v[1:2], v[22:23], -v[32:33]
	v_fma_f64 v[3:4], v[3:4], v[22:23], v[20:21]
	s_waitcnt vmcnt(6)
	v_add_f64 v[1:2], v[24:25], -v[1:2]
	s_waitcnt vmcnt(4)
	v_add_f64 v[3:4], v[26:27], -v[3:4]
	buffer_store_dword v2, v0, s[0:3], 0 offen offset:4
	buffer_store_dword v1, v0, s[0:3], 0 offen
	buffer_store_dword v4, v0, s[0:3], 0 offen offset:12
	buffer_store_dword v3, v0, s[0:3], 0 offen offset:8
	buffer_load_dword v2, off, s[0:3], 0 offset:236
	s_nop 0
	buffer_load_dword v1, off, s[0:3], 0 offset:232
	buffer_load_dword v4, off, s[0:3], 0 offset:228
	;; [unrolled: 1-line block ×3, first 2 shown]
	buffer_load_dword v20, v0, s[0:3], 0 offen offset:32
	buffer_load_dword v21, v0, s[0:3], 0 offen offset:36
	;; [unrolled: 1-line block ×4, first 2 shown]
	s_waitcnt vmcnt(6) lgkmcnt(0)
	v_mul_f64 v[24:25], v[12:13], v[1:2]
	v_mul_f64 v[1:2], v[10:11], v[1:2]
	s_waitcnt vmcnt(4)
	v_fma_f64 v[10:11], v[10:11], v[3:4], -v[24:25]
	v_fma_f64 v[1:2], v[12:13], v[3:4], v[1:2]
	v_add_f64 v[3:4], v[28:29], -v[10:11]
	v_add_f64 v[1:2], v[30:31], -v[1:2]
	buffer_store_dword v4, v0, s[0:3], 0 offen offset:20
	buffer_store_dword v3, v0, s[0:3], 0 offen offset:16
	;; [unrolled: 1-line block ×4, first 2 shown]
	buffer_load_dword v24, off, s[0:3], 0 offset:232
	buffer_load_dword v25, off, s[0:3], 0 offset:236
	;; [unrolled: 1-line block ×4, first 2 shown]
	ds_read2_b64 v[1:4], v5 offset0:4 offset1:5
	ds_read2_b64 v[10:13], v5 offset0:6 offset1:7
	s_waitcnt vmcnt(2) lgkmcnt(1)
	v_mul_f64 v[28:29], v[3:4], v[24:25]
	v_mul_f64 v[24:25], v[1:2], v[24:25]
	s_waitcnt vmcnt(0)
	v_fma_f64 v[1:2], v[1:2], v[26:27], -v[28:29]
	v_fma_f64 v[3:4], v[3:4], v[26:27], v[24:25]
	v_add_f64 v[1:2], v[20:21], -v[1:2]
	v_add_f64 v[3:4], v[22:23], -v[3:4]
	buffer_store_dword v2, v0, s[0:3], 0 offen offset:36
	buffer_store_dword v1, v0, s[0:3], 0 offen offset:32
	;; [unrolled: 1-line block ×4, first 2 shown]
	buffer_load_dword v1, off, s[0:3], 0 offset:232
	s_nop 0
	buffer_load_dword v2, off, s[0:3], 0 offset:236
	buffer_load_dword v3, off, s[0:3], 0 offset:224
	;; [unrolled: 1-line block ×3, first 2 shown]
	buffer_load_dword v20, v0, s[0:3], 0 offen offset:48
	buffer_load_dword v21, v0, s[0:3], 0 offen offset:52
	buffer_load_dword v22, v0, s[0:3], 0 offen offset:56
	buffer_load_dword v23, v0, s[0:3], 0 offen offset:60
	s_waitcnt vmcnt(6) lgkmcnt(0)
	v_mul_f64 v[24:25], v[12:13], v[1:2]
	v_mul_f64 v[1:2], v[10:11], v[1:2]
	s_waitcnt vmcnt(4)
	v_fma_f64 v[10:11], v[10:11], v[3:4], -v[24:25]
	v_fma_f64 v[1:2], v[12:13], v[3:4], v[1:2]
	s_waitcnt vmcnt(2)
	v_add_f64 v[3:4], v[20:21], -v[10:11]
	s_waitcnt vmcnt(0)
	v_add_f64 v[1:2], v[22:23], -v[1:2]
	buffer_store_dword v4, v0, s[0:3], 0 offen offset:52
	buffer_store_dword v3, v0, s[0:3], 0 offen offset:48
	buffer_store_dword v2, v0, s[0:3], 0 offen offset:60
	buffer_store_dword v1, v0, s[0:3], 0 offen offset:56
	buffer_load_dword v20, off, s[0:3], 0 offset:232
	buffer_load_dword v21, off, s[0:3], 0 offset:236
	buffer_load_dword v22, off, s[0:3], 0 offset:224
	buffer_load_dword v23, off, s[0:3], 0 offset:228
	buffer_load_dword v24, v0, s[0:3], 0 offen offset:64
	buffer_load_dword v25, v0, s[0:3], 0 offen offset:68
	;; [unrolled: 1-line block ×4, first 2 shown]
	ds_read2_b64 v[1:4], v5 offset0:8 offset1:9
	ds_read2_b64 v[10:13], v5 offset0:10 offset1:11
	s_waitcnt vmcnt(6) lgkmcnt(1)
	v_mul_f64 v[28:29], v[3:4], v[20:21]
	v_mul_f64 v[20:21], v[1:2], v[20:21]
	s_waitcnt vmcnt(4)
	v_fma_f64 v[1:2], v[1:2], v[22:23], -v[28:29]
	v_fma_f64 v[3:4], v[3:4], v[22:23], v[20:21]
	s_waitcnt vmcnt(2)
	v_add_f64 v[1:2], v[24:25], -v[1:2]
	s_waitcnt vmcnt(0)
	v_add_f64 v[3:4], v[26:27], -v[3:4]
	buffer_store_dword v2, v0, s[0:3], 0 offen offset:68
	buffer_store_dword v1, v0, s[0:3], 0 offen offset:64
	buffer_store_dword v4, v0, s[0:3], 0 offen offset:76
	buffer_store_dword v3, v0, s[0:3], 0 offen offset:72
	buffer_load_dword v1, off, s[0:3], 0 offset:232
	s_nop 0
	buffer_load_dword v2, off, s[0:3], 0 offset:236
	buffer_load_dword v3, off, s[0:3], 0 offset:224
	;; [unrolled: 1-line block ×3, first 2 shown]
	buffer_load_dword v20, v0, s[0:3], 0 offen offset:80
	buffer_load_dword v21, v0, s[0:3], 0 offen offset:84
	;; [unrolled: 1-line block ×4, first 2 shown]
	s_waitcnt vmcnt(6) lgkmcnt(0)
	v_mul_f64 v[24:25], v[12:13], v[1:2]
	v_mul_f64 v[1:2], v[10:11], v[1:2]
	s_waitcnt vmcnt(4)
	v_fma_f64 v[10:11], v[10:11], v[3:4], -v[24:25]
	v_fma_f64 v[1:2], v[12:13], v[3:4], v[1:2]
	s_waitcnt vmcnt(2)
	v_add_f64 v[3:4], v[20:21], -v[10:11]
	s_waitcnt vmcnt(0)
	v_add_f64 v[1:2], v[22:23], -v[1:2]
	buffer_store_dword v4, v0, s[0:3], 0 offen offset:84
	buffer_store_dword v3, v0, s[0:3], 0 offen offset:80
	;; [unrolled: 1-line block ×4, first 2 shown]
	buffer_load_dword v10, off, s[0:3], 0 offset:232
	buffer_load_dword v11, off, s[0:3], 0 offset:236
	;; [unrolled: 1-line block ×4, first 2 shown]
	buffer_load_dword v20, v0, s[0:3], 0 offen offset:96
	buffer_load_dword v21, v0, s[0:3], 0 offen offset:100
	;; [unrolled: 1-line block ×4, first 2 shown]
	ds_read2_b64 v[1:4], v5 offset0:12 offset1:13
	s_waitcnt vmcnt(6) lgkmcnt(0)
	v_mul_f64 v[24:25], v[3:4], v[10:11]
	v_mul_f64 v[10:11], v[1:2], v[10:11]
	s_waitcnt vmcnt(4)
	v_fma_f64 v[1:2], v[1:2], v[12:13], -v[24:25]
	v_fma_f64 v[3:4], v[3:4], v[12:13], v[10:11]
	s_waitcnt vmcnt(2)
	v_add_f64 v[1:2], v[20:21], -v[1:2]
	s_waitcnt vmcnt(0)
	v_add_f64 v[3:4], v[22:23], -v[3:4]
	buffer_store_dword v2, v0, s[0:3], 0 offen offset:100
	buffer_store_dword v1, v0, s[0:3], 0 offen offset:96
	;; [unrolled: 1-line block ×4, first 2 shown]
	s_cbranch_scc1 .LBB126_370
.LBB126_371:
	s_or_b64 exec, exec, s[4:5]
	v_mov_b32_e32 v3, s74
	s_waitcnt vmcnt(0)
	s_barrier
	buffer_load_dword v0, v3, s[0:3], 0 offen
	buffer_load_dword v1, v3, s[0:3], 0 offen offset:4
	buffer_load_dword v2, v3, s[0:3], 0 offen offset:8
	s_nop 0
	buffer_load_dword v3, v3, s[0:3], 0 offen offset:12
	v_lshl_add_u32 v4, v19, 4, v16
	s_cmp_lt_i32 s66, 17
	s_waitcnt vmcnt(0)
	ds_write2_b64 v4, v[0:1], v[2:3] offset1:1
	s_waitcnt lgkmcnt(0)
	s_barrier
	ds_read2_b64 v[0:3], v16 offset0:30 offset1:31
	v_mov_b32_e32 v4, 15
	s_cbranch_scc1 .LBB126_374
; %bb.372:
	v_add_u32_e32 v5, 0x100, v16
	s_mov_b32 s16, 16
	v_mov_b32_e32 v4, 15
.LBB126_373:                            ; =>This Inner Loop Header: Depth=1
	s_waitcnt lgkmcnt(0)
	v_cmp_gt_f64_e32 vcc, 0, v[2:3]
	v_cmp_gt_f64_e64 s[4:5], 0, v[0:1]
	ds_read2_b64 v[10:13], v5 offset1:1
	v_xor_b32_e32 v21, 0x80000000, v1
	v_xor_b32_e32 v23, 0x80000000, v3
	v_mov_b32_e32 v20, v0
	v_mov_b32_e32 v22, v2
	s_waitcnt lgkmcnt(0)
	v_xor_b32_e32 v25, 0x80000000, v13
	v_cndmask_b32_e32 v23, v3, v23, vcc
	v_cndmask_b32_e64 v21, v1, v21, s[4:5]
	v_cmp_gt_f64_e32 vcc, 0, v[12:13]
	v_cmp_gt_f64_e64 s[4:5], 0, v[10:11]
	v_add_f64 v[20:21], v[20:21], v[22:23]
	v_xor_b32_e32 v23, 0x80000000, v11
	v_mov_b32_e32 v22, v10
	v_mov_b32_e32 v24, v12
	v_add_u32_e32 v5, 16, v5
	v_cndmask_b32_e32 v25, v13, v25, vcc
	v_cndmask_b32_e64 v23, v11, v23, s[4:5]
	v_add_f64 v[22:23], v[22:23], v[24:25]
	v_mov_b32_e32 v24, s16
	s_add_i32 s16, s16, 1
	s_cmp_lg_u32 s66, s16
	v_cmp_lt_f64_e32 vcc, v[20:21], v[22:23]
	v_cndmask_b32_e32 v1, v1, v11, vcc
	v_cndmask_b32_e32 v0, v0, v10, vcc
	;; [unrolled: 1-line block ×5, first 2 shown]
	s_cbranch_scc1 .LBB126_373
.LBB126_374:
	s_waitcnt lgkmcnt(0)
	v_cmp_eq_f64_e32 vcc, 0, v[0:1]
	v_cmp_eq_f64_e64 s[4:5], 0, v[2:3]
	s_and_b64 s[4:5], vcc, s[4:5]
	s_and_saveexec_b64 s[16:17], s[4:5]
	s_xor_b64 s[4:5], exec, s[16:17]
; %bb.375:
	v_cmp_ne_u32_e32 vcc, 0, v17
	v_cndmask_b32_e32 v17, 16, v17, vcc
; %bb.376:
	s_andn2_saveexec_b64 s[4:5], s[4:5]
	s_cbranch_execz .LBB126_382
; %bb.377:
	v_cmp_ngt_f64_e64 s[16:17], |v[0:1]|, |v[2:3]|
	s_and_saveexec_b64 s[18:19], s[16:17]
	s_xor_b64 s[18:19], exec, s[18:19]
	s_cbranch_execz .LBB126_379
; %bb.378:
	v_div_scale_f64 v[10:11], s[16:17], v[2:3], v[2:3], v[0:1]
	v_rcp_f64_e32 v[12:13], v[10:11]
	v_fma_f64 v[20:21], -v[10:11], v[12:13], 1.0
	v_fma_f64 v[12:13], v[12:13], v[20:21], v[12:13]
	v_div_scale_f64 v[20:21], vcc, v[0:1], v[2:3], v[0:1]
	v_fma_f64 v[22:23], -v[10:11], v[12:13], 1.0
	v_fma_f64 v[12:13], v[12:13], v[22:23], v[12:13]
	v_mul_f64 v[22:23], v[20:21], v[12:13]
	v_fma_f64 v[10:11], -v[10:11], v[22:23], v[20:21]
	v_div_fmas_f64 v[10:11], v[10:11], v[12:13], v[22:23]
	v_div_fixup_f64 v[10:11], v[10:11], v[2:3], v[0:1]
	v_fma_f64 v[0:1], v[0:1], v[10:11], v[2:3]
	v_div_scale_f64 v[2:3], s[16:17], v[0:1], v[0:1], 1.0
	v_div_scale_f64 v[22:23], vcc, 1.0, v[0:1], 1.0
	v_rcp_f64_e32 v[12:13], v[2:3]
	v_fma_f64 v[20:21], -v[2:3], v[12:13], 1.0
	v_fma_f64 v[12:13], v[12:13], v[20:21], v[12:13]
	v_fma_f64 v[20:21], -v[2:3], v[12:13], 1.0
	v_fma_f64 v[12:13], v[12:13], v[20:21], v[12:13]
	v_mul_f64 v[20:21], v[22:23], v[12:13]
	v_fma_f64 v[2:3], -v[2:3], v[20:21], v[22:23]
	v_div_fmas_f64 v[2:3], v[2:3], v[12:13], v[20:21]
	v_div_fixup_f64 v[2:3], v[2:3], v[0:1], 1.0
	v_mul_f64 v[0:1], v[10:11], v[2:3]
	v_xor_b32_e32 v3, 0x80000000, v3
.LBB126_379:
	s_andn2_saveexec_b64 s[18:19], s[18:19]
	s_cbranch_execz .LBB126_381
; %bb.380:
	v_div_scale_f64 v[10:11], s[16:17], v[0:1], v[0:1], v[2:3]
	v_rcp_f64_e32 v[12:13], v[10:11]
	v_fma_f64 v[20:21], -v[10:11], v[12:13], 1.0
	v_fma_f64 v[12:13], v[12:13], v[20:21], v[12:13]
	v_div_scale_f64 v[20:21], vcc, v[2:3], v[0:1], v[2:3]
	v_fma_f64 v[22:23], -v[10:11], v[12:13], 1.0
	v_fma_f64 v[12:13], v[12:13], v[22:23], v[12:13]
	v_mul_f64 v[22:23], v[20:21], v[12:13]
	v_fma_f64 v[10:11], -v[10:11], v[22:23], v[20:21]
	v_div_fmas_f64 v[10:11], v[10:11], v[12:13], v[22:23]
	v_div_fixup_f64 v[10:11], v[10:11], v[0:1], v[2:3]
	v_fma_f64 v[0:1], v[2:3], v[10:11], v[0:1]
	v_div_scale_f64 v[2:3], s[16:17], v[0:1], v[0:1], 1.0
	v_div_scale_f64 v[22:23], vcc, 1.0, v[0:1], 1.0
	v_rcp_f64_e32 v[12:13], v[2:3]
	v_fma_f64 v[20:21], -v[2:3], v[12:13], 1.0
	v_fma_f64 v[12:13], v[12:13], v[20:21], v[12:13]
	v_fma_f64 v[20:21], -v[2:3], v[12:13], 1.0
	v_fma_f64 v[12:13], v[12:13], v[20:21], v[12:13]
	v_mul_f64 v[20:21], v[22:23], v[12:13]
	v_fma_f64 v[2:3], -v[2:3], v[20:21], v[22:23]
	v_div_fmas_f64 v[2:3], v[2:3], v[12:13], v[20:21]
	v_div_fixup_f64 v[0:1], v[2:3], v[0:1], 1.0
	v_mul_f64 v[2:3], v[10:11], -v[0:1]
.LBB126_381:
	s_or_b64 exec, exec, s[18:19]
.LBB126_382:
	s_or_b64 exec, exec, s[4:5]
	v_cmp_ne_u32_e32 vcc, v19, v4
	s_and_saveexec_b64 s[4:5], vcc
	s_xor_b64 s[4:5], exec, s[4:5]
	s_cbranch_execz .LBB126_388
; %bb.383:
	v_cmp_eq_u32_e32 vcc, 15, v19
	s_and_saveexec_b64 s[18:19], vcc
	s_cbranch_execz .LBB126_387
; %bb.384:
	v_cmp_ne_u32_e32 vcc, 15, v4
	s_xor_b64 s[16:17], s[10:11], -1
	s_and_b64 s[16:17], s[16:17], vcc
	s_and_saveexec_b64 s[24:25], s[16:17]
	s_cbranch_execz .LBB126_386
; %bb.385:
	v_ashrrev_i32_e32 v5, 31, v4
	v_lshlrev_b64 v[10:11], 2, v[4:5]
	v_add_co_u32_e32 v10, vcc, v8, v10
	v_addc_co_u32_e32 v11, vcc, v9, v11, vcc
	global_load_dword v5, v[10:11], off
	global_load_dword v12, v[8:9], off offset:60
	s_waitcnt vmcnt(1)
	global_store_dword v[8:9], v5, off offset:60
	s_waitcnt vmcnt(1)
	global_store_dword v[10:11], v12, off
.LBB126_386:
	s_or_b64 exec, exec, s[24:25]
	v_mov_b32_e32 v19, v4
	v_mov_b32_e32 v18, v4
.LBB126_387:
	s_or_b64 exec, exec, s[18:19]
.LBB126_388:
	s_andn2_saveexec_b64 s[4:5], s[4:5]
	s_cbranch_execz .LBB126_392
; %bb.389:
	s_movk_i32 s18, 0x100
.LBB126_390:                            ; =>This Inner Loop Header: Depth=1
	v_mov_b32_e32 v29, s18
	buffer_load_dword v4, v29, s[0:3], 0 offen
	buffer_load_dword v5, v29, s[0:3], 0 offen offset:4
	buffer_load_dword v10, v29, s[0:3], 0 offen offset:8
	;; [unrolled: 1-line block ×15, first 2 shown]
	v_add_u32_e32 v30, s18, v16
	s_addk_i32 s18, 0x100
	s_cmpk_eq_i32 s18, 0x400
	s_waitcnt vmcnt(12)
	ds_write2_b64 v30, v[4:5], v[10:11] offset1:1
	s_waitcnt vmcnt(8)
	ds_write2_b64 v30, v[12:13], v[19:20] offset0:2 offset1:3
	s_waitcnt vmcnt(4)
	ds_write2_b64 v30, v[21:22], v[23:24] offset0:4 offset1:5
	;; [unrolled: 2-line block ×3, first 2 shown]
	buffer_load_dword v5, v29, s[0:3], 0 offen offset:76
	buffer_load_dword v4, v29, s[0:3], 0 offen offset:72
	buffer_load_dword v11, v29, s[0:3], 0 offen offset:68
	buffer_load_dword v10, v29, s[0:3], 0 offen offset:64
	s_waitcnt vmcnt(0)
	ds_write2_b64 v30, v[10:11], v[4:5] offset0:8 offset1:9
	buffer_load_dword v5, v29, s[0:3], 0 offen offset:92
	buffer_load_dword v4, v29, s[0:3], 0 offen offset:88
	buffer_load_dword v11, v29, s[0:3], 0 offen offset:84
	buffer_load_dword v10, v29, s[0:3], 0 offen offset:80
	s_waitcnt vmcnt(0)
	ds_write2_b64 v30, v[10:11], v[4:5] offset0:10 offset1:11
	;; [unrolled: 6-line block ×12, first 2 shown]
	s_cbranch_scc0 .LBB126_390
; %bb.391:
	v_mov_b32_e32 v19, 15
.LBB126_392:
	s_or_b64 exec, exec, s[4:5]
	v_cmp_lt_i32_e32 vcc, 15, v19
	s_waitcnt vmcnt(0) lgkmcnt(0)
	s_barrier
	s_and_saveexec_b64 s[4:5], vcc
	s_cbranch_execz .LBB126_395
; %bb.393:
	buffer_load_dword v4, off, s[0:3], 0 offset:248
	buffer_load_dword v5, off, s[0:3], 0 offset:252
	;; [unrolled: 1-line block ×4, first 2 shown]
	s_movk_i32 s18, 0x100
	s_waitcnt vmcnt(2)
	v_mul_f64 v[12:13], v[2:3], v[4:5]
	v_mul_f64 v[4:5], v[0:1], v[4:5]
	s_waitcnt vmcnt(0)
	v_fma_f64 v[0:1], v[0:1], v[10:11], -v[12:13]
	v_fma_f64 v[2:3], v[2:3], v[10:11], v[4:5]
	buffer_store_dword v0, off, s[0:3], 0 offset:240
	buffer_store_dword v1, off, s[0:3], 0 offset:244
	;; [unrolled: 1-line block ×4, first 2 shown]
.LBB126_394:                            ; =>This Inner Loop Header: Depth=1
	buffer_load_dword v4, off, s[0:3], 0 offset:248
	buffer_load_dword v5, off, s[0:3], 0 offset:252
	;; [unrolled: 1-line block ×4, first 2 shown]
	v_mov_b32_e32 v32, s18
	buffer_load_dword v22, v32, s[0:3], 0 offen
	buffer_load_dword v23, v32, s[0:3], 0 offen offset:4
	buffer_load_dword v24, v32, s[0:3], 0 offen offset:8
	buffer_load_dword v25, v32, s[0:3], 0 offen offset:12
	v_add_u32_e32 v33, s18, v16
	ds_read2_b64 v[0:3], v33 offset1:1
	buffer_load_dword v26, v32, s[0:3], 0 offen offset:16
	buffer_load_dword v27, v32, s[0:3], 0 offen offset:20
	;; [unrolled: 1-line block ×4, first 2 shown]
	ds_read2_b64 v[10:13], v33 offset0:2 offset1:3
	s_addk_i32 s18, 0x60
	s_cmpk_lg_i32 s18, 0x400
	s_waitcnt vmcnt(10) lgkmcnt(1)
	v_mul_f64 v[30:31], v[2:3], v[4:5]
	v_mul_f64 v[4:5], v[0:1], v[4:5]
	s_waitcnt vmcnt(8)
	v_fma_f64 v[0:1], v[0:1], v[20:21], -v[30:31]
	v_fma_f64 v[2:3], v[2:3], v[20:21], v[4:5]
	s_waitcnt vmcnt(6)
	v_add_f64 v[0:1], v[22:23], -v[0:1]
	s_waitcnt vmcnt(4)
	v_add_f64 v[2:3], v[24:25], -v[2:3]
	buffer_store_dword v1, v32, s[0:3], 0 offen offset:4
	buffer_store_dword v0, v32, s[0:3], 0 offen
	buffer_store_dword v3, v32, s[0:3], 0 offen offset:12
	buffer_store_dword v2, v32, s[0:3], 0 offen offset:8
	buffer_load_dword v1, off, s[0:3], 0 offset:252
	s_nop 0
	buffer_load_dword v0, off, s[0:3], 0 offset:248
	buffer_load_dword v3, off, s[0:3], 0 offset:244
	;; [unrolled: 1-line block ×3, first 2 shown]
	buffer_load_dword v4, v32, s[0:3], 0 offen offset:32
	buffer_load_dword v5, v32, s[0:3], 0 offen offset:36
	;; [unrolled: 1-line block ×4, first 2 shown]
	s_waitcnt vmcnt(6) lgkmcnt(0)
	v_mul_f64 v[22:23], v[12:13], v[0:1]
	v_mul_f64 v[0:1], v[10:11], v[0:1]
	s_waitcnt vmcnt(4)
	v_fma_f64 v[10:11], v[10:11], v[2:3], -v[22:23]
	v_fma_f64 v[0:1], v[12:13], v[2:3], v[0:1]
	v_add_f64 v[2:3], v[26:27], -v[10:11]
	v_add_f64 v[0:1], v[28:29], -v[0:1]
	buffer_store_dword v3, v32, s[0:3], 0 offen offset:20
	buffer_store_dword v2, v32, s[0:3], 0 offen offset:16
	;; [unrolled: 1-line block ×4, first 2 shown]
	buffer_load_dword v22, off, s[0:3], 0 offset:248
	buffer_load_dword v23, off, s[0:3], 0 offset:252
	;; [unrolled: 1-line block ×4, first 2 shown]
	ds_read2_b64 v[0:3], v33 offset0:4 offset1:5
	ds_read2_b64 v[10:13], v33 offset0:6 offset1:7
	s_waitcnt vmcnt(2) lgkmcnt(1)
	v_mul_f64 v[26:27], v[2:3], v[22:23]
	v_mul_f64 v[22:23], v[0:1], v[22:23]
	s_waitcnt vmcnt(0)
	v_fma_f64 v[0:1], v[0:1], v[24:25], -v[26:27]
	v_fma_f64 v[2:3], v[2:3], v[24:25], v[22:23]
	v_add_f64 v[0:1], v[4:5], -v[0:1]
	v_add_f64 v[2:3], v[20:21], -v[2:3]
	buffer_store_dword v1, v32, s[0:3], 0 offen offset:36
	buffer_store_dword v0, v32, s[0:3], 0 offen offset:32
	buffer_store_dword v3, v32, s[0:3], 0 offen offset:44
	buffer_store_dword v2, v32, s[0:3], 0 offen offset:40
	buffer_load_dword v0, off, s[0:3], 0 offset:248
	s_nop 0
	buffer_load_dword v1, off, s[0:3], 0 offset:252
	buffer_load_dword v2, off, s[0:3], 0 offset:240
	;; [unrolled: 1-line block ×3, first 2 shown]
	buffer_load_dword v4, v32, s[0:3], 0 offen offset:48
	buffer_load_dword v5, v32, s[0:3], 0 offen offset:52
	;; [unrolled: 1-line block ×4, first 2 shown]
	s_waitcnt vmcnt(6) lgkmcnt(0)
	v_mul_f64 v[22:23], v[12:13], v[0:1]
	v_mul_f64 v[0:1], v[10:11], v[0:1]
	s_waitcnt vmcnt(4)
	v_fma_f64 v[10:11], v[10:11], v[2:3], -v[22:23]
	v_fma_f64 v[0:1], v[12:13], v[2:3], v[0:1]
	s_waitcnt vmcnt(2)
	v_add_f64 v[2:3], v[4:5], -v[10:11]
	s_waitcnt vmcnt(0)
	v_add_f64 v[0:1], v[20:21], -v[0:1]
	buffer_store_dword v3, v32, s[0:3], 0 offen offset:52
	buffer_store_dword v2, v32, s[0:3], 0 offen offset:48
	;; [unrolled: 1-line block ×4, first 2 shown]
	buffer_load_dword v4, off, s[0:3], 0 offset:248
	buffer_load_dword v5, off, s[0:3], 0 offset:252
	;; [unrolled: 1-line block ×4, first 2 shown]
	buffer_load_dword v22, v32, s[0:3], 0 offen offset:64
	buffer_load_dword v23, v32, s[0:3], 0 offen offset:68
	;; [unrolled: 1-line block ×4, first 2 shown]
	ds_read2_b64 v[0:3], v33 offset0:8 offset1:9
	ds_read2_b64 v[10:13], v33 offset0:10 offset1:11
	s_waitcnt vmcnt(6) lgkmcnt(1)
	v_mul_f64 v[26:27], v[2:3], v[4:5]
	v_mul_f64 v[4:5], v[0:1], v[4:5]
	s_waitcnt vmcnt(4)
	v_fma_f64 v[0:1], v[0:1], v[20:21], -v[26:27]
	v_fma_f64 v[2:3], v[2:3], v[20:21], v[4:5]
	s_waitcnt vmcnt(2)
	v_add_f64 v[0:1], v[22:23], -v[0:1]
	s_waitcnt vmcnt(0)
	v_add_f64 v[2:3], v[24:25], -v[2:3]
	buffer_store_dword v1, v32, s[0:3], 0 offen offset:68
	buffer_store_dword v0, v32, s[0:3], 0 offen offset:64
	;; [unrolled: 1-line block ×4, first 2 shown]
	buffer_load_dword v0, off, s[0:3], 0 offset:248
	s_nop 0
	buffer_load_dword v1, off, s[0:3], 0 offset:252
	buffer_load_dword v2, off, s[0:3], 0 offset:240
	;; [unrolled: 1-line block ×3, first 2 shown]
	buffer_load_dword v4, v32, s[0:3], 0 offen offset:80
	buffer_load_dword v5, v32, s[0:3], 0 offen offset:84
	;; [unrolled: 1-line block ×4, first 2 shown]
	s_waitcnt vmcnt(6) lgkmcnt(0)
	v_mul_f64 v[22:23], v[12:13], v[0:1]
	v_mul_f64 v[0:1], v[10:11], v[0:1]
	s_waitcnt vmcnt(4)
	v_fma_f64 v[10:11], v[10:11], v[2:3], -v[22:23]
	v_fma_f64 v[0:1], v[12:13], v[2:3], v[0:1]
	s_waitcnt vmcnt(2)
	v_add_f64 v[2:3], v[4:5], -v[10:11]
	s_waitcnt vmcnt(0)
	v_add_f64 v[0:1], v[20:21], -v[0:1]
	buffer_store_dword v3, v32, s[0:3], 0 offen offset:84
	buffer_store_dword v2, v32, s[0:3], 0 offen offset:80
	;; [unrolled: 1-line block ×4, first 2 shown]
	s_cbranch_scc1 .LBB126_394
.LBB126_395:
	s_or_b64 exec, exec, s[4:5]
	v_mov_b32_e32 v3, s73
	s_waitcnt vmcnt(0)
	s_barrier
	buffer_load_dword v0, v3, s[0:3], 0 offen
	buffer_load_dword v1, v3, s[0:3], 0 offen offset:4
	buffer_load_dword v2, v3, s[0:3], 0 offen offset:8
	s_nop 0
	buffer_load_dword v3, v3, s[0:3], 0 offen offset:12
	v_lshl_add_u32 v4, v19, 4, v16
	s_cmp_lt_i32 s66, 18
	s_waitcnt vmcnt(0)
	ds_write2_b64 v4, v[0:1], v[2:3] offset1:1
	s_waitcnt lgkmcnt(0)
	s_barrier
	ds_read2_b64 v[0:3], v16 offset0:32 offset1:33
	v_mov_b32_e32 v4, 16
	s_cbranch_scc1 .LBB126_398
; %bb.396:
	v_add_u32_e32 v5, 0x110, v16
	s_mov_b32 s16, 17
	v_mov_b32_e32 v4, 16
.LBB126_397:                            ; =>This Inner Loop Header: Depth=1
	s_waitcnt lgkmcnt(0)
	v_cmp_gt_f64_e32 vcc, 0, v[2:3]
	v_cmp_gt_f64_e64 s[4:5], 0, v[0:1]
	ds_read2_b64 v[10:13], v5 offset1:1
	v_xor_b32_e32 v21, 0x80000000, v1
	v_xor_b32_e32 v23, 0x80000000, v3
	v_mov_b32_e32 v20, v0
	v_mov_b32_e32 v22, v2
	s_waitcnt lgkmcnt(0)
	v_xor_b32_e32 v25, 0x80000000, v13
	v_cndmask_b32_e32 v23, v3, v23, vcc
	v_cndmask_b32_e64 v21, v1, v21, s[4:5]
	v_cmp_gt_f64_e32 vcc, 0, v[12:13]
	v_cmp_gt_f64_e64 s[4:5], 0, v[10:11]
	v_add_f64 v[20:21], v[20:21], v[22:23]
	v_xor_b32_e32 v23, 0x80000000, v11
	v_mov_b32_e32 v22, v10
	v_mov_b32_e32 v24, v12
	v_add_u32_e32 v5, 16, v5
	v_cndmask_b32_e32 v25, v13, v25, vcc
	v_cndmask_b32_e64 v23, v11, v23, s[4:5]
	v_add_f64 v[22:23], v[22:23], v[24:25]
	v_mov_b32_e32 v24, s16
	s_add_i32 s16, s16, 1
	s_cmp_lg_u32 s66, s16
	v_cmp_lt_f64_e32 vcc, v[20:21], v[22:23]
	v_cndmask_b32_e32 v1, v1, v11, vcc
	v_cndmask_b32_e32 v0, v0, v10, vcc
	;; [unrolled: 1-line block ×5, first 2 shown]
	s_cbranch_scc1 .LBB126_397
.LBB126_398:
	s_waitcnt lgkmcnt(0)
	v_cmp_eq_f64_e32 vcc, 0, v[0:1]
	v_cmp_eq_f64_e64 s[4:5], 0, v[2:3]
	s_and_b64 s[4:5], vcc, s[4:5]
	s_and_saveexec_b64 s[16:17], s[4:5]
	s_xor_b64 s[4:5], exec, s[16:17]
; %bb.399:
	v_cmp_ne_u32_e32 vcc, 0, v17
	v_cndmask_b32_e32 v17, 17, v17, vcc
; %bb.400:
	s_andn2_saveexec_b64 s[4:5], s[4:5]
	s_cbranch_execz .LBB126_406
; %bb.401:
	v_cmp_ngt_f64_e64 s[16:17], |v[0:1]|, |v[2:3]|
	s_and_saveexec_b64 s[18:19], s[16:17]
	s_xor_b64 s[18:19], exec, s[18:19]
	s_cbranch_execz .LBB126_403
; %bb.402:
	v_div_scale_f64 v[10:11], s[16:17], v[2:3], v[2:3], v[0:1]
	v_rcp_f64_e32 v[12:13], v[10:11]
	v_fma_f64 v[20:21], -v[10:11], v[12:13], 1.0
	v_fma_f64 v[12:13], v[12:13], v[20:21], v[12:13]
	v_div_scale_f64 v[20:21], vcc, v[0:1], v[2:3], v[0:1]
	v_fma_f64 v[22:23], -v[10:11], v[12:13], 1.0
	v_fma_f64 v[12:13], v[12:13], v[22:23], v[12:13]
	v_mul_f64 v[22:23], v[20:21], v[12:13]
	v_fma_f64 v[10:11], -v[10:11], v[22:23], v[20:21]
	v_div_fmas_f64 v[10:11], v[10:11], v[12:13], v[22:23]
	v_div_fixup_f64 v[10:11], v[10:11], v[2:3], v[0:1]
	v_fma_f64 v[0:1], v[0:1], v[10:11], v[2:3]
	v_div_scale_f64 v[2:3], s[16:17], v[0:1], v[0:1], 1.0
	v_div_scale_f64 v[22:23], vcc, 1.0, v[0:1], 1.0
	v_rcp_f64_e32 v[12:13], v[2:3]
	v_fma_f64 v[20:21], -v[2:3], v[12:13], 1.0
	v_fma_f64 v[12:13], v[12:13], v[20:21], v[12:13]
	v_fma_f64 v[20:21], -v[2:3], v[12:13], 1.0
	v_fma_f64 v[12:13], v[12:13], v[20:21], v[12:13]
	v_mul_f64 v[20:21], v[22:23], v[12:13]
	v_fma_f64 v[2:3], -v[2:3], v[20:21], v[22:23]
	v_div_fmas_f64 v[2:3], v[2:3], v[12:13], v[20:21]
	v_div_fixup_f64 v[2:3], v[2:3], v[0:1], 1.0
	v_mul_f64 v[0:1], v[10:11], v[2:3]
	v_xor_b32_e32 v3, 0x80000000, v3
.LBB126_403:
	s_andn2_saveexec_b64 s[18:19], s[18:19]
	s_cbranch_execz .LBB126_405
; %bb.404:
	v_div_scale_f64 v[10:11], s[16:17], v[0:1], v[0:1], v[2:3]
	v_rcp_f64_e32 v[12:13], v[10:11]
	v_fma_f64 v[20:21], -v[10:11], v[12:13], 1.0
	v_fma_f64 v[12:13], v[12:13], v[20:21], v[12:13]
	v_div_scale_f64 v[20:21], vcc, v[2:3], v[0:1], v[2:3]
	v_fma_f64 v[22:23], -v[10:11], v[12:13], 1.0
	v_fma_f64 v[12:13], v[12:13], v[22:23], v[12:13]
	v_mul_f64 v[22:23], v[20:21], v[12:13]
	v_fma_f64 v[10:11], -v[10:11], v[22:23], v[20:21]
	v_div_fmas_f64 v[10:11], v[10:11], v[12:13], v[22:23]
	v_div_fixup_f64 v[10:11], v[10:11], v[0:1], v[2:3]
	v_fma_f64 v[0:1], v[2:3], v[10:11], v[0:1]
	v_div_scale_f64 v[2:3], s[16:17], v[0:1], v[0:1], 1.0
	v_div_scale_f64 v[22:23], vcc, 1.0, v[0:1], 1.0
	v_rcp_f64_e32 v[12:13], v[2:3]
	v_fma_f64 v[20:21], -v[2:3], v[12:13], 1.0
	v_fma_f64 v[12:13], v[12:13], v[20:21], v[12:13]
	v_fma_f64 v[20:21], -v[2:3], v[12:13], 1.0
	v_fma_f64 v[12:13], v[12:13], v[20:21], v[12:13]
	v_mul_f64 v[20:21], v[22:23], v[12:13]
	v_fma_f64 v[2:3], -v[2:3], v[20:21], v[22:23]
	v_div_fmas_f64 v[2:3], v[2:3], v[12:13], v[20:21]
	v_div_fixup_f64 v[0:1], v[2:3], v[0:1], 1.0
	v_mul_f64 v[2:3], v[10:11], -v[0:1]
.LBB126_405:
	s_or_b64 exec, exec, s[18:19]
.LBB126_406:
	s_or_b64 exec, exec, s[4:5]
	v_cmp_ne_u32_e32 vcc, v19, v4
	s_and_saveexec_b64 s[4:5], vcc
	s_xor_b64 s[4:5], exec, s[4:5]
	s_cbranch_execz .LBB126_412
; %bb.407:
	v_cmp_eq_u32_e32 vcc, 16, v19
	s_and_saveexec_b64 s[18:19], vcc
	s_cbranch_execz .LBB126_411
; %bb.408:
	v_cmp_ne_u32_e32 vcc, 16, v4
	s_xor_b64 s[16:17], s[10:11], -1
	s_and_b64 s[16:17], s[16:17], vcc
	s_and_saveexec_b64 s[24:25], s[16:17]
	s_cbranch_execz .LBB126_410
; %bb.409:
	v_ashrrev_i32_e32 v5, 31, v4
	v_lshlrev_b64 v[10:11], 2, v[4:5]
	v_add_co_u32_e32 v10, vcc, v8, v10
	v_addc_co_u32_e32 v11, vcc, v9, v11, vcc
	global_load_dword v5, v[10:11], off
	global_load_dword v12, v[8:9], off offset:64
	s_waitcnt vmcnt(1)
	global_store_dword v[8:9], v5, off offset:64
	s_waitcnt vmcnt(1)
	global_store_dword v[10:11], v12, off
.LBB126_410:
	s_or_b64 exec, exec, s[24:25]
	v_mov_b32_e32 v19, v4
	v_mov_b32_e32 v18, v4
.LBB126_411:
	s_or_b64 exec, exec, s[18:19]
.LBB126_412:
	s_andn2_saveexec_b64 s[4:5], s[4:5]
	s_cbranch_execz .LBB126_418
; %bb.413:
	s_movk_i32 s16, 0x110
	s_branch .LBB126_415
.LBB126_414:                            ;   in Loop: Header=BB126_415 Depth=1
	s_andn2_b64 vcc, exec, s[18:19]
	s_cbranch_vccz .LBB126_417
.LBB126_415:                            ; =>This Inner Loop Header: Depth=1
	v_mov_b32_e32 v4, s16
	buffer_load_dword v10, v4, s[0:3], 0 offen
	buffer_load_dword v11, v4, s[0:3], 0 offen offset:4
	buffer_load_dword v12, v4, s[0:3], 0 offen offset:8
	;; [unrolled: 1-line block ×27, first 2 shown]
	s_mov_b32 s17, s16
	v_add_u32_e32 v4, s16, v16
	s_cmpk_eq_i32 s16, 0x390
	s_mov_b64 s[18:19], -1
	s_waitcnt vmcnt(24)
	ds_write2_b64 v4, v[10:11], v[12:13] offset1:1
	s_waitcnt vmcnt(20)
	ds_write2_b64 v4, v[19:20], v[21:22] offset0:2 offset1:3
	s_waitcnt vmcnt(16)
	ds_write2_b64 v4, v[23:24], v[25:26] offset0:4 offset1:5
	;; [unrolled: 2-line block ×4, first 2 shown]
	ds_write2_b64 v4, v[35:36], v[33:34] offset0:10 offset1:11
	s_waitcnt vmcnt(0)
	ds_write2_b64 v4, v[41:42], v[39:40] offset0:12 offset1:13
	s_cbranch_scc1 .LBB126_414
; %bb.416:                              ;   in Loop: Header=BB126_415 Depth=1
	v_mov_b32_e32 v5, s17
	buffer_load_dword v10, v5, s[0:3], 0 offen offset:112
	buffer_load_dword v11, v5, s[0:3], 0 offen offset:116
	;; [unrolled: 1-line block ×4, first 2 shown]
	s_addk_i32 s16, 0x80
	s_mov_b64 s[18:19], 0
	s_waitcnt vmcnt(0)
	ds_write2_b64 v4, v[10:11], v[12:13] offset0:14 offset1:15
	s_branch .LBB126_414
.LBB126_417:
	v_mov_b32_e32 v19, 16
.LBB126_418:
	s_or_b64 exec, exec, s[4:5]
	v_cmp_lt_i32_e32 vcc, 16, v19
	s_waitcnt vmcnt(0) lgkmcnt(0)
	s_barrier
	s_and_saveexec_b64 s[4:5], vcc
	s_cbranch_execz .LBB126_423
; %bb.419:
	buffer_load_dword v4, off, s[0:3], 0 offset:264
	buffer_load_dword v5, off, s[0:3], 0 offset:268
	buffer_load_dword v10, off, s[0:3], 0 offset:256
	buffer_load_dword v11, off, s[0:3], 0 offset:260
	s_movk_i32 s24, 0x110
	s_waitcnt vmcnt(2)
	v_mul_f64 v[12:13], v[2:3], v[4:5]
	v_mul_f64 v[4:5], v[0:1], v[4:5]
	s_waitcnt vmcnt(0)
	v_fma_f64 v[0:1], v[0:1], v[10:11], -v[12:13]
	v_fma_f64 v[2:3], v[2:3], v[10:11], v[4:5]
	buffer_store_dword v0, off, s[0:3], 0 offset:256
	buffer_store_dword v1, off, s[0:3], 0 offset:260
	;; [unrolled: 1-line block ×4, first 2 shown]
	s_branch .LBB126_421
.LBB126_420:                            ;   in Loop: Header=BB126_421 Depth=1
	s_andn2_b64 vcc, exec, s[18:19]
	s_cbranch_vccz .LBB126_423
.LBB126_421:                            ; =>This Inner Loop Header: Depth=1
	v_mov_b32_e32 v5, s24
	buffer_load_dword v24, v5, s[0:3], 0 offen
	buffer_load_dword v25, v5, s[0:3], 0 offen offset:4
	buffer_load_dword v26, v5, s[0:3], 0 offen offset:8
	;; [unrolled: 1-line block ×3, first 2 shown]
	v_add_u32_e32 v4, s24, v16
	ds_read2_b64 v[10:13], v4 offset1:1
	ds_read2_b64 v[20:23], v4 offset0:2 offset1:3
	s_mov_b32 s16, s24
	s_cmpk_eq_i32 s24, 0x3d0
	s_mov_b64 s[18:19], -1
	s_waitcnt vmcnt(5) lgkmcnt(1)
	v_mul_f64 v[28:29], v[12:13], v[2:3]
	v_mul_f64 v[2:3], v[10:11], v[2:3]
	s_waitcnt vmcnt(4)
	v_fma_f64 v[10:11], v[10:11], v[0:1], -v[28:29]
	v_fma_f64 v[0:1], v[12:13], v[0:1], v[2:3]
	buffer_load_dword v2, v5, s[0:3], 0 offen offset:20
	buffer_load_dword v12, v5, s[0:3], 0 offen offset:28
	;; [unrolled: 1-line block ×3, first 2 shown]
	s_waitcnt vmcnt(5)
	v_add_f64 v[10:11], v[24:25], -v[10:11]
	s_waitcnt vmcnt(3)
	v_add_f64 v[0:1], v[26:27], -v[0:1]
	buffer_store_dword v11, v5, s[0:3], 0 offen offset:4
	buffer_store_dword v10, v5, s[0:3], 0 offen
	buffer_store_dword v1, v5, s[0:3], 0 offen offset:12
	buffer_store_dword v0, v5, s[0:3], 0 offen offset:8
	buffer_load_dword v11, v5, s[0:3], 0 offen offset:24
	s_nop 0
	buffer_load_dword v13, v5, s[0:3], 0 offen offset:36
	buffer_load_dword v25, off, s[0:3], 0 offset:268
	buffer_load_dword v24, off, s[0:3], 0 offset:264
	;; [unrolled: 1-line block ×4, first 2 shown]
	buffer_load_dword v1, v5, s[0:3], 0 offen offset:16
	s_waitcnt vmcnt(3) lgkmcnt(0)
	v_mul_f64 v[29:30], v[22:23], v[24:25]
	v_mul_f64 v[24:25], v[20:21], v[24:25]
	s_waitcnt vmcnt(1)
	v_fma_f64 v[20:21], v[20:21], v[26:27], -v[29:30]
	v_fma_f64 v[22:23], v[22:23], v[26:27], v[24:25]
	s_waitcnt vmcnt(0)
	v_add_f64 v[0:1], v[1:2], -v[20:21]
	v_add_f64 v[2:3], v[11:12], -v[22:23]
	buffer_store_dword v1, v5, s[0:3], 0 offen offset:20
	buffer_store_dword v0, v5, s[0:3], 0 offen offset:16
	;; [unrolled: 1-line block ×4, first 2 shown]
	buffer_load_dword v29, v5, s[0:3], 0 offen offset:44
	buffer_load_dword v10, off, s[0:3], 0 offset:264
	buffer_load_dword v11, off, s[0:3], 0 offset:268
	;; [unrolled: 1-line block ×4, first 2 shown]
	buffer_load_dword v12, v5, s[0:3], 0 offen offset:32
	ds_read2_b64 v[0:3], v4 offset0:4 offset1:5
	s_waitcnt vmcnt(3) lgkmcnt(0)
	v_mul_f64 v[22:23], v[2:3], v[10:11]
	v_mul_f64 v[10:11], v[0:1], v[10:11]
	s_waitcnt vmcnt(1)
	v_fma_f64 v[0:1], v[0:1], v[20:21], -v[22:23]
	v_fma_f64 v[2:3], v[2:3], v[20:21], v[10:11]
	s_waitcnt vmcnt(0)
	v_add_f64 v[0:1], v[12:13], -v[0:1]
	v_add_f64 v[2:3], v[28:29], -v[2:3]
	buffer_store_dword v1, v5, s[0:3], 0 offen offset:36
	buffer_store_dword v0, v5, s[0:3], 0 offen offset:32
	;; [unrolled: 1-line block ×4, first 2 shown]
                                        ; implicit-def: $vgpr0_vgpr1
                                        ; implicit-def: $vgpr2_vgpr3
	s_cbranch_scc1 .LBB126_420
; %bb.422:                              ;   in Loop: Header=BB126_421 Depth=1
	buffer_load_dword v10, off, s[0:3], 0 offset:264
	buffer_load_dword v11, off, s[0:3], 0 offset:268
	;; [unrolled: 1-line block ×4, first 2 shown]
	v_mov_b32_e32 v24, s16
	buffer_load_dword v20, v24, s[0:3], 0 offen offset:48
	buffer_load_dword v21, v24, s[0:3], 0 offen offset:52
	;; [unrolled: 1-line block ×4, first 2 shown]
	ds_read2_b64 v[0:3], v4 offset0:6 offset1:7
	s_add_i32 s24, s24, 64
	s_mov_b64 s[18:19], 0
	s_waitcnt vmcnt(6) lgkmcnt(0)
	v_mul_f64 v[4:5], v[2:3], v[10:11]
	v_mul_f64 v[10:11], v[0:1], v[10:11]
	s_waitcnt vmcnt(4)
	v_fma_f64 v[0:1], v[0:1], v[12:13], -v[4:5]
	v_fma_f64 v[2:3], v[2:3], v[12:13], v[10:11]
	s_waitcnt vmcnt(2)
	v_add_f64 v[0:1], v[20:21], -v[0:1]
	s_waitcnt vmcnt(0)
	v_add_f64 v[2:3], v[22:23], -v[2:3]
	buffer_store_dword v1, v24, s[0:3], 0 offen offset:52
	buffer_store_dword v0, v24, s[0:3], 0 offen offset:48
	;; [unrolled: 1-line block ×4, first 2 shown]
	buffer_load_dword v1, off, s[0:3], 0 offset:260
	s_nop 0
	buffer_load_dword v3, off, s[0:3], 0 offset:268
	buffer_load_dword v2, off, s[0:3], 0 offset:264
	;; [unrolled: 1-line block ×3, first 2 shown]
	s_branch .LBB126_420
.LBB126_423:
	s_or_b64 exec, exec, s[4:5]
	s_waitcnt vmcnt(2)
	v_mov_b32_e32 v3, s72
	s_waitcnt vmcnt(0)
	s_barrier
	buffer_load_dword v0, v3, s[0:3], 0 offen
	buffer_load_dword v1, v3, s[0:3], 0 offen offset:4
	buffer_load_dword v2, v3, s[0:3], 0 offen offset:8
	s_nop 0
	buffer_load_dword v3, v3, s[0:3], 0 offen offset:12
	v_lshl_add_u32 v4, v19, 4, v16
	s_cmp_lt_i32 s66, 19
	s_waitcnt vmcnt(0)
	ds_write2_b64 v4, v[0:1], v[2:3] offset1:1
	s_waitcnt lgkmcnt(0)
	s_barrier
	ds_read2_b64 v[0:3], v16 offset0:34 offset1:35
	v_mov_b32_e32 v4, 17
	s_cbranch_scc1 .LBB126_426
; %bb.424:
	v_add_u32_e32 v5, 0x120, v16
	s_mov_b32 s16, 18
	v_mov_b32_e32 v4, 17
.LBB126_425:                            ; =>This Inner Loop Header: Depth=1
	s_waitcnt lgkmcnt(0)
	v_cmp_gt_f64_e32 vcc, 0, v[2:3]
	v_cmp_gt_f64_e64 s[4:5], 0, v[0:1]
	ds_read2_b64 v[10:13], v5 offset1:1
	v_xor_b32_e32 v21, 0x80000000, v1
	v_xor_b32_e32 v23, 0x80000000, v3
	v_mov_b32_e32 v20, v0
	v_mov_b32_e32 v22, v2
	s_waitcnt lgkmcnt(0)
	v_xor_b32_e32 v25, 0x80000000, v13
	v_cndmask_b32_e32 v23, v3, v23, vcc
	v_cndmask_b32_e64 v21, v1, v21, s[4:5]
	v_cmp_gt_f64_e32 vcc, 0, v[12:13]
	v_cmp_gt_f64_e64 s[4:5], 0, v[10:11]
	v_add_f64 v[20:21], v[20:21], v[22:23]
	v_xor_b32_e32 v23, 0x80000000, v11
	v_mov_b32_e32 v22, v10
	v_mov_b32_e32 v24, v12
	v_add_u32_e32 v5, 16, v5
	v_cndmask_b32_e32 v25, v13, v25, vcc
	v_cndmask_b32_e64 v23, v11, v23, s[4:5]
	v_add_f64 v[22:23], v[22:23], v[24:25]
	v_mov_b32_e32 v24, s16
	s_add_i32 s16, s16, 1
	s_cmp_lg_u32 s66, s16
	v_cmp_lt_f64_e32 vcc, v[20:21], v[22:23]
	v_cndmask_b32_e32 v1, v1, v11, vcc
	v_cndmask_b32_e32 v0, v0, v10, vcc
	;; [unrolled: 1-line block ×5, first 2 shown]
	s_cbranch_scc1 .LBB126_425
.LBB126_426:
	s_waitcnt lgkmcnt(0)
	v_cmp_eq_f64_e32 vcc, 0, v[0:1]
	v_cmp_eq_f64_e64 s[4:5], 0, v[2:3]
	s_and_b64 s[4:5], vcc, s[4:5]
	s_and_saveexec_b64 s[16:17], s[4:5]
	s_xor_b64 s[4:5], exec, s[16:17]
; %bb.427:
	v_cmp_ne_u32_e32 vcc, 0, v17
	v_cndmask_b32_e32 v17, 18, v17, vcc
; %bb.428:
	s_andn2_saveexec_b64 s[4:5], s[4:5]
	s_cbranch_execz .LBB126_434
; %bb.429:
	v_cmp_ngt_f64_e64 s[16:17], |v[0:1]|, |v[2:3]|
	s_and_saveexec_b64 s[18:19], s[16:17]
	s_xor_b64 s[18:19], exec, s[18:19]
	s_cbranch_execz .LBB126_431
; %bb.430:
	v_div_scale_f64 v[10:11], s[16:17], v[2:3], v[2:3], v[0:1]
	v_rcp_f64_e32 v[12:13], v[10:11]
	v_fma_f64 v[20:21], -v[10:11], v[12:13], 1.0
	v_fma_f64 v[12:13], v[12:13], v[20:21], v[12:13]
	v_div_scale_f64 v[20:21], vcc, v[0:1], v[2:3], v[0:1]
	v_fma_f64 v[22:23], -v[10:11], v[12:13], 1.0
	v_fma_f64 v[12:13], v[12:13], v[22:23], v[12:13]
	v_mul_f64 v[22:23], v[20:21], v[12:13]
	v_fma_f64 v[10:11], -v[10:11], v[22:23], v[20:21]
	v_div_fmas_f64 v[10:11], v[10:11], v[12:13], v[22:23]
	v_div_fixup_f64 v[10:11], v[10:11], v[2:3], v[0:1]
	v_fma_f64 v[0:1], v[0:1], v[10:11], v[2:3]
	v_div_scale_f64 v[2:3], s[16:17], v[0:1], v[0:1], 1.0
	v_div_scale_f64 v[22:23], vcc, 1.0, v[0:1], 1.0
	v_rcp_f64_e32 v[12:13], v[2:3]
	v_fma_f64 v[20:21], -v[2:3], v[12:13], 1.0
	v_fma_f64 v[12:13], v[12:13], v[20:21], v[12:13]
	v_fma_f64 v[20:21], -v[2:3], v[12:13], 1.0
	v_fma_f64 v[12:13], v[12:13], v[20:21], v[12:13]
	v_mul_f64 v[20:21], v[22:23], v[12:13]
	v_fma_f64 v[2:3], -v[2:3], v[20:21], v[22:23]
	v_div_fmas_f64 v[2:3], v[2:3], v[12:13], v[20:21]
	v_div_fixup_f64 v[2:3], v[2:3], v[0:1], 1.0
	v_mul_f64 v[0:1], v[10:11], v[2:3]
	v_xor_b32_e32 v3, 0x80000000, v3
.LBB126_431:
	s_andn2_saveexec_b64 s[18:19], s[18:19]
	s_cbranch_execz .LBB126_433
; %bb.432:
	v_div_scale_f64 v[10:11], s[16:17], v[0:1], v[0:1], v[2:3]
	v_rcp_f64_e32 v[12:13], v[10:11]
	v_fma_f64 v[20:21], -v[10:11], v[12:13], 1.0
	v_fma_f64 v[12:13], v[12:13], v[20:21], v[12:13]
	v_div_scale_f64 v[20:21], vcc, v[2:3], v[0:1], v[2:3]
	v_fma_f64 v[22:23], -v[10:11], v[12:13], 1.0
	v_fma_f64 v[12:13], v[12:13], v[22:23], v[12:13]
	v_mul_f64 v[22:23], v[20:21], v[12:13]
	v_fma_f64 v[10:11], -v[10:11], v[22:23], v[20:21]
	v_div_fmas_f64 v[10:11], v[10:11], v[12:13], v[22:23]
	v_div_fixup_f64 v[10:11], v[10:11], v[0:1], v[2:3]
	v_fma_f64 v[0:1], v[2:3], v[10:11], v[0:1]
	v_div_scale_f64 v[2:3], s[16:17], v[0:1], v[0:1], 1.0
	v_div_scale_f64 v[22:23], vcc, 1.0, v[0:1], 1.0
	v_rcp_f64_e32 v[12:13], v[2:3]
	v_fma_f64 v[20:21], -v[2:3], v[12:13], 1.0
	v_fma_f64 v[12:13], v[12:13], v[20:21], v[12:13]
	v_fma_f64 v[20:21], -v[2:3], v[12:13], 1.0
	v_fma_f64 v[12:13], v[12:13], v[20:21], v[12:13]
	v_mul_f64 v[20:21], v[22:23], v[12:13]
	v_fma_f64 v[2:3], -v[2:3], v[20:21], v[22:23]
	v_div_fmas_f64 v[2:3], v[2:3], v[12:13], v[20:21]
	v_div_fixup_f64 v[0:1], v[2:3], v[0:1], 1.0
	v_mul_f64 v[2:3], v[10:11], -v[0:1]
.LBB126_433:
	s_or_b64 exec, exec, s[18:19]
.LBB126_434:
	s_or_b64 exec, exec, s[4:5]
	v_cmp_ne_u32_e32 vcc, v19, v4
	s_and_saveexec_b64 s[4:5], vcc
	s_xor_b64 s[4:5], exec, s[4:5]
	s_cbranch_execz .LBB126_440
; %bb.435:
	v_cmp_eq_u32_e32 vcc, 17, v19
	s_and_saveexec_b64 s[18:19], vcc
	s_cbranch_execz .LBB126_439
; %bb.436:
	v_cmp_ne_u32_e32 vcc, 17, v4
	s_xor_b64 s[16:17], s[10:11], -1
	s_and_b64 s[16:17], s[16:17], vcc
	s_and_saveexec_b64 s[24:25], s[16:17]
	s_cbranch_execz .LBB126_438
; %bb.437:
	v_ashrrev_i32_e32 v5, 31, v4
	v_lshlrev_b64 v[10:11], 2, v[4:5]
	v_add_co_u32_e32 v10, vcc, v8, v10
	v_addc_co_u32_e32 v11, vcc, v9, v11, vcc
	global_load_dword v5, v[10:11], off
	global_load_dword v12, v[8:9], off offset:68
	s_waitcnt vmcnt(1)
	global_store_dword v[8:9], v5, off offset:68
	s_waitcnt vmcnt(1)
	global_store_dword v[10:11], v12, off
.LBB126_438:
	s_or_b64 exec, exec, s[24:25]
	v_mov_b32_e32 v19, v4
	v_mov_b32_e32 v18, v4
.LBB126_439:
	s_or_b64 exec, exec, s[18:19]
.LBB126_440:
	s_andn2_saveexec_b64 s[4:5], s[4:5]
	s_cbranch_execz .LBB126_444
; %bb.441:
	s_movk_i32 s16, 0x120
.LBB126_442:                            ; =>This Inner Loop Header: Depth=1
	v_mov_b32_e32 v20, s16
	buffer_load_dword v4, v20, s[0:3], 0 offen
	buffer_load_dword v5, v20, s[0:3], 0 offen offset:4
	buffer_load_dword v10, v20, s[0:3], 0 offen offset:8
	;; [unrolled: 1-line block ×6, first 2 shown]
	s_nop 0
	buffer_load_dword v20, v20, s[0:3], 0 offen offset:28
	v_add_u32_e32 v21, s16, v16
	s_add_i32 s16, s16, 32
	s_cmpk_eq_i32 s16, 0x400
	s_waitcnt vmcnt(4)
	ds_write2_b64 v21, v[4:5], v[10:11] offset1:1
	s_waitcnt vmcnt(0)
	ds_write2_b64 v21, v[12:13], v[19:20] offset0:2 offset1:3
	s_cbranch_scc0 .LBB126_442
; %bb.443:
	v_mov_b32_e32 v19, 17
.LBB126_444:
	s_or_b64 exec, exec, s[4:5]
	v_cmp_lt_i32_e32 vcc, 17, v19
	s_waitcnt vmcnt(0) lgkmcnt(0)
	s_barrier
	s_and_saveexec_b64 s[4:5], vcc
	s_cbranch_execz .LBB126_447
; %bb.445:
	buffer_load_dword v4, off, s[0:3], 0 offset:280
	buffer_load_dword v5, off, s[0:3], 0 offset:284
	;; [unrolled: 1-line block ×4, first 2 shown]
	s_movk_i32 s16, 0x120
	s_waitcnt vmcnt(2)
	v_mul_f64 v[12:13], v[2:3], v[4:5]
	v_mul_f64 v[4:5], v[0:1], v[4:5]
	s_waitcnt vmcnt(0)
	v_fma_f64 v[0:1], v[0:1], v[10:11], -v[12:13]
	v_fma_f64 v[2:3], v[2:3], v[10:11], v[4:5]
	buffer_store_dword v0, off, s[0:3], 0 offset:272
	buffer_store_dword v1, off, s[0:3], 0 offset:276
	;; [unrolled: 1-line block ×4, first 2 shown]
.LBB126_446:                            ; =>This Inner Loop Header: Depth=1
	buffer_load_dword v4, off, s[0:3], 0 offset:280
	buffer_load_dword v5, off, s[0:3], 0 offset:284
	;; [unrolled: 1-line block ×4, first 2 shown]
	v_mov_b32_e32 v32, s16
	buffer_load_dword v22, v32, s[0:3], 0 offen
	buffer_load_dword v23, v32, s[0:3], 0 offen offset:4
	buffer_load_dword v24, v32, s[0:3], 0 offen offset:8
	;; [unrolled: 1-line block ×3, first 2 shown]
	v_add_u32_e32 v10, s16, v16
	ds_read2_b64 v[0:3], v10 offset1:1
	buffer_load_dword v26, v32, s[0:3], 0 offen offset:16
	buffer_load_dword v27, v32, s[0:3], 0 offen offset:20
	;; [unrolled: 1-line block ×4, first 2 shown]
	ds_read2_b64 v[10:13], v10 offset0:2 offset1:3
	s_add_i32 s16, s16, 32
	s_cmpk_lg_i32 s16, 0x400
	s_waitcnt vmcnt(10) lgkmcnt(1)
	v_mul_f64 v[30:31], v[2:3], v[4:5]
	v_mul_f64 v[4:5], v[0:1], v[4:5]
	s_waitcnt vmcnt(8)
	v_fma_f64 v[0:1], v[0:1], v[20:21], -v[30:31]
	v_fma_f64 v[2:3], v[2:3], v[20:21], v[4:5]
	s_waitcnt vmcnt(6)
	v_add_f64 v[0:1], v[22:23], -v[0:1]
	s_waitcnt vmcnt(4)
	v_add_f64 v[2:3], v[24:25], -v[2:3]
	buffer_store_dword v1, v32, s[0:3], 0 offen offset:4
	buffer_store_dword v0, v32, s[0:3], 0 offen
	buffer_store_dword v3, v32, s[0:3], 0 offen offset:12
	buffer_store_dword v2, v32, s[0:3], 0 offen offset:8
	buffer_load_dword v1, off, s[0:3], 0 offset:284
	s_nop 0
	buffer_load_dword v0, off, s[0:3], 0 offset:280
	buffer_load_dword v3, off, s[0:3], 0 offset:276
	;; [unrolled: 1-line block ×3, first 2 shown]
	s_waitcnt vmcnt(2) lgkmcnt(0)
	v_mul_f64 v[4:5], v[12:13], v[0:1]
	v_mul_f64 v[0:1], v[10:11], v[0:1]
	s_waitcnt vmcnt(0)
	v_fma_f64 v[4:5], v[10:11], v[2:3], -v[4:5]
	v_fma_f64 v[0:1], v[12:13], v[2:3], v[0:1]
	v_add_f64 v[2:3], v[26:27], -v[4:5]
	v_add_f64 v[0:1], v[28:29], -v[0:1]
	buffer_store_dword v3, v32, s[0:3], 0 offen offset:20
	buffer_store_dword v2, v32, s[0:3], 0 offen offset:16
	;; [unrolled: 1-line block ×4, first 2 shown]
	s_cbranch_scc1 .LBB126_446
.LBB126_447:
	s_or_b64 exec, exec, s[4:5]
	v_mov_b32_e32 v3, s71
	s_waitcnt vmcnt(0)
	s_barrier
	buffer_load_dword v0, v3, s[0:3], 0 offen
	buffer_load_dword v1, v3, s[0:3], 0 offen offset:4
	buffer_load_dword v2, v3, s[0:3], 0 offen offset:8
	s_nop 0
	buffer_load_dword v3, v3, s[0:3], 0 offen offset:12
	v_lshl_add_u32 v4, v19, 4, v16
	s_cmp_lt_i32 s66, 20
	s_waitcnt vmcnt(0)
	ds_write2_b64 v4, v[0:1], v[2:3] offset1:1
	s_waitcnt lgkmcnt(0)
	s_barrier
	ds_read2_b64 v[0:3], v16 offset0:36 offset1:37
	v_mov_b32_e32 v4, 18
	s_cbranch_scc1 .LBB126_450
; %bb.448:
	v_add_u32_e32 v5, 0x130, v16
	s_mov_b32 s16, 19
	v_mov_b32_e32 v4, 18
.LBB126_449:                            ; =>This Inner Loop Header: Depth=1
	s_waitcnt lgkmcnt(0)
	v_cmp_gt_f64_e32 vcc, 0, v[2:3]
	v_cmp_gt_f64_e64 s[4:5], 0, v[0:1]
	ds_read2_b64 v[10:13], v5 offset1:1
	v_xor_b32_e32 v21, 0x80000000, v1
	v_xor_b32_e32 v23, 0x80000000, v3
	v_mov_b32_e32 v20, v0
	v_mov_b32_e32 v22, v2
	s_waitcnt lgkmcnt(0)
	v_xor_b32_e32 v25, 0x80000000, v13
	v_cndmask_b32_e32 v23, v3, v23, vcc
	v_cndmask_b32_e64 v21, v1, v21, s[4:5]
	v_cmp_gt_f64_e32 vcc, 0, v[12:13]
	v_cmp_gt_f64_e64 s[4:5], 0, v[10:11]
	v_add_f64 v[20:21], v[20:21], v[22:23]
	v_xor_b32_e32 v23, 0x80000000, v11
	v_mov_b32_e32 v22, v10
	v_mov_b32_e32 v24, v12
	v_add_u32_e32 v5, 16, v5
	v_cndmask_b32_e32 v25, v13, v25, vcc
	v_cndmask_b32_e64 v23, v11, v23, s[4:5]
	v_add_f64 v[22:23], v[22:23], v[24:25]
	v_mov_b32_e32 v24, s16
	s_add_i32 s16, s16, 1
	s_cmp_lg_u32 s66, s16
	v_cmp_lt_f64_e32 vcc, v[20:21], v[22:23]
	v_cndmask_b32_e32 v1, v1, v11, vcc
	v_cndmask_b32_e32 v0, v0, v10, vcc
	;; [unrolled: 1-line block ×5, first 2 shown]
	s_cbranch_scc1 .LBB126_449
.LBB126_450:
	s_waitcnt lgkmcnt(0)
	v_cmp_eq_f64_e32 vcc, 0, v[0:1]
	v_cmp_eq_f64_e64 s[4:5], 0, v[2:3]
	s_and_b64 s[4:5], vcc, s[4:5]
	s_and_saveexec_b64 s[16:17], s[4:5]
	s_xor_b64 s[4:5], exec, s[16:17]
; %bb.451:
	v_cmp_ne_u32_e32 vcc, 0, v17
	v_cndmask_b32_e32 v17, 19, v17, vcc
; %bb.452:
	s_andn2_saveexec_b64 s[4:5], s[4:5]
	s_cbranch_execz .LBB126_458
; %bb.453:
	v_cmp_ngt_f64_e64 s[16:17], |v[0:1]|, |v[2:3]|
	s_and_saveexec_b64 s[18:19], s[16:17]
	s_xor_b64 s[18:19], exec, s[18:19]
	s_cbranch_execz .LBB126_455
; %bb.454:
	v_div_scale_f64 v[10:11], s[16:17], v[2:3], v[2:3], v[0:1]
	v_rcp_f64_e32 v[12:13], v[10:11]
	v_fma_f64 v[20:21], -v[10:11], v[12:13], 1.0
	v_fma_f64 v[12:13], v[12:13], v[20:21], v[12:13]
	v_div_scale_f64 v[20:21], vcc, v[0:1], v[2:3], v[0:1]
	v_fma_f64 v[22:23], -v[10:11], v[12:13], 1.0
	v_fma_f64 v[12:13], v[12:13], v[22:23], v[12:13]
	v_mul_f64 v[22:23], v[20:21], v[12:13]
	v_fma_f64 v[10:11], -v[10:11], v[22:23], v[20:21]
	v_div_fmas_f64 v[10:11], v[10:11], v[12:13], v[22:23]
	v_div_fixup_f64 v[10:11], v[10:11], v[2:3], v[0:1]
	v_fma_f64 v[0:1], v[0:1], v[10:11], v[2:3]
	v_div_scale_f64 v[2:3], s[16:17], v[0:1], v[0:1], 1.0
	v_div_scale_f64 v[22:23], vcc, 1.0, v[0:1], 1.0
	v_rcp_f64_e32 v[12:13], v[2:3]
	v_fma_f64 v[20:21], -v[2:3], v[12:13], 1.0
	v_fma_f64 v[12:13], v[12:13], v[20:21], v[12:13]
	v_fma_f64 v[20:21], -v[2:3], v[12:13], 1.0
	v_fma_f64 v[12:13], v[12:13], v[20:21], v[12:13]
	v_mul_f64 v[20:21], v[22:23], v[12:13]
	v_fma_f64 v[2:3], -v[2:3], v[20:21], v[22:23]
	v_div_fmas_f64 v[2:3], v[2:3], v[12:13], v[20:21]
	v_div_fixup_f64 v[2:3], v[2:3], v[0:1], 1.0
	v_mul_f64 v[0:1], v[10:11], v[2:3]
	v_xor_b32_e32 v3, 0x80000000, v3
.LBB126_455:
	s_andn2_saveexec_b64 s[18:19], s[18:19]
	s_cbranch_execz .LBB126_457
; %bb.456:
	v_div_scale_f64 v[10:11], s[16:17], v[0:1], v[0:1], v[2:3]
	v_rcp_f64_e32 v[12:13], v[10:11]
	v_fma_f64 v[20:21], -v[10:11], v[12:13], 1.0
	v_fma_f64 v[12:13], v[12:13], v[20:21], v[12:13]
	v_div_scale_f64 v[20:21], vcc, v[2:3], v[0:1], v[2:3]
	v_fma_f64 v[22:23], -v[10:11], v[12:13], 1.0
	v_fma_f64 v[12:13], v[12:13], v[22:23], v[12:13]
	v_mul_f64 v[22:23], v[20:21], v[12:13]
	v_fma_f64 v[10:11], -v[10:11], v[22:23], v[20:21]
	v_div_fmas_f64 v[10:11], v[10:11], v[12:13], v[22:23]
	v_div_fixup_f64 v[10:11], v[10:11], v[0:1], v[2:3]
	v_fma_f64 v[0:1], v[2:3], v[10:11], v[0:1]
	v_div_scale_f64 v[2:3], s[16:17], v[0:1], v[0:1], 1.0
	v_div_scale_f64 v[22:23], vcc, 1.0, v[0:1], 1.0
	v_rcp_f64_e32 v[12:13], v[2:3]
	v_fma_f64 v[20:21], -v[2:3], v[12:13], 1.0
	v_fma_f64 v[12:13], v[12:13], v[20:21], v[12:13]
	v_fma_f64 v[20:21], -v[2:3], v[12:13], 1.0
	v_fma_f64 v[12:13], v[12:13], v[20:21], v[12:13]
	v_mul_f64 v[20:21], v[22:23], v[12:13]
	v_fma_f64 v[2:3], -v[2:3], v[20:21], v[22:23]
	v_div_fmas_f64 v[2:3], v[2:3], v[12:13], v[20:21]
	v_div_fixup_f64 v[0:1], v[2:3], v[0:1], 1.0
	v_mul_f64 v[2:3], v[10:11], -v[0:1]
.LBB126_457:
	s_or_b64 exec, exec, s[18:19]
.LBB126_458:
	s_or_b64 exec, exec, s[4:5]
	v_cmp_ne_u32_e32 vcc, v19, v4
	s_and_saveexec_b64 s[4:5], vcc
	s_xor_b64 s[4:5], exec, s[4:5]
	s_cbranch_execz .LBB126_464
; %bb.459:
	v_cmp_eq_u32_e32 vcc, 18, v19
	s_and_saveexec_b64 s[18:19], vcc
	s_cbranch_execz .LBB126_463
; %bb.460:
	v_cmp_ne_u32_e32 vcc, 18, v4
	s_xor_b64 s[16:17], s[10:11], -1
	s_and_b64 s[16:17], s[16:17], vcc
	s_and_saveexec_b64 s[24:25], s[16:17]
	s_cbranch_execz .LBB126_462
; %bb.461:
	v_ashrrev_i32_e32 v5, 31, v4
	v_lshlrev_b64 v[10:11], 2, v[4:5]
	v_add_co_u32_e32 v10, vcc, v8, v10
	v_addc_co_u32_e32 v11, vcc, v9, v11, vcc
	global_load_dword v5, v[10:11], off
	global_load_dword v12, v[8:9], off offset:72
	s_waitcnt vmcnt(1)
	global_store_dword v[8:9], v5, off offset:72
	s_waitcnt vmcnt(1)
	global_store_dword v[10:11], v12, off
.LBB126_462:
	s_or_b64 exec, exec, s[24:25]
	v_mov_b32_e32 v19, v4
	v_mov_b32_e32 v18, v4
.LBB126_463:
	s_or_b64 exec, exec, s[18:19]
.LBB126_464:
	s_andn2_saveexec_b64 s[4:5], s[4:5]
	s_cbranch_execz .LBB126_468
; %bb.465:
	s_movk_i32 s18, 0x130
.LBB126_466:                            ; =>This Inner Loop Header: Depth=1
	v_mov_b32_e32 v29, s18
	buffer_load_dword v4, v29, s[0:3], 0 offen
	buffer_load_dword v5, v29, s[0:3], 0 offen offset:4
	buffer_load_dword v10, v29, s[0:3], 0 offen offset:8
	;; [unrolled: 1-line block ×15, first 2 shown]
	v_add_u32_e32 v30, s18, v16
	s_addk_i32 s18, 0xf0
	s_cmpk_eq_i32 s18, 0x400
	s_waitcnt vmcnt(12)
	ds_write2_b64 v30, v[4:5], v[10:11] offset1:1
	s_waitcnt vmcnt(8)
	ds_write2_b64 v30, v[12:13], v[19:20] offset0:2 offset1:3
	s_waitcnt vmcnt(4)
	ds_write2_b64 v30, v[21:22], v[23:24] offset0:4 offset1:5
	;; [unrolled: 2-line block ×3, first 2 shown]
	buffer_load_dword v5, v29, s[0:3], 0 offen offset:76
	buffer_load_dword v4, v29, s[0:3], 0 offen offset:72
	buffer_load_dword v11, v29, s[0:3], 0 offen offset:68
	buffer_load_dword v10, v29, s[0:3], 0 offen offset:64
	s_waitcnt vmcnt(0)
	ds_write2_b64 v30, v[10:11], v[4:5] offset0:8 offset1:9
	buffer_load_dword v5, v29, s[0:3], 0 offen offset:92
	buffer_load_dword v4, v29, s[0:3], 0 offen offset:88
	buffer_load_dword v11, v29, s[0:3], 0 offen offset:84
	buffer_load_dword v10, v29, s[0:3], 0 offen offset:80
	s_waitcnt vmcnt(0)
	ds_write2_b64 v30, v[10:11], v[4:5] offset0:10 offset1:11
	;; [unrolled: 6-line block ×11, first 2 shown]
	s_cbranch_scc0 .LBB126_466
; %bb.467:
	v_mov_b32_e32 v19, 18
.LBB126_468:
	s_or_b64 exec, exec, s[4:5]
	v_cmp_lt_i32_e32 vcc, 18, v19
	s_waitcnt vmcnt(0) lgkmcnt(0)
	s_barrier
	s_and_saveexec_b64 s[4:5], vcc
	s_cbranch_execz .LBB126_471
; %bb.469:
	buffer_load_dword v4, off, s[0:3], 0 offset:296
	buffer_load_dword v5, off, s[0:3], 0 offset:300
	;; [unrolled: 1-line block ×4, first 2 shown]
	s_movk_i32 s18, 0x130
	s_waitcnt vmcnt(2)
	v_mul_f64 v[12:13], v[2:3], v[4:5]
	v_mul_f64 v[4:5], v[0:1], v[4:5]
	s_waitcnt vmcnt(0)
	v_fma_f64 v[0:1], v[0:1], v[10:11], -v[12:13]
	v_fma_f64 v[2:3], v[2:3], v[10:11], v[4:5]
	buffer_store_dword v0, off, s[0:3], 0 offset:288
	buffer_store_dword v1, off, s[0:3], 0 offset:292
	;; [unrolled: 1-line block ×4, first 2 shown]
.LBB126_470:                            ; =>This Inner Loop Header: Depth=1
	buffer_load_dword v4, off, s[0:3], 0 offset:296
	buffer_load_dword v5, off, s[0:3], 0 offset:300
	;; [unrolled: 1-line block ×4, first 2 shown]
	v_mov_b32_e32 v32, s18
	buffer_load_dword v22, v32, s[0:3], 0 offen
	buffer_load_dword v23, v32, s[0:3], 0 offen offset:4
	buffer_load_dword v24, v32, s[0:3], 0 offen offset:8
	;; [unrolled: 1-line block ×3, first 2 shown]
	v_add_u32_e32 v33, s18, v16
	ds_read2_b64 v[0:3], v33 offset1:1
	buffer_load_dword v26, v32, s[0:3], 0 offen offset:16
	buffer_load_dword v27, v32, s[0:3], 0 offen offset:20
	;; [unrolled: 1-line block ×4, first 2 shown]
	ds_read2_b64 v[10:13], v33 offset0:2 offset1:3
	s_addk_i32 s18, 0x50
	s_cmpk_lg_i32 s18, 0x400
	s_waitcnt vmcnt(10) lgkmcnt(1)
	v_mul_f64 v[30:31], v[2:3], v[4:5]
	v_mul_f64 v[4:5], v[0:1], v[4:5]
	s_waitcnt vmcnt(8)
	v_fma_f64 v[0:1], v[0:1], v[20:21], -v[30:31]
	v_fma_f64 v[2:3], v[2:3], v[20:21], v[4:5]
	s_waitcnt vmcnt(6)
	v_add_f64 v[0:1], v[22:23], -v[0:1]
	s_waitcnt vmcnt(4)
	v_add_f64 v[2:3], v[24:25], -v[2:3]
	buffer_store_dword v1, v32, s[0:3], 0 offen offset:4
	buffer_store_dword v0, v32, s[0:3], 0 offen
	buffer_store_dword v3, v32, s[0:3], 0 offen offset:12
	buffer_store_dword v2, v32, s[0:3], 0 offen offset:8
	buffer_load_dword v1, off, s[0:3], 0 offset:300
	s_nop 0
	buffer_load_dword v0, off, s[0:3], 0 offset:296
	buffer_load_dword v3, off, s[0:3], 0 offset:292
	;; [unrolled: 1-line block ×3, first 2 shown]
	buffer_load_dword v4, v32, s[0:3], 0 offen offset:32
	buffer_load_dword v5, v32, s[0:3], 0 offen offset:36
	;; [unrolled: 1-line block ×4, first 2 shown]
	s_waitcnt vmcnt(6) lgkmcnt(0)
	v_mul_f64 v[22:23], v[12:13], v[0:1]
	v_mul_f64 v[0:1], v[10:11], v[0:1]
	s_waitcnt vmcnt(4)
	v_fma_f64 v[10:11], v[10:11], v[2:3], -v[22:23]
	v_fma_f64 v[0:1], v[12:13], v[2:3], v[0:1]
	v_add_f64 v[2:3], v[26:27], -v[10:11]
	v_add_f64 v[0:1], v[28:29], -v[0:1]
	buffer_store_dword v3, v32, s[0:3], 0 offen offset:20
	buffer_store_dword v2, v32, s[0:3], 0 offen offset:16
	;; [unrolled: 1-line block ×4, first 2 shown]
	buffer_load_dword v22, off, s[0:3], 0 offset:296
	buffer_load_dword v23, off, s[0:3], 0 offset:300
	;; [unrolled: 1-line block ×4, first 2 shown]
	ds_read2_b64 v[0:3], v33 offset0:4 offset1:5
	ds_read2_b64 v[10:13], v33 offset0:6 offset1:7
	s_waitcnt vmcnt(2) lgkmcnt(1)
	v_mul_f64 v[26:27], v[2:3], v[22:23]
	v_mul_f64 v[22:23], v[0:1], v[22:23]
	s_waitcnt vmcnt(0)
	v_fma_f64 v[0:1], v[0:1], v[24:25], -v[26:27]
	v_fma_f64 v[2:3], v[2:3], v[24:25], v[22:23]
	v_add_f64 v[0:1], v[4:5], -v[0:1]
	v_add_f64 v[2:3], v[20:21], -v[2:3]
	buffer_store_dword v1, v32, s[0:3], 0 offen offset:36
	buffer_store_dword v0, v32, s[0:3], 0 offen offset:32
	;; [unrolled: 1-line block ×4, first 2 shown]
	buffer_load_dword v0, off, s[0:3], 0 offset:296
	s_nop 0
	buffer_load_dword v1, off, s[0:3], 0 offset:300
	buffer_load_dword v2, off, s[0:3], 0 offset:288
	buffer_load_dword v3, off, s[0:3], 0 offset:292
	buffer_load_dword v4, v32, s[0:3], 0 offen offset:48
	buffer_load_dword v5, v32, s[0:3], 0 offen offset:52
	;; [unrolled: 1-line block ×4, first 2 shown]
	s_waitcnt vmcnt(6) lgkmcnt(0)
	v_mul_f64 v[22:23], v[12:13], v[0:1]
	v_mul_f64 v[0:1], v[10:11], v[0:1]
	s_waitcnt vmcnt(4)
	v_fma_f64 v[10:11], v[10:11], v[2:3], -v[22:23]
	v_fma_f64 v[0:1], v[12:13], v[2:3], v[0:1]
	s_waitcnt vmcnt(2)
	v_add_f64 v[2:3], v[4:5], -v[10:11]
	s_waitcnt vmcnt(0)
	v_add_f64 v[0:1], v[20:21], -v[0:1]
	buffer_store_dword v3, v32, s[0:3], 0 offen offset:52
	buffer_store_dword v2, v32, s[0:3], 0 offen offset:48
	;; [unrolled: 1-line block ×4, first 2 shown]
	buffer_load_dword v4, off, s[0:3], 0 offset:296
	buffer_load_dword v5, off, s[0:3], 0 offset:300
	buffer_load_dword v10, off, s[0:3], 0 offset:288
	buffer_load_dword v11, off, s[0:3], 0 offset:292
	buffer_load_dword v12, v32, s[0:3], 0 offen offset:64
	buffer_load_dword v13, v32, s[0:3], 0 offen offset:68
	buffer_load_dword v20, v32, s[0:3], 0 offen offset:72
	buffer_load_dword v21, v32, s[0:3], 0 offen offset:76
	ds_read2_b64 v[0:3], v33 offset0:8 offset1:9
	s_waitcnt vmcnt(6) lgkmcnt(0)
	v_mul_f64 v[22:23], v[2:3], v[4:5]
	v_mul_f64 v[4:5], v[0:1], v[4:5]
	s_waitcnt vmcnt(4)
	v_fma_f64 v[0:1], v[0:1], v[10:11], -v[22:23]
	v_fma_f64 v[2:3], v[2:3], v[10:11], v[4:5]
	s_waitcnt vmcnt(2)
	v_add_f64 v[0:1], v[12:13], -v[0:1]
	s_waitcnt vmcnt(0)
	v_add_f64 v[2:3], v[20:21], -v[2:3]
	buffer_store_dword v1, v32, s[0:3], 0 offen offset:68
	buffer_store_dword v0, v32, s[0:3], 0 offen offset:64
	;; [unrolled: 1-line block ×4, first 2 shown]
	s_cbranch_scc1 .LBB126_470
.LBB126_471:
	s_or_b64 exec, exec, s[4:5]
	v_mov_b32_e32 v3, s70
	s_waitcnt vmcnt(0)
	s_barrier
	buffer_load_dword v0, v3, s[0:3], 0 offen
	buffer_load_dword v1, v3, s[0:3], 0 offen offset:4
	buffer_load_dword v2, v3, s[0:3], 0 offen offset:8
	s_nop 0
	buffer_load_dword v3, v3, s[0:3], 0 offen offset:12
	v_lshl_add_u32 v4, v19, 4, v16
	s_cmp_lt_i32 s66, 21
	s_waitcnt vmcnt(0)
	ds_write2_b64 v4, v[0:1], v[2:3] offset1:1
	s_waitcnt lgkmcnt(0)
	s_barrier
	ds_read2_b64 v[0:3], v16 offset0:38 offset1:39
	v_mov_b32_e32 v4, 19
	s_cbranch_scc1 .LBB126_474
; %bb.472:
	v_add_u32_e32 v5, 0x140, v16
	s_mov_b32 s16, 20
	v_mov_b32_e32 v4, 19
.LBB126_473:                            ; =>This Inner Loop Header: Depth=1
	s_waitcnt lgkmcnt(0)
	v_cmp_gt_f64_e32 vcc, 0, v[2:3]
	v_cmp_gt_f64_e64 s[4:5], 0, v[0:1]
	ds_read2_b64 v[10:13], v5 offset1:1
	v_xor_b32_e32 v21, 0x80000000, v1
	v_xor_b32_e32 v23, 0x80000000, v3
	v_mov_b32_e32 v20, v0
	v_mov_b32_e32 v22, v2
	s_waitcnt lgkmcnt(0)
	v_xor_b32_e32 v25, 0x80000000, v13
	v_cndmask_b32_e32 v23, v3, v23, vcc
	v_cndmask_b32_e64 v21, v1, v21, s[4:5]
	v_cmp_gt_f64_e32 vcc, 0, v[12:13]
	v_cmp_gt_f64_e64 s[4:5], 0, v[10:11]
	v_add_f64 v[20:21], v[20:21], v[22:23]
	v_xor_b32_e32 v23, 0x80000000, v11
	v_mov_b32_e32 v22, v10
	v_mov_b32_e32 v24, v12
	v_add_u32_e32 v5, 16, v5
	v_cndmask_b32_e32 v25, v13, v25, vcc
	v_cndmask_b32_e64 v23, v11, v23, s[4:5]
	v_add_f64 v[22:23], v[22:23], v[24:25]
	v_mov_b32_e32 v24, s16
	s_add_i32 s16, s16, 1
	s_cmp_lg_u32 s66, s16
	v_cmp_lt_f64_e32 vcc, v[20:21], v[22:23]
	v_cndmask_b32_e32 v1, v1, v11, vcc
	v_cndmask_b32_e32 v0, v0, v10, vcc
	;; [unrolled: 1-line block ×5, first 2 shown]
	s_cbranch_scc1 .LBB126_473
.LBB126_474:
	s_waitcnt lgkmcnt(0)
	v_cmp_eq_f64_e32 vcc, 0, v[0:1]
	v_cmp_eq_f64_e64 s[4:5], 0, v[2:3]
	s_and_b64 s[4:5], vcc, s[4:5]
	s_and_saveexec_b64 s[16:17], s[4:5]
	s_xor_b64 s[4:5], exec, s[16:17]
; %bb.475:
	v_cmp_ne_u32_e32 vcc, 0, v17
	v_cndmask_b32_e32 v17, 20, v17, vcc
; %bb.476:
	s_andn2_saveexec_b64 s[4:5], s[4:5]
	s_cbranch_execz .LBB126_482
; %bb.477:
	v_cmp_ngt_f64_e64 s[16:17], |v[0:1]|, |v[2:3]|
	s_and_saveexec_b64 s[18:19], s[16:17]
	s_xor_b64 s[18:19], exec, s[18:19]
	s_cbranch_execz .LBB126_479
; %bb.478:
	v_div_scale_f64 v[10:11], s[16:17], v[2:3], v[2:3], v[0:1]
	v_rcp_f64_e32 v[12:13], v[10:11]
	v_fma_f64 v[20:21], -v[10:11], v[12:13], 1.0
	v_fma_f64 v[12:13], v[12:13], v[20:21], v[12:13]
	v_div_scale_f64 v[20:21], vcc, v[0:1], v[2:3], v[0:1]
	v_fma_f64 v[22:23], -v[10:11], v[12:13], 1.0
	v_fma_f64 v[12:13], v[12:13], v[22:23], v[12:13]
	v_mul_f64 v[22:23], v[20:21], v[12:13]
	v_fma_f64 v[10:11], -v[10:11], v[22:23], v[20:21]
	v_div_fmas_f64 v[10:11], v[10:11], v[12:13], v[22:23]
	v_div_fixup_f64 v[10:11], v[10:11], v[2:3], v[0:1]
	v_fma_f64 v[0:1], v[0:1], v[10:11], v[2:3]
	v_div_scale_f64 v[2:3], s[16:17], v[0:1], v[0:1], 1.0
	v_div_scale_f64 v[22:23], vcc, 1.0, v[0:1], 1.0
	v_rcp_f64_e32 v[12:13], v[2:3]
	v_fma_f64 v[20:21], -v[2:3], v[12:13], 1.0
	v_fma_f64 v[12:13], v[12:13], v[20:21], v[12:13]
	v_fma_f64 v[20:21], -v[2:3], v[12:13], 1.0
	v_fma_f64 v[12:13], v[12:13], v[20:21], v[12:13]
	v_mul_f64 v[20:21], v[22:23], v[12:13]
	v_fma_f64 v[2:3], -v[2:3], v[20:21], v[22:23]
	v_div_fmas_f64 v[2:3], v[2:3], v[12:13], v[20:21]
	v_div_fixup_f64 v[2:3], v[2:3], v[0:1], 1.0
	v_mul_f64 v[0:1], v[10:11], v[2:3]
	v_xor_b32_e32 v3, 0x80000000, v3
.LBB126_479:
	s_andn2_saveexec_b64 s[18:19], s[18:19]
	s_cbranch_execz .LBB126_481
; %bb.480:
	v_div_scale_f64 v[10:11], s[16:17], v[0:1], v[0:1], v[2:3]
	v_rcp_f64_e32 v[12:13], v[10:11]
	v_fma_f64 v[20:21], -v[10:11], v[12:13], 1.0
	v_fma_f64 v[12:13], v[12:13], v[20:21], v[12:13]
	v_div_scale_f64 v[20:21], vcc, v[2:3], v[0:1], v[2:3]
	v_fma_f64 v[22:23], -v[10:11], v[12:13], 1.0
	v_fma_f64 v[12:13], v[12:13], v[22:23], v[12:13]
	v_mul_f64 v[22:23], v[20:21], v[12:13]
	v_fma_f64 v[10:11], -v[10:11], v[22:23], v[20:21]
	v_div_fmas_f64 v[10:11], v[10:11], v[12:13], v[22:23]
	v_div_fixup_f64 v[10:11], v[10:11], v[0:1], v[2:3]
	v_fma_f64 v[0:1], v[2:3], v[10:11], v[0:1]
	v_div_scale_f64 v[2:3], s[16:17], v[0:1], v[0:1], 1.0
	v_div_scale_f64 v[22:23], vcc, 1.0, v[0:1], 1.0
	v_rcp_f64_e32 v[12:13], v[2:3]
	v_fma_f64 v[20:21], -v[2:3], v[12:13], 1.0
	v_fma_f64 v[12:13], v[12:13], v[20:21], v[12:13]
	v_fma_f64 v[20:21], -v[2:3], v[12:13], 1.0
	v_fma_f64 v[12:13], v[12:13], v[20:21], v[12:13]
	v_mul_f64 v[20:21], v[22:23], v[12:13]
	v_fma_f64 v[2:3], -v[2:3], v[20:21], v[22:23]
	v_div_fmas_f64 v[2:3], v[2:3], v[12:13], v[20:21]
	v_div_fixup_f64 v[0:1], v[2:3], v[0:1], 1.0
	v_mul_f64 v[2:3], v[10:11], -v[0:1]
.LBB126_481:
	s_or_b64 exec, exec, s[18:19]
.LBB126_482:
	s_or_b64 exec, exec, s[4:5]
	v_cmp_ne_u32_e32 vcc, v19, v4
	s_and_saveexec_b64 s[4:5], vcc
	s_xor_b64 s[4:5], exec, s[4:5]
	s_cbranch_execz .LBB126_488
; %bb.483:
	v_cmp_eq_u32_e32 vcc, 19, v19
	s_and_saveexec_b64 s[18:19], vcc
	s_cbranch_execz .LBB126_487
; %bb.484:
	v_cmp_ne_u32_e32 vcc, 19, v4
	s_xor_b64 s[16:17], s[10:11], -1
	s_and_b64 s[16:17], s[16:17], vcc
	s_and_saveexec_b64 s[24:25], s[16:17]
	s_cbranch_execz .LBB126_486
; %bb.485:
	v_ashrrev_i32_e32 v5, 31, v4
	v_lshlrev_b64 v[10:11], 2, v[4:5]
	v_add_co_u32_e32 v10, vcc, v8, v10
	v_addc_co_u32_e32 v11, vcc, v9, v11, vcc
	global_load_dword v5, v[10:11], off
	global_load_dword v12, v[8:9], off offset:76
	s_waitcnt vmcnt(1)
	global_store_dword v[8:9], v5, off offset:76
	s_waitcnt vmcnt(1)
	global_store_dword v[10:11], v12, off
.LBB126_486:
	s_or_b64 exec, exec, s[24:25]
	v_mov_b32_e32 v19, v4
	v_mov_b32_e32 v18, v4
.LBB126_487:
	s_or_b64 exec, exec, s[18:19]
.LBB126_488:
	s_andn2_saveexec_b64 s[4:5], s[4:5]
	s_cbranch_execz .LBB126_492
; %bb.489:
	s_movk_i32 s16, 0x140
.LBB126_490:                            ; =>This Inner Loop Header: Depth=1
	v_mov_b32_e32 v56, s16
	buffer_load_dword v4, v56, s[0:3], 0 offen
	buffer_load_dword v5, v56, s[0:3], 0 offen offset:4
	buffer_load_dword v10, v56, s[0:3], 0 offen offset:8
	;; [unrolled: 1-line block ×42, first 2 shown]
	s_nop 0
	buffer_load_dword v56, v56, s[0:3], 0 offen offset:172
	v_add_u32_e32 v57, s16, v16
	s_addk_i32 s16, 0xb0
	s_cmpk_eq_i32 s16, 0x400
	s_waitcnt vmcnt(40)
	ds_write2_b64 v57, v[4:5], v[10:11] offset1:1
	s_waitcnt vmcnt(36)
	ds_write2_b64 v57, v[12:13], v[19:20] offset0:2 offset1:3
	s_waitcnt vmcnt(32)
	ds_write2_b64 v57, v[21:22], v[23:24] offset0:4 offset1:5
	;; [unrolled: 2-line block ×4, first 2 shown]
	ds_write2_b64 v57, v[33:34], v[31:32] offset0:10 offset1:11
	s_waitcnt vmcnt(12)
	ds_write2_b64 v57, v[43:44], v[37:38] offset0:12 offset1:13
	ds_write2_b64 v57, v[41:42], v[39:40] offset0:14 offset1:15
	s_waitcnt vmcnt(8)
	ds_write2_b64 v57, v[45:46], v[47:48] offset0:16 offset1:17
	s_waitcnt vmcnt(4)
	;; [unrolled: 2-line block ×3, first 2 shown]
	ds_write2_b64 v57, v[53:54], v[55:56] offset0:20 offset1:21
	s_cbranch_scc0 .LBB126_490
; %bb.491:
	v_mov_b32_e32 v19, 19
.LBB126_492:
	s_or_b64 exec, exec, s[4:5]
	v_cmp_lt_i32_e32 vcc, 19, v19
	s_waitcnt vmcnt(0) lgkmcnt(0)
	s_barrier
	s_and_saveexec_b64 s[4:5], vcc
	s_cbranch_execz .LBB126_495
; %bb.493:
	buffer_load_dword v4, off, s[0:3], 0 offset:312
	buffer_load_dword v5, off, s[0:3], 0 offset:316
	;; [unrolled: 1-line block ×4, first 2 shown]
	s_movk_i32 s18, 0x140
	s_waitcnt vmcnt(2)
	v_mul_f64 v[12:13], v[2:3], v[4:5]
	v_mul_f64 v[4:5], v[0:1], v[4:5]
	s_waitcnt vmcnt(0)
	v_fma_f64 v[0:1], v[0:1], v[10:11], -v[12:13]
	v_fma_f64 v[2:3], v[2:3], v[10:11], v[4:5]
	buffer_store_dword v0, off, s[0:3], 0 offset:304
	buffer_store_dword v1, off, s[0:3], 0 offset:308
	;; [unrolled: 1-line block ×4, first 2 shown]
.LBB126_494:                            ; =>This Inner Loop Header: Depth=1
	buffer_load_dword v4, off, s[0:3], 0 offset:312
	buffer_load_dword v5, off, s[0:3], 0 offset:316
	;; [unrolled: 1-line block ×4, first 2 shown]
	v_mov_b32_e32 v32, s18
	buffer_load_dword v22, v32, s[0:3], 0 offen
	buffer_load_dword v23, v32, s[0:3], 0 offen offset:4
	buffer_load_dword v24, v32, s[0:3], 0 offen offset:8
	;; [unrolled: 1-line block ×3, first 2 shown]
	v_add_u32_e32 v33, s18, v16
	ds_read2_b64 v[0:3], v33 offset1:1
	buffer_load_dword v26, v32, s[0:3], 0 offen offset:16
	buffer_load_dword v27, v32, s[0:3], 0 offen offset:20
	;; [unrolled: 1-line block ×4, first 2 shown]
	ds_read2_b64 v[10:13], v33 offset0:2 offset1:3
	s_add_i32 s18, s18, 64
	s_cmpk_lg_i32 s18, 0x400
	s_waitcnt vmcnt(10) lgkmcnt(1)
	v_mul_f64 v[30:31], v[2:3], v[4:5]
	v_mul_f64 v[4:5], v[0:1], v[4:5]
	s_waitcnt vmcnt(8)
	v_fma_f64 v[0:1], v[0:1], v[20:21], -v[30:31]
	v_fma_f64 v[2:3], v[2:3], v[20:21], v[4:5]
	s_waitcnt vmcnt(6)
	v_add_f64 v[0:1], v[22:23], -v[0:1]
	s_waitcnt vmcnt(4)
	v_add_f64 v[2:3], v[24:25], -v[2:3]
	buffer_store_dword v1, v32, s[0:3], 0 offen offset:4
	buffer_store_dword v0, v32, s[0:3], 0 offen
	buffer_store_dword v3, v32, s[0:3], 0 offen offset:12
	buffer_store_dword v2, v32, s[0:3], 0 offen offset:8
	buffer_load_dword v1, off, s[0:3], 0 offset:316
	s_nop 0
	buffer_load_dword v0, off, s[0:3], 0 offset:312
	buffer_load_dword v3, off, s[0:3], 0 offset:308
	;; [unrolled: 1-line block ×3, first 2 shown]
	buffer_load_dword v4, v32, s[0:3], 0 offen offset:32
	buffer_load_dword v5, v32, s[0:3], 0 offen offset:36
	;; [unrolled: 1-line block ×4, first 2 shown]
	s_waitcnt vmcnt(6) lgkmcnt(0)
	v_mul_f64 v[22:23], v[12:13], v[0:1]
	v_mul_f64 v[0:1], v[10:11], v[0:1]
	s_waitcnt vmcnt(4)
	v_fma_f64 v[10:11], v[10:11], v[2:3], -v[22:23]
	v_fma_f64 v[0:1], v[12:13], v[2:3], v[0:1]
	v_add_f64 v[2:3], v[26:27], -v[10:11]
	v_add_f64 v[0:1], v[28:29], -v[0:1]
	buffer_store_dword v3, v32, s[0:3], 0 offen offset:20
	buffer_store_dword v2, v32, s[0:3], 0 offen offset:16
	;; [unrolled: 1-line block ×4, first 2 shown]
	buffer_load_dword v22, off, s[0:3], 0 offset:312
	buffer_load_dword v23, off, s[0:3], 0 offset:316
	;; [unrolled: 1-line block ×4, first 2 shown]
	ds_read2_b64 v[0:3], v33 offset0:4 offset1:5
	ds_read2_b64 v[10:13], v33 offset0:6 offset1:7
	s_waitcnt vmcnt(2) lgkmcnt(1)
	v_mul_f64 v[26:27], v[2:3], v[22:23]
	v_mul_f64 v[22:23], v[0:1], v[22:23]
	s_waitcnt vmcnt(0)
	v_fma_f64 v[0:1], v[0:1], v[24:25], -v[26:27]
	v_fma_f64 v[2:3], v[2:3], v[24:25], v[22:23]
	v_add_f64 v[0:1], v[4:5], -v[0:1]
	v_add_f64 v[2:3], v[20:21], -v[2:3]
	buffer_store_dword v1, v32, s[0:3], 0 offen offset:36
	buffer_store_dword v0, v32, s[0:3], 0 offen offset:32
	;; [unrolled: 1-line block ×4, first 2 shown]
	buffer_load_dword v0, off, s[0:3], 0 offset:312
	s_nop 0
	buffer_load_dword v1, off, s[0:3], 0 offset:316
	buffer_load_dword v2, off, s[0:3], 0 offset:304
	;; [unrolled: 1-line block ×3, first 2 shown]
	buffer_load_dword v4, v32, s[0:3], 0 offen offset:48
	buffer_load_dword v5, v32, s[0:3], 0 offen offset:52
	;; [unrolled: 1-line block ×4, first 2 shown]
	s_waitcnt vmcnt(6) lgkmcnt(0)
	v_mul_f64 v[22:23], v[12:13], v[0:1]
	v_mul_f64 v[0:1], v[10:11], v[0:1]
	s_waitcnt vmcnt(4)
	v_fma_f64 v[10:11], v[10:11], v[2:3], -v[22:23]
	v_fma_f64 v[0:1], v[12:13], v[2:3], v[0:1]
	s_waitcnt vmcnt(2)
	v_add_f64 v[2:3], v[4:5], -v[10:11]
	s_waitcnt vmcnt(0)
	v_add_f64 v[0:1], v[20:21], -v[0:1]
	buffer_store_dword v3, v32, s[0:3], 0 offen offset:52
	buffer_store_dword v2, v32, s[0:3], 0 offen offset:48
	;; [unrolled: 1-line block ×4, first 2 shown]
	s_cbranch_scc1 .LBB126_494
.LBB126_495:
	s_or_b64 exec, exec, s[4:5]
	v_mov_b32_e32 v3, s69
	s_waitcnt vmcnt(0)
	s_barrier
	buffer_load_dword v0, v3, s[0:3], 0 offen
	buffer_load_dword v1, v3, s[0:3], 0 offen offset:4
	buffer_load_dword v2, v3, s[0:3], 0 offen offset:8
	s_nop 0
	buffer_load_dword v3, v3, s[0:3], 0 offen offset:12
	v_lshl_add_u32 v4, v19, 4, v16
	s_cmp_lt_i32 s66, 22
	s_waitcnt vmcnt(0)
	ds_write2_b64 v4, v[0:1], v[2:3] offset1:1
	s_waitcnt lgkmcnt(0)
	s_barrier
	ds_read2_b64 v[0:3], v16 offset0:40 offset1:41
	v_mov_b32_e32 v4, 20
	s_cbranch_scc1 .LBB126_498
; %bb.496:
	v_add_u32_e32 v5, 0x150, v16
	s_mov_b32 s16, 21
	v_mov_b32_e32 v4, 20
.LBB126_497:                            ; =>This Inner Loop Header: Depth=1
	s_waitcnt lgkmcnt(0)
	v_cmp_gt_f64_e32 vcc, 0, v[2:3]
	v_cmp_gt_f64_e64 s[4:5], 0, v[0:1]
	ds_read2_b64 v[10:13], v5 offset1:1
	v_xor_b32_e32 v21, 0x80000000, v1
	v_xor_b32_e32 v23, 0x80000000, v3
	v_mov_b32_e32 v20, v0
	v_mov_b32_e32 v22, v2
	s_waitcnt lgkmcnt(0)
	v_xor_b32_e32 v25, 0x80000000, v13
	v_cndmask_b32_e32 v23, v3, v23, vcc
	v_cndmask_b32_e64 v21, v1, v21, s[4:5]
	v_cmp_gt_f64_e32 vcc, 0, v[12:13]
	v_cmp_gt_f64_e64 s[4:5], 0, v[10:11]
	v_add_f64 v[20:21], v[20:21], v[22:23]
	v_xor_b32_e32 v23, 0x80000000, v11
	v_mov_b32_e32 v22, v10
	v_mov_b32_e32 v24, v12
	v_add_u32_e32 v5, 16, v5
	v_cndmask_b32_e32 v25, v13, v25, vcc
	v_cndmask_b32_e64 v23, v11, v23, s[4:5]
	v_add_f64 v[22:23], v[22:23], v[24:25]
	v_mov_b32_e32 v24, s16
	s_add_i32 s16, s16, 1
	s_cmp_lg_u32 s66, s16
	v_cmp_lt_f64_e32 vcc, v[20:21], v[22:23]
	v_cndmask_b32_e32 v1, v1, v11, vcc
	v_cndmask_b32_e32 v0, v0, v10, vcc
	;; [unrolled: 1-line block ×5, first 2 shown]
	s_cbranch_scc1 .LBB126_497
.LBB126_498:
	s_waitcnt lgkmcnt(0)
	v_cmp_eq_f64_e32 vcc, 0, v[0:1]
	v_cmp_eq_f64_e64 s[4:5], 0, v[2:3]
	s_and_b64 s[4:5], vcc, s[4:5]
	s_and_saveexec_b64 s[16:17], s[4:5]
	s_xor_b64 s[4:5], exec, s[16:17]
; %bb.499:
	v_cmp_ne_u32_e32 vcc, 0, v17
	v_cndmask_b32_e32 v17, 21, v17, vcc
; %bb.500:
	s_andn2_saveexec_b64 s[4:5], s[4:5]
	s_cbranch_execz .LBB126_506
; %bb.501:
	v_cmp_ngt_f64_e64 s[16:17], |v[0:1]|, |v[2:3]|
	s_and_saveexec_b64 s[18:19], s[16:17]
	s_xor_b64 s[18:19], exec, s[18:19]
	s_cbranch_execz .LBB126_503
; %bb.502:
	v_div_scale_f64 v[10:11], s[16:17], v[2:3], v[2:3], v[0:1]
	v_rcp_f64_e32 v[12:13], v[10:11]
	v_fma_f64 v[20:21], -v[10:11], v[12:13], 1.0
	v_fma_f64 v[12:13], v[12:13], v[20:21], v[12:13]
	v_div_scale_f64 v[20:21], vcc, v[0:1], v[2:3], v[0:1]
	v_fma_f64 v[22:23], -v[10:11], v[12:13], 1.0
	v_fma_f64 v[12:13], v[12:13], v[22:23], v[12:13]
	v_mul_f64 v[22:23], v[20:21], v[12:13]
	v_fma_f64 v[10:11], -v[10:11], v[22:23], v[20:21]
	v_div_fmas_f64 v[10:11], v[10:11], v[12:13], v[22:23]
	v_div_fixup_f64 v[10:11], v[10:11], v[2:3], v[0:1]
	v_fma_f64 v[0:1], v[0:1], v[10:11], v[2:3]
	v_div_scale_f64 v[2:3], s[16:17], v[0:1], v[0:1], 1.0
	v_div_scale_f64 v[22:23], vcc, 1.0, v[0:1], 1.0
	v_rcp_f64_e32 v[12:13], v[2:3]
	v_fma_f64 v[20:21], -v[2:3], v[12:13], 1.0
	v_fma_f64 v[12:13], v[12:13], v[20:21], v[12:13]
	v_fma_f64 v[20:21], -v[2:3], v[12:13], 1.0
	v_fma_f64 v[12:13], v[12:13], v[20:21], v[12:13]
	v_mul_f64 v[20:21], v[22:23], v[12:13]
	v_fma_f64 v[2:3], -v[2:3], v[20:21], v[22:23]
	v_div_fmas_f64 v[2:3], v[2:3], v[12:13], v[20:21]
	v_div_fixup_f64 v[2:3], v[2:3], v[0:1], 1.0
	v_mul_f64 v[0:1], v[10:11], v[2:3]
	v_xor_b32_e32 v3, 0x80000000, v3
.LBB126_503:
	s_andn2_saveexec_b64 s[18:19], s[18:19]
	s_cbranch_execz .LBB126_505
; %bb.504:
	v_div_scale_f64 v[10:11], s[16:17], v[0:1], v[0:1], v[2:3]
	v_rcp_f64_e32 v[12:13], v[10:11]
	v_fma_f64 v[20:21], -v[10:11], v[12:13], 1.0
	v_fma_f64 v[12:13], v[12:13], v[20:21], v[12:13]
	v_div_scale_f64 v[20:21], vcc, v[2:3], v[0:1], v[2:3]
	v_fma_f64 v[22:23], -v[10:11], v[12:13], 1.0
	v_fma_f64 v[12:13], v[12:13], v[22:23], v[12:13]
	v_mul_f64 v[22:23], v[20:21], v[12:13]
	v_fma_f64 v[10:11], -v[10:11], v[22:23], v[20:21]
	v_div_fmas_f64 v[10:11], v[10:11], v[12:13], v[22:23]
	v_div_fixup_f64 v[10:11], v[10:11], v[0:1], v[2:3]
	v_fma_f64 v[0:1], v[2:3], v[10:11], v[0:1]
	v_div_scale_f64 v[2:3], s[16:17], v[0:1], v[0:1], 1.0
	v_div_scale_f64 v[22:23], vcc, 1.0, v[0:1], 1.0
	v_rcp_f64_e32 v[12:13], v[2:3]
	v_fma_f64 v[20:21], -v[2:3], v[12:13], 1.0
	v_fma_f64 v[12:13], v[12:13], v[20:21], v[12:13]
	v_fma_f64 v[20:21], -v[2:3], v[12:13], 1.0
	v_fma_f64 v[12:13], v[12:13], v[20:21], v[12:13]
	v_mul_f64 v[20:21], v[22:23], v[12:13]
	v_fma_f64 v[2:3], -v[2:3], v[20:21], v[22:23]
	v_div_fmas_f64 v[2:3], v[2:3], v[12:13], v[20:21]
	v_div_fixup_f64 v[0:1], v[2:3], v[0:1], 1.0
	v_mul_f64 v[2:3], v[10:11], -v[0:1]
.LBB126_505:
	s_or_b64 exec, exec, s[18:19]
.LBB126_506:
	s_or_b64 exec, exec, s[4:5]
	v_cmp_ne_u32_e32 vcc, v19, v4
	s_and_saveexec_b64 s[4:5], vcc
	s_xor_b64 s[4:5], exec, s[4:5]
	s_cbranch_execz .LBB126_512
; %bb.507:
	v_cmp_eq_u32_e32 vcc, 20, v19
	s_and_saveexec_b64 s[18:19], vcc
	s_cbranch_execz .LBB126_511
; %bb.508:
	v_cmp_ne_u32_e32 vcc, 20, v4
	s_xor_b64 s[16:17], s[10:11], -1
	s_and_b64 s[16:17], s[16:17], vcc
	s_and_saveexec_b64 s[24:25], s[16:17]
	s_cbranch_execz .LBB126_510
; %bb.509:
	v_ashrrev_i32_e32 v5, 31, v4
	v_lshlrev_b64 v[10:11], 2, v[4:5]
	v_add_co_u32_e32 v10, vcc, v8, v10
	v_addc_co_u32_e32 v11, vcc, v9, v11, vcc
	global_load_dword v5, v[10:11], off
	global_load_dword v12, v[8:9], off offset:80
	s_waitcnt vmcnt(1)
	global_store_dword v[8:9], v5, off offset:80
	s_waitcnt vmcnt(1)
	global_store_dword v[10:11], v12, off
.LBB126_510:
	s_or_b64 exec, exec, s[24:25]
	v_mov_b32_e32 v19, v4
	v_mov_b32_e32 v18, v4
.LBB126_511:
	s_or_b64 exec, exec, s[18:19]
.LBB126_512:
	s_andn2_saveexec_b64 s[4:5], s[4:5]
	s_cbranch_execz .LBB126_518
; %bb.513:
	s_movk_i32 s16, 0x150
	s_branch .LBB126_515
.LBB126_514:                            ;   in Loop: Header=BB126_515 Depth=1
	s_andn2_b64 vcc, exec, s[18:19]
	s_cbranch_vccz .LBB126_517
.LBB126_515:                            ; =>This Inner Loop Header: Depth=1
	v_mov_b32_e32 v4, s16
	buffer_load_dword v10, v4, s[0:3], 0 offen
	buffer_load_dword v11, v4, s[0:3], 0 offen offset:4
	buffer_load_dword v12, v4, s[0:3], 0 offen offset:8
	;; [unrolled: 1-line block ×11, first 2 shown]
	s_mov_b32 s17, s16
	v_add_u32_e32 v4, s16, v16
	s_cmpk_eq_i32 s16, 0x3d0
	s_mov_b64 s[18:19], -1
	s_waitcnt vmcnt(8)
	ds_write2_b64 v4, v[10:11], v[12:13] offset1:1
	s_waitcnt vmcnt(4)
	ds_write2_b64 v4, v[19:20], v[21:22] offset0:2 offset1:3
	s_waitcnt vmcnt(0)
	ds_write2_b64 v4, v[23:24], v[25:26] offset0:4 offset1:5
	s_cbranch_scc1 .LBB126_514
; %bb.516:                              ;   in Loop: Header=BB126_515 Depth=1
	v_mov_b32_e32 v5, s17
	buffer_load_dword v10, v5, s[0:3], 0 offen offset:48
	buffer_load_dword v11, v5, s[0:3], 0 offen offset:52
	;; [unrolled: 1-line block ×20, first 2 shown]
	s_addk_i32 s16, 0x80
	s_mov_b64 s[18:19], 0
	s_waitcnt vmcnt(16)
	ds_write2_b64 v4, v[10:11], v[12:13] offset0:6 offset1:7
	s_waitcnt vmcnt(12)
	ds_write2_b64 v4, v[19:20], v[21:22] offset0:8 offset1:9
	;; [unrolled: 2-line block ×5, first 2 shown]
	s_branch .LBB126_514
.LBB126_517:
	v_mov_b32_e32 v19, 20
.LBB126_518:
	s_or_b64 exec, exec, s[4:5]
	v_cmp_lt_i32_e32 vcc, 20, v19
	s_waitcnt vmcnt(0) lgkmcnt(0)
	s_barrier
	s_and_saveexec_b64 s[4:5], vcc
	s_cbranch_execz .LBB126_523
; %bb.519:
	buffer_load_dword v4, off, s[0:3], 0 offset:328
	buffer_load_dword v5, off, s[0:3], 0 offset:332
	;; [unrolled: 1-line block ×4, first 2 shown]
	s_movk_i32 s24, 0x150
	s_waitcnt vmcnt(2)
	v_mul_f64 v[12:13], v[2:3], v[4:5]
	v_mul_f64 v[4:5], v[0:1], v[4:5]
	s_waitcnt vmcnt(0)
	v_fma_f64 v[0:1], v[0:1], v[10:11], -v[12:13]
	v_fma_f64 v[2:3], v[2:3], v[10:11], v[4:5]
	buffer_store_dword v0, off, s[0:3], 0 offset:320
	buffer_store_dword v1, off, s[0:3], 0 offset:324
	;; [unrolled: 1-line block ×4, first 2 shown]
	s_branch .LBB126_521
.LBB126_520:                            ;   in Loop: Header=BB126_521 Depth=1
	s_andn2_b64 vcc, exec, s[18:19]
	s_cbranch_vccz .LBB126_523
.LBB126_521:                            ; =>This Inner Loop Header: Depth=1
	v_mov_b32_e32 v5, s24
	buffer_load_dword v24, v5, s[0:3], 0 offen
	buffer_load_dword v25, v5, s[0:3], 0 offen offset:4
	buffer_load_dword v26, v5, s[0:3], 0 offen offset:8
	;; [unrolled: 1-line block ×3, first 2 shown]
	v_add_u32_e32 v4, s24, v16
	ds_read2_b64 v[10:13], v4 offset1:1
	ds_read2_b64 v[20:23], v4 offset0:2 offset1:3
	s_mov_b32 s16, s24
	s_cmpk_eq_i32 s24, 0x3d0
	s_mov_b64 s[18:19], -1
	s_waitcnt vmcnt(5) lgkmcnt(1)
	v_mul_f64 v[28:29], v[12:13], v[2:3]
	v_mul_f64 v[2:3], v[10:11], v[2:3]
	s_waitcnt vmcnt(4)
	v_fma_f64 v[10:11], v[10:11], v[0:1], -v[28:29]
	v_fma_f64 v[0:1], v[12:13], v[0:1], v[2:3]
	buffer_load_dword v2, v5, s[0:3], 0 offen offset:20
	buffer_load_dword v12, v5, s[0:3], 0 offen offset:28
	;; [unrolled: 1-line block ×3, first 2 shown]
	s_waitcnt vmcnt(5)
	v_add_f64 v[10:11], v[24:25], -v[10:11]
	s_waitcnt vmcnt(3)
	v_add_f64 v[0:1], v[26:27], -v[0:1]
	buffer_store_dword v11, v5, s[0:3], 0 offen offset:4
	buffer_store_dword v10, v5, s[0:3], 0 offen
	buffer_store_dword v1, v5, s[0:3], 0 offen offset:12
	buffer_store_dword v0, v5, s[0:3], 0 offen offset:8
	buffer_load_dword v11, v5, s[0:3], 0 offen offset:24
	s_nop 0
	buffer_load_dword v13, v5, s[0:3], 0 offen offset:36
	buffer_load_dword v25, off, s[0:3], 0 offset:332
	buffer_load_dword v24, off, s[0:3], 0 offset:328
	;; [unrolled: 1-line block ×4, first 2 shown]
	buffer_load_dword v1, v5, s[0:3], 0 offen offset:16
	s_waitcnt vmcnt(3) lgkmcnt(0)
	v_mul_f64 v[29:30], v[22:23], v[24:25]
	v_mul_f64 v[24:25], v[20:21], v[24:25]
	s_waitcnt vmcnt(1)
	v_fma_f64 v[20:21], v[20:21], v[26:27], -v[29:30]
	v_fma_f64 v[22:23], v[22:23], v[26:27], v[24:25]
	s_waitcnt vmcnt(0)
	v_add_f64 v[0:1], v[1:2], -v[20:21]
	v_add_f64 v[2:3], v[11:12], -v[22:23]
	buffer_store_dword v1, v5, s[0:3], 0 offen offset:20
	buffer_store_dword v0, v5, s[0:3], 0 offen offset:16
	;; [unrolled: 1-line block ×4, first 2 shown]
	buffer_load_dword v29, v5, s[0:3], 0 offen offset:44
	buffer_load_dword v10, off, s[0:3], 0 offset:328
	buffer_load_dword v11, off, s[0:3], 0 offset:332
	;; [unrolled: 1-line block ×4, first 2 shown]
	buffer_load_dword v12, v5, s[0:3], 0 offen offset:32
	ds_read2_b64 v[0:3], v4 offset0:4 offset1:5
	s_waitcnt vmcnt(3) lgkmcnt(0)
	v_mul_f64 v[22:23], v[2:3], v[10:11]
	v_mul_f64 v[10:11], v[0:1], v[10:11]
	s_waitcnt vmcnt(1)
	v_fma_f64 v[0:1], v[0:1], v[20:21], -v[22:23]
	v_fma_f64 v[2:3], v[2:3], v[20:21], v[10:11]
	s_waitcnt vmcnt(0)
	v_add_f64 v[0:1], v[12:13], -v[0:1]
	v_add_f64 v[2:3], v[28:29], -v[2:3]
	buffer_store_dword v1, v5, s[0:3], 0 offen offset:36
	buffer_store_dword v0, v5, s[0:3], 0 offen offset:32
	;; [unrolled: 1-line block ×4, first 2 shown]
                                        ; implicit-def: $vgpr0_vgpr1
                                        ; implicit-def: $vgpr2_vgpr3
	s_cbranch_scc1 .LBB126_520
; %bb.522:                              ;   in Loop: Header=BB126_521 Depth=1
	buffer_load_dword v10, off, s[0:3], 0 offset:328
	buffer_load_dword v11, off, s[0:3], 0 offset:332
	;; [unrolled: 1-line block ×4, first 2 shown]
	v_mov_b32_e32 v24, s16
	buffer_load_dword v20, v24, s[0:3], 0 offen offset:48
	buffer_load_dword v21, v24, s[0:3], 0 offen offset:52
	;; [unrolled: 1-line block ×4, first 2 shown]
	ds_read2_b64 v[0:3], v4 offset0:6 offset1:7
	s_add_i32 s24, s24, 64
	s_mov_b64 s[18:19], 0
	s_waitcnt vmcnt(6) lgkmcnt(0)
	v_mul_f64 v[4:5], v[2:3], v[10:11]
	v_mul_f64 v[10:11], v[0:1], v[10:11]
	s_waitcnt vmcnt(4)
	v_fma_f64 v[0:1], v[0:1], v[12:13], -v[4:5]
	v_fma_f64 v[2:3], v[2:3], v[12:13], v[10:11]
	s_waitcnt vmcnt(2)
	v_add_f64 v[0:1], v[20:21], -v[0:1]
	s_waitcnt vmcnt(0)
	v_add_f64 v[2:3], v[22:23], -v[2:3]
	buffer_store_dword v1, v24, s[0:3], 0 offen offset:52
	buffer_store_dword v0, v24, s[0:3], 0 offen offset:48
	;; [unrolled: 1-line block ×4, first 2 shown]
	buffer_load_dword v1, off, s[0:3], 0 offset:324
	s_nop 0
	buffer_load_dword v3, off, s[0:3], 0 offset:332
	buffer_load_dword v2, off, s[0:3], 0 offset:328
	buffer_load_dword v0, off, s[0:3], 0 offset:320
	s_branch .LBB126_520
.LBB126_523:
	s_or_b64 exec, exec, s[4:5]
	s_waitcnt vmcnt(2)
	v_mov_b32_e32 v3, s68
	s_waitcnt vmcnt(0)
	s_barrier
	buffer_load_dword v0, v3, s[0:3], 0 offen
	buffer_load_dword v1, v3, s[0:3], 0 offen offset:4
	buffer_load_dword v2, v3, s[0:3], 0 offen offset:8
	s_nop 0
	buffer_load_dword v3, v3, s[0:3], 0 offen offset:12
	v_lshl_add_u32 v4, v19, 4, v16
	s_cmp_lt_i32 s66, 23
	s_waitcnt vmcnt(0)
	ds_write2_b64 v4, v[0:1], v[2:3] offset1:1
	s_waitcnt lgkmcnt(0)
	s_barrier
	ds_read2_b64 v[0:3], v16 offset0:42 offset1:43
	v_mov_b32_e32 v4, 21
	s_cbranch_scc1 .LBB126_526
; %bb.524:
	v_add_u32_e32 v5, 0x160, v16
	s_mov_b32 s16, 22
	v_mov_b32_e32 v4, 21
.LBB126_525:                            ; =>This Inner Loop Header: Depth=1
	s_waitcnt lgkmcnt(0)
	v_cmp_gt_f64_e32 vcc, 0, v[2:3]
	v_cmp_gt_f64_e64 s[4:5], 0, v[0:1]
	ds_read2_b64 v[10:13], v5 offset1:1
	v_xor_b32_e32 v21, 0x80000000, v1
	v_xor_b32_e32 v23, 0x80000000, v3
	v_mov_b32_e32 v20, v0
	v_mov_b32_e32 v22, v2
	s_waitcnt lgkmcnt(0)
	v_xor_b32_e32 v25, 0x80000000, v13
	v_cndmask_b32_e32 v23, v3, v23, vcc
	v_cndmask_b32_e64 v21, v1, v21, s[4:5]
	v_cmp_gt_f64_e32 vcc, 0, v[12:13]
	v_cmp_gt_f64_e64 s[4:5], 0, v[10:11]
	v_add_f64 v[20:21], v[20:21], v[22:23]
	v_xor_b32_e32 v23, 0x80000000, v11
	v_mov_b32_e32 v22, v10
	v_mov_b32_e32 v24, v12
	v_add_u32_e32 v5, 16, v5
	v_cndmask_b32_e32 v25, v13, v25, vcc
	v_cndmask_b32_e64 v23, v11, v23, s[4:5]
	v_add_f64 v[22:23], v[22:23], v[24:25]
	v_mov_b32_e32 v24, s16
	s_add_i32 s16, s16, 1
	s_cmp_lg_u32 s66, s16
	v_cmp_lt_f64_e32 vcc, v[20:21], v[22:23]
	v_cndmask_b32_e32 v1, v1, v11, vcc
	v_cndmask_b32_e32 v0, v0, v10, vcc
	;; [unrolled: 1-line block ×5, first 2 shown]
	s_cbranch_scc1 .LBB126_525
.LBB126_526:
	s_waitcnt lgkmcnt(0)
	v_cmp_eq_f64_e32 vcc, 0, v[0:1]
	v_cmp_eq_f64_e64 s[4:5], 0, v[2:3]
	s_and_b64 s[4:5], vcc, s[4:5]
	s_and_saveexec_b64 s[16:17], s[4:5]
	s_xor_b64 s[4:5], exec, s[16:17]
; %bb.527:
	v_cmp_ne_u32_e32 vcc, 0, v17
	v_cndmask_b32_e32 v17, 22, v17, vcc
; %bb.528:
	s_andn2_saveexec_b64 s[4:5], s[4:5]
	s_cbranch_execz .LBB126_534
; %bb.529:
	v_cmp_ngt_f64_e64 s[16:17], |v[0:1]|, |v[2:3]|
	s_and_saveexec_b64 s[18:19], s[16:17]
	s_xor_b64 s[18:19], exec, s[18:19]
	s_cbranch_execz .LBB126_531
; %bb.530:
	v_div_scale_f64 v[10:11], s[16:17], v[2:3], v[2:3], v[0:1]
	v_rcp_f64_e32 v[12:13], v[10:11]
	v_fma_f64 v[20:21], -v[10:11], v[12:13], 1.0
	v_fma_f64 v[12:13], v[12:13], v[20:21], v[12:13]
	v_div_scale_f64 v[20:21], vcc, v[0:1], v[2:3], v[0:1]
	v_fma_f64 v[22:23], -v[10:11], v[12:13], 1.0
	v_fma_f64 v[12:13], v[12:13], v[22:23], v[12:13]
	v_mul_f64 v[22:23], v[20:21], v[12:13]
	v_fma_f64 v[10:11], -v[10:11], v[22:23], v[20:21]
	v_div_fmas_f64 v[10:11], v[10:11], v[12:13], v[22:23]
	v_div_fixup_f64 v[10:11], v[10:11], v[2:3], v[0:1]
	v_fma_f64 v[0:1], v[0:1], v[10:11], v[2:3]
	v_div_scale_f64 v[2:3], s[16:17], v[0:1], v[0:1], 1.0
	v_div_scale_f64 v[22:23], vcc, 1.0, v[0:1], 1.0
	v_rcp_f64_e32 v[12:13], v[2:3]
	v_fma_f64 v[20:21], -v[2:3], v[12:13], 1.0
	v_fma_f64 v[12:13], v[12:13], v[20:21], v[12:13]
	v_fma_f64 v[20:21], -v[2:3], v[12:13], 1.0
	v_fma_f64 v[12:13], v[12:13], v[20:21], v[12:13]
	v_mul_f64 v[20:21], v[22:23], v[12:13]
	v_fma_f64 v[2:3], -v[2:3], v[20:21], v[22:23]
	v_div_fmas_f64 v[2:3], v[2:3], v[12:13], v[20:21]
	v_div_fixup_f64 v[2:3], v[2:3], v[0:1], 1.0
	v_mul_f64 v[0:1], v[10:11], v[2:3]
	v_xor_b32_e32 v3, 0x80000000, v3
.LBB126_531:
	s_andn2_saveexec_b64 s[18:19], s[18:19]
	s_cbranch_execz .LBB126_533
; %bb.532:
	v_div_scale_f64 v[10:11], s[16:17], v[0:1], v[0:1], v[2:3]
	v_rcp_f64_e32 v[12:13], v[10:11]
	v_fma_f64 v[20:21], -v[10:11], v[12:13], 1.0
	v_fma_f64 v[12:13], v[12:13], v[20:21], v[12:13]
	v_div_scale_f64 v[20:21], vcc, v[2:3], v[0:1], v[2:3]
	v_fma_f64 v[22:23], -v[10:11], v[12:13], 1.0
	v_fma_f64 v[12:13], v[12:13], v[22:23], v[12:13]
	v_mul_f64 v[22:23], v[20:21], v[12:13]
	v_fma_f64 v[10:11], -v[10:11], v[22:23], v[20:21]
	v_div_fmas_f64 v[10:11], v[10:11], v[12:13], v[22:23]
	v_div_fixup_f64 v[10:11], v[10:11], v[0:1], v[2:3]
	v_fma_f64 v[0:1], v[2:3], v[10:11], v[0:1]
	v_div_scale_f64 v[2:3], s[16:17], v[0:1], v[0:1], 1.0
	v_div_scale_f64 v[22:23], vcc, 1.0, v[0:1], 1.0
	v_rcp_f64_e32 v[12:13], v[2:3]
	v_fma_f64 v[20:21], -v[2:3], v[12:13], 1.0
	v_fma_f64 v[12:13], v[12:13], v[20:21], v[12:13]
	v_fma_f64 v[20:21], -v[2:3], v[12:13], 1.0
	v_fma_f64 v[12:13], v[12:13], v[20:21], v[12:13]
	v_mul_f64 v[20:21], v[22:23], v[12:13]
	v_fma_f64 v[2:3], -v[2:3], v[20:21], v[22:23]
	v_div_fmas_f64 v[2:3], v[2:3], v[12:13], v[20:21]
	v_div_fixup_f64 v[0:1], v[2:3], v[0:1], 1.0
	v_mul_f64 v[2:3], v[10:11], -v[0:1]
.LBB126_533:
	s_or_b64 exec, exec, s[18:19]
.LBB126_534:
	s_or_b64 exec, exec, s[4:5]
	v_cmp_ne_u32_e32 vcc, v19, v4
	s_and_saveexec_b64 s[4:5], vcc
	s_xor_b64 s[4:5], exec, s[4:5]
	s_cbranch_execz .LBB126_540
; %bb.535:
	v_cmp_eq_u32_e32 vcc, 21, v19
	s_and_saveexec_b64 s[18:19], vcc
	s_cbranch_execz .LBB126_539
; %bb.536:
	v_cmp_ne_u32_e32 vcc, 21, v4
	s_xor_b64 s[16:17], s[10:11], -1
	s_and_b64 s[16:17], s[16:17], vcc
	s_and_saveexec_b64 s[24:25], s[16:17]
	s_cbranch_execz .LBB126_538
; %bb.537:
	v_ashrrev_i32_e32 v5, 31, v4
	v_lshlrev_b64 v[10:11], 2, v[4:5]
	v_add_co_u32_e32 v10, vcc, v8, v10
	v_addc_co_u32_e32 v11, vcc, v9, v11, vcc
	global_load_dword v5, v[10:11], off
	global_load_dword v12, v[8:9], off offset:84
	s_waitcnt vmcnt(1)
	global_store_dword v[8:9], v5, off offset:84
	s_waitcnt vmcnt(1)
	global_store_dword v[10:11], v12, off
.LBB126_538:
	s_or_b64 exec, exec, s[24:25]
	v_mov_b32_e32 v19, v4
	v_mov_b32_e32 v18, v4
.LBB126_539:
	s_or_b64 exec, exec, s[18:19]
.LBB126_540:
	s_andn2_saveexec_b64 s[4:5], s[4:5]
	s_cbranch_execz .LBB126_544
; %bb.541:
	s_movk_i32 s18, 0x160
.LBB126_542:                            ; =>This Inner Loop Header: Depth=1
	v_mov_b32_e32 v29, s18
	buffer_load_dword v4, v29, s[0:3], 0 offen
	buffer_load_dword v5, v29, s[0:3], 0 offen offset:4
	buffer_load_dword v10, v29, s[0:3], 0 offen offset:8
	;; [unrolled: 1-line block ×15, first 2 shown]
	v_add_u32_e32 v30, s18, v16
	s_addk_i32 s18, 0xe0
	s_cmpk_eq_i32 s18, 0x400
	s_waitcnt vmcnt(12)
	ds_write2_b64 v30, v[4:5], v[10:11] offset1:1
	s_waitcnt vmcnt(8)
	ds_write2_b64 v30, v[12:13], v[19:20] offset0:2 offset1:3
	s_waitcnt vmcnt(4)
	ds_write2_b64 v30, v[21:22], v[23:24] offset0:4 offset1:5
	s_waitcnt vmcnt(0)
	ds_write2_b64 v30, v[25:26], v[27:28] offset0:6 offset1:7
	buffer_load_dword v5, v29, s[0:3], 0 offen offset:76
	buffer_load_dword v4, v29, s[0:3], 0 offen offset:72
	buffer_load_dword v11, v29, s[0:3], 0 offen offset:68
	buffer_load_dword v10, v29, s[0:3], 0 offen offset:64
	s_waitcnt vmcnt(0)
	ds_write2_b64 v30, v[10:11], v[4:5] offset0:8 offset1:9
	buffer_load_dword v5, v29, s[0:3], 0 offen offset:92
	buffer_load_dword v4, v29, s[0:3], 0 offen offset:88
	buffer_load_dword v11, v29, s[0:3], 0 offen offset:84
	buffer_load_dword v10, v29, s[0:3], 0 offen offset:80
	s_waitcnt vmcnt(0)
	ds_write2_b64 v30, v[10:11], v[4:5] offset0:10 offset1:11
	;; [unrolled: 6-line block ×10, first 2 shown]
	s_cbranch_scc0 .LBB126_542
; %bb.543:
	v_mov_b32_e32 v19, 21
.LBB126_544:
	s_or_b64 exec, exec, s[4:5]
	v_cmp_lt_i32_e32 vcc, 21, v19
	s_waitcnt vmcnt(0) lgkmcnt(0)
	s_barrier
	s_and_saveexec_b64 s[4:5], vcc
	s_cbranch_execz .LBB126_547
; %bb.545:
	buffer_load_dword v4, off, s[0:3], 0 offset:344
	buffer_load_dword v5, off, s[0:3], 0 offset:348
	;; [unrolled: 1-line block ×4, first 2 shown]
	s_movk_i32 s18, 0x160
	s_waitcnt vmcnt(2)
	v_mul_f64 v[12:13], v[2:3], v[4:5]
	v_mul_f64 v[4:5], v[0:1], v[4:5]
	s_waitcnt vmcnt(0)
	v_fma_f64 v[0:1], v[0:1], v[10:11], -v[12:13]
	v_fma_f64 v[2:3], v[2:3], v[10:11], v[4:5]
	buffer_store_dword v0, off, s[0:3], 0 offset:336
	buffer_store_dword v1, off, s[0:3], 0 offset:340
	;; [unrolled: 1-line block ×4, first 2 shown]
.LBB126_546:                            ; =>This Inner Loop Header: Depth=1
	buffer_load_dword v20, off, s[0:3], 0 offset:344
	buffer_load_dword v21, off, s[0:3], 0 offset:348
	;; [unrolled: 1-line block ×4, first 2 shown]
	v_mov_b32_e32 v0, s18
	buffer_load_dword v24, v0, s[0:3], 0 offen
	buffer_load_dword v25, v0, s[0:3], 0 offen offset:4
	buffer_load_dword v26, v0, s[0:3], 0 offen offset:8
	;; [unrolled: 1-line block ×3, first 2 shown]
	v_add_u32_e32 v5, s18, v16
	ds_read2_b64 v[1:4], v5 offset1:1
	buffer_load_dword v28, v0, s[0:3], 0 offen offset:16
	buffer_load_dword v29, v0, s[0:3], 0 offen offset:20
	;; [unrolled: 1-line block ×4, first 2 shown]
	ds_read2_b64 v[10:13], v5 offset0:2 offset1:3
	s_addk_i32 s18, 0x70
	s_cmpk_lg_i32 s18, 0x400
	s_waitcnt vmcnt(10) lgkmcnt(1)
	v_mul_f64 v[32:33], v[3:4], v[20:21]
	v_mul_f64 v[20:21], v[1:2], v[20:21]
	s_waitcnt vmcnt(8)
	v_fma_f64 v[1:2], v[1:2], v[22:23], -v[32:33]
	v_fma_f64 v[3:4], v[3:4], v[22:23], v[20:21]
	s_waitcnt vmcnt(6)
	v_add_f64 v[1:2], v[24:25], -v[1:2]
	s_waitcnt vmcnt(4)
	v_add_f64 v[3:4], v[26:27], -v[3:4]
	buffer_store_dword v2, v0, s[0:3], 0 offen offset:4
	buffer_store_dword v1, v0, s[0:3], 0 offen
	buffer_store_dword v4, v0, s[0:3], 0 offen offset:12
	buffer_store_dword v3, v0, s[0:3], 0 offen offset:8
	buffer_load_dword v2, off, s[0:3], 0 offset:348
	s_nop 0
	buffer_load_dword v1, off, s[0:3], 0 offset:344
	buffer_load_dword v4, off, s[0:3], 0 offset:340
	;; [unrolled: 1-line block ×3, first 2 shown]
	buffer_load_dword v20, v0, s[0:3], 0 offen offset:32
	buffer_load_dword v21, v0, s[0:3], 0 offen offset:36
	buffer_load_dword v22, v0, s[0:3], 0 offen offset:40
	buffer_load_dword v23, v0, s[0:3], 0 offen offset:44
	s_waitcnt vmcnt(6) lgkmcnt(0)
	v_mul_f64 v[24:25], v[12:13], v[1:2]
	v_mul_f64 v[1:2], v[10:11], v[1:2]
	s_waitcnt vmcnt(4)
	v_fma_f64 v[10:11], v[10:11], v[3:4], -v[24:25]
	v_fma_f64 v[1:2], v[12:13], v[3:4], v[1:2]
	v_add_f64 v[3:4], v[28:29], -v[10:11]
	v_add_f64 v[1:2], v[30:31], -v[1:2]
	buffer_store_dword v4, v0, s[0:3], 0 offen offset:20
	buffer_store_dword v3, v0, s[0:3], 0 offen offset:16
	;; [unrolled: 1-line block ×4, first 2 shown]
	buffer_load_dword v24, off, s[0:3], 0 offset:344
	buffer_load_dword v25, off, s[0:3], 0 offset:348
	;; [unrolled: 1-line block ×4, first 2 shown]
	ds_read2_b64 v[1:4], v5 offset0:4 offset1:5
	ds_read2_b64 v[10:13], v5 offset0:6 offset1:7
	s_waitcnt vmcnt(2) lgkmcnt(1)
	v_mul_f64 v[28:29], v[3:4], v[24:25]
	v_mul_f64 v[24:25], v[1:2], v[24:25]
	s_waitcnt vmcnt(0)
	v_fma_f64 v[1:2], v[1:2], v[26:27], -v[28:29]
	v_fma_f64 v[3:4], v[3:4], v[26:27], v[24:25]
	v_add_f64 v[1:2], v[20:21], -v[1:2]
	v_add_f64 v[3:4], v[22:23], -v[3:4]
	buffer_store_dword v2, v0, s[0:3], 0 offen offset:36
	buffer_store_dword v1, v0, s[0:3], 0 offen offset:32
	;; [unrolled: 1-line block ×4, first 2 shown]
	buffer_load_dword v1, off, s[0:3], 0 offset:344
	s_nop 0
	buffer_load_dword v2, off, s[0:3], 0 offset:348
	buffer_load_dword v3, off, s[0:3], 0 offset:336
	;; [unrolled: 1-line block ×3, first 2 shown]
	buffer_load_dword v20, v0, s[0:3], 0 offen offset:48
	buffer_load_dword v21, v0, s[0:3], 0 offen offset:52
	;; [unrolled: 1-line block ×4, first 2 shown]
	s_waitcnt vmcnt(6) lgkmcnt(0)
	v_mul_f64 v[24:25], v[12:13], v[1:2]
	v_mul_f64 v[1:2], v[10:11], v[1:2]
	s_waitcnt vmcnt(4)
	v_fma_f64 v[10:11], v[10:11], v[3:4], -v[24:25]
	v_fma_f64 v[1:2], v[12:13], v[3:4], v[1:2]
	s_waitcnt vmcnt(2)
	v_add_f64 v[3:4], v[20:21], -v[10:11]
	s_waitcnt vmcnt(0)
	v_add_f64 v[1:2], v[22:23], -v[1:2]
	buffer_store_dword v4, v0, s[0:3], 0 offen offset:52
	buffer_store_dword v3, v0, s[0:3], 0 offen offset:48
	;; [unrolled: 1-line block ×4, first 2 shown]
	buffer_load_dword v20, off, s[0:3], 0 offset:344
	buffer_load_dword v21, off, s[0:3], 0 offset:348
	;; [unrolled: 1-line block ×4, first 2 shown]
	buffer_load_dword v24, v0, s[0:3], 0 offen offset:64
	buffer_load_dword v25, v0, s[0:3], 0 offen offset:68
	;; [unrolled: 1-line block ×4, first 2 shown]
	ds_read2_b64 v[1:4], v5 offset0:8 offset1:9
	ds_read2_b64 v[10:13], v5 offset0:10 offset1:11
	s_waitcnt vmcnt(6) lgkmcnt(1)
	v_mul_f64 v[28:29], v[3:4], v[20:21]
	v_mul_f64 v[20:21], v[1:2], v[20:21]
	s_waitcnt vmcnt(4)
	v_fma_f64 v[1:2], v[1:2], v[22:23], -v[28:29]
	v_fma_f64 v[3:4], v[3:4], v[22:23], v[20:21]
	s_waitcnt vmcnt(2)
	v_add_f64 v[1:2], v[24:25], -v[1:2]
	s_waitcnt vmcnt(0)
	v_add_f64 v[3:4], v[26:27], -v[3:4]
	buffer_store_dword v2, v0, s[0:3], 0 offen offset:68
	buffer_store_dword v1, v0, s[0:3], 0 offen offset:64
	;; [unrolled: 1-line block ×4, first 2 shown]
	buffer_load_dword v1, off, s[0:3], 0 offset:344
	s_nop 0
	buffer_load_dword v2, off, s[0:3], 0 offset:348
	buffer_load_dword v3, off, s[0:3], 0 offset:336
	;; [unrolled: 1-line block ×3, first 2 shown]
	buffer_load_dword v20, v0, s[0:3], 0 offen offset:80
	buffer_load_dword v21, v0, s[0:3], 0 offen offset:84
	;; [unrolled: 1-line block ×4, first 2 shown]
	s_waitcnt vmcnt(6) lgkmcnt(0)
	v_mul_f64 v[24:25], v[12:13], v[1:2]
	v_mul_f64 v[1:2], v[10:11], v[1:2]
	s_waitcnt vmcnt(4)
	v_fma_f64 v[10:11], v[10:11], v[3:4], -v[24:25]
	v_fma_f64 v[1:2], v[12:13], v[3:4], v[1:2]
	s_waitcnt vmcnt(2)
	v_add_f64 v[3:4], v[20:21], -v[10:11]
	s_waitcnt vmcnt(0)
	v_add_f64 v[1:2], v[22:23], -v[1:2]
	buffer_store_dword v4, v0, s[0:3], 0 offen offset:84
	buffer_store_dword v3, v0, s[0:3], 0 offen offset:80
	;; [unrolled: 1-line block ×4, first 2 shown]
	buffer_load_dword v10, off, s[0:3], 0 offset:344
	buffer_load_dword v11, off, s[0:3], 0 offset:348
	;; [unrolled: 1-line block ×4, first 2 shown]
	buffer_load_dword v20, v0, s[0:3], 0 offen offset:96
	buffer_load_dword v21, v0, s[0:3], 0 offen offset:100
	;; [unrolled: 1-line block ×4, first 2 shown]
	ds_read2_b64 v[1:4], v5 offset0:12 offset1:13
	s_waitcnt vmcnt(6) lgkmcnt(0)
	v_mul_f64 v[24:25], v[3:4], v[10:11]
	v_mul_f64 v[10:11], v[1:2], v[10:11]
	s_waitcnt vmcnt(4)
	v_fma_f64 v[1:2], v[1:2], v[12:13], -v[24:25]
	v_fma_f64 v[3:4], v[3:4], v[12:13], v[10:11]
	s_waitcnt vmcnt(2)
	v_add_f64 v[1:2], v[20:21], -v[1:2]
	s_waitcnt vmcnt(0)
	v_add_f64 v[3:4], v[22:23], -v[3:4]
	buffer_store_dword v2, v0, s[0:3], 0 offen offset:100
	buffer_store_dword v1, v0, s[0:3], 0 offen offset:96
	;; [unrolled: 1-line block ×4, first 2 shown]
	s_cbranch_scc1 .LBB126_546
.LBB126_547:
	s_or_b64 exec, exec, s[4:5]
	v_mov_b32_e32 v3, s67
	s_waitcnt vmcnt(0)
	s_barrier
	buffer_load_dword v0, v3, s[0:3], 0 offen
	buffer_load_dword v1, v3, s[0:3], 0 offen offset:4
	buffer_load_dword v2, v3, s[0:3], 0 offen offset:8
	s_nop 0
	buffer_load_dword v3, v3, s[0:3], 0 offen offset:12
	v_lshl_add_u32 v4, v19, 4, v16
	s_cmp_lt_i32 s66, 24
	s_waitcnt vmcnt(0)
	ds_write2_b64 v4, v[0:1], v[2:3] offset1:1
	s_waitcnt lgkmcnt(0)
	s_barrier
	ds_read2_b64 v[0:3], v16 offset0:44 offset1:45
	v_mov_b32_e32 v4, 22
	s_cbranch_scc1 .LBB126_550
; %bb.548:
	v_add_u32_e32 v5, 0x170, v16
	s_mov_b32 s16, 23
	v_mov_b32_e32 v4, 22
.LBB126_549:                            ; =>This Inner Loop Header: Depth=1
	s_waitcnt lgkmcnt(0)
	v_cmp_gt_f64_e32 vcc, 0, v[2:3]
	v_cmp_gt_f64_e64 s[4:5], 0, v[0:1]
	ds_read2_b64 v[10:13], v5 offset1:1
	v_xor_b32_e32 v21, 0x80000000, v1
	v_xor_b32_e32 v23, 0x80000000, v3
	v_mov_b32_e32 v20, v0
	v_mov_b32_e32 v22, v2
	s_waitcnt lgkmcnt(0)
	v_xor_b32_e32 v25, 0x80000000, v13
	v_cndmask_b32_e32 v23, v3, v23, vcc
	v_cndmask_b32_e64 v21, v1, v21, s[4:5]
	v_cmp_gt_f64_e32 vcc, 0, v[12:13]
	v_cmp_gt_f64_e64 s[4:5], 0, v[10:11]
	v_add_f64 v[20:21], v[20:21], v[22:23]
	v_xor_b32_e32 v23, 0x80000000, v11
	v_mov_b32_e32 v22, v10
	v_mov_b32_e32 v24, v12
	v_add_u32_e32 v5, 16, v5
	v_cndmask_b32_e32 v25, v13, v25, vcc
	v_cndmask_b32_e64 v23, v11, v23, s[4:5]
	v_add_f64 v[22:23], v[22:23], v[24:25]
	v_mov_b32_e32 v24, s16
	s_add_i32 s16, s16, 1
	s_cmp_lg_u32 s66, s16
	v_cmp_lt_f64_e32 vcc, v[20:21], v[22:23]
	v_cndmask_b32_e32 v1, v1, v11, vcc
	v_cndmask_b32_e32 v0, v0, v10, vcc
	;; [unrolled: 1-line block ×5, first 2 shown]
	s_cbranch_scc1 .LBB126_549
.LBB126_550:
	s_waitcnt lgkmcnt(0)
	v_cmp_eq_f64_e32 vcc, 0, v[0:1]
	v_cmp_eq_f64_e64 s[4:5], 0, v[2:3]
	s_and_b64 s[4:5], vcc, s[4:5]
	s_and_saveexec_b64 s[16:17], s[4:5]
	s_xor_b64 s[4:5], exec, s[16:17]
; %bb.551:
	v_cmp_ne_u32_e32 vcc, 0, v17
	v_cndmask_b32_e32 v17, 23, v17, vcc
; %bb.552:
	s_andn2_saveexec_b64 s[4:5], s[4:5]
	s_cbranch_execz .LBB126_558
; %bb.553:
	v_cmp_ngt_f64_e64 s[16:17], |v[0:1]|, |v[2:3]|
	s_and_saveexec_b64 s[18:19], s[16:17]
	s_xor_b64 s[18:19], exec, s[18:19]
	s_cbranch_execz .LBB126_555
; %bb.554:
	v_div_scale_f64 v[10:11], s[16:17], v[2:3], v[2:3], v[0:1]
	v_rcp_f64_e32 v[12:13], v[10:11]
	v_fma_f64 v[20:21], -v[10:11], v[12:13], 1.0
	v_fma_f64 v[12:13], v[12:13], v[20:21], v[12:13]
	v_div_scale_f64 v[20:21], vcc, v[0:1], v[2:3], v[0:1]
	v_fma_f64 v[22:23], -v[10:11], v[12:13], 1.0
	v_fma_f64 v[12:13], v[12:13], v[22:23], v[12:13]
	v_mul_f64 v[22:23], v[20:21], v[12:13]
	v_fma_f64 v[10:11], -v[10:11], v[22:23], v[20:21]
	v_div_fmas_f64 v[10:11], v[10:11], v[12:13], v[22:23]
	v_div_fixup_f64 v[10:11], v[10:11], v[2:3], v[0:1]
	v_fma_f64 v[0:1], v[0:1], v[10:11], v[2:3]
	v_div_scale_f64 v[2:3], s[16:17], v[0:1], v[0:1], 1.0
	v_div_scale_f64 v[22:23], vcc, 1.0, v[0:1], 1.0
	v_rcp_f64_e32 v[12:13], v[2:3]
	v_fma_f64 v[20:21], -v[2:3], v[12:13], 1.0
	v_fma_f64 v[12:13], v[12:13], v[20:21], v[12:13]
	v_fma_f64 v[20:21], -v[2:3], v[12:13], 1.0
	v_fma_f64 v[12:13], v[12:13], v[20:21], v[12:13]
	v_mul_f64 v[20:21], v[22:23], v[12:13]
	v_fma_f64 v[2:3], -v[2:3], v[20:21], v[22:23]
	v_div_fmas_f64 v[2:3], v[2:3], v[12:13], v[20:21]
	v_div_fixup_f64 v[2:3], v[2:3], v[0:1], 1.0
	v_mul_f64 v[0:1], v[10:11], v[2:3]
	v_xor_b32_e32 v3, 0x80000000, v3
.LBB126_555:
	s_andn2_saveexec_b64 s[18:19], s[18:19]
	s_cbranch_execz .LBB126_557
; %bb.556:
	v_div_scale_f64 v[10:11], s[16:17], v[0:1], v[0:1], v[2:3]
	v_rcp_f64_e32 v[12:13], v[10:11]
	v_fma_f64 v[20:21], -v[10:11], v[12:13], 1.0
	v_fma_f64 v[12:13], v[12:13], v[20:21], v[12:13]
	v_div_scale_f64 v[20:21], vcc, v[2:3], v[0:1], v[2:3]
	v_fma_f64 v[22:23], -v[10:11], v[12:13], 1.0
	v_fma_f64 v[12:13], v[12:13], v[22:23], v[12:13]
	v_mul_f64 v[22:23], v[20:21], v[12:13]
	v_fma_f64 v[10:11], -v[10:11], v[22:23], v[20:21]
	v_div_fmas_f64 v[10:11], v[10:11], v[12:13], v[22:23]
	v_div_fixup_f64 v[10:11], v[10:11], v[0:1], v[2:3]
	v_fma_f64 v[0:1], v[2:3], v[10:11], v[0:1]
	v_div_scale_f64 v[2:3], s[16:17], v[0:1], v[0:1], 1.0
	v_div_scale_f64 v[22:23], vcc, 1.0, v[0:1], 1.0
	v_rcp_f64_e32 v[12:13], v[2:3]
	v_fma_f64 v[20:21], -v[2:3], v[12:13], 1.0
	v_fma_f64 v[12:13], v[12:13], v[20:21], v[12:13]
	v_fma_f64 v[20:21], -v[2:3], v[12:13], 1.0
	v_fma_f64 v[12:13], v[12:13], v[20:21], v[12:13]
	v_mul_f64 v[20:21], v[22:23], v[12:13]
	v_fma_f64 v[2:3], -v[2:3], v[20:21], v[22:23]
	v_div_fmas_f64 v[2:3], v[2:3], v[12:13], v[20:21]
	v_div_fixup_f64 v[0:1], v[2:3], v[0:1], 1.0
	v_mul_f64 v[2:3], v[10:11], -v[0:1]
.LBB126_557:
	s_or_b64 exec, exec, s[18:19]
.LBB126_558:
	s_or_b64 exec, exec, s[4:5]
	v_cmp_ne_u32_e32 vcc, v19, v4
	s_and_saveexec_b64 s[4:5], vcc
	s_xor_b64 s[4:5], exec, s[4:5]
	s_cbranch_execz .LBB126_564
; %bb.559:
	v_cmp_eq_u32_e32 vcc, 22, v19
	s_and_saveexec_b64 s[18:19], vcc
	s_cbranch_execz .LBB126_563
; %bb.560:
	v_cmp_ne_u32_e32 vcc, 22, v4
	s_xor_b64 s[16:17], s[10:11], -1
	s_and_b64 s[16:17], s[16:17], vcc
	s_and_saveexec_b64 s[24:25], s[16:17]
	s_cbranch_execz .LBB126_562
; %bb.561:
	v_ashrrev_i32_e32 v5, 31, v4
	v_lshlrev_b64 v[10:11], 2, v[4:5]
	v_add_co_u32_e32 v10, vcc, v8, v10
	v_addc_co_u32_e32 v11, vcc, v9, v11, vcc
	global_load_dword v5, v[10:11], off
	global_load_dword v12, v[8:9], off offset:88
	s_waitcnt vmcnt(1)
	global_store_dword v[8:9], v5, off offset:88
	s_waitcnt vmcnt(1)
	global_store_dword v[10:11], v12, off
.LBB126_562:
	s_or_b64 exec, exec, s[24:25]
	v_mov_b32_e32 v19, v4
	v_mov_b32_e32 v18, v4
.LBB126_563:
	s_or_b64 exec, exec, s[18:19]
.LBB126_564:
	s_andn2_saveexec_b64 s[4:5], s[4:5]
	s_cbranch_execz .LBB126_570
; %bb.565:
	s_movk_i32 s16, 0x170
	s_branch .LBB126_567
.LBB126_566:                            ;   in Loop: Header=BB126_567 Depth=1
	s_andn2_b64 vcc, exec, s[18:19]
	s_cbranch_vccz .LBB126_569
.LBB126_567:                            ; =>This Inner Loop Header: Depth=1
	v_mov_b32_e32 v4, s16
	buffer_load_dword v10, v4, s[0:3], 0 offen
	buffer_load_dword v11, v4, s[0:3], 0 offen offset:4
	buffer_load_dword v12, v4, s[0:3], 0 offen offset:8
	;; [unrolled: 1-line block ×3, first 2 shown]
	s_mov_b32 s17, s16
	v_add_u32_e32 v4, s16, v16
	s_cmpk_eq_i32 s16, 0x3f0
	s_mov_b64 s[18:19], -1
	s_waitcnt vmcnt(0)
	ds_write2_b64 v4, v[10:11], v[12:13] offset1:1
	s_cbranch_scc1 .LBB126_566
; %bb.568:                              ;   in Loop: Header=BB126_567 Depth=1
	v_mov_b32_e32 v5, s17
	buffer_load_dword v10, v5, s[0:3], 0 offen offset:16
	buffer_load_dword v11, v5, s[0:3], 0 offen offset:20
	;; [unrolled: 1-line block ×28, first 2 shown]
	s_addk_i32 s16, 0x80
	s_mov_b64 s[18:19], 0
	s_waitcnt vmcnt(24)
	ds_write2_b64 v4, v[10:11], v[12:13] offset0:2 offset1:3
	s_waitcnt vmcnt(20)
	ds_write2_b64 v4, v[19:20], v[21:22] offset0:4 offset1:5
	;; [unrolled: 2-line block ×5, first 2 shown]
	ds_write2_b64 v4, v[35:36], v[33:34] offset0:12 offset1:13
	s_waitcnt vmcnt(0)
	ds_write2_b64 v4, v[41:42], v[39:40] offset0:14 offset1:15
	s_branch .LBB126_566
.LBB126_569:
	v_mov_b32_e32 v19, 22
.LBB126_570:
	s_or_b64 exec, exec, s[4:5]
	v_cmp_lt_i32_e32 vcc, 22, v19
	s_waitcnt vmcnt(0) lgkmcnt(0)
	s_barrier
	s_and_saveexec_b64 s[4:5], vcc
	s_cbranch_execz .LBB126_575
; %bb.571:
	buffer_load_dword v4, off, s[0:3], 0 offset:360
	buffer_load_dword v5, off, s[0:3], 0 offset:364
	;; [unrolled: 1-line block ×4, first 2 shown]
	s_movk_i32 s24, 0x170
	s_waitcnt vmcnt(2)
	v_mul_f64 v[12:13], v[2:3], v[4:5]
	v_mul_f64 v[4:5], v[0:1], v[4:5]
	s_waitcnt vmcnt(0)
	v_fma_f64 v[0:1], v[0:1], v[10:11], -v[12:13]
	v_fma_f64 v[2:3], v[2:3], v[10:11], v[4:5]
	buffer_store_dword v0, off, s[0:3], 0 offset:352
	buffer_store_dword v1, off, s[0:3], 0 offset:356
	;; [unrolled: 1-line block ×4, first 2 shown]
	s_branch .LBB126_573
.LBB126_572:                            ;   in Loop: Header=BB126_573 Depth=1
	s_andn2_b64 vcc, exec, s[18:19]
	s_cbranch_vccz .LBB126_575
.LBB126_573:                            ; =>This Inner Loop Header: Depth=1
	v_mov_b32_e32 v5, s24
	buffer_load_dword v20, v5, s[0:3], 0 offen
	buffer_load_dword v21, v5, s[0:3], 0 offen offset:4
	buffer_load_dword v22, v5, s[0:3], 0 offen offset:8
	;; [unrolled: 1-line block ×3, first 2 shown]
	v_add_u32_e32 v4, s24, v16
	ds_read2_b64 v[10:13], v4 offset1:1
	s_mov_b32 s16, s24
	s_cmpk_eq_i32 s24, 0x3f0
	s_mov_b64 s[18:19], -1
	s_waitcnt vmcnt(4) lgkmcnt(0)
	v_mul_f64 v[24:25], v[12:13], v[2:3]
	v_mul_f64 v[2:3], v[10:11], v[2:3]
	v_fma_f64 v[10:11], v[10:11], v[0:1], -v[24:25]
	v_fma_f64 v[0:1], v[12:13], v[0:1], v[2:3]
	s_waitcnt vmcnt(2)
	v_add_f64 v[2:3], v[20:21], -v[10:11]
	s_waitcnt vmcnt(0)
	v_add_f64 v[0:1], v[22:23], -v[0:1]
	buffer_store_dword v2, v5, s[0:3], 0 offen
	buffer_store_dword v3, v5, s[0:3], 0 offen offset:4
	buffer_store_dword v0, v5, s[0:3], 0 offen offset:8
	buffer_store_dword v1, v5, s[0:3], 0 offen offset:12
                                        ; implicit-def: $vgpr0_vgpr1
                                        ; implicit-def: $vgpr2_vgpr3
	s_cbranch_scc1 .LBB126_572
; %bb.574:                              ;   in Loop: Header=BB126_573 Depth=1
	buffer_load_dword v20, off, s[0:3], 0 offset:360
	buffer_load_dword v21, off, s[0:3], 0 offset:364
	;; [unrolled: 1-line block ×4, first 2 shown]
	v_mov_b32_e32 v30, s16
	buffer_load_dword v24, v30, s[0:3], 0 offen offset:16
	buffer_load_dword v25, v30, s[0:3], 0 offen offset:20
	;; [unrolled: 1-line block ×4, first 2 shown]
	ds_read2_b64 v[0:3], v4 offset0:2 offset1:3
	ds_read2_b64 v[10:13], v4 offset0:4 offset1:5
	s_add_i32 s24, s24, 64
	s_mov_b64 s[18:19], 0
	s_waitcnt vmcnt(6) lgkmcnt(1)
	v_mul_f64 v[28:29], v[2:3], v[20:21]
	v_mul_f64 v[20:21], v[0:1], v[20:21]
	s_waitcnt vmcnt(4)
	v_fma_f64 v[0:1], v[0:1], v[22:23], -v[28:29]
	v_fma_f64 v[2:3], v[2:3], v[22:23], v[20:21]
	s_waitcnt vmcnt(2)
	v_add_f64 v[0:1], v[24:25], -v[0:1]
	s_waitcnt vmcnt(0)
	v_add_f64 v[2:3], v[26:27], -v[2:3]
	buffer_store_dword v1, v30, s[0:3], 0 offen offset:20
	buffer_store_dword v0, v30, s[0:3], 0 offen offset:16
	;; [unrolled: 1-line block ×4, first 2 shown]
	buffer_load_dword v1, v30, s[0:3], 0 offen offset:36
	s_nop 0
	buffer_load_dword v2, v30, s[0:3], 0 offen offset:40
	buffer_load_dword v3, v30, s[0:3], 0 offen offset:44
	buffer_load_dword v21, off, s[0:3], 0 offset:364
	buffer_load_dword v20, off, s[0:3], 0 offset:360
	;; [unrolled: 1-line block ×4, first 2 shown]
	buffer_load_dword v0, v30, s[0:3], 0 offen offset:32
	s_waitcnt vmcnt(3) lgkmcnt(0)
	v_mul_f64 v[24:25], v[12:13], v[20:21]
	v_mul_f64 v[20:21], v[10:11], v[20:21]
	s_waitcnt vmcnt(1)
	v_fma_f64 v[10:11], v[10:11], v[22:23], -v[24:25]
	v_fma_f64 v[12:13], v[12:13], v[22:23], v[20:21]
	s_waitcnt vmcnt(0)
	v_add_f64 v[0:1], v[0:1], -v[10:11]
	v_add_f64 v[2:3], v[2:3], -v[12:13]
	buffer_store_dword v1, v30, s[0:3], 0 offen offset:36
	buffer_store_dword v0, v30, s[0:3], 0 offen offset:32
	;; [unrolled: 1-line block ×4, first 2 shown]
	buffer_load_dword v11, v30, s[0:3], 0 offen offset:52
	buffer_load_dword v12, v30, s[0:3], 0 offen offset:56
	;; [unrolled: 1-line block ×3, first 2 shown]
	buffer_load_dword v20, off, s[0:3], 0 offset:360
	buffer_load_dword v21, off, s[0:3], 0 offset:364
	buffer_load_dword v22, off, s[0:3], 0 offset:352
	buffer_load_dword v23, off, s[0:3], 0 offset:356
	buffer_load_dword v10, v30, s[0:3], 0 offen offset:48
	ds_read2_b64 v[0:3], v4 offset0:6 offset1:7
	s_waitcnt vmcnt(3) lgkmcnt(0)
	v_mul_f64 v[4:5], v[2:3], v[20:21]
	v_mul_f64 v[20:21], v[0:1], v[20:21]
	s_waitcnt vmcnt(1)
	v_fma_f64 v[0:1], v[0:1], v[22:23], -v[4:5]
	v_fma_f64 v[2:3], v[2:3], v[22:23], v[20:21]
	s_waitcnt vmcnt(0)
	v_add_f64 v[0:1], v[10:11], -v[0:1]
	v_add_f64 v[2:3], v[12:13], -v[2:3]
	buffer_store_dword v1, v30, s[0:3], 0 offen offset:52
	buffer_store_dword v0, v30, s[0:3], 0 offen offset:48
	;; [unrolled: 1-line block ×4, first 2 shown]
	buffer_load_dword v0, off, s[0:3], 0 offset:352
	s_nop 0
	buffer_load_dword v1, off, s[0:3], 0 offset:356
	buffer_load_dword v2, off, s[0:3], 0 offset:360
	;; [unrolled: 1-line block ×3, first 2 shown]
	s_branch .LBB126_572
.LBB126_575:
	s_or_b64 exec, exec, s[4:5]
	s_waitcnt vmcnt(0)
	v_mov_b32_e32 v3, s65
	s_barrier
	buffer_load_dword v0, v3, s[0:3], 0 offen
	buffer_load_dword v1, v3, s[0:3], 0 offen offset:4
	buffer_load_dword v2, v3, s[0:3], 0 offen offset:8
	s_nop 0
	buffer_load_dword v3, v3, s[0:3], 0 offen offset:12
	v_lshl_add_u32 v4, v19, 4, v16
	s_cmp_lt_i32 s66, 25
	s_waitcnt vmcnt(0)
	ds_write2_b64 v4, v[0:1], v[2:3] offset1:1
	s_waitcnt lgkmcnt(0)
	s_barrier
	ds_read2_b64 v[0:3], v16 offset0:46 offset1:47
	v_mov_b32_e32 v4, 23
	s_cbranch_scc1 .LBB126_578
; %bb.576:
	v_add_u32_e32 v5, 0x180, v16
	s_mov_b32 s16, 24
	v_mov_b32_e32 v4, 23
.LBB126_577:                            ; =>This Inner Loop Header: Depth=1
	s_waitcnt lgkmcnt(0)
	v_cmp_gt_f64_e32 vcc, 0, v[2:3]
	v_cmp_gt_f64_e64 s[4:5], 0, v[0:1]
	ds_read2_b64 v[10:13], v5 offset1:1
	v_xor_b32_e32 v21, 0x80000000, v1
	v_xor_b32_e32 v23, 0x80000000, v3
	v_mov_b32_e32 v20, v0
	v_mov_b32_e32 v22, v2
	s_waitcnt lgkmcnt(0)
	v_xor_b32_e32 v25, 0x80000000, v13
	v_cndmask_b32_e32 v23, v3, v23, vcc
	v_cndmask_b32_e64 v21, v1, v21, s[4:5]
	v_cmp_gt_f64_e32 vcc, 0, v[12:13]
	v_cmp_gt_f64_e64 s[4:5], 0, v[10:11]
	v_add_f64 v[20:21], v[20:21], v[22:23]
	v_xor_b32_e32 v23, 0x80000000, v11
	v_mov_b32_e32 v22, v10
	v_mov_b32_e32 v24, v12
	v_add_u32_e32 v5, 16, v5
	v_cndmask_b32_e32 v25, v13, v25, vcc
	v_cndmask_b32_e64 v23, v11, v23, s[4:5]
	v_add_f64 v[22:23], v[22:23], v[24:25]
	v_mov_b32_e32 v24, s16
	s_add_i32 s16, s16, 1
	s_cmp_lg_u32 s66, s16
	v_cmp_lt_f64_e32 vcc, v[20:21], v[22:23]
	v_cndmask_b32_e32 v1, v1, v11, vcc
	v_cndmask_b32_e32 v0, v0, v10, vcc
	;; [unrolled: 1-line block ×5, first 2 shown]
	s_cbranch_scc1 .LBB126_577
.LBB126_578:
	s_waitcnt lgkmcnt(0)
	v_cmp_eq_f64_e32 vcc, 0, v[0:1]
	v_cmp_eq_f64_e64 s[4:5], 0, v[2:3]
	s_and_b64 s[4:5], vcc, s[4:5]
	s_and_saveexec_b64 s[16:17], s[4:5]
	s_xor_b64 s[4:5], exec, s[16:17]
; %bb.579:
	v_cmp_ne_u32_e32 vcc, 0, v17
	v_cndmask_b32_e32 v17, 24, v17, vcc
; %bb.580:
	s_andn2_saveexec_b64 s[4:5], s[4:5]
	s_cbranch_execz .LBB126_586
; %bb.581:
	v_cmp_ngt_f64_e64 s[16:17], |v[0:1]|, |v[2:3]|
	s_and_saveexec_b64 s[18:19], s[16:17]
	s_xor_b64 s[18:19], exec, s[18:19]
	s_cbranch_execz .LBB126_583
; %bb.582:
	v_div_scale_f64 v[10:11], s[16:17], v[2:3], v[2:3], v[0:1]
	v_rcp_f64_e32 v[12:13], v[10:11]
	v_fma_f64 v[20:21], -v[10:11], v[12:13], 1.0
	v_fma_f64 v[12:13], v[12:13], v[20:21], v[12:13]
	v_div_scale_f64 v[20:21], vcc, v[0:1], v[2:3], v[0:1]
	v_fma_f64 v[22:23], -v[10:11], v[12:13], 1.0
	v_fma_f64 v[12:13], v[12:13], v[22:23], v[12:13]
	v_mul_f64 v[22:23], v[20:21], v[12:13]
	v_fma_f64 v[10:11], -v[10:11], v[22:23], v[20:21]
	v_div_fmas_f64 v[10:11], v[10:11], v[12:13], v[22:23]
	v_div_fixup_f64 v[10:11], v[10:11], v[2:3], v[0:1]
	v_fma_f64 v[0:1], v[0:1], v[10:11], v[2:3]
	v_div_scale_f64 v[2:3], s[16:17], v[0:1], v[0:1], 1.0
	v_div_scale_f64 v[22:23], vcc, 1.0, v[0:1], 1.0
	v_rcp_f64_e32 v[12:13], v[2:3]
	v_fma_f64 v[20:21], -v[2:3], v[12:13], 1.0
	v_fma_f64 v[12:13], v[12:13], v[20:21], v[12:13]
	v_fma_f64 v[20:21], -v[2:3], v[12:13], 1.0
	v_fma_f64 v[12:13], v[12:13], v[20:21], v[12:13]
	v_mul_f64 v[20:21], v[22:23], v[12:13]
	v_fma_f64 v[2:3], -v[2:3], v[20:21], v[22:23]
	v_div_fmas_f64 v[2:3], v[2:3], v[12:13], v[20:21]
	v_div_fixup_f64 v[2:3], v[2:3], v[0:1], 1.0
	v_mul_f64 v[0:1], v[10:11], v[2:3]
	v_xor_b32_e32 v3, 0x80000000, v3
.LBB126_583:
	s_andn2_saveexec_b64 s[18:19], s[18:19]
	s_cbranch_execz .LBB126_585
; %bb.584:
	v_div_scale_f64 v[10:11], s[16:17], v[0:1], v[0:1], v[2:3]
	v_rcp_f64_e32 v[12:13], v[10:11]
	v_fma_f64 v[20:21], -v[10:11], v[12:13], 1.0
	v_fma_f64 v[12:13], v[12:13], v[20:21], v[12:13]
	v_div_scale_f64 v[20:21], vcc, v[2:3], v[0:1], v[2:3]
	v_fma_f64 v[22:23], -v[10:11], v[12:13], 1.0
	v_fma_f64 v[12:13], v[12:13], v[22:23], v[12:13]
	v_mul_f64 v[22:23], v[20:21], v[12:13]
	v_fma_f64 v[10:11], -v[10:11], v[22:23], v[20:21]
	v_div_fmas_f64 v[10:11], v[10:11], v[12:13], v[22:23]
	v_div_fixup_f64 v[10:11], v[10:11], v[0:1], v[2:3]
	v_fma_f64 v[0:1], v[2:3], v[10:11], v[0:1]
	v_div_scale_f64 v[2:3], s[16:17], v[0:1], v[0:1], 1.0
	v_div_scale_f64 v[22:23], vcc, 1.0, v[0:1], 1.0
	v_rcp_f64_e32 v[12:13], v[2:3]
	v_fma_f64 v[20:21], -v[2:3], v[12:13], 1.0
	v_fma_f64 v[12:13], v[12:13], v[20:21], v[12:13]
	v_fma_f64 v[20:21], -v[2:3], v[12:13], 1.0
	v_fma_f64 v[12:13], v[12:13], v[20:21], v[12:13]
	v_mul_f64 v[20:21], v[22:23], v[12:13]
	v_fma_f64 v[2:3], -v[2:3], v[20:21], v[22:23]
	v_div_fmas_f64 v[2:3], v[2:3], v[12:13], v[20:21]
	v_div_fixup_f64 v[0:1], v[2:3], v[0:1], 1.0
	v_mul_f64 v[2:3], v[10:11], -v[0:1]
.LBB126_585:
	s_or_b64 exec, exec, s[18:19]
.LBB126_586:
	s_or_b64 exec, exec, s[4:5]
	v_cmp_ne_u32_e32 vcc, v19, v4
	s_and_saveexec_b64 s[4:5], vcc
	s_xor_b64 s[4:5], exec, s[4:5]
	s_cbranch_execz .LBB126_592
; %bb.587:
	v_cmp_eq_u32_e32 vcc, 23, v19
	s_and_saveexec_b64 s[18:19], vcc
	s_cbranch_execz .LBB126_591
; %bb.588:
	v_cmp_ne_u32_e32 vcc, 23, v4
	s_xor_b64 s[16:17], s[10:11], -1
	s_and_b64 s[16:17], s[16:17], vcc
	s_and_saveexec_b64 s[24:25], s[16:17]
	s_cbranch_execz .LBB126_590
; %bb.589:
	v_ashrrev_i32_e32 v5, 31, v4
	v_lshlrev_b64 v[10:11], 2, v[4:5]
	v_add_co_u32_e32 v10, vcc, v8, v10
	v_addc_co_u32_e32 v11, vcc, v9, v11, vcc
	global_load_dword v5, v[10:11], off
	global_load_dword v12, v[8:9], off offset:92
	s_waitcnt vmcnt(1)
	global_store_dword v[8:9], v5, off offset:92
	s_waitcnt vmcnt(1)
	global_store_dword v[10:11], v12, off
.LBB126_590:
	s_or_b64 exec, exec, s[24:25]
	v_mov_b32_e32 v19, v4
	v_mov_b32_e32 v18, v4
.LBB126_591:
	s_or_b64 exec, exec, s[18:19]
.LBB126_592:
	s_andn2_saveexec_b64 s[4:5], s[4:5]
	s_cbranch_execz .LBB126_596
; %bb.593:
	s_movk_i32 s16, 0x180
.LBB126_594:                            ; =>This Inner Loop Header: Depth=1
	v_mov_b32_e32 v52, s16
	buffer_load_dword v4, v52, s[0:3], 0 offen
	buffer_load_dword v5, v52, s[0:3], 0 offen offset:4
	buffer_load_dword v10, v52, s[0:3], 0 offen offset:8
	;; [unrolled: 1-line block ×38, first 2 shown]
	s_nop 0
	buffer_load_dword v52, v52, s[0:3], 0 offen offset:156
	v_add_u32_e32 v53, s16, v16
	s_addk_i32 s16, 0xa0
	s_cmpk_eq_i32 s16, 0x400
	s_waitcnt vmcnt(36)
	ds_write2_b64 v53, v[4:5], v[10:11] offset1:1
	s_waitcnt vmcnt(32)
	ds_write2_b64 v53, v[12:13], v[19:20] offset0:2 offset1:3
	s_waitcnt vmcnt(28)
	ds_write2_b64 v53, v[21:22], v[23:24] offset0:4 offset1:5
	;; [unrolled: 2-line block ×4, first 2 shown]
	ds_write2_b64 v53, v[33:34], v[31:32] offset0:10 offset1:11
	s_waitcnt vmcnt(8)
	ds_write2_b64 v53, v[43:44], v[37:38] offset0:12 offset1:13
	ds_write2_b64 v53, v[41:42], v[39:40] offset0:14 offset1:15
	s_waitcnt vmcnt(4)
	ds_write2_b64 v53, v[45:46], v[47:48] offset0:16 offset1:17
	s_waitcnt vmcnt(0)
	ds_write2_b64 v53, v[49:50], v[51:52] offset0:18 offset1:19
	s_cbranch_scc0 .LBB126_594
; %bb.595:
	v_mov_b32_e32 v19, 23
.LBB126_596:
	s_or_b64 exec, exec, s[4:5]
	v_cmp_lt_i32_e32 vcc, 23, v19
	s_waitcnt vmcnt(0) lgkmcnt(0)
	s_barrier
	s_and_saveexec_b64 s[4:5], vcc
	s_cbranch_execz .LBB126_599
; %bb.597:
	buffer_load_dword v4, off, s[0:3], 0 offset:376
	buffer_load_dword v5, off, s[0:3], 0 offset:380
	;; [unrolled: 1-line block ×4, first 2 shown]
	s_movk_i32 s18, 0x180
	s_waitcnt vmcnt(2)
	v_mul_f64 v[12:13], v[2:3], v[4:5]
	v_mul_f64 v[4:5], v[0:1], v[4:5]
	s_waitcnt vmcnt(0)
	v_fma_f64 v[0:1], v[0:1], v[10:11], -v[12:13]
	v_fma_f64 v[2:3], v[2:3], v[10:11], v[4:5]
	buffer_store_dword v0, off, s[0:3], 0 offset:368
	buffer_store_dword v1, off, s[0:3], 0 offset:372
	;; [unrolled: 1-line block ×4, first 2 shown]
.LBB126_598:                            ; =>This Inner Loop Header: Depth=1
	buffer_load_dword v4, off, s[0:3], 0 offset:376
	buffer_load_dword v5, off, s[0:3], 0 offset:380
	;; [unrolled: 1-line block ×4, first 2 shown]
	v_mov_b32_e32 v32, s18
	buffer_load_dword v22, v32, s[0:3], 0 offen
	buffer_load_dword v23, v32, s[0:3], 0 offen offset:4
	buffer_load_dword v24, v32, s[0:3], 0 offen offset:8
	;; [unrolled: 1-line block ×3, first 2 shown]
	v_add_u32_e32 v33, s18, v16
	ds_read2_b64 v[0:3], v33 offset1:1
	buffer_load_dword v26, v32, s[0:3], 0 offen offset:16
	buffer_load_dword v27, v32, s[0:3], 0 offen offset:20
	;; [unrolled: 1-line block ×4, first 2 shown]
	ds_read2_b64 v[10:13], v33 offset0:2 offset1:3
	s_addk_i32 s18, 0x50
	s_cmpk_lg_i32 s18, 0x400
	s_waitcnt vmcnt(10) lgkmcnt(1)
	v_mul_f64 v[30:31], v[2:3], v[4:5]
	v_mul_f64 v[4:5], v[0:1], v[4:5]
	s_waitcnt vmcnt(8)
	v_fma_f64 v[0:1], v[0:1], v[20:21], -v[30:31]
	v_fma_f64 v[2:3], v[2:3], v[20:21], v[4:5]
	s_waitcnt vmcnt(6)
	v_add_f64 v[0:1], v[22:23], -v[0:1]
	s_waitcnt vmcnt(4)
	v_add_f64 v[2:3], v[24:25], -v[2:3]
	buffer_store_dword v1, v32, s[0:3], 0 offen offset:4
	buffer_store_dword v0, v32, s[0:3], 0 offen
	buffer_store_dword v3, v32, s[0:3], 0 offen offset:12
	buffer_store_dword v2, v32, s[0:3], 0 offen offset:8
	buffer_load_dword v1, off, s[0:3], 0 offset:380
	s_nop 0
	buffer_load_dword v0, off, s[0:3], 0 offset:376
	buffer_load_dword v3, off, s[0:3], 0 offset:372
	;; [unrolled: 1-line block ×3, first 2 shown]
	buffer_load_dword v4, v32, s[0:3], 0 offen offset:32
	buffer_load_dword v5, v32, s[0:3], 0 offen offset:36
	;; [unrolled: 1-line block ×4, first 2 shown]
	s_waitcnt vmcnt(6) lgkmcnt(0)
	v_mul_f64 v[22:23], v[12:13], v[0:1]
	v_mul_f64 v[0:1], v[10:11], v[0:1]
	s_waitcnt vmcnt(4)
	v_fma_f64 v[10:11], v[10:11], v[2:3], -v[22:23]
	v_fma_f64 v[0:1], v[12:13], v[2:3], v[0:1]
	v_add_f64 v[2:3], v[26:27], -v[10:11]
	v_add_f64 v[0:1], v[28:29], -v[0:1]
	buffer_store_dword v3, v32, s[0:3], 0 offen offset:20
	buffer_store_dword v2, v32, s[0:3], 0 offen offset:16
	;; [unrolled: 1-line block ×4, first 2 shown]
	buffer_load_dword v22, off, s[0:3], 0 offset:376
	buffer_load_dword v23, off, s[0:3], 0 offset:380
	;; [unrolled: 1-line block ×4, first 2 shown]
	ds_read2_b64 v[0:3], v33 offset0:4 offset1:5
	ds_read2_b64 v[10:13], v33 offset0:6 offset1:7
	s_waitcnt vmcnt(2) lgkmcnt(1)
	v_mul_f64 v[26:27], v[2:3], v[22:23]
	v_mul_f64 v[22:23], v[0:1], v[22:23]
	s_waitcnt vmcnt(0)
	v_fma_f64 v[0:1], v[0:1], v[24:25], -v[26:27]
	v_fma_f64 v[2:3], v[2:3], v[24:25], v[22:23]
	v_add_f64 v[0:1], v[4:5], -v[0:1]
	v_add_f64 v[2:3], v[20:21], -v[2:3]
	buffer_store_dword v1, v32, s[0:3], 0 offen offset:36
	buffer_store_dword v0, v32, s[0:3], 0 offen offset:32
	;; [unrolled: 1-line block ×4, first 2 shown]
	buffer_load_dword v0, off, s[0:3], 0 offset:376
	s_nop 0
	buffer_load_dword v1, off, s[0:3], 0 offset:380
	buffer_load_dword v2, off, s[0:3], 0 offset:368
	;; [unrolled: 1-line block ×3, first 2 shown]
	buffer_load_dword v4, v32, s[0:3], 0 offen offset:48
	buffer_load_dword v5, v32, s[0:3], 0 offen offset:52
	;; [unrolled: 1-line block ×4, first 2 shown]
	s_waitcnt vmcnt(6) lgkmcnt(0)
	v_mul_f64 v[22:23], v[12:13], v[0:1]
	v_mul_f64 v[0:1], v[10:11], v[0:1]
	s_waitcnt vmcnt(4)
	v_fma_f64 v[10:11], v[10:11], v[2:3], -v[22:23]
	v_fma_f64 v[0:1], v[12:13], v[2:3], v[0:1]
	s_waitcnt vmcnt(2)
	v_add_f64 v[2:3], v[4:5], -v[10:11]
	s_waitcnt vmcnt(0)
	v_add_f64 v[0:1], v[20:21], -v[0:1]
	buffer_store_dword v3, v32, s[0:3], 0 offen offset:52
	buffer_store_dword v2, v32, s[0:3], 0 offen offset:48
	buffer_store_dword v1, v32, s[0:3], 0 offen offset:60
	buffer_store_dword v0, v32, s[0:3], 0 offen offset:56
	buffer_load_dword v4, off, s[0:3], 0 offset:376
	buffer_load_dword v5, off, s[0:3], 0 offset:380
	;; [unrolled: 1-line block ×4, first 2 shown]
	buffer_load_dword v12, v32, s[0:3], 0 offen offset:64
	buffer_load_dword v13, v32, s[0:3], 0 offen offset:68
	;; [unrolled: 1-line block ×4, first 2 shown]
	ds_read2_b64 v[0:3], v33 offset0:8 offset1:9
	s_waitcnt vmcnt(6) lgkmcnt(0)
	v_mul_f64 v[22:23], v[2:3], v[4:5]
	v_mul_f64 v[4:5], v[0:1], v[4:5]
	s_waitcnt vmcnt(4)
	v_fma_f64 v[0:1], v[0:1], v[10:11], -v[22:23]
	v_fma_f64 v[2:3], v[2:3], v[10:11], v[4:5]
	s_waitcnt vmcnt(2)
	v_add_f64 v[0:1], v[12:13], -v[0:1]
	s_waitcnt vmcnt(0)
	v_add_f64 v[2:3], v[20:21], -v[2:3]
	buffer_store_dword v1, v32, s[0:3], 0 offen offset:68
	buffer_store_dword v0, v32, s[0:3], 0 offen offset:64
	;; [unrolled: 1-line block ×4, first 2 shown]
	s_cbranch_scc1 .LBB126_598
.LBB126_599:
	s_or_b64 exec, exec, s[4:5]
	v_mov_b32_e32 v3, s64
	s_waitcnt vmcnt(0)
	s_barrier
	buffer_load_dword v0, v3, s[0:3], 0 offen
	buffer_load_dword v1, v3, s[0:3], 0 offen offset:4
	buffer_load_dword v2, v3, s[0:3], 0 offen offset:8
	s_nop 0
	buffer_load_dword v3, v3, s[0:3], 0 offen offset:12
	v_lshl_add_u32 v4, v19, 4, v16
	s_cmp_lt_i32 s66, 26
	s_waitcnt vmcnt(0)
	ds_write2_b64 v4, v[0:1], v[2:3] offset1:1
	s_waitcnt lgkmcnt(0)
	s_barrier
	ds_read2_b64 v[0:3], v16 offset0:48 offset1:49
	v_mov_b32_e32 v4, 24
	s_cbranch_scc1 .LBB126_602
; %bb.600:
	v_add_u32_e32 v5, 0x190, v16
	s_mov_b32 s16, 25
	v_mov_b32_e32 v4, 24
.LBB126_601:                            ; =>This Inner Loop Header: Depth=1
	s_waitcnt lgkmcnt(0)
	v_cmp_gt_f64_e32 vcc, 0, v[2:3]
	v_cmp_gt_f64_e64 s[4:5], 0, v[0:1]
	ds_read2_b64 v[10:13], v5 offset1:1
	v_xor_b32_e32 v21, 0x80000000, v1
	v_xor_b32_e32 v23, 0x80000000, v3
	v_mov_b32_e32 v20, v0
	v_mov_b32_e32 v22, v2
	s_waitcnt lgkmcnt(0)
	v_xor_b32_e32 v25, 0x80000000, v13
	v_cndmask_b32_e32 v23, v3, v23, vcc
	v_cndmask_b32_e64 v21, v1, v21, s[4:5]
	v_cmp_gt_f64_e32 vcc, 0, v[12:13]
	v_cmp_gt_f64_e64 s[4:5], 0, v[10:11]
	v_add_f64 v[20:21], v[20:21], v[22:23]
	v_xor_b32_e32 v23, 0x80000000, v11
	v_mov_b32_e32 v22, v10
	v_mov_b32_e32 v24, v12
	v_add_u32_e32 v5, 16, v5
	v_cndmask_b32_e32 v25, v13, v25, vcc
	v_cndmask_b32_e64 v23, v11, v23, s[4:5]
	v_add_f64 v[22:23], v[22:23], v[24:25]
	v_mov_b32_e32 v24, s16
	s_add_i32 s16, s16, 1
	s_cmp_lg_u32 s66, s16
	v_cmp_lt_f64_e32 vcc, v[20:21], v[22:23]
	v_cndmask_b32_e32 v1, v1, v11, vcc
	v_cndmask_b32_e32 v0, v0, v10, vcc
	;; [unrolled: 1-line block ×5, first 2 shown]
	s_cbranch_scc1 .LBB126_601
.LBB126_602:
	s_waitcnt lgkmcnt(0)
	v_cmp_eq_f64_e32 vcc, 0, v[0:1]
	v_cmp_eq_f64_e64 s[4:5], 0, v[2:3]
	s_and_b64 s[4:5], vcc, s[4:5]
	s_and_saveexec_b64 s[16:17], s[4:5]
	s_xor_b64 s[4:5], exec, s[16:17]
; %bb.603:
	v_cmp_ne_u32_e32 vcc, 0, v17
	v_cndmask_b32_e32 v17, 25, v17, vcc
; %bb.604:
	s_andn2_saveexec_b64 s[4:5], s[4:5]
	s_cbranch_execz .LBB126_610
; %bb.605:
	v_cmp_ngt_f64_e64 s[16:17], |v[0:1]|, |v[2:3]|
	s_and_saveexec_b64 s[18:19], s[16:17]
	s_xor_b64 s[18:19], exec, s[18:19]
	s_cbranch_execz .LBB126_607
; %bb.606:
	v_div_scale_f64 v[10:11], s[16:17], v[2:3], v[2:3], v[0:1]
	v_rcp_f64_e32 v[12:13], v[10:11]
	v_fma_f64 v[20:21], -v[10:11], v[12:13], 1.0
	v_fma_f64 v[12:13], v[12:13], v[20:21], v[12:13]
	v_div_scale_f64 v[20:21], vcc, v[0:1], v[2:3], v[0:1]
	v_fma_f64 v[22:23], -v[10:11], v[12:13], 1.0
	v_fma_f64 v[12:13], v[12:13], v[22:23], v[12:13]
	v_mul_f64 v[22:23], v[20:21], v[12:13]
	v_fma_f64 v[10:11], -v[10:11], v[22:23], v[20:21]
	v_div_fmas_f64 v[10:11], v[10:11], v[12:13], v[22:23]
	v_div_fixup_f64 v[10:11], v[10:11], v[2:3], v[0:1]
	v_fma_f64 v[0:1], v[0:1], v[10:11], v[2:3]
	v_div_scale_f64 v[2:3], s[16:17], v[0:1], v[0:1], 1.0
	v_div_scale_f64 v[22:23], vcc, 1.0, v[0:1], 1.0
	v_rcp_f64_e32 v[12:13], v[2:3]
	v_fma_f64 v[20:21], -v[2:3], v[12:13], 1.0
	v_fma_f64 v[12:13], v[12:13], v[20:21], v[12:13]
	v_fma_f64 v[20:21], -v[2:3], v[12:13], 1.0
	v_fma_f64 v[12:13], v[12:13], v[20:21], v[12:13]
	v_mul_f64 v[20:21], v[22:23], v[12:13]
	v_fma_f64 v[2:3], -v[2:3], v[20:21], v[22:23]
	v_div_fmas_f64 v[2:3], v[2:3], v[12:13], v[20:21]
	v_div_fixup_f64 v[2:3], v[2:3], v[0:1], 1.0
	v_mul_f64 v[0:1], v[10:11], v[2:3]
	v_xor_b32_e32 v3, 0x80000000, v3
.LBB126_607:
	s_andn2_saveexec_b64 s[18:19], s[18:19]
	s_cbranch_execz .LBB126_609
; %bb.608:
	v_div_scale_f64 v[10:11], s[16:17], v[0:1], v[0:1], v[2:3]
	v_rcp_f64_e32 v[12:13], v[10:11]
	v_fma_f64 v[20:21], -v[10:11], v[12:13], 1.0
	v_fma_f64 v[12:13], v[12:13], v[20:21], v[12:13]
	v_div_scale_f64 v[20:21], vcc, v[2:3], v[0:1], v[2:3]
	v_fma_f64 v[22:23], -v[10:11], v[12:13], 1.0
	v_fma_f64 v[12:13], v[12:13], v[22:23], v[12:13]
	v_mul_f64 v[22:23], v[20:21], v[12:13]
	v_fma_f64 v[10:11], -v[10:11], v[22:23], v[20:21]
	v_div_fmas_f64 v[10:11], v[10:11], v[12:13], v[22:23]
	v_div_fixup_f64 v[10:11], v[10:11], v[0:1], v[2:3]
	v_fma_f64 v[0:1], v[2:3], v[10:11], v[0:1]
	v_div_scale_f64 v[2:3], s[16:17], v[0:1], v[0:1], 1.0
	v_div_scale_f64 v[22:23], vcc, 1.0, v[0:1], 1.0
	v_rcp_f64_e32 v[12:13], v[2:3]
	v_fma_f64 v[20:21], -v[2:3], v[12:13], 1.0
	v_fma_f64 v[12:13], v[12:13], v[20:21], v[12:13]
	v_fma_f64 v[20:21], -v[2:3], v[12:13], 1.0
	v_fma_f64 v[12:13], v[12:13], v[20:21], v[12:13]
	v_mul_f64 v[20:21], v[22:23], v[12:13]
	v_fma_f64 v[2:3], -v[2:3], v[20:21], v[22:23]
	v_div_fmas_f64 v[2:3], v[2:3], v[12:13], v[20:21]
	v_div_fixup_f64 v[0:1], v[2:3], v[0:1], 1.0
	v_mul_f64 v[2:3], v[10:11], -v[0:1]
.LBB126_609:
	s_or_b64 exec, exec, s[18:19]
.LBB126_610:
	s_or_b64 exec, exec, s[4:5]
	v_cmp_ne_u32_e32 vcc, v19, v4
	s_and_saveexec_b64 s[4:5], vcc
	s_xor_b64 s[4:5], exec, s[4:5]
	s_cbranch_execz .LBB126_616
; %bb.611:
	v_cmp_eq_u32_e32 vcc, 24, v19
	s_and_saveexec_b64 s[18:19], vcc
	s_cbranch_execz .LBB126_615
; %bb.612:
	v_cmp_ne_u32_e32 vcc, 24, v4
	s_xor_b64 s[16:17], s[10:11], -1
	s_and_b64 s[16:17], s[16:17], vcc
	s_and_saveexec_b64 s[24:25], s[16:17]
	s_cbranch_execz .LBB126_614
; %bb.613:
	v_ashrrev_i32_e32 v5, 31, v4
	v_lshlrev_b64 v[10:11], 2, v[4:5]
	v_add_co_u32_e32 v10, vcc, v8, v10
	v_addc_co_u32_e32 v11, vcc, v9, v11, vcc
	global_load_dword v5, v[10:11], off
	global_load_dword v12, v[8:9], off offset:96
	s_waitcnt vmcnt(1)
	global_store_dword v[8:9], v5, off offset:96
	s_waitcnt vmcnt(1)
	global_store_dword v[10:11], v12, off
.LBB126_614:
	s_or_b64 exec, exec, s[24:25]
	v_mov_b32_e32 v19, v4
	v_mov_b32_e32 v18, v4
.LBB126_615:
	s_or_b64 exec, exec, s[18:19]
.LBB126_616:
	s_andn2_saveexec_b64 s[4:5], s[4:5]
	s_cbranch_execz .LBB126_620
; %bb.617:
	s_movk_i32 s16, 0x190
.LBB126_618:                            ; =>This Inner Loop Header: Depth=1
	v_mov_b32_e32 v29, s16
	buffer_load_dword v4, v29, s[0:3], 0 offen
	buffer_load_dword v5, v29, s[0:3], 0 offen offset:4
	buffer_load_dword v10, v29, s[0:3], 0 offen offset:8
	;; [unrolled: 1-line block ×15, first 2 shown]
	v_add_u32_e32 v30, s16, v16
	s_addk_i32 s16, 0xd0
	s_cmpk_eq_i32 s16, 0x400
	s_waitcnt vmcnt(12)
	ds_write2_b64 v30, v[4:5], v[10:11] offset1:1
	s_waitcnt vmcnt(8)
	ds_write2_b64 v30, v[12:13], v[19:20] offset0:2 offset1:3
	s_waitcnt vmcnt(4)
	ds_write2_b64 v30, v[21:22], v[23:24] offset0:4 offset1:5
	;; [unrolled: 2-line block ×3, first 2 shown]
	buffer_load_dword v5, v29, s[0:3], 0 offen offset:76
	buffer_load_dword v4, v29, s[0:3], 0 offen offset:72
	buffer_load_dword v11, v29, s[0:3], 0 offen offset:68
	buffer_load_dword v10, v29, s[0:3], 0 offen offset:64
	s_waitcnt vmcnt(0)
	ds_write2_b64 v30, v[10:11], v[4:5] offset0:8 offset1:9
	buffer_load_dword v5, v29, s[0:3], 0 offen offset:92
	buffer_load_dword v4, v29, s[0:3], 0 offen offset:88
	buffer_load_dword v11, v29, s[0:3], 0 offen offset:84
	buffer_load_dword v10, v29, s[0:3], 0 offen offset:80
	s_waitcnt vmcnt(0)
	ds_write2_b64 v30, v[10:11], v[4:5] offset0:10 offset1:11
	;; [unrolled: 6-line block ×9, first 2 shown]
	s_cbranch_scc0 .LBB126_618
; %bb.619:
	v_mov_b32_e32 v19, 24
.LBB126_620:
	s_or_b64 exec, exec, s[4:5]
	v_cmp_lt_i32_e32 vcc, 24, v19
	s_waitcnt vmcnt(0) lgkmcnt(0)
	s_barrier
	s_and_saveexec_b64 s[4:5], vcc
	s_cbranch_execz .LBB126_623
; %bb.621:
	buffer_load_dword v4, off, s[0:3], 0 offset:392
	buffer_load_dword v5, off, s[0:3], 0 offset:396
	;; [unrolled: 1-line block ×4, first 2 shown]
	s_movk_i32 s16, 0x190
	s_waitcnt vmcnt(2)
	v_mul_f64 v[12:13], v[2:3], v[4:5]
	v_mul_f64 v[4:5], v[0:1], v[4:5]
	s_waitcnt vmcnt(0)
	v_fma_f64 v[0:1], v[0:1], v[10:11], -v[12:13]
	v_fma_f64 v[2:3], v[2:3], v[10:11], v[4:5]
	buffer_store_dword v0, off, s[0:3], 0 offset:384
	buffer_store_dword v1, off, s[0:3], 0 offset:388
	buffer_store_dword v2, off, s[0:3], 0 offset:392
	buffer_store_dword v3, off, s[0:3], 0 offset:396
.LBB126_622:                            ; =>This Inner Loop Header: Depth=1
	buffer_load_dword v4, off, s[0:3], 0 offset:392
	buffer_load_dword v5, off, s[0:3], 0 offset:396
	;; [unrolled: 1-line block ×4, first 2 shown]
	v_mov_b32_e32 v32, s16
	buffer_load_dword v22, v32, s[0:3], 0 offen
	buffer_load_dword v23, v32, s[0:3], 0 offen offset:4
	buffer_load_dword v24, v32, s[0:3], 0 offen offset:8
	;; [unrolled: 1-line block ×3, first 2 shown]
	v_add_u32_e32 v33, s16, v16
	ds_read2_b64 v[0:3], v33 offset1:1
	buffer_load_dword v26, v32, s[0:3], 0 offen offset:16
	buffer_load_dword v27, v32, s[0:3], 0 offen offset:20
	;; [unrolled: 1-line block ×4, first 2 shown]
	ds_read2_b64 v[10:13], v33 offset0:2 offset1:3
	s_add_i32 s16, s16, 48
	s_cmpk_lg_i32 s16, 0x400
	s_waitcnt vmcnt(10) lgkmcnt(1)
	v_mul_f64 v[30:31], v[2:3], v[4:5]
	v_mul_f64 v[4:5], v[0:1], v[4:5]
	s_waitcnt vmcnt(8)
	v_fma_f64 v[0:1], v[0:1], v[20:21], -v[30:31]
	v_fma_f64 v[2:3], v[2:3], v[20:21], v[4:5]
	s_waitcnt vmcnt(6)
	v_add_f64 v[0:1], v[22:23], -v[0:1]
	s_waitcnt vmcnt(4)
	v_add_f64 v[2:3], v[24:25], -v[2:3]
	buffer_store_dword v1, v32, s[0:3], 0 offen offset:4
	buffer_store_dword v0, v32, s[0:3], 0 offen
	buffer_store_dword v3, v32, s[0:3], 0 offen offset:12
	buffer_store_dword v2, v32, s[0:3], 0 offen offset:8
	buffer_load_dword v1, off, s[0:3], 0 offset:396
	s_nop 0
	buffer_load_dword v0, off, s[0:3], 0 offset:392
	buffer_load_dword v3, off, s[0:3], 0 offset:388
	;; [unrolled: 1-line block ×3, first 2 shown]
	buffer_load_dword v4, v32, s[0:3], 0 offen offset:32
	buffer_load_dword v5, v32, s[0:3], 0 offen offset:36
	;; [unrolled: 1-line block ×4, first 2 shown]
	s_waitcnt vmcnt(6) lgkmcnt(0)
	v_mul_f64 v[22:23], v[12:13], v[0:1]
	v_mul_f64 v[0:1], v[10:11], v[0:1]
	s_waitcnt vmcnt(4)
	v_fma_f64 v[10:11], v[10:11], v[2:3], -v[22:23]
	v_fma_f64 v[0:1], v[12:13], v[2:3], v[0:1]
	v_add_f64 v[2:3], v[26:27], -v[10:11]
	v_add_f64 v[0:1], v[28:29], -v[0:1]
	buffer_store_dword v3, v32, s[0:3], 0 offen offset:20
	buffer_store_dword v2, v32, s[0:3], 0 offen offset:16
	;; [unrolled: 1-line block ×4, first 2 shown]
	buffer_load_dword v10, off, s[0:3], 0 offset:392
	buffer_load_dword v11, off, s[0:3], 0 offset:396
	;; [unrolled: 1-line block ×4, first 2 shown]
	ds_read2_b64 v[0:3], v33 offset0:4 offset1:5
	s_waitcnt vmcnt(2) lgkmcnt(0)
	v_mul_f64 v[22:23], v[2:3], v[10:11]
	v_mul_f64 v[10:11], v[0:1], v[10:11]
	s_waitcnt vmcnt(0)
	v_fma_f64 v[0:1], v[0:1], v[12:13], -v[22:23]
	v_fma_f64 v[2:3], v[2:3], v[12:13], v[10:11]
	v_add_f64 v[0:1], v[4:5], -v[0:1]
	v_add_f64 v[2:3], v[20:21], -v[2:3]
	buffer_store_dword v1, v32, s[0:3], 0 offen offset:36
	buffer_store_dword v0, v32, s[0:3], 0 offen offset:32
	;; [unrolled: 1-line block ×4, first 2 shown]
	s_cbranch_scc1 .LBB126_622
.LBB126_623:
	s_or_b64 exec, exec, s[4:5]
	v_mov_b32_e32 v3, s63
	s_waitcnt vmcnt(0)
	s_barrier
	buffer_load_dword v0, v3, s[0:3], 0 offen
	buffer_load_dword v1, v3, s[0:3], 0 offen offset:4
	buffer_load_dword v2, v3, s[0:3], 0 offen offset:8
	s_nop 0
	buffer_load_dword v3, v3, s[0:3], 0 offen offset:12
	v_lshl_add_u32 v4, v19, 4, v16
	s_cmp_lt_i32 s66, 27
	s_waitcnt vmcnt(0)
	ds_write2_b64 v4, v[0:1], v[2:3] offset1:1
	s_waitcnt lgkmcnt(0)
	s_barrier
	ds_read2_b64 v[0:3], v16 offset0:50 offset1:51
	v_mov_b32_e32 v4, 25
	s_cbranch_scc1 .LBB126_626
; %bb.624:
	v_add_u32_e32 v5, 0x1a0, v16
	s_mov_b32 s16, 26
	v_mov_b32_e32 v4, 25
.LBB126_625:                            ; =>This Inner Loop Header: Depth=1
	s_waitcnt lgkmcnt(0)
	v_cmp_gt_f64_e32 vcc, 0, v[2:3]
	v_cmp_gt_f64_e64 s[4:5], 0, v[0:1]
	ds_read2_b64 v[10:13], v5 offset1:1
	v_xor_b32_e32 v21, 0x80000000, v1
	v_xor_b32_e32 v23, 0x80000000, v3
	v_mov_b32_e32 v20, v0
	v_mov_b32_e32 v22, v2
	s_waitcnt lgkmcnt(0)
	v_xor_b32_e32 v25, 0x80000000, v13
	v_cndmask_b32_e32 v23, v3, v23, vcc
	v_cndmask_b32_e64 v21, v1, v21, s[4:5]
	v_cmp_gt_f64_e32 vcc, 0, v[12:13]
	v_cmp_gt_f64_e64 s[4:5], 0, v[10:11]
	v_add_f64 v[20:21], v[20:21], v[22:23]
	v_xor_b32_e32 v23, 0x80000000, v11
	v_mov_b32_e32 v22, v10
	v_mov_b32_e32 v24, v12
	v_add_u32_e32 v5, 16, v5
	v_cndmask_b32_e32 v25, v13, v25, vcc
	v_cndmask_b32_e64 v23, v11, v23, s[4:5]
	v_add_f64 v[22:23], v[22:23], v[24:25]
	v_mov_b32_e32 v24, s16
	s_add_i32 s16, s16, 1
	s_cmp_lg_u32 s66, s16
	v_cmp_lt_f64_e32 vcc, v[20:21], v[22:23]
	v_cndmask_b32_e32 v1, v1, v11, vcc
	v_cndmask_b32_e32 v0, v0, v10, vcc
	;; [unrolled: 1-line block ×5, first 2 shown]
	s_cbranch_scc1 .LBB126_625
.LBB126_626:
	s_waitcnt lgkmcnt(0)
	v_cmp_eq_f64_e32 vcc, 0, v[0:1]
	v_cmp_eq_f64_e64 s[4:5], 0, v[2:3]
	s_and_b64 s[4:5], vcc, s[4:5]
	s_and_saveexec_b64 s[16:17], s[4:5]
	s_xor_b64 s[4:5], exec, s[16:17]
; %bb.627:
	v_cmp_ne_u32_e32 vcc, 0, v17
	v_cndmask_b32_e32 v17, 26, v17, vcc
; %bb.628:
	s_andn2_saveexec_b64 s[4:5], s[4:5]
	s_cbranch_execz .LBB126_634
; %bb.629:
	v_cmp_ngt_f64_e64 s[16:17], |v[0:1]|, |v[2:3]|
	s_and_saveexec_b64 s[18:19], s[16:17]
	s_xor_b64 s[18:19], exec, s[18:19]
	s_cbranch_execz .LBB126_631
; %bb.630:
	v_div_scale_f64 v[10:11], s[16:17], v[2:3], v[2:3], v[0:1]
	v_rcp_f64_e32 v[12:13], v[10:11]
	v_fma_f64 v[20:21], -v[10:11], v[12:13], 1.0
	v_fma_f64 v[12:13], v[12:13], v[20:21], v[12:13]
	v_div_scale_f64 v[20:21], vcc, v[0:1], v[2:3], v[0:1]
	v_fma_f64 v[22:23], -v[10:11], v[12:13], 1.0
	v_fma_f64 v[12:13], v[12:13], v[22:23], v[12:13]
	v_mul_f64 v[22:23], v[20:21], v[12:13]
	v_fma_f64 v[10:11], -v[10:11], v[22:23], v[20:21]
	v_div_fmas_f64 v[10:11], v[10:11], v[12:13], v[22:23]
	v_div_fixup_f64 v[10:11], v[10:11], v[2:3], v[0:1]
	v_fma_f64 v[0:1], v[0:1], v[10:11], v[2:3]
	v_div_scale_f64 v[2:3], s[16:17], v[0:1], v[0:1], 1.0
	v_div_scale_f64 v[22:23], vcc, 1.0, v[0:1], 1.0
	v_rcp_f64_e32 v[12:13], v[2:3]
	v_fma_f64 v[20:21], -v[2:3], v[12:13], 1.0
	v_fma_f64 v[12:13], v[12:13], v[20:21], v[12:13]
	v_fma_f64 v[20:21], -v[2:3], v[12:13], 1.0
	v_fma_f64 v[12:13], v[12:13], v[20:21], v[12:13]
	v_mul_f64 v[20:21], v[22:23], v[12:13]
	v_fma_f64 v[2:3], -v[2:3], v[20:21], v[22:23]
	v_div_fmas_f64 v[2:3], v[2:3], v[12:13], v[20:21]
	v_div_fixup_f64 v[2:3], v[2:3], v[0:1], 1.0
	v_mul_f64 v[0:1], v[10:11], v[2:3]
	v_xor_b32_e32 v3, 0x80000000, v3
.LBB126_631:
	s_andn2_saveexec_b64 s[18:19], s[18:19]
	s_cbranch_execz .LBB126_633
; %bb.632:
	v_div_scale_f64 v[10:11], s[16:17], v[0:1], v[0:1], v[2:3]
	v_rcp_f64_e32 v[12:13], v[10:11]
	v_fma_f64 v[20:21], -v[10:11], v[12:13], 1.0
	v_fma_f64 v[12:13], v[12:13], v[20:21], v[12:13]
	v_div_scale_f64 v[20:21], vcc, v[2:3], v[0:1], v[2:3]
	v_fma_f64 v[22:23], -v[10:11], v[12:13], 1.0
	v_fma_f64 v[12:13], v[12:13], v[22:23], v[12:13]
	v_mul_f64 v[22:23], v[20:21], v[12:13]
	v_fma_f64 v[10:11], -v[10:11], v[22:23], v[20:21]
	v_div_fmas_f64 v[10:11], v[10:11], v[12:13], v[22:23]
	v_div_fixup_f64 v[10:11], v[10:11], v[0:1], v[2:3]
	v_fma_f64 v[0:1], v[2:3], v[10:11], v[0:1]
	v_div_scale_f64 v[2:3], s[16:17], v[0:1], v[0:1], 1.0
	v_div_scale_f64 v[22:23], vcc, 1.0, v[0:1], 1.0
	v_rcp_f64_e32 v[12:13], v[2:3]
	v_fma_f64 v[20:21], -v[2:3], v[12:13], 1.0
	v_fma_f64 v[12:13], v[12:13], v[20:21], v[12:13]
	v_fma_f64 v[20:21], -v[2:3], v[12:13], 1.0
	v_fma_f64 v[12:13], v[12:13], v[20:21], v[12:13]
	v_mul_f64 v[20:21], v[22:23], v[12:13]
	v_fma_f64 v[2:3], -v[2:3], v[20:21], v[22:23]
	v_div_fmas_f64 v[2:3], v[2:3], v[12:13], v[20:21]
	v_div_fixup_f64 v[0:1], v[2:3], v[0:1], 1.0
	v_mul_f64 v[2:3], v[10:11], -v[0:1]
.LBB126_633:
	s_or_b64 exec, exec, s[18:19]
.LBB126_634:
	s_or_b64 exec, exec, s[4:5]
	v_cmp_ne_u32_e32 vcc, v19, v4
	s_and_saveexec_b64 s[4:5], vcc
	s_xor_b64 s[4:5], exec, s[4:5]
	s_cbranch_execz .LBB126_640
; %bb.635:
	v_cmp_eq_u32_e32 vcc, 25, v19
	s_and_saveexec_b64 s[18:19], vcc
	s_cbranch_execz .LBB126_639
; %bb.636:
	v_cmp_ne_u32_e32 vcc, 25, v4
	s_xor_b64 s[16:17], s[10:11], -1
	s_and_b64 s[16:17], s[16:17], vcc
	s_and_saveexec_b64 s[24:25], s[16:17]
	s_cbranch_execz .LBB126_638
; %bb.637:
	v_ashrrev_i32_e32 v5, 31, v4
	v_lshlrev_b64 v[10:11], 2, v[4:5]
	v_add_co_u32_e32 v10, vcc, v8, v10
	v_addc_co_u32_e32 v11, vcc, v9, v11, vcc
	global_load_dword v5, v[10:11], off
	global_load_dword v12, v[8:9], off offset:100
	s_waitcnt vmcnt(1)
	global_store_dword v[8:9], v5, off offset:100
	s_waitcnt vmcnt(1)
	global_store_dword v[10:11], v12, off
.LBB126_638:
	s_or_b64 exec, exec, s[24:25]
	v_mov_b32_e32 v19, v4
	v_mov_b32_e32 v18, v4
.LBB126_639:
	s_or_b64 exec, exec, s[18:19]
.LBB126_640:
	s_andn2_saveexec_b64 s[4:5], s[4:5]
	s_cbranch_execz .LBB126_644
; %bb.641:
	s_movk_i32 s16, 0x1a0
.LBB126_642:                            ; =>This Inner Loop Header: Depth=1
	v_mov_b32_e32 v20, s16
	buffer_load_dword v4, v20, s[0:3], 0 offen
	buffer_load_dword v5, v20, s[0:3], 0 offen offset:4
	buffer_load_dword v10, v20, s[0:3], 0 offen offset:8
	;; [unrolled: 1-line block ×6, first 2 shown]
	s_nop 0
	buffer_load_dword v20, v20, s[0:3], 0 offen offset:28
	v_add_u32_e32 v21, s16, v16
	s_add_i32 s16, s16, 32
	s_cmpk_eq_i32 s16, 0x400
	s_waitcnt vmcnt(4)
	ds_write2_b64 v21, v[4:5], v[10:11] offset1:1
	s_waitcnt vmcnt(0)
	ds_write2_b64 v21, v[12:13], v[19:20] offset0:2 offset1:3
	s_cbranch_scc0 .LBB126_642
; %bb.643:
	v_mov_b32_e32 v19, 25
.LBB126_644:
	s_or_b64 exec, exec, s[4:5]
	v_cmp_lt_i32_e32 vcc, 25, v19
	s_waitcnt vmcnt(0) lgkmcnt(0)
	s_barrier
	s_and_saveexec_b64 s[4:5], vcc
	s_cbranch_execz .LBB126_647
; %bb.645:
	buffer_load_dword v4, off, s[0:3], 0 offset:408
	buffer_load_dword v5, off, s[0:3], 0 offset:412
	;; [unrolled: 1-line block ×4, first 2 shown]
	s_movk_i32 s16, 0x1a0
	s_waitcnt vmcnt(2)
	v_mul_f64 v[12:13], v[2:3], v[4:5]
	v_mul_f64 v[4:5], v[0:1], v[4:5]
	s_waitcnt vmcnt(0)
	v_fma_f64 v[0:1], v[0:1], v[10:11], -v[12:13]
	v_fma_f64 v[2:3], v[2:3], v[10:11], v[4:5]
	buffer_store_dword v0, off, s[0:3], 0 offset:400
	buffer_store_dword v1, off, s[0:3], 0 offset:404
	;; [unrolled: 1-line block ×4, first 2 shown]
.LBB126_646:                            ; =>This Inner Loop Header: Depth=1
	buffer_load_dword v4, off, s[0:3], 0 offset:408
	buffer_load_dword v5, off, s[0:3], 0 offset:412
	;; [unrolled: 1-line block ×4, first 2 shown]
	v_mov_b32_e32 v32, s16
	buffer_load_dword v22, v32, s[0:3], 0 offen
	buffer_load_dword v23, v32, s[0:3], 0 offen offset:4
	buffer_load_dword v24, v32, s[0:3], 0 offen offset:8
	;; [unrolled: 1-line block ×3, first 2 shown]
	v_add_u32_e32 v10, s16, v16
	ds_read2_b64 v[0:3], v10 offset1:1
	buffer_load_dword v26, v32, s[0:3], 0 offen offset:16
	buffer_load_dword v27, v32, s[0:3], 0 offen offset:20
	buffer_load_dword v28, v32, s[0:3], 0 offen offset:24
	buffer_load_dword v29, v32, s[0:3], 0 offen offset:28
	ds_read2_b64 v[10:13], v10 offset0:2 offset1:3
	s_add_i32 s16, s16, 32
	s_cmpk_lg_i32 s16, 0x400
	s_waitcnt vmcnt(10) lgkmcnt(1)
	v_mul_f64 v[30:31], v[2:3], v[4:5]
	v_mul_f64 v[4:5], v[0:1], v[4:5]
	s_waitcnt vmcnt(8)
	v_fma_f64 v[0:1], v[0:1], v[20:21], -v[30:31]
	v_fma_f64 v[2:3], v[2:3], v[20:21], v[4:5]
	s_waitcnt vmcnt(6)
	v_add_f64 v[0:1], v[22:23], -v[0:1]
	s_waitcnt vmcnt(4)
	v_add_f64 v[2:3], v[24:25], -v[2:3]
	buffer_store_dword v1, v32, s[0:3], 0 offen offset:4
	buffer_store_dword v0, v32, s[0:3], 0 offen
	buffer_store_dword v3, v32, s[0:3], 0 offen offset:12
	buffer_store_dword v2, v32, s[0:3], 0 offen offset:8
	buffer_load_dword v1, off, s[0:3], 0 offset:412
	s_nop 0
	buffer_load_dword v0, off, s[0:3], 0 offset:408
	buffer_load_dword v3, off, s[0:3], 0 offset:404
	;; [unrolled: 1-line block ×3, first 2 shown]
	s_waitcnt vmcnt(2) lgkmcnt(0)
	v_mul_f64 v[4:5], v[12:13], v[0:1]
	v_mul_f64 v[0:1], v[10:11], v[0:1]
	s_waitcnt vmcnt(0)
	v_fma_f64 v[4:5], v[10:11], v[2:3], -v[4:5]
	v_fma_f64 v[0:1], v[12:13], v[2:3], v[0:1]
	v_add_f64 v[2:3], v[26:27], -v[4:5]
	v_add_f64 v[0:1], v[28:29], -v[0:1]
	buffer_store_dword v3, v32, s[0:3], 0 offen offset:20
	buffer_store_dword v2, v32, s[0:3], 0 offen offset:16
	;; [unrolled: 1-line block ×4, first 2 shown]
	s_cbranch_scc1 .LBB126_646
.LBB126_647:
	s_or_b64 exec, exec, s[4:5]
	v_mov_b32_e32 v3, s48
	s_waitcnt vmcnt(0)
	s_barrier
	buffer_load_dword v0, v3, s[0:3], 0 offen
	buffer_load_dword v1, v3, s[0:3], 0 offen offset:4
	buffer_load_dword v2, v3, s[0:3], 0 offen offset:8
	s_nop 0
	buffer_load_dword v3, v3, s[0:3], 0 offen offset:12
	v_lshl_add_u32 v4, v19, 4, v16
	s_cmp_lt_i32 s66, 28
	s_waitcnt vmcnt(0)
	ds_write2_b64 v4, v[0:1], v[2:3] offset1:1
	s_waitcnt lgkmcnt(0)
	s_barrier
	ds_read2_b64 v[0:3], v16 offset0:52 offset1:53
	v_mov_b32_e32 v4, 26
	s_cbranch_scc1 .LBB126_650
; %bb.648:
	v_add_u32_e32 v5, 0x1b0, v16
	s_mov_b32 s16, 27
	v_mov_b32_e32 v4, 26
.LBB126_649:                            ; =>This Inner Loop Header: Depth=1
	s_waitcnt lgkmcnt(0)
	v_cmp_gt_f64_e32 vcc, 0, v[2:3]
	v_cmp_gt_f64_e64 s[4:5], 0, v[0:1]
	ds_read2_b64 v[10:13], v5 offset1:1
	v_xor_b32_e32 v21, 0x80000000, v1
	v_xor_b32_e32 v23, 0x80000000, v3
	v_mov_b32_e32 v20, v0
	v_mov_b32_e32 v22, v2
	s_waitcnt lgkmcnt(0)
	v_xor_b32_e32 v25, 0x80000000, v13
	v_cndmask_b32_e32 v23, v3, v23, vcc
	v_cndmask_b32_e64 v21, v1, v21, s[4:5]
	v_cmp_gt_f64_e32 vcc, 0, v[12:13]
	v_cmp_gt_f64_e64 s[4:5], 0, v[10:11]
	v_add_f64 v[20:21], v[20:21], v[22:23]
	v_xor_b32_e32 v23, 0x80000000, v11
	v_mov_b32_e32 v22, v10
	v_mov_b32_e32 v24, v12
	v_add_u32_e32 v5, 16, v5
	v_cndmask_b32_e32 v25, v13, v25, vcc
	v_cndmask_b32_e64 v23, v11, v23, s[4:5]
	v_add_f64 v[22:23], v[22:23], v[24:25]
	v_mov_b32_e32 v24, s16
	s_add_i32 s16, s16, 1
	s_cmp_lg_u32 s66, s16
	v_cmp_lt_f64_e32 vcc, v[20:21], v[22:23]
	v_cndmask_b32_e32 v1, v1, v11, vcc
	v_cndmask_b32_e32 v0, v0, v10, vcc
	;; [unrolled: 1-line block ×5, first 2 shown]
	s_cbranch_scc1 .LBB126_649
.LBB126_650:
	s_waitcnt lgkmcnt(0)
	v_cmp_eq_f64_e32 vcc, 0, v[0:1]
	v_cmp_eq_f64_e64 s[4:5], 0, v[2:3]
	s_and_b64 s[4:5], vcc, s[4:5]
	s_and_saveexec_b64 s[16:17], s[4:5]
	s_xor_b64 s[4:5], exec, s[16:17]
; %bb.651:
	v_cmp_ne_u32_e32 vcc, 0, v17
	v_cndmask_b32_e32 v17, 27, v17, vcc
; %bb.652:
	s_andn2_saveexec_b64 s[4:5], s[4:5]
	s_cbranch_execz .LBB126_658
; %bb.653:
	v_cmp_ngt_f64_e64 s[16:17], |v[0:1]|, |v[2:3]|
	s_and_saveexec_b64 s[18:19], s[16:17]
	s_xor_b64 s[18:19], exec, s[18:19]
	s_cbranch_execz .LBB126_655
; %bb.654:
	v_div_scale_f64 v[10:11], s[16:17], v[2:3], v[2:3], v[0:1]
	v_rcp_f64_e32 v[12:13], v[10:11]
	v_fma_f64 v[20:21], -v[10:11], v[12:13], 1.0
	v_fma_f64 v[12:13], v[12:13], v[20:21], v[12:13]
	v_div_scale_f64 v[20:21], vcc, v[0:1], v[2:3], v[0:1]
	v_fma_f64 v[22:23], -v[10:11], v[12:13], 1.0
	v_fma_f64 v[12:13], v[12:13], v[22:23], v[12:13]
	v_mul_f64 v[22:23], v[20:21], v[12:13]
	v_fma_f64 v[10:11], -v[10:11], v[22:23], v[20:21]
	v_div_fmas_f64 v[10:11], v[10:11], v[12:13], v[22:23]
	v_div_fixup_f64 v[10:11], v[10:11], v[2:3], v[0:1]
	v_fma_f64 v[0:1], v[0:1], v[10:11], v[2:3]
	v_div_scale_f64 v[2:3], s[16:17], v[0:1], v[0:1], 1.0
	v_div_scale_f64 v[22:23], vcc, 1.0, v[0:1], 1.0
	v_rcp_f64_e32 v[12:13], v[2:3]
	v_fma_f64 v[20:21], -v[2:3], v[12:13], 1.0
	v_fma_f64 v[12:13], v[12:13], v[20:21], v[12:13]
	v_fma_f64 v[20:21], -v[2:3], v[12:13], 1.0
	v_fma_f64 v[12:13], v[12:13], v[20:21], v[12:13]
	v_mul_f64 v[20:21], v[22:23], v[12:13]
	v_fma_f64 v[2:3], -v[2:3], v[20:21], v[22:23]
	v_div_fmas_f64 v[2:3], v[2:3], v[12:13], v[20:21]
	v_div_fixup_f64 v[2:3], v[2:3], v[0:1], 1.0
	v_mul_f64 v[0:1], v[10:11], v[2:3]
	v_xor_b32_e32 v3, 0x80000000, v3
.LBB126_655:
	s_andn2_saveexec_b64 s[18:19], s[18:19]
	s_cbranch_execz .LBB126_657
; %bb.656:
	v_div_scale_f64 v[10:11], s[16:17], v[0:1], v[0:1], v[2:3]
	v_rcp_f64_e32 v[12:13], v[10:11]
	v_fma_f64 v[20:21], -v[10:11], v[12:13], 1.0
	v_fma_f64 v[12:13], v[12:13], v[20:21], v[12:13]
	v_div_scale_f64 v[20:21], vcc, v[2:3], v[0:1], v[2:3]
	v_fma_f64 v[22:23], -v[10:11], v[12:13], 1.0
	v_fma_f64 v[12:13], v[12:13], v[22:23], v[12:13]
	v_mul_f64 v[22:23], v[20:21], v[12:13]
	v_fma_f64 v[10:11], -v[10:11], v[22:23], v[20:21]
	v_div_fmas_f64 v[10:11], v[10:11], v[12:13], v[22:23]
	v_div_fixup_f64 v[10:11], v[10:11], v[0:1], v[2:3]
	v_fma_f64 v[0:1], v[2:3], v[10:11], v[0:1]
	v_div_scale_f64 v[2:3], s[16:17], v[0:1], v[0:1], 1.0
	v_div_scale_f64 v[22:23], vcc, 1.0, v[0:1], 1.0
	v_rcp_f64_e32 v[12:13], v[2:3]
	v_fma_f64 v[20:21], -v[2:3], v[12:13], 1.0
	v_fma_f64 v[12:13], v[12:13], v[20:21], v[12:13]
	v_fma_f64 v[20:21], -v[2:3], v[12:13], 1.0
	v_fma_f64 v[12:13], v[12:13], v[20:21], v[12:13]
	v_mul_f64 v[20:21], v[22:23], v[12:13]
	v_fma_f64 v[2:3], -v[2:3], v[20:21], v[22:23]
	v_div_fmas_f64 v[2:3], v[2:3], v[12:13], v[20:21]
	v_div_fixup_f64 v[0:1], v[2:3], v[0:1], 1.0
	v_mul_f64 v[2:3], v[10:11], -v[0:1]
.LBB126_657:
	s_or_b64 exec, exec, s[18:19]
.LBB126_658:
	s_or_b64 exec, exec, s[4:5]
	v_cmp_ne_u32_e32 vcc, v19, v4
	s_and_saveexec_b64 s[4:5], vcc
	s_xor_b64 s[4:5], exec, s[4:5]
	s_cbranch_execz .LBB126_664
; %bb.659:
	v_cmp_eq_u32_e32 vcc, 26, v19
	s_and_saveexec_b64 s[18:19], vcc
	s_cbranch_execz .LBB126_663
; %bb.660:
	v_cmp_ne_u32_e32 vcc, 26, v4
	s_xor_b64 s[16:17], s[10:11], -1
	s_and_b64 s[16:17], s[16:17], vcc
	s_and_saveexec_b64 s[24:25], s[16:17]
	s_cbranch_execz .LBB126_662
; %bb.661:
	v_ashrrev_i32_e32 v5, 31, v4
	v_lshlrev_b64 v[10:11], 2, v[4:5]
	v_add_co_u32_e32 v10, vcc, v8, v10
	v_addc_co_u32_e32 v11, vcc, v9, v11, vcc
	global_load_dword v5, v[10:11], off
	global_load_dword v12, v[8:9], off offset:104
	s_waitcnt vmcnt(1)
	global_store_dword v[8:9], v5, off offset:104
	s_waitcnt vmcnt(1)
	global_store_dword v[10:11], v12, off
.LBB126_662:
	s_or_b64 exec, exec, s[24:25]
	v_mov_b32_e32 v19, v4
	v_mov_b32_e32 v18, v4
.LBB126_663:
	s_or_b64 exec, exec, s[18:19]
.LBB126_664:
	s_andn2_saveexec_b64 s[4:5], s[4:5]
	s_cbranch_execz .LBB126_670
; %bb.665:
	s_mov_b32 s16, 0
	v_add_u32_e32 v4, 0x1b0, v16
	s_branch .LBB126_667
.LBB126_666:                            ;   in Loop: Header=BB126_667 Depth=1
	s_andn2_b64 vcc, exec, s[18:19]
	s_cbranch_vccz .LBB126_669
.LBB126_667:                            ; =>This Inner Loop Header: Depth=1
	s_add_i32 s17, s62, s16
	v_mov_b32_e32 v5, s17
	buffer_load_dword v10, v5, s[0:3], 0 offen
	buffer_load_dword v11, v5, s[0:3], 0 offen offset:4
	buffer_load_dword v12, v5, s[0:3], 0 offen offset:8
	;; [unrolled: 1-line block ×19, first 2 shown]
	v_add_u32_e32 v5, s16, v4
	s_cmpk_eq_i32 s16, 0x200
	s_mov_b64 s[18:19], -1
	s_waitcnt vmcnt(16)
	ds_write2_b64 v5, v[10:11], v[12:13] offset1:1
	s_waitcnt vmcnt(12)
	ds_write2_b64 v5, v[19:20], v[21:22] offset0:2 offset1:3
	s_waitcnt vmcnt(8)
	ds_write2_b64 v5, v[23:24], v[25:26] offset0:4 offset1:5
	;; [unrolled: 2-line block ×4, first 2 shown]
	s_cbranch_scc1 .LBB126_666
; %bb.668:                              ;   in Loop: Header=BB126_667 Depth=1
	v_mov_b32_e32 v26, s17
	buffer_load_dword v10, v26, s[0:3], 0 offen offset:80
	buffer_load_dword v11, v26, s[0:3], 0 offen offset:84
	;; [unrolled: 1-line block ×11, first 2 shown]
	s_nop 0
	buffer_load_dword v26, v26, s[0:3], 0 offen offset:124
	s_addk_i32 s16, 0x80
	s_mov_b64 s[18:19], 0
	s_waitcnt vmcnt(8)
	ds_write2_b64 v5, v[10:11], v[12:13] offset0:10 offset1:11
	s_waitcnt vmcnt(4)
	ds_write2_b64 v5, v[19:20], v[21:22] offset0:12 offset1:13
	;; [unrolled: 2-line block ×3, first 2 shown]
	s_branch .LBB126_666
.LBB126_669:
	v_mov_b32_e32 v19, 26
.LBB126_670:
	s_or_b64 exec, exec, s[4:5]
	v_cmp_lt_i32_e32 vcc, 26, v19
	s_waitcnt vmcnt(0) lgkmcnt(0)
	s_barrier
	s_and_saveexec_b64 s[4:5], vcc
	s_cbranch_execz .LBB126_675
; %bb.671:
	buffer_load_dword v4, off, s[0:3], 0 offset:424
	buffer_load_dword v5, off, s[0:3], 0 offset:428
	;; [unrolled: 1-line block ×4, first 2 shown]
	s_movk_i32 s24, 0x1b0
	s_waitcnt vmcnt(2)
	v_mul_f64 v[12:13], v[2:3], v[4:5]
	v_mul_f64 v[4:5], v[0:1], v[4:5]
	s_waitcnt vmcnt(0)
	v_fma_f64 v[0:1], v[0:1], v[10:11], -v[12:13]
	v_fma_f64 v[2:3], v[2:3], v[10:11], v[4:5]
	buffer_store_dword v0, off, s[0:3], 0 offset:416
	buffer_store_dword v1, off, s[0:3], 0 offset:420
	;; [unrolled: 1-line block ×4, first 2 shown]
	s_branch .LBB126_673
.LBB126_672:                            ;   in Loop: Header=BB126_673 Depth=1
	s_andn2_b64 vcc, exec, s[18:19]
	s_cbranch_vccz .LBB126_675
.LBB126_673:                            ; =>This Inner Loop Header: Depth=1
	v_mov_b32_e32 v5, s24
	buffer_load_dword v20, v5, s[0:3], 0 offen
	buffer_load_dword v21, v5, s[0:3], 0 offen offset:4
	buffer_load_dword v22, v5, s[0:3], 0 offen offset:8
	;; [unrolled: 1-line block ×3, first 2 shown]
	v_add_u32_e32 v4, s24, v16
	ds_read2_b64 v[10:13], v4 offset1:1
	s_mov_b32 s16, s24
	s_cmpk_eq_i32 s24, 0x3f0
	s_mov_b64 s[18:19], -1
	s_waitcnt vmcnt(4) lgkmcnt(0)
	v_mul_f64 v[24:25], v[12:13], v[2:3]
	v_mul_f64 v[2:3], v[10:11], v[2:3]
	v_fma_f64 v[10:11], v[10:11], v[0:1], -v[24:25]
	v_fma_f64 v[0:1], v[12:13], v[0:1], v[2:3]
	s_waitcnt vmcnt(2)
	v_add_f64 v[2:3], v[20:21], -v[10:11]
	s_waitcnt vmcnt(0)
	v_add_f64 v[0:1], v[22:23], -v[0:1]
	buffer_store_dword v2, v5, s[0:3], 0 offen
	buffer_store_dword v3, v5, s[0:3], 0 offen offset:4
	buffer_store_dword v0, v5, s[0:3], 0 offen offset:8
	;; [unrolled: 1-line block ×3, first 2 shown]
                                        ; implicit-def: $vgpr0_vgpr1
                                        ; implicit-def: $vgpr2_vgpr3
	s_cbranch_scc1 .LBB126_672
; %bb.674:                              ;   in Loop: Header=BB126_673 Depth=1
	buffer_load_dword v20, off, s[0:3], 0 offset:424
	buffer_load_dword v21, off, s[0:3], 0 offset:428
	;; [unrolled: 1-line block ×4, first 2 shown]
	v_mov_b32_e32 v30, s16
	buffer_load_dword v24, v30, s[0:3], 0 offen offset:16
	buffer_load_dword v25, v30, s[0:3], 0 offen offset:20
	buffer_load_dword v26, v30, s[0:3], 0 offen offset:24
	buffer_load_dword v27, v30, s[0:3], 0 offen offset:28
	ds_read2_b64 v[0:3], v4 offset0:2 offset1:3
	ds_read2_b64 v[10:13], v4 offset0:4 offset1:5
	s_add_i32 s24, s24, 64
	s_mov_b64 s[18:19], 0
	s_waitcnt vmcnt(6) lgkmcnt(1)
	v_mul_f64 v[28:29], v[2:3], v[20:21]
	v_mul_f64 v[20:21], v[0:1], v[20:21]
	s_waitcnt vmcnt(4)
	v_fma_f64 v[0:1], v[0:1], v[22:23], -v[28:29]
	v_fma_f64 v[2:3], v[2:3], v[22:23], v[20:21]
	s_waitcnt vmcnt(2)
	v_add_f64 v[0:1], v[24:25], -v[0:1]
	s_waitcnt vmcnt(0)
	v_add_f64 v[2:3], v[26:27], -v[2:3]
	buffer_store_dword v1, v30, s[0:3], 0 offen offset:20
	buffer_store_dword v0, v30, s[0:3], 0 offen offset:16
	;; [unrolled: 1-line block ×4, first 2 shown]
	buffer_load_dword v1, v30, s[0:3], 0 offen offset:36
	s_nop 0
	buffer_load_dword v2, v30, s[0:3], 0 offen offset:40
	buffer_load_dword v3, v30, s[0:3], 0 offen offset:44
	buffer_load_dword v21, off, s[0:3], 0 offset:428
	buffer_load_dword v20, off, s[0:3], 0 offset:424
	;; [unrolled: 1-line block ×4, first 2 shown]
	buffer_load_dword v0, v30, s[0:3], 0 offen offset:32
	s_waitcnt vmcnt(3) lgkmcnt(0)
	v_mul_f64 v[24:25], v[12:13], v[20:21]
	v_mul_f64 v[20:21], v[10:11], v[20:21]
	s_waitcnt vmcnt(1)
	v_fma_f64 v[10:11], v[10:11], v[22:23], -v[24:25]
	v_fma_f64 v[12:13], v[12:13], v[22:23], v[20:21]
	s_waitcnt vmcnt(0)
	v_add_f64 v[0:1], v[0:1], -v[10:11]
	v_add_f64 v[2:3], v[2:3], -v[12:13]
	buffer_store_dword v1, v30, s[0:3], 0 offen offset:36
	buffer_store_dword v0, v30, s[0:3], 0 offen offset:32
	;; [unrolled: 1-line block ×4, first 2 shown]
	buffer_load_dword v11, v30, s[0:3], 0 offen offset:52
	buffer_load_dword v12, v30, s[0:3], 0 offen offset:56
	;; [unrolled: 1-line block ×3, first 2 shown]
	buffer_load_dword v20, off, s[0:3], 0 offset:424
	buffer_load_dword v21, off, s[0:3], 0 offset:428
	;; [unrolled: 1-line block ×4, first 2 shown]
	buffer_load_dword v10, v30, s[0:3], 0 offen offset:48
	ds_read2_b64 v[0:3], v4 offset0:6 offset1:7
	s_waitcnt vmcnt(3) lgkmcnt(0)
	v_mul_f64 v[4:5], v[2:3], v[20:21]
	v_mul_f64 v[20:21], v[0:1], v[20:21]
	s_waitcnt vmcnt(1)
	v_fma_f64 v[0:1], v[0:1], v[22:23], -v[4:5]
	v_fma_f64 v[2:3], v[2:3], v[22:23], v[20:21]
	s_waitcnt vmcnt(0)
	v_add_f64 v[0:1], v[10:11], -v[0:1]
	v_add_f64 v[2:3], v[12:13], -v[2:3]
	buffer_store_dword v1, v30, s[0:3], 0 offen offset:52
	buffer_store_dword v0, v30, s[0:3], 0 offen offset:48
	;; [unrolled: 1-line block ×4, first 2 shown]
	buffer_load_dword v0, off, s[0:3], 0 offset:416
	s_nop 0
	buffer_load_dword v1, off, s[0:3], 0 offset:420
	buffer_load_dword v2, off, s[0:3], 0 offset:424
	;; [unrolled: 1-line block ×3, first 2 shown]
	s_branch .LBB126_672
.LBB126_675:
	s_or_b64 exec, exec, s[4:5]
	s_waitcnt vmcnt(0)
	v_mov_b32_e32 v3, s62
	s_barrier
	buffer_load_dword v0, v3, s[0:3], 0 offen
	buffer_load_dword v1, v3, s[0:3], 0 offen offset:4
	buffer_load_dword v2, v3, s[0:3], 0 offen offset:8
	s_nop 0
	buffer_load_dword v3, v3, s[0:3], 0 offen offset:12
	v_lshl_add_u32 v4, v19, 4, v16
	s_cmp_lt_i32 s66, 29
	s_waitcnt vmcnt(0)
	ds_write2_b64 v4, v[0:1], v[2:3] offset1:1
	s_waitcnt lgkmcnt(0)
	s_barrier
	ds_read2_b64 v[0:3], v16 offset0:54 offset1:55
	v_mov_b32_e32 v4, 27
	s_cbranch_scc1 .LBB126_678
; %bb.676:
	v_add_u32_e32 v5, 0x1c0, v16
	s_mov_b32 s16, 28
	v_mov_b32_e32 v4, 27
.LBB126_677:                            ; =>This Inner Loop Header: Depth=1
	s_waitcnt lgkmcnt(0)
	v_cmp_gt_f64_e32 vcc, 0, v[2:3]
	v_cmp_gt_f64_e64 s[4:5], 0, v[0:1]
	ds_read2_b64 v[10:13], v5 offset1:1
	v_xor_b32_e32 v21, 0x80000000, v1
	v_xor_b32_e32 v23, 0x80000000, v3
	v_mov_b32_e32 v20, v0
	v_mov_b32_e32 v22, v2
	s_waitcnt lgkmcnt(0)
	v_xor_b32_e32 v25, 0x80000000, v13
	v_cndmask_b32_e32 v23, v3, v23, vcc
	v_cndmask_b32_e64 v21, v1, v21, s[4:5]
	v_cmp_gt_f64_e32 vcc, 0, v[12:13]
	v_cmp_gt_f64_e64 s[4:5], 0, v[10:11]
	v_add_f64 v[20:21], v[20:21], v[22:23]
	v_xor_b32_e32 v23, 0x80000000, v11
	v_mov_b32_e32 v22, v10
	v_mov_b32_e32 v24, v12
	v_add_u32_e32 v5, 16, v5
	v_cndmask_b32_e32 v25, v13, v25, vcc
	v_cndmask_b32_e64 v23, v11, v23, s[4:5]
	v_add_f64 v[22:23], v[22:23], v[24:25]
	v_mov_b32_e32 v24, s16
	s_add_i32 s16, s16, 1
	s_cmp_lg_u32 s66, s16
	v_cmp_lt_f64_e32 vcc, v[20:21], v[22:23]
	v_cndmask_b32_e32 v1, v1, v11, vcc
	v_cndmask_b32_e32 v0, v0, v10, vcc
	;; [unrolled: 1-line block ×5, first 2 shown]
	s_cbranch_scc1 .LBB126_677
.LBB126_678:
	s_waitcnt lgkmcnt(0)
	v_cmp_eq_f64_e32 vcc, 0, v[0:1]
	v_cmp_eq_f64_e64 s[4:5], 0, v[2:3]
	s_and_b64 s[4:5], vcc, s[4:5]
	s_and_saveexec_b64 s[16:17], s[4:5]
	s_xor_b64 s[4:5], exec, s[16:17]
; %bb.679:
	v_cmp_ne_u32_e32 vcc, 0, v17
	v_cndmask_b32_e32 v17, 28, v17, vcc
; %bb.680:
	s_andn2_saveexec_b64 s[4:5], s[4:5]
	s_cbranch_execz .LBB126_686
; %bb.681:
	v_cmp_ngt_f64_e64 s[16:17], |v[0:1]|, |v[2:3]|
	s_and_saveexec_b64 s[18:19], s[16:17]
	s_xor_b64 s[18:19], exec, s[18:19]
	s_cbranch_execz .LBB126_683
; %bb.682:
	v_div_scale_f64 v[10:11], s[16:17], v[2:3], v[2:3], v[0:1]
	v_rcp_f64_e32 v[12:13], v[10:11]
	v_fma_f64 v[20:21], -v[10:11], v[12:13], 1.0
	v_fma_f64 v[12:13], v[12:13], v[20:21], v[12:13]
	v_div_scale_f64 v[20:21], vcc, v[0:1], v[2:3], v[0:1]
	v_fma_f64 v[22:23], -v[10:11], v[12:13], 1.0
	v_fma_f64 v[12:13], v[12:13], v[22:23], v[12:13]
	v_mul_f64 v[22:23], v[20:21], v[12:13]
	v_fma_f64 v[10:11], -v[10:11], v[22:23], v[20:21]
	v_div_fmas_f64 v[10:11], v[10:11], v[12:13], v[22:23]
	v_div_fixup_f64 v[10:11], v[10:11], v[2:3], v[0:1]
	v_fma_f64 v[0:1], v[0:1], v[10:11], v[2:3]
	v_div_scale_f64 v[2:3], s[16:17], v[0:1], v[0:1], 1.0
	v_div_scale_f64 v[22:23], vcc, 1.0, v[0:1], 1.0
	v_rcp_f64_e32 v[12:13], v[2:3]
	v_fma_f64 v[20:21], -v[2:3], v[12:13], 1.0
	v_fma_f64 v[12:13], v[12:13], v[20:21], v[12:13]
	v_fma_f64 v[20:21], -v[2:3], v[12:13], 1.0
	v_fma_f64 v[12:13], v[12:13], v[20:21], v[12:13]
	v_mul_f64 v[20:21], v[22:23], v[12:13]
	v_fma_f64 v[2:3], -v[2:3], v[20:21], v[22:23]
	v_div_fmas_f64 v[2:3], v[2:3], v[12:13], v[20:21]
	v_div_fixup_f64 v[2:3], v[2:3], v[0:1], 1.0
	v_mul_f64 v[0:1], v[10:11], v[2:3]
	v_xor_b32_e32 v3, 0x80000000, v3
.LBB126_683:
	s_andn2_saveexec_b64 s[18:19], s[18:19]
	s_cbranch_execz .LBB126_685
; %bb.684:
	v_div_scale_f64 v[10:11], s[16:17], v[0:1], v[0:1], v[2:3]
	v_rcp_f64_e32 v[12:13], v[10:11]
	v_fma_f64 v[20:21], -v[10:11], v[12:13], 1.0
	v_fma_f64 v[12:13], v[12:13], v[20:21], v[12:13]
	v_div_scale_f64 v[20:21], vcc, v[2:3], v[0:1], v[2:3]
	v_fma_f64 v[22:23], -v[10:11], v[12:13], 1.0
	v_fma_f64 v[12:13], v[12:13], v[22:23], v[12:13]
	v_mul_f64 v[22:23], v[20:21], v[12:13]
	v_fma_f64 v[10:11], -v[10:11], v[22:23], v[20:21]
	v_div_fmas_f64 v[10:11], v[10:11], v[12:13], v[22:23]
	v_div_fixup_f64 v[10:11], v[10:11], v[0:1], v[2:3]
	v_fma_f64 v[0:1], v[2:3], v[10:11], v[0:1]
	v_div_scale_f64 v[2:3], s[16:17], v[0:1], v[0:1], 1.0
	v_div_scale_f64 v[22:23], vcc, 1.0, v[0:1], 1.0
	v_rcp_f64_e32 v[12:13], v[2:3]
	v_fma_f64 v[20:21], -v[2:3], v[12:13], 1.0
	v_fma_f64 v[12:13], v[12:13], v[20:21], v[12:13]
	v_fma_f64 v[20:21], -v[2:3], v[12:13], 1.0
	v_fma_f64 v[12:13], v[12:13], v[20:21], v[12:13]
	v_mul_f64 v[20:21], v[22:23], v[12:13]
	v_fma_f64 v[2:3], -v[2:3], v[20:21], v[22:23]
	v_div_fmas_f64 v[2:3], v[2:3], v[12:13], v[20:21]
	v_div_fixup_f64 v[0:1], v[2:3], v[0:1], 1.0
	v_mul_f64 v[2:3], v[10:11], -v[0:1]
.LBB126_685:
	s_or_b64 exec, exec, s[18:19]
.LBB126_686:
	s_or_b64 exec, exec, s[4:5]
	v_cmp_ne_u32_e32 vcc, v19, v4
	s_and_saveexec_b64 s[4:5], vcc
	s_xor_b64 s[4:5], exec, s[4:5]
	s_cbranch_execz .LBB126_692
; %bb.687:
	v_cmp_eq_u32_e32 vcc, 27, v19
	s_and_saveexec_b64 s[18:19], vcc
	s_cbranch_execz .LBB126_691
; %bb.688:
	v_cmp_ne_u32_e32 vcc, 27, v4
	s_xor_b64 s[16:17], s[10:11], -1
	s_and_b64 s[16:17], s[16:17], vcc
	s_and_saveexec_b64 s[24:25], s[16:17]
	s_cbranch_execz .LBB126_690
; %bb.689:
	v_ashrrev_i32_e32 v5, 31, v4
	v_lshlrev_b64 v[10:11], 2, v[4:5]
	v_add_co_u32_e32 v10, vcc, v8, v10
	v_addc_co_u32_e32 v11, vcc, v9, v11, vcc
	global_load_dword v5, v[10:11], off
	global_load_dword v12, v[8:9], off offset:108
	s_waitcnt vmcnt(1)
	global_store_dword v[8:9], v5, off offset:108
	s_waitcnt vmcnt(1)
	global_store_dword v[10:11], v12, off
.LBB126_690:
	s_or_b64 exec, exec, s[24:25]
	v_mov_b32_e32 v19, v4
	v_mov_b32_e32 v18, v4
.LBB126_691:
	s_or_b64 exec, exec, s[18:19]
.LBB126_692:
	s_andn2_saveexec_b64 s[4:5], s[4:5]
	s_cbranch_execz .LBB126_694
; %bb.693:
	v_mov_b32_e32 v11, s61
	buffer_load_dword v4, v11, s[0:3], 0 offen
	buffer_load_dword v5, v11, s[0:3], 0 offen offset:4
	buffer_load_dword v10, v11, s[0:3], 0 offen offset:8
	s_nop 0
	buffer_load_dword v11, v11, s[0:3], 0 offen offset:12
	v_mov_b32_e32 v19, 27
	s_waitcnt vmcnt(0)
	ds_write2_b64 v16, v[4:5], v[10:11] offset0:56 offset1:57
	v_mov_b32_e32 v11, s60
	buffer_load_dword v4, v11, s[0:3], 0 offen
	buffer_load_dword v5, v11, s[0:3], 0 offen offset:4
	buffer_load_dword v10, v11, s[0:3], 0 offen offset:8
	s_nop 0
	buffer_load_dword v11, v11, s[0:3], 0 offen offset:12
	s_waitcnt vmcnt(0)
	ds_write2_b64 v16, v[4:5], v[10:11] offset0:58 offset1:59
	v_mov_b32_e32 v11, s59
	buffer_load_dword v4, v11, s[0:3], 0 offen
	buffer_load_dword v5, v11, s[0:3], 0 offen offset:4
	buffer_load_dword v10, v11, s[0:3], 0 offen offset:8
	s_nop 0
	buffer_load_dword v11, v11, s[0:3], 0 offen offset:12
	;; [unrolled: 8-line block ×35, first 2 shown]
	s_waitcnt vmcnt(0)
	ds_write2_b64 v16, v[4:5], v[10:11] offset0:126 offset1:127
.LBB126_694:
	s_or_b64 exec, exec, s[4:5]
	v_cmp_lt_i32_e32 vcc, 27, v19
	s_waitcnt vmcnt(0) lgkmcnt(0)
	s_barrier
	s_and_saveexec_b64 s[4:5], vcc
	s_cbranch_execz .LBB126_697
; %bb.695:
	buffer_load_dword v4, off, s[0:3], 0 offset:440
	buffer_load_dword v5, off, s[0:3], 0 offset:444
	buffer_load_dword v10, off, s[0:3], 0 offset:432
	buffer_load_dword v11, off, s[0:3], 0 offset:436
	s_movk_i32 s18, 0x1c0
	s_waitcnt vmcnt(2)
	v_mul_f64 v[12:13], v[2:3], v[4:5]
	v_mul_f64 v[4:5], v[0:1], v[4:5]
	s_waitcnt vmcnt(0)
	v_fma_f64 v[0:1], v[0:1], v[10:11], -v[12:13]
	v_fma_f64 v[2:3], v[2:3], v[10:11], v[4:5]
	buffer_store_dword v0, off, s[0:3], 0 offset:432
	buffer_store_dword v1, off, s[0:3], 0 offset:436
	;; [unrolled: 1-line block ×4, first 2 shown]
.LBB126_696:                            ; =>This Inner Loop Header: Depth=1
	buffer_load_dword v4, off, s[0:3], 0 offset:440
	buffer_load_dword v5, off, s[0:3], 0 offset:444
	;; [unrolled: 1-line block ×4, first 2 shown]
	v_mov_b32_e32 v32, s18
	buffer_load_dword v22, v32, s[0:3], 0 offen
	buffer_load_dword v23, v32, s[0:3], 0 offen offset:4
	buffer_load_dword v24, v32, s[0:3], 0 offen offset:8
	;; [unrolled: 1-line block ×3, first 2 shown]
	v_add_u32_e32 v33, s18, v16
	ds_read2_b64 v[0:3], v33 offset1:1
	buffer_load_dword v26, v32, s[0:3], 0 offen offset:16
	buffer_load_dword v27, v32, s[0:3], 0 offen offset:20
	;; [unrolled: 1-line block ×4, first 2 shown]
	ds_read2_b64 v[10:13], v33 offset0:2 offset1:3
	s_addk_i32 s18, 0x60
	s_cmpk_lg_i32 s18, 0x400
	s_waitcnt vmcnt(10) lgkmcnt(1)
	v_mul_f64 v[30:31], v[2:3], v[4:5]
	v_mul_f64 v[4:5], v[0:1], v[4:5]
	s_waitcnt vmcnt(8)
	v_fma_f64 v[0:1], v[0:1], v[20:21], -v[30:31]
	v_fma_f64 v[2:3], v[2:3], v[20:21], v[4:5]
	s_waitcnt vmcnt(6)
	v_add_f64 v[0:1], v[22:23], -v[0:1]
	s_waitcnt vmcnt(4)
	v_add_f64 v[2:3], v[24:25], -v[2:3]
	buffer_store_dword v1, v32, s[0:3], 0 offen offset:4
	buffer_store_dword v0, v32, s[0:3], 0 offen
	buffer_store_dword v3, v32, s[0:3], 0 offen offset:12
	buffer_store_dword v2, v32, s[0:3], 0 offen offset:8
	buffer_load_dword v1, off, s[0:3], 0 offset:444
	s_nop 0
	buffer_load_dword v0, off, s[0:3], 0 offset:440
	buffer_load_dword v3, off, s[0:3], 0 offset:436
	buffer_load_dword v2, off, s[0:3], 0 offset:432
	buffer_load_dword v4, v32, s[0:3], 0 offen offset:32
	buffer_load_dword v5, v32, s[0:3], 0 offen offset:36
	;; [unrolled: 1-line block ×4, first 2 shown]
	s_waitcnt vmcnt(6) lgkmcnt(0)
	v_mul_f64 v[22:23], v[12:13], v[0:1]
	v_mul_f64 v[0:1], v[10:11], v[0:1]
	s_waitcnt vmcnt(4)
	v_fma_f64 v[10:11], v[10:11], v[2:3], -v[22:23]
	v_fma_f64 v[0:1], v[12:13], v[2:3], v[0:1]
	v_add_f64 v[2:3], v[26:27], -v[10:11]
	v_add_f64 v[0:1], v[28:29], -v[0:1]
	buffer_store_dword v3, v32, s[0:3], 0 offen offset:20
	buffer_store_dword v2, v32, s[0:3], 0 offen offset:16
	;; [unrolled: 1-line block ×4, first 2 shown]
	buffer_load_dword v22, off, s[0:3], 0 offset:440
	buffer_load_dword v23, off, s[0:3], 0 offset:444
	;; [unrolled: 1-line block ×4, first 2 shown]
	ds_read2_b64 v[0:3], v33 offset0:4 offset1:5
	ds_read2_b64 v[10:13], v33 offset0:6 offset1:7
	s_waitcnt vmcnt(2) lgkmcnt(1)
	v_mul_f64 v[26:27], v[2:3], v[22:23]
	v_mul_f64 v[22:23], v[0:1], v[22:23]
	s_waitcnt vmcnt(0)
	v_fma_f64 v[0:1], v[0:1], v[24:25], -v[26:27]
	v_fma_f64 v[2:3], v[2:3], v[24:25], v[22:23]
	v_add_f64 v[0:1], v[4:5], -v[0:1]
	v_add_f64 v[2:3], v[20:21], -v[2:3]
	buffer_store_dword v1, v32, s[0:3], 0 offen offset:36
	buffer_store_dword v0, v32, s[0:3], 0 offen offset:32
	;; [unrolled: 1-line block ×4, first 2 shown]
	buffer_load_dword v0, off, s[0:3], 0 offset:440
	s_nop 0
	buffer_load_dword v1, off, s[0:3], 0 offset:444
	buffer_load_dword v2, off, s[0:3], 0 offset:432
	;; [unrolled: 1-line block ×3, first 2 shown]
	buffer_load_dword v4, v32, s[0:3], 0 offen offset:48
	buffer_load_dword v5, v32, s[0:3], 0 offen offset:52
	;; [unrolled: 1-line block ×4, first 2 shown]
	s_waitcnt vmcnt(6) lgkmcnt(0)
	v_mul_f64 v[22:23], v[12:13], v[0:1]
	v_mul_f64 v[0:1], v[10:11], v[0:1]
	s_waitcnt vmcnt(4)
	v_fma_f64 v[10:11], v[10:11], v[2:3], -v[22:23]
	v_fma_f64 v[0:1], v[12:13], v[2:3], v[0:1]
	s_waitcnt vmcnt(2)
	v_add_f64 v[2:3], v[4:5], -v[10:11]
	s_waitcnt vmcnt(0)
	v_add_f64 v[0:1], v[20:21], -v[0:1]
	buffer_store_dword v3, v32, s[0:3], 0 offen offset:52
	buffer_store_dword v2, v32, s[0:3], 0 offen offset:48
	;; [unrolled: 1-line block ×4, first 2 shown]
	buffer_load_dword v4, off, s[0:3], 0 offset:440
	buffer_load_dword v5, off, s[0:3], 0 offset:444
	;; [unrolled: 1-line block ×4, first 2 shown]
	buffer_load_dword v22, v32, s[0:3], 0 offen offset:64
	buffer_load_dword v23, v32, s[0:3], 0 offen offset:68
	;; [unrolled: 1-line block ×4, first 2 shown]
	ds_read2_b64 v[0:3], v33 offset0:8 offset1:9
	ds_read2_b64 v[10:13], v33 offset0:10 offset1:11
	s_waitcnt vmcnt(6) lgkmcnt(1)
	v_mul_f64 v[26:27], v[2:3], v[4:5]
	v_mul_f64 v[4:5], v[0:1], v[4:5]
	s_waitcnt vmcnt(4)
	v_fma_f64 v[0:1], v[0:1], v[20:21], -v[26:27]
	v_fma_f64 v[2:3], v[2:3], v[20:21], v[4:5]
	s_waitcnt vmcnt(2)
	v_add_f64 v[0:1], v[22:23], -v[0:1]
	s_waitcnt vmcnt(0)
	v_add_f64 v[2:3], v[24:25], -v[2:3]
	buffer_store_dword v1, v32, s[0:3], 0 offen offset:68
	buffer_store_dword v0, v32, s[0:3], 0 offen offset:64
	;; [unrolled: 1-line block ×4, first 2 shown]
	buffer_load_dword v0, off, s[0:3], 0 offset:440
	s_nop 0
	buffer_load_dword v1, off, s[0:3], 0 offset:444
	buffer_load_dword v2, off, s[0:3], 0 offset:432
	;; [unrolled: 1-line block ×3, first 2 shown]
	buffer_load_dword v4, v32, s[0:3], 0 offen offset:80
	buffer_load_dword v5, v32, s[0:3], 0 offen offset:84
	;; [unrolled: 1-line block ×4, first 2 shown]
	s_waitcnt vmcnt(6) lgkmcnt(0)
	v_mul_f64 v[22:23], v[12:13], v[0:1]
	v_mul_f64 v[0:1], v[10:11], v[0:1]
	s_waitcnt vmcnt(4)
	v_fma_f64 v[10:11], v[10:11], v[2:3], -v[22:23]
	v_fma_f64 v[0:1], v[12:13], v[2:3], v[0:1]
	s_waitcnt vmcnt(2)
	v_add_f64 v[2:3], v[4:5], -v[10:11]
	s_waitcnt vmcnt(0)
	v_add_f64 v[0:1], v[20:21], -v[0:1]
	buffer_store_dword v3, v32, s[0:3], 0 offen offset:84
	buffer_store_dword v2, v32, s[0:3], 0 offen offset:80
	;; [unrolled: 1-line block ×4, first 2 shown]
	s_cbranch_scc1 .LBB126_696
.LBB126_697:
	s_or_b64 exec, exec, s[4:5]
	v_mov_b32_e32 v3, s61
	s_waitcnt vmcnt(0)
	s_barrier
	buffer_load_dword v0, v3, s[0:3], 0 offen
	buffer_load_dword v1, v3, s[0:3], 0 offen offset:4
	buffer_load_dword v2, v3, s[0:3], 0 offen offset:8
	s_nop 0
	buffer_load_dword v3, v3, s[0:3], 0 offen offset:12
	v_lshl_add_u32 v4, v19, 4, v16
	s_cmp_lt_i32 s66, 30
	s_waitcnt vmcnt(0)
	ds_write2_b64 v4, v[0:1], v[2:3] offset1:1
	s_waitcnt lgkmcnt(0)
	s_barrier
	ds_read2_b64 v[0:3], v16 offset0:56 offset1:57
	v_mov_b32_e32 v4, 28
	s_cbranch_scc1 .LBB126_700
; %bb.698:
	v_add_u32_e32 v5, 0x1d0, v16
	s_mov_b32 s16, 29
	v_mov_b32_e32 v4, 28
.LBB126_699:                            ; =>This Inner Loop Header: Depth=1
	s_waitcnt lgkmcnt(0)
	v_cmp_gt_f64_e32 vcc, 0, v[2:3]
	v_cmp_gt_f64_e64 s[4:5], 0, v[0:1]
	ds_read2_b64 v[10:13], v5 offset1:1
	v_xor_b32_e32 v21, 0x80000000, v1
	v_xor_b32_e32 v23, 0x80000000, v3
	v_mov_b32_e32 v20, v0
	v_mov_b32_e32 v22, v2
	s_waitcnt lgkmcnt(0)
	v_xor_b32_e32 v25, 0x80000000, v13
	v_cndmask_b32_e32 v23, v3, v23, vcc
	v_cndmask_b32_e64 v21, v1, v21, s[4:5]
	v_cmp_gt_f64_e32 vcc, 0, v[12:13]
	v_cmp_gt_f64_e64 s[4:5], 0, v[10:11]
	v_add_f64 v[20:21], v[20:21], v[22:23]
	v_xor_b32_e32 v23, 0x80000000, v11
	v_mov_b32_e32 v22, v10
	v_mov_b32_e32 v24, v12
	v_add_u32_e32 v5, 16, v5
	v_cndmask_b32_e32 v25, v13, v25, vcc
	v_cndmask_b32_e64 v23, v11, v23, s[4:5]
	v_add_f64 v[22:23], v[22:23], v[24:25]
	v_mov_b32_e32 v24, s16
	s_add_i32 s16, s16, 1
	s_cmp_lg_u32 s66, s16
	v_cmp_lt_f64_e32 vcc, v[20:21], v[22:23]
	v_cndmask_b32_e32 v1, v1, v11, vcc
	v_cndmask_b32_e32 v0, v0, v10, vcc
	;; [unrolled: 1-line block ×5, first 2 shown]
	s_cbranch_scc1 .LBB126_699
.LBB126_700:
	s_waitcnt lgkmcnt(0)
	v_cmp_eq_f64_e32 vcc, 0, v[0:1]
	v_cmp_eq_f64_e64 s[4:5], 0, v[2:3]
	s_and_b64 s[4:5], vcc, s[4:5]
	s_and_saveexec_b64 s[16:17], s[4:5]
	s_xor_b64 s[4:5], exec, s[16:17]
; %bb.701:
	v_cmp_ne_u32_e32 vcc, 0, v17
	v_cndmask_b32_e32 v17, 29, v17, vcc
; %bb.702:
	s_andn2_saveexec_b64 s[4:5], s[4:5]
	s_cbranch_execz .LBB126_708
; %bb.703:
	v_cmp_ngt_f64_e64 s[16:17], |v[0:1]|, |v[2:3]|
	s_and_saveexec_b64 s[18:19], s[16:17]
	s_xor_b64 s[18:19], exec, s[18:19]
	s_cbranch_execz .LBB126_705
; %bb.704:
	v_div_scale_f64 v[10:11], s[16:17], v[2:3], v[2:3], v[0:1]
	v_rcp_f64_e32 v[12:13], v[10:11]
	v_fma_f64 v[20:21], -v[10:11], v[12:13], 1.0
	v_fma_f64 v[12:13], v[12:13], v[20:21], v[12:13]
	v_div_scale_f64 v[20:21], vcc, v[0:1], v[2:3], v[0:1]
	v_fma_f64 v[22:23], -v[10:11], v[12:13], 1.0
	v_fma_f64 v[12:13], v[12:13], v[22:23], v[12:13]
	v_mul_f64 v[22:23], v[20:21], v[12:13]
	v_fma_f64 v[10:11], -v[10:11], v[22:23], v[20:21]
	v_div_fmas_f64 v[10:11], v[10:11], v[12:13], v[22:23]
	v_div_fixup_f64 v[10:11], v[10:11], v[2:3], v[0:1]
	v_fma_f64 v[0:1], v[0:1], v[10:11], v[2:3]
	v_div_scale_f64 v[2:3], s[16:17], v[0:1], v[0:1], 1.0
	v_div_scale_f64 v[22:23], vcc, 1.0, v[0:1], 1.0
	v_rcp_f64_e32 v[12:13], v[2:3]
	v_fma_f64 v[20:21], -v[2:3], v[12:13], 1.0
	v_fma_f64 v[12:13], v[12:13], v[20:21], v[12:13]
	v_fma_f64 v[20:21], -v[2:3], v[12:13], 1.0
	v_fma_f64 v[12:13], v[12:13], v[20:21], v[12:13]
	v_mul_f64 v[20:21], v[22:23], v[12:13]
	v_fma_f64 v[2:3], -v[2:3], v[20:21], v[22:23]
	v_div_fmas_f64 v[2:3], v[2:3], v[12:13], v[20:21]
	v_div_fixup_f64 v[2:3], v[2:3], v[0:1], 1.0
	v_mul_f64 v[0:1], v[10:11], v[2:3]
	v_xor_b32_e32 v3, 0x80000000, v3
.LBB126_705:
	s_andn2_saveexec_b64 s[18:19], s[18:19]
	s_cbranch_execz .LBB126_707
; %bb.706:
	v_div_scale_f64 v[10:11], s[16:17], v[0:1], v[0:1], v[2:3]
	v_rcp_f64_e32 v[12:13], v[10:11]
	v_fma_f64 v[20:21], -v[10:11], v[12:13], 1.0
	v_fma_f64 v[12:13], v[12:13], v[20:21], v[12:13]
	v_div_scale_f64 v[20:21], vcc, v[2:3], v[0:1], v[2:3]
	v_fma_f64 v[22:23], -v[10:11], v[12:13], 1.0
	v_fma_f64 v[12:13], v[12:13], v[22:23], v[12:13]
	v_mul_f64 v[22:23], v[20:21], v[12:13]
	v_fma_f64 v[10:11], -v[10:11], v[22:23], v[20:21]
	v_div_fmas_f64 v[10:11], v[10:11], v[12:13], v[22:23]
	v_div_fixup_f64 v[10:11], v[10:11], v[0:1], v[2:3]
	v_fma_f64 v[0:1], v[2:3], v[10:11], v[0:1]
	v_div_scale_f64 v[2:3], s[16:17], v[0:1], v[0:1], 1.0
	v_div_scale_f64 v[22:23], vcc, 1.0, v[0:1], 1.0
	v_rcp_f64_e32 v[12:13], v[2:3]
	v_fma_f64 v[20:21], -v[2:3], v[12:13], 1.0
	v_fma_f64 v[12:13], v[12:13], v[20:21], v[12:13]
	v_fma_f64 v[20:21], -v[2:3], v[12:13], 1.0
	v_fma_f64 v[12:13], v[12:13], v[20:21], v[12:13]
	v_mul_f64 v[20:21], v[22:23], v[12:13]
	v_fma_f64 v[2:3], -v[2:3], v[20:21], v[22:23]
	v_div_fmas_f64 v[2:3], v[2:3], v[12:13], v[20:21]
	v_div_fixup_f64 v[0:1], v[2:3], v[0:1], 1.0
	v_mul_f64 v[2:3], v[10:11], -v[0:1]
.LBB126_707:
	s_or_b64 exec, exec, s[18:19]
.LBB126_708:
	s_or_b64 exec, exec, s[4:5]
	v_cmp_ne_u32_e32 vcc, v19, v4
	s_and_saveexec_b64 s[4:5], vcc
	s_xor_b64 s[4:5], exec, s[4:5]
	s_cbranch_execz .LBB126_714
; %bb.709:
	v_cmp_eq_u32_e32 vcc, 28, v19
	s_and_saveexec_b64 s[18:19], vcc
	s_cbranch_execz .LBB126_713
; %bb.710:
	v_cmp_ne_u32_e32 vcc, 28, v4
	s_xor_b64 s[16:17], s[10:11], -1
	s_and_b64 s[16:17], s[16:17], vcc
	s_and_saveexec_b64 s[24:25], s[16:17]
	s_cbranch_execz .LBB126_712
; %bb.711:
	v_ashrrev_i32_e32 v5, 31, v4
	v_lshlrev_b64 v[10:11], 2, v[4:5]
	v_add_co_u32_e32 v10, vcc, v8, v10
	v_addc_co_u32_e32 v11, vcc, v9, v11, vcc
	global_load_dword v5, v[10:11], off
	global_load_dword v12, v[8:9], off offset:112
	s_waitcnt vmcnt(1)
	global_store_dword v[8:9], v5, off offset:112
	s_waitcnt vmcnt(1)
	global_store_dword v[10:11], v12, off
.LBB126_712:
	s_or_b64 exec, exec, s[24:25]
	v_mov_b32_e32 v19, v4
	v_mov_b32_e32 v18, v4
.LBB126_713:
	s_or_b64 exec, exec, s[18:19]
.LBB126_714:
	s_andn2_saveexec_b64 s[4:5], s[4:5]
	s_cbranch_execz .LBB126_716
; %bb.715:
	v_mov_b32_e32 v11, s60
	buffer_load_dword v4, v11, s[0:3], 0 offen
	buffer_load_dword v5, v11, s[0:3], 0 offen offset:4
	buffer_load_dword v10, v11, s[0:3], 0 offen offset:8
	s_nop 0
	buffer_load_dword v11, v11, s[0:3], 0 offen offset:12
	v_mov_b32_e32 v19, 28
	s_waitcnt vmcnt(0)
	ds_write2_b64 v16, v[4:5], v[10:11] offset0:58 offset1:59
	v_mov_b32_e32 v11, s59
	buffer_load_dword v4, v11, s[0:3], 0 offen
	buffer_load_dword v5, v11, s[0:3], 0 offen offset:4
	buffer_load_dword v10, v11, s[0:3], 0 offen offset:8
	s_nop 0
	buffer_load_dword v11, v11, s[0:3], 0 offen offset:12
	s_waitcnt vmcnt(0)
	ds_write2_b64 v16, v[4:5], v[10:11] offset0:60 offset1:61
	v_mov_b32_e32 v11, s58
	buffer_load_dword v4, v11, s[0:3], 0 offen
	buffer_load_dword v5, v11, s[0:3], 0 offen offset:4
	buffer_load_dword v10, v11, s[0:3], 0 offen offset:8
	s_nop 0
	buffer_load_dword v11, v11, s[0:3], 0 offen offset:12
	;; [unrolled: 8-line block ×34, first 2 shown]
	s_waitcnt vmcnt(0)
	ds_write2_b64 v16, v[4:5], v[10:11] offset0:126 offset1:127
.LBB126_716:
	s_or_b64 exec, exec, s[4:5]
	v_cmp_lt_i32_e32 vcc, 28, v19
	s_waitcnt vmcnt(0) lgkmcnt(0)
	s_barrier
	s_and_saveexec_b64 s[4:5], vcc
	s_cbranch_execz .LBB126_719
; %bb.717:
	buffer_load_dword v4, off, s[0:3], 0 offset:456
	buffer_load_dword v5, off, s[0:3], 0 offset:460
	;; [unrolled: 1-line block ×4, first 2 shown]
	s_movk_i32 s18, 0x1d0
	s_waitcnt vmcnt(2)
	v_mul_f64 v[12:13], v[2:3], v[4:5]
	v_mul_f64 v[4:5], v[0:1], v[4:5]
	s_waitcnt vmcnt(0)
	v_fma_f64 v[0:1], v[0:1], v[10:11], -v[12:13]
	v_fma_f64 v[2:3], v[2:3], v[10:11], v[4:5]
	buffer_store_dword v0, off, s[0:3], 0 offset:448
	buffer_store_dword v1, off, s[0:3], 0 offset:452
	;; [unrolled: 1-line block ×4, first 2 shown]
.LBB126_718:                            ; =>This Inner Loop Header: Depth=1
	buffer_load_dword v20, off, s[0:3], 0 offset:456
	buffer_load_dword v21, off, s[0:3], 0 offset:460
	;; [unrolled: 1-line block ×4, first 2 shown]
	v_mov_b32_e32 v0, s18
	buffer_load_dword v24, v0, s[0:3], 0 offen
	buffer_load_dword v25, v0, s[0:3], 0 offen offset:4
	buffer_load_dword v26, v0, s[0:3], 0 offen offset:8
	;; [unrolled: 1-line block ×3, first 2 shown]
	v_add_u32_e32 v5, s18, v16
	ds_read2_b64 v[1:4], v5 offset1:1
	buffer_load_dword v28, v0, s[0:3], 0 offen offset:16
	buffer_load_dword v29, v0, s[0:3], 0 offen offset:20
	;; [unrolled: 1-line block ×4, first 2 shown]
	ds_read2_b64 v[10:13], v5 offset0:2 offset1:3
	s_addk_i32 s18, 0x70
	s_cmpk_lg_i32 s18, 0x400
	s_waitcnt vmcnt(10) lgkmcnt(1)
	v_mul_f64 v[32:33], v[3:4], v[20:21]
	v_mul_f64 v[20:21], v[1:2], v[20:21]
	s_waitcnt vmcnt(8)
	v_fma_f64 v[1:2], v[1:2], v[22:23], -v[32:33]
	v_fma_f64 v[3:4], v[3:4], v[22:23], v[20:21]
	s_waitcnt vmcnt(6)
	v_add_f64 v[1:2], v[24:25], -v[1:2]
	s_waitcnt vmcnt(4)
	v_add_f64 v[3:4], v[26:27], -v[3:4]
	buffer_store_dword v2, v0, s[0:3], 0 offen offset:4
	buffer_store_dword v1, v0, s[0:3], 0 offen
	buffer_store_dword v4, v0, s[0:3], 0 offen offset:12
	buffer_store_dword v3, v0, s[0:3], 0 offen offset:8
	buffer_load_dword v2, off, s[0:3], 0 offset:460
	s_nop 0
	buffer_load_dword v1, off, s[0:3], 0 offset:456
	buffer_load_dword v4, off, s[0:3], 0 offset:452
	;; [unrolled: 1-line block ×3, first 2 shown]
	buffer_load_dword v20, v0, s[0:3], 0 offen offset:32
	buffer_load_dword v21, v0, s[0:3], 0 offen offset:36
	;; [unrolled: 1-line block ×4, first 2 shown]
	s_waitcnt vmcnt(6) lgkmcnt(0)
	v_mul_f64 v[24:25], v[12:13], v[1:2]
	v_mul_f64 v[1:2], v[10:11], v[1:2]
	s_waitcnt vmcnt(4)
	v_fma_f64 v[10:11], v[10:11], v[3:4], -v[24:25]
	v_fma_f64 v[1:2], v[12:13], v[3:4], v[1:2]
	v_add_f64 v[3:4], v[28:29], -v[10:11]
	v_add_f64 v[1:2], v[30:31], -v[1:2]
	buffer_store_dword v4, v0, s[0:3], 0 offen offset:20
	buffer_store_dword v3, v0, s[0:3], 0 offen offset:16
	;; [unrolled: 1-line block ×4, first 2 shown]
	buffer_load_dword v24, off, s[0:3], 0 offset:456
	buffer_load_dword v25, off, s[0:3], 0 offset:460
	;; [unrolled: 1-line block ×4, first 2 shown]
	ds_read2_b64 v[1:4], v5 offset0:4 offset1:5
	ds_read2_b64 v[10:13], v5 offset0:6 offset1:7
	s_waitcnt vmcnt(2) lgkmcnt(1)
	v_mul_f64 v[28:29], v[3:4], v[24:25]
	v_mul_f64 v[24:25], v[1:2], v[24:25]
	s_waitcnt vmcnt(0)
	v_fma_f64 v[1:2], v[1:2], v[26:27], -v[28:29]
	v_fma_f64 v[3:4], v[3:4], v[26:27], v[24:25]
	v_add_f64 v[1:2], v[20:21], -v[1:2]
	v_add_f64 v[3:4], v[22:23], -v[3:4]
	buffer_store_dword v2, v0, s[0:3], 0 offen offset:36
	buffer_store_dword v1, v0, s[0:3], 0 offen offset:32
	;; [unrolled: 1-line block ×4, first 2 shown]
	buffer_load_dword v1, off, s[0:3], 0 offset:456
	s_nop 0
	buffer_load_dword v2, off, s[0:3], 0 offset:460
	buffer_load_dword v3, off, s[0:3], 0 offset:448
	;; [unrolled: 1-line block ×3, first 2 shown]
	buffer_load_dword v20, v0, s[0:3], 0 offen offset:48
	buffer_load_dword v21, v0, s[0:3], 0 offen offset:52
	;; [unrolled: 1-line block ×4, first 2 shown]
	s_waitcnt vmcnt(6) lgkmcnt(0)
	v_mul_f64 v[24:25], v[12:13], v[1:2]
	v_mul_f64 v[1:2], v[10:11], v[1:2]
	s_waitcnt vmcnt(4)
	v_fma_f64 v[10:11], v[10:11], v[3:4], -v[24:25]
	v_fma_f64 v[1:2], v[12:13], v[3:4], v[1:2]
	s_waitcnt vmcnt(2)
	v_add_f64 v[3:4], v[20:21], -v[10:11]
	s_waitcnt vmcnt(0)
	v_add_f64 v[1:2], v[22:23], -v[1:2]
	buffer_store_dword v4, v0, s[0:3], 0 offen offset:52
	buffer_store_dword v3, v0, s[0:3], 0 offen offset:48
	buffer_store_dword v2, v0, s[0:3], 0 offen offset:60
	buffer_store_dword v1, v0, s[0:3], 0 offen offset:56
	buffer_load_dword v20, off, s[0:3], 0 offset:456
	buffer_load_dword v21, off, s[0:3], 0 offset:460
	;; [unrolled: 1-line block ×4, first 2 shown]
	buffer_load_dword v24, v0, s[0:3], 0 offen offset:64
	buffer_load_dword v25, v0, s[0:3], 0 offen offset:68
	;; [unrolled: 1-line block ×4, first 2 shown]
	ds_read2_b64 v[1:4], v5 offset0:8 offset1:9
	ds_read2_b64 v[10:13], v5 offset0:10 offset1:11
	s_waitcnt vmcnt(6) lgkmcnt(1)
	v_mul_f64 v[28:29], v[3:4], v[20:21]
	v_mul_f64 v[20:21], v[1:2], v[20:21]
	s_waitcnt vmcnt(4)
	v_fma_f64 v[1:2], v[1:2], v[22:23], -v[28:29]
	v_fma_f64 v[3:4], v[3:4], v[22:23], v[20:21]
	s_waitcnt vmcnt(2)
	v_add_f64 v[1:2], v[24:25], -v[1:2]
	s_waitcnt vmcnt(0)
	v_add_f64 v[3:4], v[26:27], -v[3:4]
	buffer_store_dword v2, v0, s[0:3], 0 offen offset:68
	buffer_store_dword v1, v0, s[0:3], 0 offen offset:64
	buffer_store_dword v4, v0, s[0:3], 0 offen offset:76
	buffer_store_dword v3, v0, s[0:3], 0 offen offset:72
	buffer_load_dword v1, off, s[0:3], 0 offset:456
	s_nop 0
	buffer_load_dword v2, off, s[0:3], 0 offset:460
	buffer_load_dword v3, off, s[0:3], 0 offset:448
	;; [unrolled: 1-line block ×3, first 2 shown]
	buffer_load_dword v20, v0, s[0:3], 0 offen offset:80
	buffer_load_dword v21, v0, s[0:3], 0 offen offset:84
	;; [unrolled: 1-line block ×4, first 2 shown]
	s_waitcnt vmcnt(6) lgkmcnt(0)
	v_mul_f64 v[24:25], v[12:13], v[1:2]
	v_mul_f64 v[1:2], v[10:11], v[1:2]
	s_waitcnt vmcnt(4)
	v_fma_f64 v[10:11], v[10:11], v[3:4], -v[24:25]
	v_fma_f64 v[1:2], v[12:13], v[3:4], v[1:2]
	s_waitcnt vmcnt(2)
	v_add_f64 v[3:4], v[20:21], -v[10:11]
	s_waitcnt vmcnt(0)
	v_add_f64 v[1:2], v[22:23], -v[1:2]
	buffer_store_dword v4, v0, s[0:3], 0 offen offset:84
	buffer_store_dword v3, v0, s[0:3], 0 offen offset:80
	;; [unrolled: 1-line block ×4, first 2 shown]
	buffer_load_dword v10, off, s[0:3], 0 offset:456
	buffer_load_dword v11, off, s[0:3], 0 offset:460
	;; [unrolled: 1-line block ×4, first 2 shown]
	buffer_load_dword v20, v0, s[0:3], 0 offen offset:96
	buffer_load_dword v21, v0, s[0:3], 0 offen offset:100
	;; [unrolled: 1-line block ×4, first 2 shown]
	ds_read2_b64 v[1:4], v5 offset0:12 offset1:13
	s_waitcnt vmcnt(6) lgkmcnt(0)
	v_mul_f64 v[24:25], v[3:4], v[10:11]
	v_mul_f64 v[10:11], v[1:2], v[10:11]
	s_waitcnt vmcnt(4)
	v_fma_f64 v[1:2], v[1:2], v[12:13], -v[24:25]
	v_fma_f64 v[3:4], v[3:4], v[12:13], v[10:11]
	s_waitcnt vmcnt(2)
	v_add_f64 v[1:2], v[20:21], -v[1:2]
	s_waitcnt vmcnt(0)
	v_add_f64 v[3:4], v[22:23], -v[3:4]
	buffer_store_dword v2, v0, s[0:3], 0 offen offset:100
	buffer_store_dword v1, v0, s[0:3], 0 offen offset:96
	buffer_store_dword v4, v0, s[0:3], 0 offen offset:108
	buffer_store_dword v3, v0, s[0:3], 0 offen offset:104
	s_cbranch_scc1 .LBB126_718
.LBB126_719:
	s_or_b64 exec, exec, s[4:5]
	v_mov_b32_e32 v3, s60
	s_waitcnt vmcnt(0)
	s_barrier
	buffer_load_dword v0, v3, s[0:3], 0 offen
	buffer_load_dword v1, v3, s[0:3], 0 offen offset:4
	buffer_load_dword v2, v3, s[0:3], 0 offen offset:8
	s_nop 0
	buffer_load_dword v3, v3, s[0:3], 0 offen offset:12
	v_lshl_add_u32 v4, v19, 4, v16
	s_cmp_lt_i32 s66, 31
	s_waitcnt vmcnt(0)
	ds_write2_b64 v4, v[0:1], v[2:3] offset1:1
	s_waitcnt lgkmcnt(0)
	s_barrier
	ds_read2_b64 v[0:3], v16 offset0:58 offset1:59
	v_mov_b32_e32 v4, 29
	s_cbranch_scc1 .LBB126_722
; %bb.720:
	v_add_u32_e32 v5, 0x1e0, v16
	s_mov_b32 s16, 30
	v_mov_b32_e32 v4, 29
.LBB126_721:                            ; =>This Inner Loop Header: Depth=1
	s_waitcnt lgkmcnt(0)
	v_cmp_gt_f64_e32 vcc, 0, v[2:3]
	v_cmp_gt_f64_e64 s[4:5], 0, v[0:1]
	ds_read2_b64 v[10:13], v5 offset1:1
	v_xor_b32_e32 v21, 0x80000000, v1
	v_xor_b32_e32 v23, 0x80000000, v3
	v_mov_b32_e32 v20, v0
	v_mov_b32_e32 v22, v2
	s_waitcnt lgkmcnt(0)
	v_xor_b32_e32 v25, 0x80000000, v13
	v_cndmask_b32_e32 v23, v3, v23, vcc
	v_cndmask_b32_e64 v21, v1, v21, s[4:5]
	v_cmp_gt_f64_e32 vcc, 0, v[12:13]
	v_cmp_gt_f64_e64 s[4:5], 0, v[10:11]
	v_add_f64 v[20:21], v[20:21], v[22:23]
	v_xor_b32_e32 v23, 0x80000000, v11
	v_mov_b32_e32 v22, v10
	v_mov_b32_e32 v24, v12
	v_add_u32_e32 v5, 16, v5
	v_cndmask_b32_e32 v25, v13, v25, vcc
	v_cndmask_b32_e64 v23, v11, v23, s[4:5]
	v_add_f64 v[22:23], v[22:23], v[24:25]
	v_mov_b32_e32 v24, s16
	s_add_i32 s16, s16, 1
	s_cmp_lg_u32 s66, s16
	v_cmp_lt_f64_e32 vcc, v[20:21], v[22:23]
	v_cndmask_b32_e32 v1, v1, v11, vcc
	v_cndmask_b32_e32 v0, v0, v10, vcc
	;; [unrolled: 1-line block ×5, first 2 shown]
	s_cbranch_scc1 .LBB126_721
.LBB126_722:
	s_waitcnt lgkmcnt(0)
	v_cmp_eq_f64_e32 vcc, 0, v[0:1]
	v_cmp_eq_f64_e64 s[4:5], 0, v[2:3]
	s_and_b64 s[4:5], vcc, s[4:5]
	s_and_saveexec_b64 s[16:17], s[4:5]
	s_xor_b64 s[4:5], exec, s[16:17]
; %bb.723:
	v_cmp_ne_u32_e32 vcc, 0, v17
	v_cndmask_b32_e32 v17, 30, v17, vcc
; %bb.724:
	s_andn2_saveexec_b64 s[4:5], s[4:5]
	s_cbranch_execz .LBB126_730
; %bb.725:
	v_cmp_ngt_f64_e64 s[16:17], |v[0:1]|, |v[2:3]|
	s_and_saveexec_b64 s[18:19], s[16:17]
	s_xor_b64 s[18:19], exec, s[18:19]
	s_cbranch_execz .LBB126_727
; %bb.726:
	v_div_scale_f64 v[10:11], s[16:17], v[2:3], v[2:3], v[0:1]
	v_rcp_f64_e32 v[12:13], v[10:11]
	v_fma_f64 v[20:21], -v[10:11], v[12:13], 1.0
	v_fma_f64 v[12:13], v[12:13], v[20:21], v[12:13]
	v_div_scale_f64 v[20:21], vcc, v[0:1], v[2:3], v[0:1]
	v_fma_f64 v[22:23], -v[10:11], v[12:13], 1.0
	v_fma_f64 v[12:13], v[12:13], v[22:23], v[12:13]
	v_mul_f64 v[22:23], v[20:21], v[12:13]
	v_fma_f64 v[10:11], -v[10:11], v[22:23], v[20:21]
	v_div_fmas_f64 v[10:11], v[10:11], v[12:13], v[22:23]
	v_div_fixup_f64 v[10:11], v[10:11], v[2:3], v[0:1]
	v_fma_f64 v[0:1], v[0:1], v[10:11], v[2:3]
	v_div_scale_f64 v[2:3], s[16:17], v[0:1], v[0:1], 1.0
	v_div_scale_f64 v[22:23], vcc, 1.0, v[0:1], 1.0
	v_rcp_f64_e32 v[12:13], v[2:3]
	v_fma_f64 v[20:21], -v[2:3], v[12:13], 1.0
	v_fma_f64 v[12:13], v[12:13], v[20:21], v[12:13]
	v_fma_f64 v[20:21], -v[2:3], v[12:13], 1.0
	v_fma_f64 v[12:13], v[12:13], v[20:21], v[12:13]
	v_mul_f64 v[20:21], v[22:23], v[12:13]
	v_fma_f64 v[2:3], -v[2:3], v[20:21], v[22:23]
	v_div_fmas_f64 v[2:3], v[2:3], v[12:13], v[20:21]
	v_div_fixup_f64 v[2:3], v[2:3], v[0:1], 1.0
	v_mul_f64 v[0:1], v[10:11], v[2:3]
	v_xor_b32_e32 v3, 0x80000000, v3
.LBB126_727:
	s_andn2_saveexec_b64 s[18:19], s[18:19]
	s_cbranch_execz .LBB126_729
; %bb.728:
	v_div_scale_f64 v[10:11], s[16:17], v[0:1], v[0:1], v[2:3]
	v_rcp_f64_e32 v[12:13], v[10:11]
	v_fma_f64 v[20:21], -v[10:11], v[12:13], 1.0
	v_fma_f64 v[12:13], v[12:13], v[20:21], v[12:13]
	v_div_scale_f64 v[20:21], vcc, v[2:3], v[0:1], v[2:3]
	v_fma_f64 v[22:23], -v[10:11], v[12:13], 1.0
	v_fma_f64 v[12:13], v[12:13], v[22:23], v[12:13]
	v_mul_f64 v[22:23], v[20:21], v[12:13]
	v_fma_f64 v[10:11], -v[10:11], v[22:23], v[20:21]
	v_div_fmas_f64 v[10:11], v[10:11], v[12:13], v[22:23]
	v_div_fixup_f64 v[10:11], v[10:11], v[0:1], v[2:3]
	v_fma_f64 v[0:1], v[2:3], v[10:11], v[0:1]
	v_div_scale_f64 v[2:3], s[16:17], v[0:1], v[0:1], 1.0
	v_div_scale_f64 v[22:23], vcc, 1.0, v[0:1], 1.0
	v_rcp_f64_e32 v[12:13], v[2:3]
	v_fma_f64 v[20:21], -v[2:3], v[12:13], 1.0
	v_fma_f64 v[12:13], v[12:13], v[20:21], v[12:13]
	v_fma_f64 v[20:21], -v[2:3], v[12:13], 1.0
	v_fma_f64 v[12:13], v[12:13], v[20:21], v[12:13]
	v_mul_f64 v[20:21], v[22:23], v[12:13]
	v_fma_f64 v[2:3], -v[2:3], v[20:21], v[22:23]
	v_div_fmas_f64 v[2:3], v[2:3], v[12:13], v[20:21]
	v_div_fixup_f64 v[0:1], v[2:3], v[0:1], 1.0
	v_mul_f64 v[2:3], v[10:11], -v[0:1]
.LBB126_729:
	s_or_b64 exec, exec, s[18:19]
.LBB126_730:
	s_or_b64 exec, exec, s[4:5]
	v_cmp_ne_u32_e32 vcc, v19, v4
	s_and_saveexec_b64 s[4:5], vcc
	s_xor_b64 s[4:5], exec, s[4:5]
	s_cbranch_execz .LBB126_736
; %bb.731:
	v_cmp_eq_u32_e32 vcc, 29, v19
	s_and_saveexec_b64 s[18:19], vcc
	s_cbranch_execz .LBB126_735
; %bb.732:
	v_cmp_ne_u32_e32 vcc, 29, v4
	s_xor_b64 s[16:17], s[10:11], -1
	s_and_b64 s[16:17], s[16:17], vcc
	s_and_saveexec_b64 s[24:25], s[16:17]
	s_cbranch_execz .LBB126_734
; %bb.733:
	v_ashrrev_i32_e32 v5, 31, v4
	v_lshlrev_b64 v[10:11], 2, v[4:5]
	v_add_co_u32_e32 v10, vcc, v8, v10
	v_addc_co_u32_e32 v11, vcc, v9, v11, vcc
	global_load_dword v5, v[10:11], off
	global_load_dword v12, v[8:9], off offset:116
	s_waitcnt vmcnt(1)
	global_store_dword v[8:9], v5, off offset:116
	s_waitcnt vmcnt(1)
	global_store_dword v[10:11], v12, off
.LBB126_734:
	s_or_b64 exec, exec, s[24:25]
	v_mov_b32_e32 v19, v4
	v_mov_b32_e32 v18, v4
.LBB126_735:
	s_or_b64 exec, exec, s[18:19]
.LBB126_736:
	s_andn2_saveexec_b64 s[4:5], s[4:5]
	s_cbranch_execz .LBB126_738
; %bb.737:
	v_mov_b32_e32 v11, s59
	buffer_load_dword v4, v11, s[0:3], 0 offen
	buffer_load_dword v5, v11, s[0:3], 0 offen offset:4
	buffer_load_dword v10, v11, s[0:3], 0 offen offset:8
	s_nop 0
	buffer_load_dword v11, v11, s[0:3], 0 offen offset:12
	v_mov_b32_e32 v19, 29
	s_waitcnt vmcnt(0)
	ds_write2_b64 v16, v[4:5], v[10:11] offset0:60 offset1:61
	v_mov_b32_e32 v11, s58
	buffer_load_dword v4, v11, s[0:3], 0 offen
	buffer_load_dword v5, v11, s[0:3], 0 offen offset:4
	buffer_load_dword v10, v11, s[0:3], 0 offen offset:8
	s_nop 0
	buffer_load_dword v11, v11, s[0:3], 0 offen offset:12
	s_waitcnt vmcnt(0)
	ds_write2_b64 v16, v[4:5], v[10:11] offset0:62 offset1:63
	v_mov_b32_e32 v11, s8
	buffer_load_dword v4, v11, s[0:3], 0 offen
	buffer_load_dword v5, v11, s[0:3], 0 offen offset:4
	buffer_load_dword v10, v11, s[0:3], 0 offen offset:8
	s_nop 0
	buffer_load_dword v11, v11, s[0:3], 0 offen offset:12
	;; [unrolled: 8-line block ×33, first 2 shown]
	s_waitcnt vmcnt(0)
	ds_write2_b64 v16, v[4:5], v[10:11] offset0:126 offset1:127
.LBB126_738:
	s_or_b64 exec, exec, s[4:5]
	v_cmp_lt_i32_e32 vcc, 29, v19
	s_waitcnt vmcnt(0) lgkmcnt(0)
	s_barrier
	s_and_saveexec_b64 s[4:5], vcc
	s_cbranch_execz .LBB126_741
; %bb.739:
	buffer_load_dword v4, off, s[0:3], 0 offset:472
	buffer_load_dword v5, off, s[0:3], 0 offset:476
	;; [unrolled: 1-line block ×4, first 2 shown]
	s_movk_i32 s16, 0x1e0
	s_waitcnt vmcnt(2)
	v_mul_f64 v[12:13], v[2:3], v[4:5]
	v_mul_f64 v[4:5], v[0:1], v[4:5]
	s_waitcnt vmcnt(0)
	v_fma_f64 v[0:1], v[0:1], v[10:11], -v[12:13]
	v_fma_f64 v[2:3], v[2:3], v[10:11], v[4:5]
	buffer_store_dword v0, off, s[0:3], 0 offset:464
	buffer_store_dword v1, off, s[0:3], 0 offset:468
	;; [unrolled: 1-line block ×4, first 2 shown]
.LBB126_740:                            ; =>This Inner Loop Header: Depth=1
	buffer_load_dword v4, off, s[0:3], 0 offset:472
	buffer_load_dword v5, off, s[0:3], 0 offset:476
	;; [unrolled: 1-line block ×4, first 2 shown]
	v_mov_b32_e32 v32, s16
	buffer_load_dword v22, v32, s[0:3], 0 offen
	buffer_load_dword v23, v32, s[0:3], 0 offen offset:4
	buffer_load_dword v24, v32, s[0:3], 0 offen offset:8
	;; [unrolled: 1-line block ×3, first 2 shown]
	v_add_u32_e32 v10, s16, v16
	ds_read2_b64 v[0:3], v10 offset1:1
	buffer_load_dword v26, v32, s[0:3], 0 offen offset:16
	buffer_load_dword v27, v32, s[0:3], 0 offen offset:20
	;; [unrolled: 1-line block ×4, first 2 shown]
	ds_read2_b64 v[10:13], v10 offset0:2 offset1:3
	s_add_i32 s16, s16, 32
	s_cmpk_lg_i32 s16, 0x400
	s_waitcnt vmcnt(10) lgkmcnt(1)
	v_mul_f64 v[30:31], v[2:3], v[4:5]
	v_mul_f64 v[4:5], v[0:1], v[4:5]
	s_waitcnt vmcnt(8)
	v_fma_f64 v[0:1], v[0:1], v[20:21], -v[30:31]
	v_fma_f64 v[2:3], v[2:3], v[20:21], v[4:5]
	s_waitcnt vmcnt(6)
	v_add_f64 v[0:1], v[22:23], -v[0:1]
	s_waitcnt vmcnt(4)
	v_add_f64 v[2:3], v[24:25], -v[2:3]
	buffer_store_dword v1, v32, s[0:3], 0 offen offset:4
	buffer_store_dword v0, v32, s[0:3], 0 offen
	buffer_store_dword v3, v32, s[0:3], 0 offen offset:12
	buffer_store_dword v2, v32, s[0:3], 0 offen offset:8
	buffer_load_dword v1, off, s[0:3], 0 offset:476
	s_nop 0
	buffer_load_dword v0, off, s[0:3], 0 offset:472
	buffer_load_dword v3, off, s[0:3], 0 offset:468
	;; [unrolled: 1-line block ×3, first 2 shown]
	s_waitcnt vmcnt(2) lgkmcnt(0)
	v_mul_f64 v[4:5], v[12:13], v[0:1]
	v_mul_f64 v[0:1], v[10:11], v[0:1]
	s_waitcnt vmcnt(0)
	v_fma_f64 v[4:5], v[10:11], v[2:3], -v[4:5]
	v_fma_f64 v[0:1], v[12:13], v[2:3], v[0:1]
	v_add_f64 v[2:3], v[26:27], -v[4:5]
	v_add_f64 v[0:1], v[28:29], -v[0:1]
	buffer_store_dword v3, v32, s[0:3], 0 offen offset:20
	buffer_store_dword v2, v32, s[0:3], 0 offen offset:16
	;; [unrolled: 1-line block ×4, first 2 shown]
	s_cbranch_scc1 .LBB126_740
.LBB126_741:
	s_or_b64 exec, exec, s[4:5]
	v_mov_b32_e32 v3, s59
	s_waitcnt vmcnt(0)
	s_barrier
	buffer_load_dword v0, v3, s[0:3], 0 offen
	buffer_load_dword v1, v3, s[0:3], 0 offen offset:4
	buffer_load_dword v2, v3, s[0:3], 0 offen offset:8
	s_nop 0
	buffer_load_dword v3, v3, s[0:3], 0 offen offset:12
	v_lshl_add_u32 v4, v19, 4, v16
	s_cmp_lt_i32 s66, 32
	s_waitcnt vmcnt(0)
	ds_write2_b64 v4, v[0:1], v[2:3] offset1:1
	s_waitcnt lgkmcnt(0)
	s_barrier
	ds_read2_b64 v[0:3], v16 offset0:60 offset1:61
	v_mov_b32_e32 v4, 30
	s_cbranch_scc1 .LBB126_744
; %bb.742:
	v_add_u32_e32 v5, 0x1f0, v16
	s_mov_b32 s16, 31
	v_mov_b32_e32 v4, 30
.LBB126_743:                            ; =>This Inner Loop Header: Depth=1
	s_waitcnt lgkmcnt(0)
	v_cmp_gt_f64_e32 vcc, 0, v[2:3]
	v_cmp_gt_f64_e64 s[4:5], 0, v[0:1]
	ds_read2_b64 v[10:13], v5 offset1:1
	v_xor_b32_e32 v21, 0x80000000, v1
	v_xor_b32_e32 v23, 0x80000000, v3
	v_mov_b32_e32 v20, v0
	v_mov_b32_e32 v22, v2
	s_waitcnt lgkmcnt(0)
	v_xor_b32_e32 v25, 0x80000000, v13
	v_cndmask_b32_e32 v23, v3, v23, vcc
	v_cndmask_b32_e64 v21, v1, v21, s[4:5]
	v_cmp_gt_f64_e32 vcc, 0, v[12:13]
	v_cmp_gt_f64_e64 s[4:5], 0, v[10:11]
	v_add_f64 v[20:21], v[20:21], v[22:23]
	v_xor_b32_e32 v23, 0x80000000, v11
	v_mov_b32_e32 v22, v10
	v_mov_b32_e32 v24, v12
	v_add_u32_e32 v5, 16, v5
	v_cndmask_b32_e32 v25, v13, v25, vcc
	v_cndmask_b32_e64 v23, v11, v23, s[4:5]
	v_add_f64 v[22:23], v[22:23], v[24:25]
	v_mov_b32_e32 v24, s16
	s_add_i32 s16, s16, 1
	s_cmp_lg_u32 s66, s16
	v_cmp_lt_f64_e32 vcc, v[20:21], v[22:23]
	v_cndmask_b32_e32 v1, v1, v11, vcc
	v_cndmask_b32_e32 v0, v0, v10, vcc
	;; [unrolled: 1-line block ×5, first 2 shown]
	s_cbranch_scc1 .LBB126_743
.LBB126_744:
	s_waitcnt lgkmcnt(0)
	v_cmp_eq_f64_e32 vcc, 0, v[0:1]
	v_cmp_eq_f64_e64 s[4:5], 0, v[2:3]
	s_and_b64 s[4:5], vcc, s[4:5]
	s_and_saveexec_b64 s[16:17], s[4:5]
	s_xor_b64 s[4:5], exec, s[16:17]
; %bb.745:
	v_cmp_ne_u32_e32 vcc, 0, v17
	v_cndmask_b32_e32 v17, 31, v17, vcc
; %bb.746:
	s_andn2_saveexec_b64 s[4:5], s[4:5]
	s_cbranch_execz .LBB126_752
; %bb.747:
	v_cmp_ngt_f64_e64 s[16:17], |v[0:1]|, |v[2:3]|
	s_and_saveexec_b64 s[18:19], s[16:17]
	s_xor_b64 s[18:19], exec, s[18:19]
	s_cbranch_execz .LBB126_749
; %bb.748:
	v_div_scale_f64 v[10:11], s[16:17], v[2:3], v[2:3], v[0:1]
	v_rcp_f64_e32 v[12:13], v[10:11]
	v_fma_f64 v[20:21], -v[10:11], v[12:13], 1.0
	v_fma_f64 v[12:13], v[12:13], v[20:21], v[12:13]
	v_div_scale_f64 v[20:21], vcc, v[0:1], v[2:3], v[0:1]
	v_fma_f64 v[22:23], -v[10:11], v[12:13], 1.0
	v_fma_f64 v[12:13], v[12:13], v[22:23], v[12:13]
	v_mul_f64 v[22:23], v[20:21], v[12:13]
	v_fma_f64 v[10:11], -v[10:11], v[22:23], v[20:21]
	v_div_fmas_f64 v[10:11], v[10:11], v[12:13], v[22:23]
	v_div_fixup_f64 v[10:11], v[10:11], v[2:3], v[0:1]
	v_fma_f64 v[0:1], v[0:1], v[10:11], v[2:3]
	v_div_scale_f64 v[2:3], s[16:17], v[0:1], v[0:1], 1.0
	v_div_scale_f64 v[22:23], vcc, 1.0, v[0:1], 1.0
	v_rcp_f64_e32 v[12:13], v[2:3]
	v_fma_f64 v[20:21], -v[2:3], v[12:13], 1.0
	v_fma_f64 v[12:13], v[12:13], v[20:21], v[12:13]
	v_fma_f64 v[20:21], -v[2:3], v[12:13], 1.0
	v_fma_f64 v[12:13], v[12:13], v[20:21], v[12:13]
	v_mul_f64 v[20:21], v[22:23], v[12:13]
	v_fma_f64 v[2:3], -v[2:3], v[20:21], v[22:23]
	v_div_fmas_f64 v[2:3], v[2:3], v[12:13], v[20:21]
	v_div_fixup_f64 v[2:3], v[2:3], v[0:1], 1.0
	v_mul_f64 v[0:1], v[10:11], v[2:3]
	v_xor_b32_e32 v3, 0x80000000, v3
.LBB126_749:
	s_andn2_saveexec_b64 s[18:19], s[18:19]
	s_cbranch_execz .LBB126_751
; %bb.750:
	v_div_scale_f64 v[10:11], s[16:17], v[0:1], v[0:1], v[2:3]
	v_rcp_f64_e32 v[12:13], v[10:11]
	v_fma_f64 v[20:21], -v[10:11], v[12:13], 1.0
	v_fma_f64 v[12:13], v[12:13], v[20:21], v[12:13]
	v_div_scale_f64 v[20:21], vcc, v[2:3], v[0:1], v[2:3]
	v_fma_f64 v[22:23], -v[10:11], v[12:13], 1.0
	v_fma_f64 v[12:13], v[12:13], v[22:23], v[12:13]
	v_mul_f64 v[22:23], v[20:21], v[12:13]
	v_fma_f64 v[10:11], -v[10:11], v[22:23], v[20:21]
	v_div_fmas_f64 v[10:11], v[10:11], v[12:13], v[22:23]
	v_div_fixup_f64 v[10:11], v[10:11], v[0:1], v[2:3]
	v_fma_f64 v[0:1], v[2:3], v[10:11], v[0:1]
	v_div_scale_f64 v[2:3], s[16:17], v[0:1], v[0:1], 1.0
	v_div_scale_f64 v[22:23], vcc, 1.0, v[0:1], 1.0
	v_rcp_f64_e32 v[12:13], v[2:3]
	v_fma_f64 v[20:21], -v[2:3], v[12:13], 1.0
	v_fma_f64 v[12:13], v[12:13], v[20:21], v[12:13]
	v_fma_f64 v[20:21], -v[2:3], v[12:13], 1.0
	v_fma_f64 v[12:13], v[12:13], v[20:21], v[12:13]
	v_mul_f64 v[20:21], v[22:23], v[12:13]
	v_fma_f64 v[2:3], -v[2:3], v[20:21], v[22:23]
	v_div_fmas_f64 v[2:3], v[2:3], v[12:13], v[20:21]
	v_div_fixup_f64 v[0:1], v[2:3], v[0:1], 1.0
	v_mul_f64 v[2:3], v[10:11], -v[0:1]
.LBB126_751:
	s_or_b64 exec, exec, s[18:19]
.LBB126_752:
	s_or_b64 exec, exec, s[4:5]
	v_cmp_ne_u32_e32 vcc, v19, v4
	s_and_saveexec_b64 s[4:5], vcc
	s_xor_b64 s[4:5], exec, s[4:5]
	s_cbranch_execz .LBB126_758
; %bb.753:
	v_cmp_eq_u32_e32 vcc, 30, v19
	s_and_saveexec_b64 s[18:19], vcc
	s_cbranch_execz .LBB126_757
; %bb.754:
	v_cmp_ne_u32_e32 vcc, 30, v4
	s_xor_b64 s[16:17], s[10:11], -1
	s_and_b64 s[16:17], s[16:17], vcc
	s_and_saveexec_b64 s[24:25], s[16:17]
	s_cbranch_execz .LBB126_756
; %bb.755:
	v_ashrrev_i32_e32 v5, 31, v4
	v_lshlrev_b64 v[10:11], 2, v[4:5]
	v_add_co_u32_e32 v10, vcc, v8, v10
	v_addc_co_u32_e32 v11, vcc, v9, v11, vcc
	global_load_dword v5, v[10:11], off
	global_load_dword v12, v[8:9], off offset:120
	s_waitcnt vmcnt(1)
	global_store_dword v[8:9], v5, off offset:120
	s_waitcnt vmcnt(1)
	global_store_dword v[10:11], v12, off
.LBB126_756:
	s_or_b64 exec, exec, s[24:25]
	v_mov_b32_e32 v19, v4
	v_mov_b32_e32 v18, v4
.LBB126_757:
	s_or_b64 exec, exec, s[18:19]
.LBB126_758:
	s_andn2_saveexec_b64 s[4:5], s[4:5]
	s_cbranch_execz .LBB126_760
; %bb.759:
	v_mov_b32_e32 v11, s58
	buffer_load_dword v4, v11, s[0:3], 0 offen
	buffer_load_dword v5, v11, s[0:3], 0 offen offset:4
	buffer_load_dword v10, v11, s[0:3], 0 offen offset:8
	s_nop 0
	buffer_load_dword v11, v11, s[0:3], 0 offen offset:12
	v_mov_b32_e32 v19, 30
	s_waitcnt vmcnt(0)
	ds_write2_b64 v16, v[4:5], v[10:11] offset0:62 offset1:63
	v_mov_b32_e32 v11, s8
	buffer_load_dword v4, v11, s[0:3], 0 offen
	buffer_load_dword v5, v11, s[0:3], 0 offen offset:4
	buffer_load_dword v10, v11, s[0:3], 0 offen offset:8
	s_nop 0
	buffer_load_dword v11, v11, s[0:3], 0 offen offset:12
	s_waitcnt vmcnt(0)
	ds_write2_b64 v16, v[4:5], v[10:11] offset0:64 offset1:65
	v_mov_b32_e32 v11, s56
	buffer_load_dword v4, v11, s[0:3], 0 offen
	buffer_load_dword v5, v11, s[0:3], 0 offen offset:4
	buffer_load_dword v10, v11, s[0:3], 0 offen offset:8
	s_nop 0
	buffer_load_dword v11, v11, s[0:3], 0 offen offset:12
	;; [unrolled: 8-line block ×32, first 2 shown]
	s_waitcnt vmcnt(0)
	ds_write2_b64 v16, v[4:5], v[10:11] offset0:126 offset1:127
.LBB126_760:
	s_or_b64 exec, exec, s[4:5]
	v_cmp_lt_i32_e32 vcc, 30, v19
	s_waitcnt vmcnt(0) lgkmcnt(0)
	s_barrier
	s_and_saveexec_b64 s[4:5], vcc
	s_cbranch_execz .LBB126_763
; %bb.761:
	buffer_load_dword v4, off, s[0:3], 0 offset:488
	buffer_load_dword v5, off, s[0:3], 0 offset:492
	;; [unrolled: 1-line block ×4, first 2 shown]
	s_movk_i32 s16, 0x1f0
	s_waitcnt vmcnt(2)
	v_mul_f64 v[12:13], v[2:3], v[4:5]
	v_mul_f64 v[4:5], v[0:1], v[4:5]
	s_waitcnt vmcnt(0)
	v_fma_f64 v[0:1], v[0:1], v[10:11], -v[12:13]
	v_fma_f64 v[2:3], v[2:3], v[10:11], v[4:5]
	buffer_store_dword v0, off, s[0:3], 0 offset:480
	buffer_store_dword v1, off, s[0:3], 0 offset:484
	;; [unrolled: 1-line block ×4, first 2 shown]
.LBB126_762:                            ; =>This Inner Loop Header: Depth=1
	buffer_load_dword v4, off, s[0:3], 0 offset:488
	buffer_load_dword v5, off, s[0:3], 0 offset:492
	;; [unrolled: 1-line block ×4, first 2 shown]
	v_mov_b32_e32 v32, s16
	buffer_load_dword v22, v32, s[0:3], 0 offen
	buffer_load_dword v23, v32, s[0:3], 0 offen offset:4
	buffer_load_dword v24, v32, s[0:3], 0 offen offset:8
	;; [unrolled: 1-line block ×3, first 2 shown]
	v_add_u32_e32 v33, s16, v16
	ds_read2_b64 v[0:3], v33 offset1:1
	buffer_load_dword v26, v32, s[0:3], 0 offen offset:16
	buffer_load_dword v27, v32, s[0:3], 0 offen offset:20
	;; [unrolled: 1-line block ×4, first 2 shown]
	ds_read2_b64 v[10:13], v33 offset0:2 offset1:3
	s_add_i32 s16, s16, 48
	s_cmpk_lg_i32 s16, 0x400
	s_waitcnt vmcnt(10) lgkmcnt(1)
	v_mul_f64 v[30:31], v[2:3], v[4:5]
	v_mul_f64 v[4:5], v[0:1], v[4:5]
	s_waitcnt vmcnt(8)
	v_fma_f64 v[0:1], v[0:1], v[20:21], -v[30:31]
	v_fma_f64 v[2:3], v[2:3], v[20:21], v[4:5]
	s_waitcnt vmcnt(6)
	v_add_f64 v[0:1], v[22:23], -v[0:1]
	s_waitcnt vmcnt(4)
	v_add_f64 v[2:3], v[24:25], -v[2:3]
	buffer_store_dword v1, v32, s[0:3], 0 offen offset:4
	buffer_store_dword v0, v32, s[0:3], 0 offen
	buffer_store_dword v3, v32, s[0:3], 0 offen offset:12
	buffer_store_dword v2, v32, s[0:3], 0 offen offset:8
	buffer_load_dword v1, off, s[0:3], 0 offset:492
	s_nop 0
	buffer_load_dword v0, off, s[0:3], 0 offset:488
	buffer_load_dword v3, off, s[0:3], 0 offset:484
	;; [unrolled: 1-line block ×3, first 2 shown]
	buffer_load_dword v4, v32, s[0:3], 0 offen offset:32
	buffer_load_dword v5, v32, s[0:3], 0 offen offset:36
	;; [unrolled: 1-line block ×4, first 2 shown]
	s_waitcnt vmcnt(6) lgkmcnt(0)
	v_mul_f64 v[22:23], v[12:13], v[0:1]
	v_mul_f64 v[0:1], v[10:11], v[0:1]
	s_waitcnt vmcnt(4)
	v_fma_f64 v[10:11], v[10:11], v[2:3], -v[22:23]
	v_fma_f64 v[0:1], v[12:13], v[2:3], v[0:1]
	v_add_f64 v[2:3], v[26:27], -v[10:11]
	v_add_f64 v[0:1], v[28:29], -v[0:1]
	buffer_store_dword v3, v32, s[0:3], 0 offen offset:20
	buffer_store_dword v2, v32, s[0:3], 0 offen offset:16
	;; [unrolled: 1-line block ×4, first 2 shown]
	buffer_load_dword v10, off, s[0:3], 0 offset:488
	buffer_load_dword v11, off, s[0:3], 0 offset:492
	;; [unrolled: 1-line block ×4, first 2 shown]
	ds_read2_b64 v[0:3], v33 offset0:4 offset1:5
	s_waitcnt vmcnt(2) lgkmcnt(0)
	v_mul_f64 v[22:23], v[2:3], v[10:11]
	v_mul_f64 v[10:11], v[0:1], v[10:11]
	s_waitcnt vmcnt(0)
	v_fma_f64 v[0:1], v[0:1], v[12:13], -v[22:23]
	v_fma_f64 v[2:3], v[2:3], v[12:13], v[10:11]
	v_add_f64 v[0:1], v[4:5], -v[0:1]
	v_add_f64 v[2:3], v[20:21], -v[2:3]
	buffer_store_dword v1, v32, s[0:3], 0 offen offset:36
	buffer_store_dword v0, v32, s[0:3], 0 offen offset:32
	;; [unrolled: 1-line block ×4, first 2 shown]
	s_cbranch_scc1 .LBB126_762
.LBB126_763:
	s_or_b64 exec, exec, s[4:5]
	v_mov_b32_e32 v3, s58
	s_waitcnt vmcnt(0)
	s_barrier
	buffer_load_dword v0, v3, s[0:3], 0 offen
	buffer_load_dword v1, v3, s[0:3], 0 offen offset:4
	buffer_load_dword v2, v3, s[0:3], 0 offen offset:8
	s_nop 0
	buffer_load_dword v3, v3, s[0:3], 0 offen offset:12
	v_lshl_add_u32 v4, v19, 4, v16
	s_cmp_lt_i32 s66, 33
	s_waitcnt vmcnt(0)
	ds_write2_b64 v4, v[0:1], v[2:3] offset1:1
	s_waitcnt lgkmcnt(0)
	s_barrier
	ds_read2_b64 v[0:3], v16 offset0:62 offset1:63
	v_mov_b32_e32 v4, 31
	s_cbranch_scc1 .LBB126_766
; %bb.764:
	v_add_u32_e32 v5, 0x200, v16
	s_mov_b32 s16, 32
	v_mov_b32_e32 v4, 31
.LBB126_765:                            ; =>This Inner Loop Header: Depth=1
	s_waitcnt lgkmcnt(0)
	v_cmp_gt_f64_e32 vcc, 0, v[2:3]
	v_cmp_gt_f64_e64 s[4:5], 0, v[0:1]
	ds_read2_b64 v[10:13], v5 offset1:1
	v_xor_b32_e32 v21, 0x80000000, v1
	v_xor_b32_e32 v23, 0x80000000, v3
	v_mov_b32_e32 v20, v0
	v_mov_b32_e32 v22, v2
	s_waitcnt lgkmcnt(0)
	v_xor_b32_e32 v25, 0x80000000, v13
	v_cndmask_b32_e32 v23, v3, v23, vcc
	v_cndmask_b32_e64 v21, v1, v21, s[4:5]
	v_cmp_gt_f64_e32 vcc, 0, v[12:13]
	v_cmp_gt_f64_e64 s[4:5], 0, v[10:11]
	v_add_f64 v[20:21], v[20:21], v[22:23]
	v_xor_b32_e32 v23, 0x80000000, v11
	v_mov_b32_e32 v22, v10
	v_mov_b32_e32 v24, v12
	v_add_u32_e32 v5, 16, v5
	v_cndmask_b32_e32 v25, v13, v25, vcc
	v_cndmask_b32_e64 v23, v11, v23, s[4:5]
	v_add_f64 v[22:23], v[22:23], v[24:25]
	v_mov_b32_e32 v24, s16
	s_add_i32 s16, s16, 1
	s_cmp_lg_u32 s66, s16
	v_cmp_lt_f64_e32 vcc, v[20:21], v[22:23]
	v_cndmask_b32_e32 v1, v1, v11, vcc
	v_cndmask_b32_e32 v0, v0, v10, vcc
	v_cndmask_b32_e32 v3, v3, v13, vcc
	v_cndmask_b32_e32 v2, v2, v12, vcc
	v_cndmask_b32_e32 v4, v4, v24, vcc
	s_cbranch_scc1 .LBB126_765
.LBB126_766:
	s_waitcnt lgkmcnt(0)
	v_cmp_eq_f64_e32 vcc, 0, v[0:1]
	v_cmp_eq_f64_e64 s[4:5], 0, v[2:3]
	s_and_b64 s[4:5], vcc, s[4:5]
	s_and_saveexec_b64 s[16:17], s[4:5]
	s_xor_b64 s[4:5], exec, s[16:17]
; %bb.767:
	v_cmp_ne_u32_e32 vcc, 0, v17
	v_cndmask_b32_e32 v17, 32, v17, vcc
; %bb.768:
	s_andn2_saveexec_b64 s[4:5], s[4:5]
	s_cbranch_execz .LBB126_774
; %bb.769:
	v_cmp_ngt_f64_e64 s[16:17], |v[0:1]|, |v[2:3]|
	s_and_saveexec_b64 s[18:19], s[16:17]
	s_xor_b64 s[18:19], exec, s[18:19]
	s_cbranch_execz .LBB126_771
; %bb.770:
	v_div_scale_f64 v[10:11], s[16:17], v[2:3], v[2:3], v[0:1]
	v_rcp_f64_e32 v[12:13], v[10:11]
	v_fma_f64 v[20:21], -v[10:11], v[12:13], 1.0
	v_fma_f64 v[12:13], v[12:13], v[20:21], v[12:13]
	v_div_scale_f64 v[20:21], vcc, v[0:1], v[2:3], v[0:1]
	v_fma_f64 v[22:23], -v[10:11], v[12:13], 1.0
	v_fma_f64 v[12:13], v[12:13], v[22:23], v[12:13]
	v_mul_f64 v[22:23], v[20:21], v[12:13]
	v_fma_f64 v[10:11], -v[10:11], v[22:23], v[20:21]
	v_div_fmas_f64 v[10:11], v[10:11], v[12:13], v[22:23]
	v_div_fixup_f64 v[10:11], v[10:11], v[2:3], v[0:1]
	v_fma_f64 v[0:1], v[0:1], v[10:11], v[2:3]
	v_div_scale_f64 v[2:3], s[16:17], v[0:1], v[0:1], 1.0
	v_div_scale_f64 v[22:23], vcc, 1.0, v[0:1], 1.0
	v_rcp_f64_e32 v[12:13], v[2:3]
	v_fma_f64 v[20:21], -v[2:3], v[12:13], 1.0
	v_fma_f64 v[12:13], v[12:13], v[20:21], v[12:13]
	v_fma_f64 v[20:21], -v[2:3], v[12:13], 1.0
	v_fma_f64 v[12:13], v[12:13], v[20:21], v[12:13]
	v_mul_f64 v[20:21], v[22:23], v[12:13]
	v_fma_f64 v[2:3], -v[2:3], v[20:21], v[22:23]
	v_div_fmas_f64 v[2:3], v[2:3], v[12:13], v[20:21]
	v_div_fixup_f64 v[2:3], v[2:3], v[0:1], 1.0
	v_mul_f64 v[0:1], v[10:11], v[2:3]
	v_xor_b32_e32 v3, 0x80000000, v3
.LBB126_771:
	s_andn2_saveexec_b64 s[18:19], s[18:19]
	s_cbranch_execz .LBB126_773
; %bb.772:
	v_div_scale_f64 v[10:11], s[16:17], v[0:1], v[0:1], v[2:3]
	v_rcp_f64_e32 v[12:13], v[10:11]
	v_fma_f64 v[20:21], -v[10:11], v[12:13], 1.0
	v_fma_f64 v[12:13], v[12:13], v[20:21], v[12:13]
	v_div_scale_f64 v[20:21], vcc, v[2:3], v[0:1], v[2:3]
	v_fma_f64 v[22:23], -v[10:11], v[12:13], 1.0
	v_fma_f64 v[12:13], v[12:13], v[22:23], v[12:13]
	v_mul_f64 v[22:23], v[20:21], v[12:13]
	v_fma_f64 v[10:11], -v[10:11], v[22:23], v[20:21]
	v_div_fmas_f64 v[10:11], v[10:11], v[12:13], v[22:23]
	v_div_fixup_f64 v[10:11], v[10:11], v[0:1], v[2:3]
	v_fma_f64 v[0:1], v[2:3], v[10:11], v[0:1]
	v_div_scale_f64 v[2:3], s[16:17], v[0:1], v[0:1], 1.0
	v_div_scale_f64 v[22:23], vcc, 1.0, v[0:1], 1.0
	v_rcp_f64_e32 v[12:13], v[2:3]
	v_fma_f64 v[20:21], -v[2:3], v[12:13], 1.0
	v_fma_f64 v[12:13], v[12:13], v[20:21], v[12:13]
	v_fma_f64 v[20:21], -v[2:3], v[12:13], 1.0
	v_fma_f64 v[12:13], v[12:13], v[20:21], v[12:13]
	v_mul_f64 v[20:21], v[22:23], v[12:13]
	v_fma_f64 v[2:3], -v[2:3], v[20:21], v[22:23]
	v_div_fmas_f64 v[2:3], v[2:3], v[12:13], v[20:21]
	v_div_fixup_f64 v[0:1], v[2:3], v[0:1], 1.0
	v_mul_f64 v[2:3], v[10:11], -v[0:1]
.LBB126_773:
	s_or_b64 exec, exec, s[18:19]
.LBB126_774:
	s_or_b64 exec, exec, s[4:5]
	v_cmp_ne_u32_e32 vcc, v19, v4
	s_and_saveexec_b64 s[4:5], vcc
	s_xor_b64 s[4:5], exec, s[4:5]
	s_cbranch_execz .LBB126_780
; %bb.775:
	v_cmp_eq_u32_e32 vcc, 31, v19
	s_and_saveexec_b64 s[18:19], vcc
	s_cbranch_execz .LBB126_779
; %bb.776:
	v_cmp_ne_u32_e32 vcc, 31, v4
	s_xor_b64 s[16:17], s[10:11], -1
	s_and_b64 s[16:17], s[16:17], vcc
	s_and_saveexec_b64 s[24:25], s[16:17]
	s_cbranch_execz .LBB126_778
; %bb.777:
	v_ashrrev_i32_e32 v5, 31, v4
	v_lshlrev_b64 v[10:11], 2, v[4:5]
	v_add_co_u32_e32 v10, vcc, v8, v10
	v_addc_co_u32_e32 v11, vcc, v9, v11, vcc
	global_load_dword v5, v[10:11], off
	global_load_dword v12, v[8:9], off offset:124
	s_waitcnt vmcnt(1)
	global_store_dword v[8:9], v5, off offset:124
	s_waitcnt vmcnt(1)
	global_store_dword v[10:11], v12, off
.LBB126_778:
	s_or_b64 exec, exec, s[24:25]
	v_mov_b32_e32 v19, v4
	v_mov_b32_e32 v18, v4
.LBB126_779:
	s_or_b64 exec, exec, s[18:19]
.LBB126_780:
	s_andn2_saveexec_b64 s[4:5], s[4:5]
	s_cbranch_execz .LBB126_782
; %bb.781:
	v_mov_b32_e32 v11, s8
	buffer_load_dword v4, v11, s[0:3], 0 offen
	buffer_load_dword v5, v11, s[0:3], 0 offen offset:4
	buffer_load_dword v10, v11, s[0:3], 0 offen offset:8
	s_nop 0
	buffer_load_dword v11, v11, s[0:3], 0 offen offset:12
	v_mov_b32_e32 v19, 31
	s_waitcnt vmcnt(0)
	ds_write2_b64 v16, v[4:5], v[10:11] offset0:64 offset1:65
	v_mov_b32_e32 v11, s56
	buffer_load_dword v4, v11, s[0:3], 0 offen
	buffer_load_dword v5, v11, s[0:3], 0 offen offset:4
	buffer_load_dword v10, v11, s[0:3], 0 offen offset:8
	s_nop 0
	buffer_load_dword v11, v11, s[0:3], 0 offen offset:12
	s_waitcnt vmcnt(0)
	ds_write2_b64 v16, v[4:5], v[10:11] offset0:66 offset1:67
	v_mov_b32_e32 v11, s55
	buffer_load_dword v4, v11, s[0:3], 0 offen
	buffer_load_dword v5, v11, s[0:3], 0 offen offset:4
	buffer_load_dword v10, v11, s[0:3], 0 offen offset:8
	s_nop 0
	buffer_load_dword v11, v11, s[0:3], 0 offen offset:12
	;; [unrolled: 8-line block ×31, first 2 shown]
	s_waitcnt vmcnt(0)
	ds_write2_b64 v16, v[4:5], v[10:11] offset0:126 offset1:127
.LBB126_782:
	s_or_b64 exec, exec, s[4:5]
	v_cmp_lt_i32_e32 vcc, 31, v19
	s_waitcnt vmcnt(0) lgkmcnt(0)
	s_barrier
	s_and_saveexec_b64 s[4:5], vcc
	s_cbranch_execz .LBB126_785
; %bb.783:
	buffer_load_dword v4, off, s[0:3], 0 offset:504
	buffer_load_dword v5, off, s[0:3], 0 offset:508
	;; [unrolled: 1-line block ×4, first 2 shown]
	s_mov_b32 s18, 0
	s_waitcnt vmcnt(2)
	v_mul_f64 v[12:13], v[2:3], v[4:5]
	v_mul_f64 v[4:5], v[0:1], v[4:5]
	s_waitcnt vmcnt(0)
	v_fma_f64 v[0:1], v[0:1], v[10:11], -v[12:13]
	v_fma_f64 v[2:3], v[2:3], v[10:11], v[4:5]
	v_add_u32_e32 v4, 0x200, v16
	buffer_store_dword v0, off, s[0:3], 0 offset:496
	buffer_store_dword v1, off, s[0:3], 0 offset:500
	;; [unrolled: 1-line block ×4, first 2 shown]
.LBB126_784:                            ; =>This Inner Loop Header: Depth=1
	v_add_u32_e32 v5, s18, v4
	ds_read2_b64 v[10:13], v5 offset1:1
	v_mov_b32_e32 v36, s18
	s_add_i32 s18, s18, 64
	s_cmpk_lg_i32 s18, 0x200
	s_waitcnt lgkmcnt(0)
	v_mul_f64 v[20:21], v[12:13], v[2:3]
	v_fma_f64 v[20:21], v[10:11], v[0:1], -v[20:21]
	v_mul_f64 v[10:11], v[10:11], v[2:3]
	v_fma_f64 v[10:11], v[12:13], v[0:1], v[10:11]
	buffer_load_dword v12, v36, s[0:3], 0 offen offset:512
	buffer_load_dword v13, v36, s[0:3], 0 offen offset:516
	;; [unrolled: 1-line block ×16, first 2 shown]
	s_waitcnt vmcnt(14)
	v_add_f64 v[12:13], v[12:13], -v[20:21]
	s_waitcnt vmcnt(12)
	v_add_f64 v[10:11], v[22:23], -v[10:11]
	buffer_store_dword v12, v36, s[0:3], 0 offen offset:512
	buffer_store_dword v13, v36, s[0:3], 0 offen offset:516
	buffer_store_dword v10, v36, s[0:3], 0 offen offset:520
	buffer_store_dword v11, v36, s[0:3], 0 offen offset:524
	ds_read2_b64 v[10:13], v5 offset0:2 offset1:3
	s_waitcnt lgkmcnt(0)
	v_mul_f64 v[20:21], v[12:13], v[2:3]
	v_fma_f64 v[20:21], v[10:11], v[0:1], -v[20:21]
	v_mul_f64 v[10:11], v[10:11], v[2:3]
	v_fma_f64 v[10:11], v[12:13], v[0:1], v[10:11]
	s_waitcnt vmcnt(14)
	v_add_f64 v[12:13], v[24:25], -v[20:21]
	s_waitcnt vmcnt(12)
	v_add_f64 v[10:11], v[26:27], -v[10:11]
	buffer_store_dword v12, v36, s[0:3], 0 offen offset:528
	buffer_store_dword v13, v36, s[0:3], 0 offen offset:532
	buffer_store_dword v10, v36, s[0:3], 0 offen offset:536
	buffer_store_dword v11, v36, s[0:3], 0 offen offset:540
	ds_read2_b64 v[10:13], v5 offset0:4 offset1:5
	s_waitcnt lgkmcnt(0)
	v_mul_f64 v[20:21], v[12:13], v[2:3]
	v_fma_f64 v[20:21], v[10:11], v[0:1], -v[20:21]
	v_mul_f64 v[10:11], v[10:11], v[2:3]
	v_fma_f64 v[10:11], v[12:13], v[0:1], v[10:11]
	;; [unrolled: 14-line block ×3, first 2 shown]
	s_waitcnt vmcnt(14)
	v_add_f64 v[12:13], v[32:33], -v[20:21]
	s_waitcnt vmcnt(12)
	v_add_f64 v[10:11], v[34:35], -v[10:11]
	buffer_store_dword v13, v36, s[0:3], 0 offen offset:564
	buffer_store_dword v12, v36, s[0:3], 0 offen offset:560
	;; [unrolled: 1-line block ×4, first 2 shown]
	s_cbranch_scc1 .LBB126_784
.LBB126_785:
	s_or_b64 exec, exec, s[4:5]
	v_mov_b32_e32 v3, s8
	s_waitcnt vmcnt(0)
	s_barrier
	buffer_load_dword v0, v3, s[0:3], 0 offen
	buffer_load_dword v1, v3, s[0:3], 0 offen offset:4
	buffer_load_dword v2, v3, s[0:3], 0 offen offset:8
	s_nop 0
	buffer_load_dword v3, v3, s[0:3], 0 offen offset:12
	v_lshl_add_u32 v4, v19, 4, v16
	s_cmp_lt_i32 s66, 34
	s_waitcnt vmcnt(0)
	ds_write2_b64 v4, v[0:1], v[2:3] offset1:1
	s_waitcnt lgkmcnt(0)
	s_barrier
	ds_read2_b64 v[0:3], v16 offset0:64 offset1:65
	v_mov_b32_e32 v4, 32
	s_cbranch_scc1 .LBB126_788
; %bb.786:
	v_add_u32_e32 v5, 0x210, v16
	s_mov_b32 s16, 33
	v_mov_b32_e32 v4, 32
.LBB126_787:                            ; =>This Inner Loop Header: Depth=1
	s_waitcnt lgkmcnt(0)
	v_cmp_gt_f64_e32 vcc, 0, v[2:3]
	v_cmp_gt_f64_e64 s[4:5], 0, v[0:1]
	ds_read2_b64 v[10:13], v5 offset1:1
	v_xor_b32_e32 v21, 0x80000000, v1
	v_xor_b32_e32 v23, 0x80000000, v3
	v_mov_b32_e32 v20, v0
	v_mov_b32_e32 v22, v2
	s_waitcnt lgkmcnt(0)
	v_xor_b32_e32 v25, 0x80000000, v13
	v_cndmask_b32_e32 v23, v3, v23, vcc
	v_cndmask_b32_e64 v21, v1, v21, s[4:5]
	v_cmp_gt_f64_e32 vcc, 0, v[12:13]
	v_cmp_gt_f64_e64 s[4:5], 0, v[10:11]
	v_add_f64 v[20:21], v[20:21], v[22:23]
	v_xor_b32_e32 v23, 0x80000000, v11
	v_mov_b32_e32 v22, v10
	v_mov_b32_e32 v24, v12
	v_add_u32_e32 v5, 16, v5
	v_cndmask_b32_e32 v25, v13, v25, vcc
	v_cndmask_b32_e64 v23, v11, v23, s[4:5]
	v_add_f64 v[22:23], v[22:23], v[24:25]
	v_mov_b32_e32 v24, s16
	s_add_i32 s16, s16, 1
	s_cmp_lg_u32 s66, s16
	v_cmp_lt_f64_e32 vcc, v[20:21], v[22:23]
	v_cndmask_b32_e32 v1, v1, v11, vcc
	v_cndmask_b32_e32 v0, v0, v10, vcc
	;; [unrolled: 1-line block ×5, first 2 shown]
	s_cbranch_scc1 .LBB126_787
.LBB126_788:
	s_waitcnt lgkmcnt(0)
	v_cmp_eq_f64_e32 vcc, 0, v[0:1]
	v_cmp_eq_f64_e64 s[4:5], 0, v[2:3]
	s_and_b64 s[4:5], vcc, s[4:5]
	s_and_saveexec_b64 s[16:17], s[4:5]
	s_xor_b64 s[4:5], exec, s[16:17]
; %bb.789:
	v_cmp_ne_u32_e32 vcc, 0, v17
	v_cndmask_b32_e32 v17, 33, v17, vcc
; %bb.790:
	s_andn2_saveexec_b64 s[4:5], s[4:5]
	s_cbranch_execz .LBB126_796
; %bb.791:
	v_cmp_ngt_f64_e64 s[16:17], |v[0:1]|, |v[2:3]|
	s_and_saveexec_b64 s[18:19], s[16:17]
	s_xor_b64 s[18:19], exec, s[18:19]
	s_cbranch_execz .LBB126_793
; %bb.792:
	v_div_scale_f64 v[10:11], s[16:17], v[2:3], v[2:3], v[0:1]
	v_rcp_f64_e32 v[12:13], v[10:11]
	v_fma_f64 v[20:21], -v[10:11], v[12:13], 1.0
	v_fma_f64 v[12:13], v[12:13], v[20:21], v[12:13]
	v_div_scale_f64 v[20:21], vcc, v[0:1], v[2:3], v[0:1]
	v_fma_f64 v[22:23], -v[10:11], v[12:13], 1.0
	v_fma_f64 v[12:13], v[12:13], v[22:23], v[12:13]
	v_mul_f64 v[22:23], v[20:21], v[12:13]
	v_fma_f64 v[10:11], -v[10:11], v[22:23], v[20:21]
	v_div_fmas_f64 v[10:11], v[10:11], v[12:13], v[22:23]
	v_div_fixup_f64 v[10:11], v[10:11], v[2:3], v[0:1]
	v_fma_f64 v[0:1], v[0:1], v[10:11], v[2:3]
	v_div_scale_f64 v[2:3], s[16:17], v[0:1], v[0:1], 1.0
	v_div_scale_f64 v[22:23], vcc, 1.0, v[0:1], 1.0
	v_rcp_f64_e32 v[12:13], v[2:3]
	v_fma_f64 v[20:21], -v[2:3], v[12:13], 1.0
	v_fma_f64 v[12:13], v[12:13], v[20:21], v[12:13]
	v_fma_f64 v[20:21], -v[2:3], v[12:13], 1.0
	v_fma_f64 v[12:13], v[12:13], v[20:21], v[12:13]
	v_mul_f64 v[20:21], v[22:23], v[12:13]
	v_fma_f64 v[2:3], -v[2:3], v[20:21], v[22:23]
	v_div_fmas_f64 v[2:3], v[2:3], v[12:13], v[20:21]
	v_div_fixup_f64 v[2:3], v[2:3], v[0:1], 1.0
	v_mul_f64 v[0:1], v[10:11], v[2:3]
	v_xor_b32_e32 v3, 0x80000000, v3
.LBB126_793:
	s_andn2_saveexec_b64 s[18:19], s[18:19]
	s_cbranch_execz .LBB126_795
; %bb.794:
	v_div_scale_f64 v[10:11], s[16:17], v[0:1], v[0:1], v[2:3]
	v_rcp_f64_e32 v[12:13], v[10:11]
	v_fma_f64 v[20:21], -v[10:11], v[12:13], 1.0
	v_fma_f64 v[12:13], v[12:13], v[20:21], v[12:13]
	v_div_scale_f64 v[20:21], vcc, v[2:3], v[0:1], v[2:3]
	v_fma_f64 v[22:23], -v[10:11], v[12:13], 1.0
	v_fma_f64 v[12:13], v[12:13], v[22:23], v[12:13]
	v_mul_f64 v[22:23], v[20:21], v[12:13]
	v_fma_f64 v[10:11], -v[10:11], v[22:23], v[20:21]
	v_div_fmas_f64 v[10:11], v[10:11], v[12:13], v[22:23]
	v_div_fixup_f64 v[10:11], v[10:11], v[0:1], v[2:3]
	v_fma_f64 v[0:1], v[2:3], v[10:11], v[0:1]
	v_div_scale_f64 v[2:3], s[16:17], v[0:1], v[0:1], 1.0
	v_div_scale_f64 v[22:23], vcc, 1.0, v[0:1], 1.0
	v_rcp_f64_e32 v[12:13], v[2:3]
	v_fma_f64 v[20:21], -v[2:3], v[12:13], 1.0
	v_fma_f64 v[12:13], v[12:13], v[20:21], v[12:13]
	v_fma_f64 v[20:21], -v[2:3], v[12:13], 1.0
	v_fma_f64 v[12:13], v[12:13], v[20:21], v[12:13]
	v_mul_f64 v[20:21], v[22:23], v[12:13]
	v_fma_f64 v[2:3], -v[2:3], v[20:21], v[22:23]
	v_div_fmas_f64 v[2:3], v[2:3], v[12:13], v[20:21]
	v_div_fixup_f64 v[0:1], v[2:3], v[0:1], 1.0
	v_mul_f64 v[2:3], v[10:11], -v[0:1]
.LBB126_795:
	s_or_b64 exec, exec, s[18:19]
.LBB126_796:
	s_or_b64 exec, exec, s[4:5]
	v_cmp_ne_u32_e32 vcc, v19, v4
	s_and_saveexec_b64 s[4:5], vcc
	s_xor_b64 s[4:5], exec, s[4:5]
	s_cbranch_execz .LBB126_802
; %bb.797:
	v_cmp_eq_u32_e32 vcc, 32, v19
	s_and_saveexec_b64 s[18:19], vcc
	s_cbranch_execz .LBB126_801
; %bb.798:
	v_cmp_ne_u32_e32 vcc, 32, v4
	s_xor_b64 s[16:17], s[10:11], -1
	s_and_b64 s[16:17], s[16:17], vcc
	s_and_saveexec_b64 s[24:25], s[16:17]
	s_cbranch_execz .LBB126_800
; %bb.799:
	v_ashrrev_i32_e32 v5, 31, v4
	v_lshlrev_b64 v[10:11], 2, v[4:5]
	v_add_co_u32_e32 v10, vcc, v8, v10
	v_addc_co_u32_e32 v11, vcc, v9, v11, vcc
	global_load_dword v5, v[10:11], off
	global_load_dword v12, v[8:9], off offset:128
	s_waitcnt vmcnt(1)
	global_store_dword v[8:9], v5, off offset:128
	s_waitcnt vmcnt(1)
	global_store_dword v[10:11], v12, off
.LBB126_800:
	s_or_b64 exec, exec, s[24:25]
	v_mov_b32_e32 v19, v4
	v_mov_b32_e32 v18, v4
.LBB126_801:
	s_or_b64 exec, exec, s[18:19]
.LBB126_802:
	s_andn2_saveexec_b64 s[4:5], s[4:5]
	s_cbranch_execz .LBB126_804
; %bb.803:
	v_mov_b32_e32 v11, s56
	buffer_load_dword v4, v11, s[0:3], 0 offen
	buffer_load_dword v5, v11, s[0:3], 0 offen offset:4
	buffer_load_dword v10, v11, s[0:3], 0 offen offset:8
	s_nop 0
	buffer_load_dword v11, v11, s[0:3], 0 offen offset:12
	v_mov_b32_e32 v19, 32
	s_waitcnt vmcnt(0)
	ds_write2_b64 v16, v[4:5], v[10:11] offset0:66 offset1:67
	v_mov_b32_e32 v11, s55
	buffer_load_dword v4, v11, s[0:3], 0 offen
	buffer_load_dword v5, v11, s[0:3], 0 offen offset:4
	buffer_load_dword v10, v11, s[0:3], 0 offen offset:8
	s_nop 0
	buffer_load_dword v11, v11, s[0:3], 0 offen offset:12
	s_waitcnt vmcnt(0)
	ds_write2_b64 v16, v[4:5], v[10:11] offset0:68 offset1:69
	v_mov_b32_e32 v11, s54
	buffer_load_dword v4, v11, s[0:3], 0 offen
	buffer_load_dword v5, v11, s[0:3], 0 offen offset:4
	buffer_load_dword v10, v11, s[0:3], 0 offen offset:8
	s_nop 0
	buffer_load_dword v11, v11, s[0:3], 0 offen offset:12
	;; [unrolled: 8-line block ×30, first 2 shown]
	s_waitcnt vmcnt(0)
	ds_write2_b64 v16, v[4:5], v[10:11] offset0:126 offset1:127
.LBB126_804:
	s_or_b64 exec, exec, s[4:5]
	v_cmp_lt_i32_e32 vcc, 32, v19
	s_waitcnt vmcnt(0) lgkmcnt(0)
	s_barrier
	s_and_saveexec_b64 s[4:5], vcc
	s_cbranch_execz .LBB126_809
; %bb.805:
	buffer_load_dword v4, off, s[0:3], 0 offset:520
	buffer_load_dword v5, off, s[0:3], 0 offset:524
	;; [unrolled: 1-line block ×4, first 2 shown]
	s_mov_b32 s16, 0
	s_waitcnt vmcnt(2)
	v_mul_f64 v[12:13], v[2:3], v[4:5]
	v_mul_f64 v[4:5], v[0:1], v[4:5]
	s_waitcnt vmcnt(0)
	v_fma_f64 v[0:1], v[0:1], v[10:11], -v[12:13]
	v_fma_f64 v[2:3], v[2:3], v[10:11], v[4:5]
	v_add_u32_e32 v4, 0x210, v16
	buffer_store_dword v0, off, s[0:3], 0 offset:512
	buffer_store_dword v1, off, s[0:3], 0 offset:516
	;; [unrolled: 1-line block ×4, first 2 shown]
	s_branch .LBB126_807
.LBB126_806:                            ;   in Loop: Header=BB126_807 Depth=1
	s_andn2_b64 vcc, exec, s[18:19]
	s_cbranch_vccz .LBB126_809
.LBB126_807:                            ; =>This Inner Loop Header: Depth=1
	v_mov_b32_e32 v52, s16
	buffer_load_dword v28, v52, s[0:3], 0 offen offset:528
	buffer_load_dword v29, v52, s[0:3], 0 offen offset:532
	;; [unrolled: 1-line block ×12, first 2 shown]
	v_add_u32_e32 v5, s16, v4
	ds_read2_b64 v[10:13], v5 offset1:1
	ds_read2_b64 v[20:23], v5 offset0:2 offset1:3
	ds_read2_b64 v[24:27], v5 offset0:4 offset1:5
	s_mov_b32 s17, s16
	s_cmpk_eq_i32 s16, 0x1c0
	s_waitcnt lgkmcnt(2)
	v_mul_f64 v[40:41], v[12:13], v[2:3]
	v_mul_f64 v[42:43], v[10:11], v[2:3]
	s_waitcnt lgkmcnt(1)
	v_mul_f64 v[44:45], v[22:23], v[2:3]
	v_mul_f64 v[46:47], v[20:21], v[2:3]
	;; [unrolled: 3-line block ×3, first 2 shown]
	s_mov_b64 s[18:19], -1
	v_fma_f64 v[10:11], v[10:11], v[0:1], -v[40:41]
	v_fma_f64 v[12:13], v[12:13], v[0:1], v[42:43]
	v_fma_f64 v[20:21], v[20:21], v[0:1], -v[44:45]
	v_fma_f64 v[22:23], v[22:23], v[0:1], v[46:47]
	;; [unrolled: 2-line block ×3, first 2 shown]
	s_waitcnt vmcnt(10)
	v_add_f64 v[10:11], v[28:29], -v[10:11]
	s_waitcnt vmcnt(8)
	v_add_f64 v[12:13], v[30:31], -v[12:13]
	;; [unrolled: 2-line block ×6, first 2 shown]
	buffer_store_dword v10, v52, s[0:3], 0 offen offset:528
	buffer_store_dword v11, v52, s[0:3], 0 offen offset:532
	;; [unrolled: 1-line block ×12, first 2 shown]
	s_cbranch_scc1 .LBB126_806
; %bb.808:                              ;   in Loop: Header=BB126_807 Depth=1
	v_mov_b32_e32 v28, s17
	buffer_load_dword v20, v28, s[0:3], 0 offen offset:576
	buffer_load_dword v21, v28, s[0:3], 0 offen offset:580
	;; [unrolled: 1-line block ×4, first 2 shown]
	ds_read2_b64 v[10:13], v5 offset0:6 offset1:7
	s_add_i32 s16, s16, 64
	s_mov_b64 s[18:19], 0
	s_waitcnt lgkmcnt(0)
	v_mul_f64 v[24:25], v[12:13], v[2:3]
	v_mul_f64 v[26:27], v[10:11], v[2:3]
	v_fma_f64 v[10:11], v[10:11], v[0:1], -v[24:25]
	v_fma_f64 v[12:13], v[12:13], v[0:1], v[26:27]
	s_waitcnt vmcnt(2)
	v_add_f64 v[10:11], v[20:21], -v[10:11]
	s_waitcnt vmcnt(0)
	v_add_f64 v[12:13], v[22:23], -v[12:13]
	buffer_store_dword v10, v28, s[0:3], 0 offen offset:576
	buffer_store_dword v11, v28, s[0:3], 0 offen offset:580
	buffer_store_dword v12, v28, s[0:3], 0 offen offset:584
	buffer_store_dword v13, v28, s[0:3], 0 offen offset:588
	s_branch .LBB126_806
.LBB126_809:
	s_or_b64 exec, exec, s[4:5]
	v_mov_b32_e32 v3, s56
	s_waitcnt vmcnt(0)
	s_barrier
	buffer_load_dword v0, v3, s[0:3], 0 offen
	buffer_load_dword v1, v3, s[0:3], 0 offen offset:4
	buffer_load_dword v2, v3, s[0:3], 0 offen offset:8
	s_nop 0
	buffer_load_dword v3, v3, s[0:3], 0 offen offset:12
	v_lshl_add_u32 v4, v19, 4, v16
	s_cmp_lt_i32 s66, 35
	s_waitcnt vmcnt(0)
	ds_write2_b64 v4, v[0:1], v[2:3] offset1:1
	s_waitcnt lgkmcnt(0)
	s_barrier
	ds_read2_b64 v[0:3], v16 offset0:66 offset1:67
	v_mov_b32_e32 v4, 33
	s_cbranch_scc1 .LBB126_812
; %bb.810:
	v_add_u32_e32 v5, 0x220, v16
	s_mov_b32 s16, 34
	v_mov_b32_e32 v4, 33
.LBB126_811:                            ; =>This Inner Loop Header: Depth=1
	s_waitcnt lgkmcnt(0)
	v_cmp_gt_f64_e32 vcc, 0, v[2:3]
	v_cmp_gt_f64_e64 s[4:5], 0, v[0:1]
	ds_read2_b64 v[10:13], v5 offset1:1
	v_xor_b32_e32 v21, 0x80000000, v1
	v_xor_b32_e32 v23, 0x80000000, v3
	v_mov_b32_e32 v20, v0
	v_mov_b32_e32 v22, v2
	s_waitcnt lgkmcnt(0)
	v_xor_b32_e32 v25, 0x80000000, v13
	v_cndmask_b32_e32 v23, v3, v23, vcc
	v_cndmask_b32_e64 v21, v1, v21, s[4:5]
	v_cmp_gt_f64_e32 vcc, 0, v[12:13]
	v_cmp_gt_f64_e64 s[4:5], 0, v[10:11]
	v_add_f64 v[20:21], v[20:21], v[22:23]
	v_xor_b32_e32 v23, 0x80000000, v11
	v_mov_b32_e32 v22, v10
	v_mov_b32_e32 v24, v12
	v_add_u32_e32 v5, 16, v5
	v_cndmask_b32_e32 v25, v13, v25, vcc
	v_cndmask_b32_e64 v23, v11, v23, s[4:5]
	v_add_f64 v[22:23], v[22:23], v[24:25]
	v_mov_b32_e32 v24, s16
	s_add_i32 s16, s16, 1
	s_cmp_lg_u32 s66, s16
	v_cmp_lt_f64_e32 vcc, v[20:21], v[22:23]
	v_cndmask_b32_e32 v1, v1, v11, vcc
	v_cndmask_b32_e32 v0, v0, v10, vcc
	;; [unrolled: 1-line block ×5, first 2 shown]
	s_cbranch_scc1 .LBB126_811
.LBB126_812:
	s_waitcnt lgkmcnt(0)
	v_cmp_eq_f64_e32 vcc, 0, v[0:1]
	v_cmp_eq_f64_e64 s[4:5], 0, v[2:3]
	s_and_b64 s[4:5], vcc, s[4:5]
	s_and_saveexec_b64 s[16:17], s[4:5]
	s_xor_b64 s[4:5], exec, s[16:17]
; %bb.813:
	v_cmp_ne_u32_e32 vcc, 0, v17
	v_cndmask_b32_e32 v17, 34, v17, vcc
; %bb.814:
	s_andn2_saveexec_b64 s[4:5], s[4:5]
	s_cbranch_execz .LBB126_820
; %bb.815:
	v_cmp_ngt_f64_e64 s[16:17], |v[0:1]|, |v[2:3]|
	s_and_saveexec_b64 s[18:19], s[16:17]
	s_xor_b64 s[18:19], exec, s[18:19]
	s_cbranch_execz .LBB126_817
; %bb.816:
	v_div_scale_f64 v[10:11], s[16:17], v[2:3], v[2:3], v[0:1]
	v_rcp_f64_e32 v[12:13], v[10:11]
	v_fma_f64 v[20:21], -v[10:11], v[12:13], 1.0
	v_fma_f64 v[12:13], v[12:13], v[20:21], v[12:13]
	v_div_scale_f64 v[20:21], vcc, v[0:1], v[2:3], v[0:1]
	v_fma_f64 v[22:23], -v[10:11], v[12:13], 1.0
	v_fma_f64 v[12:13], v[12:13], v[22:23], v[12:13]
	v_mul_f64 v[22:23], v[20:21], v[12:13]
	v_fma_f64 v[10:11], -v[10:11], v[22:23], v[20:21]
	v_div_fmas_f64 v[10:11], v[10:11], v[12:13], v[22:23]
	v_div_fixup_f64 v[10:11], v[10:11], v[2:3], v[0:1]
	v_fma_f64 v[0:1], v[0:1], v[10:11], v[2:3]
	v_div_scale_f64 v[2:3], s[16:17], v[0:1], v[0:1], 1.0
	v_div_scale_f64 v[22:23], vcc, 1.0, v[0:1], 1.0
	v_rcp_f64_e32 v[12:13], v[2:3]
	v_fma_f64 v[20:21], -v[2:3], v[12:13], 1.0
	v_fma_f64 v[12:13], v[12:13], v[20:21], v[12:13]
	v_fma_f64 v[20:21], -v[2:3], v[12:13], 1.0
	v_fma_f64 v[12:13], v[12:13], v[20:21], v[12:13]
	v_mul_f64 v[20:21], v[22:23], v[12:13]
	v_fma_f64 v[2:3], -v[2:3], v[20:21], v[22:23]
	v_div_fmas_f64 v[2:3], v[2:3], v[12:13], v[20:21]
	v_div_fixup_f64 v[2:3], v[2:3], v[0:1], 1.0
	v_mul_f64 v[0:1], v[10:11], v[2:3]
	v_xor_b32_e32 v3, 0x80000000, v3
.LBB126_817:
	s_andn2_saveexec_b64 s[18:19], s[18:19]
	s_cbranch_execz .LBB126_819
; %bb.818:
	v_div_scale_f64 v[10:11], s[16:17], v[0:1], v[0:1], v[2:3]
	v_rcp_f64_e32 v[12:13], v[10:11]
	v_fma_f64 v[20:21], -v[10:11], v[12:13], 1.0
	v_fma_f64 v[12:13], v[12:13], v[20:21], v[12:13]
	v_div_scale_f64 v[20:21], vcc, v[2:3], v[0:1], v[2:3]
	v_fma_f64 v[22:23], -v[10:11], v[12:13], 1.0
	v_fma_f64 v[12:13], v[12:13], v[22:23], v[12:13]
	v_mul_f64 v[22:23], v[20:21], v[12:13]
	v_fma_f64 v[10:11], -v[10:11], v[22:23], v[20:21]
	v_div_fmas_f64 v[10:11], v[10:11], v[12:13], v[22:23]
	v_div_fixup_f64 v[10:11], v[10:11], v[0:1], v[2:3]
	v_fma_f64 v[0:1], v[2:3], v[10:11], v[0:1]
	v_div_scale_f64 v[2:3], s[16:17], v[0:1], v[0:1], 1.0
	v_div_scale_f64 v[22:23], vcc, 1.0, v[0:1], 1.0
	v_rcp_f64_e32 v[12:13], v[2:3]
	v_fma_f64 v[20:21], -v[2:3], v[12:13], 1.0
	v_fma_f64 v[12:13], v[12:13], v[20:21], v[12:13]
	v_fma_f64 v[20:21], -v[2:3], v[12:13], 1.0
	v_fma_f64 v[12:13], v[12:13], v[20:21], v[12:13]
	v_mul_f64 v[20:21], v[22:23], v[12:13]
	v_fma_f64 v[2:3], -v[2:3], v[20:21], v[22:23]
	v_div_fmas_f64 v[2:3], v[2:3], v[12:13], v[20:21]
	v_div_fixup_f64 v[0:1], v[2:3], v[0:1], 1.0
	v_mul_f64 v[2:3], v[10:11], -v[0:1]
.LBB126_819:
	s_or_b64 exec, exec, s[18:19]
.LBB126_820:
	s_or_b64 exec, exec, s[4:5]
	v_cmp_ne_u32_e32 vcc, v19, v4
	s_and_saveexec_b64 s[4:5], vcc
	s_xor_b64 s[4:5], exec, s[4:5]
	s_cbranch_execz .LBB126_826
; %bb.821:
	v_cmp_eq_u32_e32 vcc, 33, v19
	s_and_saveexec_b64 s[18:19], vcc
	s_cbranch_execz .LBB126_825
; %bb.822:
	v_cmp_ne_u32_e32 vcc, 33, v4
	s_xor_b64 s[16:17], s[10:11], -1
	s_and_b64 s[16:17], s[16:17], vcc
	s_and_saveexec_b64 s[24:25], s[16:17]
	s_cbranch_execz .LBB126_824
; %bb.823:
	v_ashrrev_i32_e32 v5, 31, v4
	v_lshlrev_b64 v[10:11], 2, v[4:5]
	v_add_co_u32_e32 v10, vcc, v8, v10
	v_addc_co_u32_e32 v11, vcc, v9, v11, vcc
	global_load_dword v5, v[10:11], off
	global_load_dword v12, v[8:9], off offset:132
	s_waitcnt vmcnt(1)
	global_store_dword v[8:9], v5, off offset:132
	s_waitcnt vmcnt(1)
	global_store_dword v[10:11], v12, off
.LBB126_824:
	s_or_b64 exec, exec, s[24:25]
	v_mov_b32_e32 v19, v4
	v_mov_b32_e32 v18, v4
.LBB126_825:
	s_or_b64 exec, exec, s[18:19]
.LBB126_826:
	s_andn2_saveexec_b64 s[4:5], s[4:5]
	s_cbranch_execz .LBB126_828
; %bb.827:
	v_mov_b32_e32 v11, s55
	buffer_load_dword v4, v11, s[0:3], 0 offen
	buffer_load_dword v5, v11, s[0:3], 0 offen offset:4
	buffer_load_dword v10, v11, s[0:3], 0 offen offset:8
	s_nop 0
	buffer_load_dword v11, v11, s[0:3], 0 offen offset:12
	v_mov_b32_e32 v19, 33
	s_waitcnt vmcnt(0)
	ds_write2_b64 v16, v[4:5], v[10:11] offset0:68 offset1:69
	v_mov_b32_e32 v11, s54
	buffer_load_dword v4, v11, s[0:3], 0 offen
	buffer_load_dword v5, v11, s[0:3], 0 offen offset:4
	buffer_load_dword v10, v11, s[0:3], 0 offen offset:8
	s_nop 0
	buffer_load_dword v11, v11, s[0:3], 0 offen offset:12
	s_waitcnt vmcnt(0)
	ds_write2_b64 v16, v[4:5], v[10:11] offset0:70 offset1:71
	v_mov_b32_e32 v11, s53
	buffer_load_dword v4, v11, s[0:3], 0 offen
	buffer_load_dword v5, v11, s[0:3], 0 offen offset:4
	buffer_load_dword v10, v11, s[0:3], 0 offen offset:8
	s_nop 0
	buffer_load_dword v11, v11, s[0:3], 0 offen offset:12
	;; [unrolled: 8-line block ×29, first 2 shown]
	s_waitcnt vmcnt(0)
	ds_write2_b64 v16, v[4:5], v[10:11] offset0:126 offset1:127
.LBB126_828:
	s_or_b64 exec, exec, s[4:5]
	v_cmp_lt_i32_e32 vcc, 33, v19
	s_waitcnt vmcnt(0) lgkmcnt(0)
	s_barrier
	s_and_saveexec_b64 s[4:5], vcc
	s_cbranch_execz .LBB126_831
; %bb.829:
	buffer_load_dword v4, off, s[0:3], 0 offset:536
	buffer_load_dword v5, off, s[0:3], 0 offset:540
	;; [unrolled: 1-line block ×4, first 2 shown]
	s_mov_b32 s18, 0
	s_waitcnt vmcnt(2)
	v_mul_f64 v[12:13], v[2:3], v[4:5]
	v_mul_f64 v[4:5], v[0:1], v[4:5]
	s_waitcnt vmcnt(0)
	v_fma_f64 v[0:1], v[0:1], v[10:11], -v[12:13]
	v_fma_f64 v[2:3], v[2:3], v[10:11], v[4:5]
	v_add_u32_e32 v4, 0x220, v16
	buffer_store_dword v0, off, s[0:3], 0 offset:528
	buffer_store_dword v1, off, s[0:3], 0 offset:532
	;; [unrolled: 1-line block ×4, first 2 shown]
.LBB126_830:                            ; =>This Inner Loop Header: Depth=1
	v_add_u32_e32 v5, s18, v4
	ds_read2_b64 v[10:13], v5 offset1:1
	v_mov_b32_e32 v36, s18
	s_addk_i32 s18, 0x60
	s_cmpk_lg_i32 s18, 0x1e0
	s_waitcnt lgkmcnt(0)
	v_mul_f64 v[20:21], v[12:13], v[2:3]
	v_fma_f64 v[20:21], v[10:11], v[0:1], -v[20:21]
	v_mul_f64 v[10:11], v[10:11], v[2:3]
	v_fma_f64 v[10:11], v[12:13], v[0:1], v[10:11]
	buffer_load_dword v12, v36, s[0:3], 0 offen offset:544
	buffer_load_dword v13, v36, s[0:3], 0 offen offset:548
	;; [unrolled: 1-line block ×16, first 2 shown]
	s_waitcnt vmcnt(14)
	v_add_f64 v[12:13], v[12:13], -v[20:21]
	s_waitcnt vmcnt(12)
	v_add_f64 v[10:11], v[22:23], -v[10:11]
	buffer_store_dword v12, v36, s[0:3], 0 offen offset:544
	buffer_store_dword v13, v36, s[0:3], 0 offen offset:548
	buffer_store_dword v10, v36, s[0:3], 0 offen offset:552
	buffer_store_dword v11, v36, s[0:3], 0 offen offset:556
	ds_read2_b64 v[10:13], v5 offset0:2 offset1:3
	s_waitcnt lgkmcnt(0)
	v_mul_f64 v[20:21], v[12:13], v[2:3]
	v_fma_f64 v[20:21], v[10:11], v[0:1], -v[20:21]
	v_mul_f64 v[10:11], v[10:11], v[2:3]
	v_fma_f64 v[10:11], v[12:13], v[0:1], v[10:11]
	s_waitcnt vmcnt(14)
	v_add_f64 v[12:13], v[24:25], -v[20:21]
	s_waitcnt vmcnt(12)
	v_add_f64 v[10:11], v[26:27], -v[10:11]
	buffer_store_dword v12, v36, s[0:3], 0 offen offset:560
	buffer_store_dword v13, v36, s[0:3], 0 offen offset:564
	buffer_store_dword v10, v36, s[0:3], 0 offen offset:568
	buffer_store_dword v11, v36, s[0:3], 0 offen offset:572
	ds_read2_b64 v[10:13], v5 offset0:4 offset1:5
	s_waitcnt lgkmcnt(0)
	v_mul_f64 v[20:21], v[12:13], v[2:3]
	v_fma_f64 v[20:21], v[10:11], v[0:1], -v[20:21]
	v_mul_f64 v[10:11], v[10:11], v[2:3]
	v_fma_f64 v[10:11], v[12:13], v[0:1], v[10:11]
	;; [unrolled: 14-line block ×4, first 2 shown]
	buffer_load_dword v12, v36, s[0:3], 0 offen offset:608
	buffer_load_dword v13, v36, s[0:3], 0 offen offset:612
	;; [unrolled: 1-line block ×4, first 2 shown]
	s_waitcnt vmcnt(2)
	v_add_f64 v[12:13], v[12:13], -v[20:21]
	s_waitcnt vmcnt(0)
	v_add_f64 v[10:11], v[22:23], -v[10:11]
	buffer_store_dword v13, v36, s[0:3], 0 offen offset:612
	buffer_store_dword v12, v36, s[0:3], 0 offen offset:608
	;; [unrolled: 1-line block ×4, first 2 shown]
	ds_read2_b64 v[10:13], v5 offset0:10 offset1:11
	s_waitcnt lgkmcnt(0)
	v_mul_f64 v[20:21], v[12:13], v[2:3]
	v_fma_f64 v[20:21], v[10:11], v[0:1], -v[20:21]
	v_mul_f64 v[10:11], v[10:11], v[2:3]
	v_fma_f64 v[10:11], v[12:13], v[0:1], v[10:11]
	buffer_load_dword v12, v36, s[0:3], 0 offen offset:624
	buffer_load_dword v13, v36, s[0:3], 0 offen offset:628
	;; [unrolled: 1-line block ×4, first 2 shown]
	s_waitcnt vmcnt(2)
	v_add_f64 v[12:13], v[12:13], -v[20:21]
	s_waitcnt vmcnt(0)
	v_add_f64 v[10:11], v[22:23], -v[10:11]
	buffer_store_dword v13, v36, s[0:3], 0 offen offset:628
	buffer_store_dword v12, v36, s[0:3], 0 offen offset:624
	;; [unrolled: 1-line block ×4, first 2 shown]
	s_cbranch_scc1 .LBB126_830
.LBB126_831:
	s_or_b64 exec, exec, s[4:5]
	v_mov_b32_e32 v3, s55
	s_waitcnt vmcnt(0)
	s_barrier
	buffer_load_dword v0, v3, s[0:3], 0 offen
	buffer_load_dword v1, v3, s[0:3], 0 offen offset:4
	buffer_load_dword v2, v3, s[0:3], 0 offen offset:8
	s_nop 0
	buffer_load_dword v3, v3, s[0:3], 0 offen offset:12
	v_lshl_add_u32 v4, v19, 4, v16
	s_cmp_lt_i32 s66, 36
	s_waitcnt vmcnt(0)
	ds_write2_b64 v4, v[0:1], v[2:3] offset1:1
	s_waitcnt lgkmcnt(0)
	s_barrier
	ds_read2_b64 v[0:3], v16 offset0:68 offset1:69
	v_mov_b32_e32 v4, 34
	s_cbranch_scc1 .LBB126_834
; %bb.832:
	v_add_u32_e32 v5, 0x230, v16
	s_mov_b32 s16, 35
	v_mov_b32_e32 v4, 34
.LBB126_833:                            ; =>This Inner Loop Header: Depth=1
	s_waitcnt lgkmcnt(0)
	v_cmp_gt_f64_e32 vcc, 0, v[2:3]
	v_cmp_gt_f64_e64 s[4:5], 0, v[0:1]
	ds_read2_b64 v[10:13], v5 offset1:1
	v_xor_b32_e32 v21, 0x80000000, v1
	v_xor_b32_e32 v23, 0x80000000, v3
	v_mov_b32_e32 v20, v0
	v_mov_b32_e32 v22, v2
	s_waitcnt lgkmcnt(0)
	v_xor_b32_e32 v25, 0x80000000, v13
	v_cndmask_b32_e32 v23, v3, v23, vcc
	v_cndmask_b32_e64 v21, v1, v21, s[4:5]
	v_cmp_gt_f64_e32 vcc, 0, v[12:13]
	v_cmp_gt_f64_e64 s[4:5], 0, v[10:11]
	v_add_f64 v[20:21], v[20:21], v[22:23]
	v_xor_b32_e32 v23, 0x80000000, v11
	v_mov_b32_e32 v22, v10
	v_mov_b32_e32 v24, v12
	v_add_u32_e32 v5, 16, v5
	v_cndmask_b32_e32 v25, v13, v25, vcc
	v_cndmask_b32_e64 v23, v11, v23, s[4:5]
	v_add_f64 v[22:23], v[22:23], v[24:25]
	v_mov_b32_e32 v24, s16
	s_add_i32 s16, s16, 1
	s_cmp_lg_u32 s66, s16
	v_cmp_lt_f64_e32 vcc, v[20:21], v[22:23]
	v_cndmask_b32_e32 v1, v1, v11, vcc
	v_cndmask_b32_e32 v0, v0, v10, vcc
	;; [unrolled: 1-line block ×5, first 2 shown]
	s_cbranch_scc1 .LBB126_833
.LBB126_834:
	s_waitcnt lgkmcnt(0)
	v_cmp_eq_f64_e32 vcc, 0, v[0:1]
	v_cmp_eq_f64_e64 s[4:5], 0, v[2:3]
	s_and_b64 s[4:5], vcc, s[4:5]
	s_and_saveexec_b64 s[16:17], s[4:5]
	s_xor_b64 s[4:5], exec, s[16:17]
; %bb.835:
	v_cmp_ne_u32_e32 vcc, 0, v17
	v_cndmask_b32_e32 v17, 35, v17, vcc
; %bb.836:
	s_andn2_saveexec_b64 s[4:5], s[4:5]
	s_cbranch_execz .LBB126_842
; %bb.837:
	v_cmp_ngt_f64_e64 s[16:17], |v[0:1]|, |v[2:3]|
	s_and_saveexec_b64 s[18:19], s[16:17]
	s_xor_b64 s[18:19], exec, s[18:19]
	s_cbranch_execz .LBB126_839
; %bb.838:
	v_div_scale_f64 v[10:11], s[16:17], v[2:3], v[2:3], v[0:1]
	v_rcp_f64_e32 v[12:13], v[10:11]
	v_fma_f64 v[20:21], -v[10:11], v[12:13], 1.0
	v_fma_f64 v[12:13], v[12:13], v[20:21], v[12:13]
	v_div_scale_f64 v[20:21], vcc, v[0:1], v[2:3], v[0:1]
	v_fma_f64 v[22:23], -v[10:11], v[12:13], 1.0
	v_fma_f64 v[12:13], v[12:13], v[22:23], v[12:13]
	v_mul_f64 v[22:23], v[20:21], v[12:13]
	v_fma_f64 v[10:11], -v[10:11], v[22:23], v[20:21]
	v_div_fmas_f64 v[10:11], v[10:11], v[12:13], v[22:23]
	v_div_fixup_f64 v[10:11], v[10:11], v[2:3], v[0:1]
	v_fma_f64 v[0:1], v[0:1], v[10:11], v[2:3]
	v_div_scale_f64 v[2:3], s[16:17], v[0:1], v[0:1], 1.0
	v_div_scale_f64 v[22:23], vcc, 1.0, v[0:1], 1.0
	v_rcp_f64_e32 v[12:13], v[2:3]
	v_fma_f64 v[20:21], -v[2:3], v[12:13], 1.0
	v_fma_f64 v[12:13], v[12:13], v[20:21], v[12:13]
	v_fma_f64 v[20:21], -v[2:3], v[12:13], 1.0
	v_fma_f64 v[12:13], v[12:13], v[20:21], v[12:13]
	v_mul_f64 v[20:21], v[22:23], v[12:13]
	v_fma_f64 v[2:3], -v[2:3], v[20:21], v[22:23]
	v_div_fmas_f64 v[2:3], v[2:3], v[12:13], v[20:21]
	v_div_fixup_f64 v[2:3], v[2:3], v[0:1], 1.0
	v_mul_f64 v[0:1], v[10:11], v[2:3]
	v_xor_b32_e32 v3, 0x80000000, v3
.LBB126_839:
	s_andn2_saveexec_b64 s[18:19], s[18:19]
	s_cbranch_execz .LBB126_841
; %bb.840:
	v_div_scale_f64 v[10:11], s[16:17], v[0:1], v[0:1], v[2:3]
	v_rcp_f64_e32 v[12:13], v[10:11]
	v_fma_f64 v[20:21], -v[10:11], v[12:13], 1.0
	v_fma_f64 v[12:13], v[12:13], v[20:21], v[12:13]
	v_div_scale_f64 v[20:21], vcc, v[2:3], v[0:1], v[2:3]
	v_fma_f64 v[22:23], -v[10:11], v[12:13], 1.0
	v_fma_f64 v[12:13], v[12:13], v[22:23], v[12:13]
	v_mul_f64 v[22:23], v[20:21], v[12:13]
	v_fma_f64 v[10:11], -v[10:11], v[22:23], v[20:21]
	v_div_fmas_f64 v[10:11], v[10:11], v[12:13], v[22:23]
	v_div_fixup_f64 v[10:11], v[10:11], v[0:1], v[2:3]
	v_fma_f64 v[0:1], v[2:3], v[10:11], v[0:1]
	v_div_scale_f64 v[2:3], s[16:17], v[0:1], v[0:1], 1.0
	v_div_scale_f64 v[22:23], vcc, 1.0, v[0:1], 1.0
	v_rcp_f64_e32 v[12:13], v[2:3]
	v_fma_f64 v[20:21], -v[2:3], v[12:13], 1.0
	v_fma_f64 v[12:13], v[12:13], v[20:21], v[12:13]
	v_fma_f64 v[20:21], -v[2:3], v[12:13], 1.0
	v_fma_f64 v[12:13], v[12:13], v[20:21], v[12:13]
	v_mul_f64 v[20:21], v[22:23], v[12:13]
	v_fma_f64 v[2:3], -v[2:3], v[20:21], v[22:23]
	v_div_fmas_f64 v[2:3], v[2:3], v[12:13], v[20:21]
	v_div_fixup_f64 v[0:1], v[2:3], v[0:1], 1.0
	v_mul_f64 v[2:3], v[10:11], -v[0:1]
.LBB126_841:
	s_or_b64 exec, exec, s[18:19]
.LBB126_842:
	s_or_b64 exec, exec, s[4:5]
	v_cmp_ne_u32_e32 vcc, v19, v4
	s_and_saveexec_b64 s[4:5], vcc
	s_xor_b64 s[4:5], exec, s[4:5]
	s_cbranch_execz .LBB126_848
; %bb.843:
	v_cmp_eq_u32_e32 vcc, 34, v19
	s_and_saveexec_b64 s[18:19], vcc
	s_cbranch_execz .LBB126_847
; %bb.844:
	v_cmp_ne_u32_e32 vcc, 34, v4
	s_xor_b64 s[16:17], s[10:11], -1
	s_and_b64 s[16:17], s[16:17], vcc
	s_and_saveexec_b64 s[24:25], s[16:17]
	s_cbranch_execz .LBB126_846
; %bb.845:
	v_ashrrev_i32_e32 v5, 31, v4
	v_lshlrev_b64 v[10:11], 2, v[4:5]
	v_add_co_u32_e32 v10, vcc, v8, v10
	v_addc_co_u32_e32 v11, vcc, v9, v11, vcc
	global_load_dword v5, v[10:11], off
	global_load_dword v12, v[8:9], off offset:136
	s_waitcnt vmcnt(1)
	global_store_dword v[8:9], v5, off offset:136
	s_waitcnt vmcnt(1)
	global_store_dword v[10:11], v12, off
.LBB126_846:
	s_or_b64 exec, exec, s[24:25]
	v_mov_b32_e32 v19, v4
	v_mov_b32_e32 v18, v4
.LBB126_847:
	s_or_b64 exec, exec, s[18:19]
.LBB126_848:
	s_andn2_saveexec_b64 s[4:5], s[4:5]
	s_cbranch_execz .LBB126_850
; %bb.849:
	v_mov_b32_e32 v11, s54
	buffer_load_dword v4, v11, s[0:3], 0 offen
	buffer_load_dword v5, v11, s[0:3], 0 offen offset:4
	buffer_load_dword v10, v11, s[0:3], 0 offen offset:8
	s_nop 0
	buffer_load_dword v11, v11, s[0:3], 0 offen offset:12
	v_mov_b32_e32 v19, 34
	s_waitcnt vmcnt(0)
	ds_write2_b64 v16, v[4:5], v[10:11] offset0:70 offset1:71
	v_mov_b32_e32 v11, s53
	buffer_load_dword v4, v11, s[0:3], 0 offen
	buffer_load_dword v5, v11, s[0:3], 0 offen offset:4
	buffer_load_dword v10, v11, s[0:3], 0 offen offset:8
	s_nop 0
	buffer_load_dword v11, v11, s[0:3], 0 offen offset:12
	s_waitcnt vmcnt(0)
	ds_write2_b64 v16, v[4:5], v[10:11] offset0:72 offset1:73
	v_mov_b32_e32 v11, s52
	buffer_load_dword v4, v11, s[0:3], 0 offen
	buffer_load_dword v5, v11, s[0:3], 0 offen offset:4
	buffer_load_dword v10, v11, s[0:3], 0 offen offset:8
	s_nop 0
	buffer_load_dword v11, v11, s[0:3], 0 offen offset:12
	;; [unrolled: 8-line block ×28, first 2 shown]
	s_waitcnt vmcnt(0)
	ds_write2_b64 v16, v[4:5], v[10:11] offset0:126 offset1:127
.LBB126_850:
	s_or_b64 exec, exec, s[4:5]
	v_cmp_lt_i32_e32 vcc, 34, v19
	s_waitcnt vmcnt(0) lgkmcnt(0)
	s_barrier
	s_and_saveexec_b64 s[4:5], vcc
	s_cbranch_execz .LBB126_852
; %bb.851:
	buffer_load_dword v10, off, s[0:3], 0 offset:544
	buffer_load_dword v11, off, s[0:3], 0 offset:548
	;; [unrolled: 1-line block ×16, first 2 shown]
	s_waitcnt vmcnt(12)
	v_mul_f64 v[4:5], v[2:3], v[12:13]
	v_fma_f64 v[4:5], v[0:1], v[10:11], -v[4:5]
	v_mul_f64 v[0:1], v[0:1], v[12:13]
	v_fma_f64 v[10:11], v[2:3], v[10:11], v[0:1]
	buffer_store_dword v4, off, s[0:3], 0 offset:544
	buffer_store_dword v5, off, s[0:3], 0 offset:548
	buffer_store_dword v10, off, s[0:3], 0 offset:552
	buffer_store_dword v11, off, s[0:3], 0 offset:556
	ds_read2_b64 v[0:3], v16 offset0:70 offset1:71
	s_waitcnt lgkmcnt(0)
	v_mul_f64 v[12:13], v[2:3], v[10:11]
	v_fma_f64 v[12:13], v[0:1], v[4:5], -v[12:13]
	v_mul_f64 v[0:1], v[0:1], v[10:11]
	v_fma_f64 v[0:1], v[2:3], v[4:5], v[0:1]
	s_waitcnt vmcnt(14)
	v_add_f64 v[2:3], v[20:21], -v[12:13]
	s_waitcnt vmcnt(12)
	v_add_f64 v[0:1], v[22:23], -v[0:1]
	buffer_store_dword v2, off, s[0:3], 0 offset:560
	buffer_store_dword v3, off, s[0:3], 0 offset:564
	buffer_store_dword v0, off, s[0:3], 0 offset:568
	buffer_store_dword v1, off, s[0:3], 0 offset:572
	ds_read2_b64 v[0:3], v16 offset0:72 offset1:73
	s_waitcnt lgkmcnt(0)
	v_mul_f64 v[12:13], v[2:3], v[10:11]
	v_fma_f64 v[12:13], v[0:1], v[4:5], -v[12:13]
	v_mul_f64 v[0:1], v[0:1], v[10:11]
	v_fma_f64 v[0:1], v[2:3], v[4:5], v[0:1]
	s_waitcnt vmcnt(14)
	v_add_f64 v[2:3], v[24:25], -v[12:13]
	s_waitcnt vmcnt(12)
	v_add_f64 v[0:1], v[26:27], -v[0:1]
	;; [unrolled: 14-line block ×3, first 2 shown]
	buffer_store_dword v3, off, s[0:3], 0 offset:596
	buffer_store_dword v2, off, s[0:3], 0 offset:592
	buffer_store_dword v0, off, s[0:3], 0 offset:600
	buffer_store_dword v1, off, s[0:3], 0 offset:604
	ds_read2_b64 v[0:3], v16 offset0:76 offset1:77
	s_waitcnt lgkmcnt(0)
	v_mul_f64 v[12:13], v[2:3], v[10:11]
	v_fma_f64 v[12:13], v[0:1], v[4:5], -v[12:13]
	v_mul_f64 v[0:1], v[0:1], v[10:11]
	v_fma_f64 v[0:1], v[2:3], v[4:5], v[0:1]
	buffer_load_dword v2, off, s[0:3], 0 offset:608
	buffer_load_dword v3, off, s[0:3], 0 offset:612
	buffer_load_dword v20, off, s[0:3], 0 offset:616
	buffer_load_dword v21, off, s[0:3], 0 offset:620
	s_waitcnt vmcnt(2)
	v_add_f64 v[2:3], v[2:3], -v[12:13]
	s_waitcnt vmcnt(0)
	v_add_f64 v[0:1], v[20:21], -v[0:1]
	buffer_store_dword v3, off, s[0:3], 0 offset:612
	buffer_store_dword v2, off, s[0:3], 0 offset:608
	buffer_store_dword v1, off, s[0:3], 0 offset:620
	buffer_store_dword v0, off, s[0:3], 0 offset:616
	ds_read2_b64 v[0:3], v16 offset0:78 offset1:79
	s_waitcnt lgkmcnt(0)
	v_mul_f64 v[12:13], v[2:3], v[10:11]
	v_fma_f64 v[12:13], v[0:1], v[4:5], -v[12:13]
	v_mul_f64 v[0:1], v[0:1], v[10:11]
	v_fma_f64 v[0:1], v[2:3], v[4:5], v[0:1]
	buffer_load_dword v2, off, s[0:3], 0 offset:624
	buffer_load_dword v3, off, s[0:3], 0 offset:628
	buffer_load_dword v20, off, s[0:3], 0 offset:632
	buffer_load_dword v21, off, s[0:3], 0 offset:636
	s_waitcnt vmcnt(2)
	v_add_f64 v[2:3], v[2:3], -v[12:13]
	s_waitcnt vmcnt(0)
	v_add_f64 v[0:1], v[20:21], -v[0:1]
	;; [unrolled: 18-line block ×3, first 2 shown]
	buffer_store_dword v3, off, s[0:3], 0 offset:644
	buffer_store_dword v2, off, s[0:3], 0 offset:640
	;; [unrolled: 1-line block ×4, first 2 shown]
	ds_read2_b64 v[2:5], v16 offset0:82 offset1:83
	buffer_load_dword v0, off, s[0:3], 0 offset:544
	buffer_load_dword v1, off, s[0:3], 0 offset:548
	;; [unrolled: 1-line block ×4, first 2 shown]
	s_waitcnt vmcnt(0) lgkmcnt(0)
	v_mul_f64 v[12:13], v[4:5], v[10:11]
	v_fma_f64 v[12:13], v[2:3], v[0:1], -v[12:13]
	v_mul_f64 v[2:3], v[2:3], v[10:11]
	v_fma_f64 v[2:3], v[4:5], v[0:1], v[2:3]
	buffer_load_dword v5, off, s[0:3], 0 offset:660
	buffer_load_dword v4, off, s[0:3], 0 offset:656
	s_waitcnt vmcnt(0)
	v_add_f64 v[4:5], v[4:5], -v[12:13]
	buffer_load_dword v13, off, s[0:3], 0 offset:668
	buffer_load_dword v12, off, s[0:3], 0 offset:664
	s_waitcnt vmcnt(0)
	v_add_f64 v[2:3], v[12:13], -v[2:3]
	buffer_store_dword v5, off, s[0:3], 0 offset:660
	buffer_store_dword v4, off, s[0:3], 0 offset:656
	buffer_store_dword v3, off, s[0:3], 0 offset:668
	buffer_store_dword v2, off, s[0:3], 0 offset:664
	ds_read2_b64 v[2:5], v16 offset0:84 offset1:85
	s_waitcnt lgkmcnt(0)
	v_mul_f64 v[12:13], v[4:5], v[10:11]
	v_fma_f64 v[12:13], v[2:3], v[0:1], -v[12:13]
	v_mul_f64 v[2:3], v[2:3], v[10:11]
	v_fma_f64 v[2:3], v[4:5], v[0:1], v[2:3]
	buffer_load_dword v4, off, s[0:3], 0 offset:672
	buffer_load_dword v5, off, s[0:3], 0 offset:676
	buffer_load_dword v20, off, s[0:3], 0 offset:680
	buffer_load_dword v21, off, s[0:3], 0 offset:684
	s_waitcnt vmcnt(2)
	v_add_f64 v[4:5], v[4:5], -v[12:13]
	s_waitcnt vmcnt(0)
	v_add_f64 v[2:3], v[20:21], -v[2:3]
	buffer_store_dword v5, off, s[0:3], 0 offset:676
	buffer_store_dword v4, off, s[0:3], 0 offset:672
	buffer_store_dword v3, off, s[0:3], 0 offset:684
	buffer_store_dword v2, off, s[0:3], 0 offset:680
	ds_read2_b64 v[2:5], v16 offset0:86 offset1:87
	s_waitcnt lgkmcnt(0)
	v_mul_f64 v[12:13], v[4:5], v[10:11]
	v_fma_f64 v[12:13], v[2:3], v[0:1], -v[12:13]
	v_mul_f64 v[2:3], v[2:3], v[10:11]
	v_fma_f64 v[2:3], v[4:5], v[0:1], v[2:3]
	buffer_load_dword v4, off, s[0:3], 0 offset:688
	buffer_load_dword v5, off, s[0:3], 0 offset:692
	buffer_load_dword v20, off, s[0:3], 0 offset:696
	buffer_load_dword v21, off, s[0:3], 0 offset:700
	s_waitcnt vmcnt(2)
	v_add_f64 v[4:5], v[4:5], -v[12:13]
	;; [unrolled: 18-line block ×5, first 2 shown]
	s_waitcnt vmcnt(0)
	v_add_f64 v[0:1], v[4:5], -v[0:1]
	buffer_store_dword v3, off, s[0:3], 0 offset:740
	buffer_store_dword v2, off, s[0:3], 0 offset:736
	;; [unrolled: 1-line block ×4, first 2 shown]
	ds_read2_b64 v[0:3], v16 offset0:94 offset1:95
	buffer_load_dword v4, off, s[0:3], 0 offset:544
	buffer_load_dword v5, off, s[0:3], 0 offset:548
	;; [unrolled: 1-line block ×4, first 2 shown]
	s_waitcnt vmcnt(0) lgkmcnt(0)
	v_mul_f64 v[12:13], v[2:3], v[10:11]
	v_fma_f64 v[12:13], v[0:1], v[4:5], -v[12:13]
	v_mul_f64 v[0:1], v[0:1], v[10:11]
	v_fma_f64 v[0:1], v[2:3], v[4:5], v[0:1]
	buffer_load_dword v3, off, s[0:3], 0 offset:756
	buffer_load_dword v2, off, s[0:3], 0 offset:752
	s_waitcnt vmcnt(0)
	v_add_f64 v[2:3], v[2:3], -v[12:13]
	buffer_load_dword v13, off, s[0:3], 0 offset:764
	buffer_load_dword v12, off, s[0:3], 0 offset:760
	s_waitcnt vmcnt(0)
	v_add_f64 v[0:1], v[12:13], -v[0:1]
	buffer_store_dword v3, off, s[0:3], 0 offset:756
	buffer_store_dword v2, off, s[0:3], 0 offset:752
	buffer_store_dword v1, off, s[0:3], 0 offset:764
	buffer_store_dword v0, off, s[0:3], 0 offset:760
	ds_read2_b64 v[0:3], v16 offset0:96 offset1:97
	s_waitcnt lgkmcnt(0)
	v_mul_f64 v[12:13], v[2:3], v[10:11]
	v_fma_f64 v[12:13], v[0:1], v[4:5], -v[12:13]
	v_mul_f64 v[0:1], v[0:1], v[10:11]
	v_fma_f64 v[0:1], v[2:3], v[4:5], v[0:1]
	buffer_load_dword v2, off, s[0:3], 0 offset:768
	buffer_load_dword v3, off, s[0:3], 0 offset:772
	buffer_load_dword v20, off, s[0:3], 0 offset:776
	buffer_load_dword v21, off, s[0:3], 0 offset:780
	s_waitcnt vmcnt(2)
	v_add_f64 v[2:3], v[2:3], -v[12:13]
	s_waitcnt vmcnt(0)
	v_add_f64 v[0:1], v[20:21], -v[0:1]
	buffer_store_dword v3, off, s[0:3], 0 offset:772
	buffer_store_dword v2, off, s[0:3], 0 offset:768
	buffer_store_dword v1, off, s[0:3], 0 offset:780
	buffer_store_dword v0, off, s[0:3], 0 offset:776
	ds_read2_b64 v[0:3], v16 offset0:98 offset1:99
	s_waitcnt lgkmcnt(0)
	v_mul_f64 v[12:13], v[2:3], v[10:11]
	v_fma_f64 v[12:13], v[0:1], v[4:5], -v[12:13]
	v_mul_f64 v[0:1], v[0:1], v[10:11]
	v_fma_f64 v[0:1], v[2:3], v[4:5], v[0:1]
	buffer_load_dword v2, off, s[0:3], 0 offset:784
	buffer_load_dword v3, off, s[0:3], 0 offset:788
	buffer_load_dword v20, off, s[0:3], 0 offset:792
	buffer_load_dword v21, off, s[0:3], 0 offset:796
	s_waitcnt vmcnt(2)
	v_add_f64 v[2:3], v[2:3], -v[12:13]
	;; [unrolled: 18-line block ×5, first 2 shown]
	s_waitcnt vmcnt(0)
	v_add_f64 v[0:1], v[4:5], -v[0:1]
	buffer_store_dword v3, off, s[0:3], 0 offset:836
	buffer_store_dword v2, off, s[0:3], 0 offset:832
	;; [unrolled: 1-line block ×4, first 2 shown]
	ds_read2_b64 v[0:3], v16 offset0:106 offset1:107
	buffer_load_dword v4, off, s[0:3], 0 offset:544
	buffer_load_dword v5, off, s[0:3], 0 offset:548
	buffer_load_dword v10, off, s[0:3], 0 offset:552
	buffer_load_dword v11, off, s[0:3], 0 offset:556
	s_waitcnt vmcnt(0) lgkmcnt(0)
	v_mul_f64 v[12:13], v[2:3], v[10:11]
	v_fma_f64 v[12:13], v[0:1], v[4:5], -v[12:13]
	v_mul_f64 v[0:1], v[0:1], v[10:11]
	v_fma_f64 v[0:1], v[2:3], v[4:5], v[0:1]
	buffer_load_dword v3, off, s[0:3], 0 offset:852
	buffer_load_dword v2, off, s[0:3], 0 offset:848
	s_waitcnt vmcnt(0)
	v_add_f64 v[2:3], v[2:3], -v[12:13]
	buffer_load_dword v13, off, s[0:3], 0 offset:860
	buffer_load_dword v12, off, s[0:3], 0 offset:856
	s_waitcnt vmcnt(0)
	v_add_f64 v[0:1], v[12:13], -v[0:1]
	buffer_store_dword v3, off, s[0:3], 0 offset:852
	buffer_store_dword v2, off, s[0:3], 0 offset:848
	buffer_store_dword v1, off, s[0:3], 0 offset:860
	buffer_store_dword v0, off, s[0:3], 0 offset:856
	ds_read2_b64 v[0:3], v16 offset0:108 offset1:109
	s_waitcnt lgkmcnt(0)
	v_mul_f64 v[12:13], v[2:3], v[10:11]
	v_fma_f64 v[12:13], v[0:1], v[4:5], -v[12:13]
	v_mul_f64 v[0:1], v[0:1], v[10:11]
	v_fma_f64 v[0:1], v[2:3], v[4:5], v[0:1]
	buffer_load_dword v2, off, s[0:3], 0 offset:864
	buffer_load_dword v3, off, s[0:3], 0 offset:868
	buffer_load_dword v20, off, s[0:3], 0 offset:872
	buffer_load_dword v21, off, s[0:3], 0 offset:876
	s_waitcnt vmcnt(2)
	v_add_f64 v[2:3], v[2:3], -v[12:13]
	s_waitcnt vmcnt(0)
	v_add_f64 v[0:1], v[20:21], -v[0:1]
	buffer_store_dword v3, off, s[0:3], 0 offset:868
	buffer_store_dword v2, off, s[0:3], 0 offset:864
	buffer_store_dword v1, off, s[0:3], 0 offset:876
	buffer_store_dword v0, off, s[0:3], 0 offset:872
	ds_read2_b64 v[0:3], v16 offset0:110 offset1:111
	s_waitcnt lgkmcnt(0)
	v_mul_f64 v[12:13], v[2:3], v[10:11]
	v_fma_f64 v[12:13], v[0:1], v[4:5], -v[12:13]
	v_mul_f64 v[0:1], v[0:1], v[10:11]
	v_fma_f64 v[0:1], v[2:3], v[4:5], v[0:1]
	buffer_load_dword v2, off, s[0:3], 0 offset:880
	buffer_load_dword v3, off, s[0:3], 0 offset:884
	buffer_load_dword v20, off, s[0:3], 0 offset:888
	buffer_load_dword v21, off, s[0:3], 0 offset:892
	s_waitcnt vmcnt(2)
	v_add_f64 v[2:3], v[2:3], -v[12:13]
	;; [unrolled: 18-line block ×5, first 2 shown]
	s_waitcnt vmcnt(0)
	v_add_f64 v[0:1], v[4:5], -v[0:1]
	buffer_store_dword v3, off, s[0:3], 0 offset:932
	buffer_store_dword v2, off, s[0:3], 0 offset:928
	;; [unrolled: 1-line block ×4, first 2 shown]
	ds_read2_b64 v[0:3], v16 offset0:118 offset1:119
	buffer_load_dword v4, off, s[0:3], 0 offset:544
	buffer_load_dword v5, off, s[0:3], 0 offset:548
	;; [unrolled: 1-line block ×4, first 2 shown]
	s_waitcnt vmcnt(0) lgkmcnt(0)
	v_mul_f64 v[12:13], v[2:3], v[10:11]
	v_fma_f64 v[12:13], v[0:1], v[4:5], -v[12:13]
	v_mul_f64 v[0:1], v[0:1], v[10:11]
	v_fma_f64 v[0:1], v[2:3], v[4:5], v[0:1]
	buffer_load_dword v3, off, s[0:3], 0 offset:948
	buffer_load_dword v2, off, s[0:3], 0 offset:944
	s_waitcnt vmcnt(0)
	v_add_f64 v[2:3], v[2:3], -v[12:13]
	buffer_load_dword v13, off, s[0:3], 0 offset:956
	buffer_load_dword v12, off, s[0:3], 0 offset:952
	s_waitcnt vmcnt(0)
	v_add_f64 v[0:1], v[12:13], -v[0:1]
	buffer_store_dword v3, off, s[0:3], 0 offset:948
	buffer_store_dword v2, off, s[0:3], 0 offset:944
	buffer_store_dword v1, off, s[0:3], 0 offset:956
	buffer_store_dword v0, off, s[0:3], 0 offset:952
	ds_read2_b64 v[0:3], v16 offset0:120 offset1:121
	s_waitcnt lgkmcnt(0)
	v_mul_f64 v[12:13], v[2:3], v[10:11]
	v_fma_f64 v[12:13], v[0:1], v[4:5], -v[12:13]
	v_mul_f64 v[0:1], v[0:1], v[10:11]
	v_fma_f64 v[0:1], v[2:3], v[4:5], v[0:1]
	buffer_load_dword v2, off, s[0:3], 0 offset:960
	buffer_load_dword v3, off, s[0:3], 0 offset:964
	buffer_load_dword v20, off, s[0:3], 0 offset:968
	buffer_load_dword v21, off, s[0:3], 0 offset:972
	s_waitcnt vmcnt(2)
	v_add_f64 v[2:3], v[2:3], -v[12:13]
	s_waitcnt vmcnt(0)
	v_add_f64 v[0:1], v[20:21], -v[0:1]
	buffer_store_dword v3, off, s[0:3], 0 offset:964
	buffer_store_dword v2, off, s[0:3], 0 offset:960
	buffer_store_dword v1, off, s[0:3], 0 offset:972
	buffer_store_dword v0, off, s[0:3], 0 offset:968
	ds_read2_b64 v[0:3], v16 offset0:122 offset1:123
	s_waitcnt lgkmcnt(0)
	v_mul_f64 v[12:13], v[2:3], v[10:11]
	v_fma_f64 v[12:13], v[0:1], v[4:5], -v[12:13]
	v_mul_f64 v[0:1], v[0:1], v[10:11]
	v_fma_f64 v[0:1], v[2:3], v[4:5], v[0:1]
	buffer_load_dword v2, off, s[0:3], 0 offset:976
	buffer_load_dword v3, off, s[0:3], 0 offset:980
	buffer_load_dword v20, off, s[0:3], 0 offset:984
	buffer_load_dword v21, off, s[0:3], 0 offset:988
	s_waitcnt vmcnt(2)
	v_add_f64 v[2:3], v[2:3], -v[12:13]
	;; [unrolled: 18-line block ×4, first 2 shown]
	s_waitcnt vmcnt(0)
	v_add_f64 v[0:1], v[4:5], -v[0:1]
	buffer_store_dword v3, off, s[0:3], 0 offset:1012
	buffer_store_dword v2, off, s[0:3], 0 offset:1008
	;; [unrolled: 1-line block ×4, first 2 shown]
.LBB126_852:
	s_or_b64 exec, exec, s[4:5]
	v_mov_b32_e32 v3, s54
	s_waitcnt vmcnt(0)
	s_barrier
	buffer_load_dword v0, v3, s[0:3], 0 offen
	buffer_load_dword v1, v3, s[0:3], 0 offen offset:4
	buffer_load_dword v2, v3, s[0:3], 0 offen offset:8
	s_nop 0
	buffer_load_dword v3, v3, s[0:3], 0 offen offset:12
	v_lshl_add_u32 v4, v19, 4, v16
	s_cmp_lt_i32 s66, 37
	s_waitcnt vmcnt(0)
	ds_write2_b64 v4, v[0:1], v[2:3] offset1:1
	s_waitcnt lgkmcnt(0)
	s_barrier
	ds_read2_b64 v[0:3], v16 offset0:70 offset1:71
	v_mov_b32_e32 v4, 35
	s_cbranch_scc1 .LBB126_855
; %bb.853:
	v_add_u32_e32 v5, 0x240, v16
	s_mov_b32 s16, 36
	v_mov_b32_e32 v4, 35
.LBB126_854:                            ; =>This Inner Loop Header: Depth=1
	s_waitcnt lgkmcnt(0)
	v_cmp_gt_f64_e32 vcc, 0, v[2:3]
	v_cmp_gt_f64_e64 s[4:5], 0, v[0:1]
	ds_read2_b64 v[10:13], v5 offset1:1
	v_xor_b32_e32 v21, 0x80000000, v1
	v_xor_b32_e32 v23, 0x80000000, v3
	v_mov_b32_e32 v20, v0
	v_mov_b32_e32 v22, v2
	s_waitcnt lgkmcnt(0)
	v_xor_b32_e32 v25, 0x80000000, v13
	v_cndmask_b32_e32 v23, v3, v23, vcc
	v_cndmask_b32_e64 v21, v1, v21, s[4:5]
	v_cmp_gt_f64_e32 vcc, 0, v[12:13]
	v_cmp_gt_f64_e64 s[4:5], 0, v[10:11]
	v_add_f64 v[20:21], v[20:21], v[22:23]
	v_xor_b32_e32 v23, 0x80000000, v11
	v_mov_b32_e32 v22, v10
	v_mov_b32_e32 v24, v12
	v_add_u32_e32 v5, 16, v5
	v_cndmask_b32_e32 v25, v13, v25, vcc
	v_cndmask_b32_e64 v23, v11, v23, s[4:5]
	v_add_f64 v[22:23], v[22:23], v[24:25]
	v_mov_b32_e32 v24, s16
	s_add_i32 s16, s16, 1
	s_cmp_lg_u32 s66, s16
	v_cmp_lt_f64_e32 vcc, v[20:21], v[22:23]
	v_cndmask_b32_e32 v1, v1, v11, vcc
	v_cndmask_b32_e32 v0, v0, v10, vcc
	;; [unrolled: 1-line block ×5, first 2 shown]
	s_cbranch_scc1 .LBB126_854
.LBB126_855:
	s_waitcnt lgkmcnt(0)
	v_cmp_eq_f64_e32 vcc, 0, v[0:1]
	v_cmp_eq_f64_e64 s[4:5], 0, v[2:3]
	s_and_b64 s[4:5], vcc, s[4:5]
	s_and_saveexec_b64 s[16:17], s[4:5]
	s_xor_b64 s[4:5], exec, s[16:17]
; %bb.856:
	v_cmp_ne_u32_e32 vcc, 0, v17
	v_cndmask_b32_e32 v17, 36, v17, vcc
; %bb.857:
	s_andn2_saveexec_b64 s[4:5], s[4:5]
	s_cbranch_execz .LBB126_863
; %bb.858:
	v_cmp_ngt_f64_e64 s[16:17], |v[0:1]|, |v[2:3]|
	s_and_saveexec_b64 s[18:19], s[16:17]
	s_xor_b64 s[18:19], exec, s[18:19]
	s_cbranch_execz .LBB126_860
; %bb.859:
	v_div_scale_f64 v[10:11], s[16:17], v[2:3], v[2:3], v[0:1]
	v_rcp_f64_e32 v[12:13], v[10:11]
	v_fma_f64 v[20:21], -v[10:11], v[12:13], 1.0
	v_fma_f64 v[12:13], v[12:13], v[20:21], v[12:13]
	v_div_scale_f64 v[20:21], vcc, v[0:1], v[2:3], v[0:1]
	v_fma_f64 v[22:23], -v[10:11], v[12:13], 1.0
	v_fma_f64 v[12:13], v[12:13], v[22:23], v[12:13]
	v_mul_f64 v[22:23], v[20:21], v[12:13]
	v_fma_f64 v[10:11], -v[10:11], v[22:23], v[20:21]
	v_div_fmas_f64 v[10:11], v[10:11], v[12:13], v[22:23]
	v_div_fixup_f64 v[10:11], v[10:11], v[2:3], v[0:1]
	v_fma_f64 v[0:1], v[0:1], v[10:11], v[2:3]
	v_div_scale_f64 v[2:3], s[16:17], v[0:1], v[0:1], 1.0
	v_div_scale_f64 v[22:23], vcc, 1.0, v[0:1], 1.0
	v_rcp_f64_e32 v[12:13], v[2:3]
	v_fma_f64 v[20:21], -v[2:3], v[12:13], 1.0
	v_fma_f64 v[12:13], v[12:13], v[20:21], v[12:13]
	v_fma_f64 v[20:21], -v[2:3], v[12:13], 1.0
	v_fma_f64 v[12:13], v[12:13], v[20:21], v[12:13]
	v_mul_f64 v[20:21], v[22:23], v[12:13]
	v_fma_f64 v[2:3], -v[2:3], v[20:21], v[22:23]
	v_div_fmas_f64 v[2:3], v[2:3], v[12:13], v[20:21]
	v_div_fixup_f64 v[2:3], v[2:3], v[0:1], 1.0
	v_mul_f64 v[0:1], v[10:11], v[2:3]
	v_xor_b32_e32 v3, 0x80000000, v3
.LBB126_860:
	s_andn2_saveexec_b64 s[18:19], s[18:19]
	s_cbranch_execz .LBB126_862
; %bb.861:
	v_div_scale_f64 v[10:11], s[16:17], v[0:1], v[0:1], v[2:3]
	v_rcp_f64_e32 v[12:13], v[10:11]
	v_fma_f64 v[20:21], -v[10:11], v[12:13], 1.0
	v_fma_f64 v[12:13], v[12:13], v[20:21], v[12:13]
	v_div_scale_f64 v[20:21], vcc, v[2:3], v[0:1], v[2:3]
	v_fma_f64 v[22:23], -v[10:11], v[12:13], 1.0
	v_fma_f64 v[12:13], v[12:13], v[22:23], v[12:13]
	v_mul_f64 v[22:23], v[20:21], v[12:13]
	v_fma_f64 v[10:11], -v[10:11], v[22:23], v[20:21]
	v_div_fmas_f64 v[10:11], v[10:11], v[12:13], v[22:23]
	v_div_fixup_f64 v[10:11], v[10:11], v[0:1], v[2:3]
	v_fma_f64 v[0:1], v[2:3], v[10:11], v[0:1]
	v_div_scale_f64 v[2:3], s[16:17], v[0:1], v[0:1], 1.0
	v_div_scale_f64 v[22:23], vcc, 1.0, v[0:1], 1.0
	v_rcp_f64_e32 v[12:13], v[2:3]
	v_fma_f64 v[20:21], -v[2:3], v[12:13], 1.0
	v_fma_f64 v[12:13], v[12:13], v[20:21], v[12:13]
	v_fma_f64 v[20:21], -v[2:3], v[12:13], 1.0
	v_fma_f64 v[12:13], v[12:13], v[20:21], v[12:13]
	v_mul_f64 v[20:21], v[22:23], v[12:13]
	v_fma_f64 v[2:3], -v[2:3], v[20:21], v[22:23]
	v_div_fmas_f64 v[2:3], v[2:3], v[12:13], v[20:21]
	v_div_fixup_f64 v[0:1], v[2:3], v[0:1], 1.0
	v_mul_f64 v[2:3], v[10:11], -v[0:1]
.LBB126_862:
	s_or_b64 exec, exec, s[18:19]
.LBB126_863:
	s_or_b64 exec, exec, s[4:5]
	v_cmp_ne_u32_e32 vcc, v19, v4
	s_and_saveexec_b64 s[4:5], vcc
	s_xor_b64 s[4:5], exec, s[4:5]
	s_cbranch_execz .LBB126_869
; %bb.864:
	v_cmp_eq_u32_e32 vcc, 35, v19
	s_and_saveexec_b64 s[18:19], vcc
	s_cbranch_execz .LBB126_868
; %bb.865:
	v_cmp_ne_u32_e32 vcc, 35, v4
	s_xor_b64 s[16:17], s[10:11], -1
	s_and_b64 s[16:17], s[16:17], vcc
	s_and_saveexec_b64 s[24:25], s[16:17]
	s_cbranch_execz .LBB126_867
; %bb.866:
	v_ashrrev_i32_e32 v5, 31, v4
	v_lshlrev_b64 v[10:11], 2, v[4:5]
	v_add_co_u32_e32 v10, vcc, v8, v10
	v_addc_co_u32_e32 v11, vcc, v9, v11, vcc
	global_load_dword v5, v[10:11], off
	global_load_dword v12, v[8:9], off offset:140
	s_waitcnt vmcnt(1)
	global_store_dword v[8:9], v5, off offset:140
	s_waitcnt vmcnt(1)
	global_store_dword v[10:11], v12, off
.LBB126_867:
	s_or_b64 exec, exec, s[24:25]
	v_mov_b32_e32 v19, v4
	v_mov_b32_e32 v18, v4
.LBB126_868:
	s_or_b64 exec, exec, s[18:19]
.LBB126_869:
	s_andn2_saveexec_b64 s[4:5], s[4:5]
	s_cbranch_execz .LBB126_871
; %bb.870:
	v_mov_b32_e32 v11, s53
	buffer_load_dword v4, v11, s[0:3], 0 offen
	buffer_load_dword v5, v11, s[0:3], 0 offen offset:4
	buffer_load_dword v10, v11, s[0:3], 0 offen offset:8
	s_nop 0
	buffer_load_dword v11, v11, s[0:3], 0 offen offset:12
	v_mov_b32_e32 v19, 35
	s_waitcnt vmcnt(0)
	ds_write2_b64 v16, v[4:5], v[10:11] offset0:72 offset1:73
	v_mov_b32_e32 v11, s52
	buffer_load_dword v4, v11, s[0:3], 0 offen
	buffer_load_dword v5, v11, s[0:3], 0 offen offset:4
	buffer_load_dword v10, v11, s[0:3], 0 offen offset:8
	s_nop 0
	buffer_load_dword v11, v11, s[0:3], 0 offen offset:12
	s_waitcnt vmcnt(0)
	ds_write2_b64 v16, v[4:5], v[10:11] offset0:74 offset1:75
	v_mov_b32_e32 v11, s51
	buffer_load_dword v4, v11, s[0:3], 0 offen
	buffer_load_dword v5, v11, s[0:3], 0 offen offset:4
	buffer_load_dword v10, v11, s[0:3], 0 offen offset:8
	s_nop 0
	buffer_load_dword v11, v11, s[0:3], 0 offen offset:12
	;; [unrolled: 8-line block ×27, first 2 shown]
	s_waitcnt vmcnt(0)
	ds_write2_b64 v16, v[4:5], v[10:11] offset0:126 offset1:127
.LBB126_871:
	s_or_b64 exec, exec, s[4:5]
	v_cmp_lt_i32_e32 vcc, 35, v19
	s_waitcnt vmcnt(0) lgkmcnt(0)
	s_barrier
	s_and_saveexec_b64 s[4:5], vcc
	s_cbranch_execz .LBB126_873
; %bb.872:
	buffer_load_dword v4, off, s[0:3], 0 offset:560
	buffer_load_dword v5, off, s[0:3], 0 offset:564
	;; [unrolled: 1-line block ×16, first 2 shown]
	s_waitcnt vmcnt(12)
	v_mul_f64 v[30:31], v[2:3], v[10:11]
	v_fma_f64 v[30:31], v[0:1], v[4:5], -v[30:31]
	v_mul_f64 v[0:1], v[0:1], v[10:11]
	v_fma_f64 v[4:5], v[2:3], v[4:5], v[0:1]
	buffer_store_dword v30, off, s[0:3], 0 offset:560
	buffer_store_dword v31, off, s[0:3], 0 offset:564
	buffer_store_dword v4, off, s[0:3], 0 offset:568
	buffer_store_dword v5, off, s[0:3], 0 offset:572
	ds_read2_b64 v[0:3], v16 offset0:72 offset1:73
	s_waitcnt lgkmcnt(0)
	v_mul_f64 v[10:11], v[2:3], v[4:5]
	v_fma_f64 v[10:11], v[0:1], v[30:31], -v[10:11]
	v_mul_f64 v[0:1], v[0:1], v[4:5]
	v_fma_f64 v[0:1], v[2:3], v[30:31], v[0:1]
	s_waitcnt vmcnt(14)
	v_add_f64 v[2:3], v[12:13], -v[10:11]
	s_waitcnt vmcnt(12)
	v_add_f64 v[0:1], v[20:21], -v[0:1]
	buffer_store_dword v2, off, s[0:3], 0 offset:576
	buffer_store_dword v3, off, s[0:3], 0 offset:580
	buffer_store_dword v0, off, s[0:3], 0 offset:584
	buffer_store_dword v1, off, s[0:3], 0 offset:588
	ds_read2_b64 v[0:3], v16 offset0:74 offset1:75
	s_waitcnt lgkmcnt(0)
	v_mul_f64 v[10:11], v[2:3], v[4:5]
	v_fma_f64 v[10:11], v[0:1], v[30:31], -v[10:11]
	v_mul_f64 v[0:1], v[0:1], v[4:5]
	v_fma_f64 v[0:1], v[2:3], v[30:31], v[0:1]
	s_waitcnt vmcnt(14)
	v_add_f64 v[2:3], v[22:23], -v[10:11]
	s_waitcnt vmcnt(12)
	v_add_f64 v[0:1], v[24:25], -v[0:1]
	;; [unrolled: 14-line block ×3, first 2 shown]
	buffer_store_dword v3, off, s[0:3], 0 offset:612
	buffer_store_dword v2, off, s[0:3], 0 offset:608
	buffer_store_dword v0, off, s[0:3], 0 offset:616
	buffer_store_dword v1, off, s[0:3], 0 offset:620
	ds_read2_b64 v[0:3], v16 offset0:78 offset1:79
	s_waitcnt lgkmcnt(0)
	v_mul_f64 v[10:11], v[2:3], v[4:5]
	v_fma_f64 v[10:11], v[0:1], v[30:31], -v[10:11]
	v_mul_f64 v[0:1], v[0:1], v[4:5]
	v_fma_f64 v[0:1], v[2:3], v[30:31], v[0:1]
	buffer_load_dword v2, off, s[0:3], 0 offset:624
	buffer_load_dword v3, off, s[0:3], 0 offset:628
	buffer_load_dword v12, off, s[0:3], 0 offset:632
	buffer_load_dword v13, off, s[0:3], 0 offset:636
	s_waitcnt vmcnt(2)
	v_add_f64 v[2:3], v[2:3], -v[10:11]
	s_waitcnt vmcnt(0)
	v_add_f64 v[0:1], v[12:13], -v[0:1]
	buffer_store_dword v3, off, s[0:3], 0 offset:628
	buffer_store_dword v2, off, s[0:3], 0 offset:624
	buffer_store_dword v1, off, s[0:3], 0 offset:636
	buffer_store_dword v0, off, s[0:3], 0 offset:632
	ds_read2_b64 v[0:3], v16 offset0:80 offset1:81
	s_waitcnt lgkmcnt(0)
	v_mul_f64 v[10:11], v[2:3], v[4:5]
	v_fma_f64 v[10:11], v[0:1], v[30:31], -v[10:11]
	v_mul_f64 v[0:1], v[0:1], v[4:5]
	v_fma_f64 v[0:1], v[2:3], v[30:31], v[0:1]
	buffer_load_dword v2, off, s[0:3], 0 offset:640
	buffer_load_dword v3, off, s[0:3], 0 offset:644
	buffer_load_dword v12, off, s[0:3], 0 offset:648
	buffer_load_dword v13, off, s[0:3], 0 offset:652
	s_waitcnt vmcnt(2)
	v_add_f64 v[2:3], v[2:3], -v[10:11]
	s_waitcnt vmcnt(0)
	v_add_f64 v[0:1], v[12:13], -v[0:1]
	;; [unrolled: 18-line block ×3, first 2 shown]
	buffer_store_dword v3, off, s[0:3], 0 offset:660
	buffer_store_dword v2, off, s[0:3], 0 offset:656
	buffer_store_dword v1, off, s[0:3], 0 offset:668
	buffer_store_dword v0, off, s[0:3], 0 offset:664
	ds_read2_b64 v[2:5], v16 offset0:84 offset1:85
	buffer_load_dword v0, off, s[0:3], 0 offset:560
	buffer_load_dword v1, off, s[0:3], 0 offset:564
	;; [unrolled: 1-line block ×4, first 2 shown]
	s_waitcnt vmcnt(0) lgkmcnt(0)
	v_mul_f64 v[12:13], v[4:5], v[10:11]
	v_fma_f64 v[12:13], v[2:3], v[0:1], -v[12:13]
	v_mul_f64 v[2:3], v[2:3], v[10:11]
	v_fma_f64 v[2:3], v[4:5], v[0:1], v[2:3]
	buffer_load_dword v5, off, s[0:3], 0 offset:676
	buffer_load_dword v4, off, s[0:3], 0 offset:672
	s_waitcnt vmcnt(0)
	v_add_f64 v[4:5], v[4:5], -v[12:13]
	buffer_load_dword v13, off, s[0:3], 0 offset:684
	buffer_load_dword v12, off, s[0:3], 0 offset:680
	s_waitcnt vmcnt(0)
	v_add_f64 v[2:3], v[12:13], -v[2:3]
	buffer_store_dword v5, off, s[0:3], 0 offset:676
	buffer_store_dword v4, off, s[0:3], 0 offset:672
	buffer_store_dword v3, off, s[0:3], 0 offset:684
	buffer_store_dword v2, off, s[0:3], 0 offset:680
	ds_read2_b64 v[2:5], v16 offset0:86 offset1:87
	s_waitcnt lgkmcnt(0)
	v_mul_f64 v[12:13], v[4:5], v[10:11]
	v_fma_f64 v[12:13], v[2:3], v[0:1], -v[12:13]
	v_mul_f64 v[2:3], v[2:3], v[10:11]
	v_fma_f64 v[2:3], v[4:5], v[0:1], v[2:3]
	buffer_load_dword v4, off, s[0:3], 0 offset:688
	buffer_load_dword v5, off, s[0:3], 0 offset:692
	buffer_load_dword v20, off, s[0:3], 0 offset:696
	buffer_load_dword v21, off, s[0:3], 0 offset:700
	s_waitcnt vmcnt(2)
	v_add_f64 v[4:5], v[4:5], -v[12:13]
	s_waitcnt vmcnt(0)
	v_add_f64 v[2:3], v[20:21], -v[2:3]
	buffer_store_dword v5, off, s[0:3], 0 offset:692
	buffer_store_dword v4, off, s[0:3], 0 offset:688
	buffer_store_dword v3, off, s[0:3], 0 offset:700
	buffer_store_dword v2, off, s[0:3], 0 offset:696
	ds_read2_b64 v[2:5], v16 offset0:88 offset1:89
	s_waitcnt lgkmcnt(0)
	v_mul_f64 v[12:13], v[4:5], v[10:11]
	v_fma_f64 v[12:13], v[2:3], v[0:1], -v[12:13]
	v_mul_f64 v[2:3], v[2:3], v[10:11]
	v_fma_f64 v[2:3], v[4:5], v[0:1], v[2:3]
	buffer_load_dword v4, off, s[0:3], 0 offset:704
	buffer_load_dword v5, off, s[0:3], 0 offset:708
	buffer_load_dword v20, off, s[0:3], 0 offset:712
	buffer_load_dword v21, off, s[0:3], 0 offset:716
	s_waitcnt vmcnt(2)
	v_add_f64 v[4:5], v[4:5], -v[12:13]
	;; [unrolled: 18-line block ×5, first 2 shown]
	s_waitcnt vmcnt(0)
	v_add_f64 v[0:1], v[4:5], -v[0:1]
	buffer_store_dword v3, off, s[0:3], 0 offset:756
	buffer_store_dword v2, off, s[0:3], 0 offset:752
	;; [unrolled: 1-line block ×4, first 2 shown]
	ds_read2_b64 v[0:3], v16 offset0:96 offset1:97
	buffer_load_dword v4, off, s[0:3], 0 offset:560
	buffer_load_dword v5, off, s[0:3], 0 offset:564
	;; [unrolled: 1-line block ×4, first 2 shown]
	s_waitcnt vmcnt(0) lgkmcnt(0)
	v_mul_f64 v[12:13], v[2:3], v[10:11]
	v_fma_f64 v[12:13], v[0:1], v[4:5], -v[12:13]
	v_mul_f64 v[0:1], v[0:1], v[10:11]
	v_fma_f64 v[0:1], v[2:3], v[4:5], v[0:1]
	buffer_load_dword v3, off, s[0:3], 0 offset:772
	buffer_load_dword v2, off, s[0:3], 0 offset:768
	s_waitcnt vmcnt(0)
	v_add_f64 v[2:3], v[2:3], -v[12:13]
	buffer_load_dword v13, off, s[0:3], 0 offset:780
	buffer_load_dword v12, off, s[0:3], 0 offset:776
	s_waitcnt vmcnt(0)
	v_add_f64 v[0:1], v[12:13], -v[0:1]
	buffer_store_dword v3, off, s[0:3], 0 offset:772
	buffer_store_dword v2, off, s[0:3], 0 offset:768
	buffer_store_dword v1, off, s[0:3], 0 offset:780
	buffer_store_dword v0, off, s[0:3], 0 offset:776
	ds_read2_b64 v[0:3], v16 offset0:98 offset1:99
	s_waitcnt lgkmcnt(0)
	v_mul_f64 v[12:13], v[2:3], v[10:11]
	v_fma_f64 v[12:13], v[0:1], v[4:5], -v[12:13]
	v_mul_f64 v[0:1], v[0:1], v[10:11]
	v_fma_f64 v[0:1], v[2:3], v[4:5], v[0:1]
	buffer_load_dword v2, off, s[0:3], 0 offset:784
	buffer_load_dword v3, off, s[0:3], 0 offset:788
	buffer_load_dword v20, off, s[0:3], 0 offset:792
	buffer_load_dword v21, off, s[0:3], 0 offset:796
	s_waitcnt vmcnt(2)
	v_add_f64 v[2:3], v[2:3], -v[12:13]
	s_waitcnt vmcnt(0)
	v_add_f64 v[0:1], v[20:21], -v[0:1]
	buffer_store_dword v3, off, s[0:3], 0 offset:788
	buffer_store_dword v2, off, s[0:3], 0 offset:784
	buffer_store_dword v1, off, s[0:3], 0 offset:796
	buffer_store_dword v0, off, s[0:3], 0 offset:792
	ds_read2_b64 v[0:3], v16 offset0:100 offset1:101
	s_waitcnt lgkmcnt(0)
	v_mul_f64 v[12:13], v[2:3], v[10:11]
	v_fma_f64 v[12:13], v[0:1], v[4:5], -v[12:13]
	v_mul_f64 v[0:1], v[0:1], v[10:11]
	v_fma_f64 v[0:1], v[2:3], v[4:5], v[0:1]
	buffer_load_dword v2, off, s[0:3], 0 offset:800
	buffer_load_dword v3, off, s[0:3], 0 offset:804
	buffer_load_dword v20, off, s[0:3], 0 offset:808
	buffer_load_dword v21, off, s[0:3], 0 offset:812
	s_waitcnt vmcnt(2)
	v_add_f64 v[2:3], v[2:3], -v[12:13]
	;; [unrolled: 18-line block ×5, first 2 shown]
	s_waitcnt vmcnt(0)
	v_add_f64 v[0:1], v[4:5], -v[0:1]
	buffer_store_dword v3, off, s[0:3], 0 offset:852
	buffer_store_dword v2, off, s[0:3], 0 offset:848
	;; [unrolled: 1-line block ×4, first 2 shown]
	ds_read2_b64 v[0:3], v16 offset0:108 offset1:109
	buffer_load_dword v4, off, s[0:3], 0 offset:560
	buffer_load_dword v5, off, s[0:3], 0 offset:564
	;; [unrolled: 1-line block ×4, first 2 shown]
	s_waitcnt vmcnt(0) lgkmcnt(0)
	v_mul_f64 v[12:13], v[2:3], v[10:11]
	v_fma_f64 v[12:13], v[0:1], v[4:5], -v[12:13]
	v_mul_f64 v[0:1], v[0:1], v[10:11]
	v_fma_f64 v[0:1], v[2:3], v[4:5], v[0:1]
	buffer_load_dword v3, off, s[0:3], 0 offset:868
	buffer_load_dword v2, off, s[0:3], 0 offset:864
	s_waitcnt vmcnt(0)
	v_add_f64 v[2:3], v[2:3], -v[12:13]
	buffer_load_dword v13, off, s[0:3], 0 offset:876
	buffer_load_dword v12, off, s[0:3], 0 offset:872
	s_waitcnt vmcnt(0)
	v_add_f64 v[0:1], v[12:13], -v[0:1]
	buffer_store_dword v3, off, s[0:3], 0 offset:868
	buffer_store_dword v2, off, s[0:3], 0 offset:864
	buffer_store_dword v1, off, s[0:3], 0 offset:876
	buffer_store_dword v0, off, s[0:3], 0 offset:872
	ds_read2_b64 v[0:3], v16 offset0:110 offset1:111
	s_waitcnt lgkmcnt(0)
	v_mul_f64 v[12:13], v[2:3], v[10:11]
	v_fma_f64 v[12:13], v[0:1], v[4:5], -v[12:13]
	v_mul_f64 v[0:1], v[0:1], v[10:11]
	v_fma_f64 v[0:1], v[2:3], v[4:5], v[0:1]
	buffer_load_dword v2, off, s[0:3], 0 offset:880
	buffer_load_dword v3, off, s[0:3], 0 offset:884
	buffer_load_dword v20, off, s[0:3], 0 offset:888
	buffer_load_dword v21, off, s[0:3], 0 offset:892
	s_waitcnt vmcnt(2)
	v_add_f64 v[2:3], v[2:3], -v[12:13]
	s_waitcnt vmcnt(0)
	v_add_f64 v[0:1], v[20:21], -v[0:1]
	buffer_store_dword v3, off, s[0:3], 0 offset:884
	buffer_store_dword v2, off, s[0:3], 0 offset:880
	buffer_store_dword v1, off, s[0:3], 0 offset:892
	buffer_store_dword v0, off, s[0:3], 0 offset:888
	ds_read2_b64 v[0:3], v16 offset0:112 offset1:113
	s_waitcnt lgkmcnt(0)
	v_mul_f64 v[12:13], v[2:3], v[10:11]
	v_fma_f64 v[12:13], v[0:1], v[4:5], -v[12:13]
	v_mul_f64 v[0:1], v[0:1], v[10:11]
	v_fma_f64 v[0:1], v[2:3], v[4:5], v[0:1]
	buffer_load_dword v2, off, s[0:3], 0 offset:896
	buffer_load_dword v3, off, s[0:3], 0 offset:900
	buffer_load_dword v20, off, s[0:3], 0 offset:904
	buffer_load_dword v21, off, s[0:3], 0 offset:908
	s_waitcnt vmcnt(2)
	v_add_f64 v[2:3], v[2:3], -v[12:13]
	;; [unrolled: 18-line block ×5, first 2 shown]
	s_waitcnt vmcnt(0)
	v_add_f64 v[0:1], v[4:5], -v[0:1]
	buffer_store_dword v3, off, s[0:3], 0 offset:948
	buffer_store_dword v2, off, s[0:3], 0 offset:944
	;; [unrolled: 1-line block ×4, first 2 shown]
	ds_read2_b64 v[0:3], v16 offset0:120 offset1:121
	buffer_load_dword v4, off, s[0:3], 0 offset:560
	buffer_load_dword v5, off, s[0:3], 0 offset:564
	;; [unrolled: 1-line block ×4, first 2 shown]
	s_waitcnt vmcnt(0) lgkmcnt(0)
	v_mul_f64 v[12:13], v[2:3], v[10:11]
	v_fma_f64 v[12:13], v[0:1], v[4:5], -v[12:13]
	v_mul_f64 v[0:1], v[0:1], v[10:11]
	v_fma_f64 v[0:1], v[2:3], v[4:5], v[0:1]
	buffer_load_dword v3, off, s[0:3], 0 offset:964
	buffer_load_dword v2, off, s[0:3], 0 offset:960
	s_waitcnt vmcnt(0)
	v_add_f64 v[2:3], v[2:3], -v[12:13]
	buffer_load_dword v13, off, s[0:3], 0 offset:972
	buffer_load_dword v12, off, s[0:3], 0 offset:968
	s_waitcnt vmcnt(0)
	v_add_f64 v[0:1], v[12:13], -v[0:1]
	buffer_store_dword v3, off, s[0:3], 0 offset:964
	buffer_store_dword v2, off, s[0:3], 0 offset:960
	buffer_store_dword v1, off, s[0:3], 0 offset:972
	buffer_store_dword v0, off, s[0:3], 0 offset:968
	ds_read2_b64 v[0:3], v16 offset0:122 offset1:123
	s_waitcnt lgkmcnt(0)
	v_mul_f64 v[12:13], v[2:3], v[10:11]
	v_fma_f64 v[12:13], v[0:1], v[4:5], -v[12:13]
	v_mul_f64 v[0:1], v[0:1], v[10:11]
	v_fma_f64 v[0:1], v[2:3], v[4:5], v[0:1]
	buffer_load_dword v2, off, s[0:3], 0 offset:976
	buffer_load_dword v3, off, s[0:3], 0 offset:980
	buffer_load_dword v20, off, s[0:3], 0 offset:984
	buffer_load_dword v21, off, s[0:3], 0 offset:988
	s_waitcnt vmcnt(2)
	v_add_f64 v[2:3], v[2:3], -v[12:13]
	s_waitcnt vmcnt(0)
	v_add_f64 v[0:1], v[20:21], -v[0:1]
	buffer_store_dword v3, off, s[0:3], 0 offset:980
	buffer_store_dword v2, off, s[0:3], 0 offset:976
	buffer_store_dword v1, off, s[0:3], 0 offset:988
	buffer_store_dword v0, off, s[0:3], 0 offset:984
	ds_read2_b64 v[0:3], v16 offset0:124 offset1:125
	s_waitcnt lgkmcnt(0)
	v_mul_f64 v[12:13], v[2:3], v[10:11]
	v_fma_f64 v[12:13], v[0:1], v[4:5], -v[12:13]
	v_mul_f64 v[0:1], v[0:1], v[10:11]
	v_fma_f64 v[0:1], v[2:3], v[4:5], v[0:1]
	buffer_load_dword v2, off, s[0:3], 0 offset:992
	buffer_load_dword v3, off, s[0:3], 0 offset:996
	buffer_load_dword v20, off, s[0:3], 0 offset:1000
	buffer_load_dword v21, off, s[0:3], 0 offset:1004
	s_waitcnt vmcnt(2)
	v_add_f64 v[2:3], v[2:3], -v[12:13]
	;; [unrolled: 18-line block ×3, first 2 shown]
	s_waitcnt vmcnt(0)
	v_add_f64 v[0:1], v[4:5], -v[0:1]
	buffer_store_dword v3, off, s[0:3], 0 offset:1012
	buffer_store_dword v2, off, s[0:3], 0 offset:1008
	;; [unrolled: 1-line block ×4, first 2 shown]
.LBB126_873:
	s_or_b64 exec, exec, s[4:5]
	v_mov_b32_e32 v3, s53
	s_waitcnt vmcnt(0)
	s_barrier
	buffer_load_dword v0, v3, s[0:3], 0 offen
	buffer_load_dword v1, v3, s[0:3], 0 offen offset:4
	buffer_load_dword v2, v3, s[0:3], 0 offen offset:8
	s_nop 0
	buffer_load_dword v3, v3, s[0:3], 0 offen offset:12
	v_lshl_add_u32 v4, v19, 4, v16
	s_cmp_lt_i32 s66, 38
	s_waitcnt vmcnt(0)
	ds_write2_b64 v4, v[0:1], v[2:3] offset1:1
	s_waitcnt lgkmcnt(0)
	s_barrier
	ds_read2_b64 v[0:3], v16 offset0:72 offset1:73
	v_mov_b32_e32 v4, 36
	s_cbranch_scc1 .LBB126_876
; %bb.874:
	v_add_u32_e32 v5, 0x250, v16
	s_mov_b32 s16, 37
	v_mov_b32_e32 v4, 36
.LBB126_875:                            ; =>This Inner Loop Header: Depth=1
	s_waitcnt lgkmcnt(0)
	v_cmp_gt_f64_e32 vcc, 0, v[2:3]
	v_cmp_gt_f64_e64 s[4:5], 0, v[0:1]
	ds_read2_b64 v[10:13], v5 offset1:1
	v_xor_b32_e32 v21, 0x80000000, v1
	v_xor_b32_e32 v23, 0x80000000, v3
	v_mov_b32_e32 v20, v0
	v_mov_b32_e32 v22, v2
	s_waitcnt lgkmcnt(0)
	v_xor_b32_e32 v25, 0x80000000, v13
	v_cndmask_b32_e32 v23, v3, v23, vcc
	v_cndmask_b32_e64 v21, v1, v21, s[4:5]
	v_cmp_gt_f64_e32 vcc, 0, v[12:13]
	v_cmp_gt_f64_e64 s[4:5], 0, v[10:11]
	v_add_f64 v[20:21], v[20:21], v[22:23]
	v_xor_b32_e32 v23, 0x80000000, v11
	v_mov_b32_e32 v22, v10
	v_mov_b32_e32 v24, v12
	v_add_u32_e32 v5, 16, v5
	v_cndmask_b32_e32 v25, v13, v25, vcc
	v_cndmask_b32_e64 v23, v11, v23, s[4:5]
	v_add_f64 v[22:23], v[22:23], v[24:25]
	v_mov_b32_e32 v24, s16
	s_add_i32 s16, s16, 1
	s_cmp_lg_u32 s66, s16
	v_cmp_lt_f64_e32 vcc, v[20:21], v[22:23]
	v_cndmask_b32_e32 v1, v1, v11, vcc
	v_cndmask_b32_e32 v0, v0, v10, vcc
	;; [unrolled: 1-line block ×5, first 2 shown]
	s_cbranch_scc1 .LBB126_875
.LBB126_876:
	s_waitcnt lgkmcnt(0)
	v_cmp_eq_f64_e32 vcc, 0, v[0:1]
	v_cmp_eq_f64_e64 s[4:5], 0, v[2:3]
	s_and_b64 s[4:5], vcc, s[4:5]
	s_and_saveexec_b64 s[16:17], s[4:5]
	s_xor_b64 s[4:5], exec, s[16:17]
; %bb.877:
	v_cmp_ne_u32_e32 vcc, 0, v17
	v_cndmask_b32_e32 v17, 37, v17, vcc
; %bb.878:
	s_andn2_saveexec_b64 s[4:5], s[4:5]
	s_cbranch_execz .LBB126_884
; %bb.879:
	v_cmp_ngt_f64_e64 s[16:17], |v[0:1]|, |v[2:3]|
	s_and_saveexec_b64 s[18:19], s[16:17]
	s_xor_b64 s[18:19], exec, s[18:19]
	s_cbranch_execz .LBB126_881
; %bb.880:
	v_div_scale_f64 v[10:11], s[16:17], v[2:3], v[2:3], v[0:1]
	v_rcp_f64_e32 v[12:13], v[10:11]
	v_fma_f64 v[20:21], -v[10:11], v[12:13], 1.0
	v_fma_f64 v[12:13], v[12:13], v[20:21], v[12:13]
	v_div_scale_f64 v[20:21], vcc, v[0:1], v[2:3], v[0:1]
	v_fma_f64 v[22:23], -v[10:11], v[12:13], 1.0
	v_fma_f64 v[12:13], v[12:13], v[22:23], v[12:13]
	v_mul_f64 v[22:23], v[20:21], v[12:13]
	v_fma_f64 v[10:11], -v[10:11], v[22:23], v[20:21]
	v_div_fmas_f64 v[10:11], v[10:11], v[12:13], v[22:23]
	v_div_fixup_f64 v[10:11], v[10:11], v[2:3], v[0:1]
	v_fma_f64 v[0:1], v[0:1], v[10:11], v[2:3]
	v_div_scale_f64 v[2:3], s[16:17], v[0:1], v[0:1], 1.0
	v_div_scale_f64 v[22:23], vcc, 1.0, v[0:1], 1.0
	v_rcp_f64_e32 v[12:13], v[2:3]
	v_fma_f64 v[20:21], -v[2:3], v[12:13], 1.0
	v_fma_f64 v[12:13], v[12:13], v[20:21], v[12:13]
	v_fma_f64 v[20:21], -v[2:3], v[12:13], 1.0
	v_fma_f64 v[12:13], v[12:13], v[20:21], v[12:13]
	v_mul_f64 v[20:21], v[22:23], v[12:13]
	v_fma_f64 v[2:3], -v[2:3], v[20:21], v[22:23]
	v_div_fmas_f64 v[2:3], v[2:3], v[12:13], v[20:21]
	v_div_fixup_f64 v[2:3], v[2:3], v[0:1], 1.0
	v_mul_f64 v[0:1], v[10:11], v[2:3]
	v_xor_b32_e32 v3, 0x80000000, v3
.LBB126_881:
	s_andn2_saveexec_b64 s[18:19], s[18:19]
	s_cbranch_execz .LBB126_883
; %bb.882:
	v_div_scale_f64 v[10:11], s[16:17], v[0:1], v[0:1], v[2:3]
	v_rcp_f64_e32 v[12:13], v[10:11]
	v_fma_f64 v[20:21], -v[10:11], v[12:13], 1.0
	v_fma_f64 v[12:13], v[12:13], v[20:21], v[12:13]
	v_div_scale_f64 v[20:21], vcc, v[2:3], v[0:1], v[2:3]
	v_fma_f64 v[22:23], -v[10:11], v[12:13], 1.0
	v_fma_f64 v[12:13], v[12:13], v[22:23], v[12:13]
	v_mul_f64 v[22:23], v[20:21], v[12:13]
	v_fma_f64 v[10:11], -v[10:11], v[22:23], v[20:21]
	v_div_fmas_f64 v[10:11], v[10:11], v[12:13], v[22:23]
	v_div_fixup_f64 v[10:11], v[10:11], v[0:1], v[2:3]
	v_fma_f64 v[0:1], v[2:3], v[10:11], v[0:1]
	v_div_scale_f64 v[2:3], s[16:17], v[0:1], v[0:1], 1.0
	v_div_scale_f64 v[22:23], vcc, 1.0, v[0:1], 1.0
	v_rcp_f64_e32 v[12:13], v[2:3]
	v_fma_f64 v[20:21], -v[2:3], v[12:13], 1.0
	v_fma_f64 v[12:13], v[12:13], v[20:21], v[12:13]
	v_fma_f64 v[20:21], -v[2:3], v[12:13], 1.0
	v_fma_f64 v[12:13], v[12:13], v[20:21], v[12:13]
	v_mul_f64 v[20:21], v[22:23], v[12:13]
	v_fma_f64 v[2:3], -v[2:3], v[20:21], v[22:23]
	v_div_fmas_f64 v[2:3], v[2:3], v[12:13], v[20:21]
	v_div_fixup_f64 v[0:1], v[2:3], v[0:1], 1.0
	v_mul_f64 v[2:3], v[10:11], -v[0:1]
.LBB126_883:
	s_or_b64 exec, exec, s[18:19]
.LBB126_884:
	s_or_b64 exec, exec, s[4:5]
	v_cmp_ne_u32_e32 vcc, v19, v4
	s_and_saveexec_b64 s[4:5], vcc
	s_xor_b64 s[4:5], exec, s[4:5]
	s_cbranch_execz .LBB126_890
; %bb.885:
	v_cmp_eq_u32_e32 vcc, 36, v19
	s_and_saveexec_b64 s[18:19], vcc
	s_cbranch_execz .LBB126_889
; %bb.886:
	v_cmp_ne_u32_e32 vcc, 36, v4
	s_xor_b64 s[16:17], s[10:11], -1
	s_and_b64 s[16:17], s[16:17], vcc
	s_and_saveexec_b64 s[24:25], s[16:17]
	s_cbranch_execz .LBB126_888
; %bb.887:
	v_ashrrev_i32_e32 v5, 31, v4
	v_lshlrev_b64 v[10:11], 2, v[4:5]
	v_add_co_u32_e32 v10, vcc, v8, v10
	v_addc_co_u32_e32 v11, vcc, v9, v11, vcc
	global_load_dword v5, v[10:11], off
	global_load_dword v12, v[8:9], off offset:144
	s_waitcnt vmcnt(1)
	global_store_dword v[8:9], v5, off offset:144
	s_waitcnt vmcnt(1)
	global_store_dword v[10:11], v12, off
.LBB126_888:
	s_or_b64 exec, exec, s[24:25]
	v_mov_b32_e32 v19, v4
	v_mov_b32_e32 v18, v4
.LBB126_889:
	s_or_b64 exec, exec, s[18:19]
.LBB126_890:
	s_andn2_saveexec_b64 s[4:5], s[4:5]
	s_cbranch_execz .LBB126_892
; %bb.891:
	v_mov_b32_e32 v11, s52
	buffer_load_dword v4, v11, s[0:3], 0 offen
	buffer_load_dword v5, v11, s[0:3], 0 offen offset:4
	buffer_load_dword v10, v11, s[0:3], 0 offen offset:8
	s_nop 0
	buffer_load_dword v11, v11, s[0:3], 0 offen offset:12
	v_mov_b32_e32 v19, 36
	s_waitcnt vmcnt(0)
	ds_write2_b64 v16, v[4:5], v[10:11] offset0:74 offset1:75
	v_mov_b32_e32 v11, s51
	buffer_load_dword v4, v11, s[0:3], 0 offen
	buffer_load_dword v5, v11, s[0:3], 0 offen offset:4
	buffer_load_dword v10, v11, s[0:3], 0 offen offset:8
	s_nop 0
	buffer_load_dword v11, v11, s[0:3], 0 offen offset:12
	s_waitcnt vmcnt(0)
	ds_write2_b64 v16, v[4:5], v[10:11] offset0:76 offset1:77
	v_mov_b32_e32 v11, s50
	buffer_load_dword v4, v11, s[0:3], 0 offen
	buffer_load_dword v5, v11, s[0:3], 0 offen offset:4
	buffer_load_dword v10, v11, s[0:3], 0 offen offset:8
	s_nop 0
	buffer_load_dword v11, v11, s[0:3], 0 offen offset:12
	;; [unrolled: 8-line block ×26, first 2 shown]
	s_waitcnt vmcnt(0)
	ds_write2_b64 v16, v[4:5], v[10:11] offset0:126 offset1:127
.LBB126_892:
	s_or_b64 exec, exec, s[4:5]
	v_cmp_lt_i32_e32 vcc, 36, v19
	s_waitcnt vmcnt(0) lgkmcnt(0)
	s_barrier
	s_and_saveexec_b64 s[4:5], vcc
	s_cbranch_execz .LBB126_894
; %bb.893:
	buffer_load_dword v4, off, s[0:3], 0 offset:576
	buffer_load_dword v5, off, s[0:3], 0 offset:580
	;; [unrolled: 1-line block ×16, first 2 shown]
	s_waitcnt vmcnt(12)
	v_mul_f64 v[30:31], v[2:3], v[10:11]
	v_fma_f64 v[30:31], v[0:1], v[4:5], -v[30:31]
	v_mul_f64 v[0:1], v[0:1], v[10:11]
	v_fma_f64 v[4:5], v[2:3], v[4:5], v[0:1]
	buffer_store_dword v30, off, s[0:3], 0 offset:576
	buffer_store_dword v31, off, s[0:3], 0 offset:580
	buffer_store_dword v4, off, s[0:3], 0 offset:584
	buffer_store_dword v5, off, s[0:3], 0 offset:588
	ds_read2_b64 v[0:3], v16 offset0:74 offset1:75
	s_waitcnt lgkmcnt(0)
	v_mul_f64 v[10:11], v[2:3], v[4:5]
	v_fma_f64 v[10:11], v[0:1], v[30:31], -v[10:11]
	v_mul_f64 v[0:1], v[0:1], v[4:5]
	v_fma_f64 v[0:1], v[2:3], v[30:31], v[0:1]
	s_waitcnt vmcnt(14)
	v_add_f64 v[2:3], v[12:13], -v[10:11]
	s_waitcnt vmcnt(12)
	v_add_f64 v[0:1], v[20:21], -v[0:1]
	buffer_store_dword v2, off, s[0:3], 0 offset:592
	buffer_store_dword v3, off, s[0:3], 0 offset:596
	buffer_store_dword v0, off, s[0:3], 0 offset:600
	buffer_store_dword v1, off, s[0:3], 0 offset:604
	ds_read2_b64 v[0:3], v16 offset0:76 offset1:77
	s_waitcnt lgkmcnt(0)
	v_mul_f64 v[10:11], v[2:3], v[4:5]
	v_fma_f64 v[10:11], v[0:1], v[30:31], -v[10:11]
	v_mul_f64 v[0:1], v[0:1], v[4:5]
	v_fma_f64 v[0:1], v[2:3], v[30:31], v[0:1]
	s_waitcnt vmcnt(14)
	v_add_f64 v[2:3], v[22:23], -v[10:11]
	s_waitcnt vmcnt(12)
	v_add_f64 v[0:1], v[24:25], -v[0:1]
	;; [unrolled: 14-line block ×3, first 2 shown]
	buffer_store_dword v3, off, s[0:3], 0 offset:628
	buffer_store_dword v2, off, s[0:3], 0 offset:624
	buffer_store_dword v0, off, s[0:3], 0 offset:632
	buffer_store_dword v1, off, s[0:3], 0 offset:636
	ds_read2_b64 v[0:3], v16 offset0:80 offset1:81
	s_waitcnt lgkmcnt(0)
	v_mul_f64 v[10:11], v[2:3], v[4:5]
	v_fma_f64 v[10:11], v[0:1], v[30:31], -v[10:11]
	v_mul_f64 v[0:1], v[0:1], v[4:5]
	v_fma_f64 v[0:1], v[2:3], v[30:31], v[0:1]
	buffer_load_dword v2, off, s[0:3], 0 offset:640
	buffer_load_dword v3, off, s[0:3], 0 offset:644
	buffer_load_dword v12, off, s[0:3], 0 offset:648
	buffer_load_dword v13, off, s[0:3], 0 offset:652
	s_waitcnt vmcnt(2)
	v_add_f64 v[2:3], v[2:3], -v[10:11]
	s_waitcnt vmcnt(0)
	v_add_f64 v[0:1], v[12:13], -v[0:1]
	buffer_store_dword v3, off, s[0:3], 0 offset:644
	buffer_store_dword v2, off, s[0:3], 0 offset:640
	buffer_store_dword v1, off, s[0:3], 0 offset:652
	buffer_store_dword v0, off, s[0:3], 0 offset:648
	ds_read2_b64 v[0:3], v16 offset0:82 offset1:83
	s_waitcnt lgkmcnt(0)
	v_mul_f64 v[10:11], v[2:3], v[4:5]
	v_fma_f64 v[10:11], v[0:1], v[30:31], -v[10:11]
	v_mul_f64 v[0:1], v[0:1], v[4:5]
	v_fma_f64 v[0:1], v[2:3], v[30:31], v[0:1]
	buffer_load_dword v2, off, s[0:3], 0 offset:656
	buffer_load_dword v3, off, s[0:3], 0 offset:660
	buffer_load_dword v12, off, s[0:3], 0 offset:664
	buffer_load_dword v13, off, s[0:3], 0 offset:668
	s_waitcnt vmcnt(2)
	v_add_f64 v[2:3], v[2:3], -v[10:11]
	s_waitcnt vmcnt(0)
	v_add_f64 v[0:1], v[12:13], -v[0:1]
	;; [unrolled: 18-line block ×3, first 2 shown]
	buffer_store_dword v3, off, s[0:3], 0 offset:676
	buffer_store_dword v2, off, s[0:3], 0 offset:672
	;; [unrolled: 1-line block ×4, first 2 shown]
	ds_read2_b64 v[2:5], v16 offset0:86 offset1:87
	buffer_load_dword v0, off, s[0:3], 0 offset:576
	buffer_load_dword v1, off, s[0:3], 0 offset:580
	;; [unrolled: 1-line block ×4, first 2 shown]
	s_waitcnt vmcnt(0) lgkmcnt(0)
	v_mul_f64 v[12:13], v[4:5], v[10:11]
	v_fma_f64 v[12:13], v[2:3], v[0:1], -v[12:13]
	v_mul_f64 v[2:3], v[2:3], v[10:11]
	v_fma_f64 v[2:3], v[4:5], v[0:1], v[2:3]
	buffer_load_dword v5, off, s[0:3], 0 offset:692
	buffer_load_dword v4, off, s[0:3], 0 offset:688
	s_waitcnt vmcnt(0)
	v_add_f64 v[4:5], v[4:5], -v[12:13]
	buffer_load_dword v13, off, s[0:3], 0 offset:700
	buffer_load_dword v12, off, s[0:3], 0 offset:696
	s_waitcnt vmcnt(0)
	v_add_f64 v[2:3], v[12:13], -v[2:3]
	buffer_store_dword v5, off, s[0:3], 0 offset:692
	buffer_store_dword v4, off, s[0:3], 0 offset:688
	buffer_store_dword v3, off, s[0:3], 0 offset:700
	buffer_store_dword v2, off, s[0:3], 0 offset:696
	ds_read2_b64 v[2:5], v16 offset0:88 offset1:89
	s_waitcnt lgkmcnt(0)
	v_mul_f64 v[12:13], v[4:5], v[10:11]
	v_fma_f64 v[12:13], v[2:3], v[0:1], -v[12:13]
	v_mul_f64 v[2:3], v[2:3], v[10:11]
	v_fma_f64 v[2:3], v[4:5], v[0:1], v[2:3]
	buffer_load_dword v4, off, s[0:3], 0 offset:704
	buffer_load_dword v5, off, s[0:3], 0 offset:708
	buffer_load_dword v20, off, s[0:3], 0 offset:712
	buffer_load_dword v21, off, s[0:3], 0 offset:716
	s_waitcnt vmcnt(2)
	v_add_f64 v[4:5], v[4:5], -v[12:13]
	s_waitcnt vmcnt(0)
	v_add_f64 v[2:3], v[20:21], -v[2:3]
	buffer_store_dword v5, off, s[0:3], 0 offset:708
	buffer_store_dword v4, off, s[0:3], 0 offset:704
	buffer_store_dword v3, off, s[0:3], 0 offset:716
	buffer_store_dword v2, off, s[0:3], 0 offset:712
	ds_read2_b64 v[2:5], v16 offset0:90 offset1:91
	s_waitcnt lgkmcnt(0)
	v_mul_f64 v[12:13], v[4:5], v[10:11]
	v_fma_f64 v[12:13], v[2:3], v[0:1], -v[12:13]
	v_mul_f64 v[2:3], v[2:3], v[10:11]
	v_fma_f64 v[2:3], v[4:5], v[0:1], v[2:3]
	buffer_load_dword v4, off, s[0:3], 0 offset:720
	buffer_load_dword v5, off, s[0:3], 0 offset:724
	buffer_load_dword v20, off, s[0:3], 0 offset:728
	buffer_load_dword v21, off, s[0:3], 0 offset:732
	s_waitcnt vmcnt(2)
	v_add_f64 v[4:5], v[4:5], -v[12:13]
	s_waitcnt vmcnt(0)
	v_add_f64 v[2:3], v[20:21], -v[2:3]
	buffer_store_dword v5, off, s[0:3], 0 offset:724
	buffer_store_dword v4, off, s[0:3], 0 offset:720
	buffer_store_dword v3, off, s[0:3], 0 offset:732
	buffer_store_dword v2, off, s[0:3], 0 offset:728
	ds_read2_b64 v[2:5], v16 offset0:92 offset1:93
	s_waitcnt lgkmcnt(0)
	v_mul_f64 v[12:13], v[4:5], v[10:11]
	v_fma_f64 v[12:13], v[2:3], v[0:1], -v[12:13]
	v_mul_f64 v[2:3], v[2:3], v[10:11]
	v_fma_f64 v[2:3], v[4:5], v[0:1], v[2:3]
	buffer_load_dword v4, off, s[0:3], 0 offset:736
	buffer_load_dword v5, off, s[0:3], 0 offset:740
	buffer_load_dword v20, off, s[0:3], 0 offset:744
	buffer_load_dword v21, off, s[0:3], 0 offset:748
	s_waitcnt vmcnt(2)
	v_add_f64 v[4:5], v[4:5], -v[12:13]
	s_waitcnt vmcnt(0)
	v_add_f64 v[2:3], v[20:21], -v[2:3]
	buffer_store_dword v5, off, s[0:3], 0 offset:740
	buffer_store_dword v4, off, s[0:3], 0 offset:736
	buffer_store_dword v3, off, s[0:3], 0 offset:748
	buffer_store_dword v2, off, s[0:3], 0 offset:744
	ds_read2_b64 v[2:5], v16 offset0:94 offset1:95
	s_waitcnt lgkmcnt(0)
	v_mul_f64 v[12:13], v[4:5], v[10:11]
	v_fma_f64 v[12:13], v[2:3], v[0:1], -v[12:13]
	v_mul_f64 v[2:3], v[2:3], v[10:11]
	v_fma_f64 v[2:3], v[4:5], v[0:1], v[2:3]
	buffer_load_dword v4, off, s[0:3], 0 offset:752
	buffer_load_dword v5, off, s[0:3], 0 offset:756
	buffer_load_dword v20, off, s[0:3], 0 offset:760
	buffer_load_dword v21, off, s[0:3], 0 offset:764
	s_waitcnt vmcnt(2)
	v_add_f64 v[4:5], v[4:5], -v[12:13]
	s_waitcnt vmcnt(0)
	v_add_f64 v[2:3], v[20:21], -v[2:3]
	buffer_store_dword v5, off, s[0:3], 0 offset:756
	buffer_store_dword v4, off, s[0:3], 0 offset:752
	buffer_store_dword v3, off, s[0:3], 0 offset:764
	buffer_store_dword v2, off, s[0:3], 0 offset:760
	ds_read2_b64 v[2:5], v16 offset0:96 offset1:97
	s_waitcnt lgkmcnt(0)
	v_mul_f64 v[12:13], v[4:5], v[10:11]
	v_fma_f64 v[12:13], v[2:3], v[0:1], -v[12:13]
	v_mul_f64 v[2:3], v[2:3], v[10:11]
	v_fma_f64 v[0:1], v[4:5], v[0:1], v[2:3]
	buffer_load_dword v2, off, s[0:3], 0 offset:768
	buffer_load_dword v3, off, s[0:3], 0 offset:772
	buffer_load_dword v4, off, s[0:3], 0 offset:776
	buffer_load_dword v5, off, s[0:3], 0 offset:780
	s_waitcnt vmcnt(2)
	v_add_f64 v[2:3], v[2:3], -v[12:13]
	s_waitcnt vmcnt(0)
	v_add_f64 v[0:1], v[4:5], -v[0:1]
	buffer_store_dword v3, off, s[0:3], 0 offset:772
	buffer_store_dword v2, off, s[0:3], 0 offset:768
	buffer_store_dword v1, off, s[0:3], 0 offset:780
	buffer_store_dword v0, off, s[0:3], 0 offset:776
	ds_read2_b64 v[0:3], v16 offset0:98 offset1:99
	buffer_load_dword v4, off, s[0:3], 0 offset:576
	buffer_load_dword v5, off, s[0:3], 0 offset:580
	;; [unrolled: 1-line block ×4, first 2 shown]
	s_waitcnt vmcnt(0) lgkmcnt(0)
	v_mul_f64 v[12:13], v[2:3], v[10:11]
	v_fma_f64 v[12:13], v[0:1], v[4:5], -v[12:13]
	v_mul_f64 v[0:1], v[0:1], v[10:11]
	v_fma_f64 v[0:1], v[2:3], v[4:5], v[0:1]
	buffer_load_dword v3, off, s[0:3], 0 offset:788
	buffer_load_dword v2, off, s[0:3], 0 offset:784
	s_waitcnt vmcnt(0)
	v_add_f64 v[2:3], v[2:3], -v[12:13]
	buffer_load_dword v13, off, s[0:3], 0 offset:796
	buffer_load_dword v12, off, s[0:3], 0 offset:792
	s_waitcnt vmcnt(0)
	v_add_f64 v[0:1], v[12:13], -v[0:1]
	buffer_store_dword v3, off, s[0:3], 0 offset:788
	buffer_store_dword v2, off, s[0:3], 0 offset:784
	buffer_store_dword v1, off, s[0:3], 0 offset:796
	buffer_store_dword v0, off, s[0:3], 0 offset:792
	ds_read2_b64 v[0:3], v16 offset0:100 offset1:101
	s_waitcnt lgkmcnt(0)
	v_mul_f64 v[12:13], v[2:3], v[10:11]
	v_fma_f64 v[12:13], v[0:1], v[4:5], -v[12:13]
	v_mul_f64 v[0:1], v[0:1], v[10:11]
	v_fma_f64 v[0:1], v[2:3], v[4:5], v[0:1]
	buffer_load_dword v2, off, s[0:3], 0 offset:800
	buffer_load_dword v3, off, s[0:3], 0 offset:804
	buffer_load_dword v20, off, s[0:3], 0 offset:808
	buffer_load_dword v21, off, s[0:3], 0 offset:812
	s_waitcnt vmcnt(2)
	v_add_f64 v[2:3], v[2:3], -v[12:13]
	s_waitcnt vmcnt(0)
	v_add_f64 v[0:1], v[20:21], -v[0:1]
	buffer_store_dword v3, off, s[0:3], 0 offset:804
	buffer_store_dword v2, off, s[0:3], 0 offset:800
	buffer_store_dword v1, off, s[0:3], 0 offset:812
	buffer_store_dword v0, off, s[0:3], 0 offset:808
	ds_read2_b64 v[0:3], v16 offset0:102 offset1:103
	s_waitcnt lgkmcnt(0)
	v_mul_f64 v[12:13], v[2:3], v[10:11]
	v_fma_f64 v[12:13], v[0:1], v[4:5], -v[12:13]
	v_mul_f64 v[0:1], v[0:1], v[10:11]
	v_fma_f64 v[0:1], v[2:3], v[4:5], v[0:1]
	buffer_load_dword v2, off, s[0:3], 0 offset:816
	buffer_load_dword v3, off, s[0:3], 0 offset:820
	buffer_load_dword v20, off, s[0:3], 0 offset:824
	buffer_load_dword v21, off, s[0:3], 0 offset:828
	s_waitcnt vmcnt(2)
	v_add_f64 v[2:3], v[2:3], -v[12:13]
	;; [unrolled: 18-line block ×5, first 2 shown]
	s_waitcnt vmcnt(0)
	v_add_f64 v[0:1], v[4:5], -v[0:1]
	buffer_store_dword v3, off, s[0:3], 0 offset:868
	buffer_store_dword v2, off, s[0:3], 0 offset:864
	;; [unrolled: 1-line block ×4, first 2 shown]
	ds_read2_b64 v[0:3], v16 offset0:110 offset1:111
	buffer_load_dword v4, off, s[0:3], 0 offset:576
	buffer_load_dword v5, off, s[0:3], 0 offset:580
	;; [unrolled: 1-line block ×4, first 2 shown]
	s_waitcnt vmcnt(0) lgkmcnt(0)
	v_mul_f64 v[12:13], v[2:3], v[10:11]
	v_fma_f64 v[12:13], v[0:1], v[4:5], -v[12:13]
	v_mul_f64 v[0:1], v[0:1], v[10:11]
	v_fma_f64 v[0:1], v[2:3], v[4:5], v[0:1]
	buffer_load_dword v3, off, s[0:3], 0 offset:884
	buffer_load_dword v2, off, s[0:3], 0 offset:880
	s_waitcnt vmcnt(0)
	v_add_f64 v[2:3], v[2:3], -v[12:13]
	buffer_load_dword v13, off, s[0:3], 0 offset:892
	buffer_load_dword v12, off, s[0:3], 0 offset:888
	s_waitcnt vmcnt(0)
	v_add_f64 v[0:1], v[12:13], -v[0:1]
	buffer_store_dword v3, off, s[0:3], 0 offset:884
	buffer_store_dword v2, off, s[0:3], 0 offset:880
	buffer_store_dword v1, off, s[0:3], 0 offset:892
	buffer_store_dword v0, off, s[0:3], 0 offset:888
	ds_read2_b64 v[0:3], v16 offset0:112 offset1:113
	s_waitcnt lgkmcnt(0)
	v_mul_f64 v[12:13], v[2:3], v[10:11]
	v_fma_f64 v[12:13], v[0:1], v[4:5], -v[12:13]
	v_mul_f64 v[0:1], v[0:1], v[10:11]
	v_fma_f64 v[0:1], v[2:3], v[4:5], v[0:1]
	buffer_load_dword v2, off, s[0:3], 0 offset:896
	buffer_load_dword v3, off, s[0:3], 0 offset:900
	buffer_load_dword v20, off, s[0:3], 0 offset:904
	buffer_load_dword v21, off, s[0:3], 0 offset:908
	s_waitcnt vmcnt(2)
	v_add_f64 v[2:3], v[2:3], -v[12:13]
	s_waitcnt vmcnt(0)
	v_add_f64 v[0:1], v[20:21], -v[0:1]
	buffer_store_dword v3, off, s[0:3], 0 offset:900
	buffer_store_dword v2, off, s[0:3], 0 offset:896
	buffer_store_dword v1, off, s[0:3], 0 offset:908
	buffer_store_dword v0, off, s[0:3], 0 offset:904
	ds_read2_b64 v[0:3], v16 offset0:114 offset1:115
	s_waitcnt lgkmcnt(0)
	v_mul_f64 v[12:13], v[2:3], v[10:11]
	v_fma_f64 v[12:13], v[0:1], v[4:5], -v[12:13]
	v_mul_f64 v[0:1], v[0:1], v[10:11]
	v_fma_f64 v[0:1], v[2:3], v[4:5], v[0:1]
	buffer_load_dword v2, off, s[0:3], 0 offset:912
	buffer_load_dword v3, off, s[0:3], 0 offset:916
	buffer_load_dword v20, off, s[0:3], 0 offset:920
	buffer_load_dword v21, off, s[0:3], 0 offset:924
	s_waitcnt vmcnt(2)
	v_add_f64 v[2:3], v[2:3], -v[12:13]
	;; [unrolled: 18-line block ×5, first 2 shown]
	s_waitcnt vmcnt(0)
	v_add_f64 v[0:1], v[4:5], -v[0:1]
	buffer_store_dword v3, off, s[0:3], 0 offset:964
	buffer_store_dword v2, off, s[0:3], 0 offset:960
	;; [unrolled: 1-line block ×4, first 2 shown]
	ds_read2_b64 v[0:3], v16 offset0:122 offset1:123
	buffer_load_dword v4, off, s[0:3], 0 offset:576
	buffer_load_dword v5, off, s[0:3], 0 offset:580
	;; [unrolled: 1-line block ×4, first 2 shown]
	s_waitcnt vmcnt(0) lgkmcnt(0)
	v_mul_f64 v[12:13], v[2:3], v[10:11]
	v_fma_f64 v[12:13], v[0:1], v[4:5], -v[12:13]
	v_mul_f64 v[0:1], v[0:1], v[10:11]
	v_fma_f64 v[0:1], v[2:3], v[4:5], v[0:1]
	buffer_load_dword v3, off, s[0:3], 0 offset:980
	buffer_load_dword v2, off, s[0:3], 0 offset:976
	s_waitcnt vmcnt(0)
	v_add_f64 v[2:3], v[2:3], -v[12:13]
	buffer_load_dword v13, off, s[0:3], 0 offset:988
	buffer_load_dword v12, off, s[0:3], 0 offset:984
	s_waitcnt vmcnt(0)
	v_add_f64 v[0:1], v[12:13], -v[0:1]
	buffer_store_dword v3, off, s[0:3], 0 offset:980
	buffer_store_dword v2, off, s[0:3], 0 offset:976
	;; [unrolled: 1-line block ×4, first 2 shown]
	ds_read2_b64 v[0:3], v16 offset0:124 offset1:125
	s_waitcnt lgkmcnt(0)
	v_mul_f64 v[12:13], v[2:3], v[10:11]
	v_fma_f64 v[12:13], v[0:1], v[4:5], -v[12:13]
	v_mul_f64 v[0:1], v[0:1], v[10:11]
	v_fma_f64 v[0:1], v[2:3], v[4:5], v[0:1]
	buffer_load_dword v2, off, s[0:3], 0 offset:992
	buffer_load_dword v3, off, s[0:3], 0 offset:996
	;; [unrolled: 1-line block ×4, first 2 shown]
	s_waitcnt vmcnt(2)
	v_add_f64 v[2:3], v[2:3], -v[12:13]
	s_waitcnt vmcnt(0)
	v_add_f64 v[0:1], v[20:21], -v[0:1]
	buffer_store_dword v3, off, s[0:3], 0 offset:996
	buffer_store_dword v2, off, s[0:3], 0 offset:992
	;; [unrolled: 1-line block ×4, first 2 shown]
	ds_read2_b64 v[0:3], v16 offset0:126 offset1:127
	s_waitcnt lgkmcnt(0)
	v_mul_f64 v[12:13], v[2:3], v[10:11]
	v_fma_f64 v[12:13], v[0:1], v[4:5], -v[12:13]
	v_mul_f64 v[0:1], v[0:1], v[10:11]
	v_fma_f64 v[0:1], v[2:3], v[4:5], v[0:1]
	buffer_load_dword v2, off, s[0:3], 0 offset:1008
	buffer_load_dword v3, off, s[0:3], 0 offset:1012
	;; [unrolled: 1-line block ×4, first 2 shown]
	s_waitcnt vmcnt(2)
	v_add_f64 v[2:3], v[2:3], -v[12:13]
	s_waitcnt vmcnt(0)
	v_add_f64 v[0:1], v[4:5], -v[0:1]
	buffer_store_dword v3, off, s[0:3], 0 offset:1012
	buffer_store_dword v2, off, s[0:3], 0 offset:1008
	;; [unrolled: 1-line block ×4, first 2 shown]
.LBB126_894:
	s_or_b64 exec, exec, s[4:5]
	v_mov_b32_e32 v3, s52
	s_waitcnt vmcnt(0)
	s_barrier
	buffer_load_dword v0, v3, s[0:3], 0 offen
	buffer_load_dword v1, v3, s[0:3], 0 offen offset:4
	buffer_load_dword v2, v3, s[0:3], 0 offen offset:8
	s_nop 0
	buffer_load_dword v3, v3, s[0:3], 0 offen offset:12
	v_lshl_add_u32 v4, v19, 4, v16
	s_cmp_lt_i32 s66, 39
	s_waitcnt vmcnt(0)
	ds_write2_b64 v4, v[0:1], v[2:3] offset1:1
	s_waitcnt lgkmcnt(0)
	s_barrier
	ds_read2_b64 v[0:3], v16 offset0:74 offset1:75
	v_mov_b32_e32 v4, 37
	s_cbranch_scc1 .LBB126_897
; %bb.895:
	v_add_u32_e32 v5, 0x260, v16
	s_mov_b32 s16, 38
	v_mov_b32_e32 v4, 37
.LBB126_896:                            ; =>This Inner Loop Header: Depth=1
	s_waitcnt lgkmcnt(0)
	v_cmp_gt_f64_e32 vcc, 0, v[2:3]
	v_cmp_gt_f64_e64 s[4:5], 0, v[0:1]
	ds_read2_b64 v[10:13], v5 offset1:1
	v_xor_b32_e32 v21, 0x80000000, v1
	v_xor_b32_e32 v23, 0x80000000, v3
	v_mov_b32_e32 v20, v0
	v_mov_b32_e32 v22, v2
	s_waitcnt lgkmcnt(0)
	v_xor_b32_e32 v25, 0x80000000, v13
	v_cndmask_b32_e32 v23, v3, v23, vcc
	v_cndmask_b32_e64 v21, v1, v21, s[4:5]
	v_cmp_gt_f64_e32 vcc, 0, v[12:13]
	v_cmp_gt_f64_e64 s[4:5], 0, v[10:11]
	v_add_f64 v[20:21], v[20:21], v[22:23]
	v_xor_b32_e32 v23, 0x80000000, v11
	v_mov_b32_e32 v22, v10
	v_mov_b32_e32 v24, v12
	v_add_u32_e32 v5, 16, v5
	v_cndmask_b32_e32 v25, v13, v25, vcc
	v_cndmask_b32_e64 v23, v11, v23, s[4:5]
	v_add_f64 v[22:23], v[22:23], v[24:25]
	v_mov_b32_e32 v24, s16
	s_add_i32 s16, s16, 1
	s_cmp_lg_u32 s66, s16
	v_cmp_lt_f64_e32 vcc, v[20:21], v[22:23]
	v_cndmask_b32_e32 v1, v1, v11, vcc
	v_cndmask_b32_e32 v0, v0, v10, vcc
	;; [unrolled: 1-line block ×5, first 2 shown]
	s_cbranch_scc1 .LBB126_896
.LBB126_897:
	s_waitcnt lgkmcnt(0)
	v_cmp_eq_f64_e32 vcc, 0, v[0:1]
	v_cmp_eq_f64_e64 s[4:5], 0, v[2:3]
	s_and_b64 s[4:5], vcc, s[4:5]
	s_and_saveexec_b64 s[16:17], s[4:5]
	s_xor_b64 s[4:5], exec, s[16:17]
; %bb.898:
	v_cmp_ne_u32_e32 vcc, 0, v17
	v_cndmask_b32_e32 v17, 38, v17, vcc
; %bb.899:
	s_andn2_saveexec_b64 s[4:5], s[4:5]
	s_cbranch_execz .LBB126_905
; %bb.900:
	v_cmp_ngt_f64_e64 s[16:17], |v[0:1]|, |v[2:3]|
	s_and_saveexec_b64 s[18:19], s[16:17]
	s_xor_b64 s[18:19], exec, s[18:19]
	s_cbranch_execz .LBB126_902
; %bb.901:
	v_div_scale_f64 v[10:11], s[16:17], v[2:3], v[2:3], v[0:1]
	v_rcp_f64_e32 v[12:13], v[10:11]
	v_fma_f64 v[20:21], -v[10:11], v[12:13], 1.0
	v_fma_f64 v[12:13], v[12:13], v[20:21], v[12:13]
	v_div_scale_f64 v[20:21], vcc, v[0:1], v[2:3], v[0:1]
	v_fma_f64 v[22:23], -v[10:11], v[12:13], 1.0
	v_fma_f64 v[12:13], v[12:13], v[22:23], v[12:13]
	v_mul_f64 v[22:23], v[20:21], v[12:13]
	v_fma_f64 v[10:11], -v[10:11], v[22:23], v[20:21]
	v_div_fmas_f64 v[10:11], v[10:11], v[12:13], v[22:23]
	v_div_fixup_f64 v[10:11], v[10:11], v[2:3], v[0:1]
	v_fma_f64 v[0:1], v[0:1], v[10:11], v[2:3]
	v_div_scale_f64 v[2:3], s[16:17], v[0:1], v[0:1], 1.0
	v_div_scale_f64 v[22:23], vcc, 1.0, v[0:1], 1.0
	v_rcp_f64_e32 v[12:13], v[2:3]
	v_fma_f64 v[20:21], -v[2:3], v[12:13], 1.0
	v_fma_f64 v[12:13], v[12:13], v[20:21], v[12:13]
	v_fma_f64 v[20:21], -v[2:3], v[12:13], 1.0
	v_fma_f64 v[12:13], v[12:13], v[20:21], v[12:13]
	v_mul_f64 v[20:21], v[22:23], v[12:13]
	v_fma_f64 v[2:3], -v[2:3], v[20:21], v[22:23]
	v_div_fmas_f64 v[2:3], v[2:3], v[12:13], v[20:21]
	v_div_fixup_f64 v[2:3], v[2:3], v[0:1], 1.0
	v_mul_f64 v[0:1], v[10:11], v[2:3]
	v_xor_b32_e32 v3, 0x80000000, v3
.LBB126_902:
	s_andn2_saveexec_b64 s[18:19], s[18:19]
	s_cbranch_execz .LBB126_904
; %bb.903:
	v_div_scale_f64 v[10:11], s[16:17], v[0:1], v[0:1], v[2:3]
	v_rcp_f64_e32 v[12:13], v[10:11]
	v_fma_f64 v[20:21], -v[10:11], v[12:13], 1.0
	v_fma_f64 v[12:13], v[12:13], v[20:21], v[12:13]
	v_div_scale_f64 v[20:21], vcc, v[2:3], v[0:1], v[2:3]
	v_fma_f64 v[22:23], -v[10:11], v[12:13], 1.0
	v_fma_f64 v[12:13], v[12:13], v[22:23], v[12:13]
	v_mul_f64 v[22:23], v[20:21], v[12:13]
	v_fma_f64 v[10:11], -v[10:11], v[22:23], v[20:21]
	v_div_fmas_f64 v[10:11], v[10:11], v[12:13], v[22:23]
	v_div_fixup_f64 v[10:11], v[10:11], v[0:1], v[2:3]
	v_fma_f64 v[0:1], v[2:3], v[10:11], v[0:1]
	v_div_scale_f64 v[2:3], s[16:17], v[0:1], v[0:1], 1.0
	v_div_scale_f64 v[22:23], vcc, 1.0, v[0:1], 1.0
	v_rcp_f64_e32 v[12:13], v[2:3]
	v_fma_f64 v[20:21], -v[2:3], v[12:13], 1.0
	v_fma_f64 v[12:13], v[12:13], v[20:21], v[12:13]
	v_fma_f64 v[20:21], -v[2:3], v[12:13], 1.0
	v_fma_f64 v[12:13], v[12:13], v[20:21], v[12:13]
	v_mul_f64 v[20:21], v[22:23], v[12:13]
	v_fma_f64 v[2:3], -v[2:3], v[20:21], v[22:23]
	v_div_fmas_f64 v[2:3], v[2:3], v[12:13], v[20:21]
	v_div_fixup_f64 v[0:1], v[2:3], v[0:1], 1.0
	v_mul_f64 v[2:3], v[10:11], -v[0:1]
.LBB126_904:
	s_or_b64 exec, exec, s[18:19]
.LBB126_905:
	s_or_b64 exec, exec, s[4:5]
	v_cmp_ne_u32_e32 vcc, v19, v4
	s_and_saveexec_b64 s[4:5], vcc
	s_xor_b64 s[4:5], exec, s[4:5]
	s_cbranch_execz .LBB126_911
; %bb.906:
	v_cmp_eq_u32_e32 vcc, 37, v19
	s_and_saveexec_b64 s[18:19], vcc
	s_cbranch_execz .LBB126_910
; %bb.907:
	v_cmp_ne_u32_e32 vcc, 37, v4
	s_xor_b64 s[16:17], s[10:11], -1
	s_and_b64 s[16:17], s[16:17], vcc
	s_and_saveexec_b64 s[24:25], s[16:17]
	s_cbranch_execz .LBB126_909
; %bb.908:
	v_ashrrev_i32_e32 v5, 31, v4
	v_lshlrev_b64 v[10:11], 2, v[4:5]
	v_add_co_u32_e32 v10, vcc, v8, v10
	v_addc_co_u32_e32 v11, vcc, v9, v11, vcc
	global_load_dword v5, v[10:11], off
	global_load_dword v12, v[8:9], off offset:148
	s_waitcnt vmcnt(1)
	global_store_dword v[8:9], v5, off offset:148
	s_waitcnt vmcnt(1)
	global_store_dword v[10:11], v12, off
.LBB126_909:
	s_or_b64 exec, exec, s[24:25]
	v_mov_b32_e32 v19, v4
	v_mov_b32_e32 v18, v4
.LBB126_910:
	s_or_b64 exec, exec, s[18:19]
.LBB126_911:
	s_andn2_saveexec_b64 s[4:5], s[4:5]
	s_cbranch_execz .LBB126_913
; %bb.912:
	v_mov_b32_e32 v11, s51
	buffer_load_dword v4, v11, s[0:3], 0 offen
	buffer_load_dword v5, v11, s[0:3], 0 offen offset:4
	buffer_load_dword v10, v11, s[0:3], 0 offen offset:8
	s_nop 0
	buffer_load_dword v11, v11, s[0:3], 0 offen offset:12
	v_mov_b32_e32 v19, 37
	s_waitcnt vmcnt(0)
	ds_write2_b64 v16, v[4:5], v[10:11] offset0:76 offset1:77
	v_mov_b32_e32 v11, s50
	buffer_load_dword v4, v11, s[0:3], 0 offen
	buffer_load_dword v5, v11, s[0:3], 0 offen offset:4
	buffer_load_dword v10, v11, s[0:3], 0 offen offset:8
	s_nop 0
	buffer_load_dword v11, v11, s[0:3], 0 offen offset:12
	s_waitcnt vmcnt(0)
	ds_write2_b64 v16, v[4:5], v[10:11] offset0:78 offset1:79
	v_mov_b32_e32 v11, s49
	buffer_load_dword v4, v11, s[0:3], 0 offen
	buffer_load_dword v5, v11, s[0:3], 0 offen offset:4
	buffer_load_dword v10, v11, s[0:3], 0 offen offset:8
	s_nop 0
	buffer_load_dword v11, v11, s[0:3], 0 offen offset:12
	;; [unrolled: 8-line block ×25, first 2 shown]
	s_waitcnt vmcnt(0)
	ds_write2_b64 v16, v[4:5], v[10:11] offset0:126 offset1:127
.LBB126_913:
	s_or_b64 exec, exec, s[4:5]
	v_cmp_lt_i32_e32 vcc, 37, v19
	s_waitcnt vmcnt(0) lgkmcnt(0)
	s_barrier
	s_and_saveexec_b64 s[4:5], vcc
	s_cbranch_execz .LBB126_915
; %bb.914:
	buffer_load_dword v10, off, s[0:3], 0 offset:592
	buffer_load_dword v11, off, s[0:3], 0 offset:596
	;; [unrolled: 1-line block ×16, first 2 shown]
	s_waitcnt vmcnt(12)
	v_mul_f64 v[4:5], v[2:3], v[12:13]
	v_fma_f64 v[4:5], v[0:1], v[10:11], -v[4:5]
	v_mul_f64 v[0:1], v[0:1], v[12:13]
	v_fma_f64 v[0:1], v[2:3], v[10:11], v[0:1]
	buffer_store_dword v4, off, s[0:3], 0 offset:592
	buffer_store_dword v5, off, s[0:3], 0 offset:596
	buffer_store_dword v0, off, s[0:3], 0 offset:600
	buffer_store_dword v1, off, s[0:3], 0 offset:604
	ds_read2_b64 v[10:13], v16 offset0:76 offset1:77
	s_waitcnt lgkmcnt(0)
	v_mul_f64 v[2:3], v[12:13], v[0:1]
	v_fma_f64 v[2:3], v[10:11], v[4:5], -v[2:3]
	v_mul_f64 v[10:11], v[10:11], v[0:1]
	s_waitcnt vmcnt(14)
	v_add_f64 v[2:3], v[20:21], -v[2:3]
	v_fma_f64 v[10:11], v[12:13], v[4:5], v[10:11]
	s_waitcnt vmcnt(12)
	v_add_f64 v[10:11], v[22:23], -v[10:11]
	buffer_store_dword v2, off, s[0:3], 0 offset:608
	buffer_store_dword v3, off, s[0:3], 0 offset:612
	buffer_store_dword v10, off, s[0:3], 0 offset:616
	buffer_store_dword v11, off, s[0:3], 0 offset:620
	ds_read2_b64 v[10:13], v16 offset0:78 offset1:79
	s_waitcnt lgkmcnt(0)
	v_mul_f64 v[2:3], v[12:13], v[0:1]
	v_fma_f64 v[2:3], v[10:11], v[4:5], -v[2:3]
	v_mul_f64 v[10:11], v[10:11], v[0:1]
	s_waitcnt vmcnt(14)
	v_add_f64 v[2:3], v[24:25], -v[2:3]
	v_fma_f64 v[10:11], v[12:13], v[4:5], v[10:11]
	s_waitcnt vmcnt(12)
	v_add_f64 v[10:11], v[26:27], -v[10:11]
	;; [unrolled: 14-line block ×3, first 2 shown]
	buffer_store_dword v3, off, s[0:3], 0 offset:644
	buffer_store_dword v2, off, s[0:3], 0 offset:640
	;; [unrolled: 1-line block ×4, first 2 shown]
	ds_read2_b64 v[10:13], v16 offset0:82 offset1:83
	s_waitcnt lgkmcnt(0)
	v_mul_f64 v[2:3], v[12:13], v[0:1]
	v_fma_f64 v[2:3], v[10:11], v[4:5], -v[2:3]
	v_mul_f64 v[10:11], v[10:11], v[0:1]
	v_fma_f64 v[10:11], v[12:13], v[4:5], v[10:11]
	buffer_load_dword v12, off, s[0:3], 0 offset:656
	buffer_load_dword v13, off, s[0:3], 0 offset:660
	buffer_load_dword v20, off, s[0:3], 0 offset:664
	buffer_load_dword v21, off, s[0:3], 0 offset:668
	s_waitcnt vmcnt(2)
	v_add_f64 v[2:3], v[12:13], -v[2:3]
	s_waitcnt vmcnt(0)
	v_add_f64 v[10:11], v[20:21], -v[10:11]
	buffer_store_dword v3, off, s[0:3], 0 offset:660
	buffer_store_dword v2, off, s[0:3], 0 offset:656
	;; [unrolled: 1-line block ×4, first 2 shown]
	ds_read2_b64 v[10:13], v16 offset0:84 offset1:85
	s_waitcnt lgkmcnt(0)
	v_mul_f64 v[2:3], v[12:13], v[0:1]
	v_fma_f64 v[2:3], v[10:11], v[4:5], -v[2:3]
	v_mul_f64 v[10:11], v[10:11], v[0:1]
	v_fma_f64 v[10:11], v[12:13], v[4:5], v[10:11]
	buffer_load_dword v12, off, s[0:3], 0 offset:672
	buffer_load_dword v13, off, s[0:3], 0 offset:676
	;; [unrolled: 1-line block ×4, first 2 shown]
	s_waitcnt vmcnt(2)
	v_add_f64 v[2:3], v[12:13], -v[2:3]
	s_waitcnt vmcnt(0)
	v_add_f64 v[10:11], v[20:21], -v[10:11]
	buffer_store_dword v3, off, s[0:3], 0 offset:676
	buffer_store_dword v2, off, s[0:3], 0 offset:672
	;; [unrolled: 1-line block ×4, first 2 shown]
	ds_read2_b64 v[10:13], v16 offset0:86 offset1:87
	s_waitcnt lgkmcnt(0)
	v_mul_f64 v[2:3], v[12:13], v[0:1]
	v_mul_f64 v[0:1], v[10:11], v[0:1]
	v_fma_f64 v[2:3], v[10:11], v[4:5], -v[2:3]
	v_fma_f64 v[0:1], v[12:13], v[4:5], v[0:1]
	buffer_load_dword v4, off, s[0:3], 0 offset:688
	buffer_load_dword v5, off, s[0:3], 0 offset:692
	;; [unrolled: 1-line block ×4, first 2 shown]
	s_waitcnt vmcnt(2)
	v_add_f64 v[2:3], v[4:5], -v[2:3]
	s_waitcnt vmcnt(0)
	v_add_f64 v[0:1], v[10:11], -v[0:1]
	buffer_store_dword v3, off, s[0:3], 0 offset:692
	buffer_store_dword v2, off, s[0:3], 0 offset:688
	;; [unrolled: 1-line block ×4, first 2 shown]
	ds_read2_b64 v[0:3], v16 offset0:88 offset1:89
	buffer_load_dword v4, off, s[0:3], 0 offset:592
	buffer_load_dword v5, off, s[0:3], 0 offset:596
	;; [unrolled: 1-line block ×4, first 2 shown]
	s_waitcnt vmcnt(0) lgkmcnt(0)
	v_mul_f64 v[12:13], v[2:3], v[10:11]
	v_fma_f64 v[12:13], v[0:1], v[4:5], -v[12:13]
	v_mul_f64 v[0:1], v[0:1], v[10:11]
	v_fma_f64 v[0:1], v[2:3], v[4:5], v[0:1]
	buffer_load_dword v3, off, s[0:3], 0 offset:708
	buffer_load_dword v2, off, s[0:3], 0 offset:704
	s_waitcnt vmcnt(0)
	v_add_f64 v[2:3], v[2:3], -v[12:13]
	buffer_load_dword v13, off, s[0:3], 0 offset:716
	buffer_load_dword v12, off, s[0:3], 0 offset:712
	s_waitcnt vmcnt(0)
	v_add_f64 v[0:1], v[12:13], -v[0:1]
	buffer_store_dword v3, off, s[0:3], 0 offset:708
	buffer_store_dword v2, off, s[0:3], 0 offset:704
	buffer_store_dword v1, off, s[0:3], 0 offset:716
	buffer_store_dword v0, off, s[0:3], 0 offset:712
	ds_read2_b64 v[0:3], v16 offset0:90 offset1:91
	s_waitcnt lgkmcnt(0)
	v_mul_f64 v[12:13], v[2:3], v[10:11]
	v_fma_f64 v[12:13], v[0:1], v[4:5], -v[12:13]
	v_mul_f64 v[0:1], v[0:1], v[10:11]
	v_fma_f64 v[0:1], v[2:3], v[4:5], v[0:1]
	buffer_load_dword v2, off, s[0:3], 0 offset:720
	buffer_load_dword v3, off, s[0:3], 0 offset:724
	buffer_load_dword v20, off, s[0:3], 0 offset:728
	buffer_load_dword v21, off, s[0:3], 0 offset:732
	s_waitcnt vmcnt(2)
	v_add_f64 v[2:3], v[2:3], -v[12:13]
	s_waitcnt vmcnt(0)
	v_add_f64 v[0:1], v[20:21], -v[0:1]
	buffer_store_dword v3, off, s[0:3], 0 offset:724
	buffer_store_dword v2, off, s[0:3], 0 offset:720
	buffer_store_dword v1, off, s[0:3], 0 offset:732
	buffer_store_dword v0, off, s[0:3], 0 offset:728
	ds_read2_b64 v[0:3], v16 offset0:92 offset1:93
	s_waitcnt lgkmcnt(0)
	v_mul_f64 v[12:13], v[2:3], v[10:11]
	v_fma_f64 v[12:13], v[0:1], v[4:5], -v[12:13]
	v_mul_f64 v[0:1], v[0:1], v[10:11]
	v_fma_f64 v[0:1], v[2:3], v[4:5], v[0:1]
	buffer_load_dword v2, off, s[0:3], 0 offset:736
	buffer_load_dword v3, off, s[0:3], 0 offset:740
	buffer_load_dword v20, off, s[0:3], 0 offset:744
	buffer_load_dword v21, off, s[0:3], 0 offset:748
	s_waitcnt vmcnt(2)
	v_add_f64 v[2:3], v[2:3], -v[12:13]
	;; [unrolled: 18-line block ×5, first 2 shown]
	s_waitcnt vmcnt(0)
	v_add_f64 v[0:1], v[4:5], -v[0:1]
	buffer_store_dword v3, off, s[0:3], 0 offset:788
	buffer_store_dword v2, off, s[0:3], 0 offset:784
	;; [unrolled: 1-line block ×4, first 2 shown]
	ds_read2_b64 v[0:3], v16 offset0:100 offset1:101
	buffer_load_dword v4, off, s[0:3], 0 offset:592
	buffer_load_dword v5, off, s[0:3], 0 offset:596
	;; [unrolled: 1-line block ×4, first 2 shown]
	s_waitcnt vmcnt(0) lgkmcnt(0)
	v_mul_f64 v[12:13], v[2:3], v[10:11]
	v_fma_f64 v[12:13], v[0:1], v[4:5], -v[12:13]
	v_mul_f64 v[0:1], v[0:1], v[10:11]
	v_fma_f64 v[0:1], v[2:3], v[4:5], v[0:1]
	buffer_load_dword v3, off, s[0:3], 0 offset:804
	buffer_load_dword v2, off, s[0:3], 0 offset:800
	s_waitcnt vmcnt(0)
	v_add_f64 v[2:3], v[2:3], -v[12:13]
	buffer_load_dword v13, off, s[0:3], 0 offset:812
	buffer_load_dword v12, off, s[0:3], 0 offset:808
	s_waitcnt vmcnt(0)
	v_add_f64 v[0:1], v[12:13], -v[0:1]
	buffer_store_dword v3, off, s[0:3], 0 offset:804
	buffer_store_dword v2, off, s[0:3], 0 offset:800
	buffer_store_dword v1, off, s[0:3], 0 offset:812
	buffer_store_dword v0, off, s[0:3], 0 offset:808
	ds_read2_b64 v[0:3], v16 offset0:102 offset1:103
	s_waitcnt lgkmcnt(0)
	v_mul_f64 v[12:13], v[2:3], v[10:11]
	v_fma_f64 v[12:13], v[0:1], v[4:5], -v[12:13]
	v_mul_f64 v[0:1], v[0:1], v[10:11]
	v_fma_f64 v[0:1], v[2:3], v[4:5], v[0:1]
	buffer_load_dword v2, off, s[0:3], 0 offset:816
	buffer_load_dword v3, off, s[0:3], 0 offset:820
	buffer_load_dword v20, off, s[0:3], 0 offset:824
	buffer_load_dword v21, off, s[0:3], 0 offset:828
	s_waitcnt vmcnt(2)
	v_add_f64 v[2:3], v[2:3], -v[12:13]
	s_waitcnt vmcnt(0)
	v_add_f64 v[0:1], v[20:21], -v[0:1]
	buffer_store_dword v3, off, s[0:3], 0 offset:820
	buffer_store_dword v2, off, s[0:3], 0 offset:816
	buffer_store_dword v1, off, s[0:3], 0 offset:828
	buffer_store_dword v0, off, s[0:3], 0 offset:824
	ds_read2_b64 v[0:3], v16 offset0:104 offset1:105
	s_waitcnt lgkmcnt(0)
	v_mul_f64 v[12:13], v[2:3], v[10:11]
	v_fma_f64 v[12:13], v[0:1], v[4:5], -v[12:13]
	v_mul_f64 v[0:1], v[0:1], v[10:11]
	v_fma_f64 v[0:1], v[2:3], v[4:5], v[0:1]
	buffer_load_dword v2, off, s[0:3], 0 offset:832
	buffer_load_dword v3, off, s[0:3], 0 offset:836
	buffer_load_dword v20, off, s[0:3], 0 offset:840
	buffer_load_dword v21, off, s[0:3], 0 offset:844
	s_waitcnt vmcnt(2)
	v_add_f64 v[2:3], v[2:3], -v[12:13]
	s_waitcnt vmcnt(0)
	v_add_f64 v[0:1], v[20:21], -v[0:1]
	buffer_store_dword v3, off, s[0:3], 0 offset:836
	buffer_store_dword v2, off, s[0:3], 0 offset:832
	buffer_store_dword v1, off, s[0:3], 0 offset:844
	buffer_store_dword v0, off, s[0:3], 0 offset:840
	ds_read2_b64 v[0:3], v16 offset0:106 offset1:107
	s_waitcnt lgkmcnt(0)
	v_mul_f64 v[12:13], v[2:3], v[10:11]
	v_fma_f64 v[12:13], v[0:1], v[4:5], -v[12:13]
	v_mul_f64 v[0:1], v[0:1], v[10:11]
	v_fma_f64 v[0:1], v[2:3], v[4:5], v[0:1]
	buffer_load_dword v2, off, s[0:3], 0 offset:848
	buffer_load_dword v3, off, s[0:3], 0 offset:852
	buffer_load_dword v20, off, s[0:3], 0 offset:856
	buffer_load_dword v21, off, s[0:3], 0 offset:860
	s_waitcnt vmcnt(2)
	v_add_f64 v[2:3], v[2:3], -v[12:13]
	s_waitcnt vmcnt(0)
	v_add_f64 v[0:1], v[20:21], -v[0:1]
	buffer_store_dword v3, off, s[0:3], 0 offset:852
	buffer_store_dword v2, off, s[0:3], 0 offset:848
	buffer_store_dword v1, off, s[0:3], 0 offset:860
	buffer_store_dword v0, off, s[0:3], 0 offset:856
	ds_read2_b64 v[0:3], v16 offset0:108 offset1:109
	s_waitcnt lgkmcnt(0)
	v_mul_f64 v[12:13], v[2:3], v[10:11]
	v_fma_f64 v[12:13], v[0:1], v[4:5], -v[12:13]
	v_mul_f64 v[0:1], v[0:1], v[10:11]
	v_fma_f64 v[0:1], v[2:3], v[4:5], v[0:1]
	buffer_load_dword v2, off, s[0:3], 0 offset:864
	buffer_load_dword v3, off, s[0:3], 0 offset:868
	buffer_load_dword v20, off, s[0:3], 0 offset:872
	buffer_load_dword v21, off, s[0:3], 0 offset:876
	s_waitcnt vmcnt(2)
	v_add_f64 v[2:3], v[2:3], -v[12:13]
	s_waitcnt vmcnt(0)
	v_add_f64 v[0:1], v[20:21], -v[0:1]
	buffer_store_dword v3, off, s[0:3], 0 offset:868
	buffer_store_dword v2, off, s[0:3], 0 offset:864
	buffer_store_dword v1, off, s[0:3], 0 offset:876
	buffer_store_dword v0, off, s[0:3], 0 offset:872
	ds_read2_b64 v[0:3], v16 offset0:110 offset1:111
	s_waitcnt lgkmcnt(0)
	v_mul_f64 v[12:13], v[2:3], v[10:11]
	v_fma_f64 v[12:13], v[0:1], v[4:5], -v[12:13]
	v_mul_f64 v[0:1], v[0:1], v[10:11]
	v_fma_f64 v[0:1], v[2:3], v[4:5], v[0:1]
	buffer_load_dword v2, off, s[0:3], 0 offset:880
	buffer_load_dword v3, off, s[0:3], 0 offset:884
	buffer_load_dword v4, off, s[0:3], 0 offset:888
	buffer_load_dword v5, off, s[0:3], 0 offset:892
	s_waitcnt vmcnt(2)
	v_add_f64 v[2:3], v[2:3], -v[12:13]
	s_waitcnt vmcnt(0)
	v_add_f64 v[0:1], v[4:5], -v[0:1]
	buffer_store_dword v3, off, s[0:3], 0 offset:884
	buffer_store_dword v2, off, s[0:3], 0 offset:880
	;; [unrolled: 1-line block ×4, first 2 shown]
	ds_read2_b64 v[2:5], v16 offset0:112 offset1:113
	buffer_load_dword v0, off, s[0:3], 0 offset:592
	buffer_load_dword v1, off, s[0:3], 0 offset:596
	buffer_load_dword v10, off, s[0:3], 0 offset:600
	buffer_load_dword v11, off, s[0:3], 0 offset:604
	s_waitcnt vmcnt(0) lgkmcnt(0)
	v_mul_f64 v[12:13], v[4:5], v[10:11]
	v_fma_f64 v[12:13], v[2:3], v[0:1], -v[12:13]
	v_mul_f64 v[2:3], v[2:3], v[10:11]
	v_fma_f64 v[2:3], v[4:5], v[0:1], v[2:3]
	buffer_load_dword v5, off, s[0:3], 0 offset:900
	buffer_load_dword v4, off, s[0:3], 0 offset:896
	s_waitcnt vmcnt(0)
	v_add_f64 v[4:5], v[4:5], -v[12:13]
	buffer_load_dword v13, off, s[0:3], 0 offset:908
	buffer_load_dword v12, off, s[0:3], 0 offset:904
	s_waitcnt vmcnt(0)
	v_add_f64 v[2:3], v[12:13], -v[2:3]
	buffer_store_dword v5, off, s[0:3], 0 offset:900
	buffer_store_dword v4, off, s[0:3], 0 offset:896
	buffer_store_dword v3, off, s[0:3], 0 offset:908
	buffer_store_dword v2, off, s[0:3], 0 offset:904
	ds_read2_b64 v[2:5], v16 offset0:114 offset1:115
	s_waitcnt lgkmcnt(0)
	v_mul_f64 v[12:13], v[4:5], v[10:11]
	v_fma_f64 v[12:13], v[2:3], v[0:1], -v[12:13]
	v_mul_f64 v[2:3], v[2:3], v[10:11]
	v_fma_f64 v[2:3], v[4:5], v[0:1], v[2:3]
	buffer_load_dword v4, off, s[0:3], 0 offset:912
	buffer_load_dword v5, off, s[0:3], 0 offset:916
	buffer_load_dword v20, off, s[0:3], 0 offset:920
	buffer_load_dword v21, off, s[0:3], 0 offset:924
	s_waitcnt vmcnt(2)
	v_add_f64 v[4:5], v[4:5], -v[12:13]
	s_waitcnt vmcnt(0)
	v_add_f64 v[2:3], v[20:21], -v[2:3]
	buffer_store_dword v5, off, s[0:3], 0 offset:916
	buffer_store_dword v4, off, s[0:3], 0 offset:912
	buffer_store_dword v3, off, s[0:3], 0 offset:924
	buffer_store_dword v2, off, s[0:3], 0 offset:920
	ds_read2_b64 v[2:5], v16 offset0:116 offset1:117
	s_waitcnt lgkmcnt(0)
	v_mul_f64 v[12:13], v[4:5], v[10:11]
	v_fma_f64 v[12:13], v[2:3], v[0:1], -v[12:13]
	v_mul_f64 v[2:3], v[2:3], v[10:11]
	v_fma_f64 v[2:3], v[4:5], v[0:1], v[2:3]
	buffer_load_dword v4, off, s[0:3], 0 offset:928
	buffer_load_dword v5, off, s[0:3], 0 offset:932
	buffer_load_dword v20, off, s[0:3], 0 offset:936
	buffer_load_dword v21, off, s[0:3], 0 offset:940
	s_waitcnt vmcnt(2)
	v_add_f64 v[4:5], v[4:5], -v[12:13]
	;; [unrolled: 18-line block ×5, first 2 shown]
	s_waitcnt vmcnt(0)
	v_add_f64 v[0:1], v[4:5], -v[0:1]
	buffer_store_dword v3, off, s[0:3], 0 offset:980
	buffer_store_dword v2, off, s[0:3], 0 offset:976
	;; [unrolled: 1-line block ×4, first 2 shown]
	ds_read2_b64 v[20:23], v16 offset0:124 offset1:125
	buffer_load_dword v0, off, s[0:3], 0 offset:592
	buffer_load_dword v1, off, s[0:3], 0 offset:596
	;; [unrolled: 1-line block ×6, first 2 shown]
	s_waitcnt vmcnt(2) lgkmcnt(0)
	v_mul_f64 v[4:5], v[22:23], v[2:3]
	v_fma_f64 v[10:11], v[20:21], v[0:1], -v[4:5]
	v_mul_f64 v[4:5], v[20:21], v[2:3]
	s_waitcnt vmcnt(0)
	v_add_f64 v[10:11], v[12:13], -v[10:11]
	buffer_load_dword v13, off, s[0:3], 0 offset:1004
	buffer_load_dword v12, off, s[0:3], 0 offset:1000
	v_fma_f64 v[4:5], v[22:23], v[0:1], v[4:5]
	s_waitcnt vmcnt(0)
	v_add_f64 v[4:5], v[12:13], -v[4:5]
	buffer_store_dword v11, off, s[0:3], 0 offset:996
	buffer_store_dword v10, off, s[0:3], 0 offset:992
	buffer_store_dword v5, off, s[0:3], 0 offset:1004
	buffer_store_dword v4, off, s[0:3], 0 offset:1000
	ds_read2_b64 v[10:13], v16 offset0:126 offset1:127
	s_waitcnt lgkmcnt(0)
	v_mul_f64 v[4:5], v[12:13], v[2:3]
	v_mul_f64 v[2:3], v[10:11], v[2:3]
	v_fma_f64 v[4:5], v[10:11], v[0:1], -v[4:5]
	v_fma_f64 v[0:1], v[12:13], v[0:1], v[2:3]
	buffer_load_dword v2, off, s[0:3], 0 offset:1008
	buffer_load_dword v3, off, s[0:3], 0 offset:1012
	;; [unrolled: 1-line block ×4, first 2 shown]
	s_waitcnt vmcnt(2)
	v_add_f64 v[2:3], v[2:3], -v[4:5]
	s_waitcnt vmcnt(0)
	v_add_f64 v[0:1], v[10:11], -v[0:1]
	buffer_store_dword v3, off, s[0:3], 0 offset:1012
	buffer_store_dword v2, off, s[0:3], 0 offset:1008
	;; [unrolled: 1-line block ×4, first 2 shown]
.LBB126_915:
	s_or_b64 exec, exec, s[4:5]
	v_mov_b32_e32 v3, s51
	s_waitcnt vmcnt(0)
	s_barrier
	buffer_load_dword v0, v3, s[0:3], 0 offen
	buffer_load_dword v1, v3, s[0:3], 0 offen offset:4
	buffer_load_dword v2, v3, s[0:3], 0 offen offset:8
	s_nop 0
	buffer_load_dword v3, v3, s[0:3], 0 offen offset:12
	v_lshl_add_u32 v4, v19, 4, v16
	s_cmp_lt_i32 s66, 40
	s_waitcnt vmcnt(0)
	ds_write2_b64 v4, v[0:1], v[2:3] offset1:1
	s_waitcnt lgkmcnt(0)
	s_barrier
	ds_read2_b64 v[0:3], v16 offset0:76 offset1:77
	v_mov_b32_e32 v4, 38
	s_cbranch_scc1 .LBB126_918
; %bb.916:
	v_add_u32_e32 v5, 0x270, v16
	s_mov_b32 s16, 39
	v_mov_b32_e32 v4, 38
.LBB126_917:                            ; =>This Inner Loop Header: Depth=1
	s_waitcnt lgkmcnt(0)
	v_cmp_gt_f64_e32 vcc, 0, v[2:3]
	v_cmp_gt_f64_e64 s[4:5], 0, v[0:1]
	ds_read2_b64 v[10:13], v5 offset1:1
	v_xor_b32_e32 v21, 0x80000000, v1
	v_xor_b32_e32 v23, 0x80000000, v3
	v_mov_b32_e32 v20, v0
	v_mov_b32_e32 v22, v2
	s_waitcnt lgkmcnt(0)
	v_xor_b32_e32 v25, 0x80000000, v13
	v_cndmask_b32_e32 v23, v3, v23, vcc
	v_cndmask_b32_e64 v21, v1, v21, s[4:5]
	v_cmp_gt_f64_e32 vcc, 0, v[12:13]
	v_cmp_gt_f64_e64 s[4:5], 0, v[10:11]
	v_add_f64 v[20:21], v[20:21], v[22:23]
	v_xor_b32_e32 v23, 0x80000000, v11
	v_mov_b32_e32 v22, v10
	v_mov_b32_e32 v24, v12
	v_add_u32_e32 v5, 16, v5
	v_cndmask_b32_e32 v25, v13, v25, vcc
	v_cndmask_b32_e64 v23, v11, v23, s[4:5]
	v_add_f64 v[22:23], v[22:23], v[24:25]
	v_mov_b32_e32 v24, s16
	s_add_i32 s16, s16, 1
	s_cmp_lg_u32 s66, s16
	v_cmp_lt_f64_e32 vcc, v[20:21], v[22:23]
	v_cndmask_b32_e32 v1, v1, v11, vcc
	v_cndmask_b32_e32 v0, v0, v10, vcc
	;; [unrolled: 1-line block ×5, first 2 shown]
	s_cbranch_scc1 .LBB126_917
.LBB126_918:
	s_waitcnt lgkmcnt(0)
	v_cmp_eq_f64_e32 vcc, 0, v[0:1]
	v_cmp_eq_f64_e64 s[4:5], 0, v[2:3]
	s_and_b64 s[4:5], vcc, s[4:5]
	s_and_saveexec_b64 s[16:17], s[4:5]
	s_xor_b64 s[4:5], exec, s[16:17]
; %bb.919:
	v_cmp_ne_u32_e32 vcc, 0, v17
	v_cndmask_b32_e32 v17, 39, v17, vcc
; %bb.920:
	s_andn2_saveexec_b64 s[4:5], s[4:5]
	s_cbranch_execz .LBB126_926
; %bb.921:
	v_cmp_ngt_f64_e64 s[16:17], |v[0:1]|, |v[2:3]|
	s_and_saveexec_b64 s[18:19], s[16:17]
	s_xor_b64 s[18:19], exec, s[18:19]
	s_cbranch_execz .LBB126_923
; %bb.922:
	v_div_scale_f64 v[10:11], s[16:17], v[2:3], v[2:3], v[0:1]
	v_rcp_f64_e32 v[12:13], v[10:11]
	v_fma_f64 v[20:21], -v[10:11], v[12:13], 1.0
	v_fma_f64 v[12:13], v[12:13], v[20:21], v[12:13]
	v_div_scale_f64 v[20:21], vcc, v[0:1], v[2:3], v[0:1]
	v_fma_f64 v[22:23], -v[10:11], v[12:13], 1.0
	v_fma_f64 v[12:13], v[12:13], v[22:23], v[12:13]
	v_mul_f64 v[22:23], v[20:21], v[12:13]
	v_fma_f64 v[10:11], -v[10:11], v[22:23], v[20:21]
	v_div_fmas_f64 v[10:11], v[10:11], v[12:13], v[22:23]
	v_div_fixup_f64 v[10:11], v[10:11], v[2:3], v[0:1]
	v_fma_f64 v[0:1], v[0:1], v[10:11], v[2:3]
	v_div_scale_f64 v[2:3], s[16:17], v[0:1], v[0:1], 1.0
	v_div_scale_f64 v[22:23], vcc, 1.0, v[0:1], 1.0
	v_rcp_f64_e32 v[12:13], v[2:3]
	v_fma_f64 v[20:21], -v[2:3], v[12:13], 1.0
	v_fma_f64 v[12:13], v[12:13], v[20:21], v[12:13]
	v_fma_f64 v[20:21], -v[2:3], v[12:13], 1.0
	v_fma_f64 v[12:13], v[12:13], v[20:21], v[12:13]
	v_mul_f64 v[20:21], v[22:23], v[12:13]
	v_fma_f64 v[2:3], -v[2:3], v[20:21], v[22:23]
	v_div_fmas_f64 v[2:3], v[2:3], v[12:13], v[20:21]
	v_div_fixup_f64 v[2:3], v[2:3], v[0:1], 1.0
	v_mul_f64 v[0:1], v[10:11], v[2:3]
	v_xor_b32_e32 v3, 0x80000000, v3
.LBB126_923:
	s_andn2_saveexec_b64 s[18:19], s[18:19]
	s_cbranch_execz .LBB126_925
; %bb.924:
	v_div_scale_f64 v[10:11], s[16:17], v[0:1], v[0:1], v[2:3]
	v_rcp_f64_e32 v[12:13], v[10:11]
	v_fma_f64 v[20:21], -v[10:11], v[12:13], 1.0
	v_fma_f64 v[12:13], v[12:13], v[20:21], v[12:13]
	v_div_scale_f64 v[20:21], vcc, v[2:3], v[0:1], v[2:3]
	v_fma_f64 v[22:23], -v[10:11], v[12:13], 1.0
	v_fma_f64 v[12:13], v[12:13], v[22:23], v[12:13]
	v_mul_f64 v[22:23], v[20:21], v[12:13]
	v_fma_f64 v[10:11], -v[10:11], v[22:23], v[20:21]
	v_div_fmas_f64 v[10:11], v[10:11], v[12:13], v[22:23]
	v_div_fixup_f64 v[10:11], v[10:11], v[0:1], v[2:3]
	v_fma_f64 v[0:1], v[2:3], v[10:11], v[0:1]
	v_div_scale_f64 v[2:3], s[16:17], v[0:1], v[0:1], 1.0
	v_div_scale_f64 v[22:23], vcc, 1.0, v[0:1], 1.0
	v_rcp_f64_e32 v[12:13], v[2:3]
	v_fma_f64 v[20:21], -v[2:3], v[12:13], 1.0
	v_fma_f64 v[12:13], v[12:13], v[20:21], v[12:13]
	v_fma_f64 v[20:21], -v[2:3], v[12:13], 1.0
	v_fma_f64 v[12:13], v[12:13], v[20:21], v[12:13]
	v_mul_f64 v[20:21], v[22:23], v[12:13]
	v_fma_f64 v[2:3], -v[2:3], v[20:21], v[22:23]
	v_div_fmas_f64 v[2:3], v[2:3], v[12:13], v[20:21]
	v_div_fixup_f64 v[0:1], v[2:3], v[0:1], 1.0
	v_mul_f64 v[2:3], v[10:11], -v[0:1]
.LBB126_925:
	s_or_b64 exec, exec, s[18:19]
.LBB126_926:
	s_or_b64 exec, exec, s[4:5]
	v_cmp_ne_u32_e32 vcc, v19, v4
	s_and_saveexec_b64 s[4:5], vcc
	s_xor_b64 s[4:5], exec, s[4:5]
	s_cbranch_execz .LBB126_932
; %bb.927:
	v_cmp_eq_u32_e32 vcc, 38, v19
	s_and_saveexec_b64 s[18:19], vcc
	s_cbranch_execz .LBB126_931
; %bb.928:
	v_cmp_ne_u32_e32 vcc, 38, v4
	s_xor_b64 s[16:17], s[10:11], -1
	s_and_b64 s[16:17], s[16:17], vcc
	s_and_saveexec_b64 s[24:25], s[16:17]
	s_cbranch_execz .LBB126_930
; %bb.929:
	v_ashrrev_i32_e32 v5, 31, v4
	v_lshlrev_b64 v[10:11], 2, v[4:5]
	v_add_co_u32_e32 v10, vcc, v8, v10
	v_addc_co_u32_e32 v11, vcc, v9, v11, vcc
	global_load_dword v5, v[10:11], off
	global_load_dword v12, v[8:9], off offset:152
	s_waitcnt vmcnt(1)
	global_store_dword v[8:9], v5, off offset:152
	s_waitcnt vmcnt(1)
	global_store_dword v[10:11], v12, off
.LBB126_930:
	s_or_b64 exec, exec, s[24:25]
	v_mov_b32_e32 v19, v4
	v_mov_b32_e32 v18, v4
.LBB126_931:
	s_or_b64 exec, exec, s[18:19]
.LBB126_932:
	s_andn2_saveexec_b64 s[4:5], s[4:5]
	s_cbranch_execz .LBB126_934
; %bb.933:
	v_mov_b32_e32 v11, s50
	buffer_load_dword v4, v11, s[0:3], 0 offen
	buffer_load_dword v5, v11, s[0:3], 0 offen offset:4
	buffer_load_dword v10, v11, s[0:3], 0 offen offset:8
	s_nop 0
	buffer_load_dword v11, v11, s[0:3], 0 offen offset:12
	v_mov_b32_e32 v19, 38
	s_waitcnt vmcnt(0)
	ds_write2_b64 v16, v[4:5], v[10:11] offset0:78 offset1:79
	v_mov_b32_e32 v11, s49
	buffer_load_dword v4, v11, s[0:3], 0 offen
	buffer_load_dword v5, v11, s[0:3], 0 offen offset:4
	buffer_load_dword v10, v11, s[0:3], 0 offen offset:8
	s_nop 0
	buffer_load_dword v11, v11, s[0:3], 0 offen offset:12
	s_waitcnt vmcnt(0)
	ds_write2_b64 v16, v[4:5], v[10:11] offset0:80 offset1:81
	v_mov_b32_e32 v11, s47
	buffer_load_dword v4, v11, s[0:3], 0 offen
	buffer_load_dword v5, v11, s[0:3], 0 offen offset:4
	buffer_load_dword v10, v11, s[0:3], 0 offen offset:8
	s_nop 0
	buffer_load_dword v11, v11, s[0:3], 0 offen offset:12
	;; [unrolled: 8-line block ×24, first 2 shown]
	s_waitcnt vmcnt(0)
	ds_write2_b64 v16, v[4:5], v[10:11] offset0:126 offset1:127
.LBB126_934:
	s_or_b64 exec, exec, s[4:5]
	v_cmp_lt_i32_e32 vcc, 38, v19
	s_waitcnt vmcnt(0) lgkmcnt(0)
	s_barrier
	s_and_saveexec_b64 s[4:5], vcc
	s_cbranch_execz .LBB126_936
; %bb.935:
	buffer_load_dword v10, off, s[0:3], 0 offset:608
	buffer_load_dword v11, off, s[0:3], 0 offset:612
	;; [unrolled: 1-line block ×16, first 2 shown]
	s_waitcnt vmcnt(12)
	v_mul_f64 v[4:5], v[2:3], v[12:13]
	v_fma_f64 v[4:5], v[0:1], v[10:11], -v[4:5]
	v_mul_f64 v[0:1], v[0:1], v[12:13]
	v_fma_f64 v[10:11], v[2:3], v[10:11], v[0:1]
	buffer_store_dword v4, off, s[0:3], 0 offset:608
	buffer_store_dword v5, off, s[0:3], 0 offset:612
	buffer_store_dword v10, off, s[0:3], 0 offset:616
	buffer_store_dword v11, off, s[0:3], 0 offset:620
	ds_read2_b64 v[0:3], v16 offset0:78 offset1:79
	s_waitcnt lgkmcnt(0)
	v_mul_f64 v[12:13], v[2:3], v[10:11]
	v_fma_f64 v[12:13], v[0:1], v[4:5], -v[12:13]
	v_mul_f64 v[0:1], v[0:1], v[10:11]
	v_fma_f64 v[0:1], v[2:3], v[4:5], v[0:1]
	s_waitcnt vmcnt(14)
	v_add_f64 v[2:3], v[20:21], -v[12:13]
	s_waitcnt vmcnt(12)
	v_add_f64 v[0:1], v[22:23], -v[0:1]
	buffer_store_dword v2, off, s[0:3], 0 offset:624
	buffer_store_dword v3, off, s[0:3], 0 offset:628
	buffer_store_dword v0, off, s[0:3], 0 offset:632
	buffer_store_dword v1, off, s[0:3], 0 offset:636
	ds_read2_b64 v[0:3], v16 offset0:80 offset1:81
	s_waitcnt lgkmcnt(0)
	v_mul_f64 v[12:13], v[2:3], v[10:11]
	v_fma_f64 v[12:13], v[0:1], v[4:5], -v[12:13]
	v_mul_f64 v[0:1], v[0:1], v[10:11]
	v_fma_f64 v[0:1], v[2:3], v[4:5], v[0:1]
	s_waitcnt vmcnt(14)
	v_add_f64 v[2:3], v[24:25], -v[12:13]
	s_waitcnt vmcnt(12)
	v_add_f64 v[0:1], v[26:27], -v[0:1]
	;; [unrolled: 14-line block ×3, first 2 shown]
	buffer_store_dword v3, off, s[0:3], 0 offset:660
	buffer_store_dword v2, off, s[0:3], 0 offset:656
	buffer_store_dword v0, off, s[0:3], 0 offset:664
	buffer_store_dword v1, off, s[0:3], 0 offset:668
	ds_read2_b64 v[0:3], v16 offset0:84 offset1:85
	s_waitcnt lgkmcnt(0)
	v_mul_f64 v[12:13], v[2:3], v[10:11]
	v_fma_f64 v[12:13], v[0:1], v[4:5], -v[12:13]
	v_mul_f64 v[0:1], v[0:1], v[10:11]
	v_fma_f64 v[0:1], v[2:3], v[4:5], v[0:1]
	buffer_load_dword v2, off, s[0:3], 0 offset:672
	buffer_load_dword v3, off, s[0:3], 0 offset:676
	buffer_load_dword v20, off, s[0:3], 0 offset:680
	buffer_load_dword v21, off, s[0:3], 0 offset:684
	s_waitcnt vmcnt(2)
	v_add_f64 v[2:3], v[2:3], -v[12:13]
	s_waitcnt vmcnt(0)
	v_add_f64 v[0:1], v[20:21], -v[0:1]
	buffer_store_dword v3, off, s[0:3], 0 offset:676
	buffer_store_dword v2, off, s[0:3], 0 offset:672
	buffer_store_dword v1, off, s[0:3], 0 offset:684
	buffer_store_dword v0, off, s[0:3], 0 offset:680
	ds_read2_b64 v[0:3], v16 offset0:86 offset1:87
	s_waitcnt lgkmcnt(0)
	v_mul_f64 v[12:13], v[2:3], v[10:11]
	v_fma_f64 v[12:13], v[0:1], v[4:5], -v[12:13]
	v_mul_f64 v[0:1], v[0:1], v[10:11]
	v_fma_f64 v[0:1], v[2:3], v[4:5], v[0:1]
	buffer_load_dword v2, off, s[0:3], 0 offset:688
	buffer_load_dword v3, off, s[0:3], 0 offset:692
	buffer_load_dword v20, off, s[0:3], 0 offset:696
	buffer_load_dword v21, off, s[0:3], 0 offset:700
	s_waitcnt vmcnt(2)
	v_add_f64 v[2:3], v[2:3], -v[12:13]
	s_waitcnt vmcnt(0)
	v_add_f64 v[0:1], v[20:21], -v[0:1]
	;; [unrolled: 18-line block ×3, first 2 shown]
	buffer_store_dword v3, off, s[0:3], 0 offset:708
	buffer_store_dword v2, off, s[0:3], 0 offset:704
	;; [unrolled: 1-line block ×4, first 2 shown]
	ds_read2_b64 v[2:5], v16 offset0:90 offset1:91
	buffer_load_dword v0, off, s[0:3], 0 offset:608
	buffer_load_dword v1, off, s[0:3], 0 offset:612
	;; [unrolled: 1-line block ×4, first 2 shown]
	s_waitcnt vmcnt(0) lgkmcnt(0)
	v_mul_f64 v[12:13], v[4:5], v[10:11]
	v_fma_f64 v[12:13], v[2:3], v[0:1], -v[12:13]
	v_mul_f64 v[2:3], v[2:3], v[10:11]
	v_fma_f64 v[2:3], v[4:5], v[0:1], v[2:3]
	buffer_load_dword v5, off, s[0:3], 0 offset:724
	buffer_load_dword v4, off, s[0:3], 0 offset:720
	s_waitcnt vmcnt(0)
	v_add_f64 v[4:5], v[4:5], -v[12:13]
	buffer_load_dword v13, off, s[0:3], 0 offset:732
	buffer_load_dword v12, off, s[0:3], 0 offset:728
	s_waitcnt vmcnt(0)
	v_add_f64 v[2:3], v[12:13], -v[2:3]
	buffer_store_dword v5, off, s[0:3], 0 offset:724
	buffer_store_dword v4, off, s[0:3], 0 offset:720
	buffer_store_dword v3, off, s[0:3], 0 offset:732
	buffer_store_dword v2, off, s[0:3], 0 offset:728
	ds_read2_b64 v[2:5], v16 offset0:92 offset1:93
	s_waitcnt lgkmcnt(0)
	v_mul_f64 v[12:13], v[4:5], v[10:11]
	v_fma_f64 v[12:13], v[2:3], v[0:1], -v[12:13]
	v_mul_f64 v[2:3], v[2:3], v[10:11]
	v_fma_f64 v[2:3], v[4:5], v[0:1], v[2:3]
	buffer_load_dword v4, off, s[0:3], 0 offset:736
	buffer_load_dword v5, off, s[0:3], 0 offset:740
	buffer_load_dword v20, off, s[0:3], 0 offset:744
	buffer_load_dword v21, off, s[0:3], 0 offset:748
	s_waitcnt vmcnt(2)
	v_add_f64 v[4:5], v[4:5], -v[12:13]
	s_waitcnt vmcnt(0)
	v_add_f64 v[2:3], v[20:21], -v[2:3]
	buffer_store_dword v5, off, s[0:3], 0 offset:740
	buffer_store_dword v4, off, s[0:3], 0 offset:736
	buffer_store_dword v3, off, s[0:3], 0 offset:748
	buffer_store_dword v2, off, s[0:3], 0 offset:744
	ds_read2_b64 v[2:5], v16 offset0:94 offset1:95
	s_waitcnt lgkmcnt(0)
	v_mul_f64 v[12:13], v[4:5], v[10:11]
	v_fma_f64 v[12:13], v[2:3], v[0:1], -v[12:13]
	v_mul_f64 v[2:3], v[2:3], v[10:11]
	v_fma_f64 v[2:3], v[4:5], v[0:1], v[2:3]
	buffer_load_dword v4, off, s[0:3], 0 offset:752
	buffer_load_dword v5, off, s[0:3], 0 offset:756
	buffer_load_dword v20, off, s[0:3], 0 offset:760
	buffer_load_dword v21, off, s[0:3], 0 offset:764
	s_waitcnt vmcnt(2)
	v_add_f64 v[4:5], v[4:5], -v[12:13]
	;; [unrolled: 18-line block ×5, first 2 shown]
	s_waitcnt vmcnt(0)
	v_add_f64 v[0:1], v[4:5], -v[0:1]
	buffer_store_dword v3, off, s[0:3], 0 offset:804
	buffer_store_dword v2, off, s[0:3], 0 offset:800
	;; [unrolled: 1-line block ×4, first 2 shown]
	ds_read2_b64 v[0:3], v16 offset0:102 offset1:103
	buffer_load_dword v4, off, s[0:3], 0 offset:608
	buffer_load_dword v5, off, s[0:3], 0 offset:612
	buffer_load_dword v10, off, s[0:3], 0 offset:616
	buffer_load_dword v11, off, s[0:3], 0 offset:620
	s_waitcnt vmcnt(0) lgkmcnt(0)
	v_mul_f64 v[12:13], v[2:3], v[10:11]
	v_fma_f64 v[12:13], v[0:1], v[4:5], -v[12:13]
	v_mul_f64 v[0:1], v[0:1], v[10:11]
	v_fma_f64 v[0:1], v[2:3], v[4:5], v[0:1]
	buffer_load_dword v3, off, s[0:3], 0 offset:820
	buffer_load_dword v2, off, s[0:3], 0 offset:816
	s_waitcnt vmcnt(0)
	v_add_f64 v[2:3], v[2:3], -v[12:13]
	buffer_load_dword v13, off, s[0:3], 0 offset:828
	buffer_load_dword v12, off, s[0:3], 0 offset:824
	s_waitcnt vmcnt(0)
	v_add_f64 v[0:1], v[12:13], -v[0:1]
	buffer_store_dword v3, off, s[0:3], 0 offset:820
	buffer_store_dword v2, off, s[0:3], 0 offset:816
	buffer_store_dword v1, off, s[0:3], 0 offset:828
	buffer_store_dword v0, off, s[0:3], 0 offset:824
	ds_read2_b64 v[0:3], v16 offset0:104 offset1:105
	s_waitcnt lgkmcnt(0)
	v_mul_f64 v[12:13], v[2:3], v[10:11]
	v_fma_f64 v[12:13], v[0:1], v[4:5], -v[12:13]
	v_mul_f64 v[0:1], v[0:1], v[10:11]
	v_fma_f64 v[0:1], v[2:3], v[4:5], v[0:1]
	buffer_load_dword v2, off, s[0:3], 0 offset:832
	buffer_load_dword v3, off, s[0:3], 0 offset:836
	buffer_load_dword v20, off, s[0:3], 0 offset:840
	buffer_load_dword v21, off, s[0:3], 0 offset:844
	s_waitcnt vmcnt(2)
	v_add_f64 v[2:3], v[2:3], -v[12:13]
	s_waitcnt vmcnt(0)
	v_add_f64 v[0:1], v[20:21], -v[0:1]
	buffer_store_dword v3, off, s[0:3], 0 offset:836
	buffer_store_dword v2, off, s[0:3], 0 offset:832
	buffer_store_dword v1, off, s[0:3], 0 offset:844
	buffer_store_dword v0, off, s[0:3], 0 offset:840
	ds_read2_b64 v[0:3], v16 offset0:106 offset1:107
	s_waitcnt lgkmcnt(0)
	v_mul_f64 v[12:13], v[2:3], v[10:11]
	v_fma_f64 v[12:13], v[0:1], v[4:5], -v[12:13]
	v_mul_f64 v[0:1], v[0:1], v[10:11]
	v_fma_f64 v[0:1], v[2:3], v[4:5], v[0:1]
	buffer_load_dword v2, off, s[0:3], 0 offset:848
	buffer_load_dword v3, off, s[0:3], 0 offset:852
	buffer_load_dword v20, off, s[0:3], 0 offset:856
	buffer_load_dword v21, off, s[0:3], 0 offset:860
	s_waitcnt vmcnt(2)
	v_add_f64 v[2:3], v[2:3], -v[12:13]
	;; [unrolled: 18-line block ×5, first 2 shown]
	s_waitcnt vmcnt(0)
	v_add_f64 v[0:1], v[4:5], -v[0:1]
	buffer_store_dword v3, off, s[0:3], 0 offset:900
	buffer_store_dword v2, off, s[0:3], 0 offset:896
	;; [unrolled: 1-line block ×4, first 2 shown]
	ds_read2_b64 v[0:3], v16 offset0:114 offset1:115
	buffer_load_dword v4, off, s[0:3], 0 offset:608
	buffer_load_dword v5, off, s[0:3], 0 offset:612
	;; [unrolled: 1-line block ×4, first 2 shown]
	s_waitcnt vmcnt(0) lgkmcnt(0)
	v_mul_f64 v[12:13], v[2:3], v[10:11]
	v_fma_f64 v[12:13], v[0:1], v[4:5], -v[12:13]
	v_mul_f64 v[0:1], v[0:1], v[10:11]
	v_fma_f64 v[0:1], v[2:3], v[4:5], v[0:1]
	buffer_load_dword v3, off, s[0:3], 0 offset:916
	buffer_load_dword v2, off, s[0:3], 0 offset:912
	s_waitcnt vmcnt(0)
	v_add_f64 v[2:3], v[2:3], -v[12:13]
	buffer_load_dword v13, off, s[0:3], 0 offset:924
	buffer_load_dword v12, off, s[0:3], 0 offset:920
	s_waitcnt vmcnt(0)
	v_add_f64 v[0:1], v[12:13], -v[0:1]
	buffer_store_dword v3, off, s[0:3], 0 offset:916
	buffer_store_dword v2, off, s[0:3], 0 offset:912
	buffer_store_dword v1, off, s[0:3], 0 offset:924
	buffer_store_dword v0, off, s[0:3], 0 offset:920
	ds_read2_b64 v[0:3], v16 offset0:116 offset1:117
	s_waitcnt lgkmcnt(0)
	v_mul_f64 v[12:13], v[2:3], v[10:11]
	v_fma_f64 v[12:13], v[0:1], v[4:5], -v[12:13]
	v_mul_f64 v[0:1], v[0:1], v[10:11]
	v_fma_f64 v[0:1], v[2:3], v[4:5], v[0:1]
	buffer_load_dword v2, off, s[0:3], 0 offset:928
	buffer_load_dword v3, off, s[0:3], 0 offset:932
	buffer_load_dword v20, off, s[0:3], 0 offset:936
	buffer_load_dword v21, off, s[0:3], 0 offset:940
	s_waitcnt vmcnt(2)
	v_add_f64 v[2:3], v[2:3], -v[12:13]
	s_waitcnt vmcnt(0)
	v_add_f64 v[0:1], v[20:21], -v[0:1]
	buffer_store_dword v3, off, s[0:3], 0 offset:932
	buffer_store_dword v2, off, s[0:3], 0 offset:928
	buffer_store_dword v1, off, s[0:3], 0 offset:940
	buffer_store_dword v0, off, s[0:3], 0 offset:936
	ds_read2_b64 v[0:3], v16 offset0:118 offset1:119
	s_waitcnt lgkmcnt(0)
	v_mul_f64 v[12:13], v[2:3], v[10:11]
	v_fma_f64 v[12:13], v[0:1], v[4:5], -v[12:13]
	v_mul_f64 v[0:1], v[0:1], v[10:11]
	v_fma_f64 v[0:1], v[2:3], v[4:5], v[0:1]
	buffer_load_dword v2, off, s[0:3], 0 offset:944
	buffer_load_dword v3, off, s[0:3], 0 offset:948
	buffer_load_dword v20, off, s[0:3], 0 offset:952
	buffer_load_dword v21, off, s[0:3], 0 offset:956
	s_waitcnt vmcnt(2)
	v_add_f64 v[2:3], v[2:3], -v[12:13]
	;; [unrolled: 18-line block ×5, first 2 shown]
	s_waitcnt vmcnt(0)
	v_add_f64 v[0:1], v[4:5], -v[0:1]
	buffer_store_dword v3, off, s[0:3], 0 offset:996
	buffer_store_dword v2, off, s[0:3], 0 offset:992
	;; [unrolled: 1-line block ×4, first 2 shown]
	ds_read2_b64 v[0:3], v16 offset0:126 offset1:127
	buffer_load_dword v10, off, s[0:3], 0 offset:608
	buffer_load_dword v11, off, s[0:3], 0 offset:612
	;; [unrolled: 1-line block ×4, first 2 shown]
	s_waitcnt vmcnt(0) lgkmcnt(0)
	v_mul_f64 v[4:5], v[2:3], v[12:13]
	v_fma_f64 v[4:5], v[0:1], v[10:11], -v[4:5]
	v_mul_f64 v[0:1], v[0:1], v[12:13]
	v_fma_f64 v[0:1], v[2:3], v[10:11], v[0:1]
	buffer_load_dword v3, off, s[0:3], 0 offset:1012
	buffer_load_dword v2, off, s[0:3], 0 offset:1008
	s_waitcnt vmcnt(0)
	v_add_f64 v[2:3], v[2:3], -v[4:5]
	buffer_load_dword v5, off, s[0:3], 0 offset:1020
	buffer_load_dword v4, off, s[0:3], 0 offset:1016
	s_waitcnt vmcnt(0)
	v_add_f64 v[0:1], v[4:5], -v[0:1]
	buffer_store_dword v3, off, s[0:3], 0 offset:1012
	buffer_store_dword v2, off, s[0:3], 0 offset:1008
	;; [unrolled: 1-line block ×4, first 2 shown]
.LBB126_936:
	s_or_b64 exec, exec, s[4:5]
	v_mov_b32_e32 v3, s50
	s_waitcnt vmcnt(0)
	s_barrier
	buffer_load_dword v0, v3, s[0:3], 0 offen
	buffer_load_dword v1, v3, s[0:3], 0 offen offset:4
	buffer_load_dword v2, v3, s[0:3], 0 offen offset:8
	s_nop 0
	buffer_load_dword v3, v3, s[0:3], 0 offen offset:12
	v_lshl_add_u32 v4, v19, 4, v16
	s_cmp_lt_i32 s66, 41
	s_waitcnt vmcnt(0)
	ds_write2_b64 v4, v[0:1], v[2:3] offset1:1
	s_waitcnt lgkmcnt(0)
	s_barrier
	ds_read2_b64 v[0:3], v16 offset0:78 offset1:79
	v_mov_b32_e32 v4, 39
	s_cbranch_scc1 .LBB126_939
; %bb.937:
	v_add_u32_e32 v5, 0x280, v16
	s_mov_b32 s16, 40
	v_mov_b32_e32 v4, 39
.LBB126_938:                            ; =>This Inner Loop Header: Depth=1
	s_waitcnt lgkmcnt(0)
	v_cmp_gt_f64_e32 vcc, 0, v[2:3]
	v_cmp_gt_f64_e64 s[4:5], 0, v[0:1]
	ds_read2_b64 v[10:13], v5 offset1:1
	v_xor_b32_e32 v21, 0x80000000, v1
	v_xor_b32_e32 v23, 0x80000000, v3
	v_mov_b32_e32 v20, v0
	v_mov_b32_e32 v22, v2
	s_waitcnt lgkmcnt(0)
	v_xor_b32_e32 v25, 0x80000000, v13
	v_cndmask_b32_e32 v23, v3, v23, vcc
	v_cndmask_b32_e64 v21, v1, v21, s[4:5]
	v_cmp_gt_f64_e32 vcc, 0, v[12:13]
	v_cmp_gt_f64_e64 s[4:5], 0, v[10:11]
	v_add_f64 v[20:21], v[20:21], v[22:23]
	v_xor_b32_e32 v23, 0x80000000, v11
	v_mov_b32_e32 v22, v10
	v_mov_b32_e32 v24, v12
	v_add_u32_e32 v5, 16, v5
	v_cndmask_b32_e32 v25, v13, v25, vcc
	v_cndmask_b32_e64 v23, v11, v23, s[4:5]
	v_add_f64 v[22:23], v[22:23], v[24:25]
	v_mov_b32_e32 v24, s16
	s_add_i32 s16, s16, 1
	s_cmp_lg_u32 s66, s16
	v_cmp_lt_f64_e32 vcc, v[20:21], v[22:23]
	v_cndmask_b32_e32 v1, v1, v11, vcc
	v_cndmask_b32_e32 v0, v0, v10, vcc
	;; [unrolled: 1-line block ×5, first 2 shown]
	s_cbranch_scc1 .LBB126_938
.LBB126_939:
	s_waitcnt lgkmcnt(0)
	v_cmp_eq_f64_e32 vcc, 0, v[0:1]
	v_cmp_eq_f64_e64 s[4:5], 0, v[2:3]
	s_and_b64 s[4:5], vcc, s[4:5]
	s_and_saveexec_b64 s[16:17], s[4:5]
	s_xor_b64 s[4:5], exec, s[16:17]
; %bb.940:
	v_cmp_ne_u32_e32 vcc, 0, v17
	v_cndmask_b32_e32 v17, 40, v17, vcc
; %bb.941:
	s_andn2_saveexec_b64 s[4:5], s[4:5]
	s_cbranch_execz .LBB126_947
; %bb.942:
	v_cmp_ngt_f64_e64 s[16:17], |v[0:1]|, |v[2:3]|
	s_and_saveexec_b64 s[18:19], s[16:17]
	s_xor_b64 s[18:19], exec, s[18:19]
	s_cbranch_execz .LBB126_944
; %bb.943:
	v_div_scale_f64 v[10:11], s[16:17], v[2:3], v[2:3], v[0:1]
	v_rcp_f64_e32 v[12:13], v[10:11]
	v_fma_f64 v[20:21], -v[10:11], v[12:13], 1.0
	v_fma_f64 v[12:13], v[12:13], v[20:21], v[12:13]
	v_div_scale_f64 v[20:21], vcc, v[0:1], v[2:3], v[0:1]
	v_fma_f64 v[22:23], -v[10:11], v[12:13], 1.0
	v_fma_f64 v[12:13], v[12:13], v[22:23], v[12:13]
	v_mul_f64 v[22:23], v[20:21], v[12:13]
	v_fma_f64 v[10:11], -v[10:11], v[22:23], v[20:21]
	v_div_fmas_f64 v[10:11], v[10:11], v[12:13], v[22:23]
	v_div_fixup_f64 v[10:11], v[10:11], v[2:3], v[0:1]
	v_fma_f64 v[0:1], v[0:1], v[10:11], v[2:3]
	v_div_scale_f64 v[2:3], s[16:17], v[0:1], v[0:1], 1.0
	v_div_scale_f64 v[22:23], vcc, 1.0, v[0:1], 1.0
	v_rcp_f64_e32 v[12:13], v[2:3]
	v_fma_f64 v[20:21], -v[2:3], v[12:13], 1.0
	v_fma_f64 v[12:13], v[12:13], v[20:21], v[12:13]
	v_fma_f64 v[20:21], -v[2:3], v[12:13], 1.0
	v_fma_f64 v[12:13], v[12:13], v[20:21], v[12:13]
	v_mul_f64 v[20:21], v[22:23], v[12:13]
	v_fma_f64 v[2:3], -v[2:3], v[20:21], v[22:23]
	v_div_fmas_f64 v[2:3], v[2:3], v[12:13], v[20:21]
	v_div_fixup_f64 v[2:3], v[2:3], v[0:1], 1.0
	v_mul_f64 v[0:1], v[10:11], v[2:3]
	v_xor_b32_e32 v3, 0x80000000, v3
.LBB126_944:
	s_andn2_saveexec_b64 s[18:19], s[18:19]
	s_cbranch_execz .LBB126_946
; %bb.945:
	v_div_scale_f64 v[10:11], s[16:17], v[0:1], v[0:1], v[2:3]
	v_rcp_f64_e32 v[12:13], v[10:11]
	v_fma_f64 v[20:21], -v[10:11], v[12:13], 1.0
	v_fma_f64 v[12:13], v[12:13], v[20:21], v[12:13]
	v_div_scale_f64 v[20:21], vcc, v[2:3], v[0:1], v[2:3]
	v_fma_f64 v[22:23], -v[10:11], v[12:13], 1.0
	v_fma_f64 v[12:13], v[12:13], v[22:23], v[12:13]
	v_mul_f64 v[22:23], v[20:21], v[12:13]
	v_fma_f64 v[10:11], -v[10:11], v[22:23], v[20:21]
	v_div_fmas_f64 v[10:11], v[10:11], v[12:13], v[22:23]
	v_div_fixup_f64 v[10:11], v[10:11], v[0:1], v[2:3]
	v_fma_f64 v[0:1], v[2:3], v[10:11], v[0:1]
	v_div_scale_f64 v[2:3], s[16:17], v[0:1], v[0:1], 1.0
	v_div_scale_f64 v[22:23], vcc, 1.0, v[0:1], 1.0
	v_rcp_f64_e32 v[12:13], v[2:3]
	v_fma_f64 v[20:21], -v[2:3], v[12:13], 1.0
	v_fma_f64 v[12:13], v[12:13], v[20:21], v[12:13]
	v_fma_f64 v[20:21], -v[2:3], v[12:13], 1.0
	v_fma_f64 v[12:13], v[12:13], v[20:21], v[12:13]
	v_mul_f64 v[20:21], v[22:23], v[12:13]
	v_fma_f64 v[2:3], -v[2:3], v[20:21], v[22:23]
	v_div_fmas_f64 v[2:3], v[2:3], v[12:13], v[20:21]
	v_div_fixup_f64 v[0:1], v[2:3], v[0:1], 1.0
	v_mul_f64 v[2:3], v[10:11], -v[0:1]
.LBB126_946:
	s_or_b64 exec, exec, s[18:19]
.LBB126_947:
	s_or_b64 exec, exec, s[4:5]
	v_cmp_ne_u32_e32 vcc, v19, v4
	s_and_saveexec_b64 s[4:5], vcc
	s_xor_b64 s[4:5], exec, s[4:5]
	s_cbranch_execz .LBB126_953
; %bb.948:
	v_cmp_eq_u32_e32 vcc, 39, v19
	s_and_saveexec_b64 s[18:19], vcc
	s_cbranch_execz .LBB126_952
; %bb.949:
	v_cmp_ne_u32_e32 vcc, 39, v4
	s_xor_b64 s[16:17], s[10:11], -1
	s_and_b64 s[16:17], s[16:17], vcc
	s_and_saveexec_b64 s[24:25], s[16:17]
	s_cbranch_execz .LBB126_951
; %bb.950:
	v_ashrrev_i32_e32 v5, 31, v4
	v_lshlrev_b64 v[10:11], 2, v[4:5]
	v_add_co_u32_e32 v10, vcc, v8, v10
	v_addc_co_u32_e32 v11, vcc, v9, v11, vcc
	global_load_dword v5, v[10:11], off
	global_load_dword v12, v[8:9], off offset:156
	s_waitcnt vmcnt(1)
	global_store_dword v[8:9], v5, off offset:156
	s_waitcnt vmcnt(1)
	global_store_dword v[10:11], v12, off
.LBB126_951:
	s_or_b64 exec, exec, s[24:25]
	v_mov_b32_e32 v19, v4
	v_mov_b32_e32 v18, v4
.LBB126_952:
	s_or_b64 exec, exec, s[18:19]
.LBB126_953:
	s_andn2_saveexec_b64 s[4:5], s[4:5]
	s_cbranch_execz .LBB126_955
; %bb.954:
	v_mov_b32_e32 v11, s49
	buffer_load_dword v4, v11, s[0:3], 0 offen
	buffer_load_dword v5, v11, s[0:3], 0 offen offset:4
	buffer_load_dword v10, v11, s[0:3], 0 offen offset:8
	s_nop 0
	buffer_load_dword v11, v11, s[0:3], 0 offen offset:12
	v_mov_b32_e32 v19, 39
	s_waitcnt vmcnt(0)
	ds_write2_b64 v16, v[4:5], v[10:11] offset0:80 offset1:81
	v_mov_b32_e32 v11, s47
	buffer_load_dword v4, v11, s[0:3], 0 offen
	buffer_load_dword v5, v11, s[0:3], 0 offen offset:4
	buffer_load_dword v10, v11, s[0:3], 0 offen offset:8
	s_nop 0
	buffer_load_dword v11, v11, s[0:3], 0 offen offset:12
	s_waitcnt vmcnt(0)
	ds_write2_b64 v16, v[4:5], v[10:11] offset0:82 offset1:83
	v_mov_b32_e32 v11, s46
	buffer_load_dword v4, v11, s[0:3], 0 offen
	buffer_load_dword v5, v11, s[0:3], 0 offen offset:4
	buffer_load_dword v10, v11, s[0:3], 0 offen offset:8
	s_nop 0
	buffer_load_dword v11, v11, s[0:3], 0 offen offset:12
	;; [unrolled: 8-line block ×23, first 2 shown]
	s_waitcnt vmcnt(0)
	ds_write2_b64 v16, v[4:5], v[10:11] offset0:126 offset1:127
.LBB126_955:
	s_or_b64 exec, exec, s[4:5]
	v_cmp_lt_i32_e32 vcc, 39, v19
	s_waitcnt vmcnt(0) lgkmcnt(0)
	s_barrier
	s_and_saveexec_b64 s[4:5], vcc
	s_cbranch_execz .LBB126_957
; %bb.956:
	buffer_load_dword v4, off, s[0:3], 0 offset:624
	buffer_load_dword v5, off, s[0:3], 0 offset:628
	buffer_load_dword v10, off, s[0:3], 0 offset:632
	buffer_load_dword v11, off, s[0:3], 0 offset:636
	buffer_load_dword v12, off, s[0:3], 0 offset:640
	buffer_load_dword v13, off, s[0:3], 0 offset:644
	buffer_load_dword v20, off, s[0:3], 0 offset:648
	buffer_load_dword v21, off, s[0:3], 0 offset:652
	buffer_load_dword v22, off, s[0:3], 0 offset:656
	buffer_load_dword v23, off, s[0:3], 0 offset:660
	buffer_load_dword v24, off, s[0:3], 0 offset:664
	buffer_load_dword v25, off, s[0:3], 0 offset:668
	buffer_load_dword v26, off, s[0:3], 0 offset:672
	buffer_load_dword v27, off, s[0:3], 0 offset:676
	buffer_load_dword v28, off, s[0:3], 0 offset:680
	buffer_load_dword v29, off, s[0:3], 0 offset:684
	s_waitcnt vmcnt(12)
	v_mul_f64 v[30:31], v[2:3], v[10:11]
	v_fma_f64 v[30:31], v[0:1], v[4:5], -v[30:31]
	v_mul_f64 v[0:1], v[0:1], v[10:11]
	v_fma_f64 v[4:5], v[2:3], v[4:5], v[0:1]
	buffer_store_dword v30, off, s[0:3], 0 offset:624
	buffer_store_dword v31, off, s[0:3], 0 offset:628
	buffer_store_dword v4, off, s[0:3], 0 offset:632
	buffer_store_dword v5, off, s[0:3], 0 offset:636
	ds_read2_b64 v[0:3], v16 offset0:80 offset1:81
	s_waitcnt lgkmcnt(0)
	v_mul_f64 v[10:11], v[2:3], v[4:5]
	v_fma_f64 v[10:11], v[0:1], v[30:31], -v[10:11]
	v_mul_f64 v[0:1], v[0:1], v[4:5]
	v_fma_f64 v[0:1], v[2:3], v[30:31], v[0:1]
	s_waitcnt vmcnt(14)
	v_add_f64 v[2:3], v[12:13], -v[10:11]
	s_waitcnt vmcnt(12)
	v_add_f64 v[0:1], v[20:21], -v[0:1]
	buffer_store_dword v2, off, s[0:3], 0 offset:640
	buffer_store_dword v3, off, s[0:3], 0 offset:644
	buffer_store_dword v0, off, s[0:3], 0 offset:648
	buffer_store_dword v1, off, s[0:3], 0 offset:652
	ds_read2_b64 v[0:3], v16 offset0:82 offset1:83
	s_waitcnt lgkmcnt(0)
	v_mul_f64 v[10:11], v[2:3], v[4:5]
	v_fma_f64 v[10:11], v[0:1], v[30:31], -v[10:11]
	v_mul_f64 v[0:1], v[0:1], v[4:5]
	v_fma_f64 v[0:1], v[2:3], v[30:31], v[0:1]
	s_waitcnt vmcnt(14)
	v_add_f64 v[2:3], v[22:23], -v[10:11]
	s_waitcnt vmcnt(12)
	v_add_f64 v[0:1], v[24:25], -v[0:1]
	;; [unrolled: 14-line block ×3, first 2 shown]
	buffer_store_dword v3, off, s[0:3], 0 offset:676
	buffer_store_dword v2, off, s[0:3], 0 offset:672
	buffer_store_dword v0, off, s[0:3], 0 offset:680
	buffer_store_dword v1, off, s[0:3], 0 offset:684
	ds_read2_b64 v[0:3], v16 offset0:86 offset1:87
	s_waitcnt lgkmcnt(0)
	v_mul_f64 v[10:11], v[2:3], v[4:5]
	v_fma_f64 v[10:11], v[0:1], v[30:31], -v[10:11]
	v_mul_f64 v[0:1], v[0:1], v[4:5]
	v_fma_f64 v[0:1], v[2:3], v[30:31], v[0:1]
	buffer_load_dword v2, off, s[0:3], 0 offset:688
	buffer_load_dword v3, off, s[0:3], 0 offset:692
	buffer_load_dword v12, off, s[0:3], 0 offset:696
	buffer_load_dword v13, off, s[0:3], 0 offset:700
	s_waitcnt vmcnt(2)
	v_add_f64 v[2:3], v[2:3], -v[10:11]
	s_waitcnt vmcnt(0)
	v_add_f64 v[0:1], v[12:13], -v[0:1]
	buffer_store_dword v3, off, s[0:3], 0 offset:692
	buffer_store_dword v2, off, s[0:3], 0 offset:688
	buffer_store_dword v1, off, s[0:3], 0 offset:700
	buffer_store_dword v0, off, s[0:3], 0 offset:696
	ds_read2_b64 v[0:3], v16 offset0:88 offset1:89
	s_waitcnt lgkmcnt(0)
	v_mul_f64 v[10:11], v[2:3], v[4:5]
	v_fma_f64 v[10:11], v[0:1], v[30:31], -v[10:11]
	v_mul_f64 v[0:1], v[0:1], v[4:5]
	v_fma_f64 v[0:1], v[2:3], v[30:31], v[0:1]
	buffer_load_dword v2, off, s[0:3], 0 offset:704
	buffer_load_dword v3, off, s[0:3], 0 offset:708
	buffer_load_dword v12, off, s[0:3], 0 offset:712
	buffer_load_dword v13, off, s[0:3], 0 offset:716
	s_waitcnt vmcnt(2)
	v_add_f64 v[2:3], v[2:3], -v[10:11]
	s_waitcnt vmcnt(0)
	v_add_f64 v[0:1], v[12:13], -v[0:1]
	;; [unrolled: 18-line block ×3, first 2 shown]
	buffer_store_dword v3, off, s[0:3], 0 offset:724
	buffer_store_dword v2, off, s[0:3], 0 offset:720
	;; [unrolled: 1-line block ×4, first 2 shown]
	ds_read2_b64 v[0:3], v16 offset0:92 offset1:93
	buffer_load_dword v4, off, s[0:3], 0 offset:624
	buffer_load_dword v5, off, s[0:3], 0 offset:628
	;; [unrolled: 1-line block ×4, first 2 shown]
	s_waitcnt vmcnt(0) lgkmcnt(0)
	v_mul_f64 v[12:13], v[2:3], v[10:11]
	v_fma_f64 v[12:13], v[0:1], v[4:5], -v[12:13]
	v_mul_f64 v[0:1], v[0:1], v[10:11]
	v_fma_f64 v[0:1], v[2:3], v[4:5], v[0:1]
	buffer_load_dword v3, off, s[0:3], 0 offset:740
	buffer_load_dword v2, off, s[0:3], 0 offset:736
	s_waitcnt vmcnt(0)
	v_add_f64 v[2:3], v[2:3], -v[12:13]
	buffer_load_dword v13, off, s[0:3], 0 offset:748
	buffer_load_dword v12, off, s[0:3], 0 offset:744
	s_waitcnt vmcnt(0)
	v_add_f64 v[0:1], v[12:13], -v[0:1]
	buffer_store_dword v3, off, s[0:3], 0 offset:740
	buffer_store_dword v2, off, s[0:3], 0 offset:736
	buffer_store_dword v1, off, s[0:3], 0 offset:748
	buffer_store_dword v0, off, s[0:3], 0 offset:744
	ds_read2_b64 v[0:3], v16 offset0:94 offset1:95
	s_waitcnt lgkmcnt(0)
	v_mul_f64 v[12:13], v[2:3], v[10:11]
	v_fma_f64 v[12:13], v[0:1], v[4:5], -v[12:13]
	v_mul_f64 v[0:1], v[0:1], v[10:11]
	v_fma_f64 v[0:1], v[2:3], v[4:5], v[0:1]
	buffer_load_dword v2, off, s[0:3], 0 offset:752
	buffer_load_dword v3, off, s[0:3], 0 offset:756
	buffer_load_dword v20, off, s[0:3], 0 offset:760
	buffer_load_dword v21, off, s[0:3], 0 offset:764
	s_waitcnt vmcnt(2)
	v_add_f64 v[2:3], v[2:3], -v[12:13]
	s_waitcnt vmcnt(0)
	v_add_f64 v[0:1], v[20:21], -v[0:1]
	buffer_store_dword v3, off, s[0:3], 0 offset:756
	buffer_store_dword v2, off, s[0:3], 0 offset:752
	buffer_store_dword v1, off, s[0:3], 0 offset:764
	buffer_store_dword v0, off, s[0:3], 0 offset:760
	ds_read2_b64 v[0:3], v16 offset0:96 offset1:97
	s_waitcnt lgkmcnt(0)
	v_mul_f64 v[12:13], v[2:3], v[10:11]
	v_fma_f64 v[12:13], v[0:1], v[4:5], -v[12:13]
	v_mul_f64 v[0:1], v[0:1], v[10:11]
	v_fma_f64 v[0:1], v[2:3], v[4:5], v[0:1]
	buffer_load_dword v2, off, s[0:3], 0 offset:768
	buffer_load_dword v3, off, s[0:3], 0 offset:772
	buffer_load_dword v20, off, s[0:3], 0 offset:776
	buffer_load_dword v21, off, s[0:3], 0 offset:780
	s_waitcnt vmcnt(2)
	v_add_f64 v[2:3], v[2:3], -v[12:13]
	;; [unrolled: 18-line block ×5, first 2 shown]
	s_waitcnt vmcnt(0)
	v_add_f64 v[0:1], v[4:5], -v[0:1]
	buffer_store_dword v3, off, s[0:3], 0 offset:820
	buffer_store_dword v2, off, s[0:3], 0 offset:816
	;; [unrolled: 1-line block ×4, first 2 shown]
	ds_read2_b64 v[0:3], v16 offset0:104 offset1:105
	buffer_load_dword v4, off, s[0:3], 0 offset:624
	buffer_load_dword v5, off, s[0:3], 0 offset:628
	;; [unrolled: 1-line block ×4, first 2 shown]
	s_waitcnt vmcnt(0) lgkmcnt(0)
	v_mul_f64 v[12:13], v[2:3], v[10:11]
	v_fma_f64 v[12:13], v[0:1], v[4:5], -v[12:13]
	v_mul_f64 v[0:1], v[0:1], v[10:11]
	v_fma_f64 v[0:1], v[2:3], v[4:5], v[0:1]
	buffer_load_dword v3, off, s[0:3], 0 offset:836
	buffer_load_dword v2, off, s[0:3], 0 offset:832
	s_waitcnt vmcnt(0)
	v_add_f64 v[2:3], v[2:3], -v[12:13]
	buffer_load_dword v13, off, s[0:3], 0 offset:844
	buffer_load_dword v12, off, s[0:3], 0 offset:840
	s_waitcnt vmcnt(0)
	v_add_f64 v[0:1], v[12:13], -v[0:1]
	buffer_store_dword v3, off, s[0:3], 0 offset:836
	buffer_store_dword v2, off, s[0:3], 0 offset:832
	buffer_store_dword v1, off, s[0:3], 0 offset:844
	buffer_store_dword v0, off, s[0:3], 0 offset:840
	ds_read2_b64 v[0:3], v16 offset0:106 offset1:107
	s_waitcnt lgkmcnt(0)
	v_mul_f64 v[12:13], v[2:3], v[10:11]
	v_fma_f64 v[12:13], v[0:1], v[4:5], -v[12:13]
	v_mul_f64 v[0:1], v[0:1], v[10:11]
	v_fma_f64 v[0:1], v[2:3], v[4:5], v[0:1]
	buffer_load_dword v2, off, s[0:3], 0 offset:848
	buffer_load_dword v3, off, s[0:3], 0 offset:852
	buffer_load_dword v20, off, s[0:3], 0 offset:856
	buffer_load_dword v21, off, s[0:3], 0 offset:860
	s_waitcnt vmcnt(2)
	v_add_f64 v[2:3], v[2:3], -v[12:13]
	s_waitcnt vmcnt(0)
	v_add_f64 v[0:1], v[20:21], -v[0:1]
	buffer_store_dword v3, off, s[0:3], 0 offset:852
	buffer_store_dword v2, off, s[0:3], 0 offset:848
	buffer_store_dword v1, off, s[0:3], 0 offset:860
	buffer_store_dword v0, off, s[0:3], 0 offset:856
	ds_read2_b64 v[0:3], v16 offset0:108 offset1:109
	s_waitcnt lgkmcnt(0)
	v_mul_f64 v[12:13], v[2:3], v[10:11]
	v_fma_f64 v[12:13], v[0:1], v[4:5], -v[12:13]
	v_mul_f64 v[0:1], v[0:1], v[10:11]
	v_fma_f64 v[0:1], v[2:3], v[4:5], v[0:1]
	buffer_load_dword v2, off, s[0:3], 0 offset:864
	buffer_load_dword v3, off, s[0:3], 0 offset:868
	buffer_load_dword v20, off, s[0:3], 0 offset:872
	buffer_load_dword v21, off, s[0:3], 0 offset:876
	s_waitcnt vmcnt(2)
	v_add_f64 v[2:3], v[2:3], -v[12:13]
	;; [unrolled: 18-line block ×5, first 2 shown]
	s_waitcnt vmcnt(0)
	v_add_f64 v[0:1], v[4:5], -v[0:1]
	buffer_store_dword v3, off, s[0:3], 0 offset:916
	buffer_store_dword v2, off, s[0:3], 0 offset:912
	;; [unrolled: 1-line block ×4, first 2 shown]
	ds_read2_b64 v[0:3], v16 offset0:116 offset1:117
	buffer_load_dword v4, off, s[0:3], 0 offset:624
	buffer_load_dword v5, off, s[0:3], 0 offset:628
	;; [unrolled: 1-line block ×4, first 2 shown]
	s_waitcnt vmcnt(0) lgkmcnt(0)
	v_mul_f64 v[12:13], v[2:3], v[10:11]
	v_fma_f64 v[12:13], v[0:1], v[4:5], -v[12:13]
	v_mul_f64 v[0:1], v[0:1], v[10:11]
	v_fma_f64 v[0:1], v[2:3], v[4:5], v[0:1]
	buffer_load_dword v3, off, s[0:3], 0 offset:932
	buffer_load_dword v2, off, s[0:3], 0 offset:928
	s_waitcnt vmcnt(0)
	v_add_f64 v[2:3], v[2:3], -v[12:13]
	buffer_load_dword v13, off, s[0:3], 0 offset:940
	buffer_load_dword v12, off, s[0:3], 0 offset:936
	s_waitcnt vmcnt(0)
	v_add_f64 v[0:1], v[12:13], -v[0:1]
	buffer_store_dword v3, off, s[0:3], 0 offset:932
	buffer_store_dword v2, off, s[0:3], 0 offset:928
	buffer_store_dword v1, off, s[0:3], 0 offset:940
	buffer_store_dword v0, off, s[0:3], 0 offset:936
	ds_read2_b64 v[0:3], v16 offset0:118 offset1:119
	s_waitcnt lgkmcnt(0)
	v_mul_f64 v[12:13], v[2:3], v[10:11]
	v_fma_f64 v[12:13], v[0:1], v[4:5], -v[12:13]
	v_mul_f64 v[0:1], v[0:1], v[10:11]
	v_fma_f64 v[0:1], v[2:3], v[4:5], v[0:1]
	buffer_load_dword v2, off, s[0:3], 0 offset:944
	buffer_load_dword v3, off, s[0:3], 0 offset:948
	buffer_load_dword v20, off, s[0:3], 0 offset:952
	buffer_load_dword v21, off, s[0:3], 0 offset:956
	s_waitcnt vmcnt(2)
	v_add_f64 v[2:3], v[2:3], -v[12:13]
	s_waitcnt vmcnt(0)
	v_add_f64 v[0:1], v[20:21], -v[0:1]
	buffer_store_dword v3, off, s[0:3], 0 offset:948
	buffer_store_dword v2, off, s[0:3], 0 offset:944
	buffer_store_dword v1, off, s[0:3], 0 offset:956
	buffer_store_dword v0, off, s[0:3], 0 offset:952
	ds_read2_b64 v[0:3], v16 offset0:120 offset1:121
	s_waitcnt lgkmcnt(0)
	v_mul_f64 v[12:13], v[2:3], v[10:11]
	v_fma_f64 v[12:13], v[0:1], v[4:5], -v[12:13]
	v_mul_f64 v[0:1], v[0:1], v[10:11]
	v_fma_f64 v[0:1], v[2:3], v[4:5], v[0:1]
	buffer_load_dword v2, off, s[0:3], 0 offset:960
	buffer_load_dword v3, off, s[0:3], 0 offset:964
	buffer_load_dword v20, off, s[0:3], 0 offset:968
	buffer_load_dword v21, off, s[0:3], 0 offset:972
	s_waitcnt vmcnt(2)
	v_add_f64 v[2:3], v[2:3], -v[12:13]
	;; [unrolled: 18-line block ×5, first 2 shown]
	s_waitcnt vmcnt(0)
	v_add_f64 v[0:1], v[4:5], -v[0:1]
	buffer_store_dword v3, off, s[0:3], 0 offset:1012
	buffer_store_dword v2, off, s[0:3], 0 offset:1008
	;; [unrolled: 1-line block ×4, first 2 shown]
.LBB126_957:
	s_or_b64 exec, exec, s[4:5]
	v_mov_b32_e32 v3, s49
	s_waitcnt vmcnt(0)
	s_barrier
	buffer_load_dword v0, v3, s[0:3], 0 offen
	buffer_load_dword v1, v3, s[0:3], 0 offen offset:4
	buffer_load_dword v2, v3, s[0:3], 0 offen offset:8
	s_nop 0
	buffer_load_dword v3, v3, s[0:3], 0 offen offset:12
	v_lshl_add_u32 v4, v19, 4, v16
	s_cmp_lt_i32 s66, 42
	s_waitcnt vmcnt(0)
	ds_write2_b64 v4, v[0:1], v[2:3] offset1:1
	s_waitcnt lgkmcnt(0)
	s_barrier
	ds_read2_b64 v[0:3], v16 offset0:80 offset1:81
	v_mov_b32_e32 v4, 40
	s_cbranch_scc1 .LBB126_960
; %bb.958:
	v_add_u32_e32 v5, 0x290, v16
	s_mov_b32 s16, 41
	v_mov_b32_e32 v4, 40
.LBB126_959:                            ; =>This Inner Loop Header: Depth=1
	s_waitcnt lgkmcnt(0)
	v_cmp_gt_f64_e32 vcc, 0, v[2:3]
	v_cmp_gt_f64_e64 s[4:5], 0, v[0:1]
	ds_read2_b64 v[10:13], v5 offset1:1
	v_xor_b32_e32 v21, 0x80000000, v1
	v_xor_b32_e32 v23, 0x80000000, v3
	v_mov_b32_e32 v20, v0
	v_mov_b32_e32 v22, v2
	s_waitcnt lgkmcnt(0)
	v_xor_b32_e32 v25, 0x80000000, v13
	v_cndmask_b32_e32 v23, v3, v23, vcc
	v_cndmask_b32_e64 v21, v1, v21, s[4:5]
	v_cmp_gt_f64_e32 vcc, 0, v[12:13]
	v_cmp_gt_f64_e64 s[4:5], 0, v[10:11]
	v_add_f64 v[20:21], v[20:21], v[22:23]
	v_xor_b32_e32 v23, 0x80000000, v11
	v_mov_b32_e32 v22, v10
	v_mov_b32_e32 v24, v12
	v_add_u32_e32 v5, 16, v5
	v_cndmask_b32_e32 v25, v13, v25, vcc
	v_cndmask_b32_e64 v23, v11, v23, s[4:5]
	v_add_f64 v[22:23], v[22:23], v[24:25]
	v_mov_b32_e32 v24, s16
	s_add_i32 s16, s16, 1
	s_cmp_lg_u32 s66, s16
	v_cmp_lt_f64_e32 vcc, v[20:21], v[22:23]
	v_cndmask_b32_e32 v1, v1, v11, vcc
	v_cndmask_b32_e32 v0, v0, v10, vcc
	;; [unrolled: 1-line block ×5, first 2 shown]
	s_cbranch_scc1 .LBB126_959
.LBB126_960:
	s_waitcnt lgkmcnt(0)
	v_cmp_eq_f64_e32 vcc, 0, v[0:1]
	v_cmp_eq_f64_e64 s[4:5], 0, v[2:3]
	s_and_b64 s[4:5], vcc, s[4:5]
	s_and_saveexec_b64 s[16:17], s[4:5]
	s_xor_b64 s[4:5], exec, s[16:17]
; %bb.961:
	v_cmp_ne_u32_e32 vcc, 0, v17
	v_cndmask_b32_e32 v17, 41, v17, vcc
; %bb.962:
	s_andn2_saveexec_b64 s[4:5], s[4:5]
	s_cbranch_execz .LBB126_968
; %bb.963:
	v_cmp_ngt_f64_e64 s[16:17], |v[0:1]|, |v[2:3]|
	s_and_saveexec_b64 s[18:19], s[16:17]
	s_xor_b64 s[18:19], exec, s[18:19]
	s_cbranch_execz .LBB126_965
; %bb.964:
	v_div_scale_f64 v[10:11], s[16:17], v[2:3], v[2:3], v[0:1]
	v_rcp_f64_e32 v[12:13], v[10:11]
	v_fma_f64 v[20:21], -v[10:11], v[12:13], 1.0
	v_fma_f64 v[12:13], v[12:13], v[20:21], v[12:13]
	v_div_scale_f64 v[20:21], vcc, v[0:1], v[2:3], v[0:1]
	v_fma_f64 v[22:23], -v[10:11], v[12:13], 1.0
	v_fma_f64 v[12:13], v[12:13], v[22:23], v[12:13]
	v_mul_f64 v[22:23], v[20:21], v[12:13]
	v_fma_f64 v[10:11], -v[10:11], v[22:23], v[20:21]
	v_div_fmas_f64 v[10:11], v[10:11], v[12:13], v[22:23]
	v_div_fixup_f64 v[10:11], v[10:11], v[2:3], v[0:1]
	v_fma_f64 v[0:1], v[0:1], v[10:11], v[2:3]
	v_div_scale_f64 v[2:3], s[16:17], v[0:1], v[0:1], 1.0
	v_div_scale_f64 v[22:23], vcc, 1.0, v[0:1], 1.0
	v_rcp_f64_e32 v[12:13], v[2:3]
	v_fma_f64 v[20:21], -v[2:3], v[12:13], 1.0
	v_fma_f64 v[12:13], v[12:13], v[20:21], v[12:13]
	v_fma_f64 v[20:21], -v[2:3], v[12:13], 1.0
	v_fma_f64 v[12:13], v[12:13], v[20:21], v[12:13]
	v_mul_f64 v[20:21], v[22:23], v[12:13]
	v_fma_f64 v[2:3], -v[2:3], v[20:21], v[22:23]
	v_div_fmas_f64 v[2:3], v[2:3], v[12:13], v[20:21]
	v_div_fixup_f64 v[2:3], v[2:3], v[0:1], 1.0
	v_mul_f64 v[0:1], v[10:11], v[2:3]
	v_xor_b32_e32 v3, 0x80000000, v3
.LBB126_965:
	s_andn2_saveexec_b64 s[18:19], s[18:19]
	s_cbranch_execz .LBB126_967
; %bb.966:
	v_div_scale_f64 v[10:11], s[16:17], v[0:1], v[0:1], v[2:3]
	v_rcp_f64_e32 v[12:13], v[10:11]
	v_fma_f64 v[20:21], -v[10:11], v[12:13], 1.0
	v_fma_f64 v[12:13], v[12:13], v[20:21], v[12:13]
	v_div_scale_f64 v[20:21], vcc, v[2:3], v[0:1], v[2:3]
	v_fma_f64 v[22:23], -v[10:11], v[12:13], 1.0
	v_fma_f64 v[12:13], v[12:13], v[22:23], v[12:13]
	v_mul_f64 v[22:23], v[20:21], v[12:13]
	v_fma_f64 v[10:11], -v[10:11], v[22:23], v[20:21]
	v_div_fmas_f64 v[10:11], v[10:11], v[12:13], v[22:23]
	v_div_fixup_f64 v[10:11], v[10:11], v[0:1], v[2:3]
	v_fma_f64 v[0:1], v[2:3], v[10:11], v[0:1]
	v_div_scale_f64 v[2:3], s[16:17], v[0:1], v[0:1], 1.0
	v_div_scale_f64 v[22:23], vcc, 1.0, v[0:1], 1.0
	v_rcp_f64_e32 v[12:13], v[2:3]
	v_fma_f64 v[20:21], -v[2:3], v[12:13], 1.0
	v_fma_f64 v[12:13], v[12:13], v[20:21], v[12:13]
	v_fma_f64 v[20:21], -v[2:3], v[12:13], 1.0
	v_fma_f64 v[12:13], v[12:13], v[20:21], v[12:13]
	v_mul_f64 v[20:21], v[22:23], v[12:13]
	v_fma_f64 v[2:3], -v[2:3], v[20:21], v[22:23]
	v_div_fmas_f64 v[2:3], v[2:3], v[12:13], v[20:21]
	v_div_fixup_f64 v[0:1], v[2:3], v[0:1], 1.0
	v_mul_f64 v[2:3], v[10:11], -v[0:1]
.LBB126_967:
	s_or_b64 exec, exec, s[18:19]
.LBB126_968:
	s_or_b64 exec, exec, s[4:5]
	v_cmp_ne_u32_e32 vcc, v19, v4
	s_and_saveexec_b64 s[4:5], vcc
	s_xor_b64 s[4:5], exec, s[4:5]
	s_cbranch_execz .LBB126_974
; %bb.969:
	v_cmp_eq_u32_e32 vcc, 40, v19
	s_and_saveexec_b64 s[18:19], vcc
	s_cbranch_execz .LBB126_973
; %bb.970:
	v_cmp_ne_u32_e32 vcc, 40, v4
	s_xor_b64 s[16:17], s[10:11], -1
	s_and_b64 s[16:17], s[16:17], vcc
	s_and_saveexec_b64 s[24:25], s[16:17]
	s_cbranch_execz .LBB126_972
; %bb.971:
	v_ashrrev_i32_e32 v5, 31, v4
	v_lshlrev_b64 v[10:11], 2, v[4:5]
	v_add_co_u32_e32 v10, vcc, v8, v10
	v_addc_co_u32_e32 v11, vcc, v9, v11, vcc
	global_load_dword v5, v[10:11], off
	global_load_dword v12, v[8:9], off offset:160
	s_waitcnt vmcnt(1)
	global_store_dword v[8:9], v5, off offset:160
	s_waitcnt vmcnt(1)
	global_store_dword v[10:11], v12, off
.LBB126_972:
	s_or_b64 exec, exec, s[24:25]
	v_mov_b32_e32 v19, v4
	v_mov_b32_e32 v18, v4
.LBB126_973:
	s_or_b64 exec, exec, s[18:19]
.LBB126_974:
	s_andn2_saveexec_b64 s[4:5], s[4:5]
	s_cbranch_execz .LBB126_976
; %bb.975:
	v_mov_b32_e32 v11, s47
	buffer_load_dword v4, v11, s[0:3], 0 offen
	buffer_load_dword v5, v11, s[0:3], 0 offen offset:4
	buffer_load_dword v10, v11, s[0:3], 0 offen offset:8
	s_nop 0
	buffer_load_dword v11, v11, s[0:3], 0 offen offset:12
	v_mov_b32_e32 v19, 40
	s_waitcnt vmcnt(0)
	ds_write2_b64 v16, v[4:5], v[10:11] offset0:82 offset1:83
	v_mov_b32_e32 v11, s46
	buffer_load_dword v4, v11, s[0:3], 0 offen
	buffer_load_dword v5, v11, s[0:3], 0 offen offset:4
	buffer_load_dword v10, v11, s[0:3], 0 offen offset:8
	s_nop 0
	buffer_load_dword v11, v11, s[0:3], 0 offen offset:12
	s_waitcnt vmcnt(0)
	ds_write2_b64 v16, v[4:5], v[10:11] offset0:84 offset1:85
	v_mov_b32_e32 v11, s45
	buffer_load_dword v4, v11, s[0:3], 0 offen
	buffer_load_dword v5, v11, s[0:3], 0 offen offset:4
	buffer_load_dword v10, v11, s[0:3], 0 offen offset:8
	s_nop 0
	buffer_load_dword v11, v11, s[0:3], 0 offen offset:12
	s_waitcnt vmcnt(0)
	ds_write2_b64 v16, v[4:5], v[10:11] offset0:86 offset1:87
	v_mov_b32_e32 v11, s44
	buffer_load_dword v4, v11, s[0:3], 0 offen
	buffer_load_dword v5, v11, s[0:3], 0 offen offset:4
	buffer_load_dword v10, v11, s[0:3], 0 offen offset:8
	s_nop 0
	buffer_load_dword v11, v11, s[0:3], 0 offen offset:12
	s_waitcnt vmcnt(0)
	ds_write2_b64 v16, v[4:5], v[10:11] offset0:88 offset1:89
	v_mov_b32_e32 v11, s43
	buffer_load_dword v4, v11, s[0:3], 0 offen
	buffer_load_dword v5, v11, s[0:3], 0 offen offset:4
	buffer_load_dword v10, v11, s[0:3], 0 offen offset:8
	s_nop 0
	buffer_load_dword v11, v11, s[0:3], 0 offen offset:12
	s_waitcnt vmcnt(0)
	ds_write2_b64 v16, v[4:5], v[10:11] offset0:90 offset1:91
	v_mov_b32_e32 v11, s42
	buffer_load_dword v4, v11, s[0:3], 0 offen
	buffer_load_dword v5, v11, s[0:3], 0 offen offset:4
	buffer_load_dword v10, v11, s[0:3], 0 offen offset:8
	s_nop 0
	buffer_load_dword v11, v11, s[0:3], 0 offen offset:12
	s_waitcnt vmcnt(0)
	ds_write2_b64 v16, v[4:5], v[10:11] offset0:92 offset1:93
	v_mov_b32_e32 v11, s41
	buffer_load_dword v4, v11, s[0:3], 0 offen
	buffer_load_dword v5, v11, s[0:3], 0 offen offset:4
	buffer_load_dword v10, v11, s[0:3], 0 offen offset:8
	s_nop 0
	buffer_load_dword v11, v11, s[0:3], 0 offen offset:12
	s_waitcnt vmcnt(0)
	ds_write2_b64 v16, v[4:5], v[10:11] offset0:94 offset1:95
	v_mov_b32_e32 v11, s40
	buffer_load_dword v4, v11, s[0:3], 0 offen
	buffer_load_dword v5, v11, s[0:3], 0 offen offset:4
	buffer_load_dword v10, v11, s[0:3], 0 offen offset:8
	s_nop 0
	buffer_load_dword v11, v11, s[0:3], 0 offen offset:12
	s_waitcnt vmcnt(0)
	ds_write2_b64 v16, v[4:5], v[10:11] offset0:96 offset1:97
	v_mov_b32_e32 v11, s39
	buffer_load_dword v4, v11, s[0:3], 0 offen
	buffer_load_dword v5, v11, s[0:3], 0 offen offset:4
	buffer_load_dword v10, v11, s[0:3], 0 offen offset:8
	s_nop 0
	buffer_load_dword v11, v11, s[0:3], 0 offen offset:12
	s_waitcnt vmcnt(0)
	ds_write2_b64 v16, v[4:5], v[10:11] offset0:98 offset1:99
	v_mov_b32_e32 v11, s38
	buffer_load_dword v4, v11, s[0:3], 0 offen
	buffer_load_dword v5, v11, s[0:3], 0 offen offset:4
	buffer_load_dword v10, v11, s[0:3], 0 offen offset:8
	s_nop 0
	buffer_load_dword v11, v11, s[0:3], 0 offen offset:12
	s_waitcnt vmcnt(0)
	ds_write2_b64 v16, v[4:5], v[10:11] offset0:100 offset1:101
	v_mov_b32_e32 v11, s37
	buffer_load_dword v4, v11, s[0:3], 0 offen
	buffer_load_dword v5, v11, s[0:3], 0 offen offset:4
	buffer_load_dword v10, v11, s[0:3], 0 offen offset:8
	s_nop 0
	buffer_load_dword v11, v11, s[0:3], 0 offen offset:12
	s_waitcnt vmcnt(0)
	ds_write2_b64 v16, v[4:5], v[10:11] offset0:102 offset1:103
	v_mov_b32_e32 v11, s36
	buffer_load_dword v4, v11, s[0:3], 0 offen
	buffer_load_dword v5, v11, s[0:3], 0 offen offset:4
	buffer_load_dword v10, v11, s[0:3], 0 offen offset:8
	s_nop 0
	buffer_load_dword v11, v11, s[0:3], 0 offen offset:12
	s_waitcnt vmcnt(0)
	ds_write2_b64 v16, v[4:5], v[10:11] offset0:104 offset1:105
	v_mov_b32_e32 v11, s35
	buffer_load_dword v4, v11, s[0:3], 0 offen
	buffer_load_dword v5, v11, s[0:3], 0 offen offset:4
	buffer_load_dword v10, v11, s[0:3], 0 offen offset:8
	s_nop 0
	buffer_load_dword v11, v11, s[0:3], 0 offen offset:12
	s_waitcnt vmcnt(0)
	ds_write2_b64 v16, v[4:5], v[10:11] offset0:106 offset1:107
	v_mov_b32_e32 v11, s34
	buffer_load_dword v4, v11, s[0:3], 0 offen
	buffer_load_dword v5, v11, s[0:3], 0 offen offset:4
	buffer_load_dword v10, v11, s[0:3], 0 offen offset:8
	s_nop 0
	buffer_load_dword v11, v11, s[0:3], 0 offen offset:12
	s_waitcnt vmcnt(0)
	ds_write2_b64 v16, v[4:5], v[10:11] offset0:108 offset1:109
	v_mov_b32_e32 v11, s33
	buffer_load_dword v4, v11, s[0:3], 0 offen
	buffer_load_dword v5, v11, s[0:3], 0 offen offset:4
	buffer_load_dword v10, v11, s[0:3], 0 offen offset:8
	s_nop 0
	buffer_load_dword v11, v11, s[0:3], 0 offen offset:12
	s_waitcnt vmcnt(0)
	ds_write2_b64 v16, v[4:5], v[10:11] offset0:110 offset1:111
	v_mov_b32_e32 v11, s31
	buffer_load_dword v4, v11, s[0:3], 0 offen
	buffer_load_dword v5, v11, s[0:3], 0 offen offset:4
	buffer_load_dword v10, v11, s[0:3], 0 offen offset:8
	s_nop 0
	buffer_load_dword v11, v11, s[0:3], 0 offen offset:12
	s_waitcnt vmcnt(0)
	ds_write2_b64 v16, v[4:5], v[10:11] offset0:112 offset1:113
	v_mov_b32_e32 v11, s30
	buffer_load_dword v4, v11, s[0:3], 0 offen
	buffer_load_dword v5, v11, s[0:3], 0 offen offset:4
	buffer_load_dword v10, v11, s[0:3], 0 offen offset:8
	s_nop 0
	buffer_load_dword v11, v11, s[0:3], 0 offen offset:12
	s_waitcnt vmcnt(0)
	ds_write2_b64 v16, v[4:5], v[10:11] offset0:114 offset1:115
	v_mov_b32_e32 v11, s29
	buffer_load_dword v4, v11, s[0:3], 0 offen
	buffer_load_dword v5, v11, s[0:3], 0 offen offset:4
	buffer_load_dword v10, v11, s[0:3], 0 offen offset:8
	s_nop 0
	buffer_load_dword v11, v11, s[0:3], 0 offen offset:12
	s_waitcnt vmcnt(0)
	ds_write2_b64 v16, v[4:5], v[10:11] offset0:116 offset1:117
	v_mov_b32_e32 v11, s28
	buffer_load_dword v4, v11, s[0:3], 0 offen
	buffer_load_dword v5, v11, s[0:3], 0 offen offset:4
	buffer_load_dword v10, v11, s[0:3], 0 offen offset:8
	s_nop 0
	buffer_load_dword v11, v11, s[0:3], 0 offen offset:12
	s_waitcnt vmcnt(0)
	ds_write2_b64 v16, v[4:5], v[10:11] offset0:118 offset1:119
	v_mov_b32_e32 v11, s27
	buffer_load_dword v4, v11, s[0:3], 0 offen
	buffer_load_dword v5, v11, s[0:3], 0 offen offset:4
	buffer_load_dword v10, v11, s[0:3], 0 offen offset:8
	s_nop 0
	buffer_load_dword v11, v11, s[0:3], 0 offen offset:12
	s_waitcnt vmcnt(0)
	ds_write2_b64 v16, v[4:5], v[10:11] offset0:120 offset1:121
	v_mov_b32_e32 v11, s26
	buffer_load_dword v4, v11, s[0:3], 0 offen
	buffer_load_dword v5, v11, s[0:3], 0 offen offset:4
	buffer_load_dword v10, v11, s[0:3], 0 offen offset:8
	s_nop 0
	buffer_load_dword v11, v11, s[0:3], 0 offen offset:12
	s_waitcnt vmcnt(0)
	ds_write2_b64 v16, v[4:5], v[10:11] offset0:122 offset1:123
	v_mov_b32_e32 v11, s20
	buffer_load_dword v4, v11, s[0:3], 0 offen
	buffer_load_dword v5, v11, s[0:3], 0 offen offset:4
	buffer_load_dword v10, v11, s[0:3], 0 offen offset:8
	s_nop 0
	buffer_load_dword v11, v11, s[0:3], 0 offen offset:12
	s_waitcnt vmcnt(0)
	ds_write2_b64 v16, v[4:5], v[10:11] offset0:124 offset1:125
	v_mov_b32_e32 v11, s7
	buffer_load_dword v4, v11, s[0:3], 0 offen
	buffer_load_dword v5, v11, s[0:3], 0 offen offset:4
	buffer_load_dword v10, v11, s[0:3], 0 offen offset:8
	s_nop 0
	buffer_load_dword v11, v11, s[0:3], 0 offen offset:12
	s_waitcnt vmcnt(0)
	ds_write2_b64 v16, v[4:5], v[10:11] offset0:126 offset1:127
.LBB126_976:
	s_or_b64 exec, exec, s[4:5]
	v_cmp_lt_i32_e32 vcc, 40, v19
	s_waitcnt vmcnt(0) lgkmcnt(0)
	s_barrier
	s_and_saveexec_b64 s[4:5], vcc
	s_cbranch_execz .LBB126_978
; %bb.977:
	buffer_load_dword v4, off, s[0:3], 0 offset:640
	buffer_load_dword v5, off, s[0:3], 0 offset:644
	;; [unrolled: 1-line block ×16, first 2 shown]
	s_waitcnt vmcnt(12)
	v_mul_f64 v[30:31], v[2:3], v[10:11]
	v_fma_f64 v[30:31], v[0:1], v[4:5], -v[30:31]
	v_mul_f64 v[0:1], v[0:1], v[10:11]
	v_fma_f64 v[4:5], v[2:3], v[4:5], v[0:1]
	buffer_store_dword v30, off, s[0:3], 0 offset:640
	buffer_store_dword v31, off, s[0:3], 0 offset:644
	buffer_store_dword v4, off, s[0:3], 0 offset:648
	buffer_store_dword v5, off, s[0:3], 0 offset:652
	ds_read2_b64 v[0:3], v16 offset0:82 offset1:83
	s_waitcnt lgkmcnt(0)
	v_mul_f64 v[10:11], v[2:3], v[4:5]
	v_fma_f64 v[10:11], v[0:1], v[30:31], -v[10:11]
	v_mul_f64 v[0:1], v[0:1], v[4:5]
	v_fma_f64 v[0:1], v[2:3], v[30:31], v[0:1]
	s_waitcnt vmcnt(14)
	v_add_f64 v[2:3], v[12:13], -v[10:11]
	s_waitcnt vmcnt(12)
	v_add_f64 v[0:1], v[20:21], -v[0:1]
	buffer_store_dword v2, off, s[0:3], 0 offset:656
	buffer_store_dword v3, off, s[0:3], 0 offset:660
	buffer_store_dword v0, off, s[0:3], 0 offset:664
	buffer_store_dword v1, off, s[0:3], 0 offset:668
	ds_read2_b64 v[0:3], v16 offset0:84 offset1:85
	s_waitcnt lgkmcnt(0)
	v_mul_f64 v[10:11], v[2:3], v[4:5]
	v_fma_f64 v[10:11], v[0:1], v[30:31], -v[10:11]
	v_mul_f64 v[0:1], v[0:1], v[4:5]
	v_fma_f64 v[0:1], v[2:3], v[30:31], v[0:1]
	s_waitcnt vmcnt(14)
	v_add_f64 v[2:3], v[22:23], -v[10:11]
	s_waitcnt vmcnt(12)
	v_add_f64 v[0:1], v[24:25], -v[0:1]
	;; [unrolled: 14-line block ×3, first 2 shown]
	buffer_store_dword v3, off, s[0:3], 0 offset:692
	buffer_store_dword v2, off, s[0:3], 0 offset:688
	buffer_store_dword v0, off, s[0:3], 0 offset:696
	buffer_store_dword v1, off, s[0:3], 0 offset:700
	ds_read2_b64 v[0:3], v16 offset0:88 offset1:89
	s_waitcnt lgkmcnt(0)
	v_mul_f64 v[10:11], v[2:3], v[4:5]
	v_fma_f64 v[10:11], v[0:1], v[30:31], -v[10:11]
	v_mul_f64 v[0:1], v[0:1], v[4:5]
	v_fma_f64 v[0:1], v[2:3], v[30:31], v[0:1]
	buffer_load_dword v2, off, s[0:3], 0 offset:704
	buffer_load_dword v3, off, s[0:3], 0 offset:708
	buffer_load_dword v12, off, s[0:3], 0 offset:712
	buffer_load_dword v13, off, s[0:3], 0 offset:716
	s_waitcnt vmcnt(2)
	v_add_f64 v[2:3], v[2:3], -v[10:11]
	s_waitcnt vmcnt(0)
	v_add_f64 v[0:1], v[12:13], -v[0:1]
	buffer_store_dword v3, off, s[0:3], 0 offset:708
	buffer_store_dword v2, off, s[0:3], 0 offset:704
	buffer_store_dword v1, off, s[0:3], 0 offset:716
	buffer_store_dword v0, off, s[0:3], 0 offset:712
	ds_read2_b64 v[0:3], v16 offset0:90 offset1:91
	s_waitcnt lgkmcnt(0)
	v_mul_f64 v[10:11], v[2:3], v[4:5]
	v_fma_f64 v[10:11], v[0:1], v[30:31], -v[10:11]
	v_mul_f64 v[0:1], v[0:1], v[4:5]
	v_fma_f64 v[0:1], v[2:3], v[30:31], v[0:1]
	buffer_load_dword v2, off, s[0:3], 0 offset:720
	buffer_load_dword v3, off, s[0:3], 0 offset:724
	buffer_load_dword v12, off, s[0:3], 0 offset:728
	buffer_load_dword v13, off, s[0:3], 0 offset:732
	s_waitcnt vmcnt(2)
	v_add_f64 v[2:3], v[2:3], -v[10:11]
	s_waitcnt vmcnt(0)
	v_add_f64 v[0:1], v[12:13], -v[0:1]
	;; [unrolled: 18-line block ×3, first 2 shown]
	buffer_store_dword v3, off, s[0:3], 0 offset:740
	buffer_store_dword v2, off, s[0:3], 0 offset:736
	;; [unrolled: 1-line block ×4, first 2 shown]
	ds_read2_b64 v[0:3], v16 offset0:94 offset1:95
	buffer_load_dword v4, off, s[0:3], 0 offset:640
	buffer_load_dword v5, off, s[0:3], 0 offset:644
	;; [unrolled: 1-line block ×4, first 2 shown]
	s_waitcnt vmcnt(0) lgkmcnt(0)
	v_mul_f64 v[12:13], v[2:3], v[10:11]
	v_fma_f64 v[12:13], v[0:1], v[4:5], -v[12:13]
	v_mul_f64 v[0:1], v[0:1], v[10:11]
	v_fma_f64 v[0:1], v[2:3], v[4:5], v[0:1]
	buffer_load_dword v3, off, s[0:3], 0 offset:756
	buffer_load_dword v2, off, s[0:3], 0 offset:752
	s_waitcnt vmcnt(0)
	v_add_f64 v[2:3], v[2:3], -v[12:13]
	buffer_load_dword v13, off, s[0:3], 0 offset:764
	buffer_load_dword v12, off, s[0:3], 0 offset:760
	s_waitcnt vmcnt(0)
	v_add_f64 v[0:1], v[12:13], -v[0:1]
	buffer_store_dword v3, off, s[0:3], 0 offset:756
	buffer_store_dword v2, off, s[0:3], 0 offset:752
	buffer_store_dword v1, off, s[0:3], 0 offset:764
	buffer_store_dword v0, off, s[0:3], 0 offset:760
	ds_read2_b64 v[0:3], v16 offset0:96 offset1:97
	s_waitcnt lgkmcnt(0)
	v_mul_f64 v[12:13], v[2:3], v[10:11]
	v_fma_f64 v[12:13], v[0:1], v[4:5], -v[12:13]
	v_mul_f64 v[0:1], v[0:1], v[10:11]
	v_fma_f64 v[0:1], v[2:3], v[4:5], v[0:1]
	buffer_load_dword v2, off, s[0:3], 0 offset:768
	buffer_load_dword v3, off, s[0:3], 0 offset:772
	buffer_load_dword v20, off, s[0:3], 0 offset:776
	buffer_load_dword v21, off, s[0:3], 0 offset:780
	s_waitcnt vmcnt(2)
	v_add_f64 v[2:3], v[2:3], -v[12:13]
	s_waitcnt vmcnt(0)
	v_add_f64 v[0:1], v[20:21], -v[0:1]
	buffer_store_dword v3, off, s[0:3], 0 offset:772
	buffer_store_dword v2, off, s[0:3], 0 offset:768
	buffer_store_dword v1, off, s[0:3], 0 offset:780
	buffer_store_dword v0, off, s[0:3], 0 offset:776
	ds_read2_b64 v[0:3], v16 offset0:98 offset1:99
	s_waitcnt lgkmcnt(0)
	v_mul_f64 v[12:13], v[2:3], v[10:11]
	v_fma_f64 v[12:13], v[0:1], v[4:5], -v[12:13]
	v_mul_f64 v[0:1], v[0:1], v[10:11]
	v_fma_f64 v[0:1], v[2:3], v[4:5], v[0:1]
	buffer_load_dword v2, off, s[0:3], 0 offset:784
	buffer_load_dword v3, off, s[0:3], 0 offset:788
	buffer_load_dword v20, off, s[0:3], 0 offset:792
	buffer_load_dword v21, off, s[0:3], 0 offset:796
	s_waitcnt vmcnt(2)
	v_add_f64 v[2:3], v[2:3], -v[12:13]
	;; [unrolled: 18-line block ×5, first 2 shown]
	s_waitcnt vmcnt(0)
	v_add_f64 v[0:1], v[4:5], -v[0:1]
	buffer_store_dword v3, off, s[0:3], 0 offset:836
	buffer_store_dword v2, off, s[0:3], 0 offset:832
	;; [unrolled: 1-line block ×4, first 2 shown]
	ds_read2_b64 v[0:3], v16 offset0:106 offset1:107
	buffer_load_dword v4, off, s[0:3], 0 offset:640
	buffer_load_dword v5, off, s[0:3], 0 offset:644
	;; [unrolled: 1-line block ×4, first 2 shown]
	s_waitcnt vmcnt(0) lgkmcnt(0)
	v_mul_f64 v[12:13], v[2:3], v[10:11]
	v_fma_f64 v[12:13], v[0:1], v[4:5], -v[12:13]
	v_mul_f64 v[0:1], v[0:1], v[10:11]
	v_fma_f64 v[0:1], v[2:3], v[4:5], v[0:1]
	buffer_load_dword v3, off, s[0:3], 0 offset:852
	buffer_load_dword v2, off, s[0:3], 0 offset:848
	s_waitcnt vmcnt(0)
	v_add_f64 v[2:3], v[2:3], -v[12:13]
	buffer_load_dword v13, off, s[0:3], 0 offset:860
	buffer_load_dword v12, off, s[0:3], 0 offset:856
	s_waitcnt vmcnt(0)
	v_add_f64 v[0:1], v[12:13], -v[0:1]
	buffer_store_dword v3, off, s[0:3], 0 offset:852
	buffer_store_dword v2, off, s[0:3], 0 offset:848
	buffer_store_dword v1, off, s[0:3], 0 offset:860
	buffer_store_dword v0, off, s[0:3], 0 offset:856
	ds_read2_b64 v[0:3], v16 offset0:108 offset1:109
	s_waitcnt lgkmcnt(0)
	v_mul_f64 v[12:13], v[2:3], v[10:11]
	v_fma_f64 v[12:13], v[0:1], v[4:5], -v[12:13]
	v_mul_f64 v[0:1], v[0:1], v[10:11]
	v_fma_f64 v[0:1], v[2:3], v[4:5], v[0:1]
	buffer_load_dword v2, off, s[0:3], 0 offset:864
	buffer_load_dword v3, off, s[0:3], 0 offset:868
	buffer_load_dword v20, off, s[0:3], 0 offset:872
	buffer_load_dword v21, off, s[0:3], 0 offset:876
	s_waitcnt vmcnt(2)
	v_add_f64 v[2:3], v[2:3], -v[12:13]
	s_waitcnt vmcnt(0)
	v_add_f64 v[0:1], v[20:21], -v[0:1]
	buffer_store_dword v3, off, s[0:3], 0 offset:868
	buffer_store_dword v2, off, s[0:3], 0 offset:864
	buffer_store_dword v1, off, s[0:3], 0 offset:876
	buffer_store_dword v0, off, s[0:3], 0 offset:872
	ds_read2_b64 v[0:3], v16 offset0:110 offset1:111
	s_waitcnt lgkmcnt(0)
	v_mul_f64 v[12:13], v[2:3], v[10:11]
	v_fma_f64 v[12:13], v[0:1], v[4:5], -v[12:13]
	v_mul_f64 v[0:1], v[0:1], v[10:11]
	v_fma_f64 v[0:1], v[2:3], v[4:5], v[0:1]
	buffer_load_dword v2, off, s[0:3], 0 offset:880
	buffer_load_dword v3, off, s[0:3], 0 offset:884
	buffer_load_dword v20, off, s[0:3], 0 offset:888
	buffer_load_dword v21, off, s[0:3], 0 offset:892
	s_waitcnt vmcnt(2)
	v_add_f64 v[2:3], v[2:3], -v[12:13]
	;; [unrolled: 18-line block ×5, first 2 shown]
	s_waitcnt vmcnt(0)
	v_add_f64 v[0:1], v[4:5], -v[0:1]
	buffer_store_dword v3, off, s[0:3], 0 offset:932
	buffer_store_dword v2, off, s[0:3], 0 offset:928
	;; [unrolled: 1-line block ×4, first 2 shown]
	ds_read2_b64 v[0:3], v16 offset0:118 offset1:119
	buffer_load_dword v4, off, s[0:3], 0 offset:640
	buffer_load_dword v5, off, s[0:3], 0 offset:644
	buffer_load_dword v10, off, s[0:3], 0 offset:648
	buffer_load_dword v11, off, s[0:3], 0 offset:652
	s_waitcnt vmcnt(0) lgkmcnt(0)
	v_mul_f64 v[12:13], v[2:3], v[10:11]
	v_fma_f64 v[12:13], v[0:1], v[4:5], -v[12:13]
	v_mul_f64 v[0:1], v[0:1], v[10:11]
	v_fma_f64 v[0:1], v[2:3], v[4:5], v[0:1]
	buffer_load_dword v3, off, s[0:3], 0 offset:948
	buffer_load_dword v2, off, s[0:3], 0 offset:944
	s_waitcnt vmcnt(0)
	v_add_f64 v[2:3], v[2:3], -v[12:13]
	buffer_load_dword v13, off, s[0:3], 0 offset:956
	buffer_load_dword v12, off, s[0:3], 0 offset:952
	s_waitcnt vmcnt(0)
	v_add_f64 v[0:1], v[12:13], -v[0:1]
	buffer_store_dword v3, off, s[0:3], 0 offset:948
	buffer_store_dword v2, off, s[0:3], 0 offset:944
	buffer_store_dword v1, off, s[0:3], 0 offset:956
	buffer_store_dword v0, off, s[0:3], 0 offset:952
	ds_read2_b64 v[0:3], v16 offset0:120 offset1:121
	s_waitcnt lgkmcnt(0)
	v_mul_f64 v[12:13], v[2:3], v[10:11]
	v_fma_f64 v[12:13], v[0:1], v[4:5], -v[12:13]
	v_mul_f64 v[0:1], v[0:1], v[10:11]
	v_fma_f64 v[0:1], v[2:3], v[4:5], v[0:1]
	buffer_load_dword v2, off, s[0:3], 0 offset:960
	buffer_load_dword v3, off, s[0:3], 0 offset:964
	buffer_load_dword v20, off, s[0:3], 0 offset:968
	buffer_load_dword v21, off, s[0:3], 0 offset:972
	s_waitcnt vmcnt(2)
	v_add_f64 v[2:3], v[2:3], -v[12:13]
	s_waitcnt vmcnt(0)
	v_add_f64 v[0:1], v[20:21], -v[0:1]
	buffer_store_dword v3, off, s[0:3], 0 offset:964
	buffer_store_dword v2, off, s[0:3], 0 offset:960
	buffer_store_dword v1, off, s[0:3], 0 offset:972
	buffer_store_dword v0, off, s[0:3], 0 offset:968
	ds_read2_b64 v[0:3], v16 offset0:122 offset1:123
	s_waitcnt lgkmcnt(0)
	v_mul_f64 v[12:13], v[2:3], v[10:11]
	v_fma_f64 v[12:13], v[0:1], v[4:5], -v[12:13]
	v_mul_f64 v[0:1], v[0:1], v[10:11]
	v_fma_f64 v[0:1], v[2:3], v[4:5], v[0:1]
	buffer_load_dword v2, off, s[0:3], 0 offset:976
	buffer_load_dword v3, off, s[0:3], 0 offset:980
	buffer_load_dword v20, off, s[0:3], 0 offset:984
	buffer_load_dword v21, off, s[0:3], 0 offset:988
	s_waitcnt vmcnt(2)
	v_add_f64 v[2:3], v[2:3], -v[12:13]
	;; [unrolled: 18-line block ×4, first 2 shown]
	s_waitcnt vmcnt(0)
	v_add_f64 v[0:1], v[4:5], -v[0:1]
	buffer_store_dword v3, off, s[0:3], 0 offset:1012
	buffer_store_dword v2, off, s[0:3], 0 offset:1008
	;; [unrolled: 1-line block ×4, first 2 shown]
.LBB126_978:
	s_or_b64 exec, exec, s[4:5]
	v_mov_b32_e32 v3, s47
	s_waitcnt vmcnt(0)
	s_barrier
	buffer_load_dword v0, v3, s[0:3], 0 offen
	buffer_load_dword v1, v3, s[0:3], 0 offen offset:4
	buffer_load_dword v2, v3, s[0:3], 0 offen offset:8
	s_nop 0
	buffer_load_dword v3, v3, s[0:3], 0 offen offset:12
	v_lshl_add_u32 v4, v19, 4, v16
	s_cmp_lt_i32 s66, 43
	s_waitcnt vmcnt(0)
	ds_write2_b64 v4, v[0:1], v[2:3] offset1:1
	s_waitcnt lgkmcnt(0)
	s_barrier
	ds_read2_b64 v[0:3], v16 offset0:82 offset1:83
	v_mov_b32_e32 v4, 41
	s_cbranch_scc1 .LBB126_981
; %bb.979:
	v_add_u32_e32 v5, 0x2a0, v16
	s_mov_b32 s16, 42
	v_mov_b32_e32 v4, 41
.LBB126_980:                            ; =>This Inner Loop Header: Depth=1
	s_waitcnt lgkmcnt(0)
	v_cmp_gt_f64_e32 vcc, 0, v[2:3]
	v_cmp_gt_f64_e64 s[4:5], 0, v[0:1]
	ds_read2_b64 v[10:13], v5 offset1:1
	v_xor_b32_e32 v21, 0x80000000, v1
	v_xor_b32_e32 v23, 0x80000000, v3
	v_mov_b32_e32 v20, v0
	v_mov_b32_e32 v22, v2
	s_waitcnt lgkmcnt(0)
	v_xor_b32_e32 v25, 0x80000000, v13
	v_cndmask_b32_e32 v23, v3, v23, vcc
	v_cndmask_b32_e64 v21, v1, v21, s[4:5]
	v_cmp_gt_f64_e32 vcc, 0, v[12:13]
	v_cmp_gt_f64_e64 s[4:5], 0, v[10:11]
	v_add_f64 v[20:21], v[20:21], v[22:23]
	v_xor_b32_e32 v23, 0x80000000, v11
	v_mov_b32_e32 v22, v10
	v_mov_b32_e32 v24, v12
	v_add_u32_e32 v5, 16, v5
	v_cndmask_b32_e32 v25, v13, v25, vcc
	v_cndmask_b32_e64 v23, v11, v23, s[4:5]
	v_add_f64 v[22:23], v[22:23], v[24:25]
	v_mov_b32_e32 v24, s16
	s_add_i32 s16, s16, 1
	s_cmp_lg_u32 s66, s16
	v_cmp_lt_f64_e32 vcc, v[20:21], v[22:23]
	v_cndmask_b32_e32 v1, v1, v11, vcc
	v_cndmask_b32_e32 v0, v0, v10, vcc
	;; [unrolled: 1-line block ×5, first 2 shown]
	s_cbranch_scc1 .LBB126_980
.LBB126_981:
	s_waitcnt lgkmcnt(0)
	v_cmp_eq_f64_e32 vcc, 0, v[0:1]
	v_cmp_eq_f64_e64 s[4:5], 0, v[2:3]
	s_and_b64 s[4:5], vcc, s[4:5]
	s_and_saveexec_b64 s[16:17], s[4:5]
	s_xor_b64 s[4:5], exec, s[16:17]
; %bb.982:
	v_cmp_ne_u32_e32 vcc, 0, v17
	v_cndmask_b32_e32 v17, 42, v17, vcc
; %bb.983:
	s_andn2_saveexec_b64 s[4:5], s[4:5]
	s_cbranch_execz .LBB126_989
; %bb.984:
	v_cmp_ngt_f64_e64 s[16:17], |v[0:1]|, |v[2:3]|
	s_and_saveexec_b64 s[18:19], s[16:17]
	s_xor_b64 s[18:19], exec, s[18:19]
	s_cbranch_execz .LBB126_986
; %bb.985:
	v_div_scale_f64 v[10:11], s[16:17], v[2:3], v[2:3], v[0:1]
	v_rcp_f64_e32 v[12:13], v[10:11]
	v_fma_f64 v[20:21], -v[10:11], v[12:13], 1.0
	v_fma_f64 v[12:13], v[12:13], v[20:21], v[12:13]
	v_div_scale_f64 v[20:21], vcc, v[0:1], v[2:3], v[0:1]
	v_fma_f64 v[22:23], -v[10:11], v[12:13], 1.0
	v_fma_f64 v[12:13], v[12:13], v[22:23], v[12:13]
	v_mul_f64 v[22:23], v[20:21], v[12:13]
	v_fma_f64 v[10:11], -v[10:11], v[22:23], v[20:21]
	v_div_fmas_f64 v[10:11], v[10:11], v[12:13], v[22:23]
	v_div_fixup_f64 v[10:11], v[10:11], v[2:3], v[0:1]
	v_fma_f64 v[0:1], v[0:1], v[10:11], v[2:3]
	v_div_scale_f64 v[2:3], s[16:17], v[0:1], v[0:1], 1.0
	v_div_scale_f64 v[22:23], vcc, 1.0, v[0:1], 1.0
	v_rcp_f64_e32 v[12:13], v[2:3]
	v_fma_f64 v[20:21], -v[2:3], v[12:13], 1.0
	v_fma_f64 v[12:13], v[12:13], v[20:21], v[12:13]
	v_fma_f64 v[20:21], -v[2:3], v[12:13], 1.0
	v_fma_f64 v[12:13], v[12:13], v[20:21], v[12:13]
	v_mul_f64 v[20:21], v[22:23], v[12:13]
	v_fma_f64 v[2:3], -v[2:3], v[20:21], v[22:23]
	v_div_fmas_f64 v[2:3], v[2:3], v[12:13], v[20:21]
	v_div_fixup_f64 v[2:3], v[2:3], v[0:1], 1.0
	v_mul_f64 v[0:1], v[10:11], v[2:3]
	v_xor_b32_e32 v3, 0x80000000, v3
.LBB126_986:
	s_andn2_saveexec_b64 s[18:19], s[18:19]
	s_cbranch_execz .LBB126_988
; %bb.987:
	v_div_scale_f64 v[10:11], s[16:17], v[0:1], v[0:1], v[2:3]
	v_rcp_f64_e32 v[12:13], v[10:11]
	v_fma_f64 v[20:21], -v[10:11], v[12:13], 1.0
	v_fma_f64 v[12:13], v[12:13], v[20:21], v[12:13]
	v_div_scale_f64 v[20:21], vcc, v[2:3], v[0:1], v[2:3]
	v_fma_f64 v[22:23], -v[10:11], v[12:13], 1.0
	v_fma_f64 v[12:13], v[12:13], v[22:23], v[12:13]
	v_mul_f64 v[22:23], v[20:21], v[12:13]
	v_fma_f64 v[10:11], -v[10:11], v[22:23], v[20:21]
	v_div_fmas_f64 v[10:11], v[10:11], v[12:13], v[22:23]
	v_div_fixup_f64 v[10:11], v[10:11], v[0:1], v[2:3]
	v_fma_f64 v[0:1], v[2:3], v[10:11], v[0:1]
	v_div_scale_f64 v[2:3], s[16:17], v[0:1], v[0:1], 1.0
	v_div_scale_f64 v[22:23], vcc, 1.0, v[0:1], 1.0
	v_rcp_f64_e32 v[12:13], v[2:3]
	v_fma_f64 v[20:21], -v[2:3], v[12:13], 1.0
	v_fma_f64 v[12:13], v[12:13], v[20:21], v[12:13]
	v_fma_f64 v[20:21], -v[2:3], v[12:13], 1.0
	v_fma_f64 v[12:13], v[12:13], v[20:21], v[12:13]
	v_mul_f64 v[20:21], v[22:23], v[12:13]
	v_fma_f64 v[2:3], -v[2:3], v[20:21], v[22:23]
	v_div_fmas_f64 v[2:3], v[2:3], v[12:13], v[20:21]
	v_div_fixup_f64 v[0:1], v[2:3], v[0:1], 1.0
	v_mul_f64 v[2:3], v[10:11], -v[0:1]
.LBB126_988:
	s_or_b64 exec, exec, s[18:19]
.LBB126_989:
	s_or_b64 exec, exec, s[4:5]
	v_cmp_ne_u32_e32 vcc, v19, v4
	s_and_saveexec_b64 s[4:5], vcc
	s_xor_b64 s[4:5], exec, s[4:5]
	s_cbranch_execz .LBB126_995
; %bb.990:
	v_cmp_eq_u32_e32 vcc, 41, v19
	s_and_saveexec_b64 s[18:19], vcc
	s_cbranch_execz .LBB126_994
; %bb.991:
	v_cmp_ne_u32_e32 vcc, 41, v4
	s_xor_b64 s[16:17], s[10:11], -1
	s_and_b64 s[16:17], s[16:17], vcc
	s_and_saveexec_b64 s[24:25], s[16:17]
	s_cbranch_execz .LBB126_993
; %bb.992:
	v_ashrrev_i32_e32 v5, 31, v4
	v_lshlrev_b64 v[10:11], 2, v[4:5]
	v_add_co_u32_e32 v10, vcc, v8, v10
	v_addc_co_u32_e32 v11, vcc, v9, v11, vcc
	global_load_dword v5, v[10:11], off
	global_load_dword v12, v[8:9], off offset:164
	s_waitcnt vmcnt(1)
	global_store_dword v[8:9], v5, off offset:164
	s_waitcnt vmcnt(1)
	global_store_dword v[10:11], v12, off
.LBB126_993:
	s_or_b64 exec, exec, s[24:25]
	v_mov_b32_e32 v19, v4
	v_mov_b32_e32 v18, v4
.LBB126_994:
	s_or_b64 exec, exec, s[18:19]
.LBB126_995:
	s_andn2_saveexec_b64 s[4:5], s[4:5]
	s_cbranch_execz .LBB126_997
; %bb.996:
	v_mov_b32_e32 v11, s46
	buffer_load_dword v4, v11, s[0:3], 0 offen
	buffer_load_dword v5, v11, s[0:3], 0 offen offset:4
	buffer_load_dword v10, v11, s[0:3], 0 offen offset:8
	s_nop 0
	buffer_load_dword v11, v11, s[0:3], 0 offen offset:12
	v_mov_b32_e32 v19, 41
	s_waitcnt vmcnt(0)
	ds_write2_b64 v16, v[4:5], v[10:11] offset0:84 offset1:85
	v_mov_b32_e32 v11, s45
	buffer_load_dword v4, v11, s[0:3], 0 offen
	buffer_load_dword v5, v11, s[0:3], 0 offen offset:4
	buffer_load_dword v10, v11, s[0:3], 0 offen offset:8
	s_nop 0
	buffer_load_dword v11, v11, s[0:3], 0 offen offset:12
	s_waitcnt vmcnt(0)
	ds_write2_b64 v16, v[4:5], v[10:11] offset0:86 offset1:87
	v_mov_b32_e32 v11, s44
	buffer_load_dword v4, v11, s[0:3], 0 offen
	buffer_load_dword v5, v11, s[0:3], 0 offen offset:4
	buffer_load_dword v10, v11, s[0:3], 0 offen offset:8
	s_nop 0
	buffer_load_dword v11, v11, s[0:3], 0 offen offset:12
	;; [unrolled: 8-line block ×21, first 2 shown]
	s_waitcnt vmcnt(0)
	ds_write2_b64 v16, v[4:5], v[10:11] offset0:126 offset1:127
.LBB126_997:
	s_or_b64 exec, exec, s[4:5]
	v_cmp_lt_i32_e32 vcc, 41, v19
	s_waitcnt vmcnt(0) lgkmcnt(0)
	s_barrier
	s_and_saveexec_b64 s[4:5], vcc
	s_cbranch_execz .LBB126_999
; %bb.998:
	buffer_load_dword v4, off, s[0:3], 0 offset:656
	buffer_load_dword v5, off, s[0:3], 0 offset:660
	;; [unrolled: 1-line block ×16, first 2 shown]
	s_waitcnt vmcnt(12)
	v_mul_f64 v[30:31], v[2:3], v[10:11]
	v_fma_f64 v[30:31], v[0:1], v[4:5], -v[30:31]
	v_mul_f64 v[0:1], v[0:1], v[10:11]
	v_fma_f64 v[4:5], v[2:3], v[4:5], v[0:1]
	buffer_store_dword v30, off, s[0:3], 0 offset:656
	buffer_store_dword v31, off, s[0:3], 0 offset:660
	buffer_store_dword v4, off, s[0:3], 0 offset:664
	buffer_store_dword v5, off, s[0:3], 0 offset:668
	ds_read2_b64 v[0:3], v16 offset0:84 offset1:85
	s_waitcnt lgkmcnt(0)
	v_mul_f64 v[10:11], v[2:3], v[4:5]
	v_fma_f64 v[10:11], v[0:1], v[30:31], -v[10:11]
	v_mul_f64 v[0:1], v[0:1], v[4:5]
	v_fma_f64 v[0:1], v[2:3], v[30:31], v[0:1]
	s_waitcnt vmcnt(14)
	v_add_f64 v[2:3], v[12:13], -v[10:11]
	s_waitcnt vmcnt(12)
	v_add_f64 v[0:1], v[20:21], -v[0:1]
	buffer_store_dword v2, off, s[0:3], 0 offset:672
	buffer_store_dword v3, off, s[0:3], 0 offset:676
	buffer_store_dword v0, off, s[0:3], 0 offset:680
	buffer_store_dword v1, off, s[0:3], 0 offset:684
	ds_read2_b64 v[0:3], v16 offset0:86 offset1:87
	s_waitcnt lgkmcnt(0)
	v_mul_f64 v[10:11], v[2:3], v[4:5]
	v_fma_f64 v[10:11], v[0:1], v[30:31], -v[10:11]
	v_mul_f64 v[0:1], v[0:1], v[4:5]
	v_fma_f64 v[0:1], v[2:3], v[30:31], v[0:1]
	s_waitcnt vmcnt(14)
	v_add_f64 v[2:3], v[22:23], -v[10:11]
	s_waitcnt vmcnt(12)
	v_add_f64 v[0:1], v[24:25], -v[0:1]
	buffer_store_dword v2, off, s[0:3], 0 offset:688
	buffer_store_dword v3, off, s[0:3], 0 offset:692
	buffer_store_dword v0, off, s[0:3], 0 offset:696
	buffer_store_dword v1, off, s[0:3], 0 offset:700
	ds_read2_b64 v[0:3], v16 offset0:88 offset1:89
	s_waitcnt lgkmcnt(0)
	v_mul_f64 v[10:11], v[2:3], v[4:5]
	v_fma_f64 v[10:11], v[0:1], v[30:31], -v[10:11]
	v_mul_f64 v[0:1], v[0:1], v[4:5]
	v_fma_f64 v[0:1], v[2:3], v[30:31], v[0:1]
	s_waitcnt vmcnt(14)
	v_add_f64 v[2:3], v[26:27], -v[10:11]
	s_waitcnt vmcnt(12)
	v_add_f64 v[0:1], v[28:29], -v[0:1]
	buffer_store_dword v3, off, s[0:3], 0 offset:708
	buffer_store_dword v2, off, s[0:3], 0 offset:704
	buffer_store_dword v0, off, s[0:3], 0 offset:712
	buffer_store_dword v1, off, s[0:3], 0 offset:716
	ds_read2_b64 v[0:3], v16 offset0:90 offset1:91
	s_waitcnt lgkmcnt(0)
	v_mul_f64 v[10:11], v[2:3], v[4:5]
	v_fma_f64 v[10:11], v[0:1], v[30:31], -v[10:11]
	v_mul_f64 v[0:1], v[0:1], v[4:5]
	v_fma_f64 v[0:1], v[2:3], v[30:31], v[0:1]
	buffer_load_dword v2, off, s[0:3], 0 offset:720
	buffer_load_dword v3, off, s[0:3], 0 offset:724
	buffer_load_dword v12, off, s[0:3], 0 offset:728
	buffer_load_dword v13, off, s[0:3], 0 offset:732
	s_waitcnt vmcnt(2)
	v_add_f64 v[2:3], v[2:3], -v[10:11]
	s_waitcnt vmcnt(0)
	v_add_f64 v[0:1], v[12:13], -v[0:1]
	buffer_store_dword v3, off, s[0:3], 0 offset:724
	buffer_store_dword v2, off, s[0:3], 0 offset:720
	buffer_store_dword v1, off, s[0:3], 0 offset:732
	buffer_store_dword v0, off, s[0:3], 0 offset:728
	ds_read2_b64 v[0:3], v16 offset0:92 offset1:93
	s_waitcnt lgkmcnt(0)
	v_mul_f64 v[10:11], v[2:3], v[4:5]
	v_fma_f64 v[10:11], v[0:1], v[30:31], -v[10:11]
	v_mul_f64 v[0:1], v[0:1], v[4:5]
	v_fma_f64 v[0:1], v[2:3], v[30:31], v[0:1]
	buffer_load_dword v2, off, s[0:3], 0 offset:736
	buffer_load_dword v3, off, s[0:3], 0 offset:740
	buffer_load_dword v12, off, s[0:3], 0 offset:744
	buffer_load_dword v13, off, s[0:3], 0 offset:748
	s_waitcnt vmcnt(2)
	v_add_f64 v[2:3], v[2:3], -v[10:11]
	s_waitcnt vmcnt(0)
	v_add_f64 v[0:1], v[12:13], -v[0:1]
	;; [unrolled: 18-line block ×3, first 2 shown]
	buffer_store_dword v3, off, s[0:3], 0 offset:756
	buffer_store_dword v2, off, s[0:3], 0 offset:752
	;; [unrolled: 1-line block ×4, first 2 shown]
	ds_read2_b64 v[0:3], v16 offset0:96 offset1:97
	buffer_load_dword v4, off, s[0:3], 0 offset:656
	buffer_load_dword v5, off, s[0:3], 0 offset:660
	;; [unrolled: 1-line block ×4, first 2 shown]
	s_waitcnt vmcnt(0) lgkmcnt(0)
	v_mul_f64 v[12:13], v[2:3], v[10:11]
	v_fma_f64 v[12:13], v[0:1], v[4:5], -v[12:13]
	v_mul_f64 v[0:1], v[0:1], v[10:11]
	v_fma_f64 v[0:1], v[2:3], v[4:5], v[0:1]
	buffer_load_dword v3, off, s[0:3], 0 offset:772
	buffer_load_dword v2, off, s[0:3], 0 offset:768
	s_waitcnt vmcnt(0)
	v_add_f64 v[2:3], v[2:3], -v[12:13]
	buffer_load_dword v13, off, s[0:3], 0 offset:780
	buffer_load_dword v12, off, s[0:3], 0 offset:776
	s_waitcnt vmcnt(0)
	v_add_f64 v[0:1], v[12:13], -v[0:1]
	buffer_store_dword v3, off, s[0:3], 0 offset:772
	buffer_store_dword v2, off, s[0:3], 0 offset:768
	buffer_store_dword v1, off, s[0:3], 0 offset:780
	buffer_store_dword v0, off, s[0:3], 0 offset:776
	ds_read2_b64 v[0:3], v16 offset0:98 offset1:99
	s_waitcnt lgkmcnt(0)
	v_mul_f64 v[12:13], v[2:3], v[10:11]
	v_fma_f64 v[12:13], v[0:1], v[4:5], -v[12:13]
	v_mul_f64 v[0:1], v[0:1], v[10:11]
	v_fma_f64 v[0:1], v[2:3], v[4:5], v[0:1]
	buffer_load_dword v2, off, s[0:3], 0 offset:784
	buffer_load_dword v3, off, s[0:3], 0 offset:788
	buffer_load_dword v20, off, s[0:3], 0 offset:792
	buffer_load_dword v21, off, s[0:3], 0 offset:796
	s_waitcnt vmcnt(2)
	v_add_f64 v[2:3], v[2:3], -v[12:13]
	s_waitcnt vmcnt(0)
	v_add_f64 v[0:1], v[20:21], -v[0:1]
	buffer_store_dword v3, off, s[0:3], 0 offset:788
	buffer_store_dword v2, off, s[0:3], 0 offset:784
	buffer_store_dword v1, off, s[0:3], 0 offset:796
	buffer_store_dword v0, off, s[0:3], 0 offset:792
	ds_read2_b64 v[0:3], v16 offset0:100 offset1:101
	s_waitcnt lgkmcnt(0)
	v_mul_f64 v[12:13], v[2:3], v[10:11]
	v_fma_f64 v[12:13], v[0:1], v[4:5], -v[12:13]
	v_mul_f64 v[0:1], v[0:1], v[10:11]
	v_fma_f64 v[0:1], v[2:3], v[4:5], v[0:1]
	buffer_load_dword v2, off, s[0:3], 0 offset:800
	buffer_load_dword v3, off, s[0:3], 0 offset:804
	buffer_load_dword v20, off, s[0:3], 0 offset:808
	buffer_load_dword v21, off, s[0:3], 0 offset:812
	s_waitcnt vmcnt(2)
	v_add_f64 v[2:3], v[2:3], -v[12:13]
	;; [unrolled: 18-line block ×5, first 2 shown]
	s_waitcnt vmcnt(0)
	v_add_f64 v[0:1], v[4:5], -v[0:1]
	buffer_store_dword v3, off, s[0:3], 0 offset:852
	buffer_store_dword v2, off, s[0:3], 0 offset:848
	;; [unrolled: 1-line block ×4, first 2 shown]
	ds_read2_b64 v[0:3], v16 offset0:108 offset1:109
	buffer_load_dword v4, off, s[0:3], 0 offset:656
	buffer_load_dword v5, off, s[0:3], 0 offset:660
	;; [unrolled: 1-line block ×4, first 2 shown]
	s_waitcnt vmcnt(0) lgkmcnt(0)
	v_mul_f64 v[12:13], v[2:3], v[10:11]
	v_fma_f64 v[12:13], v[0:1], v[4:5], -v[12:13]
	v_mul_f64 v[0:1], v[0:1], v[10:11]
	v_fma_f64 v[0:1], v[2:3], v[4:5], v[0:1]
	buffer_load_dword v3, off, s[0:3], 0 offset:868
	buffer_load_dword v2, off, s[0:3], 0 offset:864
	s_waitcnt vmcnt(0)
	v_add_f64 v[2:3], v[2:3], -v[12:13]
	buffer_load_dword v13, off, s[0:3], 0 offset:876
	buffer_load_dword v12, off, s[0:3], 0 offset:872
	s_waitcnt vmcnt(0)
	v_add_f64 v[0:1], v[12:13], -v[0:1]
	buffer_store_dword v3, off, s[0:3], 0 offset:868
	buffer_store_dword v2, off, s[0:3], 0 offset:864
	buffer_store_dword v1, off, s[0:3], 0 offset:876
	buffer_store_dword v0, off, s[0:3], 0 offset:872
	ds_read2_b64 v[0:3], v16 offset0:110 offset1:111
	s_waitcnt lgkmcnt(0)
	v_mul_f64 v[12:13], v[2:3], v[10:11]
	v_fma_f64 v[12:13], v[0:1], v[4:5], -v[12:13]
	v_mul_f64 v[0:1], v[0:1], v[10:11]
	v_fma_f64 v[0:1], v[2:3], v[4:5], v[0:1]
	buffer_load_dword v2, off, s[0:3], 0 offset:880
	buffer_load_dword v3, off, s[0:3], 0 offset:884
	buffer_load_dword v20, off, s[0:3], 0 offset:888
	buffer_load_dword v21, off, s[0:3], 0 offset:892
	s_waitcnt vmcnt(2)
	v_add_f64 v[2:3], v[2:3], -v[12:13]
	s_waitcnt vmcnt(0)
	v_add_f64 v[0:1], v[20:21], -v[0:1]
	buffer_store_dword v3, off, s[0:3], 0 offset:884
	buffer_store_dword v2, off, s[0:3], 0 offset:880
	buffer_store_dword v1, off, s[0:3], 0 offset:892
	buffer_store_dword v0, off, s[0:3], 0 offset:888
	ds_read2_b64 v[0:3], v16 offset0:112 offset1:113
	s_waitcnt lgkmcnt(0)
	v_mul_f64 v[12:13], v[2:3], v[10:11]
	v_fma_f64 v[12:13], v[0:1], v[4:5], -v[12:13]
	v_mul_f64 v[0:1], v[0:1], v[10:11]
	v_fma_f64 v[0:1], v[2:3], v[4:5], v[0:1]
	buffer_load_dword v2, off, s[0:3], 0 offset:896
	buffer_load_dword v3, off, s[0:3], 0 offset:900
	buffer_load_dword v20, off, s[0:3], 0 offset:904
	buffer_load_dword v21, off, s[0:3], 0 offset:908
	s_waitcnt vmcnt(2)
	v_add_f64 v[2:3], v[2:3], -v[12:13]
	;; [unrolled: 18-line block ×5, first 2 shown]
	s_waitcnt vmcnt(0)
	v_add_f64 v[0:1], v[4:5], -v[0:1]
	buffer_store_dword v3, off, s[0:3], 0 offset:948
	buffer_store_dword v2, off, s[0:3], 0 offset:944
	;; [unrolled: 1-line block ×4, first 2 shown]
	ds_read2_b64 v[0:3], v16 offset0:120 offset1:121
	buffer_load_dword v4, off, s[0:3], 0 offset:656
	buffer_load_dword v5, off, s[0:3], 0 offset:660
	buffer_load_dword v10, off, s[0:3], 0 offset:664
	buffer_load_dword v11, off, s[0:3], 0 offset:668
	s_waitcnt vmcnt(0) lgkmcnt(0)
	v_mul_f64 v[12:13], v[2:3], v[10:11]
	v_fma_f64 v[12:13], v[0:1], v[4:5], -v[12:13]
	v_mul_f64 v[0:1], v[0:1], v[10:11]
	v_fma_f64 v[0:1], v[2:3], v[4:5], v[0:1]
	buffer_load_dword v3, off, s[0:3], 0 offset:964
	buffer_load_dword v2, off, s[0:3], 0 offset:960
	s_waitcnt vmcnt(0)
	v_add_f64 v[2:3], v[2:3], -v[12:13]
	buffer_load_dword v13, off, s[0:3], 0 offset:972
	buffer_load_dword v12, off, s[0:3], 0 offset:968
	s_waitcnt vmcnt(0)
	v_add_f64 v[0:1], v[12:13], -v[0:1]
	buffer_store_dword v3, off, s[0:3], 0 offset:964
	buffer_store_dword v2, off, s[0:3], 0 offset:960
	buffer_store_dword v1, off, s[0:3], 0 offset:972
	buffer_store_dword v0, off, s[0:3], 0 offset:968
	ds_read2_b64 v[0:3], v16 offset0:122 offset1:123
	s_waitcnt lgkmcnt(0)
	v_mul_f64 v[12:13], v[2:3], v[10:11]
	v_fma_f64 v[12:13], v[0:1], v[4:5], -v[12:13]
	v_mul_f64 v[0:1], v[0:1], v[10:11]
	v_fma_f64 v[0:1], v[2:3], v[4:5], v[0:1]
	buffer_load_dword v2, off, s[0:3], 0 offset:976
	buffer_load_dword v3, off, s[0:3], 0 offset:980
	buffer_load_dword v20, off, s[0:3], 0 offset:984
	buffer_load_dword v21, off, s[0:3], 0 offset:988
	s_waitcnt vmcnt(2)
	v_add_f64 v[2:3], v[2:3], -v[12:13]
	s_waitcnt vmcnt(0)
	v_add_f64 v[0:1], v[20:21], -v[0:1]
	buffer_store_dword v3, off, s[0:3], 0 offset:980
	buffer_store_dword v2, off, s[0:3], 0 offset:976
	buffer_store_dword v1, off, s[0:3], 0 offset:988
	buffer_store_dword v0, off, s[0:3], 0 offset:984
	ds_read2_b64 v[0:3], v16 offset0:124 offset1:125
	s_waitcnt lgkmcnt(0)
	v_mul_f64 v[12:13], v[2:3], v[10:11]
	v_fma_f64 v[12:13], v[0:1], v[4:5], -v[12:13]
	v_mul_f64 v[0:1], v[0:1], v[10:11]
	v_fma_f64 v[0:1], v[2:3], v[4:5], v[0:1]
	buffer_load_dword v2, off, s[0:3], 0 offset:992
	buffer_load_dword v3, off, s[0:3], 0 offset:996
	buffer_load_dword v20, off, s[0:3], 0 offset:1000
	buffer_load_dword v21, off, s[0:3], 0 offset:1004
	s_waitcnt vmcnt(2)
	v_add_f64 v[2:3], v[2:3], -v[12:13]
	;; [unrolled: 18-line block ×3, first 2 shown]
	s_waitcnt vmcnt(0)
	v_add_f64 v[0:1], v[4:5], -v[0:1]
	buffer_store_dword v3, off, s[0:3], 0 offset:1012
	buffer_store_dword v2, off, s[0:3], 0 offset:1008
	;; [unrolled: 1-line block ×4, first 2 shown]
.LBB126_999:
	s_or_b64 exec, exec, s[4:5]
	v_mov_b32_e32 v3, s46
	s_waitcnt vmcnt(0)
	s_barrier
	buffer_load_dword v0, v3, s[0:3], 0 offen
	buffer_load_dword v1, v3, s[0:3], 0 offen offset:4
	buffer_load_dword v2, v3, s[0:3], 0 offen offset:8
	s_nop 0
	buffer_load_dword v3, v3, s[0:3], 0 offen offset:12
	v_lshl_add_u32 v4, v19, 4, v16
	s_cmp_lt_i32 s66, 44
	s_waitcnt vmcnt(0)
	ds_write2_b64 v4, v[0:1], v[2:3] offset1:1
	s_waitcnt lgkmcnt(0)
	s_barrier
	ds_read2_b64 v[0:3], v16 offset0:84 offset1:85
	v_mov_b32_e32 v4, 42
	s_cbranch_scc1 .LBB126_1002
; %bb.1000:
	v_add_u32_e32 v5, 0x2b0, v16
	s_mov_b32 s16, 43
	v_mov_b32_e32 v4, 42
.LBB126_1001:                           ; =>This Inner Loop Header: Depth=1
	s_waitcnt lgkmcnt(0)
	v_cmp_gt_f64_e32 vcc, 0, v[2:3]
	v_cmp_gt_f64_e64 s[4:5], 0, v[0:1]
	ds_read2_b64 v[10:13], v5 offset1:1
	v_xor_b32_e32 v21, 0x80000000, v1
	v_xor_b32_e32 v23, 0x80000000, v3
	v_mov_b32_e32 v20, v0
	v_mov_b32_e32 v22, v2
	s_waitcnt lgkmcnt(0)
	v_xor_b32_e32 v25, 0x80000000, v13
	v_cndmask_b32_e32 v23, v3, v23, vcc
	v_cndmask_b32_e64 v21, v1, v21, s[4:5]
	v_cmp_gt_f64_e32 vcc, 0, v[12:13]
	v_cmp_gt_f64_e64 s[4:5], 0, v[10:11]
	v_add_f64 v[20:21], v[20:21], v[22:23]
	v_xor_b32_e32 v23, 0x80000000, v11
	v_mov_b32_e32 v22, v10
	v_mov_b32_e32 v24, v12
	v_add_u32_e32 v5, 16, v5
	v_cndmask_b32_e32 v25, v13, v25, vcc
	v_cndmask_b32_e64 v23, v11, v23, s[4:5]
	v_add_f64 v[22:23], v[22:23], v[24:25]
	v_mov_b32_e32 v24, s16
	s_add_i32 s16, s16, 1
	s_cmp_lg_u32 s66, s16
	v_cmp_lt_f64_e32 vcc, v[20:21], v[22:23]
	v_cndmask_b32_e32 v1, v1, v11, vcc
	v_cndmask_b32_e32 v0, v0, v10, vcc
	;; [unrolled: 1-line block ×5, first 2 shown]
	s_cbranch_scc1 .LBB126_1001
.LBB126_1002:
	s_waitcnt lgkmcnt(0)
	v_cmp_eq_f64_e32 vcc, 0, v[0:1]
	v_cmp_eq_f64_e64 s[4:5], 0, v[2:3]
	s_and_b64 s[4:5], vcc, s[4:5]
	s_and_saveexec_b64 s[16:17], s[4:5]
	s_xor_b64 s[4:5], exec, s[16:17]
; %bb.1003:
	v_cmp_ne_u32_e32 vcc, 0, v17
	v_cndmask_b32_e32 v17, 43, v17, vcc
; %bb.1004:
	s_andn2_saveexec_b64 s[4:5], s[4:5]
	s_cbranch_execz .LBB126_1010
; %bb.1005:
	v_cmp_ngt_f64_e64 s[16:17], |v[0:1]|, |v[2:3]|
	s_and_saveexec_b64 s[18:19], s[16:17]
	s_xor_b64 s[18:19], exec, s[18:19]
	s_cbranch_execz .LBB126_1007
; %bb.1006:
	v_div_scale_f64 v[10:11], s[16:17], v[2:3], v[2:3], v[0:1]
	v_rcp_f64_e32 v[12:13], v[10:11]
	v_fma_f64 v[20:21], -v[10:11], v[12:13], 1.0
	v_fma_f64 v[12:13], v[12:13], v[20:21], v[12:13]
	v_div_scale_f64 v[20:21], vcc, v[0:1], v[2:3], v[0:1]
	v_fma_f64 v[22:23], -v[10:11], v[12:13], 1.0
	v_fma_f64 v[12:13], v[12:13], v[22:23], v[12:13]
	v_mul_f64 v[22:23], v[20:21], v[12:13]
	v_fma_f64 v[10:11], -v[10:11], v[22:23], v[20:21]
	v_div_fmas_f64 v[10:11], v[10:11], v[12:13], v[22:23]
	v_div_fixup_f64 v[10:11], v[10:11], v[2:3], v[0:1]
	v_fma_f64 v[0:1], v[0:1], v[10:11], v[2:3]
	v_div_scale_f64 v[2:3], s[16:17], v[0:1], v[0:1], 1.0
	v_div_scale_f64 v[22:23], vcc, 1.0, v[0:1], 1.0
	v_rcp_f64_e32 v[12:13], v[2:3]
	v_fma_f64 v[20:21], -v[2:3], v[12:13], 1.0
	v_fma_f64 v[12:13], v[12:13], v[20:21], v[12:13]
	v_fma_f64 v[20:21], -v[2:3], v[12:13], 1.0
	v_fma_f64 v[12:13], v[12:13], v[20:21], v[12:13]
	v_mul_f64 v[20:21], v[22:23], v[12:13]
	v_fma_f64 v[2:3], -v[2:3], v[20:21], v[22:23]
	v_div_fmas_f64 v[2:3], v[2:3], v[12:13], v[20:21]
	v_div_fixup_f64 v[2:3], v[2:3], v[0:1], 1.0
	v_mul_f64 v[0:1], v[10:11], v[2:3]
	v_xor_b32_e32 v3, 0x80000000, v3
.LBB126_1007:
	s_andn2_saveexec_b64 s[18:19], s[18:19]
	s_cbranch_execz .LBB126_1009
; %bb.1008:
	v_div_scale_f64 v[10:11], s[16:17], v[0:1], v[0:1], v[2:3]
	v_rcp_f64_e32 v[12:13], v[10:11]
	v_fma_f64 v[20:21], -v[10:11], v[12:13], 1.0
	v_fma_f64 v[12:13], v[12:13], v[20:21], v[12:13]
	v_div_scale_f64 v[20:21], vcc, v[2:3], v[0:1], v[2:3]
	v_fma_f64 v[22:23], -v[10:11], v[12:13], 1.0
	v_fma_f64 v[12:13], v[12:13], v[22:23], v[12:13]
	v_mul_f64 v[22:23], v[20:21], v[12:13]
	v_fma_f64 v[10:11], -v[10:11], v[22:23], v[20:21]
	v_div_fmas_f64 v[10:11], v[10:11], v[12:13], v[22:23]
	v_div_fixup_f64 v[10:11], v[10:11], v[0:1], v[2:3]
	v_fma_f64 v[0:1], v[2:3], v[10:11], v[0:1]
	v_div_scale_f64 v[2:3], s[16:17], v[0:1], v[0:1], 1.0
	v_div_scale_f64 v[22:23], vcc, 1.0, v[0:1], 1.0
	v_rcp_f64_e32 v[12:13], v[2:3]
	v_fma_f64 v[20:21], -v[2:3], v[12:13], 1.0
	v_fma_f64 v[12:13], v[12:13], v[20:21], v[12:13]
	v_fma_f64 v[20:21], -v[2:3], v[12:13], 1.0
	v_fma_f64 v[12:13], v[12:13], v[20:21], v[12:13]
	v_mul_f64 v[20:21], v[22:23], v[12:13]
	v_fma_f64 v[2:3], -v[2:3], v[20:21], v[22:23]
	v_div_fmas_f64 v[2:3], v[2:3], v[12:13], v[20:21]
	v_div_fixup_f64 v[0:1], v[2:3], v[0:1], 1.0
	v_mul_f64 v[2:3], v[10:11], -v[0:1]
.LBB126_1009:
	s_or_b64 exec, exec, s[18:19]
.LBB126_1010:
	s_or_b64 exec, exec, s[4:5]
	v_cmp_ne_u32_e32 vcc, v19, v4
	s_and_saveexec_b64 s[4:5], vcc
	s_xor_b64 s[4:5], exec, s[4:5]
	s_cbranch_execz .LBB126_1016
; %bb.1011:
	v_cmp_eq_u32_e32 vcc, 42, v19
	s_and_saveexec_b64 s[18:19], vcc
	s_cbranch_execz .LBB126_1015
; %bb.1012:
	v_cmp_ne_u32_e32 vcc, 42, v4
	s_xor_b64 s[16:17], s[10:11], -1
	s_and_b64 s[16:17], s[16:17], vcc
	s_and_saveexec_b64 s[24:25], s[16:17]
	s_cbranch_execz .LBB126_1014
; %bb.1013:
	v_ashrrev_i32_e32 v5, 31, v4
	v_lshlrev_b64 v[10:11], 2, v[4:5]
	v_add_co_u32_e32 v10, vcc, v8, v10
	v_addc_co_u32_e32 v11, vcc, v9, v11, vcc
	global_load_dword v5, v[10:11], off
	global_load_dword v12, v[8:9], off offset:168
	s_waitcnt vmcnt(1)
	global_store_dword v[8:9], v5, off offset:168
	s_waitcnt vmcnt(1)
	global_store_dword v[10:11], v12, off
.LBB126_1014:
	s_or_b64 exec, exec, s[24:25]
	v_mov_b32_e32 v19, v4
	v_mov_b32_e32 v18, v4
.LBB126_1015:
	s_or_b64 exec, exec, s[18:19]
.LBB126_1016:
	s_andn2_saveexec_b64 s[4:5], s[4:5]
	s_cbranch_execz .LBB126_1018
; %bb.1017:
	v_mov_b32_e32 v11, s45
	buffer_load_dword v4, v11, s[0:3], 0 offen
	buffer_load_dword v5, v11, s[0:3], 0 offen offset:4
	buffer_load_dword v10, v11, s[0:3], 0 offen offset:8
	s_nop 0
	buffer_load_dword v11, v11, s[0:3], 0 offen offset:12
	v_mov_b32_e32 v19, 42
	s_waitcnt vmcnt(0)
	ds_write2_b64 v16, v[4:5], v[10:11] offset0:86 offset1:87
	v_mov_b32_e32 v11, s44
	buffer_load_dword v4, v11, s[0:3], 0 offen
	buffer_load_dword v5, v11, s[0:3], 0 offen offset:4
	buffer_load_dword v10, v11, s[0:3], 0 offen offset:8
	s_nop 0
	buffer_load_dword v11, v11, s[0:3], 0 offen offset:12
	s_waitcnt vmcnt(0)
	ds_write2_b64 v16, v[4:5], v[10:11] offset0:88 offset1:89
	v_mov_b32_e32 v11, s43
	buffer_load_dword v4, v11, s[0:3], 0 offen
	buffer_load_dword v5, v11, s[0:3], 0 offen offset:4
	buffer_load_dword v10, v11, s[0:3], 0 offen offset:8
	s_nop 0
	buffer_load_dword v11, v11, s[0:3], 0 offen offset:12
	s_waitcnt vmcnt(0)
	ds_write2_b64 v16, v[4:5], v[10:11] offset0:90 offset1:91
	v_mov_b32_e32 v11, s42
	buffer_load_dword v4, v11, s[0:3], 0 offen
	buffer_load_dword v5, v11, s[0:3], 0 offen offset:4
	buffer_load_dword v10, v11, s[0:3], 0 offen offset:8
	s_nop 0
	buffer_load_dword v11, v11, s[0:3], 0 offen offset:12
	s_waitcnt vmcnt(0)
	ds_write2_b64 v16, v[4:5], v[10:11] offset0:92 offset1:93
	v_mov_b32_e32 v11, s41
	buffer_load_dword v4, v11, s[0:3], 0 offen
	buffer_load_dword v5, v11, s[0:3], 0 offen offset:4
	buffer_load_dword v10, v11, s[0:3], 0 offen offset:8
	s_nop 0
	buffer_load_dword v11, v11, s[0:3], 0 offen offset:12
	s_waitcnt vmcnt(0)
	ds_write2_b64 v16, v[4:5], v[10:11] offset0:94 offset1:95
	v_mov_b32_e32 v11, s40
	buffer_load_dword v4, v11, s[0:3], 0 offen
	buffer_load_dword v5, v11, s[0:3], 0 offen offset:4
	buffer_load_dword v10, v11, s[0:3], 0 offen offset:8
	s_nop 0
	buffer_load_dword v11, v11, s[0:3], 0 offen offset:12
	s_waitcnt vmcnt(0)
	ds_write2_b64 v16, v[4:5], v[10:11] offset0:96 offset1:97
	v_mov_b32_e32 v11, s39
	buffer_load_dword v4, v11, s[0:3], 0 offen
	buffer_load_dword v5, v11, s[0:3], 0 offen offset:4
	buffer_load_dword v10, v11, s[0:3], 0 offen offset:8
	s_nop 0
	buffer_load_dword v11, v11, s[0:3], 0 offen offset:12
	s_waitcnt vmcnt(0)
	ds_write2_b64 v16, v[4:5], v[10:11] offset0:98 offset1:99
	v_mov_b32_e32 v11, s38
	buffer_load_dword v4, v11, s[0:3], 0 offen
	buffer_load_dword v5, v11, s[0:3], 0 offen offset:4
	buffer_load_dword v10, v11, s[0:3], 0 offen offset:8
	s_nop 0
	buffer_load_dword v11, v11, s[0:3], 0 offen offset:12
	s_waitcnt vmcnt(0)
	ds_write2_b64 v16, v[4:5], v[10:11] offset0:100 offset1:101
	v_mov_b32_e32 v11, s37
	buffer_load_dword v4, v11, s[0:3], 0 offen
	buffer_load_dword v5, v11, s[0:3], 0 offen offset:4
	buffer_load_dword v10, v11, s[0:3], 0 offen offset:8
	s_nop 0
	buffer_load_dword v11, v11, s[0:3], 0 offen offset:12
	s_waitcnt vmcnt(0)
	ds_write2_b64 v16, v[4:5], v[10:11] offset0:102 offset1:103
	v_mov_b32_e32 v11, s36
	buffer_load_dword v4, v11, s[0:3], 0 offen
	buffer_load_dword v5, v11, s[0:3], 0 offen offset:4
	buffer_load_dword v10, v11, s[0:3], 0 offen offset:8
	s_nop 0
	buffer_load_dword v11, v11, s[0:3], 0 offen offset:12
	s_waitcnt vmcnt(0)
	ds_write2_b64 v16, v[4:5], v[10:11] offset0:104 offset1:105
	v_mov_b32_e32 v11, s35
	buffer_load_dword v4, v11, s[0:3], 0 offen
	buffer_load_dword v5, v11, s[0:3], 0 offen offset:4
	buffer_load_dword v10, v11, s[0:3], 0 offen offset:8
	s_nop 0
	buffer_load_dword v11, v11, s[0:3], 0 offen offset:12
	s_waitcnt vmcnt(0)
	ds_write2_b64 v16, v[4:5], v[10:11] offset0:106 offset1:107
	v_mov_b32_e32 v11, s34
	buffer_load_dword v4, v11, s[0:3], 0 offen
	buffer_load_dword v5, v11, s[0:3], 0 offen offset:4
	buffer_load_dword v10, v11, s[0:3], 0 offen offset:8
	s_nop 0
	buffer_load_dword v11, v11, s[0:3], 0 offen offset:12
	s_waitcnt vmcnt(0)
	ds_write2_b64 v16, v[4:5], v[10:11] offset0:108 offset1:109
	v_mov_b32_e32 v11, s33
	buffer_load_dword v4, v11, s[0:3], 0 offen
	buffer_load_dword v5, v11, s[0:3], 0 offen offset:4
	buffer_load_dword v10, v11, s[0:3], 0 offen offset:8
	s_nop 0
	buffer_load_dword v11, v11, s[0:3], 0 offen offset:12
	s_waitcnt vmcnt(0)
	ds_write2_b64 v16, v[4:5], v[10:11] offset0:110 offset1:111
	v_mov_b32_e32 v11, s31
	buffer_load_dword v4, v11, s[0:3], 0 offen
	buffer_load_dword v5, v11, s[0:3], 0 offen offset:4
	buffer_load_dword v10, v11, s[0:3], 0 offen offset:8
	s_nop 0
	buffer_load_dword v11, v11, s[0:3], 0 offen offset:12
	s_waitcnt vmcnt(0)
	ds_write2_b64 v16, v[4:5], v[10:11] offset0:112 offset1:113
	v_mov_b32_e32 v11, s30
	buffer_load_dword v4, v11, s[0:3], 0 offen
	buffer_load_dword v5, v11, s[0:3], 0 offen offset:4
	buffer_load_dword v10, v11, s[0:3], 0 offen offset:8
	s_nop 0
	buffer_load_dword v11, v11, s[0:3], 0 offen offset:12
	s_waitcnt vmcnt(0)
	ds_write2_b64 v16, v[4:5], v[10:11] offset0:114 offset1:115
	v_mov_b32_e32 v11, s29
	buffer_load_dword v4, v11, s[0:3], 0 offen
	buffer_load_dword v5, v11, s[0:3], 0 offen offset:4
	buffer_load_dword v10, v11, s[0:3], 0 offen offset:8
	s_nop 0
	buffer_load_dword v11, v11, s[0:3], 0 offen offset:12
	s_waitcnt vmcnt(0)
	ds_write2_b64 v16, v[4:5], v[10:11] offset0:116 offset1:117
	v_mov_b32_e32 v11, s28
	buffer_load_dword v4, v11, s[0:3], 0 offen
	buffer_load_dword v5, v11, s[0:3], 0 offen offset:4
	buffer_load_dword v10, v11, s[0:3], 0 offen offset:8
	s_nop 0
	buffer_load_dword v11, v11, s[0:3], 0 offen offset:12
	s_waitcnt vmcnt(0)
	ds_write2_b64 v16, v[4:5], v[10:11] offset0:118 offset1:119
	v_mov_b32_e32 v11, s27
	buffer_load_dword v4, v11, s[0:3], 0 offen
	buffer_load_dword v5, v11, s[0:3], 0 offen offset:4
	buffer_load_dword v10, v11, s[0:3], 0 offen offset:8
	s_nop 0
	buffer_load_dword v11, v11, s[0:3], 0 offen offset:12
	s_waitcnt vmcnt(0)
	ds_write2_b64 v16, v[4:5], v[10:11] offset0:120 offset1:121
	v_mov_b32_e32 v11, s26
	buffer_load_dword v4, v11, s[0:3], 0 offen
	buffer_load_dword v5, v11, s[0:3], 0 offen offset:4
	buffer_load_dword v10, v11, s[0:3], 0 offen offset:8
	s_nop 0
	buffer_load_dword v11, v11, s[0:3], 0 offen offset:12
	s_waitcnt vmcnt(0)
	ds_write2_b64 v16, v[4:5], v[10:11] offset0:122 offset1:123
	v_mov_b32_e32 v11, s20
	buffer_load_dword v4, v11, s[0:3], 0 offen
	buffer_load_dword v5, v11, s[0:3], 0 offen offset:4
	buffer_load_dword v10, v11, s[0:3], 0 offen offset:8
	s_nop 0
	buffer_load_dword v11, v11, s[0:3], 0 offen offset:12
	s_waitcnt vmcnt(0)
	ds_write2_b64 v16, v[4:5], v[10:11] offset0:124 offset1:125
	v_mov_b32_e32 v11, s7
	buffer_load_dword v4, v11, s[0:3], 0 offen
	buffer_load_dword v5, v11, s[0:3], 0 offen offset:4
	buffer_load_dword v10, v11, s[0:3], 0 offen offset:8
	s_nop 0
	buffer_load_dword v11, v11, s[0:3], 0 offen offset:12
	s_waitcnt vmcnt(0)
	ds_write2_b64 v16, v[4:5], v[10:11] offset0:126 offset1:127
.LBB126_1018:
	s_or_b64 exec, exec, s[4:5]
	v_cmp_lt_i32_e32 vcc, 42, v19
	s_waitcnt vmcnt(0) lgkmcnt(0)
	s_barrier
	s_and_saveexec_b64 s[4:5], vcc
	s_cbranch_execz .LBB126_1020
; %bb.1019:
	buffer_load_dword v4, off, s[0:3], 0 offset:672
	buffer_load_dword v5, off, s[0:3], 0 offset:676
	;; [unrolled: 1-line block ×16, first 2 shown]
	s_waitcnt vmcnt(12)
	v_mul_f64 v[30:31], v[2:3], v[10:11]
	v_fma_f64 v[30:31], v[0:1], v[4:5], -v[30:31]
	v_mul_f64 v[0:1], v[0:1], v[10:11]
	v_fma_f64 v[4:5], v[2:3], v[4:5], v[0:1]
	buffer_store_dword v30, off, s[0:3], 0 offset:672
	buffer_store_dword v31, off, s[0:3], 0 offset:676
	buffer_store_dword v4, off, s[0:3], 0 offset:680
	buffer_store_dword v5, off, s[0:3], 0 offset:684
	ds_read2_b64 v[0:3], v16 offset0:86 offset1:87
	s_waitcnt lgkmcnt(0)
	v_mul_f64 v[10:11], v[2:3], v[4:5]
	v_fma_f64 v[10:11], v[0:1], v[30:31], -v[10:11]
	v_mul_f64 v[0:1], v[0:1], v[4:5]
	v_fma_f64 v[0:1], v[2:3], v[30:31], v[0:1]
	s_waitcnt vmcnt(14)
	v_add_f64 v[2:3], v[12:13], -v[10:11]
	s_waitcnt vmcnt(12)
	v_add_f64 v[0:1], v[20:21], -v[0:1]
	buffer_store_dword v2, off, s[0:3], 0 offset:688
	buffer_store_dword v3, off, s[0:3], 0 offset:692
	buffer_store_dword v0, off, s[0:3], 0 offset:696
	buffer_store_dword v1, off, s[0:3], 0 offset:700
	ds_read2_b64 v[0:3], v16 offset0:88 offset1:89
	s_waitcnt lgkmcnt(0)
	v_mul_f64 v[10:11], v[2:3], v[4:5]
	v_fma_f64 v[10:11], v[0:1], v[30:31], -v[10:11]
	v_mul_f64 v[0:1], v[0:1], v[4:5]
	v_fma_f64 v[0:1], v[2:3], v[30:31], v[0:1]
	s_waitcnt vmcnt(14)
	v_add_f64 v[2:3], v[22:23], -v[10:11]
	s_waitcnt vmcnt(12)
	v_add_f64 v[0:1], v[24:25], -v[0:1]
	;; [unrolled: 14-line block ×3, first 2 shown]
	buffer_store_dword v3, off, s[0:3], 0 offset:724
	buffer_store_dword v2, off, s[0:3], 0 offset:720
	buffer_store_dword v0, off, s[0:3], 0 offset:728
	buffer_store_dword v1, off, s[0:3], 0 offset:732
	ds_read2_b64 v[0:3], v16 offset0:92 offset1:93
	s_waitcnt lgkmcnt(0)
	v_mul_f64 v[10:11], v[2:3], v[4:5]
	v_fma_f64 v[10:11], v[0:1], v[30:31], -v[10:11]
	v_mul_f64 v[0:1], v[0:1], v[4:5]
	v_fma_f64 v[0:1], v[2:3], v[30:31], v[0:1]
	buffer_load_dword v2, off, s[0:3], 0 offset:736
	buffer_load_dword v3, off, s[0:3], 0 offset:740
	buffer_load_dword v12, off, s[0:3], 0 offset:744
	buffer_load_dword v13, off, s[0:3], 0 offset:748
	s_waitcnt vmcnt(2)
	v_add_f64 v[2:3], v[2:3], -v[10:11]
	s_waitcnt vmcnt(0)
	v_add_f64 v[0:1], v[12:13], -v[0:1]
	buffer_store_dword v3, off, s[0:3], 0 offset:740
	buffer_store_dword v2, off, s[0:3], 0 offset:736
	buffer_store_dword v1, off, s[0:3], 0 offset:748
	buffer_store_dword v0, off, s[0:3], 0 offset:744
	ds_read2_b64 v[0:3], v16 offset0:94 offset1:95
	s_waitcnt lgkmcnt(0)
	v_mul_f64 v[10:11], v[2:3], v[4:5]
	v_fma_f64 v[10:11], v[0:1], v[30:31], -v[10:11]
	v_mul_f64 v[0:1], v[0:1], v[4:5]
	v_fma_f64 v[0:1], v[2:3], v[30:31], v[0:1]
	buffer_load_dword v2, off, s[0:3], 0 offset:752
	buffer_load_dword v3, off, s[0:3], 0 offset:756
	buffer_load_dword v12, off, s[0:3], 0 offset:760
	buffer_load_dword v13, off, s[0:3], 0 offset:764
	s_waitcnt vmcnt(2)
	v_add_f64 v[2:3], v[2:3], -v[10:11]
	s_waitcnt vmcnt(0)
	v_add_f64 v[0:1], v[12:13], -v[0:1]
	;; [unrolled: 18-line block ×3, first 2 shown]
	buffer_store_dword v3, off, s[0:3], 0 offset:772
	buffer_store_dword v2, off, s[0:3], 0 offset:768
	;; [unrolled: 1-line block ×4, first 2 shown]
	ds_read2_b64 v[0:3], v16 offset0:98 offset1:99
	buffer_load_dword v4, off, s[0:3], 0 offset:672
	buffer_load_dword v5, off, s[0:3], 0 offset:676
	buffer_load_dword v10, off, s[0:3], 0 offset:680
	buffer_load_dword v11, off, s[0:3], 0 offset:684
	s_waitcnt vmcnt(0) lgkmcnt(0)
	v_mul_f64 v[12:13], v[2:3], v[10:11]
	v_fma_f64 v[12:13], v[0:1], v[4:5], -v[12:13]
	v_mul_f64 v[0:1], v[0:1], v[10:11]
	v_fma_f64 v[0:1], v[2:3], v[4:5], v[0:1]
	buffer_load_dword v3, off, s[0:3], 0 offset:788
	buffer_load_dword v2, off, s[0:3], 0 offset:784
	s_waitcnt vmcnt(0)
	v_add_f64 v[2:3], v[2:3], -v[12:13]
	buffer_load_dword v13, off, s[0:3], 0 offset:796
	buffer_load_dword v12, off, s[0:3], 0 offset:792
	s_waitcnt vmcnt(0)
	v_add_f64 v[0:1], v[12:13], -v[0:1]
	buffer_store_dword v3, off, s[0:3], 0 offset:788
	buffer_store_dword v2, off, s[0:3], 0 offset:784
	buffer_store_dword v1, off, s[0:3], 0 offset:796
	buffer_store_dword v0, off, s[0:3], 0 offset:792
	ds_read2_b64 v[0:3], v16 offset0:100 offset1:101
	s_waitcnt lgkmcnt(0)
	v_mul_f64 v[12:13], v[2:3], v[10:11]
	v_fma_f64 v[12:13], v[0:1], v[4:5], -v[12:13]
	v_mul_f64 v[0:1], v[0:1], v[10:11]
	v_fma_f64 v[0:1], v[2:3], v[4:5], v[0:1]
	buffer_load_dword v2, off, s[0:3], 0 offset:800
	buffer_load_dword v3, off, s[0:3], 0 offset:804
	buffer_load_dword v20, off, s[0:3], 0 offset:808
	buffer_load_dword v21, off, s[0:3], 0 offset:812
	s_waitcnt vmcnt(2)
	v_add_f64 v[2:3], v[2:3], -v[12:13]
	s_waitcnt vmcnt(0)
	v_add_f64 v[0:1], v[20:21], -v[0:1]
	buffer_store_dword v3, off, s[0:3], 0 offset:804
	buffer_store_dword v2, off, s[0:3], 0 offset:800
	buffer_store_dword v1, off, s[0:3], 0 offset:812
	buffer_store_dword v0, off, s[0:3], 0 offset:808
	ds_read2_b64 v[0:3], v16 offset0:102 offset1:103
	s_waitcnt lgkmcnt(0)
	v_mul_f64 v[12:13], v[2:3], v[10:11]
	v_fma_f64 v[12:13], v[0:1], v[4:5], -v[12:13]
	v_mul_f64 v[0:1], v[0:1], v[10:11]
	v_fma_f64 v[0:1], v[2:3], v[4:5], v[0:1]
	buffer_load_dword v2, off, s[0:3], 0 offset:816
	buffer_load_dword v3, off, s[0:3], 0 offset:820
	buffer_load_dword v20, off, s[0:3], 0 offset:824
	buffer_load_dword v21, off, s[0:3], 0 offset:828
	s_waitcnt vmcnt(2)
	v_add_f64 v[2:3], v[2:3], -v[12:13]
	;; [unrolled: 18-line block ×5, first 2 shown]
	s_waitcnt vmcnt(0)
	v_add_f64 v[0:1], v[4:5], -v[0:1]
	buffer_store_dword v3, off, s[0:3], 0 offset:868
	buffer_store_dword v2, off, s[0:3], 0 offset:864
	;; [unrolled: 1-line block ×4, first 2 shown]
	ds_read2_b64 v[0:3], v16 offset0:110 offset1:111
	buffer_load_dword v4, off, s[0:3], 0 offset:672
	buffer_load_dword v5, off, s[0:3], 0 offset:676
	;; [unrolled: 1-line block ×4, first 2 shown]
	s_waitcnt vmcnt(0) lgkmcnt(0)
	v_mul_f64 v[12:13], v[2:3], v[10:11]
	v_fma_f64 v[12:13], v[0:1], v[4:5], -v[12:13]
	v_mul_f64 v[0:1], v[0:1], v[10:11]
	v_fma_f64 v[0:1], v[2:3], v[4:5], v[0:1]
	buffer_load_dword v3, off, s[0:3], 0 offset:884
	buffer_load_dword v2, off, s[0:3], 0 offset:880
	s_waitcnt vmcnt(0)
	v_add_f64 v[2:3], v[2:3], -v[12:13]
	buffer_load_dword v13, off, s[0:3], 0 offset:892
	buffer_load_dword v12, off, s[0:3], 0 offset:888
	s_waitcnt vmcnt(0)
	v_add_f64 v[0:1], v[12:13], -v[0:1]
	buffer_store_dword v3, off, s[0:3], 0 offset:884
	buffer_store_dword v2, off, s[0:3], 0 offset:880
	buffer_store_dword v1, off, s[0:3], 0 offset:892
	buffer_store_dword v0, off, s[0:3], 0 offset:888
	ds_read2_b64 v[0:3], v16 offset0:112 offset1:113
	s_waitcnt lgkmcnt(0)
	v_mul_f64 v[12:13], v[2:3], v[10:11]
	v_fma_f64 v[12:13], v[0:1], v[4:5], -v[12:13]
	v_mul_f64 v[0:1], v[0:1], v[10:11]
	v_fma_f64 v[0:1], v[2:3], v[4:5], v[0:1]
	buffer_load_dword v2, off, s[0:3], 0 offset:896
	buffer_load_dword v3, off, s[0:3], 0 offset:900
	buffer_load_dword v20, off, s[0:3], 0 offset:904
	buffer_load_dword v21, off, s[0:3], 0 offset:908
	s_waitcnt vmcnt(2)
	v_add_f64 v[2:3], v[2:3], -v[12:13]
	s_waitcnt vmcnt(0)
	v_add_f64 v[0:1], v[20:21], -v[0:1]
	buffer_store_dword v3, off, s[0:3], 0 offset:900
	buffer_store_dword v2, off, s[0:3], 0 offset:896
	buffer_store_dword v1, off, s[0:3], 0 offset:908
	buffer_store_dword v0, off, s[0:3], 0 offset:904
	ds_read2_b64 v[0:3], v16 offset0:114 offset1:115
	s_waitcnt lgkmcnt(0)
	v_mul_f64 v[12:13], v[2:3], v[10:11]
	v_fma_f64 v[12:13], v[0:1], v[4:5], -v[12:13]
	v_mul_f64 v[0:1], v[0:1], v[10:11]
	v_fma_f64 v[0:1], v[2:3], v[4:5], v[0:1]
	buffer_load_dword v2, off, s[0:3], 0 offset:912
	buffer_load_dword v3, off, s[0:3], 0 offset:916
	buffer_load_dword v20, off, s[0:3], 0 offset:920
	buffer_load_dword v21, off, s[0:3], 0 offset:924
	s_waitcnt vmcnt(2)
	v_add_f64 v[2:3], v[2:3], -v[12:13]
	;; [unrolled: 18-line block ×5, first 2 shown]
	s_waitcnt vmcnt(0)
	v_add_f64 v[0:1], v[4:5], -v[0:1]
	buffer_store_dword v3, off, s[0:3], 0 offset:964
	buffer_store_dword v2, off, s[0:3], 0 offset:960
	;; [unrolled: 1-line block ×4, first 2 shown]
	ds_read2_b64 v[0:3], v16 offset0:122 offset1:123
	buffer_load_dword v4, off, s[0:3], 0 offset:672
	buffer_load_dword v5, off, s[0:3], 0 offset:676
	;; [unrolled: 1-line block ×4, first 2 shown]
	s_waitcnt vmcnt(0) lgkmcnt(0)
	v_mul_f64 v[12:13], v[2:3], v[10:11]
	v_fma_f64 v[12:13], v[0:1], v[4:5], -v[12:13]
	v_mul_f64 v[0:1], v[0:1], v[10:11]
	v_fma_f64 v[0:1], v[2:3], v[4:5], v[0:1]
	buffer_load_dword v3, off, s[0:3], 0 offset:980
	buffer_load_dword v2, off, s[0:3], 0 offset:976
	s_waitcnt vmcnt(0)
	v_add_f64 v[2:3], v[2:3], -v[12:13]
	buffer_load_dword v13, off, s[0:3], 0 offset:988
	buffer_load_dword v12, off, s[0:3], 0 offset:984
	s_waitcnt vmcnt(0)
	v_add_f64 v[0:1], v[12:13], -v[0:1]
	buffer_store_dword v3, off, s[0:3], 0 offset:980
	buffer_store_dword v2, off, s[0:3], 0 offset:976
	;; [unrolled: 1-line block ×4, first 2 shown]
	ds_read2_b64 v[0:3], v16 offset0:124 offset1:125
	s_waitcnt lgkmcnt(0)
	v_mul_f64 v[12:13], v[2:3], v[10:11]
	v_fma_f64 v[12:13], v[0:1], v[4:5], -v[12:13]
	v_mul_f64 v[0:1], v[0:1], v[10:11]
	v_fma_f64 v[0:1], v[2:3], v[4:5], v[0:1]
	buffer_load_dword v2, off, s[0:3], 0 offset:992
	buffer_load_dword v3, off, s[0:3], 0 offset:996
	;; [unrolled: 1-line block ×4, first 2 shown]
	s_waitcnt vmcnt(2)
	v_add_f64 v[2:3], v[2:3], -v[12:13]
	s_waitcnt vmcnt(0)
	v_add_f64 v[0:1], v[20:21], -v[0:1]
	buffer_store_dword v3, off, s[0:3], 0 offset:996
	buffer_store_dword v2, off, s[0:3], 0 offset:992
	;; [unrolled: 1-line block ×4, first 2 shown]
	ds_read2_b64 v[0:3], v16 offset0:126 offset1:127
	s_waitcnt lgkmcnt(0)
	v_mul_f64 v[12:13], v[2:3], v[10:11]
	v_fma_f64 v[12:13], v[0:1], v[4:5], -v[12:13]
	v_mul_f64 v[0:1], v[0:1], v[10:11]
	v_fma_f64 v[0:1], v[2:3], v[4:5], v[0:1]
	buffer_load_dword v2, off, s[0:3], 0 offset:1008
	buffer_load_dword v3, off, s[0:3], 0 offset:1012
	;; [unrolled: 1-line block ×4, first 2 shown]
	s_waitcnt vmcnt(2)
	v_add_f64 v[2:3], v[2:3], -v[12:13]
	s_waitcnt vmcnt(0)
	v_add_f64 v[0:1], v[4:5], -v[0:1]
	buffer_store_dword v3, off, s[0:3], 0 offset:1012
	buffer_store_dword v2, off, s[0:3], 0 offset:1008
	;; [unrolled: 1-line block ×4, first 2 shown]
.LBB126_1020:
	s_or_b64 exec, exec, s[4:5]
	v_mov_b32_e32 v3, s45
	s_waitcnt vmcnt(0)
	s_barrier
	buffer_load_dword v0, v3, s[0:3], 0 offen
	buffer_load_dword v1, v3, s[0:3], 0 offen offset:4
	buffer_load_dword v2, v3, s[0:3], 0 offen offset:8
	s_nop 0
	buffer_load_dword v3, v3, s[0:3], 0 offen offset:12
	v_lshl_add_u32 v4, v19, 4, v16
	s_cmp_lt_i32 s66, 45
	s_waitcnt vmcnt(0)
	ds_write2_b64 v4, v[0:1], v[2:3] offset1:1
	s_waitcnt lgkmcnt(0)
	s_barrier
	ds_read2_b64 v[0:3], v16 offset0:86 offset1:87
	v_mov_b32_e32 v4, 43
	s_cbranch_scc1 .LBB126_1023
; %bb.1021:
	v_add_u32_e32 v5, 0x2c0, v16
	s_mov_b32 s16, 44
	v_mov_b32_e32 v4, 43
.LBB126_1022:                           ; =>This Inner Loop Header: Depth=1
	s_waitcnt lgkmcnt(0)
	v_cmp_gt_f64_e32 vcc, 0, v[2:3]
	v_cmp_gt_f64_e64 s[4:5], 0, v[0:1]
	ds_read2_b64 v[10:13], v5 offset1:1
	v_xor_b32_e32 v21, 0x80000000, v1
	v_xor_b32_e32 v23, 0x80000000, v3
	v_mov_b32_e32 v20, v0
	v_mov_b32_e32 v22, v2
	s_waitcnt lgkmcnt(0)
	v_xor_b32_e32 v25, 0x80000000, v13
	v_cndmask_b32_e32 v23, v3, v23, vcc
	v_cndmask_b32_e64 v21, v1, v21, s[4:5]
	v_cmp_gt_f64_e32 vcc, 0, v[12:13]
	v_cmp_gt_f64_e64 s[4:5], 0, v[10:11]
	v_add_f64 v[20:21], v[20:21], v[22:23]
	v_xor_b32_e32 v23, 0x80000000, v11
	v_mov_b32_e32 v22, v10
	v_mov_b32_e32 v24, v12
	v_add_u32_e32 v5, 16, v5
	v_cndmask_b32_e32 v25, v13, v25, vcc
	v_cndmask_b32_e64 v23, v11, v23, s[4:5]
	v_add_f64 v[22:23], v[22:23], v[24:25]
	v_mov_b32_e32 v24, s16
	s_add_i32 s16, s16, 1
	s_cmp_lg_u32 s66, s16
	v_cmp_lt_f64_e32 vcc, v[20:21], v[22:23]
	v_cndmask_b32_e32 v1, v1, v11, vcc
	v_cndmask_b32_e32 v0, v0, v10, vcc
	;; [unrolled: 1-line block ×5, first 2 shown]
	s_cbranch_scc1 .LBB126_1022
.LBB126_1023:
	s_waitcnt lgkmcnt(0)
	v_cmp_eq_f64_e32 vcc, 0, v[0:1]
	v_cmp_eq_f64_e64 s[4:5], 0, v[2:3]
	s_and_b64 s[4:5], vcc, s[4:5]
	s_and_saveexec_b64 s[16:17], s[4:5]
	s_xor_b64 s[4:5], exec, s[16:17]
; %bb.1024:
	v_cmp_ne_u32_e32 vcc, 0, v17
	v_cndmask_b32_e32 v17, 44, v17, vcc
; %bb.1025:
	s_andn2_saveexec_b64 s[4:5], s[4:5]
	s_cbranch_execz .LBB126_1031
; %bb.1026:
	v_cmp_ngt_f64_e64 s[16:17], |v[0:1]|, |v[2:3]|
	s_and_saveexec_b64 s[18:19], s[16:17]
	s_xor_b64 s[18:19], exec, s[18:19]
	s_cbranch_execz .LBB126_1028
; %bb.1027:
	v_div_scale_f64 v[10:11], s[16:17], v[2:3], v[2:3], v[0:1]
	v_rcp_f64_e32 v[12:13], v[10:11]
	v_fma_f64 v[20:21], -v[10:11], v[12:13], 1.0
	v_fma_f64 v[12:13], v[12:13], v[20:21], v[12:13]
	v_div_scale_f64 v[20:21], vcc, v[0:1], v[2:3], v[0:1]
	v_fma_f64 v[22:23], -v[10:11], v[12:13], 1.0
	v_fma_f64 v[12:13], v[12:13], v[22:23], v[12:13]
	v_mul_f64 v[22:23], v[20:21], v[12:13]
	v_fma_f64 v[10:11], -v[10:11], v[22:23], v[20:21]
	v_div_fmas_f64 v[10:11], v[10:11], v[12:13], v[22:23]
	v_div_fixup_f64 v[10:11], v[10:11], v[2:3], v[0:1]
	v_fma_f64 v[0:1], v[0:1], v[10:11], v[2:3]
	v_div_scale_f64 v[2:3], s[16:17], v[0:1], v[0:1], 1.0
	v_div_scale_f64 v[22:23], vcc, 1.0, v[0:1], 1.0
	v_rcp_f64_e32 v[12:13], v[2:3]
	v_fma_f64 v[20:21], -v[2:3], v[12:13], 1.0
	v_fma_f64 v[12:13], v[12:13], v[20:21], v[12:13]
	v_fma_f64 v[20:21], -v[2:3], v[12:13], 1.0
	v_fma_f64 v[12:13], v[12:13], v[20:21], v[12:13]
	v_mul_f64 v[20:21], v[22:23], v[12:13]
	v_fma_f64 v[2:3], -v[2:3], v[20:21], v[22:23]
	v_div_fmas_f64 v[2:3], v[2:3], v[12:13], v[20:21]
	v_div_fixup_f64 v[2:3], v[2:3], v[0:1], 1.0
	v_mul_f64 v[0:1], v[10:11], v[2:3]
	v_xor_b32_e32 v3, 0x80000000, v3
.LBB126_1028:
	s_andn2_saveexec_b64 s[18:19], s[18:19]
	s_cbranch_execz .LBB126_1030
; %bb.1029:
	v_div_scale_f64 v[10:11], s[16:17], v[0:1], v[0:1], v[2:3]
	v_rcp_f64_e32 v[12:13], v[10:11]
	v_fma_f64 v[20:21], -v[10:11], v[12:13], 1.0
	v_fma_f64 v[12:13], v[12:13], v[20:21], v[12:13]
	v_div_scale_f64 v[20:21], vcc, v[2:3], v[0:1], v[2:3]
	v_fma_f64 v[22:23], -v[10:11], v[12:13], 1.0
	v_fma_f64 v[12:13], v[12:13], v[22:23], v[12:13]
	v_mul_f64 v[22:23], v[20:21], v[12:13]
	v_fma_f64 v[10:11], -v[10:11], v[22:23], v[20:21]
	v_div_fmas_f64 v[10:11], v[10:11], v[12:13], v[22:23]
	v_div_fixup_f64 v[10:11], v[10:11], v[0:1], v[2:3]
	v_fma_f64 v[0:1], v[2:3], v[10:11], v[0:1]
	v_div_scale_f64 v[2:3], s[16:17], v[0:1], v[0:1], 1.0
	v_div_scale_f64 v[22:23], vcc, 1.0, v[0:1], 1.0
	v_rcp_f64_e32 v[12:13], v[2:3]
	v_fma_f64 v[20:21], -v[2:3], v[12:13], 1.0
	v_fma_f64 v[12:13], v[12:13], v[20:21], v[12:13]
	v_fma_f64 v[20:21], -v[2:3], v[12:13], 1.0
	v_fma_f64 v[12:13], v[12:13], v[20:21], v[12:13]
	v_mul_f64 v[20:21], v[22:23], v[12:13]
	v_fma_f64 v[2:3], -v[2:3], v[20:21], v[22:23]
	v_div_fmas_f64 v[2:3], v[2:3], v[12:13], v[20:21]
	v_div_fixup_f64 v[0:1], v[2:3], v[0:1], 1.0
	v_mul_f64 v[2:3], v[10:11], -v[0:1]
.LBB126_1030:
	s_or_b64 exec, exec, s[18:19]
.LBB126_1031:
	s_or_b64 exec, exec, s[4:5]
	v_cmp_ne_u32_e32 vcc, v19, v4
	s_and_saveexec_b64 s[4:5], vcc
	s_xor_b64 s[4:5], exec, s[4:5]
	s_cbranch_execz .LBB126_1037
; %bb.1032:
	v_cmp_eq_u32_e32 vcc, 43, v19
	s_and_saveexec_b64 s[18:19], vcc
	s_cbranch_execz .LBB126_1036
; %bb.1033:
	v_cmp_ne_u32_e32 vcc, 43, v4
	s_xor_b64 s[16:17], s[10:11], -1
	s_and_b64 s[16:17], s[16:17], vcc
	s_and_saveexec_b64 s[24:25], s[16:17]
	s_cbranch_execz .LBB126_1035
; %bb.1034:
	v_ashrrev_i32_e32 v5, 31, v4
	v_lshlrev_b64 v[10:11], 2, v[4:5]
	v_add_co_u32_e32 v10, vcc, v8, v10
	v_addc_co_u32_e32 v11, vcc, v9, v11, vcc
	global_load_dword v5, v[10:11], off
	global_load_dword v12, v[8:9], off offset:172
	s_waitcnt vmcnt(1)
	global_store_dword v[8:9], v5, off offset:172
	s_waitcnt vmcnt(1)
	global_store_dword v[10:11], v12, off
.LBB126_1035:
	s_or_b64 exec, exec, s[24:25]
	v_mov_b32_e32 v19, v4
	v_mov_b32_e32 v18, v4
.LBB126_1036:
	s_or_b64 exec, exec, s[18:19]
.LBB126_1037:
	s_andn2_saveexec_b64 s[4:5], s[4:5]
	s_cbranch_execz .LBB126_1039
; %bb.1038:
	v_mov_b32_e32 v11, s44
	buffer_load_dword v4, v11, s[0:3], 0 offen
	buffer_load_dword v5, v11, s[0:3], 0 offen offset:4
	buffer_load_dword v10, v11, s[0:3], 0 offen offset:8
	s_nop 0
	buffer_load_dword v11, v11, s[0:3], 0 offen offset:12
	v_mov_b32_e32 v19, 43
	s_waitcnt vmcnt(0)
	ds_write2_b64 v16, v[4:5], v[10:11] offset0:88 offset1:89
	v_mov_b32_e32 v11, s43
	buffer_load_dword v4, v11, s[0:3], 0 offen
	buffer_load_dword v5, v11, s[0:3], 0 offen offset:4
	buffer_load_dword v10, v11, s[0:3], 0 offen offset:8
	s_nop 0
	buffer_load_dword v11, v11, s[0:3], 0 offen offset:12
	s_waitcnt vmcnt(0)
	ds_write2_b64 v16, v[4:5], v[10:11] offset0:90 offset1:91
	v_mov_b32_e32 v11, s42
	buffer_load_dword v4, v11, s[0:3], 0 offen
	buffer_load_dword v5, v11, s[0:3], 0 offen offset:4
	buffer_load_dword v10, v11, s[0:3], 0 offen offset:8
	s_nop 0
	buffer_load_dword v11, v11, s[0:3], 0 offen offset:12
	;; [unrolled: 8-line block ×19, first 2 shown]
	s_waitcnt vmcnt(0)
	ds_write2_b64 v16, v[4:5], v[10:11] offset0:126 offset1:127
.LBB126_1039:
	s_or_b64 exec, exec, s[4:5]
	v_cmp_lt_i32_e32 vcc, 43, v19
	s_waitcnt vmcnt(0) lgkmcnt(0)
	s_barrier
	s_and_saveexec_b64 s[4:5], vcc
	s_cbranch_execz .LBB126_1041
; %bb.1040:
	buffer_load_dword v4, off, s[0:3], 0 offset:688
	buffer_load_dword v5, off, s[0:3], 0 offset:692
	;; [unrolled: 1-line block ×16, first 2 shown]
	s_waitcnt vmcnt(12)
	v_mul_f64 v[30:31], v[2:3], v[10:11]
	v_fma_f64 v[30:31], v[0:1], v[4:5], -v[30:31]
	v_mul_f64 v[0:1], v[0:1], v[10:11]
	v_fma_f64 v[4:5], v[2:3], v[4:5], v[0:1]
	buffer_store_dword v30, off, s[0:3], 0 offset:688
	buffer_store_dword v31, off, s[0:3], 0 offset:692
	buffer_store_dword v4, off, s[0:3], 0 offset:696
	buffer_store_dword v5, off, s[0:3], 0 offset:700
	ds_read2_b64 v[0:3], v16 offset0:88 offset1:89
	s_waitcnt lgkmcnt(0)
	v_mul_f64 v[10:11], v[2:3], v[4:5]
	v_fma_f64 v[10:11], v[0:1], v[30:31], -v[10:11]
	v_mul_f64 v[0:1], v[0:1], v[4:5]
	v_fma_f64 v[0:1], v[2:3], v[30:31], v[0:1]
	s_waitcnt vmcnt(14)
	v_add_f64 v[2:3], v[12:13], -v[10:11]
	s_waitcnt vmcnt(12)
	v_add_f64 v[0:1], v[20:21], -v[0:1]
	buffer_store_dword v2, off, s[0:3], 0 offset:704
	buffer_store_dword v3, off, s[0:3], 0 offset:708
	buffer_store_dword v0, off, s[0:3], 0 offset:712
	buffer_store_dword v1, off, s[0:3], 0 offset:716
	ds_read2_b64 v[0:3], v16 offset0:90 offset1:91
	s_waitcnt lgkmcnt(0)
	v_mul_f64 v[10:11], v[2:3], v[4:5]
	v_fma_f64 v[10:11], v[0:1], v[30:31], -v[10:11]
	v_mul_f64 v[0:1], v[0:1], v[4:5]
	v_fma_f64 v[0:1], v[2:3], v[30:31], v[0:1]
	s_waitcnt vmcnt(14)
	v_add_f64 v[2:3], v[22:23], -v[10:11]
	s_waitcnt vmcnt(12)
	v_add_f64 v[0:1], v[24:25], -v[0:1]
	;; [unrolled: 14-line block ×3, first 2 shown]
	buffer_store_dword v3, off, s[0:3], 0 offset:740
	buffer_store_dword v2, off, s[0:3], 0 offset:736
	buffer_store_dword v0, off, s[0:3], 0 offset:744
	buffer_store_dword v1, off, s[0:3], 0 offset:748
	ds_read2_b64 v[0:3], v16 offset0:94 offset1:95
	s_waitcnt lgkmcnt(0)
	v_mul_f64 v[10:11], v[2:3], v[4:5]
	v_fma_f64 v[10:11], v[0:1], v[30:31], -v[10:11]
	v_mul_f64 v[0:1], v[0:1], v[4:5]
	v_fma_f64 v[0:1], v[2:3], v[30:31], v[0:1]
	buffer_load_dword v2, off, s[0:3], 0 offset:752
	buffer_load_dword v3, off, s[0:3], 0 offset:756
	buffer_load_dword v12, off, s[0:3], 0 offset:760
	buffer_load_dword v13, off, s[0:3], 0 offset:764
	s_waitcnt vmcnt(2)
	v_add_f64 v[2:3], v[2:3], -v[10:11]
	s_waitcnt vmcnt(0)
	v_add_f64 v[0:1], v[12:13], -v[0:1]
	buffer_store_dword v3, off, s[0:3], 0 offset:756
	buffer_store_dword v2, off, s[0:3], 0 offset:752
	buffer_store_dword v1, off, s[0:3], 0 offset:764
	buffer_store_dword v0, off, s[0:3], 0 offset:760
	ds_read2_b64 v[0:3], v16 offset0:96 offset1:97
	s_waitcnt lgkmcnt(0)
	v_mul_f64 v[10:11], v[2:3], v[4:5]
	v_fma_f64 v[10:11], v[0:1], v[30:31], -v[10:11]
	v_mul_f64 v[0:1], v[0:1], v[4:5]
	v_fma_f64 v[0:1], v[2:3], v[30:31], v[0:1]
	buffer_load_dword v2, off, s[0:3], 0 offset:768
	buffer_load_dword v3, off, s[0:3], 0 offset:772
	buffer_load_dword v12, off, s[0:3], 0 offset:776
	buffer_load_dword v13, off, s[0:3], 0 offset:780
	s_waitcnt vmcnt(2)
	v_add_f64 v[2:3], v[2:3], -v[10:11]
	s_waitcnt vmcnt(0)
	v_add_f64 v[0:1], v[12:13], -v[0:1]
	;; [unrolled: 18-line block ×3, first 2 shown]
	buffer_store_dword v3, off, s[0:3], 0 offset:788
	buffer_store_dword v2, off, s[0:3], 0 offset:784
	;; [unrolled: 1-line block ×4, first 2 shown]
	ds_read2_b64 v[0:3], v16 offset0:100 offset1:101
	buffer_load_dword v4, off, s[0:3], 0 offset:688
	buffer_load_dword v5, off, s[0:3], 0 offset:692
	;; [unrolled: 1-line block ×4, first 2 shown]
	s_waitcnt vmcnt(0) lgkmcnt(0)
	v_mul_f64 v[12:13], v[2:3], v[10:11]
	v_fma_f64 v[12:13], v[0:1], v[4:5], -v[12:13]
	v_mul_f64 v[0:1], v[0:1], v[10:11]
	v_fma_f64 v[0:1], v[2:3], v[4:5], v[0:1]
	buffer_load_dword v3, off, s[0:3], 0 offset:804
	buffer_load_dword v2, off, s[0:3], 0 offset:800
	s_waitcnt vmcnt(0)
	v_add_f64 v[2:3], v[2:3], -v[12:13]
	buffer_load_dword v13, off, s[0:3], 0 offset:812
	buffer_load_dword v12, off, s[0:3], 0 offset:808
	s_waitcnt vmcnt(0)
	v_add_f64 v[0:1], v[12:13], -v[0:1]
	buffer_store_dword v3, off, s[0:3], 0 offset:804
	buffer_store_dword v2, off, s[0:3], 0 offset:800
	buffer_store_dword v1, off, s[0:3], 0 offset:812
	buffer_store_dword v0, off, s[0:3], 0 offset:808
	ds_read2_b64 v[0:3], v16 offset0:102 offset1:103
	s_waitcnt lgkmcnt(0)
	v_mul_f64 v[12:13], v[2:3], v[10:11]
	v_fma_f64 v[12:13], v[0:1], v[4:5], -v[12:13]
	v_mul_f64 v[0:1], v[0:1], v[10:11]
	v_fma_f64 v[0:1], v[2:3], v[4:5], v[0:1]
	buffer_load_dword v2, off, s[0:3], 0 offset:816
	buffer_load_dword v3, off, s[0:3], 0 offset:820
	buffer_load_dword v20, off, s[0:3], 0 offset:824
	buffer_load_dword v21, off, s[0:3], 0 offset:828
	s_waitcnt vmcnt(2)
	v_add_f64 v[2:3], v[2:3], -v[12:13]
	s_waitcnt vmcnt(0)
	v_add_f64 v[0:1], v[20:21], -v[0:1]
	buffer_store_dword v3, off, s[0:3], 0 offset:820
	buffer_store_dword v2, off, s[0:3], 0 offset:816
	buffer_store_dword v1, off, s[0:3], 0 offset:828
	buffer_store_dword v0, off, s[0:3], 0 offset:824
	ds_read2_b64 v[0:3], v16 offset0:104 offset1:105
	s_waitcnt lgkmcnt(0)
	v_mul_f64 v[12:13], v[2:3], v[10:11]
	v_fma_f64 v[12:13], v[0:1], v[4:5], -v[12:13]
	v_mul_f64 v[0:1], v[0:1], v[10:11]
	v_fma_f64 v[0:1], v[2:3], v[4:5], v[0:1]
	buffer_load_dword v2, off, s[0:3], 0 offset:832
	buffer_load_dword v3, off, s[0:3], 0 offset:836
	buffer_load_dword v20, off, s[0:3], 0 offset:840
	buffer_load_dword v21, off, s[0:3], 0 offset:844
	s_waitcnt vmcnt(2)
	v_add_f64 v[2:3], v[2:3], -v[12:13]
	;; [unrolled: 18-line block ×5, first 2 shown]
	s_waitcnt vmcnt(0)
	v_add_f64 v[0:1], v[4:5], -v[0:1]
	buffer_store_dword v3, off, s[0:3], 0 offset:884
	buffer_store_dword v2, off, s[0:3], 0 offset:880
	;; [unrolled: 1-line block ×4, first 2 shown]
	ds_read2_b64 v[0:3], v16 offset0:112 offset1:113
	buffer_load_dword v4, off, s[0:3], 0 offset:688
	buffer_load_dword v5, off, s[0:3], 0 offset:692
	;; [unrolled: 1-line block ×4, first 2 shown]
	s_waitcnt vmcnt(0) lgkmcnt(0)
	v_mul_f64 v[12:13], v[2:3], v[10:11]
	v_fma_f64 v[12:13], v[0:1], v[4:5], -v[12:13]
	v_mul_f64 v[0:1], v[0:1], v[10:11]
	v_fma_f64 v[0:1], v[2:3], v[4:5], v[0:1]
	buffer_load_dword v3, off, s[0:3], 0 offset:900
	buffer_load_dword v2, off, s[0:3], 0 offset:896
	s_waitcnt vmcnt(0)
	v_add_f64 v[2:3], v[2:3], -v[12:13]
	buffer_load_dword v13, off, s[0:3], 0 offset:908
	buffer_load_dword v12, off, s[0:3], 0 offset:904
	s_waitcnt vmcnt(0)
	v_add_f64 v[0:1], v[12:13], -v[0:1]
	buffer_store_dword v3, off, s[0:3], 0 offset:900
	buffer_store_dword v2, off, s[0:3], 0 offset:896
	buffer_store_dword v1, off, s[0:3], 0 offset:908
	buffer_store_dword v0, off, s[0:3], 0 offset:904
	ds_read2_b64 v[0:3], v16 offset0:114 offset1:115
	s_waitcnt lgkmcnt(0)
	v_mul_f64 v[12:13], v[2:3], v[10:11]
	v_fma_f64 v[12:13], v[0:1], v[4:5], -v[12:13]
	v_mul_f64 v[0:1], v[0:1], v[10:11]
	v_fma_f64 v[0:1], v[2:3], v[4:5], v[0:1]
	buffer_load_dword v2, off, s[0:3], 0 offset:912
	buffer_load_dword v3, off, s[0:3], 0 offset:916
	buffer_load_dword v20, off, s[0:3], 0 offset:920
	buffer_load_dword v21, off, s[0:3], 0 offset:924
	s_waitcnt vmcnt(2)
	v_add_f64 v[2:3], v[2:3], -v[12:13]
	s_waitcnt vmcnt(0)
	v_add_f64 v[0:1], v[20:21], -v[0:1]
	buffer_store_dword v3, off, s[0:3], 0 offset:916
	buffer_store_dword v2, off, s[0:3], 0 offset:912
	buffer_store_dword v1, off, s[0:3], 0 offset:924
	buffer_store_dword v0, off, s[0:3], 0 offset:920
	ds_read2_b64 v[0:3], v16 offset0:116 offset1:117
	s_waitcnt lgkmcnt(0)
	v_mul_f64 v[12:13], v[2:3], v[10:11]
	v_fma_f64 v[12:13], v[0:1], v[4:5], -v[12:13]
	v_mul_f64 v[0:1], v[0:1], v[10:11]
	v_fma_f64 v[0:1], v[2:3], v[4:5], v[0:1]
	buffer_load_dword v2, off, s[0:3], 0 offset:928
	buffer_load_dword v3, off, s[0:3], 0 offset:932
	buffer_load_dword v20, off, s[0:3], 0 offset:936
	buffer_load_dword v21, off, s[0:3], 0 offset:940
	s_waitcnt vmcnt(2)
	v_add_f64 v[2:3], v[2:3], -v[12:13]
	;; [unrolled: 18-line block ×5, first 2 shown]
	s_waitcnt vmcnt(0)
	v_add_f64 v[0:1], v[4:5], -v[0:1]
	buffer_store_dword v3, off, s[0:3], 0 offset:980
	buffer_store_dword v2, off, s[0:3], 0 offset:976
	;; [unrolled: 1-line block ×4, first 2 shown]
	ds_read2_b64 v[0:3], v16 offset0:124 offset1:125
	buffer_load_dword v4, off, s[0:3], 0 offset:688
	buffer_load_dword v5, off, s[0:3], 0 offset:692
	;; [unrolled: 1-line block ×4, first 2 shown]
	s_waitcnt vmcnt(0) lgkmcnt(0)
	v_mul_f64 v[12:13], v[2:3], v[10:11]
	v_fma_f64 v[12:13], v[0:1], v[4:5], -v[12:13]
	v_mul_f64 v[0:1], v[0:1], v[10:11]
	v_fma_f64 v[0:1], v[2:3], v[4:5], v[0:1]
	buffer_load_dword v3, off, s[0:3], 0 offset:996
	buffer_load_dword v2, off, s[0:3], 0 offset:992
	s_waitcnt vmcnt(0)
	v_add_f64 v[2:3], v[2:3], -v[12:13]
	buffer_load_dword v13, off, s[0:3], 0 offset:1004
	buffer_load_dword v12, off, s[0:3], 0 offset:1000
	s_waitcnt vmcnt(0)
	v_add_f64 v[0:1], v[12:13], -v[0:1]
	buffer_store_dword v3, off, s[0:3], 0 offset:996
	buffer_store_dword v2, off, s[0:3], 0 offset:992
	;; [unrolled: 1-line block ×4, first 2 shown]
	ds_read2_b64 v[0:3], v16 offset0:126 offset1:127
	s_waitcnt lgkmcnt(0)
	v_mul_f64 v[12:13], v[2:3], v[10:11]
	v_fma_f64 v[12:13], v[0:1], v[4:5], -v[12:13]
	v_mul_f64 v[0:1], v[0:1], v[10:11]
	v_fma_f64 v[0:1], v[2:3], v[4:5], v[0:1]
	buffer_load_dword v2, off, s[0:3], 0 offset:1008
	buffer_load_dword v3, off, s[0:3], 0 offset:1012
	;; [unrolled: 1-line block ×4, first 2 shown]
	s_waitcnt vmcnt(2)
	v_add_f64 v[2:3], v[2:3], -v[12:13]
	s_waitcnt vmcnt(0)
	v_add_f64 v[0:1], v[4:5], -v[0:1]
	buffer_store_dword v3, off, s[0:3], 0 offset:1012
	buffer_store_dword v2, off, s[0:3], 0 offset:1008
	;; [unrolled: 1-line block ×4, first 2 shown]
.LBB126_1041:
	s_or_b64 exec, exec, s[4:5]
	v_mov_b32_e32 v3, s44
	s_waitcnt vmcnt(0)
	s_barrier
	buffer_load_dword v0, v3, s[0:3], 0 offen
	buffer_load_dword v1, v3, s[0:3], 0 offen offset:4
	buffer_load_dword v2, v3, s[0:3], 0 offen offset:8
	s_nop 0
	buffer_load_dword v3, v3, s[0:3], 0 offen offset:12
	v_lshl_add_u32 v4, v19, 4, v16
	s_cmp_lt_i32 s66, 46
	s_waitcnt vmcnt(0)
	ds_write2_b64 v4, v[0:1], v[2:3] offset1:1
	s_waitcnt lgkmcnt(0)
	s_barrier
	ds_read2_b64 v[0:3], v16 offset0:88 offset1:89
	v_mov_b32_e32 v4, 44
	s_cbranch_scc1 .LBB126_1044
; %bb.1042:
	v_add_u32_e32 v5, 0x2d0, v16
	s_mov_b32 s16, 45
	v_mov_b32_e32 v4, 44
.LBB126_1043:                           ; =>This Inner Loop Header: Depth=1
	s_waitcnt lgkmcnt(0)
	v_cmp_gt_f64_e32 vcc, 0, v[2:3]
	v_cmp_gt_f64_e64 s[4:5], 0, v[0:1]
	ds_read2_b64 v[10:13], v5 offset1:1
	v_xor_b32_e32 v21, 0x80000000, v1
	v_xor_b32_e32 v23, 0x80000000, v3
	v_mov_b32_e32 v20, v0
	v_mov_b32_e32 v22, v2
	s_waitcnt lgkmcnt(0)
	v_xor_b32_e32 v25, 0x80000000, v13
	v_cndmask_b32_e32 v23, v3, v23, vcc
	v_cndmask_b32_e64 v21, v1, v21, s[4:5]
	v_cmp_gt_f64_e32 vcc, 0, v[12:13]
	v_cmp_gt_f64_e64 s[4:5], 0, v[10:11]
	v_add_f64 v[20:21], v[20:21], v[22:23]
	v_xor_b32_e32 v23, 0x80000000, v11
	v_mov_b32_e32 v22, v10
	v_mov_b32_e32 v24, v12
	v_add_u32_e32 v5, 16, v5
	v_cndmask_b32_e32 v25, v13, v25, vcc
	v_cndmask_b32_e64 v23, v11, v23, s[4:5]
	v_add_f64 v[22:23], v[22:23], v[24:25]
	v_mov_b32_e32 v24, s16
	s_add_i32 s16, s16, 1
	s_cmp_lg_u32 s66, s16
	v_cmp_lt_f64_e32 vcc, v[20:21], v[22:23]
	v_cndmask_b32_e32 v1, v1, v11, vcc
	v_cndmask_b32_e32 v0, v0, v10, vcc
	;; [unrolled: 1-line block ×5, first 2 shown]
	s_cbranch_scc1 .LBB126_1043
.LBB126_1044:
	s_waitcnt lgkmcnt(0)
	v_cmp_eq_f64_e32 vcc, 0, v[0:1]
	v_cmp_eq_f64_e64 s[4:5], 0, v[2:3]
	s_and_b64 s[4:5], vcc, s[4:5]
	s_and_saveexec_b64 s[16:17], s[4:5]
	s_xor_b64 s[4:5], exec, s[16:17]
; %bb.1045:
	v_cmp_ne_u32_e32 vcc, 0, v17
	v_cndmask_b32_e32 v17, 45, v17, vcc
; %bb.1046:
	s_andn2_saveexec_b64 s[4:5], s[4:5]
	s_cbranch_execz .LBB126_1052
; %bb.1047:
	v_cmp_ngt_f64_e64 s[16:17], |v[0:1]|, |v[2:3]|
	s_and_saveexec_b64 s[18:19], s[16:17]
	s_xor_b64 s[18:19], exec, s[18:19]
	s_cbranch_execz .LBB126_1049
; %bb.1048:
	v_div_scale_f64 v[10:11], s[16:17], v[2:3], v[2:3], v[0:1]
	v_rcp_f64_e32 v[12:13], v[10:11]
	v_fma_f64 v[20:21], -v[10:11], v[12:13], 1.0
	v_fma_f64 v[12:13], v[12:13], v[20:21], v[12:13]
	v_div_scale_f64 v[20:21], vcc, v[0:1], v[2:3], v[0:1]
	v_fma_f64 v[22:23], -v[10:11], v[12:13], 1.0
	v_fma_f64 v[12:13], v[12:13], v[22:23], v[12:13]
	v_mul_f64 v[22:23], v[20:21], v[12:13]
	v_fma_f64 v[10:11], -v[10:11], v[22:23], v[20:21]
	v_div_fmas_f64 v[10:11], v[10:11], v[12:13], v[22:23]
	v_div_fixup_f64 v[10:11], v[10:11], v[2:3], v[0:1]
	v_fma_f64 v[0:1], v[0:1], v[10:11], v[2:3]
	v_div_scale_f64 v[2:3], s[16:17], v[0:1], v[0:1], 1.0
	v_div_scale_f64 v[22:23], vcc, 1.0, v[0:1], 1.0
	v_rcp_f64_e32 v[12:13], v[2:3]
	v_fma_f64 v[20:21], -v[2:3], v[12:13], 1.0
	v_fma_f64 v[12:13], v[12:13], v[20:21], v[12:13]
	v_fma_f64 v[20:21], -v[2:3], v[12:13], 1.0
	v_fma_f64 v[12:13], v[12:13], v[20:21], v[12:13]
	v_mul_f64 v[20:21], v[22:23], v[12:13]
	v_fma_f64 v[2:3], -v[2:3], v[20:21], v[22:23]
	v_div_fmas_f64 v[2:3], v[2:3], v[12:13], v[20:21]
	v_div_fixup_f64 v[2:3], v[2:3], v[0:1], 1.0
	v_mul_f64 v[0:1], v[10:11], v[2:3]
	v_xor_b32_e32 v3, 0x80000000, v3
.LBB126_1049:
	s_andn2_saveexec_b64 s[18:19], s[18:19]
	s_cbranch_execz .LBB126_1051
; %bb.1050:
	v_div_scale_f64 v[10:11], s[16:17], v[0:1], v[0:1], v[2:3]
	v_rcp_f64_e32 v[12:13], v[10:11]
	v_fma_f64 v[20:21], -v[10:11], v[12:13], 1.0
	v_fma_f64 v[12:13], v[12:13], v[20:21], v[12:13]
	v_div_scale_f64 v[20:21], vcc, v[2:3], v[0:1], v[2:3]
	v_fma_f64 v[22:23], -v[10:11], v[12:13], 1.0
	v_fma_f64 v[12:13], v[12:13], v[22:23], v[12:13]
	v_mul_f64 v[22:23], v[20:21], v[12:13]
	v_fma_f64 v[10:11], -v[10:11], v[22:23], v[20:21]
	v_div_fmas_f64 v[10:11], v[10:11], v[12:13], v[22:23]
	v_div_fixup_f64 v[10:11], v[10:11], v[0:1], v[2:3]
	v_fma_f64 v[0:1], v[2:3], v[10:11], v[0:1]
	v_div_scale_f64 v[2:3], s[16:17], v[0:1], v[0:1], 1.0
	v_div_scale_f64 v[22:23], vcc, 1.0, v[0:1], 1.0
	v_rcp_f64_e32 v[12:13], v[2:3]
	v_fma_f64 v[20:21], -v[2:3], v[12:13], 1.0
	v_fma_f64 v[12:13], v[12:13], v[20:21], v[12:13]
	v_fma_f64 v[20:21], -v[2:3], v[12:13], 1.0
	v_fma_f64 v[12:13], v[12:13], v[20:21], v[12:13]
	v_mul_f64 v[20:21], v[22:23], v[12:13]
	v_fma_f64 v[2:3], -v[2:3], v[20:21], v[22:23]
	v_div_fmas_f64 v[2:3], v[2:3], v[12:13], v[20:21]
	v_div_fixup_f64 v[0:1], v[2:3], v[0:1], 1.0
	v_mul_f64 v[2:3], v[10:11], -v[0:1]
.LBB126_1051:
	s_or_b64 exec, exec, s[18:19]
.LBB126_1052:
	s_or_b64 exec, exec, s[4:5]
	v_cmp_ne_u32_e32 vcc, v19, v4
	s_and_saveexec_b64 s[4:5], vcc
	s_xor_b64 s[4:5], exec, s[4:5]
	s_cbranch_execz .LBB126_1058
; %bb.1053:
	v_cmp_eq_u32_e32 vcc, 44, v19
	s_and_saveexec_b64 s[18:19], vcc
	s_cbranch_execz .LBB126_1057
; %bb.1054:
	v_cmp_ne_u32_e32 vcc, 44, v4
	s_xor_b64 s[16:17], s[10:11], -1
	s_and_b64 s[16:17], s[16:17], vcc
	s_and_saveexec_b64 s[24:25], s[16:17]
	s_cbranch_execz .LBB126_1056
; %bb.1055:
	v_ashrrev_i32_e32 v5, 31, v4
	v_lshlrev_b64 v[10:11], 2, v[4:5]
	v_add_co_u32_e32 v10, vcc, v8, v10
	v_addc_co_u32_e32 v11, vcc, v9, v11, vcc
	global_load_dword v5, v[10:11], off
	global_load_dword v12, v[8:9], off offset:176
	s_waitcnt vmcnt(1)
	global_store_dword v[8:9], v5, off offset:176
	s_waitcnt vmcnt(1)
	global_store_dword v[10:11], v12, off
.LBB126_1056:
	s_or_b64 exec, exec, s[24:25]
	v_mov_b32_e32 v19, v4
	v_mov_b32_e32 v18, v4
.LBB126_1057:
	s_or_b64 exec, exec, s[18:19]
.LBB126_1058:
	s_andn2_saveexec_b64 s[4:5], s[4:5]
	s_cbranch_execz .LBB126_1060
; %bb.1059:
	v_mov_b32_e32 v11, s43
	buffer_load_dword v4, v11, s[0:3], 0 offen
	buffer_load_dword v5, v11, s[0:3], 0 offen offset:4
	buffer_load_dword v10, v11, s[0:3], 0 offen offset:8
	s_nop 0
	buffer_load_dword v11, v11, s[0:3], 0 offen offset:12
	v_mov_b32_e32 v19, 44
	s_waitcnt vmcnt(0)
	ds_write2_b64 v16, v[4:5], v[10:11] offset0:90 offset1:91
	v_mov_b32_e32 v11, s42
	buffer_load_dword v4, v11, s[0:3], 0 offen
	buffer_load_dword v5, v11, s[0:3], 0 offen offset:4
	buffer_load_dword v10, v11, s[0:3], 0 offen offset:8
	s_nop 0
	buffer_load_dword v11, v11, s[0:3], 0 offen offset:12
	s_waitcnt vmcnt(0)
	ds_write2_b64 v16, v[4:5], v[10:11] offset0:92 offset1:93
	v_mov_b32_e32 v11, s41
	buffer_load_dword v4, v11, s[0:3], 0 offen
	buffer_load_dword v5, v11, s[0:3], 0 offen offset:4
	buffer_load_dword v10, v11, s[0:3], 0 offen offset:8
	s_nop 0
	buffer_load_dword v11, v11, s[0:3], 0 offen offset:12
	;; [unrolled: 8-line block ×18, first 2 shown]
	s_waitcnt vmcnt(0)
	ds_write2_b64 v16, v[4:5], v[10:11] offset0:126 offset1:127
.LBB126_1060:
	s_or_b64 exec, exec, s[4:5]
	v_cmp_lt_i32_e32 vcc, 44, v19
	s_waitcnt vmcnt(0) lgkmcnt(0)
	s_barrier
	s_and_saveexec_b64 s[4:5], vcc
	s_cbranch_execz .LBB126_1062
; %bb.1061:
	buffer_load_dword v4, off, s[0:3], 0 offset:704
	buffer_load_dword v5, off, s[0:3], 0 offset:708
	;; [unrolled: 1-line block ×16, first 2 shown]
	s_waitcnt vmcnt(12)
	v_mul_f64 v[30:31], v[2:3], v[10:11]
	v_fma_f64 v[30:31], v[0:1], v[4:5], -v[30:31]
	v_mul_f64 v[0:1], v[0:1], v[10:11]
	v_fma_f64 v[4:5], v[2:3], v[4:5], v[0:1]
	buffer_store_dword v30, off, s[0:3], 0 offset:704
	buffer_store_dword v31, off, s[0:3], 0 offset:708
	buffer_store_dword v4, off, s[0:3], 0 offset:712
	buffer_store_dword v5, off, s[0:3], 0 offset:716
	ds_read2_b64 v[0:3], v16 offset0:90 offset1:91
	s_waitcnt lgkmcnt(0)
	v_mul_f64 v[10:11], v[2:3], v[4:5]
	v_fma_f64 v[10:11], v[0:1], v[30:31], -v[10:11]
	v_mul_f64 v[0:1], v[0:1], v[4:5]
	v_fma_f64 v[0:1], v[2:3], v[30:31], v[0:1]
	s_waitcnt vmcnt(14)
	v_add_f64 v[2:3], v[12:13], -v[10:11]
	s_waitcnt vmcnt(12)
	v_add_f64 v[0:1], v[20:21], -v[0:1]
	buffer_store_dword v2, off, s[0:3], 0 offset:720
	buffer_store_dword v3, off, s[0:3], 0 offset:724
	buffer_store_dword v0, off, s[0:3], 0 offset:728
	buffer_store_dword v1, off, s[0:3], 0 offset:732
	ds_read2_b64 v[0:3], v16 offset0:92 offset1:93
	s_waitcnt lgkmcnt(0)
	v_mul_f64 v[10:11], v[2:3], v[4:5]
	v_fma_f64 v[10:11], v[0:1], v[30:31], -v[10:11]
	v_mul_f64 v[0:1], v[0:1], v[4:5]
	v_fma_f64 v[0:1], v[2:3], v[30:31], v[0:1]
	s_waitcnt vmcnt(14)
	v_add_f64 v[2:3], v[22:23], -v[10:11]
	s_waitcnt vmcnt(12)
	v_add_f64 v[0:1], v[24:25], -v[0:1]
	;; [unrolled: 14-line block ×3, first 2 shown]
	buffer_store_dword v3, off, s[0:3], 0 offset:756
	buffer_store_dword v2, off, s[0:3], 0 offset:752
	buffer_store_dword v0, off, s[0:3], 0 offset:760
	buffer_store_dword v1, off, s[0:3], 0 offset:764
	ds_read2_b64 v[0:3], v16 offset0:96 offset1:97
	s_waitcnt lgkmcnt(0)
	v_mul_f64 v[10:11], v[2:3], v[4:5]
	v_fma_f64 v[10:11], v[0:1], v[30:31], -v[10:11]
	v_mul_f64 v[0:1], v[0:1], v[4:5]
	v_fma_f64 v[0:1], v[2:3], v[30:31], v[0:1]
	buffer_load_dword v2, off, s[0:3], 0 offset:768
	buffer_load_dword v3, off, s[0:3], 0 offset:772
	buffer_load_dword v12, off, s[0:3], 0 offset:776
	buffer_load_dword v13, off, s[0:3], 0 offset:780
	s_waitcnt vmcnt(2)
	v_add_f64 v[2:3], v[2:3], -v[10:11]
	s_waitcnt vmcnt(0)
	v_add_f64 v[0:1], v[12:13], -v[0:1]
	buffer_store_dword v3, off, s[0:3], 0 offset:772
	buffer_store_dword v2, off, s[0:3], 0 offset:768
	buffer_store_dword v1, off, s[0:3], 0 offset:780
	buffer_store_dword v0, off, s[0:3], 0 offset:776
	ds_read2_b64 v[0:3], v16 offset0:98 offset1:99
	s_waitcnt lgkmcnt(0)
	v_mul_f64 v[10:11], v[2:3], v[4:5]
	v_fma_f64 v[10:11], v[0:1], v[30:31], -v[10:11]
	v_mul_f64 v[0:1], v[0:1], v[4:5]
	v_fma_f64 v[0:1], v[2:3], v[30:31], v[0:1]
	buffer_load_dword v2, off, s[0:3], 0 offset:784
	buffer_load_dword v3, off, s[0:3], 0 offset:788
	buffer_load_dword v12, off, s[0:3], 0 offset:792
	buffer_load_dword v13, off, s[0:3], 0 offset:796
	s_waitcnt vmcnt(2)
	v_add_f64 v[2:3], v[2:3], -v[10:11]
	s_waitcnt vmcnt(0)
	v_add_f64 v[0:1], v[12:13], -v[0:1]
	;; [unrolled: 18-line block ×3, first 2 shown]
	buffer_store_dword v3, off, s[0:3], 0 offset:804
	buffer_store_dword v2, off, s[0:3], 0 offset:800
	;; [unrolled: 1-line block ×4, first 2 shown]
	ds_read2_b64 v[0:3], v16 offset0:102 offset1:103
	buffer_load_dword v4, off, s[0:3], 0 offset:704
	buffer_load_dword v5, off, s[0:3], 0 offset:708
	;; [unrolled: 1-line block ×4, first 2 shown]
	s_waitcnt vmcnt(0) lgkmcnt(0)
	v_mul_f64 v[12:13], v[2:3], v[10:11]
	v_fma_f64 v[12:13], v[0:1], v[4:5], -v[12:13]
	v_mul_f64 v[0:1], v[0:1], v[10:11]
	v_fma_f64 v[0:1], v[2:3], v[4:5], v[0:1]
	buffer_load_dword v3, off, s[0:3], 0 offset:820
	buffer_load_dword v2, off, s[0:3], 0 offset:816
	s_waitcnt vmcnt(0)
	v_add_f64 v[2:3], v[2:3], -v[12:13]
	buffer_load_dword v13, off, s[0:3], 0 offset:828
	buffer_load_dword v12, off, s[0:3], 0 offset:824
	s_waitcnt vmcnt(0)
	v_add_f64 v[0:1], v[12:13], -v[0:1]
	buffer_store_dword v3, off, s[0:3], 0 offset:820
	buffer_store_dword v2, off, s[0:3], 0 offset:816
	buffer_store_dword v1, off, s[0:3], 0 offset:828
	buffer_store_dword v0, off, s[0:3], 0 offset:824
	ds_read2_b64 v[0:3], v16 offset0:104 offset1:105
	s_waitcnt lgkmcnt(0)
	v_mul_f64 v[12:13], v[2:3], v[10:11]
	v_fma_f64 v[12:13], v[0:1], v[4:5], -v[12:13]
	v_mul_f64 v[0:1], v[0:1], v[10:11]
	v_fma_f64 v[0:1], v[2:3], v[4:5], v[0:1]
	buffer_load_dword v2, off, s[0:3], 0 offset:832
	buffer_load_dword v3, off, s[0:3], 0 offset:836
	buffer_load_dword v20, off, s[0:3], 0 offset:840
	buffer_load_dword v21, off, s[0:3], 0 offset:844
	s_waitcnt vmcnt(2)
	v_add_f64 v[2:3], v[2:3], -v[12:13]
	s_waitcnt vmcnt(0)
	v_add_f64 v[0:1], v[20:21], -v[0:1]
	buffer_store_dword v3, off, s[0:3], 0 offset:836
	buffer_store_dword v2, off, s[0:3], 0 offset:832
	buffer_store_dword v1, off, s[0:3], 0 offset:844
	buffer_store_dword v0, off, s[0:3], 0 offset:840
	ds_read2_b64 v[0:3], v16 offset0:106 offset1:107
	s_waitcnt lgkmcnt(0)
	v_mul_f64 v[12:13], v[2:3], v[10:11]
	v_fma_f64 v[12:13], v[0:1], v[4:5], -v[12:13]
	v_mul_f64 v[0:1], v[0:1], v[10:11]
	v_fma_f64 v[0:1], v[2:3], v[4:5], v[0:1]
	buffer_load_dword v2, off, s[0:3], 0 offset:848
	buffer_load_dword v3, off, s[0:3], 0 offset:852
	buffer_load_dword v20, off, s[0:3], 0 offset:856
	buffer_load_dword v21, off, s[0:3], 0 offset:860
	s_waitcnt vmcnt(2)
	v_add_f64 v[2:3], v[2:3], -v[12:13]
	;; [unrolled: 18-line block ×5, first 2 shown]
	s_waitcnt vmcnt(0)
	v_add_f64 v[0:1], v[4:5], -v[0:1]
	buffer_store_dword v3, off, s[0:3], 0 offset:900
	buffer_store_dword v2, off, s[0:3], 0 offset:896
	;; [unrolled: 1-line block ×4, first 2 shown]
	ds_read2_b64 v[0:3], v16 offset0:114 offset1:115
	buffer_load_dword v4, off, s[0:3], 0 offset:704
	buffer_load_dword v5, off, s[0:3], 0 offset:708
	;; [unrolled: 1-line block ×4, first 2 shown]
	s_waitcnt vmcnt(0) lgkmcnt(0)
	v_mul_f64 v[12:13], v[2:3], v[10:11]
	v_fma_f64 v[12:13], v[0:1], v[4:5], -v[12:13]
	v_mul_f64 v[0:1], v[0:1], v[10:11]
	v_fma_f64 v[0:1], v[2:3], v[4:5], v[0:1]
	buffer_load_dword v3, off, s[0:3], 0 offset:916
	buffer_load_dword v2, off, s[0:3], 0 offset:912
	s_waitcnt vmcnt(0)
	v_add_f64 v[2:3], v[2:3], -v[12:13]
	buffer_load_dword v13, off, s[0:3], 0 offset:924
	buffer_load_dword v12, off, s[0:3], 0 offset:920
	s_waitcnt vmcnt(0)
	v_add_f64 v[0:1], v[12:13], -v[0:1]
	buffer_store_dword v3, off, s[0:3], 0 offset:916
	buffer_store_dword v2, off, s[0:3], 0 offset:912
	buffer_store_dword v1, off, s[0:3], 0 offset:924
	buffer_store_dword v0, off, s[0:3], 0 offset:920
	ds_read2_b64 v[0:3], v16 offset0:116 offset1:117
	s_waitcnt lgkmcnt(0)
	v_mul_f64 v[12:13], v[2:3], v[10:11]
	v_fma_f64 v[12:13], v[0:1], v[4:5], -v[12:13]
	v_mul_f64 v[0:1], v[0:1], v[10:11]
	v_fma_f64 v[0:1], v[2:3], v[4:5], v[0:1]
	buffer_load_dword v2, off, s[0:3], 0 offset:928
	buffer_load_dword v3, off, s[0:3], 0 offset:932
	buffer_load_dword v20, off, s[0:3], 0 offset:936
	buffer_load_dword v21, off, s[0:3], 0 offset:940
	s_waitcnt vmcnt(2)
	v_add_f64 v[2:3], v[2:3], -v[12:13]
	s_waitcnt vmcnt(0)
	v_add_f64 v[0:1], v[20:21], -v[0:1]
	buffer_store_dword v3, off, s[0:3], 0 offset:932
	buffer_store_dword v2, off, s[0:3], 0 offset:928
	buffer_store_dword v1, off, s[0:3], 0 offset:940
	buffer_store_dword v0, off, s[0:3], 0 offset:936
	ds_read2_b64 v[0:3], v16 offset0:118 offset1:119
	s_waitcnt lgkmcnt(0)
	v_mul_f64 v[12:13], v[2:3], v[10:11]
	v_fma_f64 v[12:13], v[0:1], v[4:5], -v[12:13]
	v_mul_f64 v[0:1], v[0:1], v[10:11]
	v_fma_f64 v[0:1], v[2:3], v[4:5], v[0:1]
	buffer_load_dword v2, off, s[0:3], 0 offset:944
	buffer_load_dword v3, off, s[0:3], 0 offset:948
	buffer_load_dword v20, off, s[0:3], 0 offset:952
	buffer_load_dword v21, off, s[0:3], 0 offset:956
	s_waitcnt vmcnt(2)
	v_add_f64 v[2:3], v[2:3], -v[12:13]
	;; [unrolled: 18-line block ×5, first 2 shown]
	s_waitcnt vmcnt(0)
	v_add_f64 v[0:1], v[4:5], -v[0:1]
	buffer_store_dword v3, off, s[0:3], 0 offset:996
	buffer_store_dword v2, off, s[0:3], 0 offset:992
	;; [unrolled: 1-line block ×4, first 2 shown]
	ds_read2_b64 v[0:3], v16 offset0:126 offset1:127
	buffer_load_dword v4, off, s[0:3], 0 offset:704
	buffer_load_dword v5, off, s[0:3], 0 offset:708
	;; [unrolled: 1-line block ×4, first 2 shown]
	s_waitcnt vmcnt(0) lgkmcnt(0)
	v_mul_f64 v[12:13], v[2:3], v[10:11]
	v_fma_f64 v[12:13], v[0:1], v[4:5], -v[12:13]
	v_mul_f64 v[0:1], v[0:1], v[10:11]
	v_fma_f64 v[0:1], v[2:3], v[4:5], v[0:1]
	buffer_load_dword v3, off, s[0:3], 0 offset:1012
	buffer_load_dword v2, off, s[0:3], 0 offset:1008
	;; [unrolled: 1-line block ×4, first 2 shown]
	s_waitcnt vmcnt(2)
	v_add_f64 v[2:3], v[2:3], -v[12:13]
	s_waitcnt vmcnt(0)
	v_add_f64 v[0:1], v[4:5], -v[0:1]
	buffer_store_dword v3, off, s[0:3], 0 offset:1012
	buffer_store_dword v2, off, s[0:3], 0 offset:1008
	;; [unrolled: 1-line block ×4, first 2 shown]
.LBB126_1062:
	s_or_b64 exec, exec, s[4:5]
	v_mov_b32_e32 v3, s43
	s_waitcnt vmcnt(0)
	s_barrier
	buffer_load_dword v0, v3, s[0:3], 0 offen
	buffer_load_dword v1, v3, s[0:3], 0 offen offset:4
	buffer_load_dword v2, v3, s[0:3], 0 offen offset:8
	s_nop 0
	buffer_load_dword v3, v3, s[0:3], 0 offen offset:12
	v_lshl_add_u32 v4, v19, 4, v16
	s_cmp_lt_i32 s66, 47
	s_waitcnt vmcnt(0)
	ds_write2_b64 v4, v[0:1], v[2:3] offset1:1
	s_waitcnt lgkmcnt(0)
	s_barrier
	ds_read2_b64 v[0:3], v16 offset0:90 offset1:91
	v_mov_b32_e32 v4, 45
	s_cbranch_scc1 .LBB126_1065
; %bb.1063:
	v_add_u32_e32 v5, 0x2e0, v16
	s_mov_b32 s16, 46
	v_mov_b32_e32 v4, 45
.LBB126_1064:                           ; =>This Inner Loop Header: Depth=1
	s_waitcnt lgkmcnt(0)
	v_cmp_gt_f64_e32 vcc, 0, v[2:3]
	v_cmp_gt_f64_e64 s[4:5], 0, v[0:1]
	ds_read2_b64 v[10:13], v5 offset1:1
	v_xor_b32_e32 v21, 0x80000000, v1
	v_xor_b32_e32 v23, 0x80000000, v3
	v_mov_b32_e32 v20, v0
	v_mov_b32_e32 v22, v2
	s_waitcnt lgkmcnt(0)
	v_xor_b32_e32 v25, 0x80000000, v13
	v_cndmask_b32_e32 v23, v3, v23, vcc
	v_cndmask_b32_e64 v21, v1, v21, s[4:5]
	v_cmp_gt_f64_e32 vcc, 0, v[12:13]
	v_cmp_gt_f64_e64 s[4:5], 0, v[10:11]
	v_add_f64 v[20:21], v[20:21], v[22:23]
	v_xor_b32_e32 v23, 0x80000000, v11
	v_mov_b32_e32 v22, v10
	v_mov_b32_e32 v24, v12
	v_add_u32_e32 v5, 16, v5
	v_cndmask_b32_e32 v25, v13, v25, vcc
	v_cndmask_b32_e64 v23, v11, v23, s[4:5]
	v_add_f64 v[22:23], v[22:23], v[24:25]
	v_mov_b32_e32 v24, s16
	s_add_i32 s16, s16, 1
	s_cmp_lg_u32 s66, s16
	v_cmp_lt_f64_e32 vcc, v[20:21], v[22:23]
	v_cndmask_b32_e32 v1, v1, v11, vcc
	v_cndmask_b32_e32 v0, v0, v10, vcc
	;; [unrolled: 1-line block ×5, first 2 shown]
	s_cbranch_scc1 .LBB126_1064
.LBB126_1065:
	s_waitcnt lgkmcnt(0)
	v_cmp_eq_f64_e32 vcc, 0, v[0:1]
	v_cmp_eq_f64_e64 s[4:5], 0, v[2:3]
	s_and_b64 s[4:5], vcc, s[4:5]
	s_and_saveexec_b64 s[16:17], s[4:5]
	s_xor_b64 s[4:5], exec, s[16:17]
; %bb.1066:
	v_cmp_ne_u32_e32 vcc, 0, v17
	v_cndmask_b32_e32 v17, 46, v17, vcc
; %bb.1067:
	s_andn2_saveexec_b64 s[4:5], s[4:5]
	s_cbranch_execz .LBB126_1073
; %bb.1068:
	v_cmp_ngt_f64_e64 s[16:17], |v[0:1]|, |v[2:3]|
	s_and_saveexec_b64 s[18:19], s[16:17]
	s_xor_b64 s[18:19], exec, s[18:19]
	s_cbranch_execz .LBB126_1070
; %bb.1069:
	v_div_scale_f64 v[10:11], s[16:17], v[2:3], v[2:3], v[0:1]
	v_rcp_f64_e32 v[12:13], v[10:11]
	v_fma_f64 v[20:21], -v[10:11], v[12:13], 1.0
	v_fma_f64 v[12:13], v[12:13], v[20:21], v[12:13]
	v_div_scale_f64 v[20:21], vcc, v[0:1], v[2:3], v[0:1]
	v_fma_f64 v[22:23], -v[10:11], v[12:13], 1.0
	v_fma_f64 v[12:13], v[12:13], v[22:23], v[12:13]
	v_mul_f64 v[22:23], v[20:21], v[12:13]
	v_fma_f64 v[10:11], -v[10:11], v[22:23], v[20:21]
	v_div_fmas_f64 v[10:11], v[10:11], v[12:13], v[22:23]
	v_div_fixup_f64 v[10:11], v[10:11], v[2:3], v[0:1]
	v_fma_f64 v[0:1], v[0:1], v[10:11], v[2:3]
	v_div_scale_f64 v[2:3], s[16:17], v[0:1], v[0:1], 1.0
	v_div_scale_f64 v[22:23], vcc, 1.0, v[0:1], 1.0
	v_rcp_f64_e32 v[12:13], v[2:3]
	v_fma_f64 v[20:21], -v[2:3], v[12:13], 1.0
	v_fma_f64 v[12:13], v[12:13], v[20:21], v[12:13]
	v_fma_f64 v[20:21], -v[2:3], v[12:13], 1.0
	v_fma_f64 v[12:13], v[12:13], v[20:21], v[12:13]
	v_mul_f64 v[20:21], v[22:23], v[12:13]
	v_fma_f64 v[2:3], -v[2:3], v[20:21], v[22:23]
	v_div_fmas_f64 v[2:3], v[2:3], v[12:13], v[20:21]
	v_div_fixup_f64 v[2:3], v[2:3], v[0:1], 1.0
	v_mul_f64 v[0:1], v[10:11], v[2:3]
	v_xor_b32_e32 v3, 0x80000000, v3
.LBB126_1070:
	s_andn2_saveexec_b64 s[18:19], s[18:19]
	s_cbranch_execz .LBB126_1072
; %bb.1071:
	v_div_scale_f64 v[10:11], s[16:17], v[0:1], v[0:1], v[2:3]
	v_rcp_f64_e32 v[12:13], v[10:11]
	v_fma_f64 v[20:21], -v[10:11], v[12:13], 1.0
	v_fma_f64 v[12:13], v[12:13], v[20:21], v[12:13]
	v_div_scale_f64 v[20:21], vcc, v[2:3], v[0:1], v[2:3]
	v_fma_f64 v[22:23], -v[10:11], v[12:13], 1.0
	v_fma_f64 v[12:13], v[12:13], v[22:23], v[12:13]
	v_mul_f64 v[22:23], v[20:21], v[12:13]
	v_fma_f64 v[10:11], -v[10:11], v[22:23], v[20:21]
	v_div_fmas_f64 v[10:11], v[10:11], v[12:13], v[22:23]
	v_div_fixup_f64 v[10:11], v[10:11], v[0:1], v[2:3]
	v_fma_f64 v[0:1], v[2:3], v[10:11], v[0:1]
	v_div_scale_f64 v[2:3], s[16:17], v[0:1], v[0:1], 1.0
	v_div_scale_f64 v[22:23], vcc, 1.0, v[0:1], 1.0
	v_rcp_f64_e32 v[12:13], v[2:3]
	v_fma_f64 v[20:21], -v[2:3], v[12:13], 1.0
	v_fma_f64 v[12:13], v[12:13], v[20:21], v[12:13]
	v_fma_f64 v[20:21], -v[2:3], v[12:13], 1.0
	v_fma_f64 v[12:13], v[12:13], v[20:21], v[12:13]
	v_mul_f64 v[20:21], v[22:23], v[12:13]
	v_fma_f64 v[2:3], -v[2:3], v[20:21], v[22:23]
	v_div_fmas_f64 v[2:3], v[2:3], v[12:13], v[20:21]
	v_div_fixup_f64 v[0:1], v[2:3], v[0:1], 1.0
	v_mul_f64 v[2:3], v[10:11], -v[0:1]
.LBB126_1072:
	s_or_b64 exec, exec, s[18:19]
.LBB126_1073:
	s_or_b64 exec, exec, s[4:5]
	v_cmp_ne_u32_e32 vcc, v19, v4
	s_and_saveexec_b64 s[4:5], vcc
	s_xor_b64 s[4:5], exec, s[4:5]
	s_cbranch_execz .LBB126_1079
; %bb.1074:
	v_cmp_eq_u32_e32 vcc, 45, v19
	s_and_saveexec_b64 s[18:19], vcc
	s_cbranch_execz .LBB126_1078
; %bb.1075:
	v_cmp_ne_u32_e32 vcc, 45, v4
	s_xor_b64 s[16:17], s[10:11], -1
	s_and_b64 s[16:17], s[16:17], vcc
	s_and_saveexec_b64 s[24:25], s[16:17]
	s_cbranch_execz .LBB126_1077
; %bb.1076:
	v_ashrrev_i32_e32 v5, 31, v4
	v_lshlrev_b64 v[10:11], 2, v[4:5]
	v_add_co_u32_e32 v10, vcc, v8, v10
	v_addc_co_u32_e32 v11, vcc, v9, v11, vcc
	global_load_dword v5, v[10:11], off
	global_load_dword v12, v[8:9], off offset:180
	s_waitcnt vmcnt(1)
	global_store_dword v[8:9], v5, off offset:180
	s_waitcnt vmcnt(1)
	global_store_dword v[10:11], v12, off
.LBB126_1077:
	s_or_b64 exec, exec, s[24:25]
	v_mov_b32_e32 v19, v4
	v_mov_b32_e32 v18, v4
.LBB126_1078:
	s_or_b64 exec, exec, s[18:19]
.LBB126_1079:
	s_andn2_saveexec_b64 s[4:5], s[4:5]
	s_cbranch_execz .LBB126_1081
; %bb.1080:
	v_mov_b32_e32 v11, s42
	buffer_load_dword v4, v11, s[0:3], 0 offen
	buffer_load_dword v5, v11, s[0:3], 0 offen offset:4
	buffer_load_dword v10, v11, s[0:3], 0 offen offset:8
	s_nop 0
	buffer_load_dword v11, v11, s[0:3], 0 offen offset:12
	v_mov_b32_e32 v19, 45
	s_waitcnt vmcnt(0)
	ds_write2_b64 v16, v[4:5], v[10:11] offset0:92 offset1:93
	v_mov_b32_e32 v11, s41
	buffer_load_dword v4, v11, s[0:3], 0 offen
	buffer_load_dword v5, v11, s[0:3], 0 offen offset:4
	buffer_load_dword v10, v11, s[0:3], 0 offen offset:8
	s_nop 0
	buffer_load_dword v11, v11, s[0:3], 0 offen offset:12
	s_waitcnt vmcnt(0)
	ds_write2_b64 v16, v[4:5], v[10:11] offset0:94 offset1:95
	v_mov_b32_e32 v11, s40
	buffer_load_dword v4, v11, s[0:3], 0 offen
	buffer_load_dword v5, v11, s[0:3], 0 offen offset:4
	buffer_load_dword v10, v11, s[0:3], 0 offen offset:8
	s_nop 0
	buffer_load_dword v11, v11, s[0:3], 0 offen offset:12
	;; [unrolled: 8-line block ×17, first 2 shown]
	s_waitcnt vmcnt(0)
	ds_write2_b64 v16, v[4:5], v[10:11] offset0:126 offset1:127
.LBB126_1081:
	s_or_b64 exec, exec, s[4:5]
	v_cmp_lt_i32_e32 vcc, 45, v19
	s_waitcnt vmcnt(0) lgkmcnt(0)
	s_barrier
	s_and_saveexec_b64 s[4:5], vcc
	s_cbranch_execz .LBB126_1083
; %bb.1082:
	buffer_load_dword v4, off, s[0:3], 0 offset:720
	buffer_load_dword v5, off, s[0:3], 0 offset:724
	;; [unrolled: 1-line block ×16, first 2 shown]
	s_waitcnt vmcnt(12)
	v_mul_f64 v[30:31], v[2:3], v[10:11]
	v_fma_f64 v[30:31], v[0:1], v[4:5], -v[30:31]
	v_mul_f64 v[0:1], v[0:1], v[10:11]
	v_fma_f64 v[4:5], v[2:3], v[4:5], v[0:1]
	buffer_store_dword v30, off, s[0:3], 0 offset:720
	buffer_store_dword v31, off, s[0:3], 0 offset:724
	buffer_store_dword v4, off, s[0:3], 0 offset:728
	buffer_store_dword v5, off, s[0:3], 0 offset:732
	ds_read2_b64 v[0:3], v16 offset0:92 offset1:93
	s_waitcnt lgkmcnt(0)
	v_mul_f64 v[10:11], v[2:3], v[4:5]
	v_fma_f64 v[10:11], v[0:1], v[30:31], -v[10:11]
	v_mul_f64 v[0:1], v[0:1], v[4:5]
	v_fma_f64 v[0:1], v[2:3], v[30:31], v[0:1]
	s_waitcnt vmcnt(14)
	v_add_f64 v[2:3], v[12:13], -v[10:11]
	s_waitcnt vmcnt(12)
	v_add_f64 v[0:1], v[20:21], -v[0:1]
	buffer_store_dword v2, off, s[0:3], 0 offset:736
	buffer_store_dword v3, off, s[0:3], 0 offset:740
	buffer_store_dword v0, off, s[0:3], 0 offset:744
	buffer_store_dword v1, off, s[0:3], 0 offset:748
	ds_read2_b64 v[0:3], v16 offset0:94 offset1:95
	s_waitcnt lgkmcnt(0)
	v_mul_f64 v[10:11], v[2:3], v[4:5]
	v_fma_f64 v[10:11], v[0:1], v[30:31], -v[10:11]
	v_mul_f64 v[0:1], v[0:1], v[4:5]
	v_fma_f64 v[0:1], v[2:3], v[30:31], v[0:1]
	s_waitcnt vmcnt(14)
	v_add_f64 v[2:3], v[22:23], -v[10:11]
	s_waitcnt vmcnt(12)
	v_add_f64 v[0:1], v[24:25], -v[0:1]
	;; [unrolled: 14-line block ×3, first 2 shown]
	buffer_store_dword v3, off, s[0:3], 0 offset:772
	buffer_store_dword v2, off, s[0:3], 0 offset:768
	buffer_store_dword v0, off, s[0:3], 0 offset:776
	buffer_store_dword v1, off, s[0:3], 0 offset:780
	ds_read2_b64 v[0:3], v16 offset0:98 offset1:99
	s_waitcnt lgkmcnt(0)
	v_mul_f64 v[10:11], v[2:3], v[4:5]
	v_fma_f64 v[10:11], v[0:1], v[30:31], -v[10:11]
	v_mul_f64 v[0:1], v[0:1], v[4:5]
	v_fma_f64 v[0:1], v[2:3], v[30:31], v[0:1]
	buffer_load_dword v2, off, s[0:3], 0 offset:784
	buffer_load_dword v3, off, s[0:3], 0 offset:788
	buffer_load_dword v12, off, s[0:3], 0 offset:792
	buffer_load_dword v13, off, s[0:3], 0 offset:796
	s_waitcnt vmcnt(2)
	v_add_f64 v[2:3], v[2:3], -v[10:11]
	s_waitcnt vmcnt(0)
	v_add_f64 v[0:1], v[12:13], -v[0:1]
	buffer_store_dword v3, off, s[0:3], 0 offset:788
	buffer_store_dword v2, off, s[0:3], 0 offset:784
	buffer_store_dword v1, off, s[0:3], 0 offset:796
	buffer_store_dword v0, off, s[0:3], 0 offset:792
	ds_read2_b64 v[0:3], v16 offset0:100 offset1:101
	s_waitcnt lgkmcnt(0)
	v_mul_f64 v[10:11], v[2:3], v[4:5]
	v_fma_f64 v[10:11], v[0:1], v[30:31], -v[10:11]
	v_mul_f64 v[0:1], v[0:1], v[4:5]
	v_fma_f64 v[0:1], v[2:3], v[30:31], v[0:1]
	buffer_load_dword v2, off, s[0:3], 0 offset:800
	buffer_load_dword v3, off, s[0:3], 0 offset:804
	buffer_load_dword v12, off, s[0:3], 0 offset:808
	buffer_load_dword v13, off, s[0:3], 0 offset:812
	s_waitcnt vmcnt(2)
	v_add_f64 v[2:3], v[2:3], -v[10:11]
	s_waitcnt vmcnt(0)
	v_add_f64 v[0:1], v[12:13], -v[0:1]
	;; [unrolled: 18-line block ×3, first 2 shown]
	buffer_store_dword v3, off, s[0:3], 0 offset:820
	buffer_store_dword v2, off, s[0:3], 0 offset:816
	;; [unrolled: 1-line block ×4, first 2 shown]
	ds_read2_b64 v[10:13], v16 offset0:104 offset1:105
	buffer_load_dword v0, off, s[0:3], 0 offset:720
	buffer_load_dword v1, off, s[0:3], 0 offset:724
	;; [unrolled: 1-line block ×4, first 2 shown]
	s_waitcnt vmcnt(0) lgkmcnt(0)
	v_mul_f64 v[4:5], v[12:13], v[2:3]
	v_fma_f64 v[4:5], v[10:11], v[0:1], -v[4:5]
	v_mul_f64 v[10:11], v[10:11], v[2:3]
	v_fma_f64 v[10:11], v[12:13], v[0:1], v[10:11]
	buffer_load_dword v13, off, s[0:3], 0 offset:836
	buffer_load_dword v12, off, s[0:3], 0 offset:832
	s_waitcnt vmcnt(0)
	v_add_f64 v[4:5], v[12:13], -v[4:5]
	buffer_load_dword v13, off, s[0:3], 0 offset:844
	buffer_load_dword v12, off, s[0:3], 0 offset:840
	s_waitcnt vmcnt(0)
	v_add_f64 v[10:11], v[12:13], -v[10:11]
	buffer_store_dword v5, off, s[0:3], 0 offset:836
	buffer_store_dword v4, off, s[0:3], 0 offset:832
	buffer_store_dword v11, off, s[0:3], 0 offset:844
	buffer_store_dword v10, off, s[0:3], 0 offset:840
	ds_read2_b64 v[10:13], v16 offset0:106 offset1:107
	s_waitcnt lgkmcnt(0)
	v_mul_f64 v[4:5], v[12:13], v[2:3]
	v_fma_f64 v[4:5], v[10:11], v[0:1], -v[4:5]
	v_mul_f64 v[10:11], v[10:11], v[2:3]
	v_fma_f64 v[10:11], v[12:13], v[0:1], v[10:11]
	buffer_load_dword v12, off, s[0:3], 0 offset:848
	buffer_load_dword v13, off, s[0:3], 0 offset:852
	buffer_load_dword v20, off, s[0:3], 0 offset:856
	buffer_load_dword v21, off, s[0:3], 0 offset:860
	s_waitcnt vmcnt(2)
	v_add_f64 v[4:5], v[12:13], -v[4:5]
	s_waitcnt vmcnt(0)
	v_add_f64 v[10:11], v[20:21], -v[10:11]
	buffer_store_dword v5, off, s[0:3], 0 offset:852
	buffer_store_dword v4, off, s[0:3], 0 offset:848
	buffer_store_dword v11, off, s[0:3], 0 offset:860
	buffer_store_dword v10, off, s[0:3], 0 offset:856
	ds_read2_b64 v[10:13], v16 offset0:108 offset1:109
	s_waitcnt lgkmcnt(0)
	v_mul_f64 v[4:5], v[12:13], v[2:3]
	v_fma_f64 v[4:5], v[10:11], v[0:1], -v[4:5]
	v_mul_f64 v[10:11], v[10:11], v[2:3]
	v_fma_f64 v[10:11], v[12:13], v[0:1], v[10:11]
	buffer_load_dword v12, off, s[0:3], 0 offset:864
	buffer_load_dword v13, off, s[0:3], 0 offset:868
	buffer_load_dword v20, off, s[0:3], 0 offset:872
	buffer_load_dword v21, off, s[0:3], 0 offset:876
	s_waitcnt vmcnt(2)
	v_add_f64 v[4:5], v[12:13], -v[4:5]
	;; [unrolled: 18-line block ×4, first 2 shown]
	s_waitcnt vmcnt(0)
	v_add_f64 v[10:11], v[20:21], -v[10:11]
	buffer_store_dword v5, off, s[0:3], 0 offset:900
	buffer_store_dword v4, off, s[0:3], 0 offset:896
	;; [unrolled: 1-line block ×4, first 2 shown]
	ds_read2_b64 v[10:13], v16 offset0:114 offset1:115
	s_waitcnt lgkmcnt(0)
	v_mul_f64 v[4:5], v[12:13], v[2:3]
	v_mul_f64 v[2:3], v[10:11], v[2:3]
	v_fma_f64 v[4:5], v[10:11], v[0:1], -v[4:5]
	v_fma_f64 v[0:1], v[12:13], v[0:1], v[2:3]
	buffer_load_dword v2, off, s[0:3], 0 offset:912
	buffer_load_dword v3, off, s[0:3], 0 offset:916
	;; [unrolled: 1-line block ×4, first 2 shown]
	s_waitcnt vmcnt(2)
	v_add_f64 v[2:3], v[2:3], -v[4:5]
	s_waitcnt vmcnt(0)
	v_add_f64 v[0:1], v[10:11], -v[0:1]
	buffer_store_dword v3, off, s[0:3], 0 offset:916
	buffer_store_dword v2, off, s[0:3], 0 offset:912
	;; [unrolled: 1-line block ×4, first 2 shown]
	ds_read2_b64 v[10:13], v16 offset0:116 offset1:117
	buffer_load_dword v0, off, s[0:3], 0 offset:720
	buffer_load_dword v1, off, s[0:3], 0 offset:724
	;; [unrolled: 1-line block ×4, first 2 shown]
	s_waitcnt vmcnt(0) lgkmcnt(0)
	v_mul_f64 v[4:5], v[12:13], v[2:3]
	v_fma_f64 v[4:5], v[10:11], v[0:1], -v[4:5]
	v_mul_f64 v[10:11], v[10:11], v[2:3]
	v_fma_f64 v[10:11], v[12:13], v[0:1], v[10:11]
	buffer_load_dword v13, off, s[0:3], 0 offset:932
	buffer_load_dword v12, off, s[0:3], 0 offset:928
	s_waitcnt vmcnt(0)
	v_add_f64 v[4:5], v[12:13], -v[4:5]
	buffer_load_dword v13, off, s[0:3], 0 offset:940
	buffer_load_dword v12, off, s[0:3], 0 offset:936
	s_waitcnt vmcnt(0)
	v_add_f64 v[10:11], v[12:13], -v[10:11]
	buffer_store_dword v5, off, s[0:3], 0 offset:932
	buffer_store_dword v4, off, s[0:3], 0 offset:928
	buffer_store_dword v11, off, s[0:3], 0 offset:940
	buffer_store_dword v10, off, s[0:3], 0 offset:936
	ds_read2_b64 v[10:13], v16 offset0:118 offset1:119
	s_waitcnt lgkmcnt(0)
	v_mul_f64 v[4:5], v[12:13], v[2:3]
	v_fma_f64 v[4:5], v[10:11], v[0:1], -v[4:5]
	v_mul_f64 v[10:11], v[10:11], v[2:3]
	v_fma_f64 v[10:11], v[12:13], v[0:1], v[10:11]
	buffer_load_dword v12, off, s[0:3], 0 offset:944
	buffer_load_dword v13, off, s[0:3], 0 offset:948
	buffer_load_dword v20, off, s[0:3], 0 offset:952
	buffer_load_dword v21, off, s[0:3], 0 offset:956
	s_waitcnt vmcnt(2)
	v_add_f64 v[4:5], v[12:13], -v[4:5]
	s_waitcnt vmcnt(0)
	v_add_f64 v[10:11], v[20:21], -v[10:11]
	buffer_store_dword v5, off, s[0:3], 0 offset:948
	buffer_store_dword v4, off, s[0:3], 0 offset:944
	buffer_store_dword v11, off, s[0:3], 0 offset:956
	buffer_store_dword v10, off, s[0:3], 0 offset:952
	ds_read2_b64 v[10:13], v16 offset0:120 offset1:121
	s_waitcnt lgkmcnt(0)
	v_mul_f64 v[4:5], v[12:13], v[2:3]
	v_fma_f64 v[4:5], v[10:11], v[0:1], -v[4:5]
	v_mul_f64 v[10:11], v[10:11], v[2:3]
	v_fma_f64 v[10:11], v[12:13], v[0:1], v[10:11]
	buffer_load_dword v12, off, s[0:3], 0 offset:960
	buffer_load_dword v13, off, s[0:3], 0 offset:964
	buffer_load_dword v20, off, s[0:3], 0 offset:968
	buffer_load_dword v21, off, s[0:3], 0 offset:972
	s_waitcnt vmcnt(2)
	v_add_f64 v[4:5], v[12:13], -v[4:5]
	;; [unrolled: 18-line block ×4, first 2 shown]
	s_waitcnt vmcnt(0)
	v_add_f64 v[10:11], v[20:21], -v[10:11]
	buffer_store_dword v5, off, s[0:3], 0 offset:996
	buffer_store_dword v4, off, s[0:3], 0 offset:992
	buffer_store_dword v11, off, s[0:3], 0 offset:1004
	buffer_store_dword v10, off, s[0:3], 0 offset:1000
	ds_read2_b64 v[10:13], v16 offset0:126 offset1:127
	s_waitcnt lgkmcnt(0)
	v_mul_f64 v[4:5], v[12:13], v[2:3]
	v_mul_f64 v[2:3], v[10:11], v[2:3]
	v_fma_f64 v[4:5], v[10:11], v[0:1], -v[4:5]
	v_fma_f64 v[0:1], v[12:13], v[0:1], v[2:3]
	buffer_load_dword v2, off, s[0:3], 0 offset:1008
	buffer_load_dword v3, off, s[0:3], 0 offset:1012
	;; [unrolled: 1-line block ×4, first 2 shown]
	s_waitcnt vmcnt(2)
	v_add_f64 v[2:3], v[2:3], -v[4:5]
	s_waitcnt vmcnt(0)
	v_add_f64 v[0:1], v[10:11], -v[0:1]
	buffer_store_dword v3, off, s[0:3], 0 offset:1012
	buffer_store_dword v2, off, s[0:3], 0 offset:1008
	;; [unrolled: 1-line block ×4, first 2 shown]
.LBB126_1083:
	s_or_b64 exec, exec, s[4:5]
	v_mov_b32_e32 v3, s42
	s_waitcnt vmcnt(0)
	s_barrier
	buffer_load_dword v0, v3, s[0:3], 0 offen
	buffer_load_dword v1, v3, s[0:3], 0 offen offset:4
	buffer_load_dword v2, v3, s[0:3], 0 offen offset:8
	s_nop 0
	buffer_load_dword v3, v3, s[0:3], 0 offen offset:12
	v_lshl_add_u32 v4, v19, 4, v16
	s_cmp_lt_i32 s66, 48
	s_waitcnt vmcnt(0)
	ds_write2_b64 v4, v[0:1], v[2:3] offset1:1
	s_waitcnt lgkmcnt(0)
	s_barrier
	ds_read2_b64 v[0:3], v16 offset0:92 offset1:93
	v_mov_b32_e32 v4, 46
	s_cbranch_scc1 .LBB126_1086
; %bb.1084:
	v_add_u32_e32 v5, 0x2f0, v16
	s_mov_b32 s16, 47
	v_mov_b32_e32 v4, 46
.LBB126_1085:                           ; =>This Inner Loop Header: Depth=1
	s_waitcnt lgkmcnt(0)
	v_cmp_gt_f64_e32 vcc, 0, v[2:3]
	v_cmp_gt_f64_e64 s[4:5], 0, v[0:1]
	ds_read2_b64 v[10:13], v5 offset1:1
	v_xor_b32_e32 v21, 0x80000000, v1
	v_xor_b32_e32 v23, 0x80000000, v3
	v_mov_b32_e32 v20, v0
	v_mov_b32_e32 v22, v2
	s_waitcnt lgkmcnt(0)
	v_xor_b32_e32 v25, 0x80000000, v13
	v_cndmask_b32_e32 v23, v3, v23, vcc
	v_cndmask_b32_e64 v21, v1, v21, s[4:5]
	v_cmp_gt_f64_e32 vcc, 0, v[12:13]
	v_cmp_gt_f64_e64 s[4:5], 0, v[10:11]
	v_add_f64 v[20:21], v[20:21], v[22:23]
	v_xor_b32_e32 v23, 0x80000000, v11
	v_mov_b32_e32 v22, v10
	v_mov_b32_e32 v24, v12
	v_add_u32_e32 v5, 16, v5
	v_cndmask_b32_e32 v25, v13, v25, vcc
	v_cndmask_b32_e64 v23, v11, v23, s[4:5]
	v_add_f64 v[22:23], v[22:23], v[24:25]
	v_mov_b32_e32 v24, s16
	s_add_i32 s16, s16, 1
	s_cmp_lg_u32 s66, s16
	v_cmp_lt_f64_e32 vcc, v[20:21], v[22:23]
	v_cndmask_b32_e32 v1, v1, v11, vcc
	v_cndmask_b32_e32 v0, v0, v10, vcc
	;; [unrolled: 1-line block ×5, first 2 shown]
	s_cbranch_scc1 .LBB126_1085
.LBB126_1086:
	s_waitcnt lgkmcnt(0)
	v_cmp_eq_f64_e32 vcc, 0, v[0:1]
	v_cmp_eq_f64_e64 s[4:5], 0, v[2:3]
	s_and_b64 s[4:5], vcc, s[4:5]
	s_and_saveexec_b64 s[16:17], s[4:5]
	s_xor_b64 s[4:5], exec, s[16:17]
; %bb.1087:
	v_cmp_ne_u32_e32 vcc, 0, v17
	v_cndmask_b32_e32 v17, 47, v17, vcc
; %bb.1088:
	s_andn2_saveexec_b64 s[4:5], s[4:5]
	s_cbranch_execz .LBB126_1094
; %bb.1089:
	v_cmp_ngt_f64_e64 s[16:17], |v[0:1]|, |v[2:3]|
	s_and_saveexec_b64 s[18:19], s[16:17]
	s_xor_b64 s[18:19], exec, s[18:19]
	s_cbranch_execz .LBB126_1091
; %bb.1090:
	v_div_scale_f64 v[10:11], s[16:17], v[2:3], v[2:3], v[0:1]
	v_rcp_f64_e32 v[12:13], v[10:11]
	v_fma_f64 v[20:21], -v[10:11], v[12:13], 1.0
	v_fma_f64 v[12:13], v[12:13], v[20:21], v[12:13]
	v_div_scale_f64 v[20:21], vcc, v[0:1], v[2:3], v[0:1]
	v_fma_f64 v[22:23], -v[10:11], v[12:13], 1.0
	v_fma_f64 v[12:13], v[12:13], v[22:23], v[12:13]
	v_mul_f64 v[22:23], v[20:21], v[12:13]
	v_fma_f64 v[10:11], -v[10:11], v[22:23], v[20:21]
	v_div_fmas_f64 v[10:11], v[10:11], v[12:13], v[22:23]
	v_div_fixup_f64 v[10:11], v[10:11], v[2:3], v[0:1]
	v_fma_f64 v[0:1], v[0:1], v[10:11], v[2:3]
	v_div_scale_f64 v[2:3], s[16:17], v[0:1], v[0:1], 1.0
	v_div_scale_f64 v[22:23], vcc, 1.0, v[0:1], 1.0
	v_rcp_f64_e32 v[12:13], v[2:3]
	v_fma_f64 v[20:21], -v[2:3], v[12:13], 1.0
	v_fma_f64 v[12:13], v[12:13], v[20:21], v[12:13]
	v_fma_f64 v[20:21], -v[2:3], v[12:13], 1.0
	v_fma_f64 v[12:13], v[12:13], v[20:21], v[12:13]
	v_mul_f64 v[20:21], v[22:23], v[12:13]
	v_fma_f64 v[2:3], -v[2:3], v[20:21], v[22:23]
	v_div_fmas_f64 v[2:3], v[2:3], v[12:13], v[20:21]
	v_div_fixup_f64 v[2:3], v[2:3], v[0:1], 1.0
	v_mul_f64 v[0:1], v[10:11], v[2:3]
	v_xor_b32_e32 v3, 0x80000000, v3
.LBB126_1091:
	s_andn2_saveexec_b64 s[18:19], s[18:19]
	s_cbranch_execz .LBB126_1093
; %bb.1092:
	v_div_scale_f64 v[10:11], s[16:17], v[0:1], v[0:1], v[2:3]
	v_rcp_f64_e32 v[12:13], v[10:11]
	v_fma_f64 v[20:21], -v[10:11], v[12:13], 1.0
	v_fma_f64 v[12:13], v[12:13], v[20:21], v[12:13]
	v_div_scale_f64 v[20:21], vcc, v[2:3], v[0:1], v[2:3]
	v_fma_f64 v[22:23], -v[10:11], v[12:13], 1.0
	v_fma_f64 v[12:13], v[12:13], v[22:23], v[12:13]
	v_mul_f64 v[22:23], v[20:21], v[12:13]
	v_fma_f64 v[10:11], -v[10:11], v[22:23], v[20:21]
	v_div_fmas_f64 v[10:11], v[10:11], v[12:13], v[22:23]
	v_div_fixup_f64 v[10:11], v[10:11], v[0:1], v[2:3]
	v_fma_f64 v[0:1], v[2:3], v[10:11], v[0:1]
	v_div_scale_f64 v[2:3], s[16:17], v[0:1], v[0:1], 1.0
	v_div_scale_f64 v[22:23], vcc, 1.0, v[0:1], 1.0
	v_rcp_f64_e32 v[12:13], v[2:3]
	v_fma_f64 v[20:21], -v[2:3], v[12:13], 1.0
	v_fma_f64 v[12:13], v[12:13], v[20:21], v[12:13]
	v_fma_f64 v[20:21], -v[2:3], v[12:13], 1.0
	v_fma_f64 v[12:13], v[12:13], v[20:21], v[12:13]
	v_mul_f64 v[20:21], v[22:23], v[12:13]
	v_fma_f64 v[2:3], -v[2:3], v[20:21], v[22:23]
	v_div_fmas_f64 v[2:3], v[2:3], v[12:13], v[20:21]
	v_div_fixup_f64 v[0:1], v[2:3], v[0:1], 1.0
	v_mul_f64 v[2:3], v[10:11], -v[0:1]
.LBB126_1093:
	s_or_b64 exec, exec, s[18:19]
.LBB126_1094:
	s_or_b64 exec, exec, s[4:5]
	v_cmp_ne_u32_e32 vcc, v19, v4
	s_and_saveexec_b64 s[4:5], vcc
	s_xor_b64 s[4:5], exec, s[4:5]
	s_cbranch_execz .LBB126_1100
; %bb.1095:
	v_cmp_eq_u32_e32 vcc, 46, v19
	s_and_saveexec_b64 s[18:19], vcc
	s_cbranch_execz .LBB126_1099
; %bb.1096:
	v_cmp_ne_u32_e32 vcc, 46, v4
	s_xor_b64 s[16:17], s[10:11], -1
	s_and_b64 s[16:17], s[16:17], vcc
	s_and_saveexec_b64 s[24:25], s[16:17]
	s_cbranch_execz .LBB126_1098
; %bb.1097:
	v_ashrrev_i32_e32 v5, 31, v4
	v_lshlrev_b64 v[10:11], 2, v[4:5]
	v_add_co_u32_e32 v10, vcc, v8, v10
	v_addc_co_u32_e32 v11, vcc, v9, v11, vcc
	global_load_dword v5, v[10:11], off
	global_load_dword v12, v[8:9], off offset:184
	s_waitcnt vmcnt(1)
	global_store_dword v[8:9], v5, off offset:184
	s_waitcnt vmcnt(1)
	global_store_dword v[10:11], v12, off
.LBB126_1098:
	s_or_b64 exec, exec, s[24:25]
	v_mov_b32_e32 v19, v4
	v_mov_b32_e32 v18, v4
.LBB126_1099:
	s_or_b64 exec, exec, s[18:19]
.LBB126_1100:
	s_andn2_saveexec_b64 s[4:5], s[4:5]
	s_cbranch_execz .LBB126_1102
; %bb.1101:
	v_mov_b32_e32 v11, s41
	buffer_load_dword v4, v11, s[0:3], 0 offen
	buffer_load_dword v5, v11, s[0:3], 0 offen offset:4
	buffer_load_dword v10, v11, s[0:3], 0 offen offset:8
	s_nop 0
	buffer_load_dword v11, v11, s[0:3], 0 offen offset:12
	v_mov_b32_e32 v19, 46
	s_waitcnt vmcnt(0)
	ds_write2_b64 v16, v[4:5], v[10:11] offset0:94 offset1:95
	v_mov_b32_e32 v11, s40
	buffer_load_dword v4, v11, s[0:3], 0 offen
	buffer_load_dword v5, v11, s[0:3], 0 offen offset:4
	buffer_load_dword v10, v11, s[0:3], 0 offen offset:8
	s_nop 0
	buffer_load_dword v11, v11, s[0:3], 0 offen offset:12
	s_waitcnt vmcnt(0)
	ds_write2_b64 v16, v[4:5], v[10:11] offset0:96 offset1:97
	v_mov_b32_e32 v11, s39
	buffer_load_dword v4, v11, s[0:3], 0 offen
	buffer_load_dword v5, v11, s[0:3], 0 offen offset:4
	buffer_load_dword v10, v11, s[0:3], 0 offen offset:8
	s_nop 0
	buffer_load_dword v11, v11, s[0:3], 0 offen offset:12
	;; [unrolled: 8-line block ×16, first 2 shown]
	s_waitcnt vmcnt(0)
	ds_write2_b64 v16, v[4:5], v[10:11] offset0:126 offset1:127
.LBB126_1102:
	s_or_b64 exec, exec, s[4:5]
	v_cmp_lt_i32_e32 vcc, 46, v19
	s_waitcnt vmcnt(0) lgkmcnt(0)
	s_barrier
	s_and_saveexec_b64 s[4:5], vcc
	s_cbranch_execz .LBB126_1104
; %bb.1103:
	buffer_load_dword v10, off, s[0:3], 0 offset:736
	buffer_load_dword v11, off, s[0:3], 0 offset:740
	;; [unrolled: 1-line block ×16, first 2 shown]
	s_waitcnt vmcnt(12)
	v_mul_f64 v[4:5], v[2:3], v[12:13]
	v_fma_f64 v[4:5], v[0:1], v[10:11], -v[4:5]
	v_mul_f64 v[0:1], v[0:1], v[12:13]
	v_fma_f64 v[10:11], v[2:3], v[10:11], v[0:1]
	buffer_store_dword v4, off, s[0:3], 0 offset:736
	buffer_store_dword v5, off, s[0:3], 0 offset:740
	buffer_store_dword v10, off, s[0:3], 0 offset:744
	buffer_store_dword v11, off, s[0:3], 0 offset:748
	ds_read2_b64 v[0:3], v16 offset0:94 offset1:95
	s_waitcnt lgkmcnt(0)
	v_mul_f64 v[12:13], v[2:3], v[10:11]
	v_fma_f64 v[12:13], v[0:1], v[4:5], -v[12:13]
	v_mul_f64 v[0:1], v[0:1], v[10:11]
	v_fma_f64 v[0:1], v[2:3], v[4:5], v[0:1]
	s_waitcnt vmcnt(14)
	v_add_f64 v[2:3], v[20:21], -v[12:13]
	s_waitcnt vmcnt(12)
	v_add_f64 v[0:1], v[22:23], -v[0:1]
	buffer_store_dword v2, off, s[0:3], 0 offset:752
	buffer_store_dword v3, off, s[0:3], 0 offset:756
	buffer_store_dword v0, off, s[0:3], 0 offset:760
	buffer_store_dword v1, off, s[0:3], 0 offset:764
	ds_read2_b64 v[0:3], v16 offset0:96 offset1:97
	s_waitcnt lgkmcnt(0)
	v_mul_f64 v[12:13], v[2:3], v[10:11]
	v_fma_f64 v[12:13], v[0:1], v[4:5], -v[12:13]
	v_mul_f64 v[0:1], v[0:1], v[10:11]
	v_fma_f64 v[0:1], v[2:3], v[4:5], v[0:1]
	s_waitcnt vmcnt(14)
	v_add_f64 v[2:3], v[24:25], -v[12:13]
	s_waitcnt vmcnt(12)
	v_add_f64 v[0:1], v[26:27], -v[0:1]
	;; [unrolled: 14-line block ×3, first 2 shown]
	buffer_store_dword v3, off, s[0:3], 0 offset:788
	buffer_store_dword v2, off, s[0:3], 0 offset:784
	buffer_store_dword v0, off, s[0:3], 0 offset:792
	buffer_store_dword v1, off, s[0:3], 0 offset:796
	ds_read2_b64 v[0:3], v16 offset0:100 offset1:101
	s_waitcnt lgkmcnt(0)
	v_mul_f64 v[12:13], v[2:3], v[10:11]
	v_fma_f64 v[12:13], v[0:1], v[4:5], -v[12:13]
	v_mul_f64 v[0:1], v[0:1], v[10:11]
	v_fma_f64 v[0:1], v[2:3], v[4:5], v[0:1]
	buffer_load_dword v2, off, s[0:3], 0 offset:800
	buffer_load_dword v3, off, s[0:3], 0 offset:804
	buffer_load_dword v20, off, s[0:3], 0 offset:808
	buffer_load_dword v21, off, s[0:3], 0 offset:812
	s_waitcnt vmcnt(2)
	v_add_f64 v[2:3], v[2:3], -v[12:13]
	s_waitcnt vmcnt(0)
	v_add_f64 v[0:1], v[20:21], -v[0:1]
	buffer_store_dword v3, off, s[0:3], 0 offset:804
	buffer_store_dword v2, off, s[0:3], 0 offset:800
	buffer_store_dword v1, off, s[0:3], 0 offset:812
	buffer_store_dword v0, off, s[0:3], 0 offset:808
	ds_read2_b64 v[0:3], v16 offset0:102 offset1:103
	s_waitcnt lgkmcnt(0)
	v_mul_f64 v[12:13], v[2:3], v[10:11]
	v_fma_f64 v[12:13], v[0:1], v[4:5], -v[12:13]
	v_mul_f64 v[0:1], v[0:1], v[10:11]
	v_fma_f64 v[0:1], v[2:3], v[4:5], v[0:1]
	buffer_load_dword v2, off, s[0:3], 0 offset:816
	buffer_load_dword v3, off, s[0:3], 0 offset:820
	buffer_load_dword v20, off, s[0:3], 0 offset:824
	buffer_load_dword v21, off, s[0:3], 0 offset:828
	s_waitcnt vmcnt(2)
	v_add_f64 v[2:3], v[2:3], -v[12:13]
	s_waitcnt vmcnt(0)
	v_add_f64 v[0:1], v[20:21], -v[0:1]
	;; [unrolled: 18-line block ×3, first 2 shown]
	buffer_store_dword v3, off, s[0:3], 0 offset:836
	buffer_store_dword v2, off, s[0:3], 0 offset:832
	buffer_store_dword v1, off, s[0:3], 0 offset:844
	buffer_store_dword v0, off, s[0:3], 0 offset:840
	ds_read2_b64 v[2:5], v16 offset0:106 offset1:107
	buffer_load_dword v0, off, s[0:3], 0 offset:736
	buffer_load_dword v1, off, s[0:3], 0 offset:740
	;; [unrolled: 1-line block ×4, first 2 shown]
	s_waitcnt vmcnt(0) lgkmcnt(0)
	v_mul_f64 v[12:13], v[4:5], v[10:11]
	v_fma_f64 v[12:13], v[2:3], v[0:1], -v[12:13]
	v_mul_f64 v[2:3], v[2:3], v[10:11]
	v_fma_f64 v[2:3], v[4:5], v[0:1], v[2:3]
	buffer_load_dword v5, off, s[0:3], 0 offset:852
	buffer_load_dword v4, off, s[0:3], 0 offset:848
	s_waitcnt vmcnt(0)
	v_add_f64 v[4:5], v[4:5], -v[12:13]
	buffer_load_dword v13, off, s[0:3], 0 offset:860
	buffer_load_dword v12, off, s[0:3], 0 offset:856
	s_waitcnt vmcnt(0)
	v_add_f64 v[2:3], v[12:13], -v[2:3]
	buffer_store_dword v5, off, s[0:3], 0 offset:852
	buffer_store_dword v4, off, s[0:3], 0 offset:848
	buffer_store_dword v3, off, s[0:3], 0 offset:860
	buffer_store_dword v2, off, s[0:3], 0 offset:856
	ds_read2_b64 v[2:5], v16 offset0:108 offset1:109
	s_waitcnt lgkmcnt(0)
	v_mul_f64 v[12:13], v[4:5], v[10:11]
	v_fma_f64 v[12:13], v[2:3], v[0:1], -v[12:13]
	v_mul_f64 v[2:3], v[2:3], v[10:11]
	v_fma_f64 v[2:3], v[4:5], v[0:1], v[2:3]
	buffer_load_dword v4, off, s[0:3], 0 offset:864
	buffer_load_dword v5, off, s[0:3], 0 offset:868
	buffer_load_dword v20, off, s[0:3], 0 offset:872
	buffer_load_dword v21, off, s[0:3], 0 offset:876
	s_waitcnt vmcnt(2)
	v_add_f64 v[4:5], v[4:5], -v[12:13]
	s_waitcnt vmcnt(0)
	v_add_f64 v[2:3], v[20:21], -v[2:3]
	buffer_store_dword v5, off, s[0:3], 0 offset:868
	buffer_store_dword v4, off, s[0:3], 0 offset:864
	buffer_store_dword v3, off, s[0:3], 0 offset:876
	buffer_store_dword v2, off, s[0:3], 0 offset:872
	ds_read2_b64 v[2:5], v16 offset0:110 offset1:111
	s_waitcnt lgkmcnt(0)
	v_mul_f64 v[12:13], v[4:5], v[10:11]
	v_fma_f64 v[12:13], v[2:3], v[0:1], -v[12:13]
	v_mul_f64 v[2:3], v[2:3], v[10:11]
	v_fma_f64 v[2:3], v[4:5], v[0:1], v[2:3]
	buffer_load_dword v4, off, s[0:3], 0 offset:880
	buffer_load_dword v5, off, s[0:3], 0 offset:884
	buffer_load_dword v20, off, s[0:3], 0 offset:888
	buffer_load_dword v21, off, s[0:3], 0 offset:892
	s_waitcnt vmcnt(2)
	v_add_f64 v[4:5], v[4:5], -v[12:13]
	;; [unrolled: 18-line block ×5, first 2 shown]
	s_waitcnt vmcnt(0)
	v_add_f64 v[0:1], v[4:5], -v[0:1]
	buffer_store_dword v3, off, s[0:3], 0 offset:932
	buffer_store_dword v2, off, s[0:3], 0 offset:928
	;; [unrolled: 1-line block ×4, first 2 shown]
	ds_read2_b64 v[10:13], v16 offset0:118 offset1:119
	buffer_load_dword v0, off, s[0:3], 0 offset:736
	buffer_load_dword v1, off, s[0:3], 0 offset:740
	;; [unrolled: 1-line block ×4, first 2 shown]
	s_waitcnt vmcnt(0) lgkmcnt(0)
	v_mul_f64 v[4:5], v[12:13], v[2:3]
	v_fma_f64 v[4:5], v[10:11], v[0:1], -v[4:5]
	v_mul_f64 v[10:11], v[10:11], v[2:3]
	v_fma_f64 v[10:11], v[12:13], v[0:1], v[10:11]
	buffer_load_dword v13, off, s[0:3], 0 offset:948
	buffer_load_dword v12, off, s[0:3], 0 offset:944
	s_waitcnt vmcnt(0)
	v_add_f64 v[4:5], v[12:13], -v[4:5]
	buffer_load_dword v13, off, s[0:3], 0 offset:956
	buffer_load_dword v12, off, s[0:3], 0 offset:952
	s_waitcnt vmcnt(0)
	v_add_f64 v[10:11], v[12:13], -v[10:11]
	buffer_store_dword v5, off, s[0:3], 0 offset:948
	buffer_store_dword v4, off, s[0:3], 0 offset:944
	buffer_store_dword v11, off, s[0:3], 0 offset:956
	buffer_store_dword v10, off, s[0:3], 0 offset:952
	ds_read2_b64 v[10:13], v16 offset0:120 offset1:121
	s_waitcnt lgkmcnt(0)
	v_mul_f64 v[4:5], v[12:13], v[2:3]
	v_fma_f64 v[4:5], v[10:11], v[0:1], -v[4:5]
	v_mul_f64 v[10:11], v[10:11], v[2:3]
	v_fma_f64 v[10:11], v[12:13], v[0:1], v[10:11]
	buffer_load_dword v12, off, s[0:3], 0 offset:960
	buffer_load_dword v13, off, s[0:3], 0 offset:964
	buffer_load_dword v20, off, s[0:3], 0 offset:968
	buffer_load_dword v21, off, s[0:3], 0 offset:972
	s_waitcnt vmcnt(2)
	v_add_f64 v[4:5], v[12:13], -v[4:5]
	s_waitcnt vmcnt(0)
	v_add_f64 v[10:11], v[20:21], -v[10:11]
	buffer_store_dword v5, off, s[0:3], 0 offset:964
	buffer_store_dword v4, off, s[0:3], 0 offset:960
	buffer_store_dword v11, off, s[0:3], 0 offset:972
	buffer_store_dword v10, off, s[0:3], 0 offset:968
	ds_read2_b64 v[10:13], v16 offset0:122 offset1:123
	s_waitcnt lgkmcnt(0)
	v_mul_f64 v[4:5], v[12:13], v[2:3]
	v_fma_f64 v[4:5], v[10:11], v[0:1], -v[4:5]
	v_mul_f64 v[10:11], v[10:11], v[2:3]
	v_fma_f64 v[10:11], v[12:13], v[0:1], v[10:11]
	buffer_load_dword v12, off, s[0:3], 0 offset:976
	buffer_load_dword v13, off, s[0:3], 0 offset:980
	buffer_load_dword v20, off, s[0:3], 0 offset:984
	buffer_load_dword v21, off, s[0:3], 0 offset:988
	s_waitcnt vmcnt(2)
	v_add_f64 v[4:5], v[12:13], -v[4:5]
	;; [unrolled: 18-line block ×3, first 2 shown]
	s_waitcnt vmcnt(0)
	v_add_f64 v[10:11], v[20:21], -v[10:11]
	buffer_store_dword v5, off, s[0:3], 0 offset:996
	buffer_store_dword v4, off, s[0:3], 0 offset:992
	;; [unrolled: 1-line block ×4, first 2 shown]
	ds_read2_b64 v[10:13], v16 offset0:126 offset1:127
	s_waitcnt lgkmcnt(0)
	v_mul_f64 v[4:5], v[12:13], v[2:3]
	v_mul_f64 v[2:3], v[10:11], v[2:3]
	v_fma_f64 v[4:5], v[10:11], v[0:1], -v[4:5]
	v_fma_f64 v[0:1], v[12:13], v[0:1], v[2:3]
	buffer_load_dword v2, off, s[0:3], 0 offset:1008
	buffer_load_dword v3, off, s[0:3], 0 offset:1012
	buffer_load_dword v10, off, s[0:3], 0 offset:1016
	buffer_load_dword v11, off, s[0:3], 0 offset:1020
	s_waitcnt vmcnt(2)
	v_add_f64 v[2:3], v[2:3], -v[4:5]
	s_waitcnt vmcnt(0)
	v_add_f64 v[0:1], v[10:11], -v[0:1]
	buffer_store_dword v3, off, s[0:3], 0 offset:1012
	buffer_store_dword v2, off, s[0:3], 0 offset:1008
	;; [unrolled: 1-line block ×4, first 2 shown]
.LBB126_1104:
	s_or_b64 exec, exec, s[4:5]
	v_mov_b32_e32 v3, s41
	s_waitcnt vmcnt(0)
	s_barrier
	buffer_load_dword v0, v3, s[0:3], 0 offen
	buffer_load_dword v1, v3, s[0:3], 0 offen offset:4
	buffer_load_dword v2, v3, s[0:3], 0 offen offset:8
	s_nop 0
	buffer_load_dword v3, v3, s[0:3], 0 offen offset:12
	v_lshl_add_u32 v4, v19, 4, v16
	s_cmp_lt_i32 s66, 49
	s_waitcnt vmcnt(0)
	ds_write2_b64 v4, v[0:1], v[2:3] offset1:1
	s_waitcnt lgkmcnt(0)
	s_barrier
	ds_read2_b64 v[0:3], v16 offset0:94 offset1:95
	v_mov_b32_e32 v4, 47
	s_cbranch_scc1 .LBB126_1107
; %bb.1105:
	v_add_u32_e32 v5, 0x300, v16
	s_mov_b32 s16, 48
	v_mov_b32_e32 v4, 47
.LBB126_1106:                           ; =>This Inner Loop Header: Depth=1
	s_waitcnt lgkmcnt(0)
	v_cmp_gt_f64_e32 vcc, 0, v[2:3]
	v_cmp_gt_f64_e64 s[4:5], 0, v[0:1]
	ds_read2_b64 v[10:13], v5 offset1:1
	v_xor_b32_e32 v21, 0x80000000, v1
	v_xor_b32_e32 v23, 0x80000000, v3
	v_mov_b32_e32 v20, v0
	v_mov_b32_e32 v22, v2
	s_waitcnt lgkmcnt(0)
	v_xor_b32_e32 v25, 0x80000000, v13
	v_cndmask_b32_e32 v23, v3, v23, vcc
	v_cndmask_b32_e64 v21, v1, v21, s[4:5]
	v_cmp_gt_f64_e32 vcc, 0, v[12:13]
	v_cmp_gt_f64_e64 s[4:5], 0, v[10:11]
	v_add_f64 v[20:21], v[20:21], v[22:23]
	v_xor_b32_e32 v23, 0x80000000, v11
	v_mov_b32_e32 v22, v10
	v_mov_b32_e32 v24, v12
	v_add_u32_e32 v5, 16, v5
	v_cndmask_b32_e32 v25, v13, v25, vcc
	v_cndmask_b32_e64 v23, v11, v23, s[4:5]
	v_add_f64 v[22:23], v[22:23], v[24:25]
	v_mov_b32_e32 v24, s16
	s_add_i32 s16, s16, 1
	s_cmp_lg_u32 s66, s16
	v_cmp_lt_f64_e32 vcc, v[20:21], v[22:23]
	v_cndmask_b32_e32 v1, v1, v11, vcc
	v_cndmask_b32_e32 v0, v0, v10, vcc
	;; [unrolled: 1-line block ×5, first 2 shown]
	s_cbranch_scc1 .LBB126_1106
.LBB126_1107:
	s_waitcnt lgkmcnt(0)
	v_cmp_eq_f64_e32 vcc, 0, v[0:1]
	v_cmp_eq_f64_e64 s[4:5], 0, v[2:3]
	s_and_b64 s[4:5], vcc, s[4:5]
	s_and_saveexec_b64 s[16:17], s[4:5]
	s_xor_b64 s[4:5], exec, s[16:17]
; %bb.1108:
	v_cmp_ne_u32_e32 vcc, 0, v17
	v_cndmask_b32_e32 v17, 48, v17, vcc
; %bb.1109:
	s_andn2_saveexec_b64 s[4:5], s[4:5]
	s_cbranch_execz .LBB126_1115
; %bb.1110:
	v_cmp_ngt_f64_e64 s[16:17], |v[0:1]|, |v[2:3]|
	s_and_saveexec_b64 s[18:19], s[16:17]
	s_xor_b64 s[18:19], exec, s[18:19]
	s_cbranch_execz .LBB126_1112
; %bb.1111:
	v_div_scale_f64 v[10:11], s[16:17], v[2:3], v[2:3], v[0:1]
	v_rcp_f64_e32 v[12:13], v[10:11]
	v_fma_f64 v[20:21], -v[10:11], v[12:13], 1.0
	v_fma_f64 v[12:13], v[12:13], v[20:21], v[12:13]
	v_div_scale_f64 v[20:21], vcc, v[0:1], v[2:3], v[0:1]
	v_fma_f64 v[22:23], -v[10:11], v[12:13], 1.0
	v_fma_f64 v[12:13], v[12:13], v[22:23], v[12:13]
	v_mul_f64 v[22:23], v[20:21], v[12:13]
	v_fma_f64 v[10:11], -v[10:11], v[22:23], v[20:21]
	v_div_fmas_f64 v[10:11], v[10:11], v[12:13], v[22:23]
	v_div_fixup_f64 v[10:11], v[10:11], v[2:3], v[0:1]
	v_fma_f64 v[0:1], v[0:1], v[10:11], v[2:3]
	v_div_scale_f64 v[2:3], s[16:17], v[0:1], v[0:1], 1.0
	v_div_scale_f64 v[22:23], vcc, 1.0, v[0:1], 1.0
	v_rcp_f64_e32 v[12:13], v[2:3]
	v_fma_f64 v[20:21], -v[2:3], v[12:13], 1.0
	v_fma_f64 v[12:13], v[12:13], v[20:21], v[12:13]
	v_fma_f64 v[20:21], -v[2:3], v[12:13], 1.0
	v_fma_f64 v[12:13], v[12:13], v[20:21], v[12:13]
	v_mul_f64 v[20:21], v[22:23], v[12:13]
	v_fma_f64 v[2:3], -v[2:3], v[20:21], v[22:23]
	v_div_fmas_f64 v[2:3], v[2:3], v[12:13], v[20:21]
	v_div_fixup_f64 v[2:3], v[2:3], v[0:1], 1.0
	v_mul_f64 v[0:1], v[10:11], v[2:3]
	v_xor_b32_e32 v3, 0x80000000, v3
.LBB126_1112:
	s_andn2_saveexec_b64 s[18:19], s[18:19]
	s_cbranch_execz .LBB126_1114
; %bb.1113:
	v_div_scale_f64 v[10:11], s[16:17], v[0:1], v[0:1], v[2:3]
	v_rcp_f64_e32 v[12:13], v[10:11]
	v_fma_f64 v[20:21], -v[10:11], v[12:13], 1.0
	v_fma_f64 v[12:13], v[12:13], v[20:21], v[12:13]
	v_div_scale_f64 v[20:21], vcc, v[2:3], v[0:1], v[2:3]
	v_fma_f64 v[22:23], -v[10:11], v[12:13], 1.0
	v_fma_f64 v[12:13], v[12:13], v[22:23], v[12:13]
	v_mul_f64 v[22:23], v[20:21], v[12:13]
	v_fma_f64 v[10:11], -v[10:11], v[22:23], v[20:21]
	v_div_fmas_f64 v[10:11], v[10:11], v[12:13], v[22:23]
	v_div_fixup_f64 v[10:11], v[10:11], v[0:1], v[2:3]
	v_fma_f64 v[0:1], v[2:3], v[10:11], v[0:1]
	v_div_scale_f64 v[2:3], s[16:17], v[0:1], v[0:1], 1.0
	v_div_scale_f64 v[22:23], vcc, 1.0, v[0:1], 1.0
	v_rcp_f64_e32 v[12:13], v[2:3]
	v_fma_f64 v[20:21], -v[2:3], v[12:13], 1.0
	v_fma_f64 v[12:13], v[12:13], v[20:21], v[12:13]
	v_fma_f64 v[20:21], -v[2:3], v[12:13], 1.0
	v_fma_f64 v[12:13], v[12:13], v[20:21], v[12:13]
	v_mul_f64 v[20:21], v[22:23], v[12:13]
	v_fma_f64 v[2:3], -v[2:3], v[20:21], v[22:23]
	v_div_fmas_f64 v[2:3], v[2:3], v[12:13], v[20:21]
	v_div_fixup_f64 v[0:1], v[2:3], v[0:1], 1.0
	v_mul_f64 v[2:3], v[10:11], -v[0:1]
.LBB126_1114:
	s_or_b64 exec, exec, s[18:19]
.LBB126_1115:
	s_or_b64 exec, exec, s[4:5]
	v_cmp_ne_u32_e32 vcc, v19, v4
	s_and_saveexec_b64 s[4:5], vcc
	s_xor_b64 s[4:5], exec, s[4:5]
	s_cbranch_execz .LBB126_1121
; %bb.1116:
	v_cmp_eq_u32_e32 vcc, 47, v19
	s_and_saveexec_b64 s[18:19], vcc
	s_cbranch_execz .LBB126_1120
; %bb.1117:
	v_cmp_ne_u32_e32 vcc, 47, v4
	s_xor_b64 s[16:17], s[10:11], -1
	s_and_b64 s[16:17], s[16:17], vcc
	s_and_saveexec_b64 s[24:25], s[16:17]
	s_cbranch_execz .LBB126_1119
; %bb.1118:
	v_ashrrev_i32_e32 v5, 31, v4
	v_lshlrev_b64 v[10:11], 2, v[4:5]
	v_add_co_u32_e32 v10, vcc, v8, v10
	v_addc_co_u32_e32 v11, vcc, v9, v11, vcc
	global_load_dword v5, v[10:11], off
	global_load_dword v12, v[8:9], off offset:188
	s_waitcnt vmcnt(1)
	global_store_dword v[8:9], v5, off offset:188
	s_waitcnt vmcnt(1)
	global_store_dword v[10:11], v12, off
.LBB126_1119:
	s_or_b64 exec, exec, s[24:25]
	v_mov_b32_e32 v19, v4
	v_mov_b32_e32 v18, v4
.LBB126_1120:
	s_or_b64 exec, exec, s[18:19]
.LBB126_1121:
	s_andn2_saveexec_b64 s[4:5], s[4:5]
	s_cbranch_execz .LBB126_1123
; %bb.1122:
	v_mov_b32_e32 v11, s40
	buffer_load_dword v4, v11, s[0:3], 0 offen
	buffer_load_dword v5, v11, s[0:3], 0 offen offset:4
	buffer_load_dword v10, v11, s[0:3], 0 offen offset:8
	s_nop 0
	buffer_load_dword v11, v11, s[0:3], 0 offen offset:12
	v_mov_b32_e32 v19, 47
	s_waitcnt vmcnt(0)
	ds_write2_b64 v16, v[4:5], v[10:11] offset0:96 offset1:97
	v_mov_b32_e32 v11, s39
	buffer_load_dword v4, v11, s[0:3], 0 offen
	buffer_load_dword v5, v11, s[0:3], 0 offen offset:4
	buffer_load_dword v10, v11, s[0:3], 0 offen offset:8
	s_nop 0
	buffer_load_dword v11, v11, s[0:3], 0 offen offset:12
	s_waitcnt vmcnt(0)
	ds_write2_b64 v16, v[4:5], v[10:11] offset0:98 offset1:99
	v_mov_b32_e32 v11, s38
	buffer_load_dword v4, v11, s[0:3], 0 offen
	buffer_load_dword v5, v11, s[0:3], 0 offen offset:4
	buffer_load_dword v10, v11, s[0:3], 0 offen offset:8
	s_nop 0
	buffer_load_dword v11, v11, s[0:3], 0 offen offset:12
	s_waitcnt vmcnt(0)
	ds_write2_b64 v16, v[4:5], v[10:11] offset0:100 offset1:101
	v_mov_b32_e32 v11, s37
	buffer_load_dword v4, v11, s[0:3], 0 offen
	buffer_load_dword v5, v11, s[0:3], 0 offen offset:4
	buffer_load_dword v10, v11, s[0:3], 0 offen offset:8
	s_nop 0
	buffer_load_dword v11, v11, s[0:3], 0 offen offset:12
	s_waitcnt vmcnt(0)
	ds_write2_b64 v16, v[4:5], v[10:11] offset0:102 offset1:103
	v_mov_b32_e32 v11, s36
	buffer_load_dword v4, v11, s[0:3], 0 offen
	buffer_load_dword v5, v11, s[0:3], 0 offen offset:4
	buffer_load_dword v10, v11, s[0:3], 0 offen offset:8
	s_nop 0
	buffer_load_dword v11, v11, s[0:3], 0 offen offset:12
	s_waitcnt vmcnt(0)
	ds_write2_b64 v16, v[4:5], v[10:11] offset0:104 offset1:105
	v_mov_b32_e32 v11, s35
	buffer_load_dword v4, v11, s[0:3], 0 offen
	buffer_load_dword v5, v11, s[0:3], 0 offen offset:4
	buffer_load_dword v10, v11, s[0:3], 0 offen offset:8
	s_nop 0
	buffer_load_dword v11, v11, s[0:3], 0 offen offset:12
	s_waitcnt vmcnt(0)
	ds_write2_b64 v16, v[4:5], v[10:11] offset0:106 offset1:107
	v_mov_b32_e32 v11, s34
	buffer_load_dword v4, v11, s[0:3], 0 offen
	buffer_load_dword v5, v11, s[0:3], 0 offen offset:4
	buffer_load_dword v10, v11, s[0:3], 0 offen offset:8
	s_nop 0
	buffer_load_dword v11, v11, s[0:3], 0 offen offset:12
	s_waitcnt vmcnt(0)
	ds_write2_b64 v16, v[4:5], v[10:11] offset0:108 offset1:109
	v_mov_b32_e32 v11, s33
	buffer_load_dword v4, v11, s[0:3], 0 offen
	buffer_load_dword v5, v11, s[0:3], 0 offen offset:4
	buffer_load_dword v10, v11, s[0:3], 0 offen offset:8
	s_nop 0
	buffer_load_dword v11, v11, s[0:3], 0 offen offset:12
	s_waitcnt vmcnt(0)
	ds_write2_b64 v16, v[4:5], v[10:11] offset0:110 offset1:111
	v_mov_b32_e32 v11, s31
	buffer_load_dword v4, v11, s[0:3], 0 offen
	buffer_load_dword v5, v11, s[0:3], 0 offen offset:4
	buffer_load_dword v10, v11, s[0:3], 0 offen offset:8
	s_nop 0
	buffer_load_dword v11, v11, s[0:3], 0 offen offset:12
	s_waitcnt vmcnt(0)
	ds_write2_b64 v16, v[4:5], v[10:11] offset0:112 offset1:113
	v_mov_b32_e32 v11, s30
	buffer_load_dword v4, v11, s[0:3], 0 offen
	buffer_load_dword v5, v11, s[0:3], 0 offen offset:4
	buffer_load_dword v10, v11, s[0:3], 0 offen offset:8
	s_nop 0
	buffer_load_dword v11, v11, s[0:3], 0 offen offset:12
	s_waitcnt vmcnt(0)
	ds_write2_b64 v16, v[4:5], v[10:11] offset0:114 offset1:115
	v_mov_b32_e32 v11, s29
	buffer_load_dword v4, v11, s[0:3], 0 offen
	buffer_load_dword v5, v11, s[0:3], 0 offen offset:4
	buffer_load_dword v10, v11, s[0:3], 0 offen offset:8
	s_nop 0
	buffer_load_dword v11, v11, s[0:3], 0 offen offset:12
	s_waitcnt vmcnt(0)
	ds_write2_b64 v16, v[4:5], v[10:11] offset0:116 offset1:117
	v_mov_b32_e32 v11, s28
	buffer_load_dword v4, v11, s[0:3], 0 offen
	buffer_load_dword v5, v11, s[0:3], 0 offen offset:4
	buffer_load_dword v10, v11, s[0:3], 0 offen offset:8
	s_nop 0
	buffer_load_dword v11, v11, s[0:3], 0 offen offset:12
	s_waitcnt vmcnt(0)
	ds_write2_b64 v16, v[4:5], v[10:11] offset0:118 offset1:119
	v_mov_b32_e32 v11, s27
	buffer_load_dword v4, v11, s[0:3], 0 offen
	buffer_load_dword v5, v11, s[0:3], 0 offen offset:4
	buffer_load_dword v10, v11, s[0:3], 0 offen offset:8
	s_nop 0
	buffer_load_dword v11, v11, s[0:3], 0 offen offset:12
	s_waitcnt vmcnt(0)
	ds_write2_b64 v16, v[4:5], v[10:11] offset0:120 offset1:121
	v_mov_b32_e32 v11, s26
	buffer_load_dword v4, v11, s[0:3], 0 offen
	buffer_load_dword v5, v11, s[0:3], 0 offen offset:4
	buffer_load_dword v10, v11, s[0:3], 0 offen offset:8
	s_nop 0
	buffer_load_dword v11, v11, s[0:3], 0 offen offset:12
	s_waitcnt vmcnt(0)
	ds_write2_b64 v16, v[4:5], v[10:11] offset0:122 offset1:123
	v_mov_b32_e32 v11, s20
	buffer_load_dword v4, v11, s[0:3], 0 offen
	buffer_load_dword v5, v11, s[0:3], 0 offen offset:4
	buffer_load_dword v10, v11, s[0:3], 0 offen offset:8
	s_nop 0
	buffer_load_dword v11, v11, s[0:3], 0 offen offset:12
	s_waitcnt vmcnt(0)
	ds_write2_b64 v16, v[4:5], v[10:11] offset0:124 offset1:125
	v_mov_b32_e32 v11, s7
	buffer_load_dword v4, v11, s[0:3], 0 offen
	buffer_load_dword v5, v11, s[0:3], 0 offen offset:4
	buffer_load_dword v10, v11, s[0:3], 0 offen offset:8
	s_nop 0
	buffer_load_dword v11, v11, s[0:3], 0 offen offset:12
	s_waitcnt vmcnt(0)
	ds_write2_b64 v16, v[4:5], v[10:11] offset0:126 offset1:127
.LBB126_1123:
	s_or_b64 exec, exec, s[4:5]
	v_cmp_lt_i32_e32 vcc, 47, v19
	s_waitcnt vmcnt(0) lgkmcnt(0)
	s_barrier
	s_and_saveexec_b64 s[4:5], vcc
	s_cbranch_execz .LBB126_1125
; %bb.1124:
	buffer_load_dword v10, off, s[0:3], 0 offset:752
	buffer_load_dword v11, off, s[0:3], 0 offset:756
	;; [unrolled: 1-line block ×16, first 2 shown]
	s_waitcnt vmcnt(12)
	v_mul_f64 v[4:5], v[2:3], v[12:13]
	v_fma_f64 v[4:5], v[0:1], v[10:11], -v[4:5]
	v_mul_f64 v[0:1], v[0:1], v[12:13]
	v_fma_f64 v[10:11], v[2:3], v[10:11], v[0:1]
	buffer_store_dword v4, off, s[0:3], 0 offset:752
	buffer_store_dword v5, off, s[0:3], 0 offset:756
	buffer_store_dword v10, off, s[0:3], 0 offset:760
	buffer_store_dword v11, off, s[0:3], 0 offset:764
	ds_read2_b64 v[0:3], v16 offset0:96 offset1:97
	s_waitcnt lgkmcnt(0)
	v_mul_f64 v[12:13], v[2:3], v[10:11]
	v_fma_f64 v[12:13], v[0:1], v[4:5], -v[12:13]
	v_mul_f64 v[0:1], v[0:1], v[10:11]
	v_fma_f64 v[0:1], v[2:3], v[4:5], v[0:1]
	s_waitcnt vmcnt(14)
	v_add_f64 v[2:3], v[20:21], -v[12:13]
	s_waitcnt vmcnt(12)
	v_add_f64 v[0:1], v[22:23], -v[0:1]
	buffer_store_dword v2, off, s[0:3], 0 offset:768
	buffer_store_dword v3, off, s[0:3], 0 offset:772
	buffer_store_dword v0, off, s[0:3], 0 offset:776
	buffer_store_dword v1, off, s[0:3], 0 offset:780
	ds_read2_b64 v[0:3], v16 offset0:98 offset1:99
	s_waitcnt lgkmcnt(0)
	v_mul_f64 v[12:13], v[2:3], v[10:11]
	v_fma_f64 v[12:13], v[0:1], v[4:5], -v[12:13]
	v_mul_f64 v[0:1], v[0:1], v[10:11]
	v_fma_f64 v[0:1], v[2:3], v[4:5], v[0:1]
	s_waitcnt vmcnt(14)
	v_add_f64 v[2:3], v[24:25], -v[12:13]
	s_waitcnt vmcnt(12)
	v_add_f64 v[0:1], v[26:27], -v[0:1]
	;; [unrolled: 14-line block ×3, first 2 shown]
	buffer_store_dword v3, off, s[0:3], 0 offset:804
	buffer_store_dword v2, off, s[0:3], 0 offset:800
	buffer_store_dword v0, off, s[0:3], 0 offset:808
	buffer_store_dword v1, off, s[0:3], 0 offset:812
	ds_read2_b64 v[0:3], v16 offset0:102 offset1:103
	s_waitcnt lgkmcnt(0)
	v_mul_f64 v[12:13], v[2:3], v[10:11]
	v_fma_f64 v[12:13], v[0:1], v[4:5], -v[12:13]
	v_mul_f64 v[0:1], v[0:1], v[10:11]
	v_fma_f64 v[0:1], v[2:3], v[4:5], v[0:1]
	buffer_load_dword v2, off, s[0:3], 0 offset:816
	buffer_load_dword v3, off, s[0:3], 0 offset:820
	buffer_load_dword v20, off, s[0:3], 0 offset:824
	buffer_load_dword v21, off, s[0:3], 0 offset:828
	s_waitcnt vmcnt(2)
	v_add_f64 v[2:3], v[2:3], -v[12:13]
	s_waitcnt vmcnt(0)
	v_add_f64 v[0:1], v[20:21], -v[0:1]
	buffer_store_dword v3, off, s[0:3], 0 offset:820
	buffer_store_dword v2, off, s[0:3], 0 offset:816
	buffer_store_dword v1, off, s[0:3], 0 offset:828
	buffer_store_dword v0, off, s[0:3], 0 offset:824
	ds_read2_b64 v[0:3], v16 offset0:104 offset1:105
	s_waitcnt lgkmcnt(0)
	v_mul_f64 v[12:13], v[2:3], v[10:11]
	v_fma_f64 v[12:13], v[0:1], v[4:5], -v[12:13]
	v_mul_f64 v[0:1], v[0:1], v[10:11]
	v_fma_f64 v[0:1], v[2:3], v[4:5], v[0:1]
	buffer_load_dword v2, off, s[0:3], 0 offset:832
	buffer_load_dword v3, off, s[0:3], 0 offset:836
	buffer_load_dword v20, off, s[0:3], 0 offset:840
	buffer_load_dword v21, off, s[0:3], 0 offset:844
	s_waitcnt vmcnt(2)
	v_add_f64 v[2:3], v[2:3], -v[12:13]
	s_waitcnt vmcnt(0)
	v_add_f64 v[0:1], v[20:21], -v[0:1]
	buffer_store_dword v3, off, s[0:3], 0 offset:836
	buffer_store_dword v2, off, s[0:3], 0 offset:832
	buffer_store_dword v1, off, s[0:3], 0 offset:844
	buffer_store_dword v0, off, s[0:3], 0 offset:840
	ds_read2_b64 v[0:3], v16 offset0:106 offset1:107
	s_waitcnt lgkmcnt(0)
	v_mul_f64 v[12:13], v[2:3], v[10:11]
	v_fma_f64 v[12:13], v[0:1], v[4:5], -v[12:13]
	v_mul_f64 v[0:1], v[0:1], v[10:11]
	v_fma_f64 v[0:1], v[2:3], v[4:5], v[0:1]
	buffer_load_dword v2, off, s[0:3], 0 offset:848
	buffer_load_dword v3, off, s[0:3], 0 offset:852
	buffer_load_dword v4, off, s[0:3], 0 offset:856
	buffer_load_dword v5, off, s[0:3], 0 offset:860
	s_waitcnt vmcnt(2)
	v_add_f64 v[2:3], v[2:3], -v[12:13]
	s_waitcnt vmcnt(0)
	v_add_f64 v[0:1], v[4:5], -v[0:1]
	buffer_store_dword v3, off, s[0:3], 0 offset:852
	buffer_store_dword v2, off, s[0:3], 0 offset:848
	buffer_store_dword v1, off, s[0:3], 0 offset:860
	buffer_store_dword v0, off, s[0:3], 0 offset:856
	ds_read2_b64 v[2:5], v16 offset0:108 offset1:109
	buffer_load_dword v0, off, s[0:3], 0 offset:752
	buffer_load_dword v1, off, s[0:3], 0 offset:756
	;; [unrolled: 1-line block ×4, first 2 shown]
	s_waitcnt vmcnt(0) lgkmcnt(0)
	v_mul_f64 v[12:13], v[4:5], v[10:11]
	v_fma_f64 v[12:13], v[2:3], v[0:1], -v[12:13]
	v_mul_f64 v[2:3], v[2:3], v[10:11]
	v_fma_f64 v[2:3], v[4:5], v[0:1], v[2:3]
	buffer_load_dword v5, off, s[0:3], 0 offset:868
	buffer_load_dword v4, off, s[0:3], 0 offset:864
	s_waitcnt vmcnt(0)
	v_add_f64 v[4:5], v[4:5], -v[12:13]
	buffer_load_dword v13, off, s[0:3], 0 offset:876
	buffer_load_dword v12, off, s[0:3], 0 offset:872
	s_waitcnt vmcnt(0)
	v_add_f64 v[2:3], v[12:13], -v[2:3]
	buffer_store_dword v5, off, s[0:3], 0 offset:868
	buffer_store_dword v4, off, s[0:3], 0 offset:864
	buffer_store_dword v3, off, s[0:3], 0 offset:876
	buffer_store_dword v2, off, s[0:3], 0 offset:872
	ds_read2_b64 v[2:5], v16 offset0:110 offset1:111
	s_waitcnt lgkmcnt(0)
	v_mul_f64 v[12:13], v[4:5], v[10:11]
	v_fma_f64 v[12:13], v[2:3], v[0:1], -v[12:13]
	v_mul_f64 v[2:3], v[2:3], v[10:11]
	v_fma_f64 v[2:3], v[4:5], v[0:1], v[2:3]
	buffer_load_dword v4, off, s[0:3], 0 offset:880
	buffer_load_dword v5, off, s[0:3], 0 offset:884
	buffer_load_dword v20, off, s[0:3], 0 offset:888
	buffer_load_dword v21, off, s[0:3], 0 offset:892
	s_waitcnt vmcnt(2)
	v_add_f64 v[4:5], v[4:5], -v[12:13]
	s_waitcnt vmcnt(0)
	v_add_f64 v[2:3], v[20:21], -v[2:3]
	buffer_store_dword v5, off, s[0:3], 0 offset:884
	buffer_store_dword v4, off, s[0:3], 0 offset:880
	buffer_store_dword v3, off, s[0:3], 0 offset:892
	buffer_store_dword v2, off, s[0:3], 0 offset:888
	ds_read2_b64 v[2:5], v16 offset0:112 offset1:113
	s_waitcnt lgkmcnt(0)
	v_mul_f64 v[12:13], v[4:5], v[10:11]
	v_fma_f64 v[12:13], v[2:3], v[0:1], -v[12:13]
	v_mul_f64 v[2:3], v[2:3], v[10:11]
	v_fma_f64 v[2:3], v[4:5], v[0:1], v[2:3]
	buffer_load_dword v4, off, s[0:3], 0 offset:896
	buffer_load_dword v5, off, s[0:3], 0 offset:900
	buffer_load_dword v20, off, s[0:3], 0 offset:904
	buffer_load_dword v21, off, s[0:3], 0 offset:908
	s_waitcnt vmcnt(2)
	v_add_f64 v[4:5], v[4:5], -v[12:13]
	;; [unrolled: 18-line block ×5, first 2 shown]
	s_waitcnt vmcnt(0)
	v_add_f64 v[0:1], v[4:5], -v[0:1]
	buffer_store_dword v3, off, s[0:3], 0 offset:948
	buffer_store_dword v2, off, s[0:3], 0 offset:944
	;; [unrolled: 1-line block ×4, first 2 shown]
	ds_read2_b64 v[10:13], v16 offset0:120 offset1:121
	buffer_load_dword v0, off, s[0:3], 0 offset:752
	buffer_load_dword v1, off, s[0:3], 0 offset:756
	;; [unrolled: 1-line block ×4, first 2 shown]
	s_waitcnt vmcnt(0) lgkmcnt(0)
	v_mul_f64 v[4:5], v[12:13], v[2:3]
	v_fma_f64 v[4:5], v[10:11], v[0:1], -v[4:5]
	v_mul_f64 v[10:11], v[10:11], v[2:3]
	v_fma_f64 v[10:11], v[12:13], v[0:1], v[10:11]
	buffer_load_dword v13, off, s[0:3], 0 offset:964
	buffer_load_dword v12, off, s[0:3], 0 offset:960
	s_waitcnt vmcnt(0)
	v_add_f64 v[4:5], v[12:13], -v[4:5]
	buffer_load_dword v13, off, s[0:3], 0 offset:972
	buffer_load_dword v12, off, s[0:3], 0 offset:968
	s_waitcnt vmcnt(0)
	v_add_f64 v[10:11], v[12:13], -v[10:11]
	buffer_store_dword v5, off, s[0:3], 0 offset:964
	buffer_store_dword v4, off, s[0:3], 0 offset:960
	;; [unrolled: 1-line block ×4, first 2 shown]
	ds_read2_b64 v[10:13], v16 offset0:122 offset1:123
	s_waitcnt lgkmcnt(0)
	v_mul_f64 v[4:5], v[12:13], v[2:3]
	v_fma_f64 v[4:5], v[10:11], v[0:1], -v[4:5]
	v_mul_f64 v[10:11], v[10:11], v[2:3]
	v_fma_f64 v[10:11], v[12:13], v[0:1], v[10:11]
	buffer_load_dword v12, off, s[0:3], 0 offset:976
	buffer_load_dword v13, off, s[0:3], 0 offset:980
	;; [unrolled: 1-line block ×4, first 2 shown]
	s_waitcnt vmcnt(2)
	v_add_f64 v[4:5], v[12:13], -v[4:5]
	s_waitcnt vmcnt(0)
	v_add_f64 v[10:11], v[20:21], -v[10:11]
	buffer_store_dword v5, off, s[0:3], 0 offset:980
	buffer_store_dword v4, off, s[0:3], 0 offset:976
	;; [unrolled: 1-line block ×4, first 2 shown]
	ds_read2_b64 v[10:13], v16 offset0:124 offset1:125
	s_waitcnt lgkmcnt(0)
	v_mul_f64 v[4:5], v[12:13], v[2:3]
	v_fma_f64 v[4:5], v[10:11], v[0:1], -v[4:5]
	v_mul_f64 v[10:11], v[10:11], v[2:3]
	v_fma_f64 v[10:11], v[12:13], v[0:1], v[10:11]
	buffer_load_dword v12, off, s[0:3], 0 offset:992
	buffer_load_dword v13, off, s[0:3], 0 offset:996
	;; [unrolled: 1-line block ×4, first 2 shown]
	s_waitcnt vmcnt(2)
	v_add_f64 v[4:5], v[12:13], -v[4:5]
	s_waitcnt vmcnt(0)
	v_add_f64 v[10:11], v[20:21], -v[10:11]
	buffer_store_dword v5, off, s[0:3], 0 offset:996
	buffer_store_dword v4, off, s[0:3], 0 offset:992
	;; [unrolled: 1-line block ×4, first 2 shown]
	ds_read2_b64 v[10:13], v16 offset0:126 offset1:127
	s_waitcnt lgkmcnt(0)
	v_mul_f64 v[4:5], v[12:13], v[2:3]
	v_mul_f64 v[2:3], v[10:11], v[2:3]
	v_fma_f64 v[4:5], v[10:11], v[0:1], -v[4:5]
	v_fma_f64 v[0:1], v[12:13], v[0:1], v[2:3]
	buffer_load_dword v2, off, s[0:3], 0 offset:1008
	buffer_load_dword v3, off, s[0:3], 0 offset:1012
	;; [unrolled: 1-line block ×4, first 2 shown]
	s_waitcnt vmcnt(2)
	v_add_f64 v[2:3], v[2:3], -v[4:5]
	s_waitcnt vmcnt(0)
	v_add_f64 v[0:1], v[10:11], -v[0:1]
	buffer_store_dword v3, off, s[0:3], 0 offset:1012
	buffer_store_dword v2, off, s[0:3], 0 offset:1008
	;; [unrolled: 1-line block ×4, first 2 shown]
.LBB126_1125:
	s_or_b64 exec, exec, s[4:5]
	v_mov_b32_e32 v3, s40
	s_waitcnt vmcnt(0)
	s_barrier
	buffer_load_dword v0, v3, s[0:3], 0 offen
	buffer_load_dword v1, v3, s[0:3], 0 offen offset:4
	buffer_load_dword v2, v3, s[0:3], 0 offen offset:8
	s_nop 0
	buffer_load_dword v3, v3, s[0:3], 0 offen offset:12
	v_lshl_add_u32 v4, v19, 4, v16
	s_cmp_lt_i32 s66, 50
	s_waitcnt vmcnt(0)
	ds_write2_b64 v4, v[0:1], v[2:3] offset1:1
	s_waitcnt lgkmcnt(0)
	s_barrier
	ds_read2_b64 v[0:3], v16 offset0:96 offset1:97
	v_mov_b32_e32 v4, 48
	s_cbranch_scc1 .LBB126_1128
; %bb.1126:
	v_add_u32_e32 v5, 0x310, v16
	s_mov_b32 s16, 49
	v_mov_b32_e32 v4, 48
.LBB126_1127:                           ; =>This Inner Loop Header: Depth=1
	s_waitcnt lgkmcnt(0)
	v_cmp_gt_f64_e32 vcc, 0, v[2:3]
	v_cmp_gt_f64_e64 s[4:5], 0, v[0:1]
	ds_read2_b64 v[10:13], v5 offset1:1
	v_xor_b32_e32 v21, 0x80000000, v1
	v_xor_b32_e32 v23, 0x80000000, v3
	v_mov_b32_e32 v20, v0
	v_mov_b32_e32 v22, v2
	s_waitcnt lgkmcnt(0)
	v_xor_b32_e32 v25, 0x80000000, v13
	v_cndmask_b32_e32 v23, v3, v23, vcc
	v_cndmask_b32_e64 v21, v1, v21, s[4:5]
	v_cmp_gt_f64_e32 vcc, 0, v[12:13]
	v_cmp_gt_f64_e64 s[4:5], 0, v[10:11]
	v_add_f64 v[20:21], v[20:21], v[22:23]
	v_xor_b32_e32 v23, 0x80000000, v11
	v_mov_b32_e32 v22, v10
	v_mov_b32_e32 v24, v12
	v_add_u32_e32 v5, 16, v5
	v_cndmask_b32_e32 v25, v13, v25, vcc
	v_cndmask_b32_e64 v23, v11, v23, s[4:5]
	v_add_f64 v[22:23], v[22:23], v[24:25]
	v_mov_b32_e32 v24, s16
	s_add_i32 s16, s16, 1
	s_cmp_lg_u32 s66, s16
	v_cmp_lt_f64_e32 vcc, v[20:21], v[22:23]
	v_cndmask_b32_e32 v1, v1, v11, vcc
	v_cndmask_b32_e32 v0, v0, v10, vcc
	;; [unrolled: 1-line block ×5, first 2 shown]
	s_cbranch_scc1 .LBB126_1127
.LBB126_1128:
	s_waitcnt lgkmcnt(0)
	v_cmp_eq_f64_e32 vcc, 0, v[0:1]
	v_cmp_eq_f64_e64 s[4:5], 0, v[2:3]
	s_and_b64 s[4:5], vcc, s[4:5]
	s_and_saveexec_b64 s[16:17], s[4:5]
	s_xor_b64 s[4:5], exec, s[16:17]
; %bb.1129:
	v_cmp_ne_u32_e32 vcc, 0, v17
	v_cndmask_b32_e32 v17, 49, v17, vcc
; %bb.1130:
	s_andn2_saveexec_b64 s[4:5], s[4:5]
	s_cbranch_execz .LBB126_1136
; %bb.1131:
	v_cmp_ngt_f64_e64 s[16:17], |v[0:1]|, |v[2:3]|
	s_and_saveexec_b64 s[18:19], s[16:17]
	s_xor_b64 s[18:19], exec, s[18:19]
	s_cbranch_execz .LBB126_1133
; %bb.1132:
	v_div_scale_f64 v[10:11], s[16:17], v[2:3], v[2:3], v[0:1]
	v_rcp_f64_e32 v[12:13], v[10:11]
	v_fma_f64 v[20:21], -v[10:11], v[12:13], 1.0
	v_fma_f64 v[12:13], v[12:13], v[20:21], v[12:13]
	v_div_scale_f64 v[20:21], vcc, v[0:1], v[2:3], v[0:1]
	v_fma_f64 v[22:23], -v[10:11], v[12:13], 1.0
	v_fma_f64 v[12:13], v[12:13], v[22:23], v[12:13]
	v_mul_f64 v[22:23], v[20:21], v[12:13]
	v_fma_f64 v[10:11], -v[10:11], v[22:23], v[20:21]
	v_div_fmas_f64 v[10:11], v[10:11], v[12:13], v[22:23]
	v_div_fixup_f64 v[10:11], v[10:11], v[2:3], v[0:1]
	v_fma_f64 v[0:1], v[0:1], v[10:11], v[2:3]
	v_div_scale_f64 v[2:3], s[16:17], v[0:1], v[0:1], 1.0
	v_div_scale_f64 v[22:23], vcc, 1.0, v[0:1], 1.0
	v_rcp_f64_e32 v[12:13], v[2:3]
	v_fma_f64 v[20:21], -v[2:3], v[12:13], 1.0
	v_fma_f64 v[12:13], v[12:13], v[20:21], v[12:13]
	v_fma_f64 v[20:21], -v[2:3], v[12:13], 1.0
	v_fma_f64 v[12:13], v[12:13], v[20:21], v[12:13]
	v_mul_f64 v[20:21], v[22:23], v[12:13]
	v_fma_f64 v[2:3], -v[2:3], v[20:21], v[22:23]
	v_div_fmas_f64 v[2:3], v[2:3], v[12:13], v[20:21]
	v_div_fixup_f64 v[2:3], v[2:3], v[0:1], 1.0
	v_mul_f64 v[0:1], v[10:11], v[2:3]
	v_xor_b32_e32 v3, 0x80000000, v3
.LBB126_1133:
	s_andn2_saveexec_b64 s[18:19], s[18:19]
	s_cbranch_execz .LBB126_1135
; %bb.1134:
	v_div_scale_f64 v[10:11], s[16:17], v[0:1], v[0:1], v[2:3]
	v_rcp_f64_e32 v[12:13], v[10:11]
	v_fma_f64 v[20:21], -v[10:11], v[12:13], 1.0
	v_fma_f64 v[12:13], v[12:13], v[20:21], v[12:13]
	v_div_scale_f64 v[20:21], vcc, v[2:3], v[0:1], v[2:3]
	v_fma_f64 v[22:23], -v[10:11], v[12:13], 1.0
	v_fma_f64 v[12:13], v[12:13], v[22:23], v[12:13]
	v_mul_f64 v[22:23], v[20:21], v[12:13]
	v_fma_f64 v[10:11], -v[10:11], v[22:23], v[20:21]
	v_div_fmas_f64 v[10:11], v[10:11], v[12:13], v[22:23]
	v_div_fixup_f64 v[10:11], v[10:11], v[0:1], v[2:3]
	v_fma_f64 v[0:1], v[2:3], v[10:11], v[0:1]
	v_div_scale_f64 v[2:3], s[16:17], v[0:1], v[0:1], 1.0
	v_div_scale_f64 v[22:23], vcc, 1.0, v[0:1], 1.0
	v_rcp_f64_e32 v[12:13], v[2:3]
	v_fma_f64 v[20:21], -v[2:3], v[12:13], 1.0
	v_fma_f64 v[12:13], v[12:13], v[20:21], v[12:13]
	v_fma_f64 v[20:21], -v[2:3], v[12:13], 1.0
	v_fma_f64 v[12:13], v[12:13], v[20:21], v[12:13]
	v_mul_f64 v[20:21], v[22:23], v[12:13]
	v_fma_f64 v[2:3], -v[2:3], v[20:21], v[22:23]
	v_div_fmas_f64 v[2:3], v[2:3], v[12:13], v[20:21]
	v_div_fixup_f64 v[0:1], v[2:3], v[0:1], 1.0
	v_mul_f64 v[2:3], v[10:11], -v[0:1]
.LBB126_1135:
	s_or_b64 exec, exec, s[18:19]
.LBB126_1136:
	s_or_b64 exec, exec, s[4:5]
	v_cmp_ne_u32_e32 vcc, v19, v4
	s_and_saveexec_b64 s[4:5], vcc
	s_xor_b64 s[4:5], exec, s[4:5]
	s_cbranch_execz .LBB126_1142
; %bb.1137:
	v_cmp_eq_u32_e32 vcc, 48, v19
	s_and_saveexec_b64 s[18:19], vcc
	s_cbranch_execz .LBB126_1141
; %bb.1138:
	v_cmp_ne_u32_e32 vcc, 48, v4
	s_xor_b64 s[16:17], s[10:11], -1
	s_and_b64 s[16:17], s[16:17], vcc
	s_and_saveexec_b64 s[24:25], s[16:17]
	s_cbranch_execz .LBB126_1140
; %bb.1139:
	v_ashrrev_i32_e32 v5, 31, v4
	v_lshlrev_b64 v[10:11], 2, v[4:5]
	v_add_co_u32_e32 v10, vcc, v8, v10
	v_addc_co_u32_e32 v11, vcc, v9, v11, vcc
	global_load_dword v5, v[10:11], off
	global_load_dword v12, v[8:9], off offset:192
	s_waitcnt vmcnt(1)
	global_store_dword v[8:9], v5, off offset:192
	s_waitcnt vmcnt(1)
	global_store_dword v[10:11], v12, off
.LBB126_1140:
	s_or_b64 exec, exec, s[24:25]
	v_mov_b32_e32 v19, v4
	v_mov_b32_e32 v18, v4
.LBB126_1141:
	s_or_b64 exec, exec, s[18:19]
.LBB126_1142:
	s_andn2_saveexec_b64 s[4:5], s[4:5]
	s_cbranch_execz .LBB126_1144
; %bb.1143:
	v_mov_b32_e32 v11, s39
	buffer_load_dword v4, v11, s[0:3], 0 offen
	buffer_load_dword v5, v11, s[0:3], 0 offen offset:4
	buffer_load_dword v10, v11, s[0:3], 0 offen offset:8
	s_nop 0
	buffer_load_dword v11, v11, s[0:3], 0 offen offset:12
	v_mov_b32_e32 v19, 48
	s_waitcnt vmcnt(0)
	ds_write2_b64 v16, v[4:5], v[10:11] offset0:98 offset1:99
	v_mov_b32_e32 v11, s38
	buffer_load_dword v4, v11, s[0:3], 0 offen
	buffer_load_dword v5, v11, s[0:3], 0 offen offset:4
	buffer_load_dword v10, v11, s[0:3], 0 offen offset:8
	s_nop 0
	buffer_load_dword v11, v11, s[0:3], 0 offen offset:12
	s_waitcnt vmcnt(0)
	ds_write2_b64 v16, v[4:5], v[10:11] offset0:100 offset1:101
	v_mov_b32_e32 v11, s37
	buffer_load_dword v4, v11, s[0:3], 0 offen
	buffer_load_dword v5, v11, s[0:3], 0 offen offset:4
	buffer_load_dword v10, v11, s[0:3], 0 offen offset:8
	s_nop 0
	buffer_load_dword v11, v11, s[0:3], 0 offen offset:12
	;; [unrolled: 8-line block ×14, first 2 shown]
	s_waitcnt vmcnt(0)
	ds_write2_b64 v16, v[4:5], v[10:11] offset0:126 offset1:127
.LBB126_1144:
	s_or_b64 exec, exec, s[4:5]
	v_cmp_lt_i32_e32 vcc, 48, v19
	s_waitcnt vmcnt(0) lgkmcnt(0)
	s_barrier
	s_and_saveexec_b64 s[4:5], vcc
	s_cbranch_execz .LBB126_1146
; %bb.1145:
	buffer_load_dword v4, off, s[0:3], 0 offset:768
	buffer_load_dword v5, off, s[0:3], 0 offset:772
	;; [unrolled: 1-line block ×16, first 2 shown]
	s_waitcnt vmcnt(12)
	v_mul_f64 v[30:31], v[2:3], v[10:11]
	v_fma_f64 v[30:31], v[0:1], v[4:5], -v[30:31]
	v_mul_f64 v[0:1], v[0:1], v[10:11]
	v_fma_f64 v[4:5], v[2:3], v[4:5], v[0:1]
	buffer_store_dword v30, off, s[0:3], 0 offset:768
	buffer_store_dword v31, off, s[0:3], 0 offset:772
	buffer_store_dword v4, off, s[0:3], 0 offset:776
	buffer_store_dword v5, off, s[0:3], 0 offset:780
	ds_read2_b64 v[0:3], v16 offset0:98 offset1:99
	s_waitcnt lgkmcnt(0)
	v_mul_f64 v[10:11], v[2:3], v[4:5]
	v_fma_f64 v[10:11], v[0:1], v[30:31], -v[10:11]
	v_mul_f64 v[0:1], v[0:1], v[4:5]
	v_fma_f64 v[0:1], v[2:3], v[30:31], v[0:1]
	s_waitcnt vmcnt(14)
	v_add_f64 v[2:3], v[12:13], -v[10:11]
	s_waitcnt vmcnt(12)
	v_add_f64 v[0:1], v[20:21], -v[0:1]
	buffer_store_dword v2, off, s[0:3], 0 offset:784
	buffer_store_dword v3, off, s[0:3], 0 offset:788
	buffer_store_dword v0, off, s[0:3], 0 offset:792
	buffer_store_dword v1, off, s[0:3], 0 offset:796
	ds_read2_b64 v[0:3], v16 offset0:100 offset1:101
	s_waitcnt lgkmcnt(0)
	v_mul_f64 v[10:11], v[2:3], v[4:5]
	v_fma_f64 v[10:11], v[0:1], v[30:31], -v[10:11]
	v_mul_f64 v[0:1], v[0:1], v[4:5]
	v_fma_f64 v[0:1], v[2:3], v[30:31], v[0:1]
	s_waitcnt vmcnt(14)
	v_add_f64 v[2:3], v[22:23], -v[10:11]
	s_waitcnt vmcnt(12)
	v_add_f64 v[0:1], v[24:25], -v[0:1]
	;; [unrolled: 14-line block ×3, first 2 shown]
	buffer_store_dword v3, off, s[0:3], 0 offset:820
	buffer_store_dword v2, off, s[0:3], 0 offset:816
	buffer_store_dword v0, off, s[0:3], 0 offset:824
	buffer_store_dword v1, off, s[0:3], 0 offset:828
	ds_read2_b64 v[0:3], v16 offset0:104 offset1:105
	s_waitcnt lgkmcnt(0)
	v_mul_f64 v[10:11], v[2:3], v[4:5]
	v_fma_f64 v[10:11], v[0:1], v[30:31], -v[10:11]
	v_mul_f64 v[0:1], v[0:1], v[4:5]
	v_fma_f64 v[0:1], v[2:3], v[30:31], v[0:1]
	buffer_load_dword v2, off, s[0:3], 0 offset:832
	buffer_load_dword v3, off, s[0:3], 0 offset:836
	buffer_load_dword v12, off, s[0:3], 0 offset:840
	buffer_load_dword v13, off, s[0:3], 0 offset:844
	s_waitcnt vmcnt(2)
	v_add_f64 v[2:3], v[2:3], -v[10:11]
	s_waitcnt vmcnt(0)
	v_add_f64 v[0:1], v[12:13], -v[0:1]
	buffer_store_dword v3, off, s[0:3], 0 offset:836
	buffer_store_dword v2, off, s[0:3], 0 offset:832
	buffer_store_dword v1, off, s[0:3], 0 offset:844
	buffer_store_dword v0, off, s[0:3], 0 offset:840
	ds_read2_b64 v[0:3], v16 offset0:106 offset1:107
	s_waitcnt lgkmcnt(0)
	v_mul_f64 v[10:11], v[2:3], v[4:5]
	v_fma_f64 v[10:11], v[0:1], v[30:31], -v[10:11]
	v_mul_f64 v[0:1], v[0:1], v[4:5]
	v_fma_f64 v[0:1], v[2:3], v[30:31], v[0:1]
	buffer_load_dword v2, off, s[0:3], 0 offset:848
	buffer_load_dword v3, off, s[0:3], 0 offset:852
	buffer_load_dword v12, off, s[0:3], 0 offset:856
	buffer_load_dword v13, off, s[0:3], 0 offset:860
	s_waitcnt vmcnt(2)
	v_add_f64 v[2:3], v[2:3], -v[10:11]
	s_waitcnt vmcnt(0)
	v_add_f64 v[0:1], v[12:13], -v[0:1]
	;; [unrolled: 18-line block ×3, first 2 shown]
	buffer_store_dword v3, off, s[0:3], 0 offset:868
	buffer_store_dword v2, off, s[0:3], 0 offset:864
	;; [unrolled: 1-line block ×4, first 2 shown]
	ds_read2_b64 v[10:13], v16 offset0:110 offset1:111
	buffer_load_dword v0, off, s[0:3], 0 offset:768
	buffer_load_dword v1, off, s[0:3], 0 offset:772
	;; [unrolled: 1-line block ×4, first 2 shown]
	s_waitcnt vmcnt(0) lgkmcnt(0)
	v_mul_f64 v[4:5], v[12:13], v[2:3]
	v_fma_f64 v[4:5], v[10:11], v[0:1], -v[4:5]
	v_mul_f64 v[10:11], v[10:11], v[2:3]
	v_fma_f64 v[10:11], v[12:13], v[0:1], v[10:11]
	buffer_load_dword v13, off, s[0:3], 0 offset:884
	buffer_load_dword v12, off, s[0:3], 0 offset:880
	s_waitcnt vmcnt(0)
	v_add_f64 v[4:5], v[12:13], -v[4:5]
	buffer_load_dword v13, off, s[0:3], 0 offset:892
	buffer_load_dword v12, off, s[0:3], 0 offset:888
	s_waitcnt vmcnt(0)
	v_add_f64 v[10:11], v[12:13], -v[10:11]
	buffer_store_dword v5, off, s[0:3], 0 offset:884
	buffer_store_dword v4, off, s[0:3], 0 offset:880
	buffer_store_dword v11, off, s[0:3], 0 offset:892
	buffer_store_dword v10, off, s[0:3], 0 offset:888
	ds_read2_b64 v[10:13], v16 offset0:112 offset1:113
	s_waitcnt lgkmcnt(0)
	v_mul_f64 v[4:5], v[12:13], v[2:3]
	v_fma_f64 v[4:5], v[10:11], v[0:1], -v[4:5]
	v_mul_f64 v[10:11], v[10:11], v[2:3]
	v_fma_f64 v[10:11], v[12:13], v[0:1], v[10:11]
	buffer_load_dword v12, off, s[0:3], 0 offset:896
	buffer_load_dword v13, off, s[0:3], 0 offset:900
	buffer_load_dword v20, off, s[0:3], 0 offset:904
	buffer_load_dword v21, off, s[0:3], 0 offset:908
	s_waitcnt vmcnt(2)
	v_add_f64 v[4:5], v[12:13], -v[4:5]
	s_waitcnt vmcnt(0)
	v_add_f64 v[10:11], v[20:21], -v[10:11]
	buffer_store_dword v5, off, s[0:3], 0 offset:900
	buffer_store_dword v4, off, s[0:3], 0 offset:896
	buffer_store_dword v11, off, s[0:3], 0 offset:908
	buffer_store_dword v10, off, s[0:3], 0 offset:904
	ds_read2_b64 v[10:13], v16 offset0:114 offset1:115
	s_waitcnt lgkmcnt(0)
	v_mul_f64 v[4:5], v[12:13], v[2:3]
	v_fma_f64 v[4:5], v[10:11], v[0:1], -v[4:5]
	v_mul_f64 v[10:11], v[10:11], v[2:3]
	v_fma_f64 v[10:11], v[12:13], v[0:1], v[10:11]
	buffer_load_dword v12, off, s[0:3], 0 offset:912
	buffer_load_dword v13, off, s[0:3], 0 offset:916
	buffer_load_dword v20, off, s[0:3], 0 offset:920
	buffer_load_dword v21, off, s[0:3], 0 offset:924
	s_waitcnt vmcnt(2)
	v_add_f64 v[4:5], v[12:13], -v[4:5]
	s_waitcnt vmcnt(0)
	v_add_f64 v[10:11], v[20:21], -v[10:11]
	buffer_store_dword v5, off, s[0:3], 0 offset:916
	buffer_store_dword v4, off, s[0:3], 0 offset:912
	buffer_store_dword v11, off, s[0:3], 0 offset:924
	buffer_store_dword v10, off, s[0:3], 0 offset:920
	ds_read2_b64 v[10:13], v16 offset0:116 offset1:117
	s_waitcnt lgkmcnt(0)
	v_mul_f64 v[4:5], v[12:13], v[2:3]
	v_fma_f64 v[4:5], v[10:11], v[0:1], -v[4:5]
	v_mul_f64 v[10:11], v[10:11], v[2:3]
	v_fma_f64 v[10:11], v[12:13], v[0:1], v[10:11]
	buffer_load_dword v12, off, s[0:3], 0 offset:928
	buffer_load_dword v13, off, s[0:3], 0 offset:932
	buffer_load_dword v20, off, s[0:3], 0 offset:936
	buffer_load_dword v21, off, s[0:3], 0 offset:940
	s_waitcnt vmcnt(2)
	v_add_f64 v[4:5], v[12:13], -v[4:5]
	s_waitcnt vmcnt(0)
	v_add_f64 v[10:11], v[20:21], -v[10:11]
	buffer_store_dword v5, off, s[0:3], 0 offset:932
	buffer_store_dword v4, off, s[0:3], 0 offset:928
	buffer_store_dword v11, off, s[0:3], 0 offset:940
	buffer_store_dword v10, off, s[0:3], 0 offset:936
	ds_read2_b64 v[10:13], v16 offset0:118 offset1:119
	s_waitcnt lgkmcnt(0)
	v_mul_f64 v[4:5], v[12:13], v[2:3]
	v_fma_f64 v[4:5], v[10:11], v[0:1], -v[4:5]
	v_mul_f64 v[10:11], v[10:11], v[2:3]
	v_fma_f64 v[10:11], v[12:13], v[0:1], v[10:11]
	buffer_load_dword v12, off, s[0:3], 0 offset:944
	buffer_load_dword v13, off, s[0:3], 0 offset:948
	buffer_load_dword v20, off, s[0:3], 0 offset:952
	buffer_load_dword v21, off, s[0:3], 0 offset:956
	s_waitcnt vmcnt(2)
	v_add_f64 v[4:5], v[12:13], -v[4:5]
	s_waitcnt vmcnt(0)
	v_add_f64 v[10:11], v[20:21], -v[10:11]
	buffer_store_dword v5, off, s[0:3], 0 offset:948
	buffer_store_dword v4, off, s[0:3], 0 offset:944
	;; [unrolled: 1-line block ×4, first 2 shown]
	ds_read2_b64 v[10:13], v16 offset0:120 offset1:121
	s_waitcnt lgkmcnt(0)
	v_mul_f64 v[4:5], v[12:13], v[2:3]
	v_mul_f64 v[2:3], v[10:11], v[2:3]
	v_fma_f64 v[4:5], v[10:11], v[0:1], -v[4:5]
	v_fma_f64 v[0:1], v[12:13], v[0:1], v[2:3]
	buffer_load_dword v2, off, s[0:3], 0 offset:960
	buffer_load_dword v3, off, s[0:3], 0 offset:964
	;; [unrolled: 1-line block ×4, first 2 shown]
	s_waitcnt vmcnt(2)
	v_add_f64 v[2:3], v[2:3], -v[4:5]
	s_waitcnt vmcnt(0)
	v_add_f64 v[0:1], v[10:11], -v[0:1]
	buffer_store_dword v3, off, s[0:3], 0 offset:964
	buffer_store_dword v2, off, s[0:3], 0 offset:960
	;; [unrolled: 1-line block ×4, first 2 shown]
	ds_read2_b64 v[10:13], v16 offset0:122 offset1:123
	buffer_load_dword v0, off, s[0:3], 0 offset:768
	buffer_load_dword v1, off, s[0:3], 0 offset:772
	;; [unrolled: 1-line block ×4, first 2 shown]
	s_waitcnt vmcnt(0) lgkmcnt(0)
	v_mul_f64 v[4:5], v[12:13], v[2:3]
	v_fma_f64 v[4:5], v[10:11], v[0:1], -v[4:5]
	v_mul_f64 v[10:11], v[10:11], v[2:3]
	v_fma_f64 v[10:11], v[12:13], v[0:1], v[10:11]
	buffer_load_dword v13, off, s[0:3], 0 offset:980
	buffer_load_dword v12, off, s[0:3], 0 offset:976
	s_waitcnt vmcnt(0)
	v_add_f64 v[4:5], v[12:13], -v[4:5]
	buffer_load_dword v13, off, s[0:3], 0 offset:988
	buffer_load_dword v12, off, s[0:3], 0 offset:984
	s_waitcnt vmcnt(0)
	v_add_f64 v[10:11], v[12:13], -v[10:11]
	buffer_store_dword v5, off, s[0:3], 0 offset:980
	buffer_store_dword v4, off, s[0:3], 0 offset:976
	;; [unrolled: 1-line block ×4, first 2 shown]
	ds_read2_b64 v[10:13], v16 offset0:124 offset1:125
	s_waitcnt lgkmcnt(0)
	v_mul_f64 v[4:5], v[12:13], v[2:3]
	v_fma_f64 v[4:5], v[10:11], v[0:1], -v[4:5]
	v_mul_f64 v[10:11], v[10:11], v[2:3]
	v_fma_f64 v[10:11], v[12:13], v[0:1], v[10:11]
	buffer_load_dword v12, off, s[0:3], 0 offset:992
	buffer_load_dword v13, off, s[0:3], 0 offset:996
	;; [unrolled: 1-line block ×4, first 2 shown]
	s_waitcnt vmcnt(2)
	v_add_f64 v[4:5], v[12:13], -v[4:5]
	s_waitcnt vmcnt(0)
	v_add_f64 v[10:11], v[20:21], -v[10:11]
	buffer_store_dword v5, off, s[0:3], 0 offset:996
	buffer_store_dword v4, off, s[0:3], 0 offset:992
	;; [unrolled: 1-line block ×4, first 2 shown]
	ds_read2_b64 v[10:13], v16 offset0:126 offset1:127
	s_waitcnt lgkmcnt(0)
	v_mul_f64 v[4:5], v[12:13], v[2:3]
	v_mul_f64 v[2:3], v[10:11], v[2:3]
	v_fma_f64 v[4:5], v[10:11], v[0:1], -v[4:5]
	v_fma_f64 v[0:1], v[12:13], v[0:1], v[2:3]
	buffer_load_dword v2, off, s[0:3], 0 offset:1008
	buffer_load_dword v3, off, s[0:3], 0 offset:1012
	;; [unrolled: 1-line block ×4, first 2 shown]
	s_waitcnt vmcnt(2)
	v_add_f64 v[2:3], v[2:3], -v[4:5]
	s_waitcnt vmcnt(0)
	v_add_f64 v[0:1], v[10:11], -v[0:1]
	buffer_store_dword v3, off, s[0:3], 0 offset:1012
	buffer_store_dword v2, off, s[0:3], 0 offset:1008
	;; [unrolled: 1-line block ×4, first 2 shown]
.LBB126_1146:
	s_or_b64 exec, exec, s[4:5]
	v_mov_b32_e32 v3, s39
	s_waitcnt vmcnt(0)
	s_barrier
	buffer_load_dword v0, v3, s[0:3], 0 offen
	buffer_load_dword v1, v3, s[0:3], 0 offen offset:4
	buffer_load_dword v2, v3, s[0:3], 0 offen offset:8
	s_nop 0
	buffer_load_dword v3, v3, s[0:3], 0 offen offset:12
	v_lshl_add_u32 v4, v19, 4, v16
	s_cmp_lt_i32 s66, 51
	s_waitcnt vmcnt(0)
	ds_write2_b64 v4, v[0:1], v[2:3] offset1:1
	s_waitcnt lgkmcnt(0)
	s_barrier
	ds_read2_b64 v[0:3], v16 offset0:98 offset1:99
	v_mov_b32_e32 v4, 49
	s_cbranch_scc1 .LBB126_1149
; %bb.1147:
	v_add_u32_e32 v5, 0x320, v16
	s_mov_b32 s16, 50
	v_mov_b32_e32 v4, 49
.LBB126_1148:                           ; =>This Inner Loop Header: Depth=1
	s_waitcnt lgkmcnt(0)
	v_cmp_gt_f64_e32 vcc, 0, v[2:3]
	v_cmp_gt_f64_e64 s[4:5], 0, v[0:1]
	ds_read2_b64 v[10:13], v5 offset1:1
	v_xor_b32_e32 v21, 0x80000000, v1
	v_xor_b32_e32 v23, 0x80000000, v3
	v_mov_b32_e32 v20, v0
	v_mov_b32_e32 v22, v2
	s_waitcnt lgkmcnt(0)
	v_xor_b32_e32 v25, 0x80000000, v13
	v_cndmask_b32_e32 v23, v3, v23, vcc
	v_cndmask_b32_e64 v21, v1, v21, s[4:5]
	v_cmp_gt_f64_e32 vcc, 0, v[12:13]
	v_cmp_gt_f64_e64 s[4:5], 0, v[10:11]
	v_add_f64 v[20:21], v[20:21], v[22:23]
	v_xor_b32_e32 v23, 0x80000000, v11
	v_mov_b32_e32 v22, v10
	v_mov_b32_e32 v24, v12
	v_add_u32_e32 v5, 16, v5
	v_cndmask_b32_e32 v25, v13, v25, vcc
	v_cndmask_b32_e64 v23, v11, v23, s[4:5]
	v_add_f64 v[22:23], v[22:23], v[24:25]
	v_mov_b32_e32 v24, s16
	s_add_i32 s16, s16, 1
	s_cmp_lg_u32 s66, s16
	v_cmp_lt_f64_e32 vcc, v[20:21], v[22:23]
	v_cndmask_b32_e32 v1, v1, v11, vcc
	v_cndmask_b32_e32 v0, v0, v10, vcc
	;; [unrolled: 1-line block ×5, first 2 shown]
	s_cbranch_scc1 .LBB126_1148
.LBB126_1149:
	s_waitcnt lgkmcnt(0)
	v_cmp_eq_f64_e32 vcc, 0, v[0:1]
	v_cmp_eq_f64_e64 s[4:5], 0, v[2:3]
	s_and_b64 s[4:5], vcc, s[4:5]
	s_and_saveexec_b64 s[16:17], s[4:5]
	s_xor_b64 s[4:5], exec, s[16:17]
; %bb.1150:
	v_cmp_ne_u32_e32 vcc, 0, v17
	v_cndmask_b32_e32 v17, 50, v17, vcc
; %bb.1151:
	s_andn2_saveexec_b64 s[4:5], s[4:5]
	s_cbranch_execz .LBB126_1157
; %bb.1152:
	v_cmp_ngt_f64_e64 s[16:17], |v[0:1]|, |v[2:3]|
	s_and_saveexec_b64 s[18:19], s[16:17]
	s_xor_b64 s[18:19], exec, s[18:19]
	s_cbranch_execz .LBB126_1154
; %bb.1153:
	v_div_scale_f64 v[10:11], s[16:17], v[2:3], v[2:3], v[0:1]
	v_rcp_f64_e32 v[12:13], v[10:11]
	v_fma_f64 v[20:21], -v[10:11], v[12:13], 1.0
	v_fma_f64 v[12:13], v[12:13], v[20:21], v[12:13]
	v_div_scale_f64 v[20:21], vcc, v[0:1], v[2:3], v[0:1]
	v_fma_f64 v[22:23], -v[10:11], v[12:13], 1.0
	v_fma_f64 v[12:13], v[12:13], v[22:23], v[12:13]
	v_mul_f64 v[22:23], v[20:21], v[12:13]
	v_fma_f64 v[10:11], -v[10:11], v[22:23], v[20:21]
	v_div_fmas_f64 v[10:11], v[10:11], v[12:13], v[22:23]
	v_div_fixup_f64 v[10:11], v[10:11], v[2:3], v[0:1]
	v_fma_f64 v[0:1], v[0:1], v[10:11], v[2:3]
	v_div_scale_f64 v[2:3], s[16:17], v[0:1], v[0:1], 1.0
	v_div_scale_f64 v[22:23], vcc, 1.0, v[0:1], 1.0
	v_rcp_f64_e32 v[12:13], v[2:3]
	v_fma_f64 v[20:21], -v[2:3], v[12:13], 1.0
	v_fma_f64 v[12:13], v[12:13], v[20:21], v[12:13]
	v_fma_f64 v[20:21], -v[2:3], v[12:13], 1.0
	v_fma_f64 v[12:13], v[12:13], v[20:21], v[12:13]
	v_mul_f64 v[20:21], v[22:23], v[12:13]
	v_fma_f64 v[2:3], -v[2:3], v[20:21], v[22:23]
	v_div_fmas_f64 v[2:3], v[2:3], v[12:13], v[20:21]
	v_div_fixup_f64 v[2:3], v[2:3], v[0:1], 1.0
	v_mul_f64 v[0:1], v[10:11], v[2:3]
	v_xor_b32_e32 v3, 0x80000000, v3
.LBB126_1154:
	s_andn2_saveexec_b64 s[18:19], s[18:19]
	s_cbranch_execz .LBB126_1156
; %bb.1155:
	v_div_scale_f64 v[10:11], s[16:17], v[0:1], v[0:1], v[2:3]
	v_rcp_f64_e32 v[12:13], v[10:11]
	v_fma_f64 v[20:21], -v[10:11], v[12:13], 1.0
	v_fma_f64 v[12:13], v[12:13], v[20:21], v[12:13]
	v_div_scale_f64 v[20:21], vcc, v[2:3], v[0:1], v[2:3]
	v_fma_f64 v[22:23], -v[10:11], v[12:13], 1.0
	v_fma_f64 v[12:13], v[12:13], v[22:23], v[12:13]
	v_mul_f64 v[22:23], v[20:21], v[12:13]
	v_fma_f64 v[10:11], -v[10:11], v[22:23], v[20:21]
	v_div_fmas_f64 v[10:11], v[10:11], v[12:13], v[22:23]
	v_div_fixup_f64 v[10:11], v[10:11], v[0:1], v[2:3]
	v_fma_f64 v[0:1], v[2:3], v[10:11], v[0:1]
	v_div_scale_f64 v[2:3], s[16:17], v[0:1], v[0:1], 1.0
	v_div_scale_f64 v[22:23], vcc, 1.0, v[0:1], 1.0
	v_rcp_f64_e32 v[12:13], v[2:3]
	v_fma_f64 v[20:21], -v[2:3], v[12:13], 1.0
	v_fma_f64 v[12:13], v[12:13], v[20:21], v[12:13]
	v_fma_f64 v[20:21], -v[2:3], v[12:13], 1.0
	v_fma_f64 v[12:13], v[12:13], v[20:21], v[12:13]
	v_mul_f64 v[20:21], v[22:23], v[12:13]
	v_fma_f64 v[2:3], -v[2:3], v[20:21], v[22:23]
	v_div_fmas_f64 v[2:3], v[2:3], v[12:13], v[20:21]
	v_div_fixup_f64 v[0:1], v[2:3], v[0:1], 1.0
	v_mul_f64 v[2:3], v[10:11], -v[0:1]
.LBB126_1156:
	s_or_b64 exec, exec, s[18:19]
.LBB126_1157:
	s_or_b64 exec, exec, s[4:5]
	v_cmp_ne_u32_e32 vcc, v19, v4
	s_and_saveexec_b64 s[4:5], vcc
	s_xor_b64 s[4:5], exec, s[4:5]
	s_cbranch_execz .LBB126_1163
; %bb.1158:
	v_cmp_eq_u32_e32 vcc, 49, v19
	s_and_saveexec_b64 s[18:19], vcc
	s_cbranch_execz .LBB126_1162
; %bb.1159:
	v_cmp_ne_u32_e32 vcc, 49, v4
	s_xor_b64 s[16:17], s[10:11], -1
	s_and_b64 s[16:17], s[16:17], vcc
	s_and_saveexec_b64 s[24:25], s[16:17]
	s_cbranch_execz .LBB126_1161
; %bb.1160:
	v_ashrrev_i32_e32 v5, 31, v4
	v_lshlrev_b64 v[10:11], 2, v[4:5]
	v_add_co_u32_e32 v10, vcc, v8, v10
	v_addc_co_u32_e32 v11, vcc, v9, v11, vcc
	global_load_dword v5, v[10:11], off
	global_load_dword v12, v[8:9], off offset:196
	s_waitcnt vmcnt(1)
	global_store_dword v[8:9], v5, off offset:196
	s_waitcnt vmcnt(1)
	global_store_dword v[10:11], v12, off
.LBB126_1161:
	s_or_b64 exec, exec, s[24:25]
	v_mov_b32_e32 v19, v4
	v_mov_b32_e32 v18, v4
.LBB126_1162:
	s_or_b64 exec, exec, s[18:19]
.LBB126_1163:
	s_andn2_saveexec_b64 s[4:5], s[4:5]
	s_cbranch_execz .LBB126_1165
; %bb.1164:
	v_mov_b32_e32 v11, s38
	buffer_load_dword v4, v11, s[0:3], 0 offen
	buffer_load_dword v5, v11, s[0:3], 0 offen offset:4
	buffer_load_dword v10, v11, s[0:3], 0 offen offset:8
	s_nop 0
	buffer_load_dword v11, v11, s[0:3], 0 offen offset:12
	v_mov_b32_e32 v19, 49
	s_waitcnt vmcnt(0)
	ds_write2_b64 v16, v[4:5], v[10:11] offset0:100 offset1:101
	v_mov_b32_e32 v11, s37
	buffer_load_dword v4, v11, s[0:3], 0 offen
	buffer_load_dword v5, v11, s[0:3], 0 offen offset:4
	buffer_load_dword v10, v11, s[0:3], 0 offen offset:8
	s_nop 0
	buffer_load_dword v11, v11, s[0:3], 0 offen offset:12
	s_waitcnt vmcnt(0)
	ds_write2_b64 v16, v[4:5], v[10:11] offset0:102 offset1:103
	v_mov_b32_e32 v11, s36
	buffer_load_dword v4, v11, s[0:3], 0 offen
	buffer_load_dword v5, v11, s[0:3], 0 offen offset:4
	buffer_load_dword v10, v11, s[0:3], 0 offen offset:8
	s_nop 0
	buffer_load_dword v11, v11, s[0:3], 0 offen offset:12
	s_waitcnt vmcnt(0)
	ds_write2_b64 v16, v[4:5], v[10:11] offset0:104 offset1:105
	v_mov_b32_e32 v11, s35
	buffer_load_dword v4, v11, s[0:3], 0 offen
	buffer_load_dword v5, v11, s[0:3], 0 offen offset:4
	buffer_load_dword v10, v11, s[0:3], 0 offen offset:8
	s_nop 0
	buffer_load_dword v11, v11, s[0:3], 0 offen offset:12
	s_waitcnt vmcnt(0)
	ds_write2_b64 v16, v[4:5], v[10:11] offset0:106 offset1:107
	v_mov_b32_e32 v11, s34
	buffer_load_dword v4, v11, s[0:3], 0 offen
	buffer_load_dword v5, v11, s[0:3], 0 offen offset:4
	buffer_load_dword v10, v11, s[0:3], 0 offen offset:8
	s_nop 0
	buffer_load_dword v11, v11, s[0:3], 0 offen offset:12
	s_waitcnt vmcnt(0)
	ds_write2_b64 v16, v[4:5], v[10:11] offset0:108 offset1:109
	v_mov_b32_e32 v11, s33
	buffer_load_dword v4, v11, s[0:3], 0 offen
	buffer_load_dword v5, v11, s[0:3], 0 offen offset:4
	buffer_load_dword v10, v11, s[0:3], 0 offen offset:8
	s_nop 0
	buffer_load_dword v11, v11, s[0:3], 0 offen offset:12
	s_waitcnt vmcnt(0)
	ds_write2_b64 v16, v[4:5], v[10:11] offset0:110 offset1:111
	v_mov_b32_e32 v11, s31
	buffer_load_dword v4, v11, s[0:3], 0 offen
	buffer_load_dword v5, v11, s[0:3], 0 offen offset:4
	buffer_load_dword v10, v11, s[0:3], 0 offen offset:8
	s_nop 0
	buffer_load_dword v11, v11, s[0:3], 0 offen offset:12
	s_waitcnt vmcnt(0)
	ds_write2_b64 v16, v[4:5], v[10:11] offset0:112 offset1:113
	v_mov_b32_e32 v11, s30
	buffer_load_dword v4, v11, s[0:3], 0 offen
	buffer_load_dword v5, v11, s[0:3], 0 offen offset:4
	buffer_load_dword v10, v11, s[0:3], 0 offen offset:8
	s_nop 0
	buffer_load_dword v11, v11, s[0:3], 0 offen offset:12
	s_waitcnt vmcnt(0)
	ds_write2_b64 v16, v[4:5], v[10:11] offset0:114 offset1:115
	v_mov_b32_e32 v11, s29
	buffer_load_dword v4, v11, s[0:3], 0 offen
	buffer_load_dword v5, v11, s[0:3], 0 offen offset:4
	buffer_load_dword v10, v11, s[0:3], 0 offen offset:8
	s_nop 0
	buffer_load_dword v11, v11, s[0:3], 0 offen offset:12
	s_waitcnt vmcnt(0)
	ds_write2_b64 v16, v[4:5], v[10:11] offset0:116 offset1:117
	v_mov_b32_e32 v11, s28
	buffer_load_dword v4, v11, s[0:3], 0 offen
	buffer_load_dword v5, v11, s[0:3], 0 offen offset:4
	buffer_load_dword v10, v11, s[0:3], 0 offen offset:8
	s_nop 0
	buffer_load_dword v11, v11, s[0:3], 0 offen offset:12
	s_waitcnt vmcnt(0)
	ds_write2_b64 v16, v[4:5], v[10:11] offset0:118 offset1:119
	v_mov_b32_e32 v11, s27
	buffer_load_dword v4, v11, s[0:3], 0 offen
	buffer_load_dword v5, v11, s[0:3], 0 offen offset:4
	buffer_load_dword v10, v11, s[0:3], 0 offen offset:8
	s_nop 0
	buffer_load_dword v11, v11, s[0:3], 0 offen offset:12
	s_waitcnt vmcnt(0)
	ds_write2_b64 v16, v[4:5], v[10:11] offset0:120 offset1:121
	v_mov_b32_e32 v11, s26
	buffer_load_dword v4, v11, s[0:3], 0 offen
	buffer_load_dword v5, v11, s[0:3], 0 offen offset:4
	buffer_load_dword v10, v11, s[0:3], 0 offen offset:8
	s_nop 0
	buffer_load_dword v11, v11, s[0:3], 0 offen offset:12
	s_waitcnt vmcnt(0)
	ds_write2_b64 v16, v[4:5], v[10:11] offset0:122 offset1:123
	v_mov_b32_e32 v11, s20
	buffer_load_dword v4, v11, s[0:3], 0 offen
	buffer_load_dword v5, v11, s[0:3], 0 offen offset:4
	buffer_load_dword v10, v11, s[0:3], 0 offen offset:8
	s_nop 0
	buffer_load_dword v11, v11, s[0:3], 0 offen offset:12
	s_waitcnt vmcnt(0)
	ds_write2_b64 v16, v[4:5], v[10:11] offset0:124 offset1:125
	v_mov_b32_e32 v11, s7
	buffer_load_dword v4, v11, s[0:3], 0 offen
	buffer_load_dword v5, v11, s[0:3], 0 offen offset:4
	buffer_load_dword v10, v11, s[0:3], 0 offen offset:8
	s_nop 0
	buffer_load_dword v11, v11, s[0:3], 0 offen offset:12
	s_waitcnt vmcnt(0)
	ds_write2_b64 v16, v[4:5], v[10:11] offset0:126 offset1:127
.LBB126_1165:
	s_or_b64 exec, exec, s[4:5]
	v_cmp_lt_i32_e32 vcc, 49, v19
	s_waitcnt vmcnt(0) lgkmcnt(0)
	s_barrier
	s_and_saveexec_b64 s[4:5], vcc
	s_cbranch_execz .LBB126_1167
; %bb.1166:
	buffer_load_dword v4, off, s[0:3], 0 offset:784
	buffer_load_dword v5, off, s[0:3], 0 offset:788
	;; [unrolled: 1-line block ×16, first 2 shown]
	s_waitcnt vmcnt(12)
	v_mul_f64 v[30:31], v[2:3], v[10:11]
	v_fma_f64 v[30:31], v[0:1], v[4:5], -v[30:31]
	v_mul_f64 v[0:1], v[0:1], v[10:11]
	v_fma_f64 v[4:5], v[2:3], v[4:5], v[0:1]
	buffer_store_dword v30, off, s[0:3], 0 offset:784
	buffer_store_dword v31, off, s[0:3], 0 offset:788
	buffer_store_dword v4, off, s[0:3], 0 offset:792
	buffer_store_dword v5, off, s[0:3], 0 offset:796
	ds_read2_b64 v[0:3], v16 offset0:100 offset1:101
	s_waitcnt lgkmcnt(0)
	v_mul_f64 v[10:11], v[2:3], v[4:5]
	v_fma_f64 v[10:11], v[0:1], v[30:31], -v[10:11]
	v_mul_f64 v[0:1], v[0:1], v[4:5]
	v_fma_f64 v[0:1], v[2:3], v[30:31], v[0:1]
	s_waitcnt vmcnt(14)
	v_add_f64 v[2:3], v[12:13], -v[10:11]
	s_waitcnt vmcnt(12)
	v_add_f64 v[0:1], v[20:21], -v[0:1]
	buffer_store_dword v2, off, s[0:3], 0 offset:800
	buffer_store_dword v3, off, s[0:3], 0 offset:804
	buffer_store_dword v0, off, s[0:3], 0 offset:808
	buffer_store_dword v1, off, s[0:3], 0 offset:812
	ds_read2_b64 v[0:3], v16 offset0:102 offset1:103
	s_waitcnt lgkmcnt(0)
	v_mul_f64 v[10:11], v[2:3], v[4:5]
	v_fma_f64 v[10:11], v[0:1], v[30:31], -v[10:11]
	v_mul_f64 v[0:1], v[0:1], v[4:5]
	v_fma_f64 v[0:1], v[2:3], v[30:31], v[0:1]
	s_waitcnt vmcnt(14)
	v_add_f64 v[2:3], v[22:23], -v[10:11]
	s_waitcnt vmcnt(12)
	v_add_f64 v[0:1], v[24:25], -v[0:1]
	;; [unrolled: 14-line block ×3, first 2 shown]
	buffer_store_dword v3, off, s[0:3], 0 offset:836
	buffer_store_dword v2, off, s[0:3], 0 offset:832
	buffer_store_dword v0, off, s[0:3], 0 offset:840
	buffer_store_dword v1, off, s[0:3], 0 offset:844
	ds_read2_b64 v[0:3], v16 offset0:106 offset1:107
	s_waitcnt lgkmcnt(0)
	v_mul_f64 v[10:11], v[2:3], v[4:5]
	v_fma_f64 v[10:11], v[0:1], v[30:31], -v[10:11]
	v_mul_f64 v[0:1], v[0:1], v[4:5]
	v_fma_f64 v[0:1], v[2:3], v[30:31], v[0:1]
	buffer_load_dword v2, off, s[0:3], 0 offset:848
	buffer_load_dword v3, off, s[0:3], 0 offset:852
	buffer_load_dword v12, off, s[0:3], 0 offset:856
	buffer_load_dword v13, off, s[0:3], 0 offset:860
	s_waitcnt vmcnt(2)
	v_add_f64 v[2:3], v[2:3], -v[10:11]
	s_waitcnt vmcnt(0)
	v_add_f64 v[0:1], v[12:13], -v[0:1]
	buffer_store_dword v3, off, s[0:3], 0 offset:852
	buffer_store_dword v2, off, s[0:3], 0 offset:848
	buffer_store_dword v1, off, s[0:3], 0 offset:860
	buffer_store_dword v0, off, s[0:3], 0 offset:856
	ds_read2_b64 v[0:3], v16 offset0:108 offset1:109
	s_waitcnt lgkmcnt(0)
	v_mul_f64 v[10:11], v[2:3], v[4:5]
	v_fma_f64 v[10:11], v[0:1], v[30:31], -v[10:11]
	v_mul_f64 v[0:1], v[0:1], v[4:5]
	v_fma_f64 v[0:1], v[2:3], v[30:31], v[0:1]
	buffer_load_dword v2, off, s[0:3], 0 offset:864
	buffer_load_dword v3, off, s[0:3], 0 offset:868
	buffer_load_dword v12, off, s[0:3], 0 offset:872
	buffer_load_dword v13, off, s[0:3], 0 offset:876
	s_waitcnt vmcnt(2)
	v_add_f64 v[2:3], v[2:3], -v[10:11]
	s_waitcnt vmcnt(0)
	v_add_f64 v[0:1], v[12:13], -v[0:1]
	buffer_store_dword v3, off, s[0:3], 0 offset:868
	buffer_store_dword v2, off, s[0:3], 0 offset:864
	buffer_store_dword v1, off, s[0:3], 0 offset:876
	buffer_store_dword v0, off, s[0:3], 0 offset:872
	ds_read2_b64 v[0:3], v16 offset0:110 offset1:111
	s_waitcnt lgkmcnt(0)
	v_mul_f64 v[10:11], v[2:3], v[4:5]
	v_fma_f64 v[10:11], v[0:1], v[30:31], -v[10:11]
	v_mul_f64 v[0:1], v[0:1], v[4:5]
	v_fma_f64 v[0:1], v[2:3], v[30:31], v[0:1]
	buffer_load_dword v2, off, s[0:3], 0 offset:880
	buffer_load_dword v3, off, s[0:3], 0 offset:884
	buffer_load_dword v4, off, s[0:3], 0 offset:888
	buffer_load_dword v5, off, s[0:3], 0 offset:892
	s_waitcnt vmcnt(2)
	v_add_f64 v[2:3], v[2:3], -v[10:11]
	s_waitcnt vmcnt(0)
	v_add_f64 v[0:1], v[4:5], -v[0:1]
	buffer_store_dword v3, off, s[0:3], 0 offset:884
	buffer_store_dword v2, off, s[0:3], 0 offset:880
	;; [unrolled: 1-line block ×4, first 2 shown]
	ds_read2_b64 v[10:13], v16 offset0:112 offset1:113
	buffer_load_dword v0, off, s[0:3], 0 offset:784
	buffer_load_dword v1, off, s[0:3], 0 offset:788
	;; [unrolled: 1-line block ×4, first 2 shown]
	s_waitcnt vmcnt(0) lgkmcnt(0)
	v_mul_f64 v[4:5], v[12:13], v[2:3]
	v_fma_f64 v[4:5], v[10:11], v[0:1], -v[4:5]
	v_mul_f64 v[10:11], v[10:11], v[2:3]
	v_fma_f64 v[10:11], v[12:13], v[0:1], v[10:11]
	buffer_load_dword v13, off, s[0:3], 0 offset:900
	buffer_load_dword v12, off, s[0:3], 0 offset:896
	s_waitcnt vmcnt(0)
	v_add_f64 v[4:5], v[12:13], -v[4:5]
	buffer_load_dword v13, off, s[0:3], 0 offset:908
	buffer_load_dword v12, off, s[0:3], 0 offset:904
	s_waitcnt vmcnt(0)
	v_add_f64 v[10:11], v[12:13], -v[10:11]
	buffer_store_dword v5, off, s[0:3], 0 offset:900
	buffer_store_dword v4, off, s[0:3], 0 offset:896
	buffer_store_dword v11, off, s[0:3], 0 offset:908
	buffer_store_dword v10, off, s[0:3], 0 offset:904
	ds_read2_b64 v[10:13], v16 offset0:114 offset1:115
	s_waitcnt lgkmcnt(0)
	v_mul_f64 v[4:5], v[12:13], v[2:3]
	v_fma_f64 v[4:5], v[10:11], v[0:1], -v[4:5]
	v_mul_f64 v[10:11], v[10:11], v[2:3]
	v_fma_f64 v[10:11], v[12:13], v[0:1], v[10:11]
	buffer_load_dword v12, off, s[0:3], 0 offset:912
	buffer_load_dword v13, off, s[0:3], 0 offset:916
	buffer_load_dword v20, off, s[0:3], 0 offset:920
	buffer_load_dword v21, off, s[0:3], 0 offset:924
	s_waitcnt vmcnt(2)
	v_add_f64 v[4:5], v[12:13], -v[4:5]
	s_waitcnt vmcnt(0)
	v_add_f64 v[10:11], v[20:21], -v[10:11]
	buffer_store_dword v5, off, s[0:3], 0 offset:916
	buffer_store_dword v4, off, s[0:3], 0 offset:912
	buffer_store_dword v11, off, s[0:3], 0 offset:924
	buffer_store_dword v10, off, s[0:3], 0 offset:920
	ds_read2_b64 v[10:13], v16 offset0:116 offset1:117
	s_waitcnt lgkmcnt(0)
	v_mul_f64 v[4:5], v[12:13], v[2:3]
	v_fma_f64 v[4:5], v[10:11], v[0:1], -v[4:5]
	v_mul_f64 v[10:11], v[10:11], v[2:3]
	v_fma_f64 v[10:11], v[12:13], v[0:1], v[10:11]
	buffer_load_dword v12, off, s[0:3], 0 offset:928
	buffer_load_dword v13, off, s[0:3], 0 offset:932
	buffer_load_dword v20, off, s[0:3], 0 offset:936
	buffer_load_dword v21, off, s[0:3], 0 offset:940
	s_waitcnt vmcnt(2)
	v_add_f64 v[4:5], v[12:13], -v[4:5]
	;; [unrolled: 18-line block ×4, first 2 shown]
	s_waitcnt vmcnt(0)
	v_add_f64 v[10:11], v[20:21], -v[10:11]
	buffer_store_dword v5, off, s[0:3], 0 offset:964
	buffer_store_dword v4, off, s[0:3], 0 offset:960
	buffer_store_dword v11, off, s[0:3], 0 offset:972
	buffer_store_dword v10, off, s[0:3], 0 offset:968
	ds_read2_b64 v[10:13], v16 offset0:122 offset1:123
	s_waitcnt lgkmcnt(0)
	v_mul_f64 v[4:5], v[12:13], v[2:3]
	v_mul_f64 v[2:3], v[10:11], v[2:3]
	v_fma_f64 v[4:5], v[10:11], v[0:1], -v[4:5]
	v_fma_f64 v[0:1], v[12:13], v[0:1], v[2:3]
	buffer_load_dword v2, off, s[0:3], 0 offset:976
	buffer_load_dword v3, off, s[0:3], 0 offset:980
	;; [unrolled: 1-line block ×4, first 2 shown]
	s_waitcnt vmcnt(2)
	v_add_f64 v[2:3], v[2:3], -v[4:5]
	s_waitcnt vmcnt(0)
	v_add_f64 v[0:1], v[10:11], -v[0:1]
	buffer_store_dword v3, off, s[0:3], 0 offset:980
	buffer_store_dword v2, off, s[0:3], 0 offset:976
	;; [unrolled: 1-line block ×4, first 2 shown]
	ds_read2_b64 v[0:3], v16 offset0:124 offset1:125
	buffer_load_dword v4, off, s[0:3], 0 offset:784
	buffer_load_dword v5, off, s[0:3], 0 offset:788
	;; [unrolled: 1-line block ×4, first 2 shown]
	s_waitcnt vmcnt(0) lgkmcnt(0)
	v_mul_f64 v[12:13], v[2:3], v[10:11]
	v_fma_f64 v[12:13], v[0:1], v[4:5], -v[12:13]
	v_mul_f64 v[0:1], v[0:1], v[10:11]
	v_fma_f64 v[0:1], v[2:3], v[4:5], v[0:1]
	buffer_load_dword v3, off, s[0:3], 0 offset:996
	buffer_load_dword v2, off, s[0:3], 0 offset:992
	s_waitcnt vmcnt(0)
	v_add_f64 v[2:3], v[2:3], -v[12:13]
	buffer_load_dword v13, off, s[0:3], 0 offset:1004
	buffer_load_dword v12, off, s[0:3], 0 offset:1000
	s_waitcnt vmcnt(0)
	v_add_f64 v[0:1], v[12:13], -v[0:1]
	buffer_store_dword v3, off, s[0:3], 0 offset:996
	buffer_store_dword v2, off, s[0:3], 0 offset:992
	;; [unrolled: 1-line block ×4, first 2 shown]
	ds_read2_b64 v[0:3], v16 offset0:126 offset1:127
	s_waitcnt lgkmcnt(0)
	v_mul_f64 v[12:13], v[2:3], v[10:11]
	v_fma_f64 v[12:13], v[0:1], v[4:5], -v[12:13]
	v_mul_f64 v[0:1], v[0:1], v[10:11]
	v_fma_f64 v[0:1], v[2:3], v[4:5], v[0:1]
	buffer_load_dword v2, off, s[0:3], 0 offset:1008
	buffer_load_dword v3, off, s[0:3], 0 offset:1012
	;; [unrolled: 1-line block ×4, first 2 shown]
	s_waitcnt vmcnt(2)
	v_add_f64 v[2:3], v[2:3], -v[12:13]
	s_waitcnt vmcnt(0)
	v_add_f64 v[0:1], v[4:5], -v[0:1]
	buffer_store_dword v3, off, s[0:3], 0 offset:1012
	buffer_store_dword v2, off, s[0:3], 0 offset:1008
	;; [unrolled: 1-line block ×4, first 2 shown]
.LBB126_1167:
	s_or_b64 exec, exec, s[4:5]
	v_mov_b32_e32 v3, s38
	s_waitcnt vmcnt(0)
	s_barrier
	buffer_load_dword v0, v3, s[0:3], 0 offen
	buffer_load_dword v1, v3, s[0:3], 0 offen offset:4
	buffer_load_dword v2, v3, s[0:3], 0 offen offset:8
	s_nop 0
	buffer_load_dword v3, v3, s[0:3], 0 offen offset:12
	v_lshl_add_u32 v4, v19, 4, v16
	s_cmp_lt_i32 s66, 52
	s_waitcnt vmcnt(0)
	ds_write2_b64 v4, v[0:1], v[2:3] offset1:1
	s_waitcnt lgkmcnt(0)
	s_barrier
	ds_read2_b64 v[0:3], v16 offset0:100 offset1:101
	v_mov_b32_e32 v4, 50
	s_cbranch_scc1 .LBB126_1170
; %bb.1168:
	v_add_u32_e32 v5, 0x330, v16
	s_mov_b32 s16, 51
	v_mov_b32_e32 v4, 50
.LBB126_1169:                           ; =>This Inner Loop Header: Depth=1
	s_waitcnt lgkmcnt(0)
	v_cmp_gt_f64_e32 vcc, 0, v[2:3]
	v_cmp_gt_f64_e64 s[4:5], 0, v[0:1]
	ds_read2_b64 v[10:13], v5 offset1:1
	v_xor_b32_e32 v21, 0x80000000, v1
	v_xor_b32_e32 v23, 0x80000000, v3
	v_mov_b32_e32 v20, v0
	v_mov_b32_e32 v22, v2
	s_waitcnt lgkmcnt(0)
	v_xor_b32_e32 v25, 0x80000000, v13
	v_cndmask_b32_e32 v23, v3, v23, vcc
	v_cndmask_b32_e64 v21, v1, v21, s[4:5]
	v_cmp_gt_f64_e32 vcc, 0, v[12:13]
	v_cmp_gt_f64_e64 s[4:5], 0, v[10:11]
	v_add_f64 v[20:21], v[20:21], v[22:23]
	v_xor_b32_e32 v23, 0x80000000, v11
	v_mov_b32_e32 v22, v10
	v_mov_b32_e32 v24, v12
	v_add_u32_e32 v5, 16, v5
	v_cndmask_b32_e32 v25, v13, v25, vcc
	v_cndmask_b32_e64 v23, v11, v23, s[4:5]
	v_add_f64 v[22:23], v[22:23], v[24:25]
	v_mov_b32_e32 v24, s16
	s_add_i32 s16, s16, 1
	s_cmp_lg_u32 s66, s16
	v_cmp_lt_f64_e32 vcc, v[20:21], v[22:23]
	v_cndmask_b32_e32 v1, v1, v11, vcc
	v_cndmask_b32_e32 v0, v0, v10, vcc
	;; [unrolled: 1-line block ×5, first 2 shown]
	s_cbranch_scc1 .LBB126_1169
.LBB126_1170:
	s_waitcnt lgkmcnt(0)
	v_cmp_eq_f64_e32 vcc, 0, v[0:1]
	v_cmp_eq_f64_e64 s[4:5], 0, v[2:3]
	s_and_b64 s[4:5], vcc, s[4:5]
	s_and_saveexec_b64 s[16:17], s[4:5]
	s_xor_b64 s[4:5], exec, s[16:17]
; %bb.1171:
	v_cmp_ne_u32_e32 vcc, 0, v17
	v_cndmask_b32_e32 v17, 51, v17, vcc
; %bb.1172:
	s_andn2_saveexec_b64 s[4:5], s[4:5]
	s_cbranch_execz .LBB126_1178
; %bb.1173:
	v_cmp_ngt_f64_e64 s[16:17], |v[0:1]|, |v[2:3]|
	s_and_saveexec_b64 s[18:19], s[16:17]
	s_xor_b64 s[18:19], exec, s[18:19]
	s_cbranch_execz .LBB126_1175
; %bb.1174:
	v_div_scale_f64 v[10:11], s[16:17], v[2:3], v[2:3], v[0:1]
	v_rcp_f64_e32 v[12:13], v[10:11]
	v_fma_f64 v[20:21], -v[10:11], v[12:13], 1.0
	v_fma_f64 v[12:13], v[12:13], v[20:21], v[12:13]
	v_div_scale_f64 v[20:21], vcc, v[0:1], v[2:3], v[0:1]
	v_fma_f64 v[22:23], -v[10:11], v[12:13], 1.0
	v_fma_f64 v[12:13], v[12:13], v[22:23], v[12:13]
	v_mul_f64 v[22:23], v[20:21], v[12:13]
	v_fma_f64 v[10:11], -v[10:11], v[22:23], v[20:21]
	v_div_fmas_f64 v[10:11], v[10:11], v[12:13], v[22:23]
	v_div_fixup_f64 v[10:11], v[10:11], v[2:3], v[0:1]
	v_fma_f64 v[0:1], v[0:1], v[10:11], v[2:3]
	v_div_scale_f64 v[2:3], s[16:17], v[0:1], v[0:1], 1.0
	v_div_scale_f64 v[22:23], vcc, 1.0, v[0:1], 1.0
	v_rcp_f64_e32 v[12:13], v[2:3]
	v_fma_f64 v[20:21], -v[2:3], v[12:13], 1.0
	v_fma_f64 v[12:13], v[12:13], v[20:21], v[12:13]
	v_fma_f64 v[20:21], -v[2:3], v[12:13], 1.0
	v_fma_f64 v[12:13], v[12:13], v[20:21], v[12:13]
	v_mul_f64 v[20:21], v[22:23], v[12:13]
	v_fma_f64 v[2:3], -v[2:3], v[20:21], v[22:23]
	v_div_fmas_f64 v[2:3], v[2:3], v[12:13], v[20:21]
	v_div_fixup_f64 v[2:3], v[2:3], v[0:1], 1.0
	v_mul_f64 v[0:1], v[10:11], v[2:3]
	v_xor_b32_e32 v3, 0x80000000, v3
.LBB126_1175:
	s_andn2_saveexec_b64 s[18:19], s[18:19]
	s_cbranch_execz .LBB126_1177
; %bb.1176:
	v_div_scale_f64 v[10:11], s[16:17], v[0:1], v[0:1], v[2:3]
	v_rcp_f64_e32 v[12:13], v[10:11]
	v_fma_f64 v[20:21], -v[10:11], v[12:13], 1.0
	v_fma_f64 v[12:13], v[12:13], v[20:21], v[12:13]
	v_div_scale_f64 v[20:21], vcc, v[2:3], v[0:1], v[2:3]
	v_fma_f64 v[22:23], -v[10:11], v[12:13], 1.0
	v_fma_f64 v[12:13], v[12:13], v[22:23], v[12:13]
	v_mul_f64 v[22:23], v[20:21], v[12:13]
	v_fma_f64 v[10:11], -v[10:11], v[22:23], v[20:21]
	v_div_fmas_f64 v[10:11], v[10:11], v[12:13], v[22:23]
	v_div_fixup_f64 v[10:11], v[10:11], v[0:1], v[2:3]
	v_fma_f64 v[0:1], v[2:3], v[10:11], v[0:1]
	v_div_scale_f64 v[2:3], s[16:17], v[0:1], v[0:1], 1.0
	v_div_scale_f64 v[22:23], vcc, 1.0, v[0:1], 1.0
	v_rcp_f64_e32 v[12:13], v[2:3]
	v_fma_f64 v[20:21], -v[2:3], v[12:13], 1.0
	v_fma_f64 v[12:13], v[12:13], v[20:21], v[12:13]
	v_fma_f64 v[20:21], -v[2:3], v[12:13], 1.0
	v_fma_f64 v[12:13], v[12:13], v[20:21], v[12:13]
	v_mul_f64 v[20:21], v[22:23], v[12:13]
	v_fma_f64 v[2:3], -v[2:3], v[20:21], v[22:23]
	v_div_fmas_f64 v[2:3], v[2:3], v[12:13], v[20:21]
	v_div_fixup_f64 v[0:1], v[2:3], v[0:1], 1.0
	v_mul_f64 v[2:3], v[10:11], -v[0:1]
.LBB126_1177:
	s_or_b64 exec, exec, s[18:19]
.LBB126_1178:
	s_or_b64 exec, exec, s[4:5]
	v_cmp_ne_u32_e32 vcc, v19, v4
	s_and_saveexec_b64 s[4:5], vcc
	s_xor_b64 s[4:5], exec, s[4:5]
	s_cbranch_execz .LBB126_1184
; %bb.1179:
	v_cmp_eq_u32_e32 vcc, 50, v19
	s_and_saveexec_b64 s[18:19], vcc
	s_cbranch_execz .LBB126_1183
; %bb.1180:
	v_cmp_ne_u32_e32 vcc, 50, v4
	s_xor_b64 s[16:17], s[10:11], -1
	s_and_b64 s[16:17], s[16:17], vcc
	s_and_saveexec_b64 s[24:25], s[16:17]
	s_cbranch_execz .LBB126_1182
; %bb.1181:
	v_ashrrev_i32_e32 v5, 31, v4
	v_lshlrev_b64 v[10:11], 2, v[4:5]
	v_add_co_u32_e32 v10, vcc, v8, v10
	v_addc_co_u32_e32 v11, vcc, v9, v11, vcc
	global_load_dword v5, v[10:11], off
	global_load_dword v12, v[8:9], off offset:200
	s_waitcnt vmcnt(1)
	global_store_dword v[8:9], v5, off offset:200
	s_waitcnt vmcnt(1)
	global_store_dword v[10:11], v12, off
.LBB126_1182:
	s_or_b64 exec, exec, s[24:25]
	v_mov_b32_e32 v19, v4
	v_mov_b32_e32 v18, v4
.LBB126_1183:
	s_or_b64 exec, exec, s[18:19]
.LBB126_1184:
	s_andn2_saveexec_b64 s[4:5], s[4:5]
	s_cbranch_execz .LBB126_1186
; %bb.1185:
	v_mov_b32_e32 v11, s37
	buffer_load_dword v4, v11, s[0:3], 0 offen
	buffer_load_dword v5, v11, s[0:3], 0 offen offset:4
	buffer_load_dword v10, v11, s[0:3], 0 offen offset:8
	s_nop 0
	buffer_load_dword v11, v11, s[0:3], 0 offen offset:12
	v_mov_b32_e32 v19, 50
	s_waitcnt vmcnt(0)
	ds_write2_b64 v16, v[4:5], v[10:11] offset0:102 offset1:103
	v_mov_b32_e32 v11, s36
	buffer_load_dword v4, v11, s[0:3], 0 offen
	buffer_load_dword v5, v11, s[0:3], 0 offen offset:4
	buffer_load_dword v10, v11, s[0:3], 0 offen offset:8
	s_nop 0
	buffer_load_dword v11, v11, s[0:3], 0 offen offset:12
	s_waitcnt vmcnt(0)
	ds_write2_b64 v16, v[4:5], v[10:11] offset0:104 offset1:105
	v_mov_b32_e32 v11, s35
	buffer_load_dword v4, v11, s[0:3], 0 offen
	buffer_load_dword v5, v11, s[0:3], 0 offen offset:4
	buffer_load_dword v10, v11, s[0:3], 0 offen offset:8
	s_nop 0
	buffer_load_dword v11, v11, s[0:3], 0 offen offset:12
	s_waitcnt vmcnt(0)
	ds_write2_b64 v16, v[4:5], v[10:11] offset0:106 offset1:107
	v_mov_b32_e32 v11, s34
	buffer_load_dword v4, v11, s[0:3], 0 offen
	buffer_load_dword v5, v11, s[0:3], 0 offen offset:4
	buffer_load_dword v10, v11, s[0:3], 0 offen offset:8
	s_nop 0
	buffer_load_dword v11, v11, s[0:3], 0 offen offset:12
	s_waitcnt vmcnt(0)
	ds_write2_b64 v16, v[4:5], v[10:11] offset0:108 offset1:109
	v_mov_b32_e32 v11, s33
	buffer_load_dword v4, v11, s[0:3], 0 offen
	buffer_load_dword v5, v11, s[0:3], 0 offen offset:4
	buffer_load_dword v10, v11, s[0:3], 0 offen offset:8
	s_nop 0
	buffer_load_dword v11, v11, s[0:3], 0 offen offset:12
	s_waitcnt vmcnt(0)
	ds_write2_b64 v16, v[4:5], v[10:11] offset0:110 offset1:111
	v_mov_b32_e32 v11, s31
	buffer_load_dword v4, v11, s[0:3], 0 offen
	buffer_load_dword v5, v11, s[0:3], 0 offen offset:4
	buffer_load_dword v10, v11, s[0:3], 0 offen offset:8
	s_nop 0
	buffer_load_dword v11, v11, s[0:3], 0 offen offset:12
	s_waitcnt vmcnt(0)
	ds_write2_b64 v16, v[4:5], v[10:11] offset0:112 offset1:113
	v_mov_b32_e32 v11, s30
	buffer_load_dword v4, v11, s[0:3], 0 offen
	buffer_load_dword v5, v11, s[0:3], 0 offen offset:4
	buffer_load_dword v10, v11, s[0:3], 0 offen offset:8
	s_nop 0
	buffer_load_dword v11, v11, s[0:3], 0 offen offset:12
	s_waitcnt vmcnt(0)
	ds_write2_b64 v16, v[4:5], v[10:11] offset0:114 offset1:115
	v_mov_b32_e32 v11, s29
	buffer_load_dword v4, v11, s[0:3], 0 offen
	buffer_load_dword v5, v11, s[0:3], 0 offen offset:4
	buffer_load_dword v10, v11, s[0:3], 0 offen offset:8
	s_nop 0
	buffer_load_dword v11, v11, s[0:3], 0 offen offset:12
	s_waitcnt vmcnt(0)
	ds_write2_b64 v16, v[4:5], v[10:11] offset0:116 offset1:117
	v_mov_b32_e32 v11, s28
	buffer_load_dword v4, v11, s[0:3], 0 offen
	buffer_load_dword v5, v11, s[0:3], 0 offen offset:4
	buffer_load_dword v10, v11, s[0:3], 0 offen offset:8
	s_nop 0
	buffer_load_dword v11, v11, s[0:3], 0 offen offset:12
	s_waitcnt vmcnt(0)
	ds_write2_b64 v16, v[4:5], v[10:11] offset0:118 offset1:119
	v_mov_b32_e32 v11, s27
	buffer_load_dword v4, v11, s[0:3], 0 offen
	buffer_load_dword v5, v11, s[0:3], 0 offen offset:4
	buffer_load_dword v10, v11, s[0:3], 0 offen offset:8
	s_nop 0
	buffer_load_dword v11, v11, s[0:3], 0 offen offset:12
	s_waitcnt vmcnt(0)
	ds_write2_b64 v16, v[4:5], v[10:11] offset0:120 offset1:121
	v_mov_b32_e32 v11, s26
	buffer_load_dword v4, v11, s[0:3], 0 offen
	buffer_load_dword v5, v11, s[0:3], 0 offen offset:4
	buffer_load_dword v10, v11, s[0:3], 0 offen offset:8
	s_nop 0
	buffer_load_dword v11, v11, s[0:3], 0 offen offset:12
	s_waitcnt vmcnt(0)
	ds_write2_b64 v16, v[4:5], v[10:11] offset0:122 offset1:123
	v_mov_b32_e32 v11, s20
	buffer_load_dword v4, v11, s[0:3], 0 offen
	buffer_load_dword v5, v11, s[0:3], 0 offen offset:4
	buffer_load_dword v10, v11, s[0:3], 0 offen offset:8
	s_nop 0
	buffer_load_dword v11, v11, s[0:3], 0 offen offset:12
	s_waitcnt vmcnt(0)
	ds_write2_b64 v16, v[4:5], v[10:11] offset0:124 offset1:125
	v_mov_b32_e32 v11, s7
	buffer_load_dword v4, v11, s[0:3], 0 offen
	buffer_load_dword v5, v11, s[0:3], 0 offen offset:4
	buffer_load_dword v10, v11, s[0:3], 0 offen offset:8
	s_nop 0
	buffer_load_dword v11, v11, s[0:3], 0 offen offset:12
	s_waitcnt vmcnt(0)
	ds_write2_b64 v16, v[4:5], v[10:11] offset0:126 offset1:127
.LBB126_1186:
	s_or_b64 exec, exec, s[4:5]
	v_cmp_lt_i32_e32 vcc, 50, v19
	s_waitcnt vmcnt(0) lgkmcnt(0)
	s_barrier
	s_and_saveexec_b64 s[4:5], vcc
	s_cbranch_execz .LBB126_1188
; %bb.1187:
	buffer_load_dword v10, off, s[0:3], 0 offset:800
	buffer_load_dword v11, off, s[0:3], 0 offset:804
	;; [unrolled: 1-line block ×16, first 2 shown]
	s_waitcnt vmcnt(12)
	v_mul_f64 v[4:5], v[2:3], v[12:13]
	v_fma_f64 v[4:5], v[0:1], v[10:11], -v[4:5]
	v_mul_f64 v[0:1], v[0:1], v[12:13]
	v_fma_f64 v[10:11], v[2:3], v[10:11], v[0:1]
	buffer_store_dword v4, off, s[0:3], 0 offset:800
	buffer_store_dword v5, off, s[0:3], 0 offset:804
	buffer_store_dword v10, off, s[0:3], 0 offset:808
	buffer_store_dword v11, off, s[0:3], 0 offset:812
	ds_read2_b64 v[0:3], v16 offset0:102 offset1:103
	s_waitcnt lgkmcnt(0)
	v_mul_f64 v[12:13], v[2:3], v[10:11]
	v_fma_f64 v[12:13], v[0:1], v[4:5], -v[12:13]
	v_mul_f64 v[0:1], v[0:1], v[10:11]
	v_fma_f64 v[0:1], v[2:3], v[4:5], v[0:1]
	s_waitcnt vmcnt(14)
	v_add_f64 v[2:3], v[20:21], -v[12:13]
	s_waitcnt vmcnt(12)
	v_add_f64 v[0:1], v[22:23], -v[0:1]
	buffer_store_dword v2, off, s[0:3], 0 offset:816
	buffer_store_dword v3, off, s[0:3], 0 offset:820
	buffer_store_dword v0, off, s[0:3], 0 offset:824
	buffer_store_dword v1, off, s[0:3], 0 offset:828
	ds_read2_b64 v[0:3], v16 offset0:104 offset1:105
	s_waitcnt lgkmcnt(0)
	v_mul_f64 v[12:13], v[2:3], v[10:11]
	v_fma_f64 v[12:13], v[0:1], v[4:5], -v[12:13]
	v_mul_f64 v[0:1], v[0:1], v[10:11]
	v_fma_f64 v[0:1], v[2:3], v[4:5], v[0:1]
	s_waitcnt vmcnt(14)
	v_add_f64 v[2:3], v[24:25], -v[12:13]
	s_waitcnt vmcnt(12)
	v_add_f64 v[0:1], v[26:27], -v[0:1]
	;; [unrolled: 14-line block ×3, first 2 shown]
	buffer_store_dword v3, off, s[0:3], 0 offset:852
	buffer_store_dword v2, off, s[0:3], 0 offset:848
	buffer_store_dword v0, off, s[0:3], 0 offset:856
	buffer_store_dword v1, off, s[0:3], 0 offset:860
	ds_read2_b64 v[0:3], v16 offset0:108 offset1:109
	s_waitcnt lgkmcnt(0)
	v_mul_f64 v[12:13], v[2:3], v[10:11]
	v_fma_f64 v[12:13], v[0:1], v[4:5], -v[12:13]
	v_mul_f64 v[0:1], v[0:1], v[10:11]
	v_fma_f64 v[0:1], v[2:3], v[4:5], v[0:1]
	buffer_load_dword v2, off, s[0:3], 0 offset:864
	buffer_load_dword v3, off, s[0:3], 0 offset:868
	buffer_load_dword v20, off, s[0:3], 0 offset:872
	buffer_load_dword v21, off, s[0:3], 0 offset:876
	s_waitcnt vmcnt(2)
	v_add_f64 v[2:3], v[2:3], -v[12:13]
	s_waitcnt vmcnt(0)
	v_add_f64 v[0:1], v[20:21], -v[0:1]
	buffer_store_dword v3, off, s[0:3], 0 offset:868
	buffer_store_dword v2, off, s[0:3], 0 offset:864
	buffer_store_dword v1, off, s[0:3], 0 offset:876
	buffer_store_dword v0, off, s[0:3], 0 offset:872
	ds_read2_b64 v[0:3], v16 offset0:110 offset1:111
	s_waitcnt lgkmcnt(0)
	v_mul_f64 v[12:13], v[2:3], v[10:11]
	v_fma_f64 v[12:13], v[0:1], v[4:5], -v[12:13]
	v_mul_f64 v[0:1], v[0:1], v[10:11]
	v_fma_f64 v[0:1], v[2:3], v[4:5], v[0:1]
	buffer_load_dword v2, off, s[0:3], 0 offset:880
	buffer_load_dword v3, off, s[0:3], 0 offset:884
	buffer_load_dword v20, off, s[0:3], 0 offset:888
	buffer_load_dword v21, off, s[0:3], 0 offset:892
	s_waitcnt vmcnt(2)
	v_add_f64 v[2:3], v[2:3], -v[12:13]
	s_waitcnt vmcnt(0)
	v_add_f64 v[0:1], v[20:21], -v[0:1]
	;; [unrolled: 18-line block ×3, first 2 shown]
	buffer_store_dword v3, off, s[0:3], 0 offset:900
	buffer_store_dword v2, off, s[0:3], 0 offset:896
	;; [unrolled: 1-line block ×4, first 2 shown]
	ds_read2_b64 v[0:3], v16 offset0:114 offset1:115
	buffer_load_dword v4, off, s[0:3], 0 offset:800
	buffer_load_dword v5, off, s[0:3], 0 offset:804
	;; [unrolled: 1-line block ×4, first 2 shown]
	s_waitcnt vmcnt(0) lgkmcnt(0)
	v_mul_f64 v[12:13], v[2:3], v[10:11]
	v_fma_f64 v[12:13], v[0:1], v[4:5], -v[12:13]
	v_mul_f64 v[0:1], v[0:1], v[10:11]
	v_fma_f64 v[0:1], v[2:3], v[4:5], v[0:1]
	buffer_load_dword v3, off, s[0:3], 0 offset:916
	buffer_load_dword v2, off, s[0:3], 0 offset:912
	s_waitcnt vmcnt(0)
	v_add_f64 v[2:3], v[2:3], -v[12:13]
	buffer_load_dword v13, off, s[0:3], 0 offset:924
	buffer_load_dword v12, off, s[0:3], 0 offset:920
	s_waitcnt vmcnt(0)
	v_add_f64 v[0:1], v[12:13], -v[0:1]
	buffer_store_dword v3, off, s[0:3], 0 offset:916
	buffer_store_dword v2, off, s[0:3], 0 offset:912
	buffer_store_dword v1, off, s[0:3], 0 offset:924
	buffer_store_dword v0, off, s[0:3], 0 offset:920
	ds_read2_b64 v[0:3], v16 offset0:116 offset1:117
	s_waitcnt lgkmcnt(0)
	v_mul_f64 v[12:13], v[2:3], v[10:11]
	v_fma_f64 v[12:13], v[0:1], v[4:5], -v[12:13]
	v_mul_f64 v[0:1], v[0:1], v[10:11]
	v_fma_f64 v[0:1], v[2:3], v[4:5], v[0:1]
	buffer_load_dword v2, off, s[0:3], 0 offset:928
	buffer_load_dword v3, off, s[0:3], 0 offset:932
	buffer_load_dword v20, off, s[0:3], 0 offset:936
	buffer_load_dword v21, off, s[0:3], 0 offset:940
	s_waitcnt vmcnt(2)
	v_add_f64 v[2:3], v[2:3], -v[12:13]
	s_waitcnt vmcnt(0)
	v_add_f64 v[0:1], v[20:21], -v[0:1]
	buffer_store_dword v3, off, s[0:3], 0 offset:932
	buffer_store_dword v2, off, s[0:3], 0 offset:928
	buffer_store_dword v1, off, s[0:3], 0 offset:940
	buffer_store_dword v0, off, s[0:3], 0 offset:936
	ds_read2_b64 v[0:3], v16 offset0:118 offset1:119
	s_waitcnt lgkmcnt(0)
	v_mul_f64 v[12:13], v[2:3], v[10:11]
	v_fma_f64 v[12:13], v[0:1], v[4:5], -v[12:13]
	v_mul_f64 v[0:1], v[0:1], v[10:11]
	v_fma_f64 v[0:1], v[2:3], v[4:5], v[0:1]
	buffer_load_dword v2, off, s[0:3], 0 offset:944
	buffer_load_dword v3, off, s[0:3], 0 offset:948
	buffer_load_dword v20, off, s[0:3], 0 offset:952
	buffer_load_dword v21, off, s[0:3], 0 offset:956
	s_waitcnt vmcnt(2)
	v_add_f64 v[2:3], v[2:3], -v[12:13]
	;; [unrolled: 18-line block ×5, first 2 shown]
	s_waitcnt vmcnt(0)
	v_add_f64 v[0:1], v[4:5], -v[0:1]
	buffer_store_dword v3, off, s[0:3], 0 offset:996
	buffer_store_dword v2, off, s[0:3], 0 offset:992
	;; [unrolled: 1-line block ×4, first 2 shown]
	ds_read2_b64 v[0:3], v16 offset0:126 offset1:127
	buffer_load_dword v4, off, s[0:3], 0 offset:800
	buffer_load_dword v5, off, s[0:3], 0 offset:804
	buffer_load_dword v10, off, s[0:3], 0 offset:808
	buffer_load_dword v11, off, s[0:3], 0 offset:812
	s_waitcnt vmcnt(0) lgkmcnt(0)
	v_mul_f64 v[12:13], v[2:3], v[10:11]
	v_fma_f64 v[12:13], v[0:1], v[4:5], -v[12:13]
	v_mul_f64 v[0:1], v[0:1], v[10:11]
	v_fma_f64 v[0:1], v[2:3], v[4:5], v[0:1]
	buffer_load_dword v3, off, s[0:3], 0 offset:1012
	buffer_load_dword v2, off, s[0:3], 0 offset:1008
	;; [unrolled: 1-line block ×4, first 2 shown]
	s_waitcnt vmcnt(2)
	v_add_f64 v[2:3], v[2:3], -v[12:13]
	s_waitcnt vmcnt(0)
	v_add_f64 v[0:1], v[4:5], -v[0:1]
	buffer_store_dword v3, off, s[0:3], 0 offset:1012
	buffer_store_dword v2, off, s[0:3], 0 offset:1008
	;; [unrolled: 1-line block ×4, first 2 shown]
.LBB126_1188:
	s_or_b64 exec, exec, s[4:5]
	v_mov_b32_e32 v3, s37
	s_waitcnt vmcnt(0)
	s_barrier
	buffer_load_dword v0, v3, s[0:3], 0 offen
	buffer_load_dword v1, v3, s[0:3], 0 offen offset:4
	buffer_load_dword v2, v3, s[0:3], 0 offen offset:8
	s_nop 0
	buffer_load_dword v3, v3, s[0:3], 0 offen offset:12
	v_lshl_add_u32 v4, v19, 4, v16
	s_cmp_lt_i32 s66, 53
	s_waitcnt vmcnt(0)
	ds_write2_b64 v4, v[0:1], v[2:3] offset1:1
	s_waitcnt lgkmcnt(0)
	s_barrier
	ds_read2_b64 v[0:3], v16 offset0:102 offset1:103
	v_mov_b32_e32 v4, 51
	s_cbranch_scc1 .LBB126_1191
; %bb.1189:
	v_add_u32_e32 v5, 0x340, v16
	s_mov_b32 s16, 52
	v_mov_b32_e32 v4, 51
.LBB126_1190:                           ; =>This Inner Loop Header: Depth=1
	s_waitcnt lgkmcnt(0)
	v_cmp_gt_f64_e32 vcc, 0, v[2:3]
	v_cmp_gt_f64_e64 s[4:5], 0, v[0:1]
	ds_read2_b64 v[10:13], v5 offset1:1
	v_xor_b32_e32 v21, 0x80000000, v1
	v_xor_b32_e32 v23, 0x80000000, v3
	v_mov_b32_e32 v20, v0
	v_mov_b32_e32 v22, v2
	s_waitcnt lgkmcnt(0)
	v_xor_b32_e32 v25, 0x80000000, v13
	v_cndmask_b32_e32 v23, v3, v23, vcc
	v_cndmask_b32_e64 v21, v1, v21, s[4:5]
	v_cmp_gt_f64_e32 vcc, 0, v[12:13]
	v_cmp_gt_f64_e64 s[4:5], 0, v[10:11]
	v_add_f64 v[20:21], v[20:21], v[22:23]
	v_xor_b32_e32 v23, 0x80000000, v11
	v_mov_b32_e32 v22, v10
	v_mov_b32_e32 v24, v12
	v_add_u32_e32 v5, 16, v5
	v_cndmask_b32_e32 v25, v13, v25, vcc
	v_cndmask_b32_e64 v23, v11, v23, s[4:5]
	v_add_f64 v[22:23], v[22:23], v[24:25]
	v_mov_b32_e32 v24, s16
	s_add_i32 s16, s16, 1
	s_cmp_lg_u32 s66, s16
	v_cmp_lt_f64_e32 vcc, v[20:21], v[22:23]
	v_cndmask_b32_e32 v1, v1, v11, vcc
	v_cndmask_b32_e32 v0, v0, v10, vcc
	;; [unrolled: 1-line block ×5, first 2 shown]
	s_cbranch_scc1 .LBB126_1190
.LBB126_1191:
	s_waitcnt lgkmcnt(0)
	v_cmp_eq_f64_e32 vcc, 0, v[0:1]
	v_cmp_eq_f64_e64 s[4:5], 0, v[2:3]
	s_and_b64 s[4:5], vcc, s[4:5]
	s_and_saveexec_b64 s[16:17], s[4:5]
	s_xor_b64 s[4:5], exec, s[16:17]
; %bb.1192:
	v_cmp_ne_u32_e32 vcc, 0, v17
	v_cndmask_b32_e32 v17, 52, v17, vcc
; %bb.1193:
	s_andn2_saveexec_b64 s[4:5], s[4:5]
	s_cbranch_execz .LBB126_1199
; %bb.1194:
	v_cmp_ngt_f64_e64 s[16:17], |v[0:1]|, |v[2:3]|
	s_and_saveexec_b64 s[18:19], s[16:17]
	s_xor_b64 s[18:19], exec, s[18:19]
	s_cbranch_execz .LBB126_1196
; %bb.1195:
	v_div_scale_f64 v[10:11], s[16:17], v[2:3], v[2:3], v[0:1]
	v_rcp_f64_e32 v[12:13], v[10:11]
	v_fma_f64 v[20:21], -v[10:11], v[12:13], 1.0
	v_fma_f64 v[12:13], v[12:13], v[20:21], v[12:13]
	v_div_scale_f64 v[20:21], vcc, v[0:1], v[2:3], v[0:1]
	v_fma_f64 v[22:23], -v[10:11], v[12:13], 1.0
	v_fma_f64 v[12:13], v[12:13], v[22:23], v[12:13]
	v_mul_f64 v[22:23], v[20:21], v[12:13]
	v_fma_f64 v[10:11], -v[10:11], v[22:23], v[20:21]
	v_div_fmas_f64 v[10:11], v[10:11], v[12:13], v[22:23]
	v_div_fixup_f64 v[10:11], v[10:11], v[2:3], v[0:1]
	v_fma_f64 v[0:1], v[0:1], v[10:11], v[2:3]
	v_div_scale_f64 v[2:3], s[16:17], v[0:1], v[0:1], 1.0
	v_div_scale_f64 v[22:23], vcc, 1.0, v[0:1], 1.0
	v_rcp_f64_e32 v[12:13], v[2:3]
	v_fma_f64 v[20:21], -v[2:3], v[12:13], 1.0
	v_fma_f64 v[12:13], v[12:13], v[20:21], v[12:13]
	v_fma_f64 v[20:21], -v[2:3], v[12:13], 1.0
	v_fma_f64 v[12:13], v[12:13], v[20:21], v[12:13]
	v_mul_f64 v[20:21], v[22:23], v[12:13]
	v_fma_f64 v[2:3], -v[2:3], v[20:21], v[22:23]
	v_div_fmas_f64 v[2:3], v[2:3], v[12:13], v[20:21]
	v_div_fixup_f64 v[2:3], v[2:3], v[0:1], 1.0
	v_mul_f64 v[0:1], v[10:11], v[2:3]
	v_xor_b32_e32 v3, 0x80000000, v3
.LBB126_1196:
	s_andn2_saveexec_b64 s[18:19], s[18:19]
	s_cbranch_execz .LBB126_1198
; %bb.1197:
	v_div_scale_f64 v[10:11], s[16:17], v[0:1], v[0:1], v[2:3]
	v_rcp_f64_e32 v[12:13], v[10:11]
	v_fma_f64 v[20:21], -v[10:11], v[12:13], 1.0
	v_fma_f64 v[12:13], v[12:13], v[20:21], v[12:13]
	v_div_scale_f64 v[20:21], vcc, v[2:3], v[0:1], v[2:3]
	v_fma_f64 v[22:23], -v[10:11], v[12:13], 1.0
	v_fma_f64 v[12:13], v[12:13], v[22:23], v[12:13]
	v_mul_f64 v[22:23], v[20:21], v[12:13]
	v_fma_f64 v[10:11], -v[10:11], v[22:23], v[20:21]
	v_div_fmas_f64 v[10:11], v[10:11], v[12:13], v[22:23]
	v_div_fixup_f64 v[10:11], v[10:11], v[0:1], v[2:3]
	v_fma_f64 v[0:1], v[2:3], v[10:11], v[0:1]
	v_div_scale_f64 v[2:3], s[16:17], v[0:1], v[0:1], 1.0
	v_div_scale_f64 v[22:23], vcc, 1.0, v[0:1], 1.0
	v_rcp_f64_e32 v[12:13], v[2:3]
	v_fma_f64 v[20:21], -v[2:3], v[12:13], 1.0
	v_fma_f64 v[12:13], v[12:13], v[20:21], v[12:13]
	v_fma_f64 v[20:21], -v[2:3], v[12:13], 1.0
	v_fma_f64 v[12:13], v[12:13], v[20:21], v[12:13]
	v_mul_f64 v[20:21], v[22:23], v[12:13]
	v_fma_f64 v[2:3], -v[2:3], v[20:21], v[22:23]
	v_div_fmas_f64 v[2:3], v[2:3], v[12:13], v[20:21]
	v_div_fixup_f64 v[0:1], v[2:3], v[0:1], 1.0
	v_mul_f64 v[2:3], v[10:11], -v[0:1]
.LBB126_1198:
	s_or_b64 exec, exec, s[18:19]
.LBB126_1199:
	s_or_b64 exec, exec, s[4:5]
	v_cmp_ne_u32_e32 vcc, v19, v4
	s_and_saveexec_b64 s[4:5], vcc
	s_xor_b64 s[4:5], exec, s[4:5]
	s_cbranch_execz .LBB126_1205
; %bb.1200:
	v_cmp_eq_u32_e32 vcc, 51, v19
	s_and_saveexec_b64 s[18:19], vcc
	s_cbranch_execz .LBB126_1204
; %bb.1201:
	v_cmp_ne_u32_e32 vcc, 51, v4
	s_xor_b64 s[16:17], s[10:11], -1
	s_and_b64 s[16:17], s[16:17], vcc
	s_and_saveexec_b64 s[24:25], s[16:17]
	s_cbranch_execz .LBB126_1203
; %bb.1202:
	v_ashrrev_i32_e32 v5, 31, v4
	v_lshlrev_b64 v[10:11], 2, v[4:5]
	v_add_co_u32_e32 v10, vcc, v8, v10
	v_addc_co_u32_e32 v11, vcc, v9, v11, vcc
	global_load_dword v5, v[10:11], off
	global_load_dword v12, v[8:9], off offset:204
	s_waitcnt vmcnt(1)
	global_store_dword v[8:9], v5, off offset:204
	s_waitcnt vmcnt(1)
	global_store_dword v[10:11], v12, off
.LBB126_1203:
	s_or_b64 exec, exec, s[24:25]
	v_mov_b32_e32 v19, v4
	v_mov_b32_e32 v18, v4
.LBB126_1204:
	s_or_b64 exec, exec, s[18:19]
.LBB126_1205:
	s_andn2_saveexec_b64 s[4:5], s[4:5]
	s_cbranch_execz .LBB126_1207
; %bb.1206:
	v_mov_b32_e32 v11, s36
	v_mov_b32_e32 v20, s35
	;; [unrolled: 1-line block ×12, first 2 shown]
	buffer_load_dword v4, v11, s[0:3], 0 offen
	buffer_load_dword v5, v11, s[0:3], 0 offen offset:4
	buffer_load_dword v10, v11, s[0:3], 0 offen offset:8
	s_nop 0
	buffer_load_dword v11, v11, s[0:3], 0 offen offset:12
	s_nop 0
	buffer_load_dword v12, v20, s[0:3], 0 offen
	buffer_load_dword v13, v20, s[0:3], 0 offen offset:4
	buffer_load_dword v19, v20, s[0:3], 0 offen offset:8
	s_nop 0
	buffer_load_dword v20, v20, s[0:3], 0 offen offset:12
	s_nop 0
	;; [unrolled: 6-line block ×11, first 2 shown]
	buffer_load_dword v57, v60, s[0:3], 0 offen
	buffer_load_dword v58, v60, s[0:3], 0 offen offset:4
	buffer_load_dword v59, v60, s[0:3], 0 offen offset:8
	s_nop 0
	buffer_load_dword v60, v60, s[0:3], 0 offen offset:12
	s_waitcnt vmcnt(44)
	ds_write2_b64 v16, v[4:5], v[10:11] offset0:104 offset1:105
	s_waitcnt vmcnt(40)
	ds_write2_b64 v16, v[12:13], v[19:20] offset0:106 offset1:107
	;; [unrolled: 2-line block ×12, first 2 shown]
	v_mov_b32_e32 v19, 51
.LBB126_1207:
	s_or_b64 exec, exec, s[4:5]
	v_cmp_lt_i32_e32 vcc, 51, v19
	s_waitcnt vmcnt(0) lgkmcnt(0)
	s_barrier
	s_and_saveexec_b64 s[4:5], vcc
	s_cbranch_execz .LBB126_1209
; %bb.1208:
	buffer_load_dword v4, off, s[0:3], 0 offset:816
	buffer_load_dword v5, off, s[0:3], 0 offset:820
	;; [unrolled: 1-line block ×16, first 2 shown]
	s_waitcnt vmcnt(12)
	v_mul_f64 v[30:31], v[2:3], v[10:11]
	v_fma_f64 v[30:31], v[0:1], v[4:5], -v[30:31]
	v_mul_f64 v[0:1], v[0:1], v[10:11]
	v_fma_f64 v[4:5], v[2:3], v[4:5], v[0:1]
	buffer_store_dword v30, off, s[0:3], 0 offset:816
	buffer_store_dword v31, off, s[0:3], 0 offset:820
	buffer_store_dword v4, off, s[0:3], 0 offset:824
	buffer_store_dword v5, off, s[0:3], 0 offset:828
	ds_read2_b64 v[0:3], v16 offset0:104 offset1:105
	s_waitcnt lgkmcnt(0)
	v_mul_f64 v[10:11], v[2:3], v[4:5]
	v_fma_f64 v[10:11], v[0:1], v[30:31], -v[10:11]
	v_mul_f64 v[0:1], v[0:1], v[4:5]
	v_fma_f64 v[0:1], v[2:3], v[30:31], v[0:1]
	s_waitcnt vmcnt(14)
	v_add_f64 v[2:3], v[12:13], -v[10:11]
	s_waitcnt vmcnt(12)
	v_add_f64 v[0:1], v[20:21], -v[0:1]
	buffer_store_dword v2, off, s[0:3], 0 offset:832
	buffer_store_dword v3, off, s[0:3], 0 offset:836
	buffer_store_dword v0, off, s[0:3], 0 offset:840
	buffer_store_dword v1, off, s[0:3], 0 offset:844
	ds_read2_b64 v[0:3], v16 offset0:106 offset1:107
	s_waitcnt lgkmcnt(0)
	v_mul_f64 v[10:11], v[2:3], v[4:5]
	v_fma_f64 v[10:11], v[0:1], v[30:31], -v[10:11]
	v_mul_f64 v[0:1], v[0:1], v[4:5]
	v_fma_f64 v[0:1], v[2:3], v[30:31], v[0:1]
	s_waitcnt vmcnt(14)
	v_add_f64 v[2:3], v[22:23], -v[10:11]
	s_waitcnt vmcnt(12)
	v_add_f64 v[0:1], v[24:25], -v[0:1]
	;; [unrolled: 14-line block ×3, first 2 shown]
	buffer_store_dword v3, off, s[0:3], 0 offset:868
	buffer_store_dword v2, off, s[0:3], 0 offset:864
	buffer_store_dword v0, off, s[0:3], 0 offset:872
	buffer_store_dword v1, off, s[0:3], 0 offset:876
	ds_read2_b64 v[0:3], v16 offset0:110 offset1:111
	s_waitcnt lgkmcnt(0)
	v_mul_f64 v[10:11], v[2:3], v[4:5]
	v_fma_f64 v[10:11], v[0:1], v[30:31], -v[10:11]
	v_mul_f64 v[0:1], v[0:1], v[4:5]
	v_fma_f64 v[0:1], v[2:3], v[30:31], v[0:1]
	buffer_load_dword v2, off, s[0:3], 0 offset:880
	buffer_load_dword v3, off, s[0:3], 0 offset:884
	buffer_load_dword v12, off, s[0:3], 0 offset:888
	buffer_load_dword v13, off, s[0:3], 0 offset:892
	s_waitcnt vmcnt(2)
	v_add_f64 v[2:3], v[2:3], -v[10:11]
	s_waitcnt vmcnt(0)
	v_add_f64 v[0:1], v[12:13], -v[0:1]
	buffer_store_dword v3, off, s[0:3], 0 offset:884
	buffer_store_dword v2, off, s[0:3], 0 offset:880
	buffer_store_dword v1, off, s[0:3], 0 offset:892
	buffer_store_dword v0, off, s[0:3], 0 offset:888
	ds_read2_b64 v[0:3], v16 offset0:112 offset1:113
	s_waitcnt lgkmcnt(0)
	v_mul_f64 v[10:11], v[2:3], v[4:5]
	v_fma_f64 v[10:11], v[0:1], v[30:31], -v[10:11]
	v_mul_f64 v[0:1], v[0:1], v[4:5]
	v_fma_f64 v[0:1], v[2:3], v[30:31], v[0:1]
	buffer_load_dword v2, off, s[0:3], 0 offset:896
	buffer_load_dword v3, off, s[0:3], 0 offset:900
	buffer_load_dword v12, off, s[0:3], 0 offset:904
	buffer_load_dword v13, off, s[0:3], 0 offset:908
	s_waitcnt vmcnt(2)
	v_add_f64 v[2:3], v[2:3], -v[10:11]
	s_waitcnt vmcnt(0)
	v_add_f64 v[0:1], v[12:13], -v[0:1]
	;; [unrolled: 18-line block ×3, first 2 shown]
	buffer_store_dword v3, off, s[0:3], 0 offset:916
	buffer_store_dword v2, off, s[0:3], 0 offset:912
	;; [unrolled: 1-line block ×4, first 2 shown]
	ds_read2_b64 v[10:13], v16 offset0:116 offset1:117
	buffer_load_dword v0, off, s[0:3], 0 offset:816
	buffer_load_dword v1, off, s[0:3], 0 offset:820
	;; [unrolled: 1-line block ×4, first 2 shown]
	s_waitcnt vmcnt(0) lgkmcnt(0)
	v_mul_f64 v[4:5], v[12:13], v[2:3]
	v_fma_f64 v[4:5], v[10:11], v[0:1], -v[4:5]
	v_mul_f64 v[10:11], v[10:11], v[2:3]
	v_fma_f64 v[10:11], v[12:13], v[0:1], v[10:11]
	buffer_load_dword v13, off, s[0:3], 0 offset:932
	buffer_load_dword v12, off, s[0:3], 0 offset:928
	s_waitcnt vmcnt(0)
	v_add_f64 v[4:5], v[12:13], -v[4:5]
	buffer_load_dword v13, off, s[0:3], 0 offset:940
	buffer_load_dword v12, off, s[0:3], 0 offset:936
	s_waitcnt vmcnt(0)
	v_add_f64 v[10:11], v[12:13], -v[10:11]
	buffer_store_dword v5, off, s[0:3], 0 offset:932
	buffer_store_dword v4, off, s[0:3], 0 offset:928
	buffer_store_dword v11, off, s[0:3], 0 offset:940
	buffer_store_dword v10, off, s[0:3], 0 offset:936
	ds_read2_b64 v[10:13], v16 offset0:118 offset1:119
	s_waitcnt lgkmcnt(0)
	v_mul_f64 v[4:5], v[12:13], v[2:3]
	v_fma_f64 v[4:5], v[10:11], v[0:1], -v[4:5]
	v_mul_f64 v[10:11], v[10:11], v[2:3]
	v_fma_f64 v[10:11], v[12:13], v[0:1], v[10:11]
	buffer_load_dword v12, off, s[0:3], 0 offset:944
	buffer_load_dword v13, off, s[0:3], 0 offset:948
	buffer_load_dword v20, off, s[0:3], 0 offset:952
	buffer_load_dword v21, off, s[0:3], 0 offset:956
	s_waitcnt vmcnt(2)
	v_add_f64 v[4:5], v[12:13], -v[4:5]
	s_waitcnt vmcnt(0)
	v_add_f64 v[10:11], v[20:21], -v[10:11]
	buffer_store_dword v5, off, s[0:3], 0 offset:948
	buffer_store_dword v4, off, s[0:3], 0 offset:944
	buffer_store_dword v11, off, s[0:3], 0 offset:956
	buffer_store_dword v10, off, s[0:3], 0 offset:952
	ds_read2_b64 v[10:13], v16 offset0:120 offset1:121
	s_waitcnt lgkmcnt(0)
	v_mul_f64 v[4:5], v[12:13], v[2:3]
	v_fma_f64 v[4:5], v[10:11], v[0:1], -v[4:5]
	v_mul_f64 v[10:11], v[10:11], v[2:3]
	v_fma_f64 v[10:11], v[12:13], v[0:1], v[10:11]
	buffer_load_dword v12, off, s[0:3], 0 offset:960
	buffer_load_dword v13, off, s[0:3], 0 offset:964
	buffer_load_dword v20, off, s[0:3], 0 offset:968
	buffer_load_dword v21, off, s[0:3], 0 offset:972
	s_waitcnt vmcnt(2)
	v_add_f64 v[4:5], v[12:13], -v[4:5]
	;; [unrolled: 18-line block ×4, first 2 shown]
	s_waitcnt vmcnt(0)
	v_add_f64 v[10:11], v[20:21], -v[10:11]
	buffer_store_dword v5, off, s[0:3], 0 offset:996
	buffer_store_dword v4, off, s[0:3], 0 offset:992
	;; [unrolled: 1-line block ×4, first 2 shown]
	ds_read2_b64 v[10:13], v16 offset0:126 offset1:127
	s_waitcnt lgkmcnt(0)
	v_mul_f64 v[4:5], v[12:13], v[2:3]
	v_mul_f64 v[2:3], v[10:11], v[2:3]
	v_fma_f64 v[4:5], v[10:11], v[0:1], -v[4:5]
	v_fma_f64 v[0:1], v[12:13], v[0:1], v[2:3]
	buffer_load_dword v2, off, s[0:3], 0 offset:1008
	buffer_load_dword v3, off, s[0:3], 0 offset:1012
	;; [unrolled: 1-line block ×4, first 2 shown]
	s_waitcnt vmcnt(2)
	v_add_f64 v[2:3], v[2:3], -v[4:5]
	s_waitcnt vmcnt(0)
	v_add_f64 v[0:1], v[10:11], -v[0:1]
	buffer_store_dword v3, off, s[0:3], 0 offset:1012
	buffer_store_dword v2, off, s[0:3], 0 offset:1008
	buffer_store_dword v1, off, s[0:3], 0 offset:1020
	buffer_store_dword v0, off, s[0:3], 0 offset:1016
.LBB126_1209:
	s_or_b64 exec, exec, s[4:5]
	v_mov_b32_e32 v3, s36
	s_waitcnt vmcnt(0)
	s_barrier
	buffer_load_dword v0, v3, s[0:3], 0 offen
	buffer_load_dword v1, v3, s[0:3], 0 offen offset:4
	buffer_load_dword v2, v3, s[0:3], 0 offen offset:8
	s_nop 0
	buffer_load_dword v3, v3, s[0:3], 0 offen offset:12
	v_lshl_add_u32 v4, v19, 4, v16
	s_cmp_lt_i32 s66, 54
	s_waitcnt vmcnt(0)
	ds_write2_b64 v4, v[0:1], v[2:3] offset1:1
	s_waitcnt lgkmcnt(0)
	s_barrier
	ds_read2_b64 v[0:3], v16 offset0:104 offset1:105
	v_mov_b32_e32 v4, 52
	s_cbranch_scc1 .LBB126_1212
; %bb.1210:
	v_add_u32_e32 v5, 0x350, v16
	s_mov_b32 s16, 53
	v_mov_b32_e32 v4, 52
.LBB126_1211:                           ; =>This Inner Loop Header: Depth=1
	s_waitcnt lgkmcnt(0)
	v_cmp_gt_f64_e32 vcc, 0, v[2:3]
	v_cmp_gt_f64_e64 s[4:5], 0, v[0:1]
	ds_read2_b64 v[10:13], v5 offset1:1
	v_xor_b32_e32 v21, 0x80000000, v1
	v_xor_b32_e32 v23, 0x80000000, v3
	v_mov_b32_e32 v20, v0
	v_mov_b32_e32 v22, v2
	s_waitcnt lgkmcnt(0)
	v_xor_b32_e32 v25, 0x80000000, v13
	v_cndmask_b32_e32 v23, v3, v23, vcc
	v_cndmask_b32_e64 v21, v1, v21, s[4:5]
	v_cmp_gt_f64_e32 vcc, 0, v[12:13]
	v_cmp_gt_f64_e64 s[4:5], 0, v[10:11]
	v_add_f64 v[20:21], v[20:21], v[22:23]
	v_xor_b32_e32 v23, 0x80000000, v11
	v_mov_b32_e32 v22, v10
	v_mov_b32_e32 v24, v12
	v_add_u32_e32 v5, 16, v5
	v_cndmask_b32_e32 v25, v13, v25, vcc
	v_cndmask_b32_e64 v23, v11, v23, s[4:5]
	v_add_f64 v[22:23], v[22:23], v[24:25]
	v_mov_b32_e32 v24, s16
	s_add_i32 s16, s16, 1
	s_cmp_lg_u32 s66, s16
	v_cmp_lt_f64_e32 vcc, v[20:21], v[22:23]
	v_cndmask_b32_e32 v1, v1, v11, vcc
	v_cndmask_b32_e32 v0, v0, v10, vcc
	;; [unrolled: 1-line block ×5, first 2 shown]
	s_cbranch_scc1 .LBB126_1211
.LBB126_1212:
	s_waitcnt lgkmcnt(0)
	v_cmp_eq_f64_e32 vcc, 0, v[0:1]
	v_cmp_eq_f64_e64 s[4:5], 0, v[2:3]
	s_and_b64 s[4:5], vcc, s[4:5]
	s_and_saveexec_b64 s[16:17], s[4:5]
	s_xor_b64 s[4:5], exec, s[16:17]
; %bb.1213:
	v_cmp_ne_u32_e32 vcc, 0, v17
	v_cndmask_b32_e32 v17, 53, v17, vcc
; %bb.1214:
	s_andn2_saveexec_b64 s[4:5], s[4:5]
	s_cbranch_execz .LBB126_1220
; %bb.1215:
	v_cmp_ngt_f64_e64 s[16:17], |v[0:1]|, |v[2:3]|
	s_and_saveexec_b64 s[18:19], s[16:17]
	s_xor_b64 s[18:19], exec, s[18:19]
	s_cbranch_execz .LBB126_1217
; %bb.1216:
	v_div_scale_f64 v[10:11], s[16:17], v[2:3], v[2:3], v[0:1]
	v_rcp_f64_e32 v[12:13], v[10:11]
	v_fma_f64 v[20:21], -v[10:11], v[12:13], 1.0
	v_fma_f64 v[12:13], v[12:13], v[20:21], v[12:13]
	v_div_scale_f64 v[20:21], vcc, v[0:1], v[2:3], v[0:1]
	v_fma_f64 v[22:23], -v[10:11], v[12:13], 1.0
	v_fma_f64 v[12:13], v[12:13], v[22:23], v[12:13]
	v_mul_f64 v[22:23], v[20:21], v[12:13]
	v_fma_f64 v[10:11], -v[10:11], v[22:23], v[20:21]
	v_div_fmas_f64 v[10:11], v[10:11], v[12:13], v[22:23]
	v_div_fixup_f64 v[10:11], v[10:11], v[2:3], v[0:1]
	v_fma_f64 v[0:1], v[0:1], v[10:11], v[2:3]
	v_div_scale_f64 v[2:3], s[16:17], v[0:1], v[0:1], 1.0
	v_div_scale_f64 v[22:23], vcc, 1.0, v[0:1], 1.0
	v_rcp_f64_e32 v[12:13], v[2:3]
	v_fma_f64 v[20:21], -v[2:3], v[12:13], 1.0
	v_fma_f64 v[12:13], v[12:13], v[20:21], v[12:13]
	v_fma_f64 v[20:21], -v[2:3], v[12:13], 1.0
	v_fma_f64 v[12:13], v[12:13], v[20:21], v[12:13]
	v_mul_f64 v[20:21], v[22:23], v[12:13]
	v_fma_f64 v[2:3], -v[2:3], v[20:21], v[22:23]
	v_div_fmas_f64 v[2:3], v[2:3], v[12:13], v[20:21]
	v_div_fixup_f64 v[2:3], v[2:3], v[0:1], 1.0
	v_mul_f64 v[0:1], v[10:11], v[2:3]
	v_xor_b32_e32 v3, 0x80000000, v3
.LBB126_1217:
	s_andn2_saveexec_b64 s[18:19], s[18:19]
	s_cbranch_execz .LBB126_1219
; %bb.1218:
	v_div_scale_f64 v[10:11], s[16:17], v[0:1], v[0:1], v[2:3]
	v_rcp_f64_e32 v[12:13], v[10:11]
	v_fma_f64 v[20:21], -v[10:11], v[12:13], 1.0
	v_fma_f64 v[12:13], v[12:13], v[20:21], v[12:13]
	v_div_scale_f64 v[20:21], vcc, v[2:3], v[0:1], v[2:3]
	v_fma_f64 v[22:23], -v[10:11], v[12:13], 1.0
	v_fma_f64 v[12:13], v[12:13], v[22:23], v[12:13]
	v_mul_f64 v[22:23], v[20:21], v[12:13]
	v_fma_f64 v[10:11], -v[10:11], v[22:23], v[20:21]
	v_div_fmas_f64 v[10:11], v[10:11], v[12:13], v[22:23]
	v_div_fixup_f64 v[10:11], v[10:11], v[0:1], v[2:3]
	v_fma_f64 v[0:1], v[2:3], v[10:11], v[0:1]
	v_div_scale_f64 v[2:3], s[16:17], v[0:1], v[0:1], 1.0
	v_div_scale_f64 v[22:23], vcc, 1.0, v[0:1], 1.0
	v_rcp_f64_e32 v[12:13], v[2:3]
	v_fma_f64 v[20:21], -v[2:3], v[12:13], 1.0
	v_fma_f64 v[12:13], v[12:13], v[20:21], v[12:13]
	v_fma_f64 v[20:21], -v[2:3], v[12:13], 1.0
	v_fma_f64 v[12:13], v[12:13], v[20:21], v[12:13]
	v_mul_f64 v[20:21], v[22:23], v[12:13]
	v_fma_f64 v[2:3], -v[2:3], v[20:21], v[22:23]
	v_div_fmas_f64 v[2:3], v[2:3], v[12:13], v[20:21]
	v_div_fixup_f64 v[0:1], v[2:3], v[0:1], 1.0
	v_mul_f64 v[2:3], v[10:11], -v[0:1]
.LBB126_1219:
	s_or_b64 exec, exec, s[18:19]
.LBB126_1220:
	s_or_b64 exec, exec, s[4:5]
	v_cmp_ne_u32_e32 vcc, v19, v4
	s_and_saveexec_b64 s[4:5], vcc
	s_xor_b64 s[4:5], exec, s[4:5]
	s_cbranch_execz .LBB126_1226
; %bb.1221:
	v_cmp_eq_u32_e32 vcc, 52, v19
	s_and_saveexec_b64 s[18:19], vcc
	s_cbranch_execz .LBB126_1225
; %bb.1222:
	v_cmp_ne_u32_e32 vcc, 52, v4
	s_xor_b64 s[16:17], s[10:11], -1
	s_and_b64 s[16:17], s[16:17], vcc
	s_and_saveexec_b64 s[24:25], s[16:17]
	s_cbranch_execz .LBB126_1224
; %bb.1223:
	v_ashrrev_i32_e32 v5, 31, v4
	v_lshlrev_b64 v[10:11], 2, v[4:5]
	v_add_co_u32_e32 v10, vcc, v8, v10
	v_addc_co_u32_e32 v11, vcc, v9, v11, vcc
	global_load_dword v5, v[10:11], off
	global_load_dword v12, v[8:9], off offset:208
	s_waitcnt vmcnt(1)
	global_store_dword v[8:9], v5, off offset:208
	s_waitcnt vmcnt(1)
	global_store_dword v[10:11], v12, off
.LBB126_1224:
	s_or_b64 exec, exec, s[24:25]
	v_mov_b32_e32 v19, v4
	v_mov_b32_e32 v18, v4
.LBB126_1225:
	s_or_b64 exec, exec, s[18:19]
.LBB126_1226:
	s_andn2_saveexec_b64 s[4:5], s[4:5]
	s_cbranch_execz .LBB126_1228
; %bb.1227:
	v_mov_b32_e32 v11, s35
	v_mov_b32_e32 v20, s34
	;; [unrolled: 1-line block ×11, first 2 shown]
	buffer_load_dword v4, v11, s[0:3], 0 offen
	buffer_load_dword v5, v11, s[0:3], 0 offen offset:4
	buffer_load_dword v10, v11, s[0:3], 0 offen offset:8
	s_nop 0
	buffer_load_dword v11, v11, s[0:3], 0 offen offset:12
	s_nop 0
	buffer_load_dword v12, v20, s[0:3], 0 offen
	buffer_load_dword v13, v20, s[0:3], 0 offen offset:4
	buffer_load_dword v19, v20, s[0:3], 0 offen offset:8
	s_nop 0
	buffer_load_dword v20, v20, s[0:3], 0 offen offset:12
	s_nop 0
	;; [unrolled: 6-line block ×10, first 2 shown]
	buffer_load_dword v53, v56, s[0:3], 0 offen
	buffer_load_dword v54, v56, s[0:3], 0 offen offset:4
	buffer_load_dword v55, v56, s[0:3], 0 offen offset:8
	s_nop 0
	buffer_load_dword v56, v56, s[0:3], 0 offen offset:12
	s_waitcnt vmcnt(40)
	ds_write2_b64 v16, v[4:5], v[10:11] offset0:106 offset1:107
	s_waitcnt vmcnt(36)
	ds_write2_b64 v16, v[12:13], v[19:20] offset0:108 offset1:109
	;; [unrolled: 2-line block ×11, first 2 shown]
	v_mov_b32_e32 v19, 52
.LBB126_1228:
	s_or_b64 exec, exec, s[4:5]
	v_cmp_lt_i32_e32 vcc, 52, v19
	s_waitcnt vmcnt(0) lgkmcnt(0)
	s_barrier
	s_and_saveexec_b64 s[4:5], vcc
	s_cbranch_execz .LBB126_1230
; %bb.1229:
	buffer_load_dword v4, off, s[0:3], 0 offset:832
	buffer_load_dword v5, off, s[0:3], 0 offset:836
	;; [unrolled: 1-line block ×16, first 2 shown]
	s_waitcnt vmcnt(12)
	v_mul_f64 v[30:31], v[2:3], v[10:11]
	v_fma_f64 v[30:31], v[0:1], v[4:5], -v[30:31]
	v_mul_f64 v[0:1], v[0:1], v[10:11]
	v_fma_f64 v[4:5], v[2:3], v[4:5], v[0:1]
	buffer_store_dword v30, off, s[0:3], 0 offset:832
	buffer_store_dword v31, off, s[0:3], 0 offset:836
	buffer_store_dword v4, off, s[0:3], 0 offset:840
	buffer_store_dword v5, off, s[0:3], 0 offset:844
	ds_read2_b64 v[0:3], v16 offset0:106 offset1:107
	s_waitcnt lgkmcnt(0)
	v_mul_f64 v[10:11], v[2:3], v[4:5]
	v_fma_f64 v[10:11], v[0:1], v[30:31], -v[10:11]
	v_mul_f64 v[0:1], v[0:1], v[4:5]
	v_fma_f64 v[0:1], v[2:3], v[30:31], v[0:1]
	s_waitcnt vmcnt(14)
	v_add_f64 v[2:3], v[12:13], -v[10:11]
	s_waitcnt vmcnt(12)
	v_add_f64 v[0:1], v[20:21], -v[0:1]
	buffer_store_dword v2, off, s[0:3], 0 offset:848
	buffer_store_dword v3, off, s[0:3], 0 offset:852
	buffer_store_dword v0, off, s[0:3], 0 offset:856
	buffer_store_dword v1, off, s[0:3], 0 offset:860
	ds_read2_b64 v[0:3], v16 offset0:108 offset1:109
	s_waitcnt lgkmcnt(0)
	v_mul_f64 v[10:11], v[2:3], v[4:5]
	v_fma_f64 v[10:11], v[0:1], v[30:31], -v[10:11]
	v_mul_f64 v[0:1], v[0:1], v[4:5]
	v_fma_f64 v[0:1], v[2:3], v[30:31], v[0:1]
	s_waitcnt vmcnt(14)
	v_add_f64 v[2:3], v[22:23], -v[10:11]
	s_waitcnt vmcnt(12)
	v_add_f64 v[0:1], v[24:25], -v[0:1]
	;; [unrolled: 14-line block ×3, first 2 shown]
	buffer_store_dword v3, off, s[0:3], 0 offset:884
	buffer_store_dword v2, off, s[0:3], 0 offset:880
	buffer_store_dword v0, off, s[0:3], 0 offset:888
	buffer_store_dword v1, off, s[0:3], 0 offset:892
	ds_read2_b64 v[0:3], v16 offset0:112 offset1:113
	s_waitcnt lgkmcnt(0)
	v_mul_f64 v[10:11], v[2:3], v[4:5]
	v_fma_f64 v[10:11], v[0:1], v[30:31], -v[10:11]
	v_mul_f64 v[0:1], v[0:1], v[4:5]
	v_fma_f64 v[0:1], v[2:3], v[30:31], v[0:1]
	buffer_load_dword v2, off, s[0:3], 0 offset:896
	buffer_load_dword v3, off, s[0:3], 0 offset:900
	buffer_load_dword v12, off, s[0:3], 0 offset:904
	buffer_load_dword v13, off, s[0:3], 0 offset:908
	s_waitcnt vmcnt(2)
	v_add_f64 v[2:3], v[2:3], -v[10:11]
	s_waitcnt vmcnt(0)
	v_add_f64 v[0:1], v[12:13], -v[0:1]
	buffer_store_dword v3, off, s[0:3], 0 offset:900
	buffer_store_dword v2, off, s[0:3], 0 offset:896
	buffer_store_dword v1, off, s[0:3], 0 offset:908
	buffer_store_dword v0, off, s[0:3], 0 offset:904
	ds_read2_b64 v[0:3], v16 offset0:114 offset1:115
	s_waitcnt lgkmcnt(0)
	v_mul_f64 v[10:11], v[2:3], v[4:5]
	v_fma_f64 v[10:11], v[0:1], v[30:31], -v[10:11]
	v_mul_f64 v[0:1], v[0:1], v[4:5]
	v_fma_f64 v[0:1], v[2:3], v[30:31], v[0:1]
	buffer_load_dword v2, off, s[0:3], 0 offset:912
	buffer_load_dword v3, off, s[0:3], 0 offset:916
	buffer_load_dword v12, off, s[0:3], 0 offset:920
	buffer_load_dword v13, off, s[0:3], 0 offset:924
	s_waitcnt vmcnt(2)
	v_add_f64 v[2:3], v[2:3], -v[10:11]
	s_waitcnt vmcnt(0)
	v_add_f64 v[0:1], v[12:13], -v[0:1]
	;; [unrolled: 18-line block ×3, first 2 shown]
	buffer_store_dword v3, off, s[0:3], 0 offset:932
	buffer_store_dword v2, off, s[0:3], 0 offset:928
	;; [unrolled: 1-line block ×4, first 2 shown]
	ds_read2_b64 v[0:3], v16 offset0:118 offset1:119
	buffer_load_dword v4, off, s[0:3], 0 offset:832
	buffer_load_dword v5, off, s[0:3], 0 offset:836
	;; [unrolled: 1-line block ×4, first 2 shown]
	s_waitcnt vmcnt(0) lgkmcnt(0)
	v_mul_f64 v[12:13], v[2:3], v[10:11]
	v_fma_f64 v[12:13], v[0:1], v[4:5], -v[12:13]
	v_mul_f64 v[0:1], v[0:1], v[10:11]
	v_fma_f64 v[0:1], v[2:3], v[4:5], v[0:1]
	buffer_load_dword v3, off, s[0:3], 0 offset:948
	buffer_load_dword v2, off, s[0:3], 0 offset:944
	s_waitcnt vmcnt(0)
	v_add_f64 v[2:3], v[2:3], -v[12:13]
	buffer_load_dword v13, off, s[0:3], 0 offset:956
	buffer_load_dword v12, off, s[0:3], 0 offset:952
	s_waitcnt vmcnt(0)
	v_add_f64 v[0:1], v[12:13], -v[0:1]
	buffer_store_dword v3, off, s[0:3], 0 offset:948
	buffer_store_dword v2, off, s[0:3], 0 offset:944
	buffer_store_dword v1, off, s[0:3], 0 offset:956
	buffer_store_dword v0, off, s[0:3], 0 offset:952
	ds_read2_b64 v[0:3], v16 offset0:120 offset1:121
	s_waitcnt lgkmcnt(0)
	v_mul_f64 v[12:13], v[2:3], v[10:11]
	v_fma_f64 v[12:13], v[0:1], v[4:5], -v[12:13]
	v_mul_f64 v[0:1], v[0:1], v[10:11]
	v_fma_f64 v[0:1], v[2:3], v[4:5], v[0:1]
	buffer_load_dword v2, off, s[0:3], 0 offset:960
	buffer_load_dword v3, off, s[0:3], 0 offset:964
	buffer_load_dword v20, off, s[0:3], 0 offset:968
	buffer_load_dword v21, off, s[0:3], 0 offset:972
	s_waitcnt vmcnt(2)
	v_add_f64 v[2:3], v[2:3], -v[12:13]
	s_waitcnt vmcnt(0)
	v_add_f64 v[0:1], v[20:21], -v[0:1]
	buffer_store_dword v3, off, s[0:3], 0 offset:964
	buffer_store_dword v2, off, s[0:3], 0 offset:960
	buffer_store_dword v1, off, s[0:3], 0 offset:972
	buffer_store_dword v0, off, s[0:3], 0 offset:968
	ds_read2_b64 v[0:3], v16 offset0:122 offset1:123
	s_waitcnt lgkmcnt(0)
	v_mul_f64 v[12:13], v[2:3], v[10:11]
	v_fma_f64 v[12:13], v[0:1], v[4:5], -v[12:13]
	v_mul_f64 v[0:1], v[0:1], v[10:11]
	v_fma_f64 v[0:1], v[2:3], v[4:5], v[0:1]
	buffer_load_dword v2, off, s[0:3], 0 offset:976
	buffer_load_dword v3, off, s[0:3], 0 offset:980
	buffer_load_dword v20, off, s[0:3], 0 offset:984
	buffer_load_dword v21, off, s[0:3], 0 offset:988
	s_waitcnt vmcnt(2)
	v_add_f64 v[2:3], v[2:3], -v[12:13]
	;; [unrolled: 18-line block ×4, first 2 shown]
	s_waitcnt vmcnt(0)
	v_add_f64 v[0:1], v[4:5], -v[0:1]
	buffer_store_dword v3, off, s[0:3], 0 offset:1012
	buffer_store_dword v2, off, s[0:3], 0 offset:1008
	;; [unrolled: 1-line block ×4, first 2 shown]
.LBB126_1230:
	s_or_b64 exec, exec, s[4:5]
	v_mov_b32_e32 v3, s35
	s_waitcnt vmcnt(0)
	s_barrier
	buffer_load_dword v0, v3, s[0:3], 0 offen
	buffer_load_dword v1, v3, s[0:3], 0 offen offset:4
	buffer_load_dword v2, v3, s[0:3], 0 offen offset:8
	s_nop 0
	buffer_load_dword v3, v3, s[0:3], 0 offen offset:12
	v_lshl_add_u32 v4, v19, 4, v16
	s_cmp_lt_i32 s66, 55
	s_waitcnt vmcnt(0)
	ds_write2_b64 v4, v[0:1], v[2:3] offset1:1
	s_waitcnt lgkmcnt(0)
	s_barrier
	ds_read2_b64 v[0:3], v16 offset0:106 offset1:107
	v_mov_b32_e32 v4, 53
	s_cbranch_scc1 .LBB126_1233
; %bb.1231:
	v_add_u32_e32 v5, 0x360, v16
	s_mov_b32 s16, 54
	v_mov_b32_e32 v4, 53
.LBB126_1232:                           ; =>This Inner Loop Header: Depth=1
	s_waitcnt lgkmcnt(0)
	v_cmp_gt_f64_e32 vcc, 0, v[2:3]
	v_cmp_gt_f64_e64 s[4:5], 0, v[0:1]
	ds_read2_b64 v[10:13], v5 offset1:1
	v_xor_b32_e32 v21, 0x80000000, v1
	v_xor_b32_e32 v23, 0x80000000, v3
	v_mov_b32_e32 v20, v0
	v_mov_b32_e32 v22, v2
	s_waitcnt lgkmcnt(0)
	v_xor_b32_e32 v25, 0x80000000, v13
	v_cndmask_b32_e32 v23, v3, v23, vcc
	v_cndmask_b32_e64 v21, v1, v21, s[4:5]
	v_cmp_gt_f64_e32 vcc, 0, v[12:13]
	v_cmp_gt_f64_e64 s[4:5], 0, v[10:11]
	v_add_f64 v[20:21], v[20:21], v[22:23]
	v_xor_b32_e32 v23, 0x80000000, v11
	v_mov_b32_e32 v22, v10
	v_mov_b32_e32 v24, v12
	v_add_u32_e32 v5, 16, v5
	v_cndmask_b32_e32 v25, v13, v25, vcc
	v_cndmask_b32_e64 v23, v11, v23, s[4:5]
	v_add_f64 v[22:23], v[22:23], v[24:25]
	v_mov_b32_e32 v24, s16
	s_add_i32 s16, s16, 1
	s_cmp_lg_u32 s66, s16
	v_cmp_lt_f64_e32 vcc, v[20:21], v[22:23]
	v_cndmask_b32_e32 v1, v1, v11, vcc
	v_cndmask_b32_e32 v0, v0, v10, vcc
	;; [unrolled: 1-line block ×5, first 2 shown]
	s_cbranch_scc1 .LBB126_1232
.LBB126_1233:
	s_waitcnt lgkmcnt(0)
	v_cmp_eq_f64_e32 vcc, 0, v[0:1]
	v_cmp_eq_f64_e64 s[4:5], 0, v[2:3]
	s_and_b64 s[4:5], vcc, s[4:5]
	s_and_saveexec_b64 s[16:17], s[4:5]
	s_xor_b64 s[4:5], exec, s[16:17]
; %bb.1234:
	v_cmp_ne_u32_e32 vcc, 0, v17
	v_cndmask_b32_e32 v17, 54, v17, vcc
; %bb.1235:
	s_andn2_saveexec_b64 s[4:5], s[4:5]
	s_cbranch_execz .LBB126_1241
; %bb.1236:
	v_cmp_ngt_f64_e64 s[16:17], |v[0:1]|, |v[2:3]|
	s_and_saveexec_b64 s[18:19], s[16:17]
	s_xor_b64 s[18:19], exec, s[18:19]
	s_cbranch_execz .LBB126_1238
; %bb.1237:
	v_div_scale_f64 v[10:11], s[16:17], v[2:3], v[2:3], v[0:1]
	v_rcp_f64_e32 v[12:13], v[10:11]
	v_fma_f64 v[20:21], -v[10:11], v[12:13], 1.0
	v_fma_f64 v[12:13], v[12:13], v[20:21], v[12:13]
	v_div_scale_f64 v[20:21], vcc, v[0:1], v[2:3], v[0:1]
	v_fma_f64 v[22:23], -v[10:11], v[12:13], 1.0
	v_fma_f64 v[12:13], v[12:13], v[22:23], v[12:13]
	v_mul_f64 v[22:23], v[20:21], v[12:13]
	v_fma_f64 v[10:11], -v[10:11], v[22:23], v[20:21]
	v_div_fmas_f64 v[10:11], v[10:11], v[12:13], v[22:23]
	v_div_fixup_f64 v[10:11], v[10:11], v[2:3], v[0:1]
	v_fma_f64 v[0:1], v[0:1], v[10:11], v[2:3]
	v_div_scale_f64 v[2:3], s[16:17], v[0:1], v[0:1], 1.0
	v_div_scale_f64 v[22:23], vcc, 1.0, v[0:1], 1.0
	v_rcp_f64_e32 v[12:13], v[2:3]
	v_fma_f64 v[20:21], -v[2:3], v[12:13], 1.0
	v_fma_f64 v[12:13], v[12:13], v[20:21], v[12:13]
	v_fma_f64 v[20:21], -v[2:3], v[12:13], 1.0
	v_fma_f64 v[12:13], v[12:13], v[20:21], v[12:13]
	v_mul_f64 v[20:21], v[22:23], v[12:13]
	v_fma_f64 v[2:3], -v[2:3], v[20:21], v[22:23]
	v_div_fmas_f64 v[2:3], v[2:3], v[12:13], v[20:21]
	v_div_fixup_f64 v[2:3], v[2:3], v[0:1], 1.0
	v_mul_f64 v[0:1], v[10:11], v[2:3]
	v_xor_b32_e32 v3, 0x80000000, v3
.LBB126_1238:
	s_andn2_saveexec_b64 s[18:19], s[18:19]
	s_cbranch_execz .LBB126_1240
; %bb.1239:
	v_div_scale_f64 v[10:11], s[16:17], v[0:1], v[0:1], v[2:3]
	v_rcp_f64_e32 v[12:13], v[10:11]
	v_fma_f64 v[20:21], -v[10:11], v[12:13], 1.0
	v_fma_f64 v[12:13], v[12:13], v[20:21], v[12:13]
	v_div_scale_f64 v[20:21], vcc, v[2:3], v[0:1], v[2:3]
	v_fma_f64 v[22:23], -v[10:11], v[12:13], 1.0
	v_fma_f64 v[12:13], v[12:13], v[22:23], v[12:13]
	v_mul_f64 v[22:23], v[20:21], v[12:13]
	v_fma_f64 v[10:11], -v[10:11], v[22:23], v[20:21]
	v_div_fmas_f64 v[10:11], v[10:11], v[12:13], v[22:23]
	v_div_fixup_f64 v[10:11], v[10:11], v[0:1], v[2:3]
	v_fma_f64 v[0:1], v[2:3], v[10:11], v[0:1]
	v_div_scale_f64 v[2:3], s[16:17], v[0:1], v[0:1], 1.0
	v_div_scale_f64 v[22:23], vcc, 1.0, v[0:1], 1.0
	v_rcp_f64_e32 v[12:13], v[2:3]
	v_fma_f64 v[20:21], -v[2:3], v[12:13], 1.0
	v_fma_f64 v[12:13], v[12:13], v[20:21], v[12:13]
	v_fma_f64 v[20:21], -v[2:3], v[12:13], 1.0
	v_fma_f64 v[12:13], v[12:13], v[20:21], v[12:13]
	v_mul_f64 v[20:21], v[22:23], v[12:13]
	v_fma_f64 v[2:3], -v[2:3], v[20:21], v[22:23]
	v_div_fmas_f64 v[2:3], v[2:3], v[12:13], v[20:21]
	v_div_fixup_f64 v[0:1], v[2:3], v[0:1], 1.0
	v_mul_f64 v[2:3], v[10:11], -v[0:1]
.LBB126_1240:
	s_or_b64 exec, exec, s[18:19]
.LBB126_1241:
	s_or_b64 exec, exec, s[4:5]
	v_cmp_ne_u32_e32 vcc, v19, v4
	s_and_saveexec_b64 s[4:5], vcc
	s_xor_b64 s[4:5], exec, s[4:5]
	s_cbranch_execz .LBB126_1247
; %bb.1242:
	v_cmp_eq_u32_e32 vcc, 53, v19
	s_and_saveexec_b64 s[18:19], vcc
	s_cbranch_execz .LBB126_1246
; %bb.1243:
	v_cmp_ne_u32_e32 vcc, 53, v4
	s_xor_b64 s[16:17], s[10:11], -1
	s_and_b64 s[16:17], s[16:17], vcc
	s_and_saveexec_b64 s[24:25], s[16:17]
	s_cbranch_execz .LBB126_1245
; %bb.1244:
	v_ashrrev_i32_e32 v5, 31, v4
	v_lshlrev_b64 v[10:11], 2, v[4:5]
	v_add_co_u32_e32 v10, vcc, v8, v10
	v_addc_co_u32_e32 v11, vcc, v9, v11, vcc
	global_load_dword v5, v[10:11], off
	global_load_dword v12, v[8:9], off offset:212
	s_waitcnt vmcnt(1)
	global_store_dword v[8:9], v5, off offset:212
	s_waitcnt vmcnt(1)
	global_store_dword v[10:11], v12, off
.LBB126_1245:
	s_or_b64 exec, exec, s[24:25]
	v_mov_b32_e32 v19, v4
	v_mov_b32_e32 v18, v4
.LBB126_1246:
	s_or_b64 exec, exec, s[18:19]
.LBB126_1247:
	s_andn2_saveexec_b64 s[4:5], s[4:5]
	s_cbranch_execz .LBB126_1249
; %bb.1248:
	v_mov_b32_e32 v11, s34
	v_mov_b32_e32 v20, s33
	;; [unrolled: 1-line block ×10, first 2 shown]
	buffer_load_dword v4, v11, s[0:3], 0 offen
	buffer_load_dword v5, v11, s[0:3], 0 offen offset:4
	buffer_load_dword v10, v11, s[0:3], 0 offen offset:8
	s_nop 0
	buffer_load_dword v11, v11, s[0:3], 0 offen offset:12
	s_nop 0
	buffer_load_dword v12, v20, s[0:3], 0 offen
	buffer_load_dword v13, v20, s[0:3], 0 offen offset:4
	buffer_load_dword v19, v20, s[0:3], 0 offen offset:8
	s_nop 0
	buffer_load_dword v20, v20, s[0:3], 0 offen offset:12
	s_nop 0
	;; [unrolled: 6-line block ×9, first 2 shown]
	buffer_load_dword v49, v52, s[0:3], 0 offen
	buffer_load_dword v50, v52, s[0:3], 0 offen offset:4
	buffer_load_dword v51, v52, s[0:3], 0 offen offset:8
	s_nop 0
	buffer_load_dword v52, v52, s[0:3], 0 offen offset:12
	s_waitcnt vmcnt(36)
	ds_write2_b64 v16, v[4:5], v[10:11] offset0:108 offset1:109
	s_waitcnt vmcnt(32)
	ds_write2_b64 v16, v[12:13], v[19:20] offset0:110 offset1:111
	;; [unrolled: 2-line block ×10, first 2 shown]
	v_mov_b32_e32 v19, 53
.LBB126_1249:
	s_or_b64 exec, exec, s[4:5]
	v_cmp_lt_i32_e32 vcc, 53, v19
	s_waitcnt vmcnt(0) lgkmcnt(0)
	s_barrier
	s_and_saveexec_b64 s[4:5], vcc
	s_cbranch_execz .LBB126_1251
; %bb.1250:
	buffer_load_dword v4, off, s[0:3], 0 offset:848
	buffer_load_dword v5, off, s[0:3], 0 offset:852
	;; [unrolled: 1-line block ×16, first 2 shown]
	s_waitcnt vmcnt(12)
	v_mul_f64 v[30:31], v[2:3], v[10:11]
	v_fma_f64 v[30:31], v[0:1], v[4:5], -v[30:31]
	v_mul_f64 v[0:1], v[0:1], v[10:11]
	v_fma_f64 v[4:5], v[2:3], v[4:5], v[0:1]
	buffer_store_dword v30, off, s[0:3], 0 offset:848
	buffer_store_dword v31, off, s[0:3], 0 offset:852
	buffer_store_dword v4, off, s[0:3], 0 offset:856
	buffer_store_dword v5, off, s[0:3], 0 offset:860
	ds_read2_b64 v[0:3], v16 offset0:108 offset1:109
	s_waitcnt lgkmcnt(0)
	v_mul_f64 v[10:11], v[2:3], v[4:5]
	v_fma_f64 v[10:11], v[0:1], v[30:31], -v[10:11]
	v_mul_f64 v[0:1], v[0:1], v[4:5]
	v_fma_f64 v[0:1], v[2:3], v[30:31], v[0:1]
	s_waitcnt vmcnt(14)
	v_add_f64 v[2:3], v[12:13], -v[10:11]
	s_waitcnt vmcnt(12)
	v_add_f64 v[0:1], v[20:21], -v[0:1]
	buffer_store_dword v2, off, s[0:3], 0 offset:864
	buffer_store_dword v3, off, s[0:3], 0 offset:868
	buffer_store_dword v0, off, s[0:3], 0 offset:872
	buffer_store_dword v1, off, s[0:3], 0 offset:876
	ds_read2_b64 v[0:3], v16 offset0:110 offset1:111
	s_waitcnt lgkmcnt(0)
	v_mul_f64 v[10:11], v[2:3], v[4:5]
	v_fma_f64 v[10:11], v[0:1], v[30:31], -v[10:11]
	v_mul_f64 v[0:1], v[0:1], v[4:5]
	v_fma_f64 v[0:1], v[2:3], v[30:31], v[0:1]
	s_waitcnt vmcnt(14)
	v_add_f64 v[2:3], v[22:23], -v[10:11]
	s_waitcnt vmcnt(12)
	v_add_f64 v[0:1], v[24:25], -v[0:1]
	;; [unrolled: 14-line block ×3, first 2 shown]
	buffer_store_dword v3, off, s[0:3], 0 offset:900
	buffer_store_dword v2, off, s[0:3], 0 offset:896
	buffer_store_dword v0, off, s[0:3], 0 offset:904
	buffer_store_dword v1, off, s[0:3], 0 offset:908
	ds_read2_b64 v[0:3], v16 offset0:114 offset1:115
	s_waitcnt lgkmcnt(0)
	v_mul_f64 v[10:11], v[2:3], v[4:5]
	v_fma_f64 v[10:11], v[0:1], v[30:31], -v[10:11]
	v_mul_f64 v[0:1], v[0:1], v[4:5]
	v_fma_f64 v[0:1], v[2:3], v[30:31], v[0:1]
	buffer_load_dword v2, off, s[0:3], 0 offset:912
	buffer_load_dword v3, off, s[0:3], 0 offset:916
	buffer_load_dword v12, off, s[0:3], 0 offset:920
	buffer_load_dword v13, off, s[0:3], 0 offset:924
	s_waitcnt vmcnt(2)
	v_add_f64 v[2:3], v[2:3], -v[10:11]
	s_waitcnt vmcnt(0)
	v_add_f64 v[0:1], v[12:13], -v[0:1]
	buffer_store_dword v3, off, s[0:3], 0 offset:916
	buffer_store_dword v2, off, s[0:3], 0 offset:912
	buffer_store_dword v1, off, s[0:3], 0 offset:924
	buffer_store_dword v0, off, s[0:3], 0 offset:920
	ds_read2_b64 v[0:3], v16 offset0:116 offset1:117
	s_waitcnt lgkmcnt(0)
	v_mul_f64 v[10:11], v[2:3], v[4:5]
	v_fma_f64 v[10:11], v[0:1], v[30:31], -v[10:11]
	v_mul_f64 v[0:1], v[0:1], v[4:5]
	v_fma_f64 v[0:1], v[2:3], v[30:31], v[0:1]
	buffer_load_dword v2, off, s[0:3], 0 offset:928
	buffer_load_dword v3, off, s[0:3], 0 offset:932
	buffer_load_dword v12, off, s[0:3], 0 offset:936
	buffer_load_dword v13, off, s[0:3], 0 offset:940
	s_waitcnt vmcnt(2)
	v_add_f64 v[2:3], v[2:3], -v[10:11]
	s_waitcnt vmcnt(0)
	v_add_f64 v[0:1], v[12:13], -v[0:1]
	;; [unrolled: 18-line block ×3, first 2 shown]
	buffer_store_dword v3, off, s[0:3], 0 offset:948
	buffer_store_dword v2, off, s[0:3], 0 offset:944
	buffer_store_dword v1, off, s[0:3], 0 offset:956
	buffer_store_dword v0, off, s[0:3], 0 offset:952
	ds_read2_b64 v[0:3], v16 offset0:120 offset1:121
	buffer_load_dword v4, off, s[0:3], 0 offset:848
	buffer_load_dword v5, off, s[0:3], 0 offset:852
	;; [unrolled: 1-line block ×4, first 2 shown]
	s_waitcnt vmcnt(0) lgkmcnt(0)
	v_mul_f64 v[12:13], v[2:3], v[10:11]
	v_fma_f64 v[12:13], v[0:1], v[4:5], -v[12:13]
	v_mul_f64 v[0:1], v[0:1], v[10:11]
	v_fma_f64 v[0:1], v[2:3], v[4:5], v[0:1]
	buffer_load_dword v3, off, s[0:3], 0 offset:964
	buffer_load_dword v2, off, s[0:3], 0 offset:960
	s_waitcnt vmcnt(0)
	v_add_f64 v[2:3], v[2:3], -v[12:13]
	buffer_load_dword v13, off, s[0:3], 0 offset:972
	buffer_load_dword v12, off, s[0:3], 0 offset:968
	s_waitcnt vmcnt(0)
	v_add_f64 v[0:1], v[12:13], -v[0:1]
	buffer_store_dword v3, off, s[0:3], 0 offset:964
	buffer_store_dword v2, off, s[0:3], 0 offset:960
	buffer_store_dword v1, off, s[0:3], 0 offset:972
	buffer_store_dword v0, off, s[0:3], 0 offset:968
	ds_read2_b64 v[0:3], v16 offset0:122 offset1:123
	s_waitcnt lgkmcnt(0)
	v_mul_f64 v[12:13], v[2:3], v[10:11]
	v_fma_f64 v[12:13], v[0:1], v[4:5], -v[12:13]
	v_mul_f64 v[0:1], v[0:1], v[10:11]
	v_fma_f64 v[0:1], v[2:3], v[4:5], v[0:1]
	buffer_load_dword v2, off, s[0:3], 0 offset:976
	buffer_load_dword v3, off, s[0:3], 0 offset:980
	buffer_load_dword v20, off, s[0:3], 0 offset:984
	buffer_load_dword v21, off, s[0:3], 0 offset:988
	s_waitcnt vmcnt(2)
	v_add_f64 v[2:3], v[2:3], -v[12:13]
	s_waitcnt vmcnt(0)
	v_add_f64 v[0:1], v[20:21], -v[0:1]
	buffer_store_dword v3, off, s[0:3], 0 offset:980
	buffer_store_dword v2, off, s[0:3], 0 offset:976
	buffer_store_dword v1, off, s[0:3], 0 offset:988
	buffer_store_dword v0, off, s[0:3], 0 offset:984
	ds_read2_b64 v[0:3], v16 offset0:124 offset1:125
	s_waitcnt lgkmcnt(0)
	v_mul_f64 v[12:13], v[2:3], v[10:11]
	v_fma_f64 v[12:13], v[0:1], v[4:5], -v[12:13]
	v_mul_f64 v[0:1], v[0:1], v[10:11]
	v_fma_f64 v[0:1], v[2:3], v[4:5], v[0:1]
	buffer_load_dword v2, off, s[0:3], 0 offset:992
	buffer_load_dword v3, off, s[0:3], 0 offset:996
	buffer_load_dword v20, off, s[0:3], 0 offset:1000
	buffer_load_dword v21, off, s[0:3], 0 offset:1004
	s_waitcnt vmcnt(2)
	v_add_f64 v[2:3], v[2:3], -v[12:13]
	;; [unrolled: 18-line block ×3, first 2 shown]
	s_waitcnt vmcnt(0)
	v_add_f64 v[0:1], v[4:5], -v[0:1]
	buffer_store_dword v3, off, s[0:3], 0 offset:1012
	buffer_store_dword v2, off, s[0:3], 0 offset:1008
	;; [unrolled: 1-line block ×4, first 2 shown]
.LBB126_1251:
	s_or_b64 exec, exec, s[4:5]
	v_mov_b32_e32 v3, s34
	s_waitcnt vmcnt(0)
	s_barrier
	buffer_load_dword v0, v3, s[0:3], 0 offen
	buffer_load_dword v1, v3, s[0:3], 0 offen offset:4
	buffer_load_dword v2, v3, s[0:3], 0 offen offset:8
	s_nop 0
	buffer_load_dword v3, v3, s[0:3], 0 offen offset:12
	v_lshl_add_u32 v4, v19, 4, v16
	s_cmp_lt_i32 s66, 56
	s_waitcnt vmcnt(0)
	ds_write2_b64 v4, v[0:1], v[2:3] offset1:1
	s_waitcnt lgkmcnt(0)
	s_barrier
	ds_read2_b64 v[0:3], v16 offset0:108 offset1:109
	v_mov_b32_e32 v4, 54
	s_cbranch_scc1 .LBB126_1254
; %bb.1252:
	v_add_u32_e32 v5, 0x370, v16
	s_mov_b32 s16, 55
	v_mov_b32_e32 v4, 54
.LBB126_1253:                           ; =>This Inner Loop Header: Depth=1
	s_waitcnt lgkmcnt(0)
	v_cmp_gt_f64_e32 vcc, 0, v[2:3]
	v_cmp_gt_f64_e64 s[4:5], 0, v[0:1]
	ds_read2_b64 v[10:13], v5 offset1:1
	v_xor_b32_e32 v21, 0x80000000, v1
	v_xor_b32_e32 v23, 0x80000000, v3
	v_mov_b32_e32 v20, v0
	v_mov_b32_e32 v22, v2
	s_waitcnt lgkmcnt(0)
	v_xor_b32_e32 v25, 0x80000000, v13
	v_cndmask_b32_e32 v23, v3, v23, vcc
	v_cndmask_b32_e64 v21, v1, v21, s[4:5]
	v_cmp_gt_f64_e32 vcc, 0, v[12:13]
	v_cmp_gt_f64_e64 s[4:5], 0, v[10:11]
	v_add_f64 v[20:21], v[20:21], v[22:23]
	v_xor_b32_e32 v23, 0x80000000, v11
	v_mov_b32_e32 v22, v10
	v_mov_b32_e32 v24, v12
	v_add_u32_e32 v5, 16, v5
	v_cndmask_b32_e32 v25, v13, v25, vcc
	v_cndmask_b32_e64 v23, v11, v23, s[4:5]
	v_add_f64 v[22:23], v[22:23], v[24:25]
	v_mov_b32_e32 v24, s16
	s_add_i32 s16, s16, 1
	s_cmp_lg_u32 s66, s16
	v_cmp_lt_f64_e32 vcc, v[20:21], v[22:23]
	v_cndmask_b32_e32 v1, v1, v11, vcc
	v_cndmask_b32_e32 v0, v0, v10, vcc
	;; [unrolled: 1-line block ×5, first 2 shown]
	s_cbranch_scc1 .LBB126_1253
.LBB126_1254:
	s_waitcnt lgkmcnt(0)
	v_cmp_eq_f64_e32 vcc, 0, v[0:1]
	v_cmp_eq_f64_e64 s[4:5], 0, v[2:3]
	s_and_b64 s[4:5], vcc, s[4:5]
	s_and_saveexec_b64 s[16:17], s[4:5]
	s_xor_b64 s[4:5], exec, s[16:17]
; %bb.1255:
	v_cmp_ne_u32_e32 vcc, 0, v17
	v_cndmask_b32_e32 v17, 55, v17, vcc
; %bb.1256:
	s_andn2_saveexec_b64 s[4:5], s[4:5]
	s_cbranch_execz .LBB126_1262
; %bb.1257:
	v_cmp_ngt_f64_e64 s[16:17], |v[0:1]|, |v[2:3]|
	s_and_saveexec_b64 s[18:19], s[16:17]
	s_xor_b64 s[18:19], exec, s[18:19]
	s_cbranch_execz .LBB126_1259
; %bb.1258:
	v_div_scale_f64 v[10:11], s[16:17], v[2:3], v[2:3], v[0:1]
	v_rcp_f64_e32 v[12:13], v[10:11]
	v_fma_f64 v[20:21], -v[10:11], v[12:13], 1.0
	v_fma_f64 v[12:13], v[12:13], v[20:21], v[12:13]
	v_div_scale_f64 v[20:21], vcc, v[0:1], v[2:3], v[0:1]
	v_fma_f64 v[22:23], -v[10:11], v[12:13], 1.0
	v_fma_f64 v[12:13], v[12:13], v[22:23], v[12:13]
	v_mul_f64 v[22:23], v[20:21], v[12:13]
	v_fma_f64 v[10:11], -v[10:11], v[22:23], v[20:21]
	v_div_fmas_f64 v[10:11], v[10:11], v[12:13], v[22:23]
	v_div_fixup_f64 v[10:11], v[10:11], v[2:3], v[0:1]
	v_fma_f64 v[0:1], v[0:1], v[10:11], v[2:3]
	v_div_scale_f64 v[2:3], s[16:17], v[0:1], v[0:1], 1.0
	v_div_scale_f64 v[22:23], vcc, 1.0, v[0:1], 1.0
	v_rcp_f64_e32 v[12:13], v[2:3]
	v_fma_f64 v[20:21], -v[2:3], v[12:13], 1.0
	v_fma_f64 v[12:13], v[12:13], v[20:21], v[12:13]
	v_fma_f64 v[20:21], -v[2:3], v[12:13], 1.0
	v_fma_f64 v[12:13], v[12:13], v[20:21], v[12:13]
	v_mul_f64 v[20:21], v[22:23], v[12:13]
	v_fma_f64 v[2:3], -v[2:3], v[20:21], v[22:23]
	v_div_fmas_f64 v[2:3], v[2:3], v[12:13], v[20:21]
	v_div_fixup_f64 v[2:3], v[2:3], v[0:1], 1.0
	v_mul_f64 v[0:1], v[10:11], v[2:3]
	v_xor_b32_e32 v3, 0x80000000, v3
.LBB126_1259:
	s_andn2_saveexec_b64 s[18:19], s[18:19]
	s_cbranch_execz .LBB126_1261
; %bb.1260:
	v_div_scale_f64 v[10:11], s[16:17], v[0:1], v[0:1], v[2:3]
	v_rcp_f64_e32 v[12:13], v[10:11]
	v_fma_f64 v[20:21], -v[10:11], v[12:13], 1.0
	v_fma_f64 v[12:13], v[12:13], v[20:21], v[12:13]
	v_div_scale_f64 v[20:21], vcc, v[2:3], v[0:1], v[2:3]
	v_fma_f64 v[22:23], -v[10:11], v[12:13], 1.0
	v_fma_f64 v[12:13], v[12:13], v[22:23], v[12:13]
	v_mul_f64 v[22:23], v[20:21], v[12:13]
	v_fma_f64 v[10:11], -v[10:11], v[22:23], v[20:21]
	v_div_fmas_f64 v[10:11], v[10:11], v[12:13], v[22:23]
	v_div_fixup_f64 v[10:11], v[10:11], v[0:1], v[2:3]
	v_fma_f64 v[0:1], v[2:3], v[10:11], v[0:1]
	v_div_scale_f64 v[2:3], s[16:17], v[0:1], v[0:1], 1.0
	v_div_scale_f64 v[22:23], vcc, 1.0, v[0:1], 1.0
	v_rcp_f64_e32 v[12:13], v[2:3]
	v_fma_f64 v[20:21], -v[2:3], v[12:13], 1.0
	v_fma_f64 v[12:13], v[12:13], v[20:21], v[12:13]
	v_fma_f64 v[20:21], -v[2:3], v[12:13], 1.0
	v_fma_f64 v[12:13], v[12:13], v[20:21], v[12:13]
	v_mul_f64 v[20:21], v[22:23], v[12:13]
	v_fma_f64 v[2:3], -v[2:3], v[20:21], v[22:23]
	v_div_fmas_f64 v[2:3], v[2:3], v[12:13], v[20:21]
	v_div_fixup_f64 v[0:1], v[2:3], v[0:1], 1.0
	v_mul_f64 v[2:3], v[10:11], -v[0:1]
.LBB126_1261:
	s_or_b64 exec, exec, s[18:19]
.LBB126_1262:
	s_or_b64 exec, exec, s[4:5]
	v_cmp_ne_u32_e32 vcc, v19, v4
	s_and_saveexec_b64 s[4:5], vcc
	s_xor_b64 s[4:5], exec, s[4:5]
	s_cbranch_execz .LBB126_1268
; %bb.1263:
	v_cmp_eq_u32_e32 vcc, 54, v19
	s_and_saveexec_b64 s[18:19], vcc
	s_cbranch_execz .LBB126_1267
; %bb.1264:
	v_cmp_ne_u32_e32 vcc, 54, v4
	s_xor_b64 s[16:17], s[10:11], -1
	s_and_b64 s[16:17], s[16:17], vcc
	s_and_saveexec_b64 s[24:25], s[16:17]
	s_cbranch_execz .LBB126_1266
; %bb.1265:
	v_ashrrev_i32_e32 v5, 31, v4
	v_lshlrev_b64 v[10:11], 2, v[4:5]
	v_add_co_u32_e32 v10, vcc, v8, v10
	v_addc_co_u32_e32 v11, vcc, v9, v11, vcc
	global_load_dword v5, v[10:11], off
	global_load_dword v12, v[8:9], off offset:216
	s_waitcnt vmcnt(1)
	global_store_dword v[8:9], v5, off offset:216
	s_waitcnt vmcnt(1)
	global_store_dword v[10:11], v12, off
.LBB126_1266:
	s_or_b64 exec, exec, s[24:25]
	v_mov_b32_e32 v19, v4
	v_mov_b32_e32 v18, v4
.LBB126_1267:
	s_or_b64 exec, exec, s[18:19]
.LBB126_1268:
	s_andn2_saveexec_b64 s[4:5], s[4:5]
	s_cbranch_execz .LBB126_1270
; %bb.1269:
	v_mov_b32_e32 v11, s33
	v_mov_b32_e32 v20, s31
	;; [unrolled: 1-line block ×9, first 2 shown]
	buffer_load_dword v4, v11, s[0:3], 0 offen
	buffer_load_dword v5, v11, s[0:3], 0 offen offset:4
	buffer_load_dword v10, v11, s[0:3], 0 offen offset:8
	s_nop 0
	buffer_load_dword v11, v11, s[0:3], 0 offen offset:12
	s_nop 0
	buffer_load_dword v12, v20, s[0:3], 0 offen
	buffer_load_dword v13, v20, s[0:3], 0 offen offset:4
	buffer_load_dword v19, v20, s[0:3], 0 offen offset:8
	s_nop 0
	buffer_load_dword v20, v20, s[0:3], 0 offen offset:12
	s_nop 0
	;; [unrolled: 6-line block ×8, first 2 shown]
	buffer_load_dword v45, v48, s[0:3], 0 offen
	buffer_load_dword v46, v48, s[0:3], 0 offen offset:4
	buffer_load_dword v47, v48, s[0:3], 0 offen offset:8
	s_nop 0
	buffer_load_dword v48, v48, s[0:3], 0 offen offset:12
	s_waitcnt vmcnt(32)
	ds_write2_b64 v16, v[4:5], v[10:11] offset0:110 offset1:111
	s_waitcnt vmcnt(28)
	ds_write2_b64 v16, v[12:13], v[19:20] offset0:112 offset1:113
	;; [unrolled: 2-line block ×9, first 2 shown]
	v_mov_b32_e32 v19, 54
.LBB126_1270:
	s_or_b64 exec, exec, s[4:5]
	v_cmp_lt_i32_e32 vcc, 54, v19
	s_waitcnt vmcnt(0) lgkmcnt(0)
	s_barrier
	s_and_saveexec_b64 s[4:5], vcc
	s_cbranch_execz .LBB126_1272
; %bb.1271:
	buffer_load_dword v4, off, s[0:3], 0 offset:864
	buffer_load_dword v5, off, s[0:3], 0 offset:868
	;; [unrolled: 1-line block ×16, first 2 shown]
	s_waitcnt vmcnt(12)
	v_mul_f64 v[30:31], v[2:3], v[10:11]
	v_fma_f64 v[30:31], v[0:1], v[4:5], -v[30:31]
	v_mul_f64 v[0:1], v[0:1], v[10:11]
	v_fma_f64 v[4:5], v[2:3], v[4:5], v[0:1]
	buffer_store_dword v30, off, s[0:3], 0 offset:864
	buffer_store_dword v31, off, s[0:3], 0 offset:868
	buffer_store_dword v4, off, s[0:3], 0 offset:872
	buffer_store_dword v5, off, s[0:3], 0 offset:876
	ds_read2_b64 v[0:3], v16 offset0:110 offset1:111
	s_waitcnt lgkmcnt(0)
	v_mul_f64 v[10:11], v[2:3], v[4:5]
	v_fma_f64 v[10:11], v[0:1], v[30:31], -v[10:11]
	v_mul_f64 v[0:1], v[0:1], v[4:5]
	v_fma_f64 v[0:1], v[2:3], v[30:31], v[0:1]
	s_waitcnt vmcnt(14)
	v_add_f64 v[2:3], v[12:13], -v[10:11]
	s_waitcnt vmcnt(12)
	v_add_f64 v[0:1], v[20:21], -v[0:1]
	buffer_store_dword v2, off, s[0:3], 0 offset:880
	buffer_store_dword v3, off, s[0:3], 0 offset:884
	buffer_store_dword v0, off, s[0:3], 0 offset:888
	buffer_store_dword v1, off, s[0:3], 0 offset:892
	ds_read2_b64 v[0:3], v16 offset0:112 offset1:113
	s_waitcnt lgkmcnt(0)
	v_mul_f64 v[10:11], v[2:3], v[4:5]
	v_fma_f64 v[10:11], v[0:1], v[30:31], -v[10:11]
	v_mul_f64 v[0:1], v[0:1], v[4:5]
	v_fma_f64 v[0:1], v[2:3], v[30:31], v[0:1]
	s_waitcnt vmcnt(14)
	v_add_f64 v[2:3], v[22:23], -v[10:11]
	s_waitcnt vmcnt(12)
	v_add_f64 v[0:1], v[24:25], -v[0:1]
	;; [unrolled: 14-line block ×3, first 2 shown]
	buffer_store_dword v3, off, s[0:3], 0 offset:916
	buffer_store_dword v2, off, s[0:3], 0 offset:912
	buffer_store_dword v0, off, s[0:3], 0 offset:920
	buffer_store_dword v1, off, s[0:3], 0 offset:924
	ds_read2_b64 v[0:3], v16 offset0:116 offset1:117
	s_waitcnt lgkmcnt(0)
	v_mul_f64 v[10:11], v[2:3], v[4:5]
	v_fma_f64 v[10:11], v[0:1], v[30:31], -v[10:11]
	v_mul_f64 v[0:1], v[0:1], v[4:5]
	v_fma_f64 v[0:1], v[2:3], v[30:31], v[0:1]
	buffer_load_dword v2, off, s[0:3], 0 offset:928
	buffer_load_dword v3, off, s[0:3], 0 offset:932
	buffer_load_dword v12, off, s[0:3], 0 offset:936
	buffer_load_dword v13, off, s[0:3], 0 offset:940
	s_waitcnt vmcnt(2)
	v_add_f64 v[2:3], v[2:3], -v[10:11]
	s_waitcnt vmcnt(0)
	v_add_f64 v[0:1], v[12:13], -v[0:1]
	buffer_store_dword v3, off, s[0:3], 0 offset:932
	buffer_store_dword v2, off, s[0:3], 0 offset:928
	buffer_store_dword v1, off, s[0:3], 0 offset:940
	buffer_store_dword v0, off, s[0:3], 0 offset:936
	ds_read2_b64 v[0:3], v16 offset0:118 offset1:119
	s_waitcnt lgkmcnt(0)
	v_mul_f64 v[10:11], v[2:3], v[4:5]
	v_fma_f64 v[10:11], v[0:1], v[30:31], -v[10:11]
	v_mul_f64 v[0:1], v[0:1], v[4:5]
	v_fma_f64 v[0:1], v[2:3], v[30:31], v[0:1]
	buffer_load_dword v2, off, s[0:3], 0 offset:944
	buffer_load_dword v3, off, s[0:3], 0 offset:948
	buffer_load_dword v12, off, s[0:3], 0 offset:952
	buffer_load_dword v13, off, s[0:3], 0 offset:956
	s_waitcnt vmcnt(2)
	v_add_f64 v[2:3], v[2:3], -v[10:11]
	s_waitcnt vmcnt(0)
	v_add_f64 v[0:1], v[12:13], -v[0:1]
	;; [unrolled: 18-line block ×3, first 2 shown]
	buffer_store_dword v3, off, s[0:3], 0 offset:964
	buffer_store_dword v2, off, s[0:3], 0 offset:960
	;; [unrolled: 1-line block ×4, first 2 shown]
	ds_read2_b64 v[0:3], v16 offset0:122 offset1:123
	buffer_load_dword v4, off, s[0:3], 0 offset:864
	buffer_load_dword v5, off, s[0:3], 0 offset:868
	;; [unrolled: 1-line block ×4, first 2 shown]
	s_waitcnt vmcnt(0) lgkmcnt(0)
	v_mul_f64 v[12:13], v[2:3], v[10:11]
	v_fma_f64 v[12:13], v[0:1], v[4:5], -v[12:13]
	v_mul_f64 v[0:1], v[0:1], v[10:11]
	v_fma_f64 v[0:1], v[2:3], v[4:5], v[0:1]
	buffer_load_dword v3, off, s[0:3], 0 offset:980
	buffer_load_dword v2, off, s[0:3], 0 offset:976
	s_waitcnt vmcnt(0)
	v_add_f64 v[2:3], v[2:3], -v[12:13]
	buffer_load_dword v13, off, s[0:3], 0 offset:988
	buffer_load_dword v12, off, s[0:3], 0 offset:984
	s_waitcnt vmcnt(0)
	v_add_f64 v[0:1], v[12:13], -v[0:1]
	buffer_store_dword v3, off, s[0:3], 0 offset:980
	buffer_store_dword v2, off, s[0:3], 0 offset:976
	;; [unrolled: 1-line block ×4, first 2 shown]
	ds_read2_b64 v[0:3], v16 offset0:124 offset1:125
	s_waitcnt lgkmcnt(0)
	v_mul_f64 v[12:13], v[2:3], v[10:11]
	v_fma_f64 v[12:13], v[0:1], v[4:5], -v[12:13]
	v_mul_f64 v[0:1], v[0:1], v[10:11]
	v_fma_f64 v[0:1], v[2:3], v[4:5], v[0:1]
	buffer_load_dword v2, off, s[0:3], 0 offset:992
	buffer_load_dword v3, off, s[0:3], 0 offset:996
	;; [unrolled: 1-line block ×4, first 2 shown]
	s_waitcnt vmcnt(2)
	v_add_f64 v[2:3], v[2:3], -v[12:13]
	s_waitcnt vmcnt(0)
	v_add_f64 v[0:1], v[20:21], -v[0:1]
	buffer_store_dword v3, off, s[0:3], 0 offset:996
	buffer_store_dword v2, off, s[0:3], 0 offset:992
	;; [unrolled: 1-line block ×4, first 2 shown]
	ds_read2_b64 v[0:3], v16 offset0:126 offset1:127
	s_waitcnt lgkmcnt(0)
	v_mul_f64 v[12:13], v[2:3], v[10:11]
	v_fma_f64 v[12:13], v[0:1], v[4:5], -v[12:13]
	v_mul_f64 v[0:1], v[0:1], v[10:11]
	v_fma_f64 v[0:1], v[2:3], v[4:5], v[0:1]
	buffer_load_dword v2, off, s[0:3], 0 offset:1008
	buffer_load_dword v3, off, s[0:3], 0 offset:1012
	;; [unrolled: 1-line block ×4, first 2 shown]
	s_waitcnt vmcnt(2)
	v_add_f64 v[2:3], v[2:3], -v[12:13]
	s_waitcnt vmcnt(0)
	v_add_f64 v[0:1], v[4:5], -v[0:1]
	buffer_store_dword v3, off, s[0:3], 0 offset:1012
	buffer_store_dword v2, off, s[0:3], 0 offset:1008
	;; [unrolled: 1-line block ×4, first 2 shown]
.LBB126_1272:
	s_or_b64 exec, exec, s[4:5]
	v_mov_b32_e32 v3, s33
	s_waitcnt vmcnt(0)
	s_barrier
	buffer_load_dword v0, v3, s[0:3], 0 offen
	buffer_load_dword v1, v3, s[0:3], 0 offen offset:4
	buffer_load_dword v2, v3, s[0:3], 0 offen offset:8
	s_nop 0
	buffer_load_dword v3, v3, s[0:3], 0 offen offset:12
	v_lshl_add_u32 v4, v19, 4, v16
	s_cmp_lt_i32 s66, 57
	s_waitcnt vmcnt(0)
	ds_write2_b64 v4, v[0:1], v[2:3] offset1:1
	s_waitcnt lgkmcnt(0)
	s_barrier
	ds_read2_b64 v[0:3], v16 offset0:110 offset1:111
	v_mov_b32_e32 v4, 55
	s_cbranch_scc1 .LBB126_1275
; %bb.1273:
	v_add_u32_e32 v5, 0x380, v16
	s_mov_b32 s16, 56
	v_mov_b32_e32 v4, 55
.LBB126_1274:                           ; =>This Inner Loop Header: Depth=1
	s_waitcnt lgkmcnt(0)
	v_cmp_gt_f64_e32 vcc, 0, v[2:3]
	v_cmp_gt_f64_e64 s[4:5], 0, v[0:1]
	ds_read2_b64 v[10:13], v5 offset1:1
	v_xor_b32_e32 v21, 0x80000000, v1
	v_xor_b32_e32 v23, 0x80000000, v3
	v_mov_b32_e32 v20, v0
	v_mov_b32_e32 v22, v2
	s_waitcnt lgkmcnt(0)
	v_xor_b32_e32 v25, 0x80000000, v13
	v_cndmask_b32_e32 v23, v3, v23, vcc
	v_cndmask_b32_e64 v21, v1, v21, s[4:5]
	v_cmp_gt_f64_e32 vcc, 0, v[12:13]
	v_cmp_gt_f64_e64 s[4:5], 0, v[10:11]
	v_add_f64 v[20:21], v[20:21], v[22:23]
	v_xor_b32_e32 v23, 0x80000000, v11
	v_mov_b32_e32 v22, v10
	v_mov_b32_e32 v24, v12
	v_add_u32_e32 v5, 16, v5
	v_cndmask_b32_e32 v25, v13, v25, vcc
	v_cndmask_b32_e64 v23, v11, v23, s[4:5]
	v_add_f64 v[22:23], v[22:23], v[24:25]
	v_mov_b32_e32 v24, s16
	s_add_i32 s16, s16, 1
	s_cmp_lg_u32 s66, s16
	v_cmp_lt_f64_e32 vcc, v[20:21], v[22:23]
	v_cndmask_b32_e32 v1, v1, v11, vcc
	v_cndmask_b32_e32 v0, v0, v10, vcc
	;; [unrolled: 1-line block ×5, first 2 shown]
	s_cbranch_scc1 .LBB126_1274
.LBB126_1275:
	s_waitcnt lgkmcnt(0)
	v_cmp_eq_f64_e32 vcc, 0, v[0:1]
	v_cmp_eq_f64_e64 s[4:5], 0, v[2:3]
	s_and_b64 s[4:5], vcc, s[4:5]
	s_and_saveexec_b64 s[16:17], s[4:5]
	s_xor_b64 s[4:5], exec, s[16:17]
; %bb.1276:
	v_cmp_ne_u32_e32 vcc, 0, v17
	v_cndmask_b32_e32 v17, 56, v17, vcc
; %bb.1277:
	s_andn2_saveexec_b64 s[4:5], s[4:5]
	s_cbranch_execz .LBB126_1283
; %bb.1278:
	v_cmp_ngt_f64_e64 s[16:17], |v[0:1]|, |v[2:3]|
	s_and_saveexec_b64 s[18:19], s[16:17]
	s_xor_b64 s[18:19], exec, s[18:19]
	s_cbranch_execz .LBB126_1280
; %bb.1279:
	v_div_scale_f64 v[10:11], s[16:17], v[2:3], v[2:3], v[0:1]
	v_rcp_f64_e32 v[12:13], v[10:11]
	v_fma_f64 v[20:21], -v[10:11], v[12:13], 1.0
	v_fma_f64 v[12:13], v[12:13], v[20:21], v[12:13]
	v_div_scale_f64 v[20:21], vcc, v[0:1], v[2:3], v[0:1]
	v_fma_f64 v[22:23], -v[10:11], v[12:13], 1.0
	v_fma_f64 v[12:13], v[12:13], v[22:23], v[12:13]
	v_mul_f64 v[22:23], v[20:21], v[12:13]
	v_fma_f64 v[10:11], -v[10:11], v[22:23], v[20:21]
	v_div_fmas_f64 v[10:11], v[10:11], v[12:13], v[22:23]
	v_div_fixup_f64 v[10:11], v[10:11], v[2:3], v[0:1]
	v_fma_f64 v[0:1], v[0:1], v[10:11], v[2:3]
	v_div_scale_f64 v[2:3], s[16:17], v[0:1], v[0:1], 1.0
	v_div_scale_f64 v[22:23], vcc, 1.0, v[0:1], 1.0
	v_rcp_f64_e32 v[12:13], v[2:3]
	v_fma_f64 v[20:21], -v[2:3], v[12:13], 1.0
	v_fma_f64 v[12:13], v[12:13], v[20:21], v[12:13]
	v_fma_f64 v[20:21], -v[2:3], v[12:13], 1.0
	v_fma_f64 v[12:13], v[12:13], v[20:21], v[12:13]
	v_mul_f64 v[20:21], v[22:23], v[12:13]
	v_fma_f64 v[2:3], -v[2:3], v[20:21], v[22:23]
	v_div_fmas_f64 v[2:3], v[2:3], v[12:13], v[20:21]
	v_div_fixup_f64 v[2:3], v[2:3], v[0:1], 1.0
	v_mul_f64 v[0:1], v[10:11], v[2:3]
	v_xor_b32_e32 v3, 0x80000000, v3
.LBB126_1280:
	s_andn2_saveexec_b64 s[18:19], s[18:19]
	s_cbranch_execz .LBB126_1282
; %bb.1281:
	v_div_scale_f64 v[10:11], s[16:17], v[0:1], v[0:1], v[2:3]
	v_rcp_f64_e32 v[12:13], v[10:11]
	v_fma_f64 v[20:21], -v[10:11], v[12:13], 1.0
	v_fma_f64 v[12:13], v[12:13], v[20:21], v[12:13]
	v_div_scale_f64 v[20:21], vcc, v[2:3], v[0:1], v[2:3]
	v_fma_f64 v[22:23], -v[10:11], v[12:13], 1.0
	v_fma_f64 v[12:13], v[12:13], v[22:23], v[12:13]
	v_mul_f64 v[22:23], v[20:21], v[12:13]
	v_fma_f64 v[10:11], -v[10:11], v[22:23], v[20:21]
	v_div_fmas_f64 v[10:11], v[10:11], v[12:13], v[22:23]
	v_div_fixup_f64 v[10:11], v[10:11], v[0:1], v[2:3]
	v_fma_f64 v[0:1], v[2:3], v[10:11], v[0:1]
	v_div_scale_f64 v[2:3], s[16:17], v[0:1], v[0:1], 1.0
	v_div_scale_f64 v[22:23], vcc, 1.0, v[0:1], 1.0
	v_rcp_f64_e32 v[12:13], v[2:3]
	v_fma_f64 v[20:21], -v[2:3], v[12:13], 1.0
	v_fma_f64 v[12:13], v[12:13], v[20:21], v[12:13]
	v_fma_f64 v[20:21], -v[2:3], v[12:13], 1.0
	v_fma_f64 v[12:13], v[12:13], v[20:21], v[12:13]
	v_mul_f64 v[20:21], v[22:23], v[12:13]
	v_fma_f64 v[2:3], -v[2:3], v[20:21], v[22:23]
	v_div_fmas_f64 v[2:3], v[2:3], v[12:13], v[20:21]
	v_div_fixup_f64 v[0:1], v[2:3], v[0:1], 1.0
	v_mul_f64 v[2:3], v[10:11], -v[0:1]
.LBB126_1282:
	s_or_b64 exec, exec, s[18:19]
.LBB126_1283:
	s_or_b64 exec, exec, s[4:5]
	v_cmp_ne_u32_e32 vcc, v19, v4
	s_and_saveexec_b64 s[4:5], vcc
	s_xor_b64 s[4:5], exec, s[4:5]
	s_cbranch_execz .LBB126_1289
; %bb.1284:
	v_cmp_eq_u32_e32 vcc, 55, v19
	s_and_saveexec_b64 s[18:19], vcc
	s_cbranch_execz .LBB126_1288
; %bb.1285:
	v_cmp_ne_u32_e32 vcc, 55, v4
	s_xor_b64 s[16:17], s[10:11], -1
	s_and_b64 s[16:17], s[16:17], vcc
	s_and_saveexec_b64 s[24:25], s[16:17]
	s_cbranch_execz .LBB126_1287
; %bb.1286:
	v_ashrrev_i32_e32 v5, 31, v4
	v_lshlrev_b64 v[10:11], 2, v[4:5]
	v_add_co_u32_e32 v10, vcc, v8, v10
	v_addc_co_u32_e32 v11, vcc, v9, v11, vcc
	global_load_dword v5, v[10:11], off
	global_load_dword v12, v[8:9], off offset:220
	s_waitcnt vmcnt(1)
	global_store_dword v[8:9], v5, off offset:220
	s_waitcnt vmcnt(1)
	global_store_dword v[10:11], v12, off
.LBB126_1287:
	s_or_b64 exec, exec, s[24:25]
	v_mov_b32_e32 v19, v4
	v_mov_b32_e32 v18, v4
.LBB126_1288:
	s_or_b64 exec, exec, s[18:19]
.LBB126_1289:
	s_andn2_saveexec_b64 s[4:5], s[4:5]
	s_cbranch_execz .LBB126_1291
; %bb.1290:
	v_mov_b32_e32 v11, s31
	v_mov_b32_e32 v20, s30
	;; [unrolled: 1-line block ×8, first 2 shown]
	buffer_load_dword v4, v11, s[0:3], 0 offen
	buffer_load_dword v5, v11, s[0:3], 0 offen offset:4
	buffer_load_dword v10, v11, s[0:3], 0 offen offset:8
	s_nop 0
	buffer_load_dword v11, v11, s[0:3], 0 offen offset:12
	s_nop 0
	buffer_load_dword v12, v20, s[0:3], 0 offen
	buffer_load_dword v13, v20, s[0:3], 0 offen offset:4
	buffer_load_dword v19, v20, s[0:3], 0 offen offset:8
	s_nop 0
	buffer_load_dword v20, v20, s[0:3], 0 offen offset:12
	s_nop 0
	;; [unrolled: 6-line block ×7, first 2 shown]
	buffer_load_dword v41, v44, s[0:3], 0 offen
	buffer_load_dword v42, v44, s[0:3], 0 offen offset:4
	buffer_load_dword v43, v44, s[0:3], 0 offen offset:8
	s_nop 0
	buffer_load_dword v44, v44, s[0:3], 0 offen offset:12
	s_waitcnt vmcnt(28)
	ds_write2_b64 v16, v[4:5], v[10:11] offset0:112 offset1:113
	s_waitcnt vmcnt(24)
	ds_write2_b64 v16, v[12:13], v[19:20] offset0:114 offset1:115
	;; [unrolled: 2-line block ×8, first 2 shown]
	v_mov_b32_e32 v19, 55
.LBB126_1291:
	s_or_b64 exec, exec, s[4:5]
	v_cmp_lt_i32_e32 vcc, 55, v19
	s_waitcnt vmcnt(0) lgkmcnt(0)
	s_barrier
	s_and_saveexec_b64 s[4:5], vcc
	s_cbranch_execz .LBB126_1293
; %bb.1292:
	buffer_load_dword v10, off, s[0:3], 0 offset:880
	buffer_load_dword v11, off, s[0:3], 0 offset:884
	;; [unrolled: 1-line block ×16, first 2 shown]
	s_waitcnt vmcnt(12)
	v_mul_f64 v[4:5], v[2:3], v[12:13]
	v_fma_f64 v[4:5], v[0:1], v[10:11], -v[4:5]
	v_mul_f64 v[0:1], v[0:1], v[12:13]
	v_fma_f64 v[0:1], v[2:3], v[10:11], v[0:1]
	buffer_store_dword v4, off, s[0:3], 0 offset:880
	buffer_store_dword v5, off, s[0:3], 0 offset:884
	buffer_store_dword v0, off, s[0:3], 0 offset:888
	buffer_store_dword v1, off, s[0:3], 0 offset:892
	ds_read2_b64 v[10:13], v16 offset0:112 offset1:113
	s_waitcnt lgkmcnt(0)
	v_mul_f64 v[2:3], v[12:13], v[0:1]
	v_fma_f64 v[2:3], v[10:11], v[4:5], -v[2:3]
	v_mul_f64 v[10:11], v[10:11], v[0:1]
	s_waitcnt vmcnt(14)
	v_add_f64 v[2:3], v[20:21], -v[2:3]
	v_fma_f64 v[10:11], v[12:13], v[4:5], v[10:11]
	s_waitcnt vmcnt(12)
	v_add_f64 v[10:11], v[22:23], -v[10:11]
	buffer_store_dword v2, off, s[0:3], 0 offset:896
	buffer_store_dword v3, off, s[0:3], 0 offset:900
	buffer_store_dword v10, off, s[0:3], 0 offset:904
	buffer_store_dword v11, off, s[0:3], 0 offset:908
	ds_read2_b64 v[10:13], v16 offset0:114 offset1:115
	s_waitcnt lgkmcnt(0)
	v_mul_f64 v[2:3], v[12:13], v[0:1]
	v_fma_f64 v[2:3], v[10:11], v[4:5], -v[2:3]
	v_mul_f64 v[10:11], v[10:11], v[0:1]
	s_waitcnt vmcnt(14)
	v_add_f64 v[2:3], v[24:25], -v[2:3]
	v_fma_f64 v[10:11], v[12:13], v[4:5], v[10:11]
	s_waitcnt vmcnt(12)
	v_add_f64 v[10:11], v[26:27], -v[10:11]
	buffer_store_dword v2, off, s[0:3], 0 offset:912
	buffer_store_dword v3, off, s[0:3], 0 offset:916
	buffer_store_dword v10, off, s[0:3], 0 offset:920
	buffer_store_dword v11, off, s[0:3], 0 offset:924
	ds_read2_b64 v[10:13], v16 offset0:116 offset1:117
	s_waitcnt lgkmcnt(0)
	v_mul_f64 v[2:3], v[12:13], v[0:1]
	v_fma_f64 v[2:3], v[10:11], v[4:5], -v[2:3]
	v_mul_f64 v[10:11], v[10:11], v[0:1]
	s_waitcnt vmcnt(14)
	v_add_f64 v[2:3], v[28:29], -v[2:3]
	v_fma_f64 v[10:11], v[12:13], v[4:5], v[10:11]
	s_waitcnt vmcnt(12)
	v_add_f64 v[10:11], v[30:31], -v[10:11]
	buffer_store_dword v3, off, s[0:3], 0 offset:932
	buffer_store_dword v2, off, s[0:3], 0 offset:928
	buffer_store_dword v10, off, s[0:3], 0 offset:936
	buffer_store_dword v11, off, s[0:3], 0 offset:940
	ds_read2_b64 v[10:13], v16 offset0:118 offset1:119
	s_waitcnt lgkmcnt(0)
	v_mul_f64 v[2:3], v[12:13], v[0:1]
	v_fma_f64 v[2:3], v[10:11], v[4:5], -v[2:3]
	v_mul_f64 v[10:11], v[10:11], v[0:1]
	v_fma_f64 v[10:11], v[12:13], v[4:5], v[10:11]
	buffer_load_dword v12, off, s[0:3], 0 offset:944
	buffer_load_dword v13, off, s[0:3], 0 offset:948
	;; [unrolled: 1-line block ×4, first 2 shown]
	s_waitcnt vmcnt(2)
	v_add_f64 v[2:3], v[12:13], -v[2:3]
	s_waitcnt vmcnt(0)
	v_add_f64 v[10:11], v[20:21], -v[10:11]
	buffer_store_dword v3, off, s[0:3], 0 offset:948
	buffer_store_dword v2, off, s[0:3], 0 offset:944
	;; [unrolled: 1-line block ×4, first 2 shown]
	ds_read2_b64 v[10:13], v16 offset0:120 offset1:121
	s_waitcnt lgkmcnt(0)
	v_mul_f64 v[2:3], v[12:13], v[0:1]
	v_fma_f64 v[2:3], v[10:11], v[4:5], -v[2:3]
	v_mul_f64 v[10:11], v[10:11], v[0:1]
	v_fma_f64 v[10:11], v[12:13], v[4:5], v[10:11]
	buffer_load_dword v12, off, s[0:3], 0 offset:960
	buffer_load_dword v13, off, s[0:3], 0 offset:964
	;; [unrolled: 1-line block ×4, first 2 shown]
	s_waitcnt vmcnt(2)
	v_add_f64 v[2:3], v[12:13], -v[2:3]
	s_waitcnt vmcnt(0)
	v_add_f64 v[10:11], v[20:21], -v[10:11]
	buffer_store_dword v3, off, s[0:3], 0 offset:964
	buffer_store_dword v2, off, s[0:3], 0 offset:960
	;; [unrolled: 1-line block ×4, first 2 shown]
	ds_read2_b64 v[10:13], v16 offset0:122 offset1:123
	s_waitcnt lgkmcnt(0)
	v_mul_f64 v[2:3], v[12:13], v[0:1]
	v_mul_f64 v[0:1], v[10:11], v[0:1]
	v_fma_f64 v[2:3], v[10:11], v[4:5], -v[2:3]
	v_fma_f64 v[0:1], v[12:13], v[4:5], v[0:1]
	buffer_load_dword v4, off, s[0:3], 0 offset:976
	buffer_load_dword v5, off, s[0:3], 0 offset:980
	;; [unrolled: 1-line block ×4, first 2 shown]
	s_waitcnt vmcnt(2)
	v_add_f64 v[2:3], v[4:5], -v[2:3]
	s_waitcnt vmcnt(0)
	v_add_f64 v[0:1], v[10:11], -v[0:1]
	buffer_store_dword v3, off, s[0:3], 0 offset:980
	buffer_store_dword v2, off, s[0:3], 0 offset:976
	;; [unrolled: 1-line block ×4, first 2 shown]
	ds_read2_b64 v[0:3], v16 offset0:124 offset1:125
	buffer_load_dword v4, off, s[0:3], 0 offset:880
	buffer_load_dword v5, off, s[0:3], 0 offset:884
	;; [unrolled: 1-line block ×4, first 2 shown]
	s_waitcnt vmcnt(0) lgkmcnt(0)
	v_mul_f64 v[12:13], v[2:3], v[10:11]
	v_fma_f64 v[12:13], v[0:1], v[4:5], -v[12:13]
	v_mul_f64 v[0:1], v[0:1], v[10:11]
	v_fma_f64 v[0:1], v[2:3], v[4:5], v[0:1]
	buffer_load_dword v3, off, s[0:3], 0 offset:996
	buffer_load_dword v2, off, s[0:3], 0 offset:992
	s_waitcnt vmcnt(0)
	v_add_f64 v[2:3], v[2:3], -v[12:13]
	buffer_load_dword v13, off, s[0:3], 0 offset:1004
	buffer_load_dword v12, off, s[0:3], 0 offset:1000
	s_waitcnt vmcnt(0)
	v_add_f64 v[0:1], v[12:13], -v[0:1]
	buffer_store_dword v3, off, s[0:3], 0 offset:996
	buffer_store_dword v2, off, s[0:3], 0 offset:992
	;; [unrolled: 1-line block ×4, first 2 shown]
	ds_read2_b64 v[0:3], v16 offset0:126 offset1:127
	s_waitcnt lgkmcnt(0)
	v_mul_f64 v[12:13], v[2:3], v[10:11]
	v_fma_f64 v[12:13], v[0:1], v[4:5], -v[12:13]
	v_mul_f64 v[0:1], v[0:1], v[10:11]
	v_fma_f64 v[0:1], v[2:3], v[4:5], v[0:1]
	buffer_load_dword v2, off, s[0:3], 0 offset:1008
	buffer_load_dword v3, off, s[0:3], 0 offset:1012
	;; [unrolled: 1-line block ×4, first 2 shown]
	s_waitcnt vmcnt(2)
	v_add_f64 v[2:3], v[2:3], -v[12:13]
	s_waitcnt vmcnt(0)
	v_add_f64 v[0:1], v[4:5], -v[0:1]
	buffer_store_dword v3, off, s[0:3], 0 offset:1012
	buffer_store_dword v2, off, s[0:3], 0 offset:1008
	;; [unrolled: 1-line block ×4, first 2 shown]
.LBB126_1293:
	s_or_b64 exec, exec, s[4:5]
	v_mov_b32_e32 v3, s31
	s_waitcnt vmcnt(0)
	s_barrier
	buffer_load_dword v0, v3, s[0:3], 0 offen
	buffer_load_dword v1, v3, s[0:3], 0 offen offset:4
	buffer_load_dword v2, v3, s[0:3], 0 offen offset:8
	s_nop 0
	buffer_load_dword v3, v3, s[0:3], 0 offen offset:12
	v_lshl_add_u32 v4, v19, 4, v16
	s_cmp_lt_i32 s66, 58
	s_waitcnt vmcnt(0)
	ds_write2_b64 v4, v[0:1], v[2:3] offset1:1
	s_waitcnt lgkmcnt(0)
	s_barrier
	ds_read2_b64 v[0:3], v16 offset0:112 offset1:113
	v_mov_b32_e32 v4, 56
	s_cbranch_scc1 .LBB126_1296
; %bb.1294:
	v_add_u32_e32 v5, 0x390, v16
	s_mov_b32 s16, 57
	v_mov_b32_e32 v4, 56
.LBB126_1295:                           ; =>This Inner Loop Header: Depth=1
	s_waitcnt lgkmcnt(0)
	v_cmp_gt_f64_e32 vcc, 0, v[2:3]
	v_cmp_gt_f64_e64 s[4:5], 0, v[0:1]
	ds_read2_b64 v[10:13], v5 offset1:1
	v_xor_b32_e32 v21, 0x80000000, v1
	v_xor_b32_e32 v23, 0x80000000, v3
	v_mov_b32_e32 v20, v0
	v_mov_b32_e32 v22, v2
	s_waitcnt lgkmcnt(0)
	v_xor_b32_e32 v25, 0x80000000, v13
	v_cndmask_b32_e32 v23, v3, v23, vcc
	v_cndmask_b32_e64 v21, v1, v21, s[4:5]
	v_cmp_gt_f64_e32 vcc, 0, v[12:13]
	v_cmp_gt_f64_e64 s[4:5], 0, v[10:11]
	v_add_f64 v[20:21], v[20:21], v[22:23]
	v_xor_b32_e32 v23, 0x80000000, v11
	v_mov_b32_e32 v22, v10
	v_mov_b32_e32 v24, v12
	v_add_u32_e32 v5, 16, v5
	v_cndmask_b32_e32 v25, v13, v25, vcc
	v_cndmask_b32_e64 v23, v11, v23, s[4:5]
	v_add_f64 v[22:23], v[22:23], v[24:25]
	v_mov_b32_e32 v24, s16
	s_add_i32 s16, s16, 1
	s_cmp_lg_u32 s66, s16
	v_cmp_lt_f64_e32 vcc, v[20:21], v[22:23]
	v_cndmask_b32_e32 v1, v1, v11, vcc
	v_cndmask_b32_e32 v0, v0, v10, vcc
	v_cndmask_b32_e32 v3, v3, v13, vcc
	v_cndmask_b32_e32 v2, v2, v12, vcc
	v_cndmask_b32_e32 v4, v4, v24, vcc
	s_cbranch_scc1 .LBB126_1295
.LBB126_1296:
	s_waitcnt lgkmcnt(0)
	v_cmp_eq_f64_e32 vcc, 0, v[0:1]
	v_cmp_eq_f64_e64 s[4:5], 0, v[2:3]
	s_and_b64 s[4:5], vcc, s[4:5]
	s_and_saveexec_b64 s[16:17], s[4:5]
	s_xor_b64 s[4:5], exec, s[16:17]
; %bb.1297:
	v_cmp_ne_u32_e32 vcc, 0, v17
	v_cndmask_b32_e32 v17, 57, v17, vcc
; %bb.1298:
	s_andn2_saveexec_b64 s[4:5], s[4:5]
	s_cbranch_execz .LBB126_1304
; %bb.1299:
	v_cmp_ngt_f64_e64 s[16:17], |v[0:1]|, |v[2:3]|
	s_and_saveexec_b64 s[18:19], s[16:17]
	s_xor_b64 s[18:19], exec, s[18:19]
	s_cbranch_execz .LBB126_1301
; %bb.1300:
	v_div_scale_f64 v[10:11], s[16:17], v[2:3], v[2:3], v[0:1]
	v_rcp_f64_e32 v[12:13], v[10:11]
	v_fma_f64 v[20:21], -v[10:11], v[12:13], 1.0
	v_fma_f64 v[12:13], v[12:13], v[20:21], v[12:13]
	v_div_scale_f64 v[20:21], vcc, v[0:1], v[2:3], v[0:1]
	v_fma_f64 v[22:23], -v[10:11], v[12:13], 1.0
	v_fma_f64 v[12:13], v[12:13], v[22:23], v[12:13]
	v_mul_f64 v[22:23], v[20:21], v[12:13]
	v_fma_f64 v[10:11], -v[10:11], v[22:23], v[20:21]
	v_div_fmas_f64 v[10:11], v[10:11], v[12:13], v[22:23]
	v_div_fixup_f64 v[10:11], v[10:11], v[2:3], v[0:1]
	v_fma_f64 v[0:1], v[0:1], v[10:11], v[2:3]
	v_div_scale_f64 v[2:3], s[16:17], v[0:1], v[0:1], 1.0
	v_div_scale_f64 v[22:23], vcc, 1.0, v[0:1], 1.0
	v_rcp_f64_e32 v[12:13], v[2:3]
	v_fma_f64 v[20:21], -v[2:3], v[12:13], 1.0
	v_fma_f64 v[12:13], v[12:13], v[20:21], v[12:13]
	v_fma_f64 v[20:21], -v[2:3], v[12:13], 1.0
	v_fma_f64 v[12:13], v[12:13], v[20:21], v[12:13]
	v_mul_f64 v[20:21], v[22:23], v[12:13]
	v_fma_f64 v[2:3], -v[2:3], v[20:21], v[22:23]
	v_div_fmas_f64 v[2:3], v[2:3], v[12:13], v[20:21]
	v_div_fixup_f64 v[2:3], v[2:3], v[0:1], 1.0
	v_mul_f64 v[0:1], v[10:11], v[2:3]
	v_xor_b32_e32 v3, 0x80000000, v3
.LBB126_1301:
	s_andn2_saveexec_b64 s[18:19], s[18:19]
	s_cbranch_execz .LBB126_1303
; %bb.1302:
	v_div_scale_f64 v[10:11], s[16:17], v[0:1], v[0:1], v[2:3]
	v_rcp_f64_e32 v[12:13], v[10:11]
	v_fma_f64 v[20:21], -v[10:11], v[12:13], 1.0
	v_fma_f64 v[12:13], v[12:13], v[20:21], v[12:13]
	v_div_scale_f64 v[20:21], vcc, v[2:3], v[0:1], v[2:3]
	v_fma_f64 v[22:23], -v[10:11], v[12:13], 1.0
	v_fma_f64 v[12:13], v[12:13], v[22:23], v[12:13]
	v_mul_f64 v[22:23], v[20:21], v[12:13]
	v_fma_f64 v[10:11], -v[10:11], v[22:23], v[20:21]
	v_div_fmas_f64 v[10:11], v[10:11], v[12:13], v[22:23]
	v_div_fixup_f64 v[10:11], v[10:11], v[0:1], v[2:3]
	v_fma_f64 v[0:1], v[2:3], v[10:11], v[0:1]
	v_div_scale_f64 v[2:3], s[16:17], v[0:1], v[0:1], 1.0
	v_div_scale_f64 v[22:23], vcc, 1.0, v[0:1], 1.0
	v_rcp_f64_e32 v[12:13], v[2:3]
	v_fma_f64 v[20:21], -v[2:3], v[12:13], 1.0
	v_fma_f64 v[12:13], v[12:13], v[20:21], v[12:13]
	v_fma_f64 v[20:21], -v[2:3], v[12:13], 1.0
	v_fma_f64 v[12:13], v[12:13], v[20:21], v[12:13]
	v_mul_f64 v[20:21], v[22:23], v[12:13]
	v_fma_f64 v[2:3], -v[2:3], v[20:21], v[22:23]
	v_div_fmas_f64 v[2:3], v[2:3], v[12:13], v[20:21]
	v_div_fixup_f64 v[0:1], v[2:3], v[0:1], 1.0
	v_mul_f64 v[2:3], v[10:11], -v[0:1]
.LBB126_1303:
	s_or_b64 exec, exec, s[18:19]
.LBB126_1304:
	s_or_b64 exec, exec, s[4:5]
	v_cmp_ne_u32_e32 vcc, v19, v4
	s_and_saveexec_b64 s[4:5], vcc
	s_xor_b64 s[4:5], exec, s[4:5]
	s_cbranch_execz .LBB126_1310
; %bb.1305:
	v_cmp_eq_u32_e32 vcc, 56, v19
	s_and_saveexec_b64 s[18:19], vcc
	s_cbranch_execz .LBB126_1309
; %bb.1306:
	v_cmp_ne_u32_e32 vcc, 56, v4
	s_xor_b64 s[16:17], s[10:11], -1
	s_and_b64 s[16:17], s[16:17], vcc
	s_and_saveexec_b64 s[24:25], s[16:17]
	s_cbranch_execz .LBB126_1308
; %bb.1307:
	v_ashrrev_i32_e32 v5, 31, v4
	v_lshlrev_b64 v[10:11], 2, v[4:5]
	v_add_co_u32_e32 v10, vcc, v8, v10
	v_addc_co_u32_e32 v11, vcc, v9, v11, vcc
	global_load_dword v5, v[10:11], off
	global_load_dword v12, v[8:9], off offset:224
	s_waitcnt vmcnt(1)
	global_store_dword v[8:9], v5, off offset:224
	s_waitcnt vmcnt(1)
	global_store_dword v[10:11], v12, off
.LBB126_1308:
	s_or_b64 exec, exec, s[24:25]
	v_mov_b32_e32 v19, v4
	v_mov_b32_e32 v18, v4
.LBB126_1309:
	s_or_b64 exec, exec, s[18:19]
.LBB126_1310:
	s_andn2_saveexec_b64 s[4:5], s[4:5]
	s_cbranch_execz .LBB126_1312
; %bb.1311:
	v_mov_b32_e32 v11, s30
	v_mov_b32_e32 v20, s29
	v_mov_b32_e32 v24, s28
	v_mov_b32_e32 v28, s27
	v_mov_b32_e32 v32, s26
	v_mov_b32_e32 v36, s20
	v_mov_b32_e32 v40, s7
	buffer_load_dword v4, v11, s[0:3], 0 offen
	buffer_load_dword v5, v11, s[0:3], 0 offen offset:4
	buffer_load_dword v10, v11, s[0:3], 0 offen offset:8
	s_nop 0
	buffer_load_dword v11, v11, s[0:3], 0 offen offset:12
	s_nop 0
	buffer_load_dword v12, v20, s[0:3], 0 offen
	buffer_load_dword v13, v20, s[0:3], 0 offen offset:4
	buffer_load_dword v19, v20, s[0:3], 0 offen offset:8
	s_nop 0
	buffer_load_dword v20, v20, s[0:3], 0 offen offset:12
	s_nop 0
	buffer_load_dword v21, v24, s[0:3], 0 offen
	buffer_load_dword v22, v24, s[0:3], 0 offen offset:4
	buffer_load_dword v23, v24, s[0:3], 0 offen offset:8
	s_nop 0
	buffer_load_dword v24, v24, s[0:3], 0 offen offset:12
	s_nop 0
	buffer_load_dword v25, v28, s[0:3], 0 offen
	buffer_load_dword v26, v28, s[0:3], 0 offen offset:4
	buffer_load_dword v27, v28, s[0:3], 0 offen offset:8
	s_nop 0
	buffer_load_dword v28, v28, s[0:3], 0 offen offset:12
	s_nop 0
	buffer_load_dword v29, v32, s[0:3], 0 offen
	buffer_load_dword v30, v32, s[0:3], 0 offen offset:4
	buffer_load_dword v31, v32, s[0:3], 0 offen offset:8
	s_nop 0
	buffer_load_dword v32, v32, s[0:3], 0 offen offset:12
	s_nop 0
	buffer_load_dword v33, v36, s[0:3], 0 offen
	buffer_load_dword v34, v36, s[0:3], 0 offen offset:4
	buffer_load_dword v35, v36, s[0:3], 0 offen offset:8
	s_nop 0
	buffer_load_dword v36, v36, s[0:3], 0 offen offset:12
	s_nop 0
	buffer_load_dword v37, v40, s[0:3], 0 offen
	buffer_load_dword v38, v40, s[0:3], 0 offen offset:4
	buffer_load_dword v39, v40, s[0:3], 0 offen offset:8
	s_nop 0
	buffer_load_dword v40, v40, s[0:3], 0 offen offset:12
	s_waitcnt vmcnt(24)
	ds_write2_b64 v16, v[4:5], v[10:11] offset0:114 offset1:115
	s_waitcnt vmcnt(20)
	ds_write2_b64 v16, v[12:13], v[19:20] offset0:116 offset1:117
	;; [unrolled: 2-line block ×7, first 2 shown]
	v_mov_b32_e32 v19, 56
.LBB126_1312:
	s_or_b64 exec, exec, s[4:5]
	v_cmp_lt_i32_e32 vcc, 56, v19
	s_waitcnt vmcnt(0) lgkmcnt(0)
	s_barrier
	s_and_saveexec_b64 s[4:5], vcc
	s_cbranch_execz .LBB126_1314
; %bb.1313:
	buffer_load_dword v10, off, s[0:3], 0 offset:896
	buffer_load_dword v11, off, s[0:3], 0 offset:900
	;; [unrolled: 1-line block ×16, first 2 shown]
	s_waitcnt vmcnt(12)
	v_mul_f64 v[4:5], v[2:3], v[12:13]
	v_fma_f64 v[4:5], v[0:1], v[10:11], -v[4:5]
	v_mul_f64 v[0:1], v[0:1], v[12:13]
	v_fma_f64 v[0:1], v[2:3], v[10:11], v[0:1]
	buffer_store_dword v4, off, s[0:3], 0 offset:896
	buffer_store_dword v5, off, s[0:3], 0 offset:900
	buffer_store_dword v0, off, s[0:3], 0 offset:904
	buffer_store_dword v1, off, s[0:3], 0 offset:908
	ds_read2_b64 v[10:13], v16 offset0:114 offset1:115
	s_waitcnt lgkmcnt(0)
	v_mul_f64 v[2:3], v[12:13], v[0:1]
	v_fma_f64 v[2:3], v[10:11], v[4:5], -v[2:3]
	v_mul_f64 v[10:11], v[10:11], v[0:1]
	s_waitcnt vmcnt(14)
	v_add_f64 v[2:3], v[20:21], -v[2:3]
	v_fma_f64 v[10:11], v[12:13], v[4:5], v[10:11]
	s_waitcnt vmcnt(12)
	v_add_f64 v[10:11], v[22:23], -v[10:11]
	buffer_store_dword v2, off, s[0:3], 0 offset:912
	buffer_store_dword v3, off, s[0:3], 0 offset:916
	buffer_store_dword v10, off, s[0:3], 0 offset:920
	buffer_store_dword v11, off, s[0:3], 0 offset:924
	ds_read2_b64 v[10:13], v16 offset0:116 offset1:117
	s_waitcnt lgkmcnt(0)
	v_mul_f64 v[2:3], v[12:13], v[0:1]
	v_fma_f64 v[2:3], v[10:11], v[4:5], -v[2:3]
	v_mul_f64 v[10:11], v[10:11], v[0:1]
	s_waitcnt vmcnt(14)
	v_add_f64 v[2:3], v[24:25], -v[2:3]
	v_fma_f64 v[10:11], v[12:13], v[4:5], v[10:11]
	s_waitcnt vmcnt(12)
	v_add_f64 v[10:11], v[26:27], -v[10:11]
	;; [unrolled: 14-line block ×3, first 2 shown]
	buffer_store_dword v3, off, s[0:3], 0 offset:948
	buffer_store_dword v2, off, s[0:3], 0 offset:944
	;; [unrolled: 1-line block ×4, first 2 shown]
	ds_read2_b64 v[10:13], v16 offset0:120 offset1:121
	s_waitcnt lgkmcnt(0)
	v_mul_f64 v[2:3], v[12:13], v[0:1]
	v_fma_f64 v[2:3], v[10:11], v[4:5], -v[2:3]
	v_mul_f64 v[10:11], v[10:11], v[0:1]
	v_fma_f64 v[10:11], v[12:13], v[4:5], v[10:11]
	buffer_load_dword v12, off, s[0:3], 0 offset:960
	buffer_load_dword v13, off, s[0:3], 0 offset:964
	;; [unrolled: 1-line block ×4, first 2 shown]
	s_waitcnt vmcnt(2)
	v_add_f64 v[2:3], v[12:13], -v[2:3]
	s_waitcnt vmcnt(0)
	v_add_f64 v[10:11], v[20:21], -v[10:11]
	buffer_store_dword v3, off, s[0:3], 0 offset:964
	buffer_store_dword v2, off, s[0:3], 0 offset:960
	;; [unrolled: 1-line block ×4, first 2 shown]
	ds_read2_b64 v[10:13], v16 offset0:122 offset1:123
	s_waitcnt lgkmcnt(0)
	v_mul_f64 v[2:3], v[12:13], v[0:1]
	v_fma_f64 v[2:3], v[10:11], v[4:5], -v[2:3]
	v_mul_f64 v[10:11], v[10:11], v[0:1]
	v_fma_f64 v[10:11], v[12:13], v[4:5], v[10:11]
	buffer_load_dword v12, off, s[0:3], 0 offset:976
	buffer_load_dword v13, off, s[0:3], 0 offset:980
	;; [unrolled: 1-line block ×4, first 2 shown]
	s_waitcnt vmcnt(2)
	v_add_f64 v[2:3], v[12:13], -v[2:3]
	s_waitcnt vmcnt(0)
	v_add_f64 v[10:11], v[20:21], -v[10:11]
	buffer_store_dword v3, off, s[0:3], 0 offset:980
	buffer_store_dword v2, off, s[0:3], 0 offset:976
	;; [unrolled: 1-line block ×4, first 2 shown]
	ds_read2_b64 v[10:13], v16 offset0:124 offset1:125
	s_waitcnt lgkmcnt(0)
	v_mul_f64 v[2:3], v[12:13], v[0:1]
	v_mul_f64 v[0:1], v[10:11], v[0:1]
	v_fma_f64 v[2:3], v[10:11], v[4:5], -v[2:3]
	v_fma_f64 v[0:1], v[12:13], v[4:5], v[0:1]
	buffer_load_dword v4, off, s[0:3], 0 offset:992
	buffer_load_dword v5, off, s[0:3], 0 offset:996
	;; [unrolled: 1-line block ×4, first 2 shown]
	s_waitcnt vmcnt(2)
	v_add_f64 v[2:3], v[4:5], -v[2:3]
	s_waitcnt vmcnt(0)
	v_add_f64 v[0:1], v[10:11], -v[0:1]
	buffer_store_dword v3, off, s[0:3], 0 offset:996
	buffer_store_dword v2, off, s[0:3], 0 offset:992
	;; [unrolled: 1-line block ×4, first 2 shown]
	ds_read2_b64 v[0:3], v16 offset0:126 offset1:127
	buffer_load_dword v4, off, s[0:3], 0 offset:896
	buffer_load_dword v5, off, s[0:3], 0 offset:900
	;; [unrolled: 1-line block ×4, first 2 shown]
	s_waitcnt vmcnt(0) lgkmcnt(0)
	v_mul_f64 v[12:13], v[2:3], v[10:11]
	v_fma_f64 v[12:13], v[0:1], v[4:5], -v[12:13]
	v_mul_f64 v[0:1], v[0:1], v[10:11]
	v_fma_f64 v[0:1], v[2:3], v[4:5], v[0:1]
	buffer_load_dword v3, off, s[0:3], 0 offset:1012
	buffer_load_dword v2, off, s[0:3], 0 offset:1008
	;; [unrolled: 1-line block ×4, first 2 shown]
	s_waitcnt vmcnt(2)
	v_add_f64 v[2:3], v[2:3], -v[12:13]
	s_waitcnt vmcnt(0)
	v_add_f64 v[0:1], v[4:5], -v[0:1]
	buffer_store_dword v3, off, s[0:3], 0 offset:1012
	buffer_store_dword v2, off, s[0:3], 0 offset:1008
	;; [unrolled: 1-line block ×4, first 2 shown]
.LBB126_1314:
	s_or_b64 exec, exec, s[4:5]
	v_mov_b32_e32 v3, s30
	s_waitcnt vmcnt(0)
	s_barrier
	buffer_load_dword v0, v3, s[0:3], 0 offen
	buffer_load_dword v1, v3, s[0:3], 0 offen offset:4
	buffer_load_dword v2, v3, s[0:3], 0 offen offset:8
	s_nop 0
	buffer_load_dword v3, v3, s[0:3], 0 offen offset:12
	v_lshl_add_u32 v4, v19, 4, v16
	s_cmp_lt_i32 s66, 59
	s_waitcnt vmcnt(0)
	ds_write2_b64 v4, v[0:1], v[2:3] offset1:1
	s_waitcnt lgkmcnt(0)
	s_barrier
	ds_read2_b64 v[0:3], v16 offset0:114 offset1:115
	v_mov_b32_e32 v4, 57
	s_cbranch_scc1 .LBB126_1317
; %bb.1315:
	v_add_u32_e32 v5, 0x3a0, v16
	s_mov_b32 s16, 58
	v_mov_b32_e32 v4, 57
.LBB126_1316:                           ; =>This Inner Loop Header: Depth=1
	s_waitcnt lgkmcnt(0)
	v_cmp_gt_f64_e32 vcc, 0, v[2:3]
	v_cmp_gt_f64_e64 s[4:5], 0, v[0:1]
	ds_read2_b64 v[10:13], v5 offset1:1
	v_xor_b32_e32 v21, 0x80000000, v1
	v_xor_b32_e32 v23, 0x80000000, v3
	v_mov_b32_e32 v20, v0
	v_mov_b32_e32 v22, v2
	s_waitcnt lgkmcnt(0)
	v_xor_b32_e32 v25, 0x80000000, v13
	v_cndmask_b32_e32 v23, v3, v23, vcc
	v_cndmask_b32_e64 v21, v1, v21, s[4:5]
	v_cmp_gt_f64_e32 vcc, 0, v[12:13]
	v_cmp_gt_f64_e64 s[4:5], 0, v[10:11]
	v_add_f64 v[20:21], v[20:21], v[22:23]
	v_xor_b32_e32 v23, 0x80000000, v11
	v_mov_b32_e32 v22, v10
	v_mov_b32_e32 v24, v12
	v_add_u32_e32 v5, 16, v5
	v_cndmask_b32_e32 v25, v13, v25, vcc
	v_cndmask_b32_e64 v23, v11, v23, s[4:5]
	v_add_f64 v[22:23], v[22:23], v[24:25]
	v_mov_b32_e32 v24, s16
	s_add_i32 s16, s16, 1
	s_cmp_lg_u32 s66, s16
	v_cmp_lt_f64_e32 vcc, v[20:21], v[22:23]
	v_cndmask_b32_e32 v1, v1, v11, vcc
	v_cndmask_b32_e32 v0, v0, v10, vcc
	v_cndmask_b32_e32 v3, v3, v13, vcc
	v_cndmask_b32_e32 v2, v2, v12, vcc
	v_cndmask_b32_e32 v4, v4, v24, vcc
	s_cbranch_scc1 .LBB126_1316
.LBB126_1317:
	s_waitcnt lgkmcnt(0)
	v_cmp_eq_f64_e32 vcc, 0, v[0:1]
	v_cmp_eq_f64_e64 s[4:5], 0, v[2:3]
	s_and_b64 s[4:5], vcc, s[4:5]
	s_and_saveexec_b64 s[16:17], s[4:5]
	s_xor_b64 s[4:5], exec, s[16:17]
; %bb.1318:
	v_cmp_ne_u32_e32 vcc, 0, v17
	v_cndmask_b32_e32 v17, 58, v17, vcc
; %bb.1319:
	s_andn2_saveexec_b64 s[4:5], s[4:5]
	s_cbranch_execz .LBB126_1325
; %bb.1320:
	v_cmp_ngt_f64_e64 s[16:17], |v[0:1]|, |v[2:3]|
	s_and_saveexec_b64 s[18:19], s[16:17]
	s_xor_b64 s[18:19], exec, s[18:19]
	s_cbranch_execz .LBB126_1322
; %bb.1321:
	v_div_scale_f64 v[10:11], s[16:17], v[2:3], v[2:3], v[0:1]
	v_rcp_f64_e32 v[12:13], v[10:11]
	v_fma_f64 v[20:21], -v[10:11], v[12:13], 1.0
	v_fma_f64 v[12:13], v[12:13], v[20:21], v[12:13]
	v_div_scale_f64 v[20:21], vcc, v[0:1], v[2:3], v[0:1]
	v_fma_f64 v[22:23], -v[10:11], v[12:13], 1.0
	v_fma_f64 v[12:13], v[12:13], v[22:23], v[12:13]
	v_mul_f64 v[22:23], v[20:21], v[12:13]
	v_fma_f64 v[10:11], -v[10:11], v[22:23], v[20:21]
	v_div_fmas_f64 v[10:11], v[10:11], v[12:13], v[22:23]
	v_div_fixup_f64 v[10:11], v[10:11], v[2:3], v[0:1]
	v_fma_f64 v[0:1], v[0:1], v[10:11], v[2:3]
	v_div_scale_f64 v[2:3], s[16:17], v[0:1], v[0:1], 1.0
	v_div_scale_f64 v[22:23], vcc, 1.0, v[0:1], 1.0
	v_rcp_f64_e32 v[12:13], v[2:3]
	v_fma_f64 v[20:21], -v[2:3], v[12:13], 1.0
	v_fma_f64 v[12:13], v[12:13], v[20:21], v[12:13]
	v_fma_f64 v[20:21], -v[2:3], v[12:13], 1.0
	v_fma_f64 v[12:13], v[12:13], v[20:21], v[12:13]
	v_mul_f64 v[20:21], v[22:23], v[12:13]
	v_fma_f64 v[2:3], -v[2:3], v[20:21], v[22:23]
	v_div_fmas_f64 v[2:3], v[2:3], v[12:13], v[20:21]
	v_div_fixup_f64 v[2:3], v[2:3], v[0:1], 1.0
	v_mul_f64 v[0:1], v[10:11], v[2:3]
	v_xor_b32_e32 v3, 0x80000000, v3
.LBB126_1322:
	s_andn2_saveexec_b64 s[18:19], s[18:19]
	s_cbranch_execz .LBB126_1324
; %bb.1323:
	v_div_scale_f64 v[10:11], s[16:17], v[0:1], v[0:1], v[2:3]
	v_rcp_f64_e32 v[12:13], v[10:11]
	v_fma_f64 v[20:21], -v[10:11], v[12:13], 1.0
	v_fma_f64 v[12:13], v[12:13], v[20:21], v[12:13]
	v_div_scale_f64 v[20:21], vcc, v[2:3], v[0:1], v[2:3]
	v_fma_f64 v[22:23], -v[10:11], v[12:13], 1.0
	v_fma_f64 v[12:13], v[12:13], v[22:23], v[12:13]
	v_mul_f64 v[22:23], v[20:21], v[12:13]
	v_fma_f64 v[10:11], -v[10:11], v[22:23], v[20:21]
	v_div_fmas_f64 v[10:11], v[10:11], v[12:13], v[22:23]
	v_div_fixup_f64 v[10:11], v[10:11], v[0:1], v[2:3]
	v_fma_f64 v[0:1], v[2:3], v[10:11], v[0:1]
	v_div_scale_f64 v[2:3], s[16:17], v[0:1], v[0:1], 1.0
	v_div_scale_f64 v[22:23], vcc, 1.0, v[0:1], 1.0
	v_rcp_f64_e32 v[12:13], v[2:3]
	v_fma_f64 v[20:21], -v[2:3], v[12:13], 1.0
	v_fma_f64 v[12:13], v[12:13], v[20:21], v[12:13]
	v_fma_f64 v[20:21], -v[2:3], v[12:13], 1.0
	v_fma_f64 v[12:13], v[12:13], v[20:21], v[12:13]
	v_mul_f64 v[20:21], v[22:23], v[12:13]
	v_fma_f64 v[2:3], -v[2:3], v[20:21], v[22:23]
	v_div_fmas_f64 v[2:3], v[2:3], v[12:13], v[20:21]
	v_div_fixup_f64 v[0:1], v[2:3], v[0:1], 1.0
	v_mul_f64 v[2:3], v[10:11], -v[0:1]
.LBB126_1324:
	s_or_b64 exec, exec, s[18:19]
.LBB126_1325:
	s_or_b64 exec, exec, s[4:5]
	v_cmp_ne_u32_e32 vcc, v19, v4
	s_and_saveexec_b64 s[4:5], vcc
	s_xor_b64 s[4:5], exec, s[4:5]
	s_cbranch_execz .LBB126_1331
; %bb.1326:
	v_cmp_eq_u32_e32 vcc, 57, v19
	s_and_saveexec_b64 s[18:19], vcc
	s_cbranch_execz .LBB126_1330
; %bb.1327:
	v_cmp_ne_u32_e32 vcc, 57, v4
	s_xor_b64 s[16:17], s[10:11], -1
	s_and_b64 s[16:17], s[16:17], vcc
	s_and_saveexec_b64 s[24:25], s[16:17]
	s_cbranch_execz .LBB126_1329
; %bb.1328:
	v_ashrrev_i32_e32 v5, 31, v4
	v_lshlrev_b64 v[10:11], 2, v[4:5]
	v_add_co_u32_e32 v10, vcc, v8, v10
	v_addc_co_u32_e32 v11, vcc, v9, v11, vcc
	global_load_dword v5, v[10:11], off
	global_load_dword v12, v[8:9], off offset:228
	s_waitcnt vmcnt(1)
	global_store_dword v[8:9], v5, off offset:228
	s_waitcnt vmcnt(1)
	global_store_dword v[10:11], v12, off
.LBB126_1329:
	s_or_b64 exec, exec, s[24:25]
	v_mov_b32_e32 v19, v4
	v_mov_b32_e32 v18, v4
.LBB126_1330:
	s_or_b64 exec, exec, s[18:19]
.LBB126_1331:
	s_andn2_saveexec_b64 s[4:5], s[4:5]
	s_cbranch_execz .LBB126_1333
; %bb.1332:
	v_mov_b32_e32 v11, s29
	v_mov_b32_e32 v20, s28
	;; [unrolled: 1-line block ×6, first 2 shown]
	buffer_load_dword v4, v11, s[0:3], 0 offen
	buffer_load_dword v5, v11, s[0:3], 0 offen offset:4
	buffer_load_dword v10, v11, s[0:3], 0 offen offset:8
	s_nop 0
	buffer_load_dword v11, v11, s[0:3], 0 offen offset:12
	s_nop 0
	buffer_load_dword v12, v20, s[0:3], 0 offen
	buffer_load_dword v13, v20, s[0:3], 0 offen offset:4
	buffer_load_dword v19, v20, s[0:3], 0 offen offset:8
	s_nop 0
	buffer_load_dword v20, v20, s[0:3], 0 offen offset:12
	s_nop 0
	;; [unrolled: 6-line block ×5, first 2 shown]
	buffer_load_dword v33, v36, s[0:3], 0 offen
	buffer_load_dword v34, v36, s[0:3], 0 offen offset:4
	buffer_load_dword v35, v36, s[0:3], 0 offen offset:8
	s_nop 0
	buffer_load_dword v36, v36, s[0:3], 0 offen offset:12
	s_waitcnt vmcnt(20)
	ds_write2_b64 v16, v[4:5], v[10:11] offset0:116 offset1:117
	s_waitcnt vmcnt(16)
	ds_write2_b64 v16, v[12:13], v[19:20] offset0:118 offset1:119
	;; [unrolled: 2-line block ×6, first 2 shown]
	v_mov_b32_e32 v19, 57
.LBB126_1333:
	s_or_b64 exec, exec, s[4:5]
	v_cmp_lt_i32_e32 vcc, 57, v19
	s_waitcnt vmcnt(0) lgkmcnt(0)
	s_barrier
	s_and_saveexec_b64 s[4:5], vcc
	s_cbranch_execz .LBB126_1335
; %bb.1334:
	buffer_load_dword v4, off, s[0:3], 0 offset:912
	buffer_load_dword v5, off, s[0:3], 0 offset:916
	;; [unrolled: 1-line block ×16, first 2 shown]
	s_waitcnt vmcnt(12)
	v_mul_f64 v[30:31], v[2:3], v[10:11]
	v_fma_f64 v[30:31], v[0:1], v[4:5], -v[30:31]
	v_mul_f64 v[0:1], v[0:1], v[10:11]
	v_fma_f64 v[4:5], v[2:3], v[4:5], v[0:1]
	buffer_store_dword v30, off, s[0:3], 0 offset:912
	buffer_store_dword v31, off, s[0:3], 0 offset:916
	buffer_store_dword v4, off, s[0:3], 0 offset:920
	buffer_store_dword v5, off, s[0:3], 0 offset:924
	ds_read2_b64 v[0:3], v16 offset0:116 offset1:117
	s_waitcnt lgkmcnt(0)
	v_mul_f64 v[10:11], v[2:3], v[4:5]
	v_fma_f64 v[10:11], v[0:1], v[30:31], -v[10:11]
	v_mul_f64 v[0:1], v[0:1], v[4:5]
	v_fma_f64 v[0:1], v[2:3], v[30:31], v[0:1]
	s_waitcnt vmcnt(14)
	v_add_f64 v[2:3], v[12:13], -v[10:11]
	s_waitcnt vmcnt(12)
	v_add_f64 v[0:1], v[20:21], -v[0:1]
	buffer_store_dword v2, off, s[0:3], 0 offset:928
	buffer_store_dword v3, off, s[0:3], 0 offset:932
	buffer_store_dword v0, off, s[0:3], 0 offset:936
	buffer_store_dword v1, off, s[0:3], 0 offset:940
	ds_read2_b64 v[0:3], v16 offset0:118 offset1:119
	s_waitcnt lgkmcnt(0)
	v_mul_f64 v[10:11], v[2:3], v[4:5]
	v_fma_f64 v[10:11], v[0:1], v[30:31], -v[10:11]
	v_mul_f64 v[0:1], v[0:1], v[4:5]
	v_fma_f64 v[0:1], v[2:3], v[30:31], v[0:1]
	s_waitcnt vmcnt(14)
	v_add_f64 v[2:3], v[22:23], -v[10:11]
	s_waitcnt vmcnt(12)
	v_add_f64 v[0:1], v[24:25], -v[0:1]
	;; [unrolled: 14-line block ×3, first 2 shown]
	buffer_store_dword v3, off, s[0:3], 0 offset:964
	buffer_store_dword v2, off, s[0:3], 0 offset:960
	buffer_store_dword v0, off, s[0:3], 0 offset:968
	buffer_store_dword v1, off, s[0:3], 0 offset:972
	ds_read2_b64 v[0:3], v16 offset0:122 offset1:123
	s_waitcnt lgkmcnt(0)
	v_mul_f64 v[10:11], v[2:3], v[4:5]
	v_fma_f64 v[10:11], v[0:1], v[30:31], -v[10:11]
	v_mul_f64 v[0:1], v[0:1], v[4:5]
	v_fma_f64 v[0:1], v[2:3], v[30:31], v[0:1]
	buffer_load_dword v2, off, s[0:3], 0 offset:976
	buffer_load_dword v3, off, s[0:3], 0 offset:980
	buffer_load_dword v12, off, s[0:3], 0 offset:984
	buffer_load_dword v13, off, s[0:3], 0 offset:988
	s_waitcnt vmcnt(2)
	v_add_f64 v[2:3], v[2:3], -v[10:11]
	s_waitcnt vmcnt(0)
	v_add_f64 v[0:1], v[12:13], -v[0:1]
	buffer_store_dword v3, off, s[0:3], 0 offset:980
	buffer_store_dword v2, off, s[0:3], 0 offset:976
	buffer_store_dword v1, off, s[0:3], 0 offset:988
	buffer_store_dword v0, off, s[0:3], 0 offset:984
	ds_read2_b64 v[0:3], v16 offset0:124 offset1:125
	s_waitcnt lgkmcnt(0)
	v_mul_f64 v[10:11], v[2:3], v[4:5]
	v_fma_f64 v[10:11], v[0:1], v[30:31], -v[10:11]
	v_mul_f64 v[0:1], v[0:1], v[4:5]
	v_fma_f64 v[0:1], v[2:3], v[30:31], v[0:1]
	buffer_load_dword v2, off, s[0:3], 0 offset:992
	buffer_load_dword v3, off, s[0:3], 0 offset:996
	buffer_load_dword v12, off, s[0:3], 0 offset:1000
	buffer_load_dword v13, off, s[0:3], 0 offset:1004
	s_waitcnt vmcnt(2)
	v_add_f64 v[2:3], v[2:3], -v[10:11]
	s_waitcnt vmcnt(0)
	v_add_f64 v[0:1], v[12:13], -v[0:1]
	;; [unrolled: 18-line block ×3, first 2 shown]
	buffer_store_dword v3, off, s[0:3], 0 offset:1012
	buffer_store_dword v2, off, s[0:3], 0 offset:1008
	;; [unrolled: 1-line block ×4, first 2 shown]
.LBB126_1335:
	s_or_b64 exec, exec, s[4:5]
	v_mov_b32_e32 v3, s29
	s_waitcnt vmcnt(0)
	s_barrier
	buffer_load_dword v0, v3, s[0:3], 0 offen
	buffer_load_dword v1, v3, s[0:3], 0 offen offset:4
	buffer_load_dword v2, v3, s[0:3], 0 offen offset:8
	s_nop 0
	buffer_load_dword v3, v3, s[0:3], 0 offen offset:12
	v_lshl_add_u32 v4, v19, 4, v16
	s_cmp_lt_i32 s66, 60
	s_waitcnt vmcnt(0)
	ds_write2_b64 v4, v[0:1], v[2:3] offset1:1
	s_waitcnt lgkmcnt(0)
	s_barrier
	ds_read2_b64 v[0:3], v16 offset0:116 offset1:117
	v_mov_b32_e32 v4, 58
	s_cbranch_scc1 .LBB126_1338
; %bb.1336:
	v_add_u32_e32 v5, 0x3b0, v16
	s_mov_b32 s16, 59
	v_mov_b32_e32 v4, 58
.LBB126_1337:                           ; =>This Inner Loop Header: Depth=1
	s_waitcnt lgkmcnt(0)
	v_cmp_gt_f64_e32 vcc, 0, v[2:3]
	v_cmp_gt_f64_e64 s[4:5], 0, v[0:1]
	ds_read2_b64 v[10:13], v5 offset1:1
	v_xor_b32_e32 v21, 0x80000000, v1
	v_xor_b32_e32 v23, 0x80000000, v3
	v_mov_b32_e32 v20, v0
	v_mov_b32_e32 v22, v2
	s_waitcnt lgkmcnt(0)
	v_xor_b32_e32 v25, 0x80000000, v13
	v_cndmask_b32_e32 v23, v3, v23, vcc
	v_cndmask_b32_e64 v21, v1, v21, s[4:5]
	v_cmp_gt_f64_e32 vcc, 0, v[12:13]
	v_cmp_gt_f64_e64 s[4:5], 0, v[10:11]
	v_add_f64 v[20:21], v[20:21], v[22:23]
	v_xor_b32_e32 v23, 0x80000000, v11
	v_mov_b32_e32 v22, v10
	v_mov_b32_e32 v24, v12
	v_add_u32_e32 v5, 16, v5
	v_cndmask_b32_e32 v25, v13, v25, vcc
	v_cndmask_b32_e64 v23, v11, v23, s[4:5]
	v_add_f64 v[22:23], v[22:23], v[24:25]
	v_mov_b32_e32 v24, s16
	s_add_i32 s16, s16, 1
	s_cmp_lg_u32 s66, s16
	v_cmp_lt_f64_e32 vcc, v[20:21], v[22:23]
	v_cndmask_b32_e32 v1, v1, v11, vcc
	v_cndmask_b32_e32 v0, v0, v10, vcc
	;; [unrolled: 1-line block ×5, first 2 shown]
	s_cbranch_scc1 .LBB126_1337
.LBB126_1338:
	s_waitcnt lgkmcnt(0)
	v_cmp_eq_f64_e32 vcc, 0, v[0:1]
	v_cmp_eq_f64_e64 s[4:5], 0, v[2:3]
	s_and_b64 s[4:5], vcc, s[4:5]
	s_and_saveexec_b64 s[16:17], s[4:5]
	s_xor_b64 s[4:5], exec, s[16:17]
; %bb.1339:
	v_cmp_ne_u32_e32 vcc, 0, v17
	v_cndmask_b32_e32 v17, 59, v17, vcc
; %bb.1340:
	s_andn2_saveexec_b64 s[4:5], s[4:5]
	s_cbranch_execz .LBB126_1346
; %bb.1341:
	v_cmp_ngt_f64_e64 s[16:17], |v[0:1]|, |v[2:3]|
	s_and_saveexec_b64 s[18:19], s[16:17]
	s_xor_b64 s[18:19], exec, s[18:19]
	s_cbranch_execz .LBB126_1343
; %bb.1342:
	v_div_scale_f64 v[10:11], s[16:17], v[2:3], v[2:3], v[0:1]
	v_rcp_f64_e32 v[12:13], v[10:11]
	v_fma_f64 v[20:21], -v[10:11], v[12:13], 1.0
	v_fma_f64 v[12:13], v[12:13], v[20:21], v[12:13]
	v_div_scale_f64 v[20:21], vcc, v[0:1], v[2:3], v[0:1]
	v_fma_f64 v[22:23], -v[10:11], v[12:13], 1.0
	v_fma_f64 v[12:13], v[12:13], v[22:23], v[12:13]
	v_mul_f64 v[22:23], v[20:21], v[12:13]
	v_fma_f64 v[10:11], -v[10:11], v[22:23], v[20:21]
	v_div_fmas_f64 v[10:11], v[10:11], v[12:13], v[22:23]
	v_div_fixup_f64 v[10:11], v[10:11], v[2:3], v[0:1]
	v_fma_f64 v[0:1], v[0:1], v[10:11], v[2:3]
	v_div_scale_f64 v[2:3], s[16:17], v[0:1], v[0:1], 1.0
	v_div_scale_f64 v[22:23], vcc, 1.0, v[0:1], 1.0
	v_rcp_f64_e32 v[12:13], v[2:3]
	v_fma_f64 v[20:21], -v[2:3], v[12:13], 1.0
	v_fma_f64 v[12:13], v[12:13], v[20:21], v[12:13]
	v_fma_f64 v[20:21], -v[2:3], v[12:13], 1.0
	v_fma_f64 v[12:13], v[12:13], v[20:21], v[12:13]
	v_mul_f64 v[20:21], v[22:23], v[12:13]
	v_fma_f64 v[2:3], -v[2:3], v[20:21], v[22:23]
	v_div_fmas_f64 v[2:3], v[2:3], v[12:13], v[20:21]
	v_div_fixup_f64 v[2:3], v[2:3], v[0:1], 1.0
	v_mul_f64 v[0:1], v[10:11], v[2:3]
	v_xor_b32_e32 v3, 0x80000000, v3
.LBB126_1343:
	s_andn2_saveexec_b64 s[18:19], s[18:19]
	s_cbranch_execz .LBB126_1345
; %bb.1344:
	v_div_scale_f64 v[10:11], s[16:17], v[0:1], v[0:1], v[2:3]
	v_rcp_f64_e32 v[12:13], v[10:11]
	v_fma_f64 v[20:21], -v[10:11], v[12:13], 1.0
	v_fma_f64 v[12:13], v[12:13], v[20:21], v[12:13]
	v_div_scale_f64 v[20:21], vcc, v[2:3], v[0:1], v[2:3]
	v_fma_f64 v[22:23], -v[10:11], v[12:13], 1.0
	v_fma_f64 v[12:13], v[12:13], v[22:23], v[12:13]
	v_mul_f64 v[22:23], v[20:21], v[12:13]
	v_fma_f64 v[10:11], -v[10:11], v[22:23], v[20:21]
	v_div_fmas_f64 v[10:11], v[10:11], v[12:13], v[22:23]
	v_div_fixup_f64 v[10:11], v[10:11], v[0:1], v[2:3]
	v_fma_f64 v[0:1], v[2:3], v[10:11], v[0:1]
	v_div_scale_f64 v[2:3], s[16:17], v[0:1], v[0:1], 1.0
	v_div_scale_f64 v[22:23], vcc, 1.0, v[0:1], 1.0
	v_rcp_f64_e32 v[12:13], v[2:3]
	v_fma_f64 v[20:21], -v[2:3], v[12:13], 1.0
	v_fma_f64 v[12:13], v[12:13], v[20:21], v[12:13]
	v_fma_f64 v[20:21], -v[2:3], v[12:13], 1.0
	v_fma_f64 v[12:13], v[12:13], v[20:21], v[12:13]
	v_mul_f64 v[20:21], v[22:23], v[12:13]
	v_fma_f64 v[2:3], -v[2:3], v[20:21], v[22:23]
	v_div_fmas_f64 v[2:3], v[2:3], v[12:13], v[20:21]
	v_div_fixup_f64 v[0:1], v[2:3], v[0:1], 1.0
	v_mul_f64 v[2:3], v[10:11], -v[0:1]
.LBB126_1345:
	s_or_b64 exec, exec, s[18:19]
.LBB126_1346:
	s_or_b64 exec, exec, s[4:5]
	v_cmp_ne_u32_e32 vcc, v19, v4
	s_and_saveexec_b64 s[4:5], vcc
	s_xor_b64 s[4:5], exec, s[4:5]
	s_cbranch_execz .LBB126_1352
; %bb.1347:
	v_cmp_eq_u32_e32 vcc, 58, v19
	s_and_saveexec_b64 s[18:19], vcc
	s_cbranch_execz .LBB126_1351
; %bb.1348:
	v_cmp_ne_u32_e32 vcc, 58, v4
	s_xor_b64 s[16:17], s[10:11], -1
	s_and_b64 s[16:17], s[16:17], vcc
	s_and_saveexec_b64 s[24:25], s[16:17]
	s_cbranch_execz .LBB126_1350
; %bb.1349:
	v_ashrrev_i32_e32 v5, 31, v4
	v_lshlrev_b64 v[10:11], 2, v[4:5]
	v_add_co_u32_e32 v10, vcc, v8, v10
	v_addc_co_u32_e32 v11, vcc, v9, v11, vcc
	global_load_dword v5, v[10:11], off
	global_load_dword v12, v[8:9], off offset:232
	s_waitcnt vmcnt(1)
	global_store_dword v[8:9], v5, off offset:232
	s_waitcnt vmcnt(1)
	global_store_dword v[10:11], v12, off
.LBB126_1350:
	s_or_b64 exec, exec, s[24:25]
	v_mov_b32_e32 v19, v4
	v_mov_b32_e32 v18, v4
.LBB126_1351:
	s_or_b64 exec, exec, s[18:19]
.LBB126_1352:
	s_andn2_saveexec_b64 s[4:5], s[4:5]
	s_cbranch_execz .LBB126_1354
; %bb.1353:
	v_mov_b32_e32 v11, s28
	v_mov_b32_e32 v20, s27
	;; [unrolled: 1-line block ×5, first 2 shown]
	buffer_load_dword v4, v11, s[0:3], 0 offen
	buffer_load_dword v5, v11, s[0:3], 0 offen offset:4
	buffer_load_dword v10, v11, s[0:3], 0 offen offset:8
	s_nop 0
	buffer_load_dword v11, v11, s[0:3], 0 offen offset:12
	s_nop 0
	buffer_load_dword v12, v20, s[0:3], 0 offen
	buffer_load_dword v13, v20, s[0:3], 0 offen offset:4
	buffer_load_dword v19, v20, s[0:3], 0 offen offset:8
	s_nop 0
	buffer_load_dword v20, v20, s[0:3], 0 offen offset:12
	s_nop 0
	;; [unrolled: 6-line block ×4, first 2 shown]
	buffer_load_dword v29, v32, s[0:3], 0 offen
	buffer_load_dword v30, v32, s[0:3], 0 offen offset:4
	buffer_load_dword v31, v32, s[0:3], 0 offen offset:8
	s_nop 0
	buffer_load_dword v32, v32, s[0:3], 0 offen offset:12
	s_waitcnt vmcnt(16)
	ds_write2_b64 v16, v[4:5], v[10:11] offset0:118 offset1:119
	s_waitcnt vmcnt(12)
	ds_write2_b64 v16, v[12:13], v[19:20] offset0:120 offset1:121
	;; [unrolled: 2-line block ×5, first 2 shown]
	v_mov_b32_e32 v19, 58
.LBB126_1354:
	s_or_b64 exec, exec, s[4:5]
	v_cmp_lt_i32_e32 vcc, 58, v19
	s_waitcnt vmcnt(0) lgkmcnt(0)
	s_barrier
	s_and_saveexec_b64 s[4:5], vcc
	s_cbranch_execz .LBB126_1356
; %bb.1355:
	buffer_load_dword v4, off, s[0:3], 0 offset:928
	buffer_load_dword v5, off, s[0:3], 0 offset:932
	;; [unrolled: 1-line block ×16, first 2 shown]
	s_waitcnt vmcnt(12)
	v_mul_f64 v[30:31], v[2:3], v[10:11]
	v_fma_f64 v[30:31], v[0:1], v[4:5], -v[30:31]
	v_mul_f64 v[0:1], v[0:1], v[10:11]
	v_fma_f64 v[4:5], v[2:3], v[4:5], v[0:1]
	buffer_store_dword v30, off, s[0:3], 0 offset:928
	buffer_store_dword v31, off, s[0:3], 0 offset:932
	buffer_store_dword v4, off, s[0:3], 0 offset:936
	buffer_store_dword v5, off, s[0:3], 0 offset:940
	ds_read2_b64 v[0:3], v16 offset0:118 offset1:119
	s_waitcnt lgkmcnt(0)
	v_mul_f64 v[10:11], v[2:3], v[4:5]
	v_fma_f64 v[10:11], v[0:1], v[30:31], -v[10:11]
	v_mul_f64 v[0:1], v[0:1], v[4:5]
	v_fma_f64 v[0:1], v[2:3], v[30:31], v[0:1]
	s_waitcnt vmcnt(14)
	v_add_f64 v[2:3], v[12:13], -v[10:11]
	s_waitcnt vmcnt(12)
	v_add_f64 v[0:1], v[20:21], -v[0:1]
	buffer_store_dword v2, off, s[0:3], 0 offset:944
	buffer_store_dword v3, off, s[0:3], 0 offset:948
	buffer_store_dword v0, off, s[0:3], 0 offset:952
	buffer_store_dword v1, off, s[0:3], 0 offset:956
	ds_read2_b64 v[0:3], v16 offset0:120 offset1:121
	s_waitcnt lgkmcnt(0)
	v_mul_f64 v[10:11], v[2:3], v[4:5]
	v_fma_f64 v[10:11], v[0:1], v[30:31], -v[10:11]
	v_mul_f64 v[0:1], v[0:1], v[4:5]
	v_fma_f64 v[0:1], v[2:3], v[30:31], v[0:1]
	s_waitcnt vmcnt(14)
	v_add_f64 v[2:3], v[22:23], -v[10:11]
	s_waitcnt vmcnt(12)
	v_add_f64 v[0:1], v[24:25], -v[0:1]
	;; [unrolled: 14-line block ×3, first 2 shown]
	buffer_store_dword v3, off, s[0:3], 0 offset:980
	buffer_store_dword v2, off, s[0:3], 0 offset:976
	;; [unrolled: 1-line block ×4, first 2 shown]
	ds_read2_b64 v[0:3], v16 offset0:124 offset1:125
	s_waitcnt lgkmcnt(0)
	v_mul_f64 v[10:11], v[2:3], v[4:5]
	v_fma_f64 v[10:11], v[0:1], v[30:31], -v[10:11]
	v_mul_f64 v[0:1], v[0:1], v[4:5]
	v_fma_f64 v[0:1], v[2:3], v[30:31], v[0:1]
	buffer_load_dword v2, off, s[0:3], 0 offset:992
	buffer_load_dword v3, off, s[0:3], 0 offset:996
	;; [unrolled: 1-line block ×4, first 2 shown]
	s_waitcnt vmcnt(2)
	v_add_f64 v[2:3], v[2:3], -v[10:11]
	s_waitcnt vmcnt(0)
	v_add_f64 v[0:1], v[12:13], -v[0:1]
	buffer_store_dword v3, off, s[0:3], 0 offset:996
	buffer_store_dword v2, off, s[0:3], 0 offset:992
	;; [unrolled: 1-line block ×4, first 2 shown]
	ds_read2_b64 v[0:3], v16 offset0:126 offset1:127
	s_waitcnt lgkmcnt(0)
	v_mul_f64 v[10:11], v[2:3], v[4:5]
	v_fma_f64 v[10:11], v[0:1], v[30:31], -v[10:11]
	v_mul_f64 v[0:1], v[0:1], v[4:5]
	v_fma_f64 v[0:1], v[2:3], v[30:31], v[0:1]
	buffer_load_dword v2, off, s[0:3], 0 offset:1008
	buffer_load_dword v3, off, s[0:3], 0 offset:1012
	;; [unrolled: 1-line block ×4, first 2 shown]
	s_waitcnt vmcnt(2)
	v_add_f64 v[2:3], v[2:3], -v[10:11]
	s_waitcnt vmcnt(0)
	v_add_f64 v[0:1], v[4:5], -v[0:1]
	buffer_store_dword v3, off, s[0:3], 0 offset:1012
	buffer_store_dword v2, off, s[0:3], 0 offset:1008
	;; [unrolled: 1-line block ×4, first 2 shown]
.LBB126_1356:
	s_or_b64 exec, exec, s[4:5]
	v_mov_b32_e32 v3, s28
	s_waitcnt vmcnt(0)
	s_barrier
	buffer_load_dword v0, v3, s[0:3], 0 offen
	buffer_load_dword v1, v3, s[0:3], 0 offen offset:4
	buffer_load_dword v2, v3, s[0:3], 0 offen offset:8
	s_nop 0
	buffer_load_dword v3, v3, s[0:3], 0 offen offset:12
	v_lshl_add_u32 v4, v19, 4, v16
	s_cmp_lt_i32 s66, 61
	s_waitcnt vmcnt(0)
	ds_write2_b64 v4, v[0:1], v[2:3] offset1:1
	s_waitcnt lgkmcnt(0)
	s_barrier
	ds_read2_b64 v[0:3], v16 offset0:118 offset1:119
	v_mov_b32_e32 v4, 59
	s_cbranch_scc1 .LBB126_1359
; %bb.1357:
	v_add_u32_e32 v5, 0x3c0, v16
	s_mov_b32 s16, 60
	v_mov_b32_e32 v4, 59
.LBB126_1358:                           ; =>This Inner Loop Header: Depth=1
	s_waitcnt lgkmcnt(0)
	v_cmp_gt_f64_e32 vcc, 0, v[2:3]
	v_cmp_gt_f64_e64 s[4:5], 0, v[0:1]
	ds_read2_b64 v[10:13], v5 offset1:1
	v_xor_b32_e32 v21, 0x80000000, v1
	v_xor_b32_e32 v23, 0x80000000, v3
	v_mov_b32_e32 v20, v0
	v_mov_b32_e32 v22, v2
	s_waitcnt lgkmcnt(0)
	v_xor_b32_e32 v25, 0x80000000, v13
	v_cndmask_b32_e32 v23, v3, v23, vcc
	v_cndmask_b32_e64 v21, v1, v21, s[4:5]
	v_cmp_gt_f64_e32 vcc, 0, v[12:13]
	v_cmp_gt_f64_e64 s[4:5], 0, v[10:11]
	v_add_f64 v[20:21], v[20:21], v[22:23]
	v_xor_b32_e32 v23, 0x80000000, v11
	v_mov_b32_e32 v22, v10
	v_mov_b32_e32 v24, v12
	v_add_u32_e32 v5, 16, v5
	v_cndmask_b32_e32 v25, v13, v25, vcc
	v_cndmask_b32_e64 v23, v11, v23, s[4:5]
	v_add_f64 v[22:23], v[22:23], v[24:25]
	v_mov_b32_e32 v24, s16
	s_add_i32 s16, s16, 1
	s_cmp_lg_u32 s66, s16
	v_cmp_lt_f64_e32 vcc, v[20:21], v[22:23]
	v_cndmask_b32_e32 v1, v1, v11, vcc
	v_cndmask_b32_e32 v0, v0, v10, vcc
	;; [unrolled: 1-line block ×5, first 2 shown]
	s_cbranch_scc1 .LBB126_1358
.LBB126_1359:
	s_waitcnt lgkmcnt(0)
	v_cmp_eq_f64_e32 vcc, 0, v[0:1]
	v_cmp_eq_f64_e64 s[4:5], 0, v[2:3]
	s_and_b64 s[4:5], vcc, s[4:5]
	s_and_saveexec_b64 s[16:17], s[4:5]
	s_xor_b64 s[4:5], exec, s[16:17]
; %bb.1360:
	v_cmp_ne_u32_e32 vcc, 0, v17
	v_cndmask_b32_e32 v17, 60, v17, vcc
; %bb.1361:
	s_andn2_saveexec_b64 s[4:5], s[4:5]
	s_cbranch_execz .LBB126_1367
; %bb.1362:
	v_cmp_ngt_f64_e64 s[16:17], |v[0:1]|, |v[2:3]|
	s_and_saveexec_b64 s[18:19], s[16:17]
	s_xor_b64 s[18:19], exec, s[18:19]
	s_cbranch_execz .LBB126_1364
; %bb.1363:
	v_div_scale_f64 v[10:11], s[16:17], v[2:3], v[2:3], v[0:1]
	v_rcp_f64_e32 v[12:13], v[10:11]
	v_fma_f64 v[20:21], -v[10:11], v[12:13], 1.0
	v_fma_f64 v[12:13], v[12:13], v[20:21], v[12:13]
	v_div_scale_f64 v[20:21], vcc, v[0:1], v[2:3], v[0:1]
	v_fma_f64 v[22:23], -v[10:11], v[12:13], 1.0
	v_fma_f64 v[12:13], v[12:13], v[22:23], v[12:13]
	v_mul_f64 v[22:23], v[20:21], v[12:13]
	v_fma_f64 v[10:11], -v[10:11], v[22:23], v[20:21]
	v_div_fmas_f64 v[10:11], v[10:11], v[12:13], v[22:23]
	v_div_fixup_f64 v[10:11], v[10:11], v[2:3], v[0:1]
	v_fma_f64 v[0:1], v[0:1], v[10:11], v[2:3]
	v_div_scale_f64 v[2:3], s[16:17], v[0:1], v[0:1], 1.0
	v_div_scale_f64 v[22:23], vcc, 1.0, v[0:1], 1.0
	v_rcp_f64_e32 v[12:13], v[2:3]
	v_fma_f64 v[20:21], -v[2:3], v[12:13], 1.0
	v_fma_f64 v[12:13], v[12:13], v[20:21], v[12:13]
	v_fma_f64 v[20:21], -v[2:3], v[12:13], 1.0
	v_fma_f64 v[12:13], v[12:13], v[20:21], v[12:13]
	v_mul_f64 v[20:21], v[22:23], v[12:13]
	v_fma_f64 v[2:3], -v[2:3], v[20:21], v[22:23]
	v_div_fmas_f64 v[2:3], v[2:3], v[12:13], v[20:21]
	v_div_fixup_f64 v[2:3], v[2:3], v[0:1], 1.0
	v_mul_f64 v[0:1], v[10:11], v[2:3]
	v_xor_b32_e32 v3, 0x80000000, v3
.LBB126_1364:
	s_andn2_saveexec_b64 s[18:19], s[18:19]
	s_cbranch_execz .LBB126_1366
; %bb.1365:
	v_div_scale_f64 v[10:11], s[16:17], v[0:1], v[0:1], v[2:3]
	v_rcp_f64_e32 v[12:13], v[10:11]
	v_fma_f64 v[20:21], -v[10:11], v[12:13], 1.0
	v_fma_f64 v[12:13], v[12:13], v[20:21], v[12:13]
	v_div_scale_f64 v[20:21], vcc, v[2:3], v[0:1], v[2:3]
	v_fma_f64 v[22:23], -v[10:11], v[12:13], 1.0
	v_fma_f64 v[12:13], v[12:13], v[22:23], v[12:13]
	v_mul_f64 v[22:23], v[20:21], v[12:13]
	v_fma_f64 v[10:11], -v[10:11], v[22:23], v[20:21]
	v_div_fmas_f64 v[10:11], v[10:11], v[12:13], v[22:23]
	v_div_fixup_f64 v[10:11], v[10:11], v[0:1], v[2:3]
	v_fma_f64 v[0:1], v[2:3], v[10:11], v[0:1]
	v_div_scale_f64 v[2:3], s[16:17], v[0:1], v[0:1], 1.0
	v_div_scale_f64 v[22:23], vcc, 1.0, v[0:1], 1.0
	v_rcp_f64_e32 v[12:13], v[2:3]
	v_fma_f64 v[20:21], -v[2:3], v[12:13], 1.0
	v_fma_f64 v[12:13], v[12:13], v[20:21], v[12:13]
	v_fma_f64 v[20:21], -v[2:3], v[12:13], 1.0
	v_fma_f64 v[12:13], v[12:13], v[20:21], v[12:13]
	v_mul_f64 v[20:21], v[22:23], v[12:13]
	v_fma_f64 v[2:3], -v[2:3], v[20:21], v[22:23]
	v_div_fmas_f64 v[2:3], v[2:3], v[12:13], v[20:21]
	v_div_fixup_f64 v[0:1], v[2:3], v[0:1], 1.0
	v_mul_f64 v[2:3], v[10:11], -v[0:1]
.LBB126_1366:
	s_or_b64 exec, exec, s[18:19]
.LBB126_1367:
	s_or_b64 exec, exec, s[4:5]
	v_cmp_ne_u32_e32 vcc, v19, v4
	s_and_saveexec_b64 s[4:5], vcc
	s_xor_b64 s[4:5], exec, s[4:5]
	s_cbranch_execz .LBB126_1373
; %bb.1368:
	v_cmp_eq_u32_e32 vcc, 59, v19
	s_and_saveexec_b64 s[18:19], vcc
	s_cbranch_execz .LBB126_1372
; %bb.1369:
	v_cmp_ne_u32_e32 vcc, 59, v4
	s_xor_b64 s[16:17], s[10:11], -1
	s_and_b64 s[16:17], s[16:17], vcc
	s_and_saveexec_b64 s[24:25], s[16:17]
	s_cbranch_execz .LBB126_1371
; %bb.1370:
	v_ashrrev_i32_e32 v5, 31, v4
	v_lshlrev_b64 v[10:11], 2, v[4:5]
	v_add_co_u32_e32 v10, vcc, v8, v10
	v_addc_co_u32_e32 v11, vcc, v9, v11, vcc
	global_load_dword v5, v[10:11], off
	global_load_dword v12, v[8:9], off offset:236
	s_waitcnt vmcnt(1)
	global_store_dword v[8:9], v5, off offset:236
	s_waitcnt vmcnt(1)
	global_store_dword v[10:11], v12, off
.LBB126_1371:
	s_or_b64 exec, exec, s[24:25]
	v_mov_b32_e32 v19, v4
	v_mov_b32_e32 v18, v4
.LBB126_1372:
	s_or_b64 exec, exec, s[18:19]
.LBB126_1373:
	s_andn2_saveexec_b64 s[4:5], s[4:5]
	s_cbranch_execz .LBB126_1375
; %bb.1374:
	v_mov_b32_e32 v11, s27
	v_mov_b32_e32 v20, s26
	;; [unrolled: 1-line block ×4, first 2 shown]
	buffer_load_dword v4, v11, s[0:3], 0 offen
	buffer_load_dword v5, v11, s[0:3], 0 offen offset:4
	buffer_load_dword v10, v11, s[0:3], 0 offen offset:8
	s_nop 0
	buffer_load_dword v11, v11, s[0:3], 0 offen offset:12
	s_nop 0
	buffer_load_dword v12, v20, s[0:3], 0 offen
	buffer_load_dword v13, v20, s[0:3], 0 offen offset:4
	buffer_load_dword v19, v20, s[0:3], 0 offen offset:8
	s_nop 0
	buffer_load_dword v20, v20, s[0:3], 0 offen offset:12
	s_nop 0
	;; [unrolled: 6-line block ×3, first 2 shown]
	buffer_load_dword v25, v28, s[0:3], 0 offen
	buffer_load_dword v26, v28, s[0:3], 0 offen offset:4
	buffer_load_dword v27, v28, s[0:3], 0 offen offset:8
	s_nop 0
	buffer_load_dword v28, v28, s[0:3], 0 offen offset:12
	s_waitcnt vmcnt(12)
	ds_write2_b64 v16, v[4:5], v[10:11] offset0:120 offset1:121
	s_waitcnt vmcnt(8)
	ds_write2_b64 v16, v[12:13], v[19:20] offset0:122 offset1:123
	;; [unrolled: 2-line block ×4, first 2 shown]
	v_mov_b32_e32 v19, 59
.LBB126_1375:
	s_or_b64 exec, exec, s[4:5]
	v_cmp_lt_i32_e32 vcc, 59, v19
	s_waitcnt vmcnt(0) lgkmcnt(0)
	s_barrier
	s_and_saveexec_b64 s[4:5], vcc
	s_cbranch_execz .LBB126_1377
; %bb.1376:
	buffer_load_dword v4, off, s[0:3], 0 offset:952
	buffer_load_dword v5, off, s[0:3], 0 offset:956
	;; [unrolled: 1-line block ×20, first 2 shown]
	s_waitcnt vmcnt(18)
	v_mul_f64 v[12:13], v[2:3], v[4:5]
	v_mul_f64 v[4:5], v[0:1], v[4:5]
	s_waitcnt vmcnt(16)
	v_fma_f64 v[44:45], v[0:1], v[10:11], -v[12:13]
	v_fma_f64 v[4:5], v[2:3], v[10:11], v[4:5]
	ds_read2_b64 v[0:3], v16 offset0:120 offset1:121
	ds_read2_b64 v[10:13], v16 offset0:122 offset1:123
	;; [unrolled: 1-line block ×4, first 2 shown]
	buffer_store_dword v44, off, s[0:3], 0 offset:944
	buffer_store_dword v45, off, s[0:3], 0 offset:948
	;; [unrolled: 1-line block ×4, first 2 shown]
	s_waitcnt lgkmcnt(3)
	v_mul_f64 v[46:47], v[2:3], v[4:5]
	v_mul_f64 v[48:49], v[0:1], v[4:5]
	s_waitcnt lgkmcnt(2)
	v_mul_f64 v[50:51], v[12:13], v[4:5]
	v_mul_f64 v[52:53], v[10:11], v[4:5]
	;; [unrolled: 3-line block ×4, first 2 shown]
	v_fma_f64 v[0:1], v[0:1], v[44:45], -v[46:47]
	v_fma_f64 v[2:3], v[2:3], v[44:45], v[48:49]
	v_fma_f64 v[10:11], v[10:11], v[44:45], -v[50:51]
	v_fma_f64 v[12:13], v[12:13], v[44:45], v[52:53]
	;; [unrolled: 2-line block ×4, first 2 shown]
	s_waitcnt vmcnt(18)
	v_add_f64 v[0:1], v[28:29], -v[0:1]
	s_waitcnt vmcnt(16)
	v_add_f64 v[2:3], v[30:31], -v[2:3]
	;; [unrolled: 2-line block ×8, first 2 shown]
	buffer_store_dword v0, off, s[0:3], 0 offset:960
	buffer_store_dword v1, off, s[0:3], 0 offset:964
	;; [unrolled: 1-line block ×16, first 2 shown]
.LBB126_1377:
	s_or_b64 exec, exec, s[4:5]
	v_mov_b32_e32 v3, s27
	s_waitcnt vmcnt(0)
	s_barrier
	buffer_load_dword v0, v3, s[0:3], 0 offen
	buffer_load_dword v1, v3, s[0:3], 0 offen offset:4
	buffer_load_dword v2, v3, s[0:3], 0 offen offset:8
	s_nop 0
	buffer_load_dword v3, v3, s[0:3], 0 offen offset:12
	v_lshl_add_u32 v4, v19, 4, v16
	s_cmp_lt_i32 s66, 62
	s_waitcnt vmcnt(0)
	ds_write2_b64 v4, v[0:1], v[2:3] offset1:1
	s_waitcnt lgkmcnt(0)
	s_barrier
	ds_read2_b64 v[0:3], v16 offset0:120 offset1:121
	v_mov_b32_e32 v4, 60
	s_cbranch_scc1 .LBB126_1380
; %bb.1378:
	v_add_u32_e32 v5, 0x3d0, v16
	s_mov_b32 s16, 61
	v_mov_b32_e32 v4, 60
.LBB126_1379:                           ; =>This Inner Loop Header: Depth=1
	s_waitcnt lgkmcnt(0)
	v_cmp_gt_f64_e32 vcc, 0, v[2:3]
	v_cmp_gt_f64_e64 s[4:5], 0, v[0:1]
	ds_read2_b64 v[10:13], v5 offset1:1
	v_xor_b32_e32 v21, 0x80000000, v1
	v_xor_b32_e32 v23, 0x80000000, v3
	v_mov_b32_e32 v20, v0
	v_mov_b32_e32 v22, v2
	s_waitcnt lgkmcnt(0)
	v_xor_b32_e32 v25, 0x80000000, v13
	v_cndmask_b32_e32 v23, v3, v23, vcc
	v_cndmask_b32_e64 v21, v1, v21, s[4:5]
	v_cmp_gt_f64_e32 vcc, 0, v[12:13]
	v_cmp_gt_f64_e64 s[4:5], 0, v[10:11]
	v_add_f64 v[20:21], v[20:21], v[22:23]
	v_xor_b32_e32 v23, 0x80000000, v11
	v_mov_b32_e32 v22, v10
	v_mov_b32_e32 v24, v12
	v_add_u32_e32 v5, 16, v5
	v_cndmask_b32_e32 v25, v13, v25, vcc
	v_cndmask_b32_e64 v23, v11, v23, s[4:5]
	v_add_f64 v[22:23], v[22:23], v[24:25]
	v_mov_b32_e32 v24, s16
	s_add_i32 s16, s16, 1
	s_cmp_lg_u32 s66, s16
	v_cmp_lt_f64_e32 vcc, v[20:21], v[22:23]
	v_cndmask_b32_e32 v1, v1, v11, vcc
	v_cndmask_b32_e32 v0, v0, v10, vcc
	;; [unrolled: 1-line block ×5, first 2 shown]
	s_cbranch_scc1 .LBB126_1379
.LBB126_1380:
	s_waitcnt lgkmcnt(0)
	v_cmp_eq_f64_e32 vcc, 0, v[0:1]
	v_cmp_eq_f64_e64 s[4:5], 0, v[2:3]
	s_and_b64 s[4:5], vcc, s[4:5]
	s_and_saveexec_b64 s[16:17], s[4:5]
	s_xor_b64 s[4:5], exec, s[16:17]
; %bb.1381:
	v_cmp_ne_u32_e32 vcc, 0, v17
	v_cndmask_b32_e32 v17, 61, v17, vcc
; %bb.1382:
	s_andn2_saveexec_b64 s[4:5], s[4:5]
	s_cbranch_execz .LBB126_1388
; %bb.1383:
	v_cmp_ngt_f64_e64 s[16:17], |v[0:1]|, |v[2:3]|
	s_and_saveexec_b64 s[18:19], s[16:17]
	s_xor_b64 s[18:19], exec, s[18:19]
	s_cbranch_execz .LBB126_1385
; %bb.1384:
	v_div_scale_f64 v[10:11], s[16:17], v[2:3], v[2:3], v[0:1]
	v_rcp_f64_e32 v[12:13], v[10:11]
	v_fma_f64 v[20:21], -v[10:11], v[12:13], 1.0
	v_fma_f64 v[12:13], v[12:13], v[20:21], v[12:13]
	v_div_scale_f64 v[20:21], vcc, v[0:1], v[2:3], v[0:1]
	v_fma_f64 v[22:23], -v[10:11], v[12:13], 1.0
	v_fma_f64 v[12:13], v[12:13], v[22:23], v[12:13]
	v_mul_f64 v[22:23], v[20:21], v[12:13]
	v_fma_f64 v[10:11], -v[10:11], v[22:23], v[20:21]
	v_div_fmas_f64 v[10:11], v[10:11], v[12:13], v[22:23]
	v_div_fixup_f64 v[10:11], v[10:11], v[2:3], v[0:1]
	v_fma_f64 v[0:1], v[0:1], v[10:11], v[2:3]
	v_div_scale_f64 v[2:3], s[16:17], v[0:1], v[0:1], 1.0
	v_div_scale_f64 v[22:23], vcc, 1.0, v[0:1], 1.0
	v_rcp_f64_e32 v[12:13], v[2:3]
	v_fma_f64 v[20:21], -v[2:3], v[12:13], 1.0
	v_fma_f64 v[12:13], v[12:13], v[20:21], v[12:13]
	v_fma_f64 v[20:21], -v[2:3], v[12:13], 1.0
	v_fma_f64 v[12:13], v[12:13], v[20:21], v[12:13]
	v_mul_f64 v[20:21], v[22:23], v[12:13]
	v_fma_f64 v[2:3], -v[2:3], v[20:21], v[22:23]
	v_div_fmas_f64 v[2:3], v[2:3], v[12:13], v[20:21]
	v_div_fixup_f64 v[2:3], v[2:3], v[0:1], 1.0
	v_mul_f64 v[0:1], v[10:11], v[2:3]
	v_xor_b32_e32 v3, 0x80000000, v3
.LBB126_1385:
	s_andn2_saveexec_b64 s[18:19], s[18:19]
	s_cbranch_execz .LBB126_1387
; %bb.1386:
	v_div_scale_f64 v[10:11], s[16:17], v[0:1], v[0:1], v[2:3]
	v_rcp_f64_e32 v[12:13], v[10:11]
	v_fma_f64 v[20:21], -v[10:11], v[12:13], 1.0
	v_fma_f64 v[12:13], v[12:13], v[20:21], v[12:13]
	v_div_scale_f64 v[20:21], vcc, v[2:3], v[0:1], v[2:3]
	v_fma_f64 v[22:23], -v[10:11], v[12:13], 1.0
	v_fma_f64 v[12:13], v[12:13], v[22:23], v[12:13]
	v_mul_f64 v[22:23], v[20:21], v[12:13]
	v_fma_f64 v[10:11], -v[10:11], v[22:23], v[20:21]
	v_div_fmas_f64 v[10:11], v[10:11], v[12:13], v[22:23]
	v_div_fixup_f64 v[10:11], v[10:11], v[0:1], v[2:3]
	v_fma_f64 v[0:1], v[2:3], v[10:11], v[0:1]
	v_div_scale_f64 v[2:3], s[16:17], v[0:1], v[0:1], 1.0
	v_div_scale_f64 v[22:23], vcc, 1.0, v[0:1], 1.0
	v_rcp_f64_e32 v[12:13], v[2:3]
	v_fma_f64 v[20:21], -v[2:3], v[12:13], 1.0
	v_fma_f64 v[12:13], v[12:13], v[20:21], v[12:13]
	v_fma_f64 v[20:21], -v[2:3], v[12:13], 1.0
	v_fma_f64 v[12:13], v[12:13], v[20:21], v[12:13]
	v_mul_f64 v[20:21], v[22:23], v[12:13]
	v_fma_f64 v[2:3], -v[2:3], v[20:21], v[22:23]
	v_div_fmas_f64 v[2:3], v[2:3], v[12:13], v[20:21]
	v_div_fixup_f64 v[0:1], v[2:3], v[0:1], 1.0
	v_mul_f64 v[2:3], v[10:11], -v[0:1]
.LBB126_1387:
	s_or_b64 exec, exec, s[18:19]
.LBB126_1388:
	s_or_b64 exec, exec, s[4:5]
	v_cmp_ne_u32_e32 vcc, v19, v4
	s_and_saveexec_b64 s[4:5], vcc
	s_xor_b64 s[4:5], exec, s[4:5]
	s_cbranch_execz .LBB126_1394
; %bb.1389:
	v_cmp_eq_u32_e32 vcc, 60, v19
	s_and_saveexec_b64 s[18:19], vcc
	s_cbranch_execz .LBB126_1393
; %bb.1390:
	v_cmp_ne_u32_e32 vcc, 60, v4
	s_xor_b64 s[16:17], s[10:11], -1
	s_and_b64 s[16:17], s[16:17], vcc
	s_and_saveexec_b64 s[24:25], s[16:17]
	s_cbranch_execz .LBB126_1392
; %bb.1391:
	v_ashrrev_i32_e32 v5, 31, v4
	v_lshlrev_b64 v[10:11], 2, v[4:5]
	v_add_co_u32_e32 v10, vcc, v8, v10
	v_addc_co_u32_e32 v11, vcc, v9, v11, vcc
	global_load_dword v5, v[10:11], off
	global_load_dword v12, v[8:9], off offset:240
	s_waitcnt vmcnt(1)
	global_store_dword v[8:9], v5, off offset:240
	s_waitcnt vmcnt(1)
	global_store_dword v[10:11], v12, off
.LBB126_1392:
	s_or_b64 exec, exec, s[24:25]
	v_mov_b32_e32 v19, v4
	v_mov_b32_e32 v18, v4
.LBB126_1393:
	s_or_b64 exec, exec, s[18:19]
.LBB126_1394:
	s_andn2_saveexec_b64 s[4:5], s[4:5]
	s_cbranch_execz .LBB126_1396
; %bb.1395:
	v_mov_b32_e32 v11, s26
	v_mov_b32_e32 v20, s20
	;; [unrolled: 1-line block ×3, first 2 shown]
	buffer_load_dword v4, v11, s[0:3], 0 offen
	buffer_load_dword v5, v11, s[0:3], 0 offen offset:4
	buffer_load_dword v10, v11, s[0:3], 0 offen offset:8
	s_nop 0
	buffer_load_dword v11, v11, s[0:3], 0 offen offset:12
	s_nop 0
	buffer_load_dword v12, v20, s[0:3], 0 offen
	buffer_load_dword v13, v20, s[0:3], 0 offen offset:4
	buffer_load_dword v19, v20, s[0:3], 0 offen offset:8
	s_nop 0
	buffer_load_dword v20, v20, s[0:3], 0 offen offset:12
	s_nop 0
	buffer_load_dword v21, v24, s[0:3], 0 offen
	buffer_load_dword v22, v24, s[0:3], 0 offen offset:4
	buffer_load_dword v23, v24, s[0:3], 0 offen offset:8
	s_nop 0
	buffer_load_dword v24, v24, s[0:3], 0 offen offset:12
	s_waitcnt vmcnt(8)
	ds_write2_b64 v16, v[4:5], v[10:11] offset0:122 offset1:123
	s_waitcnt vmcnt(4)
	ds_write2_b64 v16, v[12:13], v[19:20] offset0:124 offset1:125
	;; [unrolled: 2-line block ×3, first 2 shown]
	v_mov_b32_e32 v19, 60
.LBB126_1396:
	s_or_b64 exec, exec, s[4:5]
	v_cmp_lt_i32_e32 vcc, 60, v19
	s_waitcnt vmcnt(0) lgkmcnt(0)
	s_barrier
	s_and_saveexec_b64 s[4:5], vcc
	s_cbranch_execz .LBB126_1398
; %bb.1397:
	buffer_load_dword v4, off, s[0:3], 0 offset:968
	buffer_load_dword v5, off, s[0:3], 0 offset:972
	;; [unrolled: 1-line block ×16, first 2 shown]
	s_waitcnt vmcnt(14)
	v_mul_f64 v[10:11], v[0:1], v[4:5]
	v_mul_f64 v[22:23], v[2:3], v[4:5]
	s_waitcnt vmcnt(12)
	v_fma_f64 v[36:37], v[2:3], v[20:21], v[10:11]
	ds_read2_b64 v[2:5], v16 offset0:122 offset1:123
	ds_read2_b64 v[10:13], v16 offset0:124 offset1:125
	v_fma_f64 v[0:1], v[0:1], v[20:21], -v[22:23]
	ds_read2_b64 v[20:23], v16 offset0:126 offset1:127
	s_waitcnt lgkmcnt(2)
	v_mul_f64 v[38:39], v[4:5], v[36:37]
	v_mul_f64 v[40:41], v[2:3], v[36:37]
	s_waitcnt lgkmcnt(1)
	v_mul_f64 v[42:43], v[12:13], v[36:37]
	v_mul_f64 v[44:45], v[10:11], v[36:37]
	s_waitcnt lgkmcnt(0)
	v_mul_f64 v[46:47], v[22:23], v[36:37]
	v_mul_f64 v[48:49], v[20:21], v[36:37]
	buffer_store_dword v0, off, s[0:3], 0 offset:960
	buffer_store_dword v1, off, s[0:3], 0 offset:964
	v_fma_f64 v[2:3], v[2:3], v[0:1], -v[38:39]
	v_fma_f64 v[4:5], v[4:5], v[0:1], v[40:41]
	v_fma_f64 v[10:11], v[10:11], v[0:1], -v[42:43]
	v_fma_f64 v[12:13], v[12:13], v[0:1], v[44:45]
	;; [unrolled: 2-line block ×3, first 2 shown]
	buffer_store_dword v36, off, s[0:3], 0 offset:968
	buffer_store_dword v37, off, s[0:3], 0 offset:972
	s_waitcnt vmcnt(14)
	v_add_f64 v[2:3], v[24:25], -v[2:3]
	s_waitcnt vmcnt(12)
	v_add_f64 v[4:5], v[26:27], -v[4:5]
	;; [unrolled: 2-line block ×6, first 2 shown]
	buffer_store_dword v2, off, s[0:3], 0 offset:976
	buffer_store_dword v3, off, s[0:3], 0 offset:980
	;; [unrolled: 1-line block ×12, first 2 shown]
.LBB126_1398:
	s_or_b64 exec, exec, s[4:5]
	v_mov_b32_e32 v3, s26
	s_waitcnt vmcnt(0)
	s_barrier
	buffer_load_dword v0, v3, s[0:3], 0 offen
	buffer_load_dword v1, v3, s[0:3], 0 offen offset:4
	buffer_load_dword v2, v3, s[0:3], 0 offen offset:8
	s_nop 0
	buffer_load_dword v3, v3, s[0:3], 0 offen offset:12
	v_lshl_add_u32 v4, v19, 4, v16
	s_cmp_lt_i32 s66, 63
	s_waitcnt vmcnt(0)
	ds_write2_b64 v4, v[0:1], v[2:3] offset1:1
	s_waitcnt lgkmcnt(0)
	s_barrier
	ds_read2_b64 v[0:3], v16 offset0:122 offset1:123
	v_mov_b32_e32 v4, 61
	s_cbranch_scc1 .LBB126_1401
; %bb.1399:
	v_add_u32_e32 v5, 0x3e0, v16
	s_mov_b32 s16, 62
	v_mov_b32_e32 v4, 61
.LBB126_1400:                           ; =>This Inner Loop Header: Depth=1
	s_waitcnt lgkmcnt(0)
	v_cmp_gt_f64_e32 vcc, 0, v[2:3]
	v_cmp_gt_f64_e64 s[4:5], 0, v[0:1]
	ds_read2_b64 v[10:13], v5 offset1:1
	v_xor_b32_e32 v21, 0x80000000, v1
	v_xor_b32_e32 v23, 0x80000000, v3
	v_mov_b32_e32 v20, v0
	v_mov_b32_e32 v22, v2
	s_waitcnt lgkmcnt(0)
	v_xor_b32_e32 v25, 0x80000000, v13
	v_cndmask_b32_e32 v23, v3, v23, vcc
	v_cndmask_b32_e64 v21, v1, v21, s[4:5]
	v_cmp_gt_f64_e32 vcc, 0, v[12:13]
	v_cmp_gt_f64_e64 s[4:5], 0, v[10:11]
	v_add_f64 v[20:21], v[20:21], v[22:23]
	v_xor_b32_e32 v23, 0x80000000, v11
	v_mov_b32_e32 v22, v10
	v_mov_b32_e32 v24, v12
	v_add_u32_e32 v5, 16, v5
	v_cndmask_b32_e32 v25, v13, v25, vcc
	v_cndmask_b32_e64 v23, v11, v23, s[4:5]
	v_add_f64 v[22:23], v[22:23], v[24:25]
	v_mov_b32_e32 v24, s16
	s_add_i32 s16, s16, 1
	s_cmp_lg_u32 s66, s16
	v_cmp_lt_f64_e32 vcc, v[20:21], v[22:23]
	v_cndmask_b32_e32 v1, v1, v11, vcc
	v_cndmask_b32_e32 v0, v0, v10, vcc
	;; [unrolled: 1-line block ×5, first 2 shown]
	s_cbranch_scc1 .LBB126_1400
.LBB126_1401:
	s_waitcnt lgkmcnt(0)
	v_cmp_eq_f64_e32 vcc, 0, v[0:1]
	v_cmp_eq_f64_e64 s[4:5], 0, v[2:3]
	s_and_b64 s[4:5], vcc, s[4:5]
	s_and_saveexec_b64 s[16:17], s[4:5]
	s_xor_b64 s[4:5], exec, s[16:17]
; %bb.1402:
	v_cmp_ne_u32_e32 vcc, 0, v17
	v_cndmask_b32_e32 v17, 62, v17, vcc
; %bb.1403:
	s_andn2_saveexec_b64 s[4:5], s[4:5]
	s_cbranch_execz .LBB126_1409
; %bb.1404:
	v_cmp_ngt_f64_e64 s[16:17], |v[0:1]|, |v[2:3]|
	s_and_saveexec_b64 s[18:19], s[16:17]
	s_xor_b64 s[18:19], exec, s[18:19]
	s_cbranch_execz .LBB126_1406
; %bb.1405:
	v_div_scale_f64 v[10:11], s[16:17], v[2:3], v[2:3], v[0:1]
	v_rcp_f64_e32 v[12:13], v[10:11]
	v_fma_f64 v[20:21], -v[10:11], v[12:13], 1.0
	v_fma_f64 v[12:13], v[12:13], v[20:21], v[12:13]
	v_div_scale_f64 v[20:21], vcc, v[0:1], v[2:3], v[0:1]
	v_fma_f64 v[22:23], -v[10:11], v[12:13], 1.0
	v_fma_f64 v[12:13], v[12:13], v[22:23], v[12:13]
	v_mul_f64 v[22:23], v[20:21], v[12:13]
	v_fma_f64 v[10:11], -v[10:11], v[22:23], v[20:21]
	v_div_fmas_f64 v[10:11], v[10:11], v[12:13], v[22:23]
	v_div_fixup_f64 v[10:11], v[10:11], v[2:3], v[0:1]
	v_fma_f64 v[0:1], v[0:1], v[10:11], v[2:3]
	v_div_scale_f64 v[2:3], s[16:17], v[0:1], v[0:1], 1.0
	v_div_scale_f64 v[22:23], vcc, 1.0, v[0:1], 1.0
	v_rcp_f64_e32 v[12:13], v[2:3]
	v_fma_f64 v[20:21], -v[2:3], v[12:13], 1.0
	v_fma_f64 v[12:13], v[12:13], v[20:21], v[12:13]
	v_fma_f64 v[20:21], -v[2:3], v[12:13], 1.0
	v_fma_f64 v[12:13], v[12:13], v[20:21], v[12:13]
	v_mul_f64 v[20:21], v[22:23], v[12:13]
	v_fma_f64 v[2:3], -v[2:3], v[20:21], v[22:23]
	v_div_fmas_f64 v[2:3], v[2:3], v[12:13], v[20:21]
	v_div_fixup_f64 v[2:3], v[2:3], v[0:1], 1.0
	v_mul_f64 v[0:1], v[10:11], v[2:3]
	v_xor_b32_e32 v3, 0x80000000, v3
.LBB126_1406:
	s_andn2_saveexec_b64 s[18:19], s[18:19]
	s_cbranch_execz .LBB126_1408
; %bb.1407:
	v_div_scale_f64 v[10:11], s[16:17], v[0:1], v[0:1], v[2:3]
	v_rcp_f64_e32 v[12:13], v[10:11]
	v_fma_f64 v[20:21], -v[10:11], v[12:13], 1.0
	v_fma_f64 v[12:13], v[12:13], v[20:21], v[12:13]
	v_div_scale_f64 v[20:21], vcc, v[2:3], v[0:1], v[2:3]
	v_fma_f64 v[22:23], -v[10:11], v[12:13], 1.0
	v_fma_f64 v[12:13], v[12:13], v[22:23], v[12:13]
	v_mul_f64 v[22:23], v[20:21], v[12:13]
	v_fma_f64 v[10:11], -v[10:11], v[22:23], v[20:21]
	v_div_fmas_f64 v[10:11], v[10:11], v[12:13], v[22:23]
	v_div_fixup_f64 v[10:11], v[10:11], v[0:1], v[2:3]
	v_fma_f64 v[0:1], v[2:3], v[10:11], v[0:1]
	v_div_scale_f64 v[2:3], s[16:17], v[0:1], v[0:1], 1.0
	v_div_scale_f64 v[22:23], vcc, 1.0, v[0:1], 1.0
	v_rcp_f64_e32 v[12:13], v[2:3]
	v_fma_f64 v[20:21], -v[2:3], v[12:13], 1.0
	v_fma_f64 v[12:13], v[12:13], v[20:21], v[12:13]
	v_fma_f64 v[20:21], -v[2:3], v[12:13], 1.0
	v_fma_f64 v[12:13], v[12:13], v[20:21], v[12:13]
	v_mul_f64 v[20:21], v[22:23], v[12:13]
	v_fma_f64 v[2:3], -v[2:3], v[20:21], v[22:23]
	v_div_fmas_f64 v[2:3], v[2:3], v[12:13], v[20:21]
	v_div_fixup_f64 v[0:1], v[2:3], v[0:1], 1.0
	v_mul_f64 v[2:3], v[10:11], -v[0:1]
.LBB126_1408:
	s_or_b64 exec, exec, s[18:19]
.LBB126_1409:
	s_or_b64 exec, exec, s[4:5]
	v_cmp_ne_u32_e32 vcc, v19, v4
	s_and_saveexec_b64 s[4:5], vcc
	s_xor_b64 s[4:5], exec, s[4:5]
	s_cbranch_execz .LBB126_1415
; %bb.1410:
	v_cmp_eq_u32_e32 vcc, 61, v19
	s_and_saveexec_b64 s[18:19], vcc
	s_cbranch_execz .LBB126_1414
; %bb.1411:
	v_cmp_ne_u32_e32 vcc, 61, v4
	s_xor_b64 s[16:17], s[10:11], -1
	s_and_b64 s[16:17], s[16:17], vcc
	s_and_saveexec_b64 s[24:25], s[16:17]
	s_cbranch_execz .LBB126_1413
; %bb.1412:
	v_ashrrev_i32_e32 v5, 31, v4
	v_lshlrev_b64 v[10:11], 2, v[4:5]
	v_add_co_u32_e32 v10, vcc, v8, v10
	v_addc_co_u32_e32 v11, vcc, v9, v11, vcc
	global_load_dword v5, v[10:11], off
	global_load_dword v12, v[8:9], off offset:244
	s_waitcnt vmcnt(1)
	global_store_dword v[8:9], v5, off offset:244
	s_waitcnt vmcnt(1)
	global_store_dword v[10:11], v12, off
.LBB126_1413:
	s_or_b64 exec, exec, s[24:25]
	v_mov_b32_e32 v19, v4
	v_mov_b32_e32 v18, v4
.LBB126_1414:
	s_or_b64 exec, exec, s[18:19]
.LBB126_1415:
	s_andn2_saveexec_b64 s[4:5], s[4:5]
	s_cbranch_execz .LBB126_1417
; %bb.1416:
	v_mov_b32_e32 v11, s20
	v_mov_b32_e32 v20, s7
	buffer_load_dword v4, v11, s[0:3], 0 offen
	buffer_load_dword v5, v11, s[0:3], 0 offen offset:4
	buffer_load_dword v10, v11, s[0:3], 0 offen offset:8
	s_nop 0
	buffer_load_dword v11, v11, s[0:3], 0 offen offset:12
	s_nop 0
	buffer_load_dword v12, v20, s[0:3], 0 offen
	buffer_load_dword v13, v20, s[0:3], 0 offen offset:4
	buffer_load_dword v19, v20, s[0:3], 0 offen offset:8
	s_nop 0
	buffer_load_dword v20, v20, s[0:3], 0 offen offset:12
	s_waitcnt vmcnt(4)
	ds_write2_b64 v16, v[4:5], v[10:11] offset0:124 offset1:125
	s_waitcnt vmcnt(0)
	ds_write2_b64 v16, v[12:13], v[19:20] offset0:126 offset1:127
	v_mov_b32_e32 v19, 61
.LBB126_1417:
	s_or_b64 exec, exec, s[4:5]
	v_cmp_lt_i32_e32 vcc, 61, v19
	s_waitcnt vmcnt(0) lgkmcnt(0)
	s_barrier
	s_and_saveexec_b64 s[4:5], vcc
	s_cbranch_execz .LBB126_1419
; %bb.1418:
	buffer_load_dword v4, off, s[0:3], 0 offset:984
	buffer_load_dword v5, off, s[0:3], 0 offset:988
	;; [unrolled: 1-line block ×12, first 2 shown]
	s_waitcnt vmcnt(10)
	v_mul_f64 v[10:11], v[0:1], v[4:5]
	v_mul_f64 v[30:31], v[2:3], v[4:5]
	s_waitcnt vmcnt(8)
	v_fma_f64 v[32:33], v[2:3], v[20:21], v[10:11]
	ds_read2_b64 v[2:5], v16 offset0:124 offset1:125
	ds_read2_b64 v[10:13], v16 offset0:126 offset1:127
	v_fma_f64 v[0:1], v[0:1], v[20:21], -v[30:31]
	s_waitcnt lgkmcnt(1)
	v_mul_f64 v[20:21], v[4:5], v[32:33]
	v_mul_f64 v[30:31], v[2:3], v[32:33]
	s_waitcnt lgkmcnt(0)
	v_mul_f64 v[34:35], v[12:13], v[32:33]
	v_mul_f64 v[36:37], v[10:11], v[32:33]
	buffer_store_dword v0, off, s[0:3], 0 offset:976
	buffer_store_dword v1, off, s[0:3], 0 offset:980
	;; [unrolled: 1-line block ×3, first 2 shown]
	v_fma_f64 v[2:3], v[2:3], v[0:1], -v[20:21]
	v_fma_f64 v[4:5], v[4:5], v[0:1], v[30:31]
	v_fma_f64 v[10:11], v[10:11], v[0:1], -v[34:35]
	v_fma_f64 v[12:13], v[12:13], v[0:1], v[36:37]
	s_waitcnt vmcnt(9)
	v_add_f64 v[2:3], v[22:23], -v[2:3]
	s_waitcnt vmcnt(7)
	v_add_f64 v[4:5], v[24:25], -v[4:5]
	;; [unrolled: 2-line block ×4, first 2 shown]
	buffer_store_dword v33, off, s[0:3], 0 offset:988
	buffer_store_dword v2, off, s[0:3], 0 offset:992
	;; [unrolled: 1-line block ×9, first 2 shown]
.LBB126_1419:
	s_or_b64 exec, exec, s[4:5]
	v_mov_b32_e32 v3, s20
	s_waitcnt vmcnt(0)
	s_barrier
	buffer_load_dword v0, v3, s[0:3], 0 offen
	buffer_load_dword v1, v3, s[0:3], 0 offen offset:4
	buffer_load_dword v2, v3, s[0:3], 0 offen offset:8
	s_nop 0
	buffer_load_dword v3, v3, s[0:3], 0 offen offset:12
	v_lshl_add_u32 v4, v19, 4, v16
	s_cmp_lt_i32 s66, 64
	s_waitcnt vmcnt(0)
	ds_write2_b64 v4, v[0:1], v[2:3] offset1:1
	s_waitcnt lgkmcnt(0)
	s_barrier
	ds_read2_b64 v[0:3], v16 offset0:124 offset1:125
	v_mov_b32_e32 v4, 62
	s_cbranch_scc1 .LBB126_1422
; %bb.1420:
	v_add_u32_e32 v5, 0x3f0, v16
	s_mov_b32 s16, 63
	v_mov_b32_e32 v4, 62
.LBB126_1421:                           ; =>This Inner Loop Header: Depth=1
	s_waitcnt lgkmcnt(0)
	v_cmp_gt_f64_e32 vcc, 0, v[2:3]
	v_cmp_gt_f64_e64 s[4:5], 0, v[0:1]
	ds_read2_b64 v[10:13], v5 offset1:1
	v_xor_b32_e32 v21, 0x80000000, v1
	v_xor_b32_e32 v23, 0x80000000, v3
	v_mov_b32_e32 v20, v0
	v_mov_b32_e32 v22, v2
	s_waitcnt lgkmcnt(0)
	v_xor_b32_e32 v25, 0x80000000, v13
	v_cndmask_b32_e32 v23, v3, v23, vcc
	v_cndmask_b32_e64 v21, v1, v21, s[4:5]
	v_cmp_gt_f64_e32 vcc, 0, v[12:13]
	v_cmp_gt_f64_e64 s[4:5], 0, v[10:11]
	v_add_f64 v[20:21], v[20:21], v[22:23]
	v_xor_b32_e32 v23, 0x80000000, v11
	v_mov_b32_e32 v22, v10
	v_mov_b32_e32 v24, v12
	v_add_u32_e32 v5, 16, v5
	v_cndmask_b32_e32 v25, v13, v25, vcc
	v_cndmask_b32_e64 v23, v11, v23, s[4:5]
	v_add_f64 v[22:23], v[22:23], v[24:25]
	v_mov_b32_e32 v24, s16
	s_add_i32 s16, s16, 1
	s_cmp_lg_u32 s66, s16
	v_cmp_lt_f64_e32 vcc, v[20:21], v[22:23]
	v_cndmask_b32_e32 v1, v1, v11, vcc
	v_cndmask_b32_e32 v0, v0, v10, vcc
	v_cndmask_b32_e32 v3, v3, v13, vcc
	v_cndmask_b32_e32 v2, v2, v12, vcc
	v_cndmask_b32_e32 v4, v4, v24, vcc
	s_cbranch_scc1 .LBB126_1421
.LBB126_1422:
	s_waitcnt lgkmcnt(0)
	v_cmp_eq_f64_e32 vcc, 0, v[0:1]
	v_cmp_eq_f64_e64 s[4:5], 0, v[2:3]
	s_and_b64 s[4:5], vcc, s[4:5]
	s_and_saveexec_b64 s[16:17], s[4:5]
	s_xor_b64 s[4:5], exec, s[16:17]
; %bb.1423:
	v_cmp_ne_u32_e32 vcc, 0, v17
	v_cndmask_b32_e32 v17, 63, v17, vcc
; %bb.1424:
	s_andn2_saveexec_b64 s[4:5], s[4:5]
	s_cbranch_execz .LBB126_1430
; %bb.1425:
	v_cmp_ngt_f64_e64 s[16:17], |v[0:1]|, |v[2:3]|
	s_and_saveexec_b64 s[18:19], s[16:17]
	s_xor_b64 s[18:19], exec, s[18:19]
	s_cbranch_execz .LBB126_1427
; %bb.1426:
	v_div_scale_f64 v[10:11], s[16:17], v[2:3], v[2:3], v[0:1]
	v_rcp_f64_e32 v[12:13], v[10:11]
	v_fma_f64 v[20:21], -v[10:11], v[12:13], 1.0
	v_fma_f64 v[12:13], v[12:13], v[20:21], v[12:13]
	v_div_scale_f64 v[20:21], vcc, v[0:1], v[2:3], v[0:1]
	v_fma_f64 v[22:23], -v[10:11], v[12:13], 1.0
	v_fma_f64 v[12:13], v[12:13], v[22:23], v[12:13]
	v_mul_f64 v[22:23], v[20:21], v[12:13]
	v_fma_f64 v[10:11], -v[10:11], v[22:23], v[20:21]
	v_div_fmas_f64 v[10:11], v[10:11], v[12:13], v[22:23]
	v_div_fixup_f64 v[10:11], v[10:11], v[2:3], v[0:1]
	v_fma_f64 v[0:1], v[0:1], v[10:11], v[2:3]
	v_div_scale_f64 v[2:3], s[16:17], v[0:1], v[0:1], 1.0
	v_div_scale_f64 v[22:23], vcc, 1.0, v[0:1], 1.0
	v_rcp_f64_e32 v[12:13], v[2:3]
	v_fma_f64 v[20:21], -v[2:3], v[12:13], 1.0
	v_fma_f64 v[12:13], v[12:13], v[20:21], v[12:13]
	v_fma_f64 v[20:21], -v[2:3], v[12:13], 1.0
	v_fma_f64 v[12:13], v[12:13], v[20:21], v[12:13]
	v_mul_f64 v[20:21], v[22:23], v[12:13]
	v_fma_f64 v[2:3], -v[2:3], v[20:21], v[22:23]
	v_div_fmas_f64 v[2:3], v[2:3], v[12:13], v[20:21]
	v_div_fixup_f64 v[2:3], v[2:3], v[0:1], 1.0
	v_mul_f64 v[0:1], v[10:11], v[2:3]
	v_xor_b32_e32 v3, 0x80000000, v3
.LBB126_1427:
	s_andn2_saveexec_b64 s[18:19], s[18:19]
	s_cbranch_execz .LBB126_1429
; %bb.1428:
	v_div_scale_f64 v[10:11], s[16:17], v[0:1], v[0:1], v[2:3]
	v_rcp_f64_e32 v[12:13], v[10:11]
	v_fma_f64 v[20:21], -v[10:11], v[12:13], 1.0
	v_fma_f64 v[12:13], v[12:13], v[20:21], v[12:13]
	v_div_scale_f64 v[20:21], vcc, v[2:3], v[0:1], v[2:3]
	v_fma_f64 v[22:23], -v[10:11], v[12:13], 1.0
	v_fma_f64 v[12:13], v[12:13], v[22:23], v[12:13]
	v_mul_f64 v[22:23], v[20:21], v[12:13]
	v_fma_f64 v[10:11], -v[10:11], v[22:23], v[20:21]
	v_div_fmas_f64 v[10:11], v[10:11], v[12:13], v[22:23]
	v_div_fixup_f64 v[10:11], v[10:11], v[0:1], v[2:3]
	v_fma_f64 v[0:1], v[2:3], v[10:11], v[0:1]
	v_div_scale_f64 v[2:3], s[16:17], v[0:1], v[0:1], 1.0
	v_div_scale_f64 v[22:23], vcc, 1.0, v[0:1], 1.0
	v_rcp_f64_e32 v[12:13], v[2:3]
	v_fma_f64 v[20:21], -v[2:3], v[12:13], 1.0
	v_fma_f64 v[12:13], v[12:13], v[20:21], v[12:13]
	v_fma_f64 v[20:21], -v[2:3], v[12:13], 1.0
	v_fma_f64 v[12:13], v[12:13], v[20:21], v[12:13]
	v_mul_f64 v[20:21], v[22:23], v[12:13]
	v_fma_f64 v[2:3], -v[2:3], v[20:21], v[22:23]
	v_div_fmas_f64 v[2:3], v[2:3], v[12:13], v[20:21]
	v_div_fixup_f64 v[0:1], v[2:3], v[0:1], 1.0
	v_mul_f64 v[2:3], v[10:11], -v[0:1]
.LBB126_1429:
	s_or_b64 exec, exec, s[18:19]
.LBB126_1430:
	s_or_b64 exec, exec, s[4:5]
	v_cmp_ne_u32_e32 vcc, v19, v4
	s_and_saveexec_b64 s[4:5], vcc
	s_xor_b64 s[4:5], exec, s[4:5]
	s_cbranch_execz .LBB126_1436
; %bb.1431:
	v_cmp_eq_u32_e32 vcc, 62, v19
	s_and_saveexec_b64 s[18:19], vcc
	s_cbranch_execz .LBB126_1435
; %bb.1432:
	v_cmp_ne_u32_e32 vcc, 62, v4
	s_xor_b64 s[16:17], s[10:11], -1
	s_and_b64 s[16:17], s[16:17], vcc
	s_and_saveexec_b64 s[24:25], s[16:17]
	s_cbranch_execz .LBB126_1434
; %bb.1433:
	v_ashrrev_i32_e32 v5, 31, v4
	v_lshlrev_b64 v[10:11], 2, v[4:5]
	v_add_co_u32_e32 v10, vcc, v8, v10
	v_addc_co_u32_e32 v11, vcc, v9, v11, vcc
	global_load_dword v5, v[10:11], off
	global_load_dword v12, v[8:9], off offset:248
	s_waitcnt vmcnt(1)
	global_store_dword v[8:9], v5, off offset:248
	s_waitcnt vmcnt(1)
	global_store_dword v[10:11], v12, off
.LBB126_1434:
	s_or_b64 exec, exec, s[24:25]
	v_mov_b32_e32 v19, v4
	v_mov_b32_e32 v18, v4
.LBB126_1435:
	s_or_b64 exec, exec, s[18:19]
.LBB126_1436:
	s_andn2_saveexec_b64 s[4:5], s[4:5]
	s_cbranch_execz .LBB126_1438
; %bb.1437:
	v_mov_b32_e32 v11, s7
	buffer_load_dword v4, v11, s[0:3], 0 offen
	buffer_load_dword v5, v11, s[0:3], 0 offen offset:4
	buffer_load_dword v10, v11, s[0:3], 0 offen offset:8
	s_nop 0
	buffer_load_dword v11, v11, s[0:3], 0 offen offset:12
	v_mov_b32_e32 v19, 62
	s_waitcnt vmcnt(0)
	ds_write2_b64 v16, v[4:5], v[10:11] offset0:126 offset1:127
.LBB126_1438:
	s_or_b64 exec, exec, s[4:5]
	v_cmp_lt_i32_e32 vcc, 62, v19
	s_waitcnt vmcnt(0) lgkmcnt(0)
	s_barrier
	s_and_saveexec_b64 s[4:5], vcc
	s_cbranch_execz .LBB126_1440
; %bb.1439:
	buffer_load_dword v4, off, s[0:3], 0 offset:1000
	buffer_load_dword v5, off, s[0:3], 0 offset:1004
	;; [unrolled: 1-line block ×8, first 2 shown]
	s_waitcnt vmcnt(6)
	v_mul_f64 v[22:23], v[0:1], v[4:5]
	v_mul_f64 v[24:25], v[2:3], v[4:5]
	s_waitcnt vmcnt(4)
	v_fma_f64 v[22:23], v[2:3], v[10:11], v[22:23]
	ds_read2_b64 v[2:5], v16 offset0:126 offset1:127
	v_fma_f64 v[0:1], v[0:1], v[10:11], -v[24:25]
	s_waitcnt lgkmcnt(0)
	v_mul_f64 v[10:11], v[4:5], v[22:23]
	v_mul_f64 v[24:25], v[2:3], v[22:23]
	v_fma_f64 v[2:3], v[2:3], v[0:1], -v[10:11]
	v_fma_f64 v[4:5], v[4:5], v[0:1], v[24:25]
	s_waitcnt vmcnt(2)
	v_add_f64 v[2:3], v[12:13], -v[2:3]
	s_waitcnt vmcnt(0)
	v_add_f64 v[4:5], v[20:21], -v[4:5]
	buffer_store_dword v0, off, s[0:3], 0 offset:992
	buffer_store_dword v1, off, s[0:3], 0 offset:996
	;; [unrolled: 1-line block ×8, first 2 shown]
.LBB126_1440:
	s_or_b64 exec, exec, s[4:5]
	v_mov_b32_e32 v3, s7
	s_waitcnt vmcnt(0)
	s_barrier
	buffer_load_dword v0, v3, s[0:3], 0 offen
	buffer_load_dword v1, v3, s[0:3], 0 offen offset:4
	buffer_load_dword v2, v3, s[0:3], 0 offen offset:8
	s_nop 0
	buffer_load_dword v3, v3, s[0:3], 0 offen offset:12
	v_lshl_add_u32 v4, v19, 4, v16
	s_cmpk_lt_i32 s66, 0x41
	s_waitcnt vmcnt(0)
	ds_write2_b64 v4, v[0:1], v[2:3] offset1:1
	s_waitcnt lgkmcnt(0)
	s_barrier
	ds_read2_b64 v[0:3], v16 offset0:126 offset1:127
	v_mov_b32_e32 v4, 63
	s_cbranch_scc1 .LBB126_1443
; %bb.1441:
	v_add_u32_e32 v5, 0x400, v16
	s_mov_b32 s16, 64
	v_mov_b32_e32 v4, 63
.LBB126_1442:                           ; =>This Inner Loop Header: Depth=1
	s_waitcnt lgkmcnt(0)
	v_cmp_gt_f64_e32 vcc, 0, v[2:3]
	v_cmp_gt_f64_e64 s[4:5], 0, v[0:1]
	ds_read2_b64 v[10:13], v5 offset1:1
	v_xor_b32_e32 v16, 0x80000000, v1
	v_xor_b32_e32 v23, 0x80000000, v3
	v_mov_b32_e32 v20, v0
	v_mov_b32_e32 v22, v2
	s_waitcnt lgkmcnt(0)
	v_xor_b32_e32 v25, 0x80000000, v13
	v_cndmask_b32_e32 v23, v3, v23, vcc
	v_cndmask_b32_e64 v21, v1, v16, s[4:5]
	v_cmp_gt_f64_e32 vcc, 0, v[12:13]
	v_cmp_gt_f64_e64 s[4:5], 0, v[10:11]
	v_xor_b32_e32 v16, 0x80000000, v11
	v_add_f64 v[20:21], v[20:21], v[22:23]
	v_mov_b32_e32 v22, v10
	v_mov_b32_e32 v24, v12
	v_add_u32_e32 v5, 16, v5
	v_cndmask_b32_e32 v25, v13, v25, vcc
	v_cndmask_b32_e64 v23, v11, v16, s[4:5]
	v_add_f64 v[22:23], v[22:23], v[24:25]
	v_mov_b32_e32 v16, s16
	s_add_i32 s16, s16, 1
	s_cmp_lg_u32 s66, s16
	v_cmp_lt_f64_e32 vcc, v[20:21], v[22:23]
	v_cndmask_b32_e32 v1, v1, v11, vcc
	v_cndmask_b32_e32 v0, v0, v10, vcc
	;; [unrolled: 1-line block ×5, first 2 shown]
	s_cbranch_scc1 .LBB126_1442
.LBB126_1443:
	s_waitcnt lgkmcnt(0)
	v_cmp_eq_f64_e32 vcc, 0, v[0:1]
	v_cmp_eq_f64_e64 s[4:5], 0, v[2:3]
	s_and_b64 s[4:5], vcc, s[4:5]
	s_and_saveexec_b64 s[16:17], s[4:5]
	s_xor_b64 s[4:5], exec, s[16:17]
; %bb.1444:
	v_cmp_ne_u32_e32 vcc, 0, v17
	v_cndmask_b32_e32 v17, 64, v17, vcc
; %bb.1445:
	s_andn2_saveexec_b64 s[4:5], s[4:5]
	s_cbranch_execz .LBB126_1451
; %bb.1446:
	v_cmp_ngt_f64_e64 s[16:17], |v[0:1]|, |v[2:3]|
	s_and_saveexec_b64 s[18:19], s[16:17]
	s_xor_b64 s[18:19], exec, s[18:19]
	s_cbranch_execz .LBB126_1448
; %bb.1447:
	v_div_scale_f64 v[10:11], s[16:17], v[2:3], v[2:3], v[0:1]
	v_rcp_f64_e32 v[12:13], v[10:11]
	v_fma_f64 v[20:21], -v[10:11], v[12:13], 1.0
	v_fma_f64 v[12:13], v[12:13], v[20:21], v[12:13]
	v_div_scale_f64 v[20:21], vcc, v[0:1], v[2:3], v[0:1]
	v_fma_f64 v[22:23], -v[10:11], v[12:13], 1.0
	v_fma_f64 v[12:13], v[12:13], v[22:23], v[12:13]
	v_mul_f64 v[22:23], v[20:21], v[12:13]
	v_fma_f64 v[10:11], -v[10:11], v[22:23], v[20:21]
	v_div_fmas_f64 v[10:11], v[10:11], v[12:13], v[22:23]
	v_div_fixup_f64 v[10:11], v[10:11], v[2:3], v[0:1]
	v_fma_f64 v[0:1], v[0:1], v[10:11], v[2:3]
	v_div_scale_f64 v[2:3], s[16:17], v[0:1], v[0:1], 1.0
	v_div_scale_f64 v[22:23], vcc, 1.0, v[0:1], 1.0
	v_rcp_f64_e32 v[12:13], v[2:3]
	v_fma_f64 v[20:21], -v[2:3], v[12:13], 1.0
	v_fma_f64 v[12:13], v[12:13], v[20:21], v[12:13]
	v_fma_f64 v[20:21], -v[2:3], v[12:13], 1.0
	v_fma_f64 v[12:13], v[12:13], v[20:21], v[12:13]
	v_mul_f64 v[20:21], v[22:23], v[12:13]
	v_fma_f64 v[2:3], -v[2:3], v[20:21], v[22:23]
	v_div_fmas_f64 v[2:3], v[2:3], v[12:13], v[20:21]
	v_div_fixup_f64 v[2:3], v[2:3], v[0:1], 1.0
	v_mul_f64 v[0:1], v[10:11], v[2:3]
	v_xor_b32_e32 v3, 0x80000000, v3
.LBB126_1448:
	s_andn2_saveexec_b64 s[18:19], s[18:19]
	s_cbranch_execz .LBB126_1450
; %bb.1449:
	v_div_scale_f64 v[10:11], s[16:17], v[0:1], v[0:1], v[2:3]
	v_rcp_f64_e32 v[12:13], v[10:11]
	v_fma_f64 v[20:21], -v[10:11], v[12:13], 1.0
	v_fma_f64 v[12:13], v[12:13], v[20:21], v[12:13]
	v_div_scale_f64 v[20:21], vcc, v[2:3], v[0:1], v[2:3]
	v_fma_f64 v[22:23], -v[10:11], v[12:13], 1.0
	v_fma_f64 v[12:13], v[12:13], v[22:23], v[12:13]
	v_mul_f64 v[22:23], v[20:21], v[12:13]
	v_fma_f64 v[10:11], -v[10:11], v[22:23], v[20:21]
	v_div_fmas_f64 v[10:11], v[10:11], v[12:13], v[22:23]
	v_div_fixup_f64 v[10:11], v[10:11], v[0:1], v[2:3]
	v_fma_f64 v[0:1], v[2:3], v[10:11], v[0:1]
	v_div_scale_f64 v[2:3], s[16:17], v[0:1], v[0:1], 1.0
	v_div_scale_f64 v[22:23], vcc, 1.0, v[0:1], 1.0
	v_rcp_f64_e32 v[12:13], v[2:3]
	v_fma_f64 v[20:21], -v[2:3], v[12:13], 1.0
	v_fma_f64 v[12:13], v[12:13], v[20:21], v[12:13]
	v_fma_f64 v[20:21], -v[2:3], v[12:13], 1.0
	v_fma_f64 v[12:13], v[12:13], v[20:21], v[12:13]
	v_mul_f64 v[20:21], v[22:23], v[12:13]
	v_fma_f64 v[2:3], -v[2:3], v[20:21], v[22:23]
	v_div_fmas_f64 v[2:3], v[2:3], v[12:13], v[20:21]
	v_div_fixup_f64 v[0:1], v[2:3], v[0:1], 1.0
	v_mul_f64 v[2:3], v[10:11], -v[0:1]
.LBB126_1450:
	s_or_b64 exec, exec, s[18:19]
.LBB126_1451:
	s_or_b64 exec, exec, s[4:5]
	v_cmp_ne_u32_e32 vcc, v19, v4
	v_mov_b32_e32 v10, 63
	s_and_saveexec_b64 s[4:5], vcc
	s_cbranch_execz .LBB126_1457
; %bb.1452:
	v_cmp_eq_u32_e32 vcc, 63, v19
	s_and_saveexec_b64 s[18:19], vcc
	s_cbranch_execz .LBB126_1456
; %bb.1453:
	v_cmp_ne_u32_e32 vcc, 63, v4
	s_xor_b64 s[16:17], s[10:11], -1
	s_and_b64 s[16:17], s[16:17], vcc
	s_and_saveexec_b64 s[22:23], s[16:17]
	s_cbranch_execz .LBB126_1455
; %bb.1454:
	v_ashrrev_i32_e32 v5, 31, v4
	v_lshlrev_b64 v[10:11], 2, v[4:5]
	v_add_co_u32_e32 v10, vcc, v8, v10
	v_addc_co_u32_e32 v11, vcc, v9, v11, vcc
	global_load_dword v5, v[10:11], off
	global_load_dword v12, v[8:9], off offset:252
	s_waitcnt vmcnt(1)
	global_store_dword v[8:9], v5, off offset:252
	s_waitcnt vmcnt(1)
	global_store_dword v[10:11], v12, off
.LBB126_1455:
	s_or_b64 exec, exec, s[22:23]
	v_mov_b32_e32 v19, v4
	v_mov_b32_e32 v18, v4
.LBB126_1456:
	s_or_b64 exec, exec, s[18:19]
	v_mov_b32_e32 v10, v19
.LBB126_1457:
	s_or_b64 exec, exec, s[4:5]
	v_cmp_lt_i32_e32 vcc, 63, v10
	s_waitcnt vmcnt(0)
	s_barrier
	s_and_saveexec_b64 s[4:5], vcc
	s_cbranch_execz .LBB126_1459
; %bb.1458:
	buffer_load_dword v4, off, s[0:3], 0 offset:1016
	buffer_load_dword v5, off, s[0:3], 0 offset:1020
	;; [unrolled: 1-line block ×4, first 2 shown]
	s_waitcnt vmcnt(2)
	v_mul_f64 v[11:12], v[2:3], v[4:5]
	v_mul_f64 v[4:5], v[0:1], v[4:5]
	s_waitcnt vmcnt(0)
	v_fma_f64 v[0:1], v[0:1], v[8:9], -v[11:12]
	v_fma_f64 v[2:3], v[2:3], v[8:9], v[4:5]
	buffer_store_dword v0, off, s[0:3], 0 offset:1008
	buffer_store_dword v1, off, s[0:3], 0 offset:1012
	buffer_store_dword v2, off, s[0:3], 0 offset:1016
	buffer_store_dword v3, off, s[0:3], 0 offset:1020
.LBB126_1459:
	s_or_b64 exec, exec, s[4:5]
	v_cmp_gt_i32_e32 vcc, 64, v10
	v_ashrrev_i32_e32 v11, 31, v10
	s_waitcnt vmcnt(0)
	s_barrier
	s_and_saveexec_b64 s[4:5], vcc
	s_cbranch_execz .LBB126_1461
; %bb.1460:
	v_readlane_b32 s12, v61, 2
	v_readlane_b32 s13, v61, 3
	;; [unrolled: 1-line block ×8, first 2 shown]
	s_mov_b64 s[10:11], s[14:15]
	s_mov_b64 s[12:13], s[16:17]
	s_mov_b64 s[14:15], s[18:19]
	v_mul_lo_u32 v2, s15, v6
	v_mul_lo_u32 v3, s14, v7
	v_mad_u64_u32 v[0:1], s[14:15], s14, v6, 0
	v_add3_u32 v1, v1, v3, v2
	v_lshlrev_b64 v[0:1], 2, v[0:1]
	v_mov_b32_e32 v2, s11
	v_add_co_u32_e32 v0, vcc, s10, v0
	v_addc_co_u32_e32 v1, vcc, v2, v1, vcc
	s_lshl_b64 s[10:11], s[12:13], 2
	v_mov_b32_e32 v2, s11
	v_add_co_u32_e32 v3, vcc, s10, v0
	v_addc_co_u32_e32 v2, vcc, v1, v2, vcc
	v_lshlrev_b64 v[0:1], 2, v[10:11]
	v_add_co_u32_e32 v0, vcc, v3, v0
	v_addc_co_u32_e32 v1, vcc, v2, v1, vcc
	v_add3_u32 v2, v18, s21, 1
	global_store_dword v[0:1], v2, off
.LBB126_1461:
	s_or_b64 exec, exec, s[4:5]
	v_cmp_eq_u32_e32 vcc, 0, v10
	s_and_saveexec_b64 s[10:11], vcc
	s_cbranch_execz .LBB126_1464
; %bb.1462:
	v_lshlrev_b64 v[0:1], 2, v[6:7]
	v_readlane_b32 s4, v61, 13
	v_readlane_b32 s5, v61, 14
	v_mov_b32_e32 v2, s5
	v_add_co_u32_e32 v0, vcc, s4, v0
	v_addc_co_u32_e32 v1, vcc, v2, v1, vcc
	global_load_dword v2, v[0:1], off
	v_cmp_ne_u32_e64 s[4:5], 0, v17
	s_waitcnt vmcnt(0)
	v_cmp_eq_u32_e32 vcc, 0, v2
	s_and_b64 s[4:5], vcc, s[4:5]
	s_and_b64 exec, exec, s[4:5]
	s_cbranch_execz .LBB126_1464
; %bb.1463:
	v_add_u32_e32 v2, s21, v17
	global_store_dword v[0:1], v2, off
.LBB126_1464:
	s_or_b64 exec, exec, s[10:11]
	v_mov_b32_e32 v7, s83
	v_mov_b32_e32 v8, s89
	buffer_load_dword v0, off, s[0:3], 0
	buffer_load_dword v1, off, s[0:3], 0 offset:4
	buffer_load_dword v2, off, s[0:3], 0 offset:8
	;; [unrolled: 1-line block ×3, first 2 shown]
	buffer_load_dword v4, v7, s[0:3], 0 offen
	buffer_load_dword v5, v7, s[0:3], 0 offen offset:4
	buffer_load_dword v6, v7, s[0:3], 0 offen offset:8
	s_nop 0
	buffer_load_dword v7, v7, s[0:3], 0 offen offset:12
	v_mov_b32_e32 v9, s88
	buffer_load_dword v16, v8, s[0:3], 0 offen
	buffer_load_dword v17, v8, s[0:3], 0 offen offset:4
	buffer_load_dword v18, v8, s[0:3], 0 offen offset:8
	buffer_load_dword v19, v8, s[0:3], 0 offen offset:12
	buffer_load_dword v20, v9, s[0:3], 0 offen
	buffer_load_dword v21, v9, s[0:3], 0 offen offset:4
	buffer_load_dword v22, v9, s[0:3], 0 offen offset:8
	buffer_load_dword v23, v9, s[0:3], 0 offen offset:12
	v_mov_b32_e32 v8, s87
	buffer_load_dword v24, v8, s[0:3], 0 offen
	buffer_load_dword v25, v8, s[0:3], 0 offen offset:4
	buffer_load_dword v26, v8, s[0:3], 0 offen offset:8
	buffer_load_dword v27, v8, s[0:3], 0 offen offset:12
	v_mov_b32_e32 v8, s82
	;; [unrolled: 5-line block ×3, first 2 shown]
	buffer_load_dword v32, v8, s[0:3], 0 offen
	buffer_load_dword v33, v8, s[0:3], 0 offen offset:4
	buffer_load_dword v34, v8, s[0:3], 0 offen offset:8
	;; [unrolled: 1-line block ×3, first 2 shown]
	v_lshlrev_b64 v[12:13], 4, v[10:11]
	v_readlane_b32 s4, v61, 10
	v_mov_b32_e32 v11, s80
	v_mov_b32_e32 v39, s79
	;; [unrolled: 1-line block ×3, first 2 shown]
	v_add_u32_e32 v44, s4, v10
	buffer_load_dword v8, v11, s[0:3], 0 offen
	buffer_load_dword v9, v11, s[0:3], 0 offen offset:4
	buffer_load_dword v10, v11, s[0:3], 0 offen offset:8
	s_nop 0
	buffer_load_dword v11, v11, s[0:3], 0 offen offset:12
	s_nop 0
	buffer_load_dword v36, v39, s[0:3], 0 offen
	buffer_load_dword v37, v39, s[0:3], 0 offen offset:4
	buffer_load_dword v38, v39, s[0:3], 0 offen offset:8
	s_nop 0
	buffer_load_dword v39, v39, s[0:3], 0 offen offset:12
	s_nop 0
	buffer_load_dword v40, v43, s[0:3], 0 offen
	buffer_load_dword v41, v43, s[0:3], 0 offen offset:4
	buffer_load_dword v42, v43, s[0:3], 0 offen offset:8
	s_nop 0
	buffer_load_dword v43, v43, s[0:3], 0 offen offset:12
	v_readlane_b32 s10, v61, 11
	v_add_co_u32_e32 v12, vcc, v14, v12
	v_readlane_b32 s11, v61, 12
	v_ashrrev_i32_e32 v45, 31, v44
	v_addc_co_u32_e32 v13, vcc, v15, v13, vcc
	v_mov_b32_e32 v49, s11
	v_add_u32_e32 v46, s6, v44
	v_lshlrev_b64 v[44:45], 4, v[44:45]
	v_add_co_u32_e32 v50, vcc, s10, v12
	v_ashrrev_i32_e32 v47, 31, v46
	v_addc_co_u32_e32 v51, vcc, v13, v49, vcc
	v_add_u32_e32 v48, s6, v46
	v_lshlrev_b64 v[46:47], 4, v[46:47]
	v_add_co_u32_e32 v44, vcc, v14, v44
	v_addc_co_u32_e32 v45, vcc, v15, v45, vcc
	v_add_co_u32_e32 v46, vcc, v14, v46
	v_mov_b32_e32 v54, s57
	v_addc_co_u32_e32 v47, vcc, v15, v47, vcc
	v_ashrrev_i32_e32 v49, 31, v48
	v_lshlrev_b64 v[52:53], 4, v[48:49]
	s_waitcnt vmcnt(36)
	global_store_dwordx4 v[12:13], v[0:3], off
	s_waitcnt vmcnt(33)
	global_store_dwordx4 v[50:51], v[4:7], off
	;; [unrolled: 2-line block ×4, first 2 shown]
	buffer_load_dword v0, v54, s[0:3], 0 offen
	buffer_load_dword v1, v54, s[0:3], 0 offen offset:4
	buffer_load_dword v2, v54, s[0:3], 0 offen offset:8
	;; [unrolled: 1-line block ×3, first 2 shown]
	v_add_co_u32_e32 v4, vcc, v14, v52
	v_addc_co_u32_e32 v5, vcc, v15, v53, vcc
	s_waitcnt vmcnt(28)
	global_store_dwordx4 v[4:5], v[24:27], off
	v_mov_b32_e32 v7, s9
	buffer_load_dword v4, v7, s[0:3], 0 offen
	buffer_load_dword v5, v7, s[0:3], 0 offen offset:4
	buffer_load_dword v6, v7, s[0:3], 0 offen offset:8
	s_nop 0
	buffer_load_dword v7, v7, s[0:3], 0 offen offset:12
	v_add_u32_e32 v12, s6, v48
	v_ashrrev_i32_e32 v13, 31, v12
	v_lshlrev_b64 v[16:17], 4, v[12:13]
	v_add_u32_e32 v12, s6, v12
	v_add_co_u32_e32 v16, vcc, v14, v16
	v_addc_co_u32_e32 v17, vcc, v15, v17, vcc
	v_ashrrev_i32_e32 v13, 31, v12
	s_waitcnt vmcnt(29)
	global_store_dwordx4 v[16:17], v[28:31], off
	v_lshlrev_b64 v[20:21], 4, v[12:13]
	v_mov_b32_e32 v13, s77
	buffer_load_dword v16, v13, s[0:3], 0 offen
	buffer_load_dword v17, v13, s[0:3], 0 offen offset:4
	buffer_load_dword v18, v13, s[0:3], 0 offen offset:8
	;; [unrolled: 1-line block ×3, first 2 shown]
	v_add_co_u32_e32 v20, vcc, v14, v20
	v_add_u32_e32 v12, s6, v12
	v_addc_co_u32_e32 v21, vcc, v15, v21, vcc
	v_ashrrev_i32_e32 v13, 31, v12
	s_waitcnt vmcnt(30)
	global_store_dwordx4 v[20:21], v[32:35], off
	v_lshlrev_b64 v[24:25], 4, v[12:13]
	v_mov_b32_e32 v13, s76
	buffer_load_dword v20, v13, s[0:3], 0 offen
	buffer_load_dword v21, v13, s[0:3], 0 offen offset:4
	buffer_load_dword v22, v13, s[0:3], 0 offen offset:8
	buffer_load_dword v23, v13, s[0:3], 0 offen offset:12
	v_add_co_u32_e32 v24, vcc, v14, v24
	v_addc_co_u32_e32 v25, vcc, v15, v25, vcc
	s_waitcnt vmcnt(31)
	global_store_dwordx4 v[24:25], v[8:11], off
	v_add_u32_e32 v12, s6, v12
	v_mov_b32_e32 v11, s75
	v_ashrrev_i32_e32 v13, 31, v12
	buffer_load_dword v8, v11, s[0:3], 0 offen
	buffer_load_dword v9, v11, s[0:3], 0 offen offset:4
	buffer_load_dword v10, v11, s[0:3], 0 offen offset:8
	s_nop 0
	buffer_load_dword v11, v11, s[0:3], 0 offen offset:12
	v_lshlrev_b64 v[24:25], 4, v[12:13]
	v_add_u32_e32 v12, s6, v12
	v_add_co_u32_e32 v24, vcc, v14, v24
	v_addc_co_u32_e32 v25, vcc, v15, v25, vcc
	v_ashrrev_i32_e32 v13, 31, v12
	s_waitcnt vmcnt(32)
	global_store_dwordx4 v[24:25], v[36:39], off
	v_lshlrev_b64 v[28:29], 4, v[12:13]
	v_mov_b32_e32 v13, s74
	buffer_load_dword v24, v13, s[0:3], 0 offen
	buffer_load_dword v25, v13, s[0:3], 0 offen offset:4
	buffer_load_dword v26, v13, s[0:3], 0 offen offset:8
	buffer_load_dword v27, v13, s[0:3], 0 offen offset:12
	v_add_co_u32_e32 v28, vcc, v14, v28
	v_add_u32_e32 v12, s6, v12
	v_addc_co_u32_e32 v29, vcc, v15, v29, vcc
	v_ashrrev_i32_e32 v13, 31, v12
	s_waitcnt vmcnt(33)
	global_store_dwordx4 v[28:29], v[40:43], off
	v_lshlrev_b64 v[32:33], 4, v[12:13]
	v_mov_b32_e32 v13, s73
	buffer_load_dword v28, v13, s[0:3], 0 offen
	buffer_load_dword v29, v13, s[0:3], 0 offen offset:4
	buffer_load_dword v30, v13, s[0:3], 0 offen offset:8
	buffer_load_dword v31, v13, s[0:3], 0 offen offset:12
	v_add_co_u32_e32 v32, vcc, v14, v32
	v_add_u32_e32 v12, s6, v12
	;; [unrolled: 12-line block ×18, first 2 shown]
	v_addc_co_u32_e32 v33, vcc, v15, v33, vcc
	v_ashrrev_i32_e32 v13, 31, v12
	s_waitcnt vmcnt(30)
	global_store_dwordx4 v[32:33], v[16:19], off
	v_lshlrev_b64 v[32:33], 4, v[12:13]
	v_mov_b32_e32 v13, s56
	buffer_load_dword v16, v13, s[0:3], 0 offen
	buffer_load_dword v17, v13, s[0:3], 0 offen offset:4
	buffer_load_dword v18, v13, s[0:3], 0 offen offset:8
	;; [unrolled: 1-line block ×3, first 2 shown]
	v_add_co_u32_e32 v32, vcc, v14, v32
	v_addc_co_u32_e32 v33, vcc, v15, v33, vcc
	v_mov_b32_e32 v13, s55
	v_add_u32_e32 v12, s6, v12
	s_waitcnt vmcnt(30)
	global_store_dwordx4 v[32:33], v[20:23], off
	buffer_load_dword v20, v13, s[0:3], 0 offen
	s_nop 0
	buffer_load_dword v21, v13, s[0:3], 0 offen offset:4
	buffer_load_dword v22, v13, s[0:3], 0 offen offset:8
	buffer_load_dword v23, v13, s[0:3], 0 offen offset:12
	v_ashrrev_i32_e32 v13, 31, v12
	v_lshlrev_b64 v[32:33], 4, v[12:13]
	v_add_u32_e32 v12, s6, v12
	v_add_co_u32_e32 v32, vcc, v14, v32
	v_addc_co_u32_e32 v33, vcc, v15, v33, vcc
	v_mov_b32_e32 v13, s54
	s_waitcnt vmcnt(30)
	global_store_dwordx4 v[32:33], v[8:11], off
	buffer_load_dword v8, v13, s[0:3], 0 offen
	s_nop 0
	buffer_load_dword v9, v13, s[0:3], 0 offen offset:4
	buffer_load_dword v10, v13, s[0:3], 0 offen offset:8
	;; [unrolled: 1-line block ×3, first 2 shown]
	v_ashrrev_i32_e32 v13, 31, v12
	v_lshlrev_b64 v[32:33], 4, v[12:13]
	v_mov_b32_e32 v13, s53
	v_add_co_u32_e32 v32, vcc, v14, v32
	v_addc_co_u32_e32 v33, vcc, v15, v33, vcc
	v_add_u32_e32 v12, s6, v12
	s_waitcnt vmcnt(30)
	global_store_dwordx4 v[32:33], v[24:27], off
	buffer_load_dword v24, v13, s[0:3], 0 offen
	s_nop 0
	buffer_load_dword v25, v13, s[0:3], 0 offen offset:4
	buffer_load_dword v26, v13, s[0:3], 0 offen offset:8
	;; [unrolled: 1-line block ×3, first 2 shown]
	v_ashrrev_i32_e32 v13, 31, v12
	v_lshlrev_b64 v[32:33], 4, v[12:13]
	v_mov_b32_e32 v13, s52
	v_add_co_u32_e32 v32, vcc, v14, v32
	v_addc_co_u32_e32 v33, vcc, v15, v33, vcc
	v_add_u32_e32 v12, s6, v12
	s_waitcnt vmcnt(30)
	global_store_dwordx4 v[32:33], v[28:31], off
	buffer_load_dword v28, v13, s[0:3], 0 offen
	s_nop 0
	buffer_load_dword v29, v13, s[0:3], 0 offen offset:4
	buffer_load_dword v30, v13, s[0:3], 0 offen offset:8
	;; [unrolled: 1-line block ×3, first 2 shown]
	v_ashrrev_i32_e32 v13, 31, v12
	v_lshlrev_b64 v[32:33], 4, v[12:13]
	v_add_u32_e32 v12, s6, v12
	v_add_co_u32_e32 v32, vcc, v14, v32
	v_addc_co_u32_e32 v33, vcc, v15, v33, vcc
	v_ashrrev_i32_e32 v13, 31, v12
	s_waitcnt vmcnt(30)
	global_store_dwordx4 v[32:33], v[0:3], off
	v_lshlrev_b64 v[32:33], 4, v[12:13]
	v_mov_b32_e32 v13, s51
	buffer_load_dword v0, v13, s[0:3], 0 offen
	buffer_load_dword v1, v13, s[0:3], 0 offen offset:4
	buffer_load_dword v2, v13, s[0:3], 0 offen offset:8
	;; [unrolled: 1-line block ×3, first 2 shown]
	v_add_co_u32_e32 v32, vcc, v14, v32
	v_add_u32_e32 v12, s6, v12
	v_addc_co_u32_e32 v33, vcc, v15, v33, vcc
	v_ashrrev_i32_e32 v13, 31, v12
	s_waitcnt vmcnt(30)
	global_store_dwordx4 v[32:33], v[4:7], off
	v_lshlrev_b64 v[32:33], 4, v[12:13]
	v_mov_b32_e32 v13, s50
	buffer_load_dword v4, v13, s[0:3], 0 offen
	buffer_load_dword v5, v13, s[0:3], 0 offen offset:4
	buffer_load_dword v6, v13, s[0:3], 0 offen offset:8
	buffer_load_dword v7, v13, s[0:3], 0 offen offset:12
	v_add_co_u32_e32 v32, vcc, v14, v32
	v_add_u32_e32 v12, s6, v12
	v_addc_co_u32_e32 v33, vcc, v15, v33, vcc
	v_ashrrev_i32_e32 v13, 31, v12
	s_waitcnt vmcnt(30)
	global_store_dwordx4 v[32:33], v[16:19], off
	s_nop 0
	v_lshlrev_b64 v[16:17], 4, v[12:13]
	v_add_u32_e32 v12, s6, v12
	v_add_co_u32_e32 v16, vcc, v14, v16
	v_addc_co_u32_e32 v17, vcc, v15, v17, vcc
	v_ashrrev_i32_e32 v13, 31, v12
	s_waitcnt vmcnt(26)
	global_store_dwordx4 v[16:17], v[20:23], off
	s_nop 0
	v_lshlrev_b64 v[20:21], 4, v[12:13]
	v_mov_b32_e32 v13, s49
	buffer_load_dword v16, v13, s[0:3], 0 offen
	buffer_load_dword v17, v13, s[0:3], 0 offen offset:4
	buffer_load_dword v18, v13, s[0:3], 0 offen offset:8
	;; [unrolled: 1-line block ×3, first 2 shown]
	v_add_co_u32_e32 v20, vcc, v14, v20
	v_add_u32_e32 v12, s6, v12
	v_addc_co_u32_e32 v21, vcc, v15, v21, vcc
	v_ashrrev_i32_e32 v13, 31, v12
	s_waitcnt vmcnt(26)
	global_store_dwordx4 v[20:21], v[8:11], off
	v_lshlrev_b64 v[20:21], 4, v[12:13]
	v_mov_b32_e32 v13, s47
	buffer_load_dword v8, v13, s[0:3], 0 offen
	buffer_load_dword v9, v13, s[0:3], 0 offen offset:4
	buffer_load_dword v10, v13, s[0:3], 0 offen offset:8
	;; [unrolled: 1-line block ×3, first 2 shown]
	v_add_co_u32_e32 v20, vcc, v14, v20
	v_add_u32_e32 v12, s6, v12
	v_addc_co_u32_e32 v21, vcc, v15, v21, vcc
	v_ashrrev_i32_e32 v13, 31, v12
	s_waitcnt vmcnt(26)
	global_store_dwordx4 v[20:21], v[24:27], off
	s_nop 0
	v_lshlrev_b64 v[24:25], 4, v[12:13]
	v_mov_b32_e32 v13, s46
	buffer_load_dword v20, v13, s[0:3], 0 offen
	buffer_load_dword v21, v13, s[0:3], 0 offen offset:4
	buffer_load_dword v22, v13, s[0:3], 0 offen offset:8
	;; [unrolled: 1-line block ×3, first 2 shown]
	v_add_co_u32_e32 v24, vcc, v14, v24
	v_add_u32_e32 v12, s6, v12
	v_addc_co_u32_e32 v25, vcc, v15, v25, vcc
	v_ashrrev_i32_e32 v13, 31, v12
	s_waitcnt vmcnt(26)
	global_store_dwordx4 v[24:25], v[28:31], off
	v_lshlrev_b64 v[32:33], 4, v[12:13]
	v_mov_b32_e32 v13, s45
	buffer_load_dword v24, v13, s[0:3], 0 offen
	buffer_load_dword v25, v13, s[0:3], 0 offen offset:4
	buffer_load_dword v26, v13, s[0:3], 0 offen offset:8
	buffer_load_dword v27, v13, s[0:3], 0 offen offset:12
	v_mov_b32_e32 v13, s44
	buffer_load_dword v28, v13, s[0:3], 0 offen
	buffer_load_dword v29, v13, s[0:3], 0 offen offset:4
	buffer_load_dword v30, v13, s[0:3], 0 offen offset:8
	buffer_load_dword v31, v13, s[0:3], 0 offen offset:12
	v_add_co_u32_e32 v32, vcc, v14, v32
	v_add_u32_e32 v12, s6, v12
	v_addc_co_u32_e32 v33, vcc, v15, v33, vcc
	v_ashrrev_i32_e32 v13, 31, v12
	s_waitcnt vmcnt(30)
	global_store_dwordx4 v[32:33], v[0:3], off
	v_lshlrev_b64 v[32:33], 4, v[12:13]
	v_mov_b32_e32 v13, s43
	buffer_load_dword v0, v13, s[0:3], 0 offen
	buffer_load_dword v1, v13, s[0:3], 0 offen offset:4
	buffer_load_dword v2, v13, s[0:3], 0 offen offset:8
	;; [unrolled: 1-line block ×3, first 2 shown]
	v_add_co_u32_e32 v32, vcc, v14, v32
	v_addc_co_u32_e32 v33, vcc, v15, v33, vcc
	v_mov_b32_e32 v13, s42
	v_add_u32_e32 v12, s6, v12
	s_waitcnt vmcnt(30)
	global_store_dwordx4 v[32:33], v[4:7], off
	buffer_load_dword v4, v13, s[0:3], 0 offen
	s_nop 0
	buffer_load_dword v5, v13, s[0:3], 0 offen offset:4
	buffer_load_dword v6, v13, s[0:3], 0 offen offset:8
	;; [unrolled: 1-line block ×3, first 2 shown]
	v_ashrrev_i32_e32 v13, 31, v12
	v_lshlrev_b64 v[36:37], 4, v[12:13]
	v_mov_b32_e32 v13, s41
	buffer_load_dword v32, v13, s[0:3], 0 offen
	buffer_load_dword v33, v13, s[0:3], 0 offen offset:4
	buffer_load_dword v34, v13, s[0:3], 0 offen offset:8
	buffer_load_dword v35, v13, s[0:3], 0 offen offset:12
	v_add_co_u32_e32 v36, vcc, v14, v36
	v_add_u32_e32 v12, s6, v12
	v_addc_co_u32_e32 v37, vcc, v15, v37, vcc
	v_ashrrev_i32_e32 v13, 31, v12
	s_waitcnt vmcnt(33)
	global_store_dwordx4 v[36:37], v[16:19], off
	v_lshlrev_b64 v[36:37], 4, v[12:13]
	v_mov_b32_e32 v13, s40
	buffer_load_dword v16, v13, s[0:3], 0 offen
	buffer_load_dword v17, v13, s[0:3], 0 offen offset:4
	buffer_load_dword v18, v13, s[0:3], 0 offen offset:8
	buffer_load_dword v19, v13, s[0:3], 0 offen offset:12
	v_add_co_u32_e32 v36, vcc, v14, v36
	v_add_u32_e32 v12, s6, v12
	v_addc_co_u32_e32 v37, vcc, v15, v37, vcc
	v_ashrrev_i32_e32 v13, 31, v12
	s_waitcnt vmcnt(33)
	global_store_dwordx4 v[36:37], v[8:11], off
	;; [unrolled: 12-line block ×4, first 2 shown]
	s_nop 0
	v_lshlrev_b64 v[24:25], 4, v[12:13]
	v_add_u32_e32 v12, s6, v12
	v_add_co_u32_e32 v24, vcc, v14, v24
	v_addc_co_u32_e32 v25, vcc, v15, v25, vcc
	v_ashrrev_i32_e32 v13, 31, v12
	s_waitcnt vmcnt(30)
	global_store_dwordx4 v[24:25], v[28:31], off
	s_nop 0
	v_lshlrev_b64 v[28:29], 4, v[12:13]
	v_mov_b32_e32 v13, s37
	buffer_load_dword v24, v13, s[0:3], 0 offen
	buffer_load_dword v25, v13, s[0:3], 0 offen offset:4
	buffer_load_dword v26, v13, s[0:3], 0 offen offset:8
	;; [unrolled: 1-line block ×3, first 2 shown]
	v_add_co_u32_e32 v28, vcc, v14, v28
	v_addc_co_u32_e32 v29, vcc, v15, v29, vcc
	s_waitcnt vmcnt(30)
	global_store_dwordx4 v[28:29], v[0:3], off
	s_nop 0
	v_add_u32_e32 v0, s6, v12
	v_ashrrev_i32_e32 v1, 31, v0
	v_lshlrev_b64 v[1:2], 4, v[0:1]
	v_add_co_u32_e32 v1, vcc, v14, v1
	v_addc_co_u32_e32 v2, vcc, v15, v2, vcc
	s_waitcnt vmcnt(26)
	global_store_dwordx4 v[1:2], v[4:7], off
	s_nop 0
	v_add_u32_e32 v4, s6, v0
	v_ashrrev_i32_e32 v5, 31, v4
	v_lshlrev_b64 v[0:1], 4, v[4:5]
	v_mov_b32_e32 v5, s36
	v_add_co_u32_e32 v0, vcc, v14, v0
	v_addc_co_u32_e32 v1, vcc, v15, v1, vcc
	s_waitcnt vmcnt(23)
	global_store_dwordx4 v[0:1], v[32:35], off
	buffer_load_dword v0, v5, s[0:3], 0 offen
	s_nop 0
	buffer_load_dword v1, v5, s[0:3], 0 offen offset:4
	buffer_load_dword v2, v5, s[0:3], 0 offen offset:8
	;; [unrolled: 1-line block ×3, first 2 shown]
	v_add_u32_e32 v4, s6, v4
	v_ashrrev_i32_e32 v5, 31, v4
	v_lshlrev_b64 v[5:6], 4, v[4:5]
	v_add_u32_e32 v12, s6, v4
	v_add_co_u32_e32 v5, vcc, v14, v5
	v_addc_co_u32_e32 v6, vcc, v15, v6, vcc
	v_ashrrev_i32_e32 v13, 31, v12
	s_waitcnt vmcnt(23)
	global_store_dwordx4 v[5:6], v[16:19], off
	s_nop 0
	v_lshlrev_b64 v[16:17], 4, v[12:13]
	v_mov_b32_e32 v13, s35
	buffer_load_dword v4, v13, s[0:3], 0 offen
	buffer_load_dword v5, v13, s[0:3], 0 offen offset:4
	buffer_load_dword v6, v13, s[0:3], 0 offen offset:8
	;; [unrolled: 1-line block ×3, first 2 shown]
	v_add_co_u32_e32 v16, vcc, v14, v16
	v_add_u32_e32 v12, s6, v12
	v_addc_co_u32_e32 v17, vcc, v15, v17, vcc
	v_ashrrev_i32_e32 v13, 31, v12
	s_waitcnt vmcnt(23)
	global_store_dwordx4 v[16:17], v[8:11], off
	v_lshlrev_b64 v[16:17], 4, v[12:13]
	v_mov_b32_e32 v13, s34
	buffer_load_dword v8, v13, s[0:3], 0 offen
	buffer_load_dword v9, v13, s[0:3], 0 offen offset:4
	buffer_load_dword v10, v13, s[0:3], 0 offen offset:8
	;; [unrolled: 1-line block ×3, first 2 shown]
	v_add_co_u32_e32 v16, vcc, v14, v16
	v_addc_co_u32_e32 v17, vcc, v15, v17, vcc
	v_mov_b32_e32 v13, s33
	v_add_u32_e32 v12, s6, v12
	s_waitcnt vmcnt(23)
	global_store_dwordx4 v[16:17], v[20:23], off
	buffer_load_dword v16, v13, s[0:3], 0 offen
	s_nop 0
	buffer_load_dword v17, v13, s[0:3], 0 offen offset:4
	buffer_load_dword v18, v13, s[0:3], 0 offen offset:8
	;; [unrolled: 1-line block ×3, first 2 shown]
	v_ashrrev_i32_e32 v13, 31, v12
	v_lshlrev_b64 v[32:33], 4, v[12:13]
	v_mov_b32_e32 v13, s31
	buffer_load_dword v20, v13, s[0:3], 0 offen
	buffer_load_dword v21, v13, s[0:3], 0 offen offset:4
	buffer_load_dword v22, v13, s[0:3], 0 offen offset:8
	;; [unrolled: 1-line block ×3, first 2 shown]
	v_mov_b32_e32 v13, s30
	buffer_load_dword v28, v13, s[0:3], 0 offen
	buffer_load_dword v29, v13, s[0:3], 0 offen offset:4
	buffer_load_dword v30, v13, s[0:3], 0 offen offset:8
	;; [unrolled: 1-line block ×3, first 2 shown]
	v_add_co_u32_e32 v32, vcc, v14, v32
	v_addc_co_u32_e32 v33, vcc, v15, v33, vcc
	v_mov_b32_e32 v13, s29
	v_add_u32_e32 v12, s6, v12
	s_waitcnt vmcnt(30)
	global_store_dwordx4 v[32:33], v[24:27], off
	buffer_load_dword v24, v13, s[0:3], 0 offen
	s_nop 0
	buffer_load_dword v25, v13, s[0:3], 0 offen offset:4
	buffer_load_dword v26, v13, s[0:3], 0 offen offset:8
	buffer_load_dword v27, v13, s[0:3], 0 offen offset:12
	v_ashrrev_i32_e32 v13, 31, v12
	v_lshlrev_b64 v[36:37], 4, v[12:13]
	v_mov_b32_e32 v13, s28
	buffer_load_dword v32, v13, s[0:3], 0 offen
	buffer_load_dword v33, v13, s[0:3], 0 offen offset:4
	buffer_load_dword v34, v13, s[0:3], 0 offen offset:8
	;; [unrolled: 1-line block ×3, first 2 shown]
	v_add_co_u32_e32 v40, vcc, v14, v36
	v_mov_b32_e32 v13, s27
	v_addc_co_u32_e32 v41, vcc, v15, v37, vcc
	buffer_load_dword v36, v13, s[0:3], 0 offen
	buffer_load_dword v37, v13, s[0:3], 0 offen offset:4
	buffer_load_dword v38, v13, s[0:3], 0 offen offset:8
	;; [unrolled: 1-line block ×3, first 2 shown]
	v_add_u32_e32 v12, s6, v12
	v_ashrrev_i32_e32 v13, 31, v12
	v_lshlrev_b64 v[44:45], 4, v[12:13]
	v_mov_b32_e32 v13, s20
	v_add_co_u32_e32 v44, vcc, v14, v44
	v_addc_co_u32_e32 v45, vcc, v15, v45, vcc
	v_add_u32_e32 v12, s6, v12
	s_waitcnt vmcnt(36)
	global_store_dwordx4 v[40:41], v[0:3], off
	v_mov_b32_e32 v40, s26
	buffer_load_dword v0, v40, s[0:3], 0 offen
	buffer_load_dword v1, v40, s[0:3], 0 offen offset:4
	buffer_load_dword v2, v40, s[0:3], 0 offen offset:8
	;; [unrolled: 1-line block ×3, first 2 shown]
	s_nop 0
	buffer_load_dword v40, v13, s[0:3], 0 offen
	buffer_load_dword v41, v13, s[0:3], 0 offen offset:4
	buffer_load_dword v42, v13, s[0:3], 0 offen offset:8
	buffer_load_dword v43, v13, s[0:3], 0 offen offset:12
	v_mov_b32_e32 v13, s7
	s_waitcnt vmcnt(40)
	global_store_dwordx4 v[44:45], v[4:7], off
	buffer_load_dword v4, v13, s[0:3], 0 offen
	s_nop 0
	buffer_load_dword v5, v13, s[0:3], 0 offen offset:4
	buffer_load_dword v6, v13, s[0:3], 0 offen offset:8
	;; [unrolled: 1-line block ×3, first 2 shown]
	v_ashrrev_i32_e32 v13, 31, v12
	v_lshlrev_b64 v[44:45], 4, v[12:13]
	v_add_co_u32_e32 v44, vcc, v14, v44
	v_addc_co_u32_e32 v45, vcc, v15, v45, vcc
	s_waitcnt vmcnt(40)
	global_store_dwordx4 v[44:45], v[8:11], off
	s_nop 0
	v_add_u32_e32 v8, s6, v12
	v_ashrrev_i32_e32 v9, 31, v8
	v_lshlrev_b64 v[9:10], 4, v[8:9]
	v_add_u32_e32 v8, s6, v8
	v_add_co_u32_e32 v9, vcc, v14, v9
	v_addc_co_u32_e32 v10, vcc, v15, v10, vcc
	s_waitcnt vmcnt(36)
	global_store_dwordx4 v[9:10], v[16:19], off
	v_ashrrev_i32_e32 v9, 31, v8
	v_lshlrev_b64 v[9:10], 4, v[8:9]
	v_add_u32_e32 v8, s6, v8
	v_add_co_u32_e32 v9, vcc, v14, v9
	v_addc_co_u32_e32 v10, vcc, v15, v10, vcc
	s_waitcnt vmcnt(33)
	global_store_dwordx4 v[9:10], v[20:23], off
	;; [unrolled: 7-line block ×6, first 2 shown]
	v_ashrrev_i32_e32 v9, 31, v8
	v_lshlrev_b64 v[9:10], 4, v[8:9]
	v_add_co_u32_e32 v9, vcc, v14, v9
	v_addc_co_u32_e32 v10, vcc, v15, v10, vcc
	s_waitcnt vmcnt(16)
	global_store_dwordx4 v[9:10], v[0:3], off
	s_nop 0
	v_add_u32_e32 v0, s6, v8
	v_ashrrev_i32_e32 v1, 31, v0
	v_lshlrev_b64 v[1:2], 4, v[0:1]
	v_add_u32_e32 v0, s6, v0
	v_add_co_u32_e32 v1, vcc, v14, v1
	v_addc_co_u32_e32 v2, vcc, v15, v2, vcc
	s_waitcnt vmcnt(13)
	global_store_dwordx4 v[1:2], v[40:43], off
	v_ashrrev_i32_e32 v1, 31, v0
	v_lshlrev_b64 v[0:1], 4, v[0:1]
	v_add_co_u32_e32 v0, vcc, v14, v0
	v_addc_co_u32_e32 v1, vcc, v15, v1, vcc
	s_waitcnt vmcnt(9)
	global_store_dwordx4 v[0:1], v[4:7], off
.LBB126_1465:
	s_endpgm
	.section	.rodata,"a",@progbits
	.p2align	6, 0x0
	.amdhsa_kernel _ZN9rocsolver6v33100L18getf2_small_kernelILi64E19rocblas_complex_numIdEiiPS3_EEvT1_T3_lS5_lPS5_llPT2_S5_S5_S7_l
		.amdhsa_group_segment_fixed_size 0
		.amdhsa_private_segment_fixed_size 1040
		.amdhsa_kernarg_size 352
		.amdhsa_user_sgpr_count 6
		.amdhsa_user_sgpr_private_segment_buffer 1
		.amdhsa_user_sgpr_dispatch_ptr 0
		.amdhsa_user_sgpr_queue_ptr 0
		.amdhsa_user_sgpr_kernarg_segment_ptr 1
		.amdhsa_user_sgpr_dispatch_id 0
		.amdhsa_user_sgpr_flat_scratch_init 0
		.amdhsa_user_sgpr_private_segment_size 0
		.amdhsa_uses_dynamic_stack 0
		.amdhsa_system_sgpr_private_segment_wavefront_offset 1
		.amdhsa_system_sgpr_workgroup_id_x 1
		.amdhsa_system_sgpr_workgroup_id_y 1
		.amdhsa_system_sgpr_workgroup_id_z 0
		.amdhsa_system_sgpr_workgroup_info 0
		.amdhsa_system_vgpr_workitem_id 1
		.amdhsa_next_free_vgpr 62
		.amdhsa_next_free_sgpr 100
		.amdhsa_reserve_vcc 1
		.amdhsa_reserve_flat_scratch 0
		.amdhsa_float_round_mode_32 0
		.amdhsa_float_round_mode_16_64 0
		.amdhsa_float_denorm_mode_32 3
		.amdhsa_float_denorm_mode_16_64 3
		.amdhsa_dx10_clamp 1
		.amdhsa_ieee_mode 1
		.amdhsa_fp16_overflow 0
		.amdhsa_exception_fp_ieee_invalid_op 0
		.amdhsa_exception_fp_denorm_src 0
		.amdhsa_exception_fp_ieee_div_zero 0
		.amdhsa_exception_fp_ieee_overflow 0
		.amdhsa_exception_fp_ieee_underflow 0
		.amdhsa_exception_fp_ieee_inexact 0
		.amdhsa_exception_int_div_zero 0
	.end_amdhsa_kernel
	.section	.text._ZN9rocsolver6v33100L18getf2_small_kernelILi64E19rocblas_complex_numIdEiiPS3_EEvT1_T3_lS5_lPS5_llPT2_S5_S5_S7_l,"axG",@progbits,_ZN9rocsolver6v33100L18getf2_small_kernelILi64E19rocblas_complex_numIdEiiPS3_EEvT1_T3_lS5_lPS5_llPT2_S5_S5_S7_l,comdat
.Lfunc_end126:
	.size	_ZN9rocsolver6v33100L18getf2_small_kernelILi64E19rocblas_complex_numIdEiiPS3_EEvT1_T3_lS5_lPS5_llPT2_S5_S5_S7_l, .Lfunc_end126-_ZN9rocsolver6v33100L18getf2_small_kernelILi64E19rocblas_complex_numIdEiiPS3_EEvT1_T3_lS5_lPS5_llPT2_S5_S5_S7_l
                                        ; -- End function
	.set _ZN9rocsolver6v33100L18getf2_small_kernelILi64E19rocblas_complex_numIdEiiPS3_EEvT1_T3_lS5_lPS5_llPT2_S5_S5_S7_l.num_vgpr, 62
	.set _ZN9rocsolver6v33100L18getf2_small_kernelILi64E19rocblas_complex_numIdEiiPS3_EEvT1_T3_lS5_lPS5_llPT2_S5_S5_S7_l.num_agpr, 0
	.set _ZN9rocsolver6v33100L18getf2_small_kernelILi64E19rocblas_complex_numIdEiiPS3_EEvT1_T3_lS5_lPS5_llPT2_S5_S5_S7_l.numbered_sgpr, 100
	.set _ZN9rocsolver6v33100L18getf2_small_kernelILi64E19rocblas_complex_numIdEiiPS3_EEvT1_T3_lS5_lPS5_llPT2_S5_S5_S7_l.num_named_barrier, 0
	.set _ZN9rocsolver6v33100L18getf2_small_kernelILi64E19rocblas_complex_numIdEiiPS3_EEvT1_T3_lS5_lPS5_llPT2_S5_S5_S7_l.private_seg_size, 1040
	.set _ZN9rocsolver6v33100L18getf2_small_kernelILi64E19rocblas_complex_numIdEiiPS3_EEvT1_T3_lS5_lPS5_llPT2_S5_S5_S7_l.uses_vcc, 1
	.set _ZN9rocsolver6v33100L18getf2_small_kernelILi64E19rocblas_complex_numIdEiiPS3_EEvT1_T3_lS5_lPS5_llPT2_S5_S5_S7_l.uses_flat_scratch, 0
	.set _ZN9rocsolver6v33100L18getf2_small_kernelILi64E19rocblas_complex_numIdEiiPS3_EEvT1_T3_lS5_lPS5_llPT2_S5_S5_S7_l.has_dyn_sized_stack, 0
	.set _ZN9rocsolver6v33100L18getf2_small_kernelILi64E19rocblas_complex_numIdEiiPS3_EEvT1_T3_lS5_lPS5_llPT2_S5_S5_S7_l.has_recursion, 0
	.set _ZN9rocsolver6v33100L18getf2_small_kernelILi64E19rocblas_complex_numIdEiiPS3_EEvT1_T3_lS5_lPS5_llPT2_S5_S5_S7_l.has_indirect_call, 0
	.section	.AMDGPU.csdata,"",@progbits
; Kernel info:
; codeLenInByte = 206452
; TotalNumSgprs: 104
; NumVgprs: 62
; ScratchSize: 1040
; MemoryBound: 0
; FloatMode: 240
; IeeeMode: 1
; LDSByteSize: 0 bytes/workgroup (compile time only)
; SGPRBlocks: 12
; VGPRBlocks: 15
; NumSGPRsForWavesPerEU: 104
; NumVGPRsForWavesPerEU: 62
; Occupancy: 4
; WaveLimiterHint : 1
; COMPUTE_PGM_RSRC2:SCRATCH_EN: 1
; COMPUTE_PGM_RSRC2:USER_SGPR: 6
; COMPUTE_PGM_RSRC2:TRAP_HANDLER: 0
; COMPUTE_PGM_RSRC2:TGID_X_EN: 1
; COMPUTE_PGM_RSRC2:TGID_Y_EN: 1
; COMPUTE_PGM_RSRC2:TGID_Z_EN: 0
; COMPUTE_PGM_RSRC2:TIDIG_COMP_CNT: 1
	.section	.text._ZN9rocsolver6v33100L23getf2_npvt_small_kernelILi64E19rocblas_complex_numIdEiiPS3_EEvT1_T3_lS5_lPT2_S5_S5_,"axG",@progbits,_ZN9rocsolver6v33100L23getf2_npvt_small_kernelILi64E19rocblas_complex_numIdEiiPS3_EEvT1_T3_lS5_lPT2_S5_S5_,comdat
	.globl	_ZN9rocsolver6v33100L23getf2_npvt_small_kernelILi64E19rocblas_complex_numIdEiiPS3_EEvT1_T3_lS5_lPT2_S5_S5_ ; -- Begin function _ZN9rocsolver6v33100L23getf2_npvt_small_kernelILi64E19rocblas_complex_numIdEiiPS3_EEvT1_T3_lS5_lPT2_S5_S5_
	.p2align	8
	.type	_ZN9rocsolver6v33100L23getf2_npvt_small_kernelILi64E19rocblas_complex_numIdEiiPS3_EEvT1_T3_lS5_lPT2_S5_S5_,@function
_ZN9rocsolver6v33100L23getf2_npvt_small_kernelILi64E19rocblas_complex_numIdEiiPS3_EEvT1_T3_lS5_lPT2_S5_S5_: ; @_ZN9rocsolver6v33100L23getf2_npvt_small_kernelILi64E19rocblas_complex_numIdEiiPS3_EEvT1_T3_lS5_lPT2_S5_S5_
; %bb.0:
	s_load_dword s6, s[4:5], 0x44
	s_load_dwordx2 s[76:77], s[4:5], 0x30
	s_add_u32 s0, s0, s8
	s_addc_u32 s1, s1, 0
	s_waitcnt lgkmcnt(0)
	s_lshr_b32 s8, s6, 16
	s_mul_i32 s7, s7, s8
	v_add_u32_e32 v16, s7, v1
	v_cmp_gt_i32_e32 vcc, s76, v16
	s_and_saveexec_b64 s[6:7], vcc
	s_cbranch_execnz .LBB127_1
; %bb.700:
	s_getpc_b64 s[98:99]
.Lpost_getpc41:
	s_add_u32 s98, s98, (.LBB127_699-.Lpost_getpc41)&4294967295
	s_addc_u32 s99, s99, (.LBB127_699-.Lpost_getpc41)>>32
	s_setpc_b64 s[98:99]
.LBB127_1:
	s_load_dwordx4 s[80:83], s[4:5], 0x20
	s_load_dword s6, s[4:5], 0x18
	v_ashrrev_i32_e32 v17, 31, v16
	s_load_dwordx4 s[12:15], s[4:5], 0x8
	s_movk_i32 s65, 0x50
	s_waitcnt lgkmcnt(0)
	v_mul_lo_u32 v4, s81, v16
	v_mul_lo_u32 v5, s80, v17
	v_mad_u64_u32 v[2:3], s[10:11], s80, v16, 0
	s_lshl_b64 s[4:5], s[14:15], 4
	s_ashr_i32 s7, s6, 31
	v_add3_u32 v3, v3, v5, v4
	v_lshlrev_b64 v[2:3], 4, v[2:3]
	v_mov_b32_e32 v4, s13
	v_add_co_u32_e32 v2, vcc, s12, v2
	v_addc_co_u32_e32 v3, vcc, v4, v3, vcc
	v_add_co_u32_e32 v18, vcc, s4, v2
	v_mov_b32_e32 v2, s5
	v_addc_co_u32_e32 v19, vcc, v3, v2, vcc
	v_lshlrev_b32_e32 v2, 4, v0
	v_add_co_u32_e32 v8, vcc, v18, v2
	v_addc_co_u32_e32 v9, vcc, 0, v19, vcc
	s_lshl_b64 s[4:5], s[6:7], 4
	global_load_dwordx4 v[2:5], v[8:9], off
	v_add_co_u32_e32 v7, vcc, s4, v8
	buffer_store_dword v8, off, s[0:3], 0 offset:1024 ; 4-byte Folded Spill
	s_nop 0
	buffer_store_dword v9, off, s[0:3], 0 offset:1028 ; 4-byte Folded Spill
	v_mov_b32_e32 v6, s5
	s_add_i32 s4, s6, s6
	v_add_u32_e32 v20, s4, v0
	v_ashrrev_i32_e32 v21, 31, v20
	v_lshlrev_b64 v[10:11], 4, v[20:21]
	v_add_u32_e32 v24, s6, v20
	v_ashrrev_i32_e32 v25, 31, v24
	v_lshlrev_b64 v[20:21], 4, v[24:25]
	;; [unrolled: 3-line block ×10, first 2 shown]
	s_lshl_b32 s4, s8, 10
	s_add_i32 s4, s4, 0
	s_movk_i32 s12, 0xd0
	s_movk_i32 s66, 0x60
	s_movk_i32 s67, 0x70
	s_movk_i32 s13, 0xc0
	s_movk_i32 s68, 0x80
	s_movk_i32 s69, 0x90
	s_movk_i32 s70, 0xa0
	s_movk_i32 s71, 0xb0
	s_movk_i32 s14, 0xe0
	s_movk_i32 s15, 0xf0
	s_movk_i32 s16, 0x100
	s_movk_i32 s17, 0x110
	s_movk_i32 s18, 0x120
	s_movk_i32 s19, 0x130
	s_movk_i32 s20, 0x140
	s_movk_i32 s21, 0x150
	s_movk_i32 s22, 0x160
	s_movk_i32 s23, 0x170
	s_movk_i32 s24, 0x180
	s_movk_i32 s25, 0x190
	s_movk_i32 s26, 0x1a0
	s_movk_i32 s27, 0x1b0
	s_movk_i32 s28, 0x1c0
	s_movk_i32 s29, 0x1d0
	s_movk_i32 s30, 0x1e0
	s_movk_i32 s31, 0x1f0
	s_movk_i32 s33, 0x200
	s_movk_i32 s34, 0x210
	s_movk_i32 s35, 0x220
	s_movk_i32 s36, 0x230
	s_movk_i32 s37, 0x240
	s_movk_i32 s38, 0x250
	s_movk_i32 s39, 0x260
	s_movk_i32 s40, 0x270
	s_movk_i32 s41, 0x280
	s_movk_i32 s42, 0x290
	s_movk_i32 s43, 0x2a0
	s_movk_i32 s44, 0x2b0
	s_movk_i32 s45, 0x2c0
	s_movk_i32 s46, 0x2d0
	s_movk_i32 s47, 0x2e0
	s_movk_i32 s48, 0x2f0
	s_movk_i32 s49, 0x300
	s_movk_i32 s50, 0x310
	v_addc_co_u32_e32 v8, vcc, v9, v6, vcc
	buffer_store_dword v7, off, s[0:3], 0 offset:1032 ; 4-byte Folded Spill
	s_nop 0
	buffer_store_dword v8, off, s[0:3], 0 offset:1036 ; 4-byte Folded Spill
	v_add_co_u32_e32 v10, vcc, v18, v10
	v_addc_co_u32_e32 v11, vcc, v19, v11, vcc
	v_add_co_u32_e32 v14, vcc, v18, v20
	v_addc_co_u32_e32 v15, vcc, v19, v21, vcc
	s_movk_i32 s51, 0x320
	s_movk_i32 s52, 0x330
	;; [unrolled: 1-line block ×14, first 2 shown]
	global_load_dwordx4 v[6:9], v[7:8], off
	s_nop 0
	buffer_store_dword v10, off, s[0:3], 0 offset:1040 ; 4-byte Folded Spill
	s_nop 0
	buffer_store_dword v11, off, s[0:3], 0 offset:1044 ; 4-byte Folded Spill
	global_load_dwordx4 v[10:13], v[10:11], off
	s_nop 0
	buffer_store_dword v14, off, s[0:3], 0 offset:1048 ; 4-byte Folded Spill
	s_nop 0
	buffer_store_dword v15, off, s[0:3], 0 offset:1052 ; 4-byte Folded Spill
	global_load_dwordx4 v[20:23], v[14:15], off
	v_add_co_u32_e32 v14, vcc, v18, v24
	v_addc_co_u32_e32 v15, vcc, v19, v25, vcc
	buffer_store_dword v14, off, s[0:3], 0 offset:1056 ; 4-byte Folded Spill
	s_nop 0
	buffer_store_dword v15, off, s[0:3], 0 offset:1060 ; 4-byte Folded Spill
	global_load_dwordx4 v[24:27], v[14:15], off
	v_add_co_u32_e32 v14, vcc, v18, v28
	v_addc_co_u32_e32 v15, vcc, v19, v29, vcc
	;; [unrolled: 6-line block ×8, first 2 shown]
	buffer_store_dword v14, off, s[0:3], 0 offset:1112 ; 4-byte Folded Spill
	s_nop 0
	buffer_store_dword v15, off, s[0:3], 0 offset:1116 ; 4-byte Folded Spill
	global_load_dwordx4 v[52:55], v[14:15], off
	s_waitcnt vmcnt(35)
	buffer_store_dword v5, off, s[0:3], 0 offset:12
	buffer_store_dword v4, off, s[0:3], 0 offset:8
	;; [unrolled: 1-line block ×3, first 2 shown]
	buffer_store_dword v2, off, s[0:3], 0
	s_waitcnt vmcnt(34)
	buffer_store_dword v9, off, s[0:3], 0 offset:28
	buffer_store_dword v8, off, s[0:3], 0 offset:24
	buffer_store_dword v7, off, s[0:3], 0 offset:20
	buffer_store_dword v6, off, s[0:3], 0 offset:16
	s_waitcnt vmcnt(35)
	buffer_store_dword v13, off, s[0:3], 0 offset:44
	buffer_store_dword v12, off, s[0:3], 0 offset:40
	buffer_store_dword v11, off, s[0:3], 0 offset:36
	buffer_store_dword v10, off, s[0:3], 0 offset:32
	;; [unrolled: 5-line block ×11, first 2 shown]
	v_add_u32_e32 v6, s6, v56
	v_ashrrev_i32_e32 v7, 31, v6
	v_lshlrev_b64 v[2:3], 4, v[6:7]
	v_add_u32_e32 v10, s6, v6
	v_add_co_u32_e32 v2, vcc, v18, v2
	v_addc_co_u32_e32 v3, vcc, v19, v3, vcc
	buffer_store_dword v2, off, s[0:3], 0 offset:1224 ; 4-byte Folded Spill
	s_nop 0
	buffer_store_dword v3, off, s[0:3], 0 offset:1228 ; 4-byte Folded Spill
	v_ashrrev_i32_e32 v11, 31, v10
	v_lshlrev_b64 v[6:7], 4, v[10:11]
	v_add_u32_e32 v20, s6, v10
	v_add_co_u32_e32 v6, vcc, v18, v6
	v_addc_co_u32_e32 v7, vcc, v19, v7, vcc
	v_ashrrev_i32_e32 v21, 31, v20
	v_lshlrev_b64 v[10:11], 4, v[20:21]
	v_add_u32_e32 v24, s6, v20
	v_add_co_u32_e32 v10, vcc, v18, v10
	v_addc_co_u32_e32 v11, vcc, v19, v11, vcc
	;; [unrolled: 5-line block ×3, first 2 shown]
	v_ashrrev_i32_e32 v29, 31, v28
	v_lshlrev_b64 v[24:25], 4, v[28:29]
	v_add_u32_e32 v32, s6, v28
	v_ashrrev_i32_e32 v33, 31, v32
	v_lshlrev_b64 v[28:29], 4, v[32:33]
	v_add_u32_e32 v36, s6, v32
	;; [unrolled: 3-line block ×9, first 2 shown]
	v_ashrrev_i32_e32 v65, 31, v64
	v_lshlrev_b64 v[60:61], 4, v[64:65]
	global_load_dwordx4 v[2:5], v[2:3], off
	s_nop 0
	buffer_store_dword v6, off, s[0:3], 0 offset:1120 ; 4-byte Folded Spill
	s_nop 0
	buffer_store_dword v7, off, s[0:3], 0 offset:1124 ; 4-byte Folded Spill
	global_load_dwordx4 v[6:9], v[6:7], off
	s_nop 0
	buffer_store_dword v10, off, s[0:3], 0 offset:1128 ; 4-byte Folded Spill
	s_nop 0
	buffer_store_dword v11, off, s[0:3], 0 offset:1132 ; 4-byte Folded Spill
	;; [unrolled: 5-line block ×3, first 2 shown]
	global_load_dwordx4 v[20:23], v[14:15], off
	v_add_co_u32_e32 v14, vcc, v18, v24
	v_addc_co_u32_e32 v15, vcc, v19, v25, vcc
	buffer_store_dword v14, off, s[0:3], 0 offset:1176 ; 4-byte Folded Spill
	s_nop 0
	buffer_store_dword v15, off, s[0:3], 0 offset:1180 ; 4-byte Folded Spill
	global_load_dwordx4 v[24:27], v[14:15], off
	v_add_co_u32_e32 v14, vcc, v18, v28
	v_addc_co_u32_e32 v15, vcc, v19, v29, vcc
	buffer_store_dword v14, off, s[0:3], 0 offset:1144 ; 4-byte Folded Spill
	s_nop 0
	buffer_store_dword v15, off, s[0:3], 0 offset:1148 ; 4-byte Folded Spill
	;; [unrolled: 6-line block ×10, first 2 shown]
	global_load_dwordx4 v[60:63], v[14:15], off
	s_waitcnt vmcnt(39)
	buffer_store_dword v5, off, s[0:3], 0 offset:204
	buffer_store_dword v4, off, s[0:3], 0 offset:200
	buffer_store_dword v3, off, s[0:3], 0 offset:196
	buffer_store_dword v2, off, s[0:3], 0 offset:192
	s_waitcnt vmcnt(40)
	buffer_store_dword v9, off, s[0:3], 0 offset:220
	buffer_store_dword v8, off, s[0:3], 0 offset:216
	buffer_store_dword v7, off, s[0:3], 0 offset:212
	buffer_store_dword v6, off, s[0:3], 0 offset:208
	;; [unrolled: 5-line block ×14, first 2 shown]
	v_add_u32_e32 v6, s6, v64
	v_ashrrev_i32_e32 v7, 31, v6
	v_lshlrev_b64 v[2:3], 4, v[6:7]
	v_add_u32_e32 v10, s6, v6
	v_add_co_u32_e32 v2, vcc, v18, v2
	v_addc_co_u32_e32 v3, vcc, v19, v3, vcc
	buffer_store_dword v2, off, s[0:3], 0 offset:1280 ; 4-byte Folded Spill
	s_nop 0
	buffer_store_dword v3, off, s[0:3], 0 offset:1284 ; 4-byte Folded Spill
	v_ashrrev_i32_e32 v11, 31, v10
	v_lshlrev_b64 v[6:7], 4, v[10:11]
	v_add_u32_e32 v20, s6, v10
	v_add_co_u32_e32 v6, vcc, v18, v6
	v_addc_co_u32_e32 v7, vcc, v19, v7, vcc
	v_ashrrev_i32_e32 v21, 31, v20
	v_lshlrev_b64 v[10:11], 4, v[20:21]
	v_add_u32_e32 v24, s6, v20
	v_add_co_u32_e32 v10, vcc, v18, v10
	v_addc_co_u32_e32 v11, vcc, v19, v11, vcc
	;; [unrolled: 5-line block ×3, first 2 shown]
	v_ashrrev_i32_e32 v29, 31, v28
	v_lshlrev_b64 v[24:25], 4, v[28:29]
	v_add_u32_e32 v32, s6, v28
	v_ashrrev_i32_e32 v33, 31, v32
	v_lshlrev_b64 v[28:29], 4, v[32:33]
	v_add_u32_e32 v36, s6, v32
	;; [unrolled: 3-line block ×4, first 2 shown]
	v_ashrrev_i32_e32 v45, 31, v44
	v_lshlrev_b64 v[40:41], 4, v[44:45]
	global_load_dwordx4 v[2:5], v[2:3], off
	s_nop 0
	buffer_store_dword v6, off, s[0:3], 0 offset:1288 ; 4-byte Folded Spill
	s_nop 0
	buffer_store_dword v7, off, s[0:3], 0 offset:1292 ; 4-byte Folded Spill
	global_load_dwordx4 v[6:9], v[6:7], off
	s_nop 0
	buffer_store_dword v10, off, s[0:3], 0 offset:1296 ; 4-byte Folded Spill
	s_nop 0
	buffer_store_dword v11, off, s[0:3], 0 offset:1300 ; 4-byte Folded Spill
	;; [unrolled: 5-line block ×3, first 2 shown]
	global_load_dwordx4 v[20:23], v[14:15], off
	v_add_co_u32_e32 v14, vcc, v18, v24
	v_addc_co_u32_e32 v15, vcc, v19, v25, vcc
	buffer_store_dword v14, off, s[0:3], 0 offset:1264 ; 4-byte Folded Spill
	s_nop 0
	buffer_store_dword v15, off, s[0:3], 0 offset:1268 ; 4-byte Folded Spill
	global_load_dwordx4 v[24:27], v[14:15], off
	v_add_co_u32_e32 v14, vcc, v18, v28
	v_addc_co_u32_e32 v15, vcc, v19, v29, vcc
	buffer_store_dword v14, off, s[0:3], 0 offset:1240 ; 4-byte Folded Spill
	s_nop 0
	buffer_store_dword v15, off, s[0:3], 0 offset:1244 ; 4-byte Folded Spill
	;; [unrolled: 6-line block ×5, first 2 shown]
	global_load_dwordx4 v[40:43], v[14:15], off
	s_waitcnt vmcnt(24)
	buffer_store_dword v5, off, s[0:3], 0 offset:428
	buffer_store_dword v4, off, s[0:3], 0 offset:424
	buffer_store_dword v3, off, s[0:3], 0 offset:420
	buffer_store_dword v2, off, s[0:3], 0 offset:416
	s_waitcnt vmcnt(25)
	buffer_store_dword v9, off, s[0:3], 0 offset:444
	buffer_store_dword v8, off, s[0:3], 0 offset:440
	buffer_store_dword v7, off, s[0:3], 0 offset:436
	buffer_store_dword v6, off, s[0:3], 0 offset:432
	;; [unrolled: 5-line block ×9, first 2 shown]
	v_add_u32_e32 v6, s6, v44
	v_ashrrev_i32_e32 v7, 31, v6
	v_lshlrev_b64 v[2:3], 4, v[6:7]
	v_add_u32_e32 v10, s6, v6
	v_add_co_u32_e32 v2, vcc, v18, v2
	v_addc_co_u32_e32 v3, vcc, v19, v3, vcc
	buffer_store_dword v2, off, s[0:3], 0 offset:1304 ; 4-byte Folded Spill
	s_nop 0
	buffer_store_dword v3, off, s[0:3], 0 offset:1308 ; 4-byte Folded Spill
	v_ashrrev_i32_e32 v11, 31, v10
	v_lshlrev_b64 v[6:7], 4, v[10:11]
	v_add_u32_e32 v20, s6, v10
	v_add_co_u32_e32 v6, vcc, v18, v6
	v_addc_co_u32_e32 v7, vcc, v19, v7, vcc
	v_ashrrev_i32_e32 v21, 31, v20
	v_lshlrev_b64 v[10:11], 4, v[20:21]
	v_add_u32_e32 v24, s6, v20
	v_add_co_u32_e32 v10, vcc, v18, v10
	v_addc_co_u32_e32 v11, vcc, v19, v11, vcc
	;; [unrolled: 5-line block ×3, first 2 shown]
	v_ashrrev_i32_e32 v29, 31, v28
	v_lshlrev_b64 v[24:25], 4, v[28:29]
	v_add_u32_e32 v32, s6, v28
	v_ashrrev_i32_e32 v33, 31, v32
	v_lshlrev_b64 v[28:29], 4, v[32:33]
	global_load_dwordx4 v[2:5], v[2:3], off
	s_nop 0
	buffer_store_dword v6, off, s[0:3], 0 offset:1312 ; 4-byte Folded Spill
	s_nop 0
	buffer_store_dword v7, off, s[0:3], 0 offset:1316 ; 4-byte Folded Spill
	global_load_dwordx4 v[6:9], v[6:7], off
	s_nop 0
	buffer_store_dword v10, off, s[0:3], 0 offset:1320 ; 4-byte Folded Spill
	s_nop 0
	buffer_store_dword v11, off, s[0:3], 0 offset:1324 ; 4-byte Folded Spill
	;; [unrolled: 5-line block ×3, first 2 shown]
	global_load_dwordx4 v[20:23], v[14:15], off
	v_add_co_u32_e32 v14, vcc, v18, v24
	v_addc_co_u32_e32 v15, vcc, v19, v25, vcc
	buffer_store_dword v14, off, s[0:3], 0 offset:1336 ; 4-byte Folded Spill
	s_nop 0
	buffer_store_dword v15, off, s[0:3], 0 offset:1340 ; 4-byte Folded Spill
	global_load_dwordx4 v[24:27], v[14:15], off
	v_add_co_u32_e32 v14, vcc, v18, v28
	v_addc_co_u32_e32 v15, vcc, v19, v29, vcc
	buffer_store_dword v14, off, s[0:3], 0 offset:1344 ; 4-byte Folded Spill
	s_nop 0
	buffer_store_dword v15, off, s[0:3], 0 offset:1348 ; 4-byte Folded Spill
	global_load_dwordx4 v[28:31], v[14:15], off
	s_waitcnt vmcnt(15)
	buffer_store_dword v5, off, s[0:3], 0 offset:572
	buffer_store_dword v4, off, s[0:3], 0 offset:568
	buffer_store_dword v3, off, s[0:3], 0 offset:564
	buffer_store_dword v2, off, s[0:3], 0 offset:560
	s_waitcnt vmcnt(16)
	buffer_store_dword v9, off, s[0:3], 0 offset:588
	buffer_store_dword v8, off, s[0:3], 0 offset:584
	buffer_store_dword v7, off, s[0:3], 0 offset:580
	buffer_store_dword v6, off, s[0:3], 0 offset:576
	;; [unrolled: 5-line block ×6, first 2 shown]
	v_add_u32_e32 v6, s6, v32
	v_ashrrev_i32_e32 v7, 31, v6
	v_lshlrev_b64 v[2:3], 4, v[6:7]
	v_add_u32_e32 v10, s6, v6
	v_add_co_u32_e32 v2, vcc, v18, v2
	v_addc_co_u32_e32 v3, vcc, v19, v3, vcc
	buffer_store_dword v2, off, s[0:3], 0 offset:1384 ; 4-byte Folded Spill
	s_nop 0
	buffer_store_dword v3, off, s[0:3], 0 offset:1388 ; 4-byte Folded Spill
	v_ashrrev_i32_e32 v11, 31, v10
	v_lshlrev_b64 v[6:7], 4, v[10:11]
	v_add_u32_e32 v20, s6, v10
	v_add_co_u32_e32 v6, vcc, v18, v6
	v_addc_co_u32_e32 v7, vcc, v19, v7, vcc
	v_ashrrev_i32_e32 v21, 31, v20
	v_lshlrev_b64 v[10:11], 4, v[20:21]
	v_add_u32_e32 v24, s6, v20
	v_add_co_u32_e32 v10, vcc, v18, v10
	v_addc_co_u32_e32 v11, vcc, v19, v11, vcc
	v_ashrrev_i32_e32 v25, 31, v24
	v_lshlrev_b64 v[20:21], 4, v[24:25]
	v_add_co_u32_e32 v14, vcc, v18, v20
	v_addc_co_u32_e32 v15, vcc, v19, v21, vcc
	global_load_dwordx4 v[2:5], v[2:3], off
	s_nop 0
	buffer_store_dword v6, off, s[0:3], 0 offset:1400 ; 4-byte Folded Spill
	s_nop 0
	buffer_store_dword v7, off, s[0:3], 0 offset:1404 ; 4-byte Folded Spill
	global_load_dwordx4 v[6:9], v[6:7], off
	s_nop 0
	buffer_store_dword v10, off, s[0:3], 0 offset:1352 ; 4-byte Folded Spill
	s_nop 0
	buffer_store_dword v11, off, s[0:3], 0 offset:1356 ; 4-byte Folded Spill
	global_load_dwordx4 v[10:13], v[10:11], off
	s_nop 0
	buffer_store_dword v14, off, s[0:3], 0 offset:1360 ; 4-byte Folded Spill
	s_nop 0
	buffer_store_dword v15, off, s[0:3], 0 offset:1364 ; 4-byte Folded Spill
	global_load_dwordx4 v[20:23], v[14:15], off
	s_waitcnt vmcnt(9)
	buffer_store_dword v5, off, s[0:3], 0 offset:668
	buffer_store_dword v4, off, s[0:3], 0 offset:664
	buffer_store_dword v3, off, s[0:3], 0 offset:660
	buffer_store_dword v2, off, s[0:3], 0 offset:656
	s_waitcnt vmcnt(10)
	buffer_store_dword v9, off, s[0:3], 0 offset:684
	buffer_store_dword v8, off, s[0:3], 0 offset:680
	buffer_store_dword v7, off, s[0:3], 0 offset:676
	buffer_store_dword v6, off, s[0:3], 0 offset:672
	;; [unrolled: 5-line block ×4, first 2 shown]
	v_add_u32_e32 v6, s6, v24
	v_ashrrev_i32_e32 v7, 31, v6
	v_lshlrev_b64 v[2:3], 4, v[6:7]
	v_add_u32_e32 v10, s6, v6
	v_add_co_u32_e32 v2, vcc, v18, v2
	v_addc_co_u32_e32 v3, vcc, v19, v3, vcc
	buffer_store_dword v2, off, s[0:3], 0 offset:1376 ; 4-byte Folded Spill
	s_nop 0
	buffer_store_dword v3, off, s[0:3], 0 offset:1380 ; 4-byte Folded Spill
	v_ashrrev_i32_e32 v11, 31, v10
	v_lshlrev_b64 v[6:7], 4, v[10:11]
	v_add_u32_e32 v20, s6, v10
	v_add_co_u32_e32 v6, vcc, v18, v6
	v_addc_co_u32_e32 v7, vcc, v19, v7, vcc
	v_ashrrev_i32_e32 v21, 31, v20
	v_lshlrev_b64 v[10:11], 4, v[20:21]
	v_add_co_u32_e32 v10, vcc, v18, v10
	v_addc_co_u32_e32 v11, vcc, v19, v11, vcc
	global_load_dwordx4 v[2:5], v[2:3], off
	s_nop 0
	buffer_store_dword v6, off, s[0:3], 0 offset:1392 ; 4-byte Folded Spill
	s_nop 0
	buffer_store_dword v7, off, s[0:3], 0 offset:1396 ; 4-byte Folded Spill
	global_load_dwordx4 v[6:9], v[6:7], off
	s_nop 0
	buffer_store_dword v10, off, s[0:3], 0 offset:1368 ; 4-byte Folded Spill
	s_nop 0
	buffer_store_dword v11, off, s[0:3], 0 offset:1372 ; 4-byte Folded Spill
	global_load_dwordx4 v[10:13], v[10:11], off
	s_waitcnt vmcnt(6)
	buffer_store_dword v5, off, s[0:3], 0 offset:732
	buffer_store_dword v4, off, s[0:3], 0 offset:728
	buffer_store_dword v3, off, s[0:3], 0 offset:724
	buffer_store_dword v2, off, s[0:3], 0 offset:720
	s_waitcnt vmcnt(7)
	buffer_store_dword v9, off, s[0:3], 0 offset:748
	buffer_store_dword v8, off, s[0:3], 0 offset:744
	buffer_store_dword v7, off, s[0:3], 0 offset:740
	buffer_store_dword v6, off, s[0:3], 0 offset:736
	;; [unrolled: 5-line block ×3, first 2 shown]
	v_add_u32_e32 v6, s6, v20
	v_ashrrev_i32_e32 v7, 31, v6
	v_lshlrev_b64 v[2:3], 4, v[6:7]
	v_add_u32_e32 v10, s6, v6
	v_add_co_u32_e32 v2, vcc, v18, v2
	v_addc_co_u32_e32 v3, vcc, v19, v3, vcc
	buffer_store_dword v2, off, s[0:3], 0 offset:1408 ; 4-byte Folded Spill
	s_nop 0
	buffer_store_dword v3, off, s[0:3], 0 offset:1412 ; 4-byte Folded Spill
	v_ashrrev_i32_e32 v11, 31, v10
	v_lshlrev_b64 v[6:7], 4, v[10:11]
	v_lshl_add_u32 v11, v1, 4, s4
	v_add_co_u32_e32 v6, vcc, v18, v6
	v_addc_co_u32_e32 v7, vcc, v19, v7, vcc
	v_cmp_eq_u32_e64 s[4:5], 0, v0
	global_load_dwordx4 v[2:5], v[2:3], off
	s_nop 0
	buffer_store_dword v6, off, s[0:3], 0 offset:1424 ; 4-byte Folded Spill
	s_nop 0
	buffer_store_dword v7, off, s[0:3], 0 offset:1428 ; 4-byte Folded Spill
	global_load_dwordx4 v[6:9], v[6:7], off
	s_waitcnt vmcnt(3)
	buffer_store_dword v5, off, s[0:3], 0 offset:780
	buffer_store_dword v4, off, s[0:3], 0 offset:776
	;; [unrolled: 1-line block ×4, first 2 shown]
	s_waitcnt vmcnt(4)
	buffer_store_dword v9, off, s[0:3], 0 offset:796
	buffer_store_dword v8, off, s[0:3], 0 offset:792
	;; [unrolled: 1-line block ×4, first 2 shown]
	v_add_u32_e32 v6, s6, v10
	v_ashrrev_i32_e32 v7, 31, v6
	v_lshlrev_b64 v[2:3], 4, v[6:7]
	v_add_u32_e32 v6, s6, v6
	v_add_co_u32_e32 v2, vcc, v18, v2
	v_addc_co_u32_e32 v3, vcc, v19, v3, vcc
	buffer_store_dword v2, off, s[0:3], 0 offset:1440 ; 4-byte Folded Spill
	s_nop 0
	buffer_store_dword v3, off, s[0:3], 0 offset:1444 ; 4-byte Folded Spill
	v_ashrrev_i32_e32 v7, 31, v6
	global_load_dwordx4 v[2:5], v[2:3], off
	s_waitcnt vmcnt(0)
	buffer_store_dword v5, off, s[0:3], 0 offset:812
	buffer_store_dword v4, off, s[0:3], 0 offset:808
	buffer_store_dword v3, off, s[0:3], 0 offset:804
	buffer_store_dword v2, off, s[0:3], 0 offset:800
	v_lshlrev_b64 v[2:3], 4, v[6:7]
	v_add_u32_e32 v6, s6, v6
	v_add_co_u32_e32 v2, vcc, v18, v2
	v_addc_co_u32_e32 v3, vcc, v19, v3, vcc
	buffer_store_dword v2, off, s[0:3], 0 offset:1432 ; 4-byte Folded Spill
	s_nop 0
	buffer_store_dword v3, off, s[0:3], 0 offset:1436 ; 4-byte Folded Spill
	v_ashrrev_i32_e32 v7, 31, v6
	global_load_dwordx4 v[2:5], v[2:3], off
	s_waitcnt vmcnt(0)
	buffer_store_dword v5, off, s[0:3], 0 offset:828
	buffer_store_dword v4, off, s[0:3], 0 offset:824
	buffer_store_dword v3, off, s[0:3], 0 offset:820
	buffer_store_dword v2, off, s[0:3], 0 offset:816
	;; [unrolled: 14-line block ×12, first 2 shown]
	v_lshlrev_b64 v[2:3], 4, v[6:7]
	v_add_co_u32_e32 v2, vcc, v18, v2
	v_addc_co_u32_e32 v3, vcc, v19, v3, vcc
	buffer_store_dword v2, off, s[0:3], 0 offset:1528 ; 4-byte Folded Spill
	s_nop 0
	buffer_store_dword v3, off, s[0:3], 0 offset:1532 ; 4-byte Folded Spill
	global_load_dwordx4 v[2:5], v[2:3], off
	s_waitcnt vmcnt(0)
	buffer_store_dword v5, off, s[0:3], 0 offset:1004
	buffer_store_dword v4, off, s[0:3], 0 offset:1000
	;; [unrolled: 1-line block ×4, first 2 shown]
	v_add_u32_e32 v2, s6, v6
	v_ashrrev_i32_e32 v3, 31, v2
	v_lshlrev_b64 v[2:3], 4, v[2:3]
	v_cmp_ne_u32_e64 s[6:7], 0, v0
	v_add_co_u32_e32 v2, vcc, v18, v2
	v_addc_co_u32_e32 v3, vcc, v19, v3, vcc
	buffer_store_dword v2, off, s[0:3], 0 offset:1416 ; 4-byte Folded Spill
	s_nop 0
	buffer_store_dword v3, off, s[0:3], 0 offset:1420 ; 4-byte Folded Spill
	global_load_dwordx4 v[2:5], v[2:3], off
	s_waitcnt vmcnt(0)
	buffer_store_dword v5, off, s[0:3], 0 offset:1020
	buffer_store_dword v4, off, s[0:3], 0 offset:1016
	;; [unrolled: 1-line block ×4, first 2 shown]
	v_lshlrev_b32_e32 v2, 10, v1
	v_add_u32_e32 v12, 0, v2
	s_and_saveexec_b64 s[10:11], s[4:5]
	s_cbranch_execz .LBB127_10
; %bb.2:
	buffer_load_dword v1, off, s[0:3], 0 offset:1024 ; 4-byte Folded Reload
	buffer_load_dword v2, off, s[0:3], 0 offset:1028 ; 4-byte Folded Reload
	s_mov_b32 s8, 16
	s_waitcnt vmcnt(0)
	global_load_dwordx4 v[1:4], v[1:2], off
	s_waitcnt vmcnt(0)
	ds_write2_b64 v11, v[1:2], v[3:4] offset1:1
.LBB127_3:                              ; =>This Inner Loop Header: Depth=1
	v_mov_b32_e32 v13, s8
	buffer_load_dword v1, v13, s[0:3], 0 offen
	buffer_load_dword v2, v13, s[0:3], 0 offen offset:4
	buffer_load_dword v3, v13, s[0:3], 0 offen offset:8
	;; [unrolled: 1-line block ×15, first 2 shown]
	v_add_u32_e32 v14, s8, v12
	s_addk_i32 s8, 0x90
	s_cmpk_eq_i32 s8, 0x400
	s_waitcnt vmcnt(12)
	ds_write2_b64 v14, v[1:2], v[3:4] offset1:1
	s_waitcnt vmcnt(8)
	ds_write2_b64 v14, v[5:6], v[7:8] offset0:2 offset1:3
	s_waitcnt vmcnt(4)
	ds_write2_b64 v14, v[9:10], v[18:19] offset0:4 offset1:5
	;; [unrolled: 2-line block ×3, first 2 shown]
	buffer_load_dword v2, v13, s[0:3], 0 offen offset:76
	buffer_load_dword v1, v13, s[0:3], 0 offen offset:72
	buffer_load_dword v4, v13, s[0:3], 0 offen offset:68
	buffer_load_dword v3, v13, s[0:3], 0 offen offset:64
	s_waitcnt vmcnt(0)
	ds_write2_b64 v14, v[3:4], v[1:2] offset0:8 offset1:9
	buffer_load_dword v2, v13, s[0:3], 0 offen offset:92
	buffer_load_dword v1, v13, s[0:3], 0 offen offset:88
	buffer_load_dword v4, v13, s[0:3], 0 offen offset:84
	buffer_load_dword v3, v13, s[0:3], 0 offen offset:80
	s_waitcnt vmcnt(0)
	ds_write2_b64 v14, v[3:4], v[1:2] offset0:10 offset1:11
	;; [unrolled: 6-line block ×5, first 2 shown]
	s_cbranch_scc0 .LBB127_3
; %bb.4:
	ds_read2_b64 v[1:4], v11 offset1:1
	s_waitcnt lgkmcnt(0)
	v_cmp_neq_f64_e32 vcc, 0, v[1:2]
	v_cmp_neq_f64_e64 s[8:9], 0, v[3:4]
	s_or_b64 s[8:9], vcc, s[8:9]
	s_and_b64 exec, exec, s[8:9]
	s_cbranch_execz .LBB127_10
; %bb.5:
	v_cmp_ngt_f64_e64 s[8:9], |v[1:2]|, |v[3:4]|
                                        ; implicit-def: $vgpr5_vgpr6
	s_and_saveexec_b64 s[72:73], s[8:9]
	s_xor_b64 s[8:9], exec, s[72:73]
                                        ; implicit-def: $vgpr7_vgpr8
	s_cbranch_execz .LBB127_7
; %bb.6:
	v_div_scale_f64 v[5:6], s[72:73], v[3:4], v[3:4], v[1:2]
	v_rcp_f64_e32 v[7:8], v[5:6]
	v_fma_f64 v[9:10], -v[5:6], v[7:8], 1.0
	v_fma_f64 v[7:8], v[7:8], v[9:10], v[7:8]
	v_div_scale_f64 v[9:10], vcc, v[1:2], v[3:4], v[1:2]
	v_fma_f64 v[18:19], -v[5:6], v[7:8], 1.0
	v_fma_f64 v[7:8], v[7:8], v[18:19], v[7:8]
	v_mul_f64 v[18:19], v[9:10], v[7:8]
	v_fma_f64 v[5:6], -v[5:6], v[18:19], v[9:10]
	v_div_fmas_f64 v[5:6], v[5:6], v[7:8], v[18:19]
	v_div_fixup_f64 v[5:6], v[5:6], v[3:4], v[1:2]
	v_fma_f64 v[1:2], v[1:2], v[5:6], v[3:4]
	v_div_scale_f64 v[3:4], s[72:73], v[1:2], v[1:2], 1.0
	v_div_scale_f64 v[18:19], vcc, 1.0, v[1:2], 1.0
	v_rcp_f64_e32 v[7:8], v[3:4]
	v_fma_f64 v[9:10], -v[3:4], v[7:8], 1.0
	v_fma_f64 v[7:8], v[7:8], v[9:10], v[7:8]
	v_fma_f64 v[9:10], -v[3:4], v[7:8], 1.0
	v_fma_f64 v[7:8], v[7:8], v[9:10], v[7:8]
	v_mul_f64 v[9:10], v[18:19], v[7:8]
	v_fma_f64 v[3:4], -v[3:4], v[9:10], v[18:19]
	v_div_fmas_f64 v[3:4], v[3:4], v[7:8], v[9:10]
	v_div_fixup_f64 v[7:8], v[3:4], v[1:2], 1.0
                                        ; implicit-def: $vgpr1_vgpr2
	v_mul_f64 v[5:6], v[5:6], v[7:8]
	v_xor_b32_e32 v8, 0x80000000, v8
.LBB127_7:
	s_andn2_saveexec_b64 s[8:9], s[8:9]
	s_cbranch_execz .LBB127_9
; %bb.8:
	v_div_scale_f64 v[5:6], s[72:73], v[1:2], v[1:2], v[3:4]
	v_rcp_f64_e32 v[7:8], v[5:6]
	v_fma_f64 v[9:10], -v[5:6], v[7:8], 1.0
	v_fma_f64 v[7:8], v[7:8], v[9:10], v[7:8]
	v_div_scale_f64 v[9:10], vcc, v[3:4], v[1:2], v[3:4]
	v_fma_f64 v[18:19], -v[5:6], v[7:8], 1.0
	v_fma_f64 v[7:8], v[7:8], v[18:19], v[7:8]
	v_mul_f64 v[18:19], v[9:10], v[7:8]
	v_fma_f64 v[5:6], -v[5:6], v[18:19], v[9:10]
	v_div_fmas_f64 v[5:6], v[5:6], v[7:8], v[18:19]
	v_div_fixup_f64 v[7:8], v[5:6], v[1:2], v[3:4]
	v_fma_f64 v[1:2], v[3:4], v[7:8], v[1:2]
	v_div_scale_f64 v[3:4], s[72:73], v[1:2], v[1:2], 1.0
	v_div_scale_f64 v[18:19], vcc, 1.0, v[1:2], 1.0
	v_rcp_f64_e32 v[5:6], v[3:4]
	v_fma_f64 v[9:10], -v[3:4], v[5:6], 1.0
	v_fma_f64 v[5:6], v[5:6], v[9:10], v[5:6]
	v_fma_f64 v[9:10], -v[3:4], v[5:6], 1.0
	v_fma_f64 v[5:6], v[5:6], v[9:10], v[5:6]
	v_mul_f64 v[9:10], v[18:19], v[5:6]
	v_fma_f64 v[3:4], -v[3:4], v[9:10], v[18:19]
	v_div_fmas_f64 v[3:4], v[3:4], v[5:6], v[9:10]
	v_div_fixup_f64 v[5:6], v[3:4], v[1:2], 1.0
	v_mul_f64 v[7:8], v[7:8], -v[5:6]
.LBB127_9:
	s_or_b64 exec, exec, s[8:9]
	ds_write2_b64 v11, v[5:6], v[7:8] offset1:1
.LBB127_10:
	s_or_b64 exec, exec, s[10:11]
	s_mov_b32 s8, 16
                                        ; implicit-def: $vgpr126 : SGPR spill to VGPR lane
	s_waitcnt lgkmcnt(0)
	v_writelane_b32 v126, s8, 0
	s_mov_b32 s8, 32
	v_writelane_b32 v126, s8, 1
	s_mov_b32 s8, 48
	;; [unrolled: 2-line block ×4, first 2 shown]
	s_waitcnt vmcnt(0)
	s_barrier
	ds_read2_b64 v[1:4], v11 offset1:1
	v_writelane_b32 v126, s8, 4
	s_mov_b32 s8, s66
	v_writelane_b32 v126, s8, 5
	s_mov_b32 s8, s67
	;; [unrolled: 2-line block ×4, first 2 shown]
	s_mov_b32 s96, s70
	s_mov_b32 s95, s71
	;; [unrolled: 1-line block ×53, first 2 shown]
	s_waitcnt lgkmcnt(0)
	buffer_store_dword v1, off, s[0:3], 0 offset:1536 ; 4-byte Folded Spill
	s_nop 0
	buffer_store_dword v2, off, s[0:3], 0 offset:1540 ; 4-byte Folded Spill
	buffer_store_dword v3, off, s[0:3], 0 offset:1544 ; 4-byte Folded Spill
	buffer_store_dword v4, off, s[0:3], 0 offset:1548 ; 4-byte Folded Spill
	s_and_saveexec_b64 s[8:9], s[6:7]
	s_cbranch_execz .LBB127_13
; %bb.11:
	buffer_load_dword v1, off, s[0:3], 0 offset:8
	buffer_load_dword v2, off, s[0:3], 0 offset:12
	buffer_load_dword v3, off, s[0:3], 0
	buffer_load_dword v4, off, s[0:3], 0 offset:4
	buffer_load_dword v18, off, s[0:3], 0 offset:1536 ; 4-byte Folded Reload
	buffer_load_dword v19, off, s[0:3], 0 offset:1540 ; 4-byte Folded Reload
	;; [unrolled: 1-line block ×4, first 2 shown]
	s_mov_b32 s6, 16
	s_waitcnt vmcnt(2)
	v_mul_f64 v[7:8], v[18:19], v[1:2]
	s_waitcnt vmcnt(0)
	v_mul_f64 v[5:6], v[20:21], v[1:2]
	v_fma_f64 v[1:2], v[18:19], v[3:4], -v[5:6]
	v_fma_f64 v[3:4], v[20:21], v[3:4], v[7:8]
	buffer_store_dword v1, off, s[0:3], 0
	buffer_store_dword v2, off, s[0:3], 0 offset:4
	buffer_store_dword v3, off, s[0:3], 0 offset:8
	;; [unrolled: 1-line block ×3, first 2 shown]
.LBB127_12:                             ; =>This Inner Loop Header: Depth=1
	v_add_u32_e32 v6, s6, v12
	ds_read2_b64 v[7:10], v6 offset1:1
	v_mov_b32_e32 v5, s6
	s_addk_i32 s6, 0x70
	s_cmpk_lg_i32 s6, 0x400
	s_waitcnt lgkmcnt(0)
	v_mul_f64 v[18:19], v[9:10], v[3:4]
	v_fma_f64 v[18:19], v[7:8], v[1:2], -v[18:19]
	v_mul_f64 v[7:8], v[7:8], v[3:4]
	v_fma_f64 v[7:8], v[9:10], v[1:2], v[7:8]
	buffer_load_dword v9, v5, s[0:3], 0 offen
	buffer_load_dword v10, v5, s[0:3], 0 offen offset:4
	buffer_load_dword v20, v5, s[0:3], 0 offen offset:8
	;; [unrolled: 1-line block ×15, first 2 shown]
	s_waitcnt vmcnt(14)
	v_add_f64 v[9:10], v[9:10], -v[18:19]
	s_waitcnt vmcnt(12)
	v_add_f64 v[7:8], v[20:21], -v[7:8]
	buffer_store_dword v9, v5, s[0:3], 0 offen
	buffer_store_dword v10, v5, s[0:3], 0 offen offset:4
	buffer_store_dword v7, v5, s[0:3], 0 offen offset:8
	buffer_store_dword v8, v5, s[0:3], 0 offen offset:12
	ds_read2_b64 v[7:10], v6 offset0:2 offset1:3
	s_waitcnt lgkmcnt(0)
	v_mul_f64 v[18:19], v[9:10], v[3:4]
	v_fma_f64 v[18:19], v[7:8], v[1:2], -v[18:19]
	v_mul_f64 v[7:8], v[7:8], v[3:4]
	v_fma_f64 v[7:8], v[9:10], v[1:2], v[7:8]
	s_waitcnt vmcnt(14)
	v_add_f64 v[9:10], v[22:23], -v[18:19]
	s_waitcnt vmcnt(12)
	v_add_f64 v[7:8], v[24:25], -v[7:8]
	buffer_store_dword v9, v5, s[0:3], 0 offen offset:16
	buffer_store_dword v10, v5, s[0:3], 0 offen offset:20
	buffer_store_dword v7, v5, s[0:3], 0 offen offset:24
	buffer_store_dword v8, v5, s[0:3], 0 offen offset:28
	ds_read2_b64 v[7:10], v6 offset0:4 offset1:5
	s_waitcnt lgkmcnt(0)
	v_mul_f64 v[18:19], v[9:10], v[3:4]
	v_fma_f64 v[18:19], v[7:8], v[1:2], -v[18:19]
	v_mul_f64 v[7:8], v[7:8], v[3:4]
	v_fma_f64 v[7:8], v[9:10], v[1:2], v[7:8]
	s_waitcnt vmcnt(14)
	v_add_f64 v[9:10], v[26:27], -v[18:19]
	s_waitcnt vmcnt(12)
	v_add_f64 v[7:8], v[28:29], -v[7:8]
	buffer_store_dword v9, v5, s[0:3], 0 offen offset:32
	;; [unrolled: 14-line block ×3, first 2 shown]
	buffer_store_dword v9, v5, s[0:3], 0 offen offset:48
	buffer_store_dword v7, v5, s[0:3], 0 offen offset:56
	buffer_store_dword v8, v5, s[0:3], 0 offen offset:60
	ds_read2_b64 v[7:10], v6 offset0:8 offset1:9
	s_waitcnt lgkmcnt(0)
	v_mul_f64 v[18:19], v[9:10], v[3:4]
	v_fma_f64 v[18:19], v[7:8], v[1:2], -v[18:19]
	v_mul_f64 v[7:8], v[7:8], v[3:4]
	v_fma_f64 v[7:8], v[9:10], v[1:2], v[7:8]
	buffer_load_dword v9, v5, s[0:3], 0 offen offset:64
	buffer_load_dword v10, v5, s[0:3], 0 offen offset:68
	buffer_load_dword v20, v5, s[0:3], 0 offen offset:72
	buffer_load_dword v21, v5, s[0:3], 0 offen offset:76
	s_waitcnt vmcnt(2)
	v_add_f64 v[9:10], v[9:10], -v[18:19]
	s_waitcnt vmcnt(0)
	v_add_f64 v[7:8], v[20:21], -v[7:8]
	buffer_store_dword v10, v5, s[0:3], 0 offen offset:68
	buffer_store_dword v9, v5, s[0:3], 0 offen offset:64
	buffer_store_dword v8, v5, s[0:3], 0 offen offset:76
	buffer_store_dword v7, v5, s[0:3], 0 offen offset:72
	ds_read2_b64 v[7:10], v6 offset0:10 offset1:11
	s_waitcnt lgkmcnt(0)
	v_mul_f64 v[18:19], v[9:10], v[3:4]
	v_fma_f64 v[18:19], v[7:8], v[1:2], -v[18:19]
	v_mul_f64 v[7:8], v[7:8], v[3:4]
	v_fma_f64 v[7:8], v[9:10], v[1:2], v[7:8]
	buffer_load_dword v9, v5, s[0:3], 0 offen offset:80
	buffer_load_dword v10, v5, s[0:3], 0 offen offset:84
	buffer_load_dword v20, v5, s[0:3], 0 offen offset:88
	buffer_load_dword v21, v5, s[0:3], 0 offen offset:92
	s_waitcnt vmcnt(2)
	v_add_f64 v[9:10], v[9:10], -v[18:19]
	s_waitcnt vmcnt(0)
	v_add_f64 v[7:8], v[20:21], -v[7:8]
	buffer_store_dword v10, v5, s[0:3], 0 offen offset:84
	;; [unrolled: 18-line block ×3, first 2 shown]
	buffer_store_dword v8, v5, s[0:3], 0 offen offset:96
	buffer_store_dword v7, v5, s[0:3], 0 offen offset:108
	;; [unrolled: 1-line block ×3, first 2 shown]
	s_cbranch_scc1 .LBB127_12
.LBB127_13:
	s_or_b64 exec, exec, s[8:9]
	v_cmp_eq_u32_e32 vcc, 1, v0
	s_waitcnt vmcnt(0)
	s_barrier
	s_and_saveexec_b64 s[8:9], vcc
	s_cbranch_execz .LBB127_22
; %bb.14:
	v_readlane_b32 s6, v126, 0
	v_mov_b32_e32 v4, s6
	buffer_load_dword v1, v4, s[0:3], 0 offen
	buffer_load_dword v2, v4, s[0:3], 0 offen offset:4
	buffer_load_dword v3, v4, s[0:3], 0 offen offset:8
	s_nop 0
	buffer_load_dword v4, v4, s[0:3], 0 offen offset:12
	s_mov_b32 s6, 32
	s_waitcnt vmcnt(0)
	ds_write2_b64 v11, v[1:2], v[3:4] offset1:1
.LBB127_15:                             ; =>This Inner Loop Header: Depth=1
	v_mov_b32_e32 v8, s6
	buffer_load_dword v1, v8, s[0:3], 0 offen
	buffer_load_dword v2, v8, s[0:3], 0 offen offset:4
	buffer_load_dword v3, v8, s[0:3], 0 offen offset:8
	;; [unrolled: 1-line block ×6, first 2 shown]
	s_nop 0
	buffer_load_dword v8, v8, s[0:3], 0 offen offset:28
	v_add_u32_e32 v9, s6, v12
	s_add_i32 s6, s6, 32
	s_cmpk_lg_i32 s6, 0x400
	s_waitcnt vmcnt(4)
	ds_write2_b64 v9, v[1:2], v[3:4] offset1:1
	s_waitcnt vmcnt(0)
	ds_write2_b64 v9, v[5:6], v[7:8] offset0:2 offset1:3
	s_cbranch_scc1 .LBB127_15
; %bb.16:
	ds_read2_b64 v[1:4], v11 offset1:1
	s_waitcnt lgkmcnt(0)
	v_cmp_neq_f64_e32 vcc, 0, v[1:2]
	v_cmp_neq_f64_e64 s[6:7], 0, v[3:4]
	s_or_b64 s[6:7], vcc, s[6:7]
	s_and_b64 exec, exec, s[6:7]
	s_cbranch_execz .LBB127_22
; %bb.17:
	v_cmp_ngt_f64_e64 s[6:7], |v[1:2]|, |v[3:4]|
                                        ; implicit-def: $vgpr5_vgpr6
	s_and_saveexec_b64 s[10:11], s[6:7]
	s_xor_b64 s[6:7], exec, s[10:11]
                                        ; implicit-def: $vgpr7_vgpr8
	s_cbranch_execz .LBB127_19
; %bb.18:
	v_div_scale_f64 v[5:6], s[10:11], v[3:4], v[3:4], v[1:2]
	v_rcp_f64_e32 v[7:8], v[5:6]
	v_fma_f64 v[9:10], -v[5:6], v[7:8], 1.0
	v_fma_f64 v[7:8], v[7:8], v[9:10], v[7:8]
	v_div_scale_f64 v[9:10], vcc, v[1:2], v[3:4], v[1:2]
	v_fma_f64 v[18:19], -v[5:6], v[7:8], 1.0
	v_fma_f64 v[7:8], v[7:8], v[18:19], v[7:8]
	v_mul_f64 v[18:19], v[9:10], v[7:8]
	v_fma_f64 v[5:6], -v[5:6], v[18:19], v[9:10]
	v_div_fmas_f64 v[5:6], v[5:6], v[7:8], v[18:19]
	v_div_fixup_f64 v[5:6], v[5:6], v[3:4], v[1:2]
	v_fma_f64 v[1:2], v[1:2], v[5:6], v[3:4]
	v_div_scale_f64 v[3:4], s[10:11], v[1:2], v[1:2], 1.0
	v_div_scale_f64 v[18:19], vcc, 1.0, v[1:2], 1.0
	v_rcp_f64_e32 v[7:8], v[3:4]
	v_fma_f64 v[9:10], -v[3:4], v[7:8], 1.0
	v_fma_f64 v[7:8], v[7:8], v[9:10], v[7:8]
	v_fma_f64 v[9:10], -v[3:4], v[7:8], 1.0
	v_fma_f64 v[7:8], v[7:8], v[9:10], v[7:8]
	v_mul_f64 v[9:10], v[18:19], v[7:8]
	v_fma_f64 v[3:4], -v[3:4], v[9:10], v[18:19]
	v_div_fmas_f64 v[3:4], v[3:4], v[7:8], v[9:10]
	v_div_fixup_f64 v[7:8], v[3:4], v[1:2], 1.0
                                        ; implicit-def: $vgpr1_vgpr2
	v_mul_f64 v[5:6], v[5:6], v[7:8]
	v_xor_b32_e32 v8, 0x80000000, v8
.LBB127_19:
	s_andn2_saveexec_b64 s[6:7], s[6:7]
	s_cbranch_execz .LBB127_21
; %bb.20:
	v_div_scale_f64 v[5:6], s[10:11], v[1:2], v[1:2], v[3:4]
	v_rcp_f64_e32 v[7:8], v[5:6]
	v_fma_f64 v[9:10], -v[5:6], v[7:8], 1.0
	v_fma_f64 v[7:8], v[7:8], v[9:10], v[7:8]
	v_div_scale_f64 v[9:10], vcc, v[3:4], v[1:2], v[3:4]
	v_fma_f64 v[18:19], -v[5:6], v[7:8], 1.0
	v_fma_f64 v[7:8], v[7:8], v[18:19], v[7:8]
	v_mul_f64 v[18:19], v[9:10], v[7:8]
	v_fma_f64 v[5:6], -v[5:6], v[18:19], v[9:10]
	v_div_fmas_f64 v[5:6], v[5:6], v[7:8], v[18:19]
	v_div_fixup_f64 v[7:8], v[5:6], v[1:2], v[3:4]
	v_fma_f64 v[1:2], v[3:4], v[7:8], v[1:2]
	v_div_scale_f64 v[3:4], s[10:11], v[1:2], v[1:2], 1.0
	v_div_scale_f64 v[18:19], vcc, 1.0, v[1:2], 1.0
	v_rcp_f64_e32 v[5:6], v[3:4]
	v_fma_f64 v[9:10], -v[3:4], v[5:6], 1.0
	v_fma_f64 v[5:6], v[5:6], v[9:10], v[5:6]
	v_fma_f64 v[9:10], -v[3:4], v[5:6], 1.0
	v_fma_f64 v[5:6], v[5:6], v[9:10], v[5:6]
	v_mul_f64 v[9:10], v[18:19], v[5:6]
	v_fma_f64 v[3:4], -v[3:4], v[9:10], v[18:19]
	v_div_fmas_f64 v[3:4], v[3:4], v[5:6], v[9:10]
	v_div_fixup_f64 v[5:6], v[3:4], v[1:2], 1.0
	v_mul_f64 v[7:8], v[7:8], -v[5:6]
.LBB127_21:
	s_or_b64 exec, exec, s[6:7]
	ds_write2_b64 v11, v[5:6], v[7:8] offset1:1
.LBB127_22:
	s_or_b64 exec, exec, s[8:9]
	s_waitcnt lgkmcnt(0)
	s_barrier
	ds_read2_b64 v[30:33], v11 offset1:1
	v_cmp_lt_u32_e32 vcc, 1, v0
	s_and_saveexec_b64 s[6:7], vcc
	s_cbranch_execz .LBB127_25
; %bb.23:
	buffer_load_dword v1, off, s[0:3], 0 offset:24
	buffer_load_dword v2, off, s[0:3], 0 offset:28
	;; [unrolled: 1-line block ×4, first 2 shown]
	s_mov_b32 s8, 32
	s_waitcnt vmcnt(2) lgkmcnt(0)
	v_mul_f64 v[5:6], v[32:33], v[1:2]
	v_mul_f64 v[7:8], v[30:31], v[1:2]
	s_waitcnt vmcnt(0)
	v_fma_f64 v[1:2], v[30:31], v[3:4], -v[5:6]
	v_fma_f64 v[3:4], v[32:33], v[3:4], v[7:8]
	buffer_store_dword v1, off, s[0:3], 0 offset:16
	buffer_store_dword v2, off, s[0:3], 0 offset:20
	;; [unrolled: 1-line block ×4, first 2 shown]
.LBB127_24:                             ; =>This Inner Loop Header: Depth=1
	v_add_u32_e32 v13, s8, v12
	ds_read2_b64 v[5:8], v13 offset1:1
	v_mov_b32_e32 v14, s8
	s_add_i32 s8, s8, 32
	s_cmpk_lg_i32 s8, 0x400
	s_waitcnt lgkmcnt(0)
	v_mul_f64 v[9:10], v[7:8], v[3:4]
	v_fma_f64 v[9:10], v[5:6], v[1:2], -v[9:10]
	v_mul_f64 v[5:6], v[5:6], v[3:4]
	v_fma_f64 v[5:6], v[7:8], v[1:2], v[5:6]
	buffer_load_dword v7, v14, s[0:3], 0 offen
	buffer_load_dword v8, v14, s[0:3], 0 offen offset:4
	buffer_load_dword v18, v14, s[0:3], 0 offen offset:8
	;; [unrolled: 1-line block ×7, first 2 shown]
	s_waitcnt vmcnt(6)
	v_add_f64 v[7:8], v[7:8], -v[9:10]
	s_waitcnt vmcnt(4)
	v_add_f64 v[5:6], v[18:19], -v[5:6]
	buffer_store_dword v7, v14, s[0:3], 0 offen
	buffer_store_dword v8, v14, s[0:3], 0 offen offset:4
	buffer_store_dword v5, v14, s[0:3], 0 offen offset:8
	;; [unrolled: 1-line block ×3, first 2 shown]
	ds_read2_b64 v[5:8], v13 offset0:2 offset1:3
	s_waitcnt lgkmcnt(0)
	v_mul_f64 v[9:10], v[7:8], v[3:4]
	v_fma_f64 v[9:10], v[5:6], v[1:2], -v[9:10]
	v_mul_f64 v[5:6], v[5:6], v[3:4]
	v_fma_f64 v[5:6], v[7:8], v[1:2], v[5:6]
	s_waitcnt vmcnt(6)
	v_add_f64 v[7:8], v[20:21], -v[9:10]
	s_waitcnt vmcnt(4)
	v_add_f64 v[5:6], v[22:23], -v[5:6]
	buffer_store_dword v7, v14, s[0:3], 0 offen offset:16
	buffer_store_dword v8, v14, s[0:3], 0 offen offset:20
	;; [unrolled: 1-line block ×4, first 2 shown]
	s_cbranch_scc1 .LBB127_24
.LBB127_25:
	s_or_b64 exec, exec, s[6:7]
	v_cmp_eq_u32_e32 vcc, 2, v0
	s_waitcnt vmcnt(0) lgkmcnt(0)
	s_barrier
	s_and_saveexec_b64 s[8:9], vcc
	s_cbranch_execz .LBB127_36
; %bb.26:
	v_readlane_b32 s6, v126, 1
	v_mov_b32_e32 v4, s6
	buffer_load_dword v1, v4, s[0:3], 0 offen
	buffer_load_dword v2, v4, s[0:3], 0 offen offset:4
	buffer_load_dword v3, v4, s[0:3], 0 offen offset:8
	s_nop 0
	buffer_load_dword v4, v4, s[0:3], 0 offen offset:12
	s_mov_b32 s10, 48
	s_waitcnt vmcnt(0)
	ds_write2_b64 v11, v[1:2], v[3:4] offset1:1
	s_branch .LBB127_28
.LBB127_27:                             ;   in Loop: Header=BB127_28 Depth=1
	s_andn2_b64 vcc, exec, s[6:7]
	s_cbranch_vccz .LBB127_30
.LBB127_28:                             ; =>This Inner Loop Header: Depth=1
	v_mov_b32_e32 v10, s10
	buffer_load_dword v2, v10, s[0:3], 0 offen
	buffer_load_dword v3, v10, s[0:3], 0 offen offset:4
	buffer_load_dword v4, v10, s[0:3], 0 offen offset:8
	;; [unrolled: 1-line block ×15, first 2 shown]
	v_add_u32_e32 v1, s10, v12
	s_mov_b32 s11, s10
	s_mov_b64 s[6:7], -1
	s_cmpk_eq_i32 s10, 0x3b0
	s_waitcnt vmcnt(12)
	ds_write2_b64 v1, v[2:3], v[4:5] offset1:1
	s_waitcnt vmcnt(8)
	ds_write2_b64 v1, v[6:7], v[8:9] offset0:2 offset1:3
	s_waitcnt vmcnt(4)
	ds_write2_b64 v1, v[18:19], v[20:21] offset0:4 offset1:5
	;; [unrolled: 2-line block ×3, first 2 shown]
	buffer_load_dword v3, v10, s[0:3], 0 offen offset:76
	buffer_load_dword v2, v10, s[0:3], 0 offen offset:72
	;; [unrolled: 1-line block ×4, first 2 shown]
	s_waitcnt vmcnt(0)
	ds_write2_b64 v1, v[4:5], v[2:3] offset0:8 offset1:9
	s_cbranch_scc1 .LBB127_27
; %bb.29:                               ;   in Loop: Header=BB127_28 Depth=1
	v_mov_b32_e32 v10, s11
	buffer_load_dword v2, v10, s[0:3], 0 offen offset:80
	buffer_load_dword v3, v10, s[0:3], 0 offen offset:84
	;; [unrolled: 1-line block ×12, first 2 shown]
	s_addk_i32 s10, 0x80
	s_mov_b64 s[6:7], 0
	s_waitcnt vmcnt(8)
	ds_write2_b64 v1, v[2:3], v[4:5] offset0:10 offset1:11
	s_waitcnt vmcnt(4)
	ds_write2_b64 v1, v[6:7], v[8:9] offset0:12 offset1:13
	;; [unrolled: 2-line block ×3, first 2 shown]
	s_branch .LBB127_27
.LBB127_30:
	ds_read2_b64 v[1:4], v11 offset1:1
	s_waitcnt lgkmcnt(0)
	v_cmp_neq_f64_e32 vcc, 0, v[1:2]
	v_cmp_neq_f64_e64 s[6:7], 0, v[3:4]
	s_or_b64 s[6:7], vcc, s[6:7]
	s_and_b64 exec, exec, s[6:7]
	s_cbranch_execz .LBB127_36
; %bb.31:
	v_cmp_ngt_f64_e64 s[6:7], |v[1:2]|, |v[3:4]|
                                        ; implicit-def: $vgpr5_vgpr6
	s_and_saveexec_b64 s[10:11], s[6:7]
	s_xor_b64 s[6:7], exec, s[10:11]
                                        ; implicit-def: $vgpr7_vgpr8
	s_cbranch_execz .LBB127_33
; %bb.32:
	v_div_scale_f64 v[5:6], s[10:11], v[3:4], v[3:4], v[1:2]
	v_rcp_f64_e32 v[7:8], v[5:6]
	v_fma_f64 v[9:10], -v[5:6], v[7:8], 1.0
	v_fma_f64 v[7:8], v[7:8], v[9:10], v[7:8]
	v_div_scale_f64 v[9:10], vcc, v[1:2], v[3:4], v[1:2]
	v_fma_f64 v[18:19], -v[5:6], v[7:8], 1.0
	v_fma_f64 v[7:8], v[7:8], v[18:19], v[7:8]
	v_mul_f64 v[18:19], v[9:10], v[7:8]
	v_fma_f64 v[5:6], -v[5:6], v[18:19], v[9:10]
	v_div_fmas_f64 v[5:6], v[5:6], v[7:8], v[18:19]
	v_div_fixup_f64 v[5:6], v[5:6], v[3:4], v[1:2]
	v_fma_f64 v[1:2], v[1:2], v[5:6], v[3:4]
	v_div_scale_f64 v[3:4], s[10:11], v[1:2], v[1:2], 1.0
	v_div_scale_f64 v[18:19], vcc, 1.0, v[1:2], 1.0
	v_rcp_f64_e32 v[7:8], v[3:4]
	v_fma_f64 v[9:10], -v[3:4], v[7:8], 1.0
	v_fma_f64 v[7:8], v[7:8], v[9:10], v[7:8]
	v_fma_f64 v[9:10], -v[3:4], v[7:8], 1.0
	v_fma_f64 v[7:8], v[7:8], v[9:10], v[7:8]
	v_mul_f64 v[9:10], v[18:19], v[7:8]
	v_fma_f64 v[3:4], -v[3:4], v[9:10], v[18:19]
	v_div_fmas_f64 v[3:4], v[3:4], v[7:8], v[9:10]
	v_div_fixup_f64 v[7:8], v[3:4], v[1:2], 1.0
                                        ; implicit-def: $vgpr1_vgpr2
	v_mul_f64 v[5:6], v[5:6], v[7:8]
	v_xor_b32_e32 v8, 0x80000000, v8
.LBB127_33:
	s_andn2_saveexec_b64 s[6:7], s[6:7]
	s_cbranch_execz .LBB127_35
; %bb.34:
	v_div_scale_f64 v[5:6], s[10:11], v[1:2], v[1:2], v[3:4]
	v_rcp_f64_e32 v[7:8], v[5:6]
	v_fma_f64 v[9:10], -v[5:6], v[7:8], 1.0
	v_fma_f64 v[7:8], v[7:8], v[9:10], v[7:8]
	v_div_scale_f64 v[9:10], vcc, v[3:4], v[1:2], v[3:4]
	v_fma_f64 v[18:19], -v[5:6], v[7:8], 1.0
	v_fma_f64 v[7:8], v[7:8], v[18:19], v[7:8]
	v_mul_f64 v[18:19], v[9:10], v[7:8]
	v_fma_f64 v[5:6], -v[5:6], v[18:19], v[9:10]
	v_div_fmas_f64 v[5:6], v[5:6], v[7:8], v[18:19]
	v_div_fixup_f64 v[7:8], v[5:6], v[1:2], v[3:4]
	v_fma_f64 v[1:2], v[3:4], v[7:8], v[1:2]
	v_div_scale_f64 v[3:4], s[10:11], v[1:2], v[1:2], 1.0
	v_div_scale_f64 v[18:19], vcc, 1.0, v[1:2], 1.0
	v_rcp_f64_e32 v[5:6], v[3:4]
	v_fma_f64 v[9:10], -v[3:4], v[5:6], 1.0
	v_fma_f64 v[5:6], v[5:6], v[9:10], v[5:6]
	v_fma_f64 v[9:10], -v[3:4], v[5:6], 1.0
	v_fma_f64 v[5:6], v[5:6], v[9:10], v[5:6]
	v_mul_f64 v[9:10], v[18:19], v[5:6]
	v_fma_f64 v[3:4], -v[3:4], v[9:10], v[18:19]
	v_div_fmas_f64 v[3:4], v[3:4], v[5:6], v[9:10]
	v_div_fixup_f64 v[5:6], v[3:4], v[1:2], 1.0
	v_mul_f64 v[7:8], v[7:8], -v[5:6]
.LBB127_35:
	s_or_b64 exec, exec, s[6:7]
	ds_write2_b64 v11, v[5:6], v[7:8] offset1:1
.LBB127_36:
	s_or_b64 exec, exec, s[8:9]
	s_waitcnt lgkmcnt(0)
	s_barrier
	ds_read2_b64 v[1:4], v11 offset1:1
	v_cmp_lt_u32_e32 vcc, 2, v0
	s_waitcnt lgkmcnt(0)
	buffer_store_dword v1, off, s[0:3], 0 offset:1552 ; 4-byte Folded Spill
	s_nop 0
	buffer_store_dword v2, off, s[0:3], 0 offset:1556 ; 4-byte Folded Spill
	buffer_store_dword v3, off, s[0:3], 0 offset:1560 ; 4-byte Folded Spill
	;; [unrolled: 1-line block ×3, first 2 shown]
	s_and_saveexec_b64 s[6:7], vcc
	s_cbranch_execz .LBB127_41
; %bb.37:
	buffer_load_dword v1, off, s[0:3], 0 offset:40
	buffer_load_dword v2, off, s[0:3], 0 offset:44
	;; [unrolled: 1-line block ×4, first 2 shown]
	buffer_load_dword v18, off, s[0:3], 0 offset:1552 ; 4-byte Folded Reload
	buffer_load_dword v19, off, s[0:3], 0 offset:1556 ; 4-byte Folded Reload
	;; [unrolled: 1-line block ×4, first 2 shown]
	s_mov_b32 s10, 48
	s_waitcnt vmcnt(2)
	v_mul_f64 v[7:8], v[18:19], v[1:2]
	s_waitcnt vmcnt(0)
	v_mul_f64 v[5:6], v[20:21], v[1:2]
	v_fma_f64 v[1:2], v[18:19], v[3:4], -v[5:6]
	v_fma_f64 v[3:4], v[20:21], v[3:4], v[7:8]
	buffer_store_dword v1, off, s[0:3], 0 offset:32
	buffer_store_dword v2, off, s[0:3], 0 offset:36
	;; [unrolled: 1-line block ×4, first 2 shown]
	s_branch .LBB127_39
.LBB127_38:                             ;   in Loop: Header=BB127_39 Depth=1
	s_andn2_b64 vcc, exec, s[8:9]
	s_cbranch_vccz .LBB127_41
.LBB127_39:                             ; =>This Inner Loop Header: Depth=1
	v_add_u32_e32 v5, s10, v12
	ds_read2_b64 v[6:9], v5 offset1:1
	s_mov_b32 s11, s10
	s_mov_b64 s[8:9], -1
	s_cmpk_eq_i32 s10, 0x3f0
	s_waitcnt lgkmcnt(0)
	v_mul_f64 v[18:19], v[8:9], v[3:4]
	v_mul_f64 v[3:4], v[6:7], v[3:4]
	v_fma_f64 v[18:19], v[6:7], v[1:2], -v[18:19]
	v_fma_f64 v[1:2], v[8:9], v[1:2], v[3:4]
	v_mov_b32_e32 v8, s10
	buffer_load_dword v3, v8, s[0:3], 0 offen
	buffer_load_dword v4, v8, s[0:3], 0 offen offset:4
	buffer_load_dword v6, v8, s[0:3], 0 offen offset:8
	;; [unrolled: 1-line block ×3, first 2 shown]
	s_waitcnt vmcnt(2)
	v_add_f64 v[3:4], v[3:4], -v[18:19]
	s_waitcnt vmcnt(0)
	v_add_f64 v[1:2], v[6:7], -v[1:2]
	buffer_store_dword v3, v8, s[0:3], 0 offen
	buffer_store_dword v4, v8, s[0:3], 0 offen offset:4
	buffer_store_dword v1, v8, s[0:3], 0 offen offset:8
	;; [unrolled: 1-line block ×3, first 2 shown]
                                        ; implicit-def: $vgpr1_vgpr2
                                        ; implicit-def: $vgpr3_vgpr4
	s_cbranch_scc1 .LBB127_38
; %bb.40:                               ;   in Loop: Header=BB127_39 Depth=1
	ds_read2_b64 v[6:9], v5 offset0:2 offset1:3
	buffer_load_dword v1, off, s[0:3], 0 offset:32
	buffer_load_dword v2, off, s[0:3], 0 offset:36
	;; [unrolled: 1-line block ×4, first 2 shown]
	v_mov_b32_e32 v13, s11
	s_add_i32 s10, s10, 64
	s_mov_b64 s[8:9], 0
	s_waitcnt vmcnt(0) lgkmcnt(0)
	v_mul_f64 v[18:19], v[8:9], v[3:4]
	v_fma_f64 v[18:19], v[6:7], v[1:2], -v[18:19]
	v_mul_f64 v[6:7], v[6:7], v[3:4]
	v_fma_f64 v[6:7], v[8:9], v[1:2], v[6:7]
	buffer_load_dword v8, v13, s[0:3], 0 offen offset:16
	buffer_load_dword v9, v13, s[0:3], 0 offen offset:20
	;; [unrolled: 1-line block ×12, first 2 shown]
	s_waitcnt vmcnt(10)
	v_add_f64 v[8:9], v[8:9], -v[18:19]
	s_waitcnt vmcnt(8)
	v_add_f64 v[6:7], v[20:21], -v[6:7]
	buffer_store_dword v8, v13, s[0:3], 0 offen offset:16
	buffer_store_dword v9, v13, s[0:3], 0 offen offset:20
	;; [unrolled: 1-line block ×4, first 2 shown]
	ds_read2_b64 v[6:9], v5 offset0:4 offset1:5
	s_waitcnt lgkmcnt(0)
	v_mul_f64 v[18:19], v[8:9], v[3:4]
	v_fma_f64 v[18:19], v[6:7], v[1:2], -v[18:19]
	v_mul_f64 v[6:7], v[6:7], v[3:4]
	v_fma_f64 v[6:7], v[8:9], v[1:2], v[6:7]
	s_waitcnt vmcnt(10)
	v_add_f64 v[8:9], v[22:23], -v[18:19]
	s_waitcnt vmcnt(8)
	v_add_f64 v[6:7], v[24:25], -v[6:7]
	buffer_store_dword v8, v13, s[0:3], 0 offen offset:32
	buffer_store_dword v9, v13, s[0:3], 0 offen offset:36
	;; [unrolled: 1-line block ×4, first 2 shown]
	ds_read2_b64 v[5:8], v5 offset0:6 offset1:7
	s_waitcnt lgkmcnt(0)
	v_mul_f64 v[9:10], v[7:8], v[3:4]
	v_fma_f64 v[9:10], v[5:6], v[1:2], -v[9:10]
	v_mul_f64 v[5:6], v[5:6], v[3:4]
	v_fma_f64 v[5:6], v[7:8], v[1:2], v[5:6]
	s_waitcnt vmcnt(10)
	v_add_f64 v[7:8], v[26:27], -v[9:10]
	s_waitcnt vmcnt(8)
	v_add_f64 v[5:6], v[28:29], -v[5:6]
	buffer_store_dword v7, v13, s[0:3], 0 offen offset:48
	buffer_store_dword v8, v13, s[0:3], 0 offen offset:52
	;; [unrolled: 1-line block ×4, first 2 shown]
	s_branch .LBB127_38
.LBB127_41:
	s_or_b64 exec, exec, s[6:7]
	v_cmp_eq_u32_e32 vcc, 3, v0
	s_waitcnt vmcnt(0)
	s_barrier
	s_and_saveexec_b64 s[8:9], vcc
	s_cbranch_execz .LBB127_50
; %bb.42:
	v_readlane_b32 s6, v126, 2
	v_mov_b32_e32 v4, s6
	buffer_load_dword v1, v4, s[0:3], 0 offen
	buffer_load_dword v2, v4, s[0:3], 0 offen offset:4
	buffer_load_dword v3, v4, s[0:3], 0 offen offset:8
	s_nop 0
	buffer_load_dword v4, v4, s[0:3], 0 offen offset:12
	s_mov_b32 s6, 64
	s_waitcnt vmcnt(0)
	ds_write2_b64 v11, v[1:2], v[3:4] offset1:1
.LBB127_43:                             ; =>This Inner Loop Header: Depth=1
	v_mov_b32_e32 v13, s6
	buffer_load_dword v1, v13, s[0:3], 0 offen
	buffer_load_dword v2, v13, s[0:3], 0 offen offset:4
	buffer_load_dword v3, v13, s[0:3], 0 offen offset:8
	;; [unrolled: 1-line block ×15, first 2 shown]
	v_add_u32_e32 v14, s6, v12
	s_addk_i32 s6, 0xf0
	s_cmpk_lg_i32 s6, 0x400
	s_waitcnt vmcnt(12)
	ds_write2_b64 v14, v[1:2], v[3:4] offset1:1
	s_waitcnt vmcnt(8)
	ds_write2_b64 v14, v[5:6], v[7:8] offset0:2 offset1:3
	s_waitcnt vmcnt(4)
	ds_write2_b64 v14, v[9:10], v[18:19] offset0:4 offset1:5
	;; [unrolled: 2-line block ×3, first 2 shown]
	buffer_load_dword v2, v13, s[0:3], 0 offen offset:76
	buffer_load_dword v1, v13, s[0:3], 0 offen offset:72
	buffer_load_dword v4, v13, s[0:3], 0 offen offset:68
	buffer_load_dword v3, v13, s[0:3], 0 offen offset:64
	s_waitcnt vmcnt(0)
	ds_write2_b64 v14, v[3:4], v[1:2] offset0:8 offset1:9
	buffer_load_dword v2, v13, s[0:3], 0 offen offset:92
	buffer_load_dword v1, v13, s[0:3], 0 offen offset:88
	buffer_load_dword v4, v13, s[0:3], 0 offen offset:84
	buffer_load_dword v3, v13, s[0:3], 0 offen offset:80
	s_waitcnt vmcnt(0)
	ds_write2_b64 v14, v[3:4], v[1:2] offset0:10 offset1:11
	;; [unrolled: 6-line block ×11, first 2 shown]
	s_cbranch_scc1 .LBB127_43
; %bb.44:
	ds_read2_b64 v[1:4], v11 offset1:1
	s_waitcnt lgkmcnt(0)
	v_cmp_neq_f64_e32 vcc, 0, v[1:2]
	v_cmp_neq_f64_e64 s[6:7], 0, v[3:4]
	s_or_b64 s[6:7], vcc, s[6:7]
	s_and_b64 exec, exec, s[6:7]
	s_cbranch_execz .LBB127_50
; %bb.45:
	v_cmp_ngt_f64_e64 s[6:7], |v[1:2]|, |v[3:4]|
                                        ; implicit-def: $vgpr5_vgpr6
	s_and_saveexec_b64 s[10:11], s[6:7]
	s_xor_b64 s[6:7], exec, s[10:11]
                                        ; implicit-def: $vgpr7_vgpr8
	s_cbranch_execz .LBB127_47
; %bb.46:
	v_div_scale_f64 v[5:6], s[10:11], v[3:4], v[3:4], v[1:2]
	v_rcp_f64_e32 v[7:8], v[5:6]
	v_fma_f64 v[9:10], -v[5:6], v[7:8], 1.0
	v_fma_f64 v[7:8], v[7:8], v[9:10], v[7:8]
	v_div_scale_f64 v[9:10], vcc, v[1:2], v[3:4], v[1:2]
	v_fma_f64 v[18:19], -v[5:6], v[7:8], 1.0
	v_fma_f64 v[7:8], v[7:8], v[18:19], v[7:8]
	v_mul_f64 v[18:19], v[9:10], v[7:8]
	v_fma_f64 v[5:6], -v[5:6], v[18:19], v[9:10]
	v_div_fmas_f64 v[5:6], v[5:6], v[7:8], v[18:19]
	v_div_fixup_f64 v[5:6], v[5:6], v[3:4], v[1:2]
	v_fma_f64 v[1:2], v[1:2], v[5:6], v[3:4]
	v_div_scale_f64 v[3:4], s[10:11], v[1:2], v[1:2], 1.0
	v_div_scale_f64 v[18:19], vcc, 1.0, v[1:2], 1.0
	v_rcp_f64_e32 v[7:8], v[3:4]
	v_fma_f64 v[9:10], -v[3:4], v[7:8], 1.0
	v_fma_f64 v[7:8], v[7:8], v[9:10], v[7:8]
	v_fma_f64 v[9:10], -v[3:4], v[7:8], 1.0
	v_fma_f64 v[7:8], v[7:8], v[9:10], v[7:8]
	v_mul_f64 v[9:10], v[18:19], v[7:8]
	v_fma_f64 v[3:4], -v[3:4], v[9:10], v[18:19]
	v_div_fmas_f64 v[3:4], v[3:4], v[7:8], v[9:10]
	v_div_fixup_f64 v[7:8], v[3:4], v[1:2], 1.0
                                        ; implicit-def: $vgpr1_vgpr2
	v_mul_f64 v[5:6], v[5:6], v[7:8]
	v_xor_b32_e32 v8, 0x80000000, v8
.LBB127_47:
	s_andn2_saveexec_b64 s[6:7], s[6:7]
	s_cbranch_execz .LBB127_49
; %bb.48:
	v_div_scale_f64 v[5:6], s[10:11], v[1:2], v[1:2], v[3:4]
	v_rcp_f64_e32 v[7:8], v[5:6]
	v_fma_f64 v[9:10], -v[5:6], v[7:8], 1.0
	v_fma_f64 v[7:8], v[7:8], v[9:10], v[7:8]
	v_div_scale_f64 v[9:10], vcc, v[3:4], v[1:2], v[3:4]
	v_fma_f64 v[18:19], -v[5:6], v[7:8], 1.0
	v_fma_f64 v[7:8], v[7:8], v[18:19], v[7:8]
	v_mul_f64 v[18:19], v[9:10], v[7:8]
	v_fma_f64 v[5:6], -v[5:6], v[18:19], v[9:10]
	v_div_fmas_f64 v[5:6], v[5:6], v[7:8], v[18:19]
	v_div_fixup_f64 v[7:8], v[5:6], v[1:2], v[3:4]
	v_fma_f64 v[1:2], v[3:4], v[7:8], v[1:2]
	v_div_scale_f64 v[3:4], s[10:11], v[1:2], v[1:2], 1.0
	v_div_scale_f64 v[18:19], vcc, 1.0, v[1:2], 1.0
	v_rcp_f64_e32 v[5:6], v[3:4]
	v_fma_f64 v[9:10], -v[3:4], v[5:6], 1.0
	v_fma_f64 v[5:6], v[5:6], v[9:10], v[5:6]
	v_fma_f64 v[9:10], -v[3:4], v[5:6], 1.0
	v_fma_f64 v[5:6], v[5:6], v[9:10], v[5:6]
	v_mul_f64 v[9:10], v[18:19], v[5:6]
	v_fma_f64 v[3:4], -v[3:4], v[9:10], v[18:19]
	v_div_fmas_f64 v[3:4], v[3:4], v[5:6], v[9:10]
	v_div_fixup_f64 v[5:6], v[3:4], v[1:2], 1.0
	v_mul_f64 v[7:8], v[7:8], -v[5:6]
.LBB127_49:
	s_or_b64 exec, exec, s[6:7]
	ds_write2_b64 v11, v[5:6], v[7:8] offset1:1
.LBB127_50:
	s_or_b64 exec, exec, s[8:9]
	s_waitcnt lgkmcnt(0)
	s_barrier
	ds_read2_b64 v[1:4], v11 offset1:1
	v_cmp_lt_u32_e32 vcc, 3, v0
	s_waitcnt lgkmcnt(0)
	buffer_store_dword v1, off, s[0:3], 0 offset:1568 ; 4-byte Folded Spill
	s_nop 0
	buffer_store_dword v2, off, s[0:3], 0 offset:1572 ; 4-byte Folded Spill
	buffer_store_dword v3, off, s[0:3], 0 offset:1576 ; 4-byte Folded Spill
	;; [unrolled: 1-line block ×3, first 2 shown]
	s_and_saveexec_b64 s[6:7], vcc
	s_cbranch_execz .LBB127_53
; %bb.51:
	buffer_load_dword v1, off, s[0:3], 0 offset:56
	buffer_load_dword v2, off, s[0:3], 0 offset:60
	;; [unrolled: 1-line block ×4, first 2 shown]
	buffer_load_dword v18, off, s[0:3], 0 offset:1568 ; 4-byte Folded Reload
	buffer_load_dword v19, off, s[0:3], 0 offset:1572 ; 4-byte Folded Reload
	;; [unrolled: 1-line block ×4, first 2 shown]
	s_mov_b32 s8, 64
	s_waitcnt vmcnt(2)
	v_mul_f64 v[7:8], v[18:19], v[1:2]
	s_waitcnt vmcnt(0)
	v_mul_f64 v[5:6], v[20:21], v[1:2]
	v_fma_f64 v[1:2], v[18:19], v[3:4], -v[5:6]
	v_fma_f64 v[3:4], v[20:21], v[3:4], v[7:8]
	buffer_store_dword v1, off, s[0:3], 0 offset:48
	buffer_store_dword v2, off, s[0:3], 0 offset:52
	;; [unrolled: 1-line block ×4, first 2 shown]
.LBB127_52:                             ; =>This Inner Loop Header: Depth=1
	v_add_u32_e32 v6, s8, v12
	ds_read2_b64 v[7:10], v6 offset1:1
	v_mov_b32_e32 v5, s8
	s_addk_i32 s8, 0x60
	s_cmpk_lg_i32 s8, 0x400
	s_waitcnt lgkmcnt(0)
	v_mul_f64 v[18:19], v[9:10], v[3:4]
	v_mul_f64 v[3:4], v[7:8], v[3:4]
	v_fma_f64 v[18:19], v[7:8], v[1:2], -v[18:19]
	v_fma_f64 v[1:2], v[9:10], v[1:2], v[3:4]
	buffer_load_dword v3, v5, s[0:3], 0 offen
	buffer_load_dword v4, v5, s[0:3], 0 offen offset:4
	buffer_load_dword v7, v5, s[0:3], 0 offen offset:8
	;; [unrolled: 1-line block ×11, first 2 shown]
	s_waitcnt vmcnt(10)
	v_add_f64 v[3:4], v[3:4], -v[18:19]
	s_waitcnt vmcnt(8)
	v_add_f64 v[1:2], v[7:8], -v[1:2]
	buffer_store_dword v4, v5, s[0:3], 0 offen offset:4
	buffer_store_dword v3, v5, s[0:3], 0 offen
	buffer_store_dword v2, v5, s[0:3], 0 offen offset:12
	buffer_store_dword v1, v5, s[0:3], 0 offen offset:8
	ds_read2_b64 v[1:4], v6 offset0:2 offset1:3
	buffer_load_dword v8, off, s[0:3], 0 offset:52
	buffer_load_dword v7, off, s[0:3], 0 offset:48
	;; [unrolled: 1-line block ×4, first 2 shown]
	s_waitcnt vmcnt(0) lgkmcnt(0)
	v_mul_f64 v[26:27], v[3:4], v[18:19]
	v_fma_f64 v[26:27], v[1:2], v[7:8], -v[26:27]
	v_mul_f64 v[1:2], v[1:2], v[18:19]
	v_fma_f64 v[1:2], v[3:4], v[7:8], v[1:2]
	v_add_f64 v[3:4], v[9:10], -v[26:27]
	v_add_f64 v[1:2], v[20:21], -v[1:2]
	buffer_store_dword v4, v5, s[0:3], 0 offen offset:20
	buffer_store_dword v3, v5, s[0:3], 0 offen offset:16
	;; [unrolled: 1-line block ×4, first 2 shown]
	ds_read2_b64 v[7:10], v6 offset0:4 offset1:5
	buffer_load_dword v1, off, s[0:3], 0 offset:48
	buffer_load_dword v2, off, s[0:3], 0 offset:52
	;; [unrolled: 1-line block ×4, first 2 shown]
	s_waitcnt vmcnt(0) lgkmcnt(0)
	v_mul_f64 v[18:19], v[9:10], v[3:4]
	v_fma_f64 v[18:19], v[7:8], v[1:2], -v[18:19]
	v_mul_f64 v[7:8], v[7:8], v[3:4]
	v_fma_f64 v[7:8], v[9:10], v[1:2], v[7:8]
	v_add_f64 v[9:10], v[22:23], -v[18:19]
	v_add_f64 v[7:8], v[24:25], -v[7:8]
	buffer_store_dword v10, v5, s[0:3], 0 offen offset:36
	buffer_store_dword v9, v5, s[0:3], 0 offen offset:32
	buffer_store_dword v8, v5, s[0:3], 0 offen offset:44
	buffer_store_dword v7, v5, s[0:3], 0 offen offset:40
	ds_read2_b64 v[7:10], v6 offset0:6 offset1:7
	s_waitcnt lgkmcnt(0)
	v_mul_f64 v[18:19], v[9:10], v[3:4]
	v_fma_f64 v[18:19], v[7:8], v[1:2], -v[18:19]
	v_mul_f64 v[7:8], v[7:8], v[3:4]
	v_fma_f64 v[7:8], v[9:10], v[1:2], v[7:8]
	buffer_load_dword v9, v5, s[0:3], 0 offen offset:48
	buffer_load_dword v10, v5, s[0:3], 0 offen offset:52
	buffer_load_dword v20, v5, s[0:3], 0 offen offset:56
	buffer_load_dword v21, v5, s[0:3], 0 offen offset:60
	s_waitcnt vmcnt(2)
	v_add_f64 v[9:10], v[9:10], -v[18:19]
	s_waitcnt vmcnt(0)
	v_add_f64 v[7:8], v[20:21], -v[7:8]
	buffer_store_dword v10, v5, s[0:3], 0 offen offset:52
	buffer_store_dword v9, v5, s[0:3], 0 offen offset:48
	buffer_store_dword v8, v5, s[0:3], 0 offen offset:60
	buffer_store_dword v7, v5, s[0:3], 0 offen offset:56
	ds_read2_b64 v[7:10], v6 offset0:8 offset1:9
	s_waitcnt lgkmcnt(0)
	v_mul_f64 v[18:19], v[9:10], v[3:4]
	v_fma_f64 v[18:19], v[7:8], v[1:2], -v[18:19]
	v_mul_f64 v[7:8], v[7:8], v[3:4]
	v_fma_f64 v[7:8], v[9:10], v[1:2], v[7:8]
	buffer_load_dword v9, v5, s[0:3], 0 offen offset:64
	buffer_load_dword v10, v5, s[0:3], 0 offen offset:68
	buffer_load_dword v20, v5, s[0:3], 0 offen offset:72
	buffer_load_dword v21, v5, s[0:3], 0 offen offset:76
	s_waitcnt vmcnt(2)
	v_add_f64 v[9:10], v[9:10], -v[18:19]
	s_waitcnt vmcnt(0)
	;; [unrolled: 18-line block ×3, first 2 shown]
	v_add_f64 v[6:7], v[20:21], -v[6:7]
	buffer_store_dword v9, v5, s[0:3], 0 offen offset:84
	buffer_store_dword v8, v5, s[0:3], 0 offen offset:80
	;; [unrolled: 1-line block ×4, first 2 shown]
	s_cbranch_scc1 .LBB127_52
.LBB127_53:
	s_or_b64 exec, exec, s[6:7]
	v_cmp_eq_u32_e32 vcc, 4, v0
	s_waitcnt vmcnt(0)
	s_barrier
	s_and_saveexec_b64 s[8:9], vcc
	s_cbranch_execz .LBB127_64
; %bb.54:
	v_readlane_b32 s6, v126, 3
	v_mov_b32_e32 v4, s6
	buffer_load_dword v1, v4, s[0:3], 0 offen
	buffer_load_dword v2, v4, s[0:3], 0 offen offset:4
	buffer_load_dword v3, v4, s[0:3], 0 offen offset:8
	s_nop 0
	buffer_load_dword v4, v4, s[0:3], 0 offen offset:12
	s_movk_i32 s10, 0x50
	s_waitcnt vmcnt(0)
	ds_write2_b64 v11, v[1:2], v[3:4] offset1:1
	s_branch .LBB127_56
.LBB127_55:                             ;   in Loop: Header=BB127_56 Depth=1
	s_andn2_b64 vcc, exec, s[6:7]
	s_cbranch_vccz .LBB127_58
.LBB127_56:                             ; =>This Inner Loop Header: Depth=1
	v_mov_b32_e32 v1, s10
	buffer_load_dword v2, v1, s[0:3], 0 offen
	buffer_load_dword v3, v1, s[0:3], 0 offen offset:4
	buffer_load_dword v4, v1, s[0:3], 0 offen offset:8
	;; [unrolled: 1-line block ×11, first 2 shown]
	s_mov_b32 s11, s10
	v_add_u32_e32 v1, s10, v12
	s_cmpk_eq_i32 s10, 0x3d0
	s_mov_b64 s[6:7], -1
	s_waitcnt vmcnt(8)
	ds_write2_b64 v1, v[2:3], v[4:5] offset1:1
	s_waitcnt vmcnt(4)
	ds_write2_b64 v1, v[6:7], v[8:9] offset0:2 offset1:3
	s_waitcnt vmcnt(0)
	ds_write2_b64 v1, v[18:19], v[20:21] offset0:4 offset1:5
	s_cbranch_scc1 .LBB127_55
; %bb.57:                               ;   in Loop: Header=BB127_56 Depth=1
	v_mov_b32_e32 v10, s11
	buffer_load_dword v2, v10, s[0:3], 0 offen offset:48
	buffer_load_dword v3, v10, s[0:3], 0 offen offset:52
	;; [unrolled: 1-line block ×16, first 2 shown]
	s_addk_i32 s10, 0x80
	s_mov_b64 s[6:7], 0
	s_waitcnt vmcnt(12)
	ds_write2_b64 v1, v[2:3], v[4:5] offset0:6 offset1:7
	s_waitcnt vmcnt(8)
	ds_write2_b64 v1, v[6:7], v[8:9] offset0:8 offset1:9
	;; [unrolled: 2-line block ×4, first 2 shown]
	buffer_load_dword v3, v10, s[0:3], 0 offen offset:124
	buffer_load_dword v2, v10, s[0:3], 0 offen offset:120
	;; [unrolled: 1-line block ×4, first 2 shown]
	s_waitcnt vmcnt(0)
	ds_write2_b64 v1, v[4:5], v[2:3] offset0:14 offset1:15
	s_branch .LBB127_55
.LBB127_58:
	ds_read2_b64 v[1:4], v11 offset1:1
	s_waitcnt lgkmcnt(0)
	v_cmp_neq_f64_e32 vcc, 0, v[1:2]
	v_cmp_neq_f64_e64 s[6:7], 0, v[3:4]
	s_or_b64 s[6:7], vcc, s[6:7]
	s_and_b64 exec, exec, s[6:7]
	s_cbranch_execz .LBB127_64
; %bb.59:
	v_cmp_ngt_f64_e64 s[6:7], |v[1:2]|, |v[3:4]|
                                        ; implicit-def: $vgpr5_vgpr6
	s_and_saveexec_b64 s[10:11], s[6:7]
	s_xor_b64 s[6:7], exec, s[10:11]
                                        ; implicit-def: $vgpr7_vgpr8
	s_cbranch_execz .LBB127_61
; %bb.60:
	v_div_scale_f64 v[5:6], s[10:11], v[3:4], v[3:4], v[1:2]
	v_rcp_f64_e32 v[7:8], v[5:6]
	v_fma_f64 v[9:10], -v[5:6], v[7:8], 1.0
	v_fma_f64 v[7:8], v[7:8], v[9:10], v[7:8]
	v_div_scale_f64 v[9:10], vcc, v[1:2], v[3:4], v[1:2]
	v_fma_f64 v[18:19], -v[5:6], v[7:8], 1.0
	v_fma_f64 v[7:8], v[7:8], v[18:19], v[7:8]
	v_mul_f64 v[18:19], v[9:10], v[7:8]
	v_fma_f64 v[5:6], -v[5:6], v[18:19], v[9:10]
	v_div_fmas_f64 v[5:6], v[5:6], v[7:8], v[18:19]
	v_div_fixup_f64 v[5:6], v[5:6], v[3:4], v[1:2]
	v_fma_f64 v[1:2], v[1:2], v[5:6], v[3:4]
	v_div_scale_f64 v[3:4], s[10:11], v[1:2], v[1:2], 1.0
	v_div_scale_f64 v[18:19], vcc, 1.0, v[1:2], 1.0
	v_rcp_f64_e32 v[7:8], v[3:4]
	v_fma_f64 v[9:10], -v[3:4], v[7:8], 1.0
	v_fma_f64 v[7:8], v[7:8], v[9:10], v[7:8]
	v_fma_f64 v[9:10], -v[3:4], v[7:8], 1.0
	v_fma_f64 v[7:8], v[7:8], v[9:10], v[7:8]
	v_mul_f64 v[9:10], v[18:19], v[7:8]
	v_fma_f64 v[3:4], -v[3:4], v[9:10], v[18:19]
	v_div_fmas_f64 v[3:4], v[3:4], v[7:8], v[9:10]
	v_div_fixup_f64 v[7:8], v[3:4], v[1:2], 1.0
                                        ; implicit-def: $vgpr1_vgpr2
	v_mul_f64 v[5:6], v[5:6], v[7:8]
	v_xor_b32_e32 v8, 0x80000000, v8
.LBB127_61:
	s_andn2_saveexec_b64 s[6:7], s[6:7]
	s_cbranch_execz .LBB127_63
; %bb.62:
	v_div_scale_f64 v[5:6], s[10:11], v[1:2], v[1:2], v[3:4]
	v_rcp_f64_e32 v[7:8], v[5:6]
	v_fma_f64 v[9:10], -v[5:6], v[7:8], 1.0
	v_fma_f64 v[7:8], v[7:8], v[9:10], v[7:8]
	v_div_scale_f64 v[9:10], vcc, v[3:4], v[1:2], v[3:4]
	v_fma_f64 v[18:19], -v[5:6], v[7:8], 1.0
	v_fma_f64 v[7:8], v[7:8], v[18:19], v[7:8]
	v_mul_f64 v[18:19], v[9:10], v[7:8]
	v_fma_f64 v[5:6], -v[5:6], v[18:19], v[9:10]
	v_div_fmas_f64 v[5:6], v[5:6], v[7:8], v[18:19]
	v_div_fixup_f64 v[7:8], v[5:6], v[1:2], v[3:4]
	v_fma_f64 v[1:2], v[3:4], v[7:8], v[1:2]
	v_div_scale_f64 v[3:4], s[10:11], v[1:2], v[1:2], 1.0
	v_div_scale_f64 v[18:19], vcc, 1.0, v[1:2], 1.0
	v_rcp_f64_e32 v[5:6], v[3:4]
	v_fma_f64 v[9:10], -v[3:4], v[5:6], 1.0
	v_fma_f64 v[5:6], v[5:6], v[9:10], v[5:6]
	v_fma_f64 v[9:10], -v[3:4], v[5:6], 1.0
	v_fma_f64 v[5:6], v[5:6], v[9:10], v[5:6]
	v_mul_f64 v[9:10], v[18:19], v[5:6]
	v_fma_f64 v[3:4], -v[3:4], v[9:10], v[18:19]
	v_div_fmas_f64 v[3:4], v[3:4], v[5:6], v[9:10]
	v_div_fixup_f64 v[5:6], v[3:4], v[1:2], 1.0
	v_mul_f64 v[7:8], v[7:8], -v[5:6]
.LBB127_63:
	s_or_b64 exec, exec, s[6:7]
	ds_write2_b64 v11, v[5:6], v[7:8] offset1:1
.LBB127_64:
	s_or_b64 exec, exec, s[8:9]
	s_waitcnt lgkmcnt(0)
	s_barrier
	ds_read2_b64 v[24:27], v11 offset1:1
	v_cmp_lt_u32_e32 vcc, 4, v0
	s_and_saveexec_b64 s[6:7], vcc
	s_cbranch_execz .LBB127_69
; %bb.65:
	buffer_load_dword v1, off, s[0:3], 0 offset:72
	buffer_load_dword v2, off, s[0:3], 0 offset:76
	;; [unrolled: 1-line block ×4, first 2 shown]
	s_movk_i32 s10, 0x50
	s_waitcnt vmcnt(2) lgkmcnt(0)
	v_mul_f64 v[5:6], v[26:27], v[1:2]
	v_mul_f64 v[7:8], v[24:25], v[1:2]
	s_waitcnt vmcnt(0)
	v_fma_f64 v[1:2], v[24:25], v[3:4], -v[5:6]
	v_fma_f64 v[3:4], v[26:27], v[3:4], v[7:8]
	buffer_store_dword v1, off, s[0:3], 0 offset:64
	buffer_store_dword v2, off, s[0:3], 0 offset:68
	;; [unrolled: 1-line block ×4, first 2 shown]
	s_branch .LBB127_67
.LBB127_66:                             ;   in Loop: Header=BB127_67 Depth=1
	s_andn2_b64 vcc, exec, s[8:9]
	s_cbranch_vccz .LBB127_69
.LBB127_67:                             ; =>This Inner Loop Header: Depth=1
	v_mov_b32_e32 v10, s10
	buffer_load_dword v18, v10, s[0:3], 0 offen
	buffer_load_dword v19, v10, s[0:3], 0 offen offset:4
	buffer_load_dword v20, v10, s[0:3], 0 offen offset:8
	;; [unrolled: 1-line block ×3, first 2 shown]
	v_add_u32_e32 v5, s10, v12
	ds_read2_b64 v[6:9], v5 offset1:1
	s_mov_b32 s11, s10
	s_cmpk_eq_i32 s10, 0x3d0
	s_mov_b64 s[8:9], -1
	s_waitcnt lgkmcnt(0)
	v_mul_f64 v[22:23], v[8:9], v[3:4]
	v_mul_f64 v[3:4], v[6:7], v[3:4]
	v_fma_f64 v[6:7], v[6:7], v[1:2], -v[22:23]
	v_fma_f64 v[1:2], v[8:9], v[1:2], v[3:4]
	s_waitcnt vmcnt(2)
	v_add_f64 v[3:4], v[18:19], -v[6:7]
	s_waitcnt vmcnt(0)
	v_add_f64 v[1:2], v[20:21], -v[1:2]
	buffer_store_dword v4, v10, s[0:3], 0 offen offset:4
	buffer_store_dword v3, v10, s[0:3], 0 offen
	buffer_store_dword v2, v10, s[0:3], 0 offen offset:12
	buffer_store_dword v1, v10, s[0:3], 0 offen offset:8
	buffer_load_dword v7, off, s[0:3], 0 offset:76
	buffer_load_dword v6, off, s[0:3], 0 offset:72
	buffer_load_dword v9, off, s[0:3], 0 offset:68
	buffer_load_dword v8, off, s[0:3], 0 offset:64
	buffer_load_dword v19, v10, s[0:3], 0 offen offset:20
	buffer_load_dword v18, v10, s[0:3], 0 offen offset:16
	;; [unrolled: 1-line block ×4, first 2 shown]
	ds_read2_b64 v[1:4], v5 offset0:2 offset1:3
	s_waitcnt vmcnt(6) lgkmcnt(0)
	v_mul_f64 v[22:23], v[3:4], v[6:7]
	v_mul_f64 v[6:7], v[1:2], v[6:7]
	s_waitcnt vmcnt(4)
	v_fma_f64 v[1:2], v[1:2], v[8:9], -v[22:23]
	v_fma_f64 v[3:4], v[3:4], v[8:9], v[6:7]
	s_waitcnt vmcnt(2)
	v_add_f64 v[1:2], v[18:19], -v[1:2]
	s_waitcnt vmcnt(0)
	v_add_f64 v[3:4], v[20:21], -v[3:4]
	buffer_store_dword v2, v10, s[0:3], 0 offen offset:20
	buffer_store_dword v1, v10, s[0:3], 0 offen offset:16
	;; [unrolled: 1-line block ×4, first 2 shown]
	buffer_load_dword v6, off, s[0:3], 0 offset:72
	buffer_load_dword v7, off, s[0:3], 0 offset:76
	;; [unrolled: 1-line block ×4, first 2 shown]
	buffer_load_dword v19, v10, s[0:3], 0 offen offset:36
	buffer_load_dword v18, v10, s[0:3], 0 offen offset:32
	;; [unrolled: 1-line block ×4, first 2 shown]
	ds_read2_b64 v[1:4], v5 offset0:4 offset1:5
	s_waitcnt vmcnt(6) lgkmcnt(0)
	v_mul_f64 v[22:23], v[3:4], v[6:7]
	v_mul_f64 v[6:7], v[1:2], v[6:7]
	s_waitcnt vmcnt(4)
	v_fma_f64 v[1:2], v[1:2], v[8:9], -v[22:23]
	v_fma_f64 v[3:4], v[3:4], v[8:9], v[6:7]
	s_waitcnt vmcnt(2)
	v_add_f64 v[1:2], v[18:19], -v[1:2]
	s_waitcnt vmcnt(0)
	v_add_f64 v[3:4], v[20:21], -v[3:4]
	buffer_store_dword v2, v10, s[0:3], 0 offen offset:36
	buffer_store_dword v1, v10, s[0:3], 0 offen offset:32
	;; [unrolled: 1-line block ×4, first 2 shown]
                                        ; implicit-def: $vgpr1_vgpr2
                                        ; implicit-def: $vgpr3_vgpr4
	s_cbranch_scc1 .LBB127_66
; %bb.68:                               ;   in Loop: Header=BB127_67 Depth=1
	ds_read2_b64 v[5:8], v5 offset0:6 offset1:7
	buffer_load_dword v1, off, s[0:3], 0 offset:64
	buffer_load_dword v2, off, s[0:3], 0 offset:68
	buffer_load_dword v3, off, s[0:3], 0 offset:72
	buffer_load_dword v4, off, s[0:3], 0 offset:76
	v_mov_b32_e32 v13, s11
	s_add_i32 s10, s10, 64
	s_mov_b64 s[8:9], 0
	s_waitcnt vmcnt(0) lgkmcnt(0)
	v_mul_f64 v[9:10], v[7:8], v[3:4]
	v_fma_f64 v[9:10], v[5:6], v[1:2], -v[9:10]
	v_mul_f64 v[5:6], v[5:6], v[3:4]
	v_fma_f64 v[5:6], v[7:8], v[1:2], v[5:6]
	buffer_load_dword v7, v13, s[0:3], 0 offen offset:48
	buffer_load_dword v8, v13, s[0:3], 0 offen offset:52
	;; [unrolled: 1-line block ×4, first 2 shown]
	s_waitcnt vmcnt(2)
	v_add_f64 v[7:8], v[7:8], -v[9:10]
	s_waitcnt vmcnt(0)
	v_add_f64 v[5:6], v[18:19], -v[5:6]
	buffer_store_dword v7, v13, s[0:3], 0 offen offset:48
	buffer_store_dword v8, v13, s[0:3], 0 offen offset:52
	;; [unrolled: 1-line block ×4, first 2 shown]
	s_branch .LBB127_66
.LBB127_69:
	s_or_b64 exec, exec, s[6:7]
	v_cmp_eq_u32_e32 vcc, 5, v0
	s_waitcnt vmcnt(0) lgkmcnt(0)
	s_barrier
	s_and_saveexec_b64 s[8:9], vcc
	s_cbranch_execz .LBB127_78
; %bb.70:
	v_readlane_b32 s6, v126, 4
	v_mov_b32_e32 v4, s6
	buffer_load_dword v1, v4, s[0:3], 0 offen
	buffer_load_dword v2, v4, s[0:3], 0 offen offset:4
	buffer_load_dword v3, v4, s[0:3], 0 offen offset:8
	s_nop 0
	buffer_load_dword v4, v4, s[0:3], 0 offen offset:12
	s_movk_i32 s6, 0x60
	s_waitcnt vmcnt(0)
	ds_write2_b64 v11, v[1:2], v[3:4] offset1:1
.LBB127_71:                             ; =>This Inner Loop Header: Depth=1
	v_mov_b32_e32 v8, s6
	buffer_load_dword v1, v8, s[0:3], 0 offen
	buffer_load_dword v2, v8, s[0:3], 0 offen offset:4
	buffer_load_dword v3, v8, s[0:3], 0 offen offset:8
	;; [unrolled: 1-line block ×6, first 2 shown]
	s_nop 0
	buffer_load_dword v8, v8, s[0:3], 0 offen offset:28
	v_add_u32_e32 v9, s6, v12
	s_add_i32 s6, s6, 32
	s_cmpk_lg_i32 s6, 0x400
	s_waitcnt vmcnt(4)
	ds_write2_b64 v9, v[1:2], v[3:4] offset1:1
	s_waitcnt vmcnt(0)
	ds_write2_b64 v9, v[5:6], v[7:8] offset0:2 offset1:3
	s_cbranch_scc1 .LBB127_71
; %bb.72:
	ds_read2_b64 v[1:4], v11 offset1:1
	s_waitcnt lgkmcnt(0)
	v_cmp_neq_f64_e32 vcc, 0, v[1:2]
	v_cmp_neq_f64_e64 s[6:7], 0, v[3:4]
	s_or_b64 s[6:7], vcc, s[6:7]
	s_and_b64 exec, exec, s[6:7]
	s_cbranch_execz .LBB127_78
; %bb.73:
	v_cmp_ngt_f64_e64 s[6:7], |v[1:2]|, |v[3:4]|
                                        ; implicit-def: $vgpr5_vgpr6
	s_and_saveexec_b64 s[10:11], s[6:7]
	s_xor_b64 s[6:7], exec, s[10:11]
                                        ; implicit-def: $vgpr7_vgpr8
	s_cbranch_execz .LBB127_75
; %bb.74:
	v_div_scale_f64 v[5:6], s[10:11], v[3:4], v[3:4], v[1:2]
	v_rcp_f64_e32 v[7:8], v[5:6]
	v_fma_f64 v[9:10], -v[5:6], v[7:8], 1.0
	v_fma_f64 v[7:8], v[7:8], v[9:10], v[7:8]
	v_div_scale_f64 v[9:10], vcc, v[1:2], v[3:4], v[1:2]
	v_fma_f64 v[18:19], -v[5:6], v[7:8], 1.0
	v_fma_f64 v[7:8], v[7:8], v[18:19], v[7:8]
	v_mul_f64 v[18:19], v[9:10], v[7:8]
	v_fma_f64 v[5:6], -v[5:6], v[18:19], v[9:10]
	v_div_fmas_f64 v[5:6], v[5:6], v[7:8], v[18:19]
	v_div_fixup_f64 v[5:6], v[5:6], v[3:4], v[1:2]
	v_fma_f64 v[1:2], v[1:2], v[5:6], v[3:4]
	v_div_scale_f64 v[3:4], s[10:11], v[1:2], v[1:2], 1.0
	v_div_scale_f64 v[18:19], vcc, 1.0, v[1:2], 1.0
	v_rcp_f64_e32 v[7:8], v[3:4]
	v_fma_f64 v[9:10], -v[3:4], v[7:8], 1.0
	v_fma_f64 v[7:8], v[7:8], v[9:10], v[7:8]
	v_fma_f64 v[9:10], -v[3:4], v[7:8], 1.0
	v_fma_f64 v[7:8], v[7:8], v[9:10], v[7:8]
	v_mul_f64 v[9:10], v[18:19], v[7:8]
	v_fma_f64 v[3:4], -v[3:4], v[9:10], v[18:19]
	v_div_fmas_f64 v[3:4], v[3:4], v[7:8], v[9:10]
	v_div_fixup_f64 v[7:8], v[3:4], v[1:2], 1.0
                                        ; implicit-def: $vgpr1_vgpr2
	v_mul_f64 v[5:6], v[5:6], v[7:8]
	v_xor_b32_e32 v8, 0x80000000, v8
.LBB127_75:
	s_andn2_saveexec_b64 s[6:7], s[6:7]
	s_cbranch_execz .LBB127_77
; %bb.76:
	v_div_scale_f64 v[5:6], s[10:11], v[1:2], v[1:2], v[3:4]
	v_rcp_f64_e32 v[7:8], v[5:6]
	v_fma_f64 v[9:10], -v[5:6], v[7:8], 1.0
	v_fma_f64 v[7:8], v[7:8], v[9:10], v[7:8]
	v_div_scale_f64 v[9:10], vcc, v[3:4], v[1:2], v[3:4]
	v_fma_f64 v[18:19], -v[5:6], v[7:8], 1.0
	v_fma_f64 v[7:8], v[7:8], v[18:19], v[7:8]
	v_mul_f64 v[18:19], v[9:10], v[7:8]
	v_fma_f64 v[5:6], -v[5:6], v[18:19], v[9:10]
	v_div_fmas_f64 v[5:6], v[5:6], v[7:8], v[18:19]
	v_div_fixup_f64 v[7:8], v[5:6], v[1:2], v[3:4]
	v_fma_f64 v[1:2], v[3:4], v[7:8], v[1:2]
	v_div_scale_f64 v[3:4], s[10:11], v[1:2], v[1:2], 1.0
	v_div_scale_f64 v[18:19], vcc, 1.0, v[1:2], 1.0
	v_rcp_f64_e32 v[5:6], v[3:4]
	v_fma_f64 v[9:10], -v[3:4], v[5:6], 1.0
	v_fma_f64 v[5:6], v[5:6], v[9:10], v[5:6]
	v_fma_f64 v[9:10], -v[3:4], v[5:6], 1.0
	v_fma_f64 v[5:6], v[5:6], v[9:10], v[5:6]
	v_mul_f64 v[9:10], v[18:19], v[5:6]
	v_fma_f64 v[3:4], -v[3:4], v[9:10], v[18:19]
	v_div_fmas_f64 v[3:4], v[3:4], v[5:6], v[9:10]
	v_div_fixup_f64 v[5:6], v[3:4], v[1:2], 1.0
	v_mul_f64 v[7:8], v[7:8], -v[5:6]
.LBB127_77:
	s_or_b64 exec, exec, s[6:7]
	ds_write2_b64 v11, v[5:6], v[7:8] offset1:1
.LBB127_78:
	s_or_b64 exec, exec, s[8:9]
	s_waitcnt lgkmcnt(0)
	s_barrier
	ds_read2_b64 v[1:4], v11 offset1:1
	v_cmp_lt_u32_e32 vcc, 5, v0
	s_waitcnt lgkmcnt(0)
	buffer_store_dword v1, off, s[0:3], 0 offset:1584 ; 4-byte Folded Spill
	s_nop 0
	buffer_store_dword v2, off, s[0:3], 0 offset:1588 ; 4-byte Folded Spill
	buffer_store_dword v3, off, s[0:3], 0 offset:1592 ; 4-byte Folded Spill
	;; [unrolled: 1-line block ×3, first 2 shown]
	s_and_saveexec_b64 s[6:7], vcc
	s_cbranch_execz .LBB127_81
; %bb.79:
	buffer_load_dword v1, off, s[0:3], 0 offset:88
	buffer_load_dword v2, off, s[0:3], 0 offset:92
	;; [unrolled: 1-line block ×4, first 2 shown]
	buffer_load_dword v7, off, s[0:3], 0 offset:1584 ; 4-byte Folded Reload
	buffer_load_dword v8, off, s[0:3], 0 offset:1588 ; 4-byte Folded Reload
	;; [unrolled: 1-line block ×4, first 2 shown]
	s_movk_i32 s8, 0x60
	s_waitcnt vmcnt(0)
	v_mul_f64 v[5:6], v[9:10], v[1:2]
	v_mul_f64 v[1:2], v[7:8], v[1:2]
	v_fma_f64 v[5:6], v[7:8], v[3:4], -v[5:6]
	v_fma_f64 v[1:2], v[9:10], v[3:4], v[1:2]
	buffer_store_dword v5, off, s[0:3], 0 offset:80
	buffer_store_dword v6, off, s[0:3], 0 offset:84
	;; [unrolled: 1-line block ×4, first 2 shown]
.LBB127_80:                             ; =>This Inner Loop Header: Depth=1
	v_add_u32_e32 v13, s8, v12
	ds_read2_b64 v[1:4], v13 offset1:1
	buffer_load_dword v5, off, s[0:3], 0 offset:80
	buffer_load_dword v6, off, s[0:3], 0 offset:84
	;; [unrolled: 1-line block ×4, first 2 shown]
	v_mov_b32_e32 v14, s8
	s_add_i32 s8, s8, 32
	s_cmpk_lg_i32 s8, 0x400
	s_waitcnt vmcnt(0) lgkmcnt(0)
	v_mul_f64 v[9:10], v[3:4], v[7:8]
	v_fma_f64 v[9:10], v[1:2], v[5:6], -v[9:10]
	v_mul_f64 v[1:2], v[1:2], v[7:8]
	v_fma_f64 v[1:2], v[3:4], v[5:6], v[1:2]
	buffer_load_dword v3, v14, s[0:3], 0 offen
	buffer_load_dword v4, v14, s[0:3], 0 offen offset:4
	buffer_load_dword v5, v14, s[0:3], 0 offen offset:8
	buffer_load_dword v6, v14, s[0:3], 0 offen offset:12
	buffer_load_dword v7, v14, s[0:3], 0 offen offset:16
	buffer_load_dword v8, v14, s[0:3], 0 offen offset:20
	buffer_load_dword v18, v14, s[0:3], 0 offen offset:24
	buffer_load_dword v19, v14, s[0:3], 0 offen offset:28
	s_waitcnt vmcnt(6)
	v_add_f64 v[3:4], v[3:4], -v[9:10]
	s_waitcnt vmcnt(4)
	v_add_f64 v[1:2], v[5:6], -v[1:2]
	buffer_store_dword v4, v14, s[0:3], 0 offen offset:4
	buffer_store_dword v3, v14, s[0:3], 0 offen
	buffer_store_dword v2, v14, s[0:3], 0 offen offset:12
	buffer_store_dword v1, v14, s[0:3], 0 offen offset:8
	ds_read2_b64 v[1:4], v13 offset0:2 offset1:3
	buffer_load_dword v6, off, s[0:3], 0 offset:84
	buffer_load_dword v5, off, s[0:3], 0 offset:80
	;; [unrolled: 1-line block ×4, first 2 shown]
	s_waitcnt vmcnt(0) lgkmcnt(0)
	v_mul_f64 v[20:21], v[3:4], v[9:10]
	v_fma_f64 v[20:21], v[1:2], v[5:6], -v[20:21]
	v_mul_f64 v[1:2], v[1:2], v[9:10]
	v_fma_f64 v[1:2], v[3:4], v[5:6], v[1:2]
	v_add_f64 v[3:4], v[7:8], -v[20:21]
	v_add_f64 v[1:2], v[18:19], -v[1:2]
	buffer_store_dword v4, v14, s[0:3], 0 offen offset:20
	buffer_store_dword v3, v14, s[0:3], 0 offen offset:16
	;; [unrolled: 1-line block ×4, first 2 shown]
	s_cbranch_scc1 .LBB127_80
.LBB127_81:
	s_or_b64 exec, exec, s[6:7]
	v_cmp_eq_u32_e32 vcc, 6, v0
	s_waitcnt vmcnt(0)
	s_barrier
	s_and_saveexec_b64 s[8:9], vcc
	s_cbranch_execz .LBB127_90
; %bb.82:
	v_readlane_b32 s6, v126, 5
	v_mov_b32_e32 v4, s6
	buffer_load_dword v1, v4, s[0:3], 0 offen
	buffer_load_dword v2, v4, s[0:3], 0 offen offset:4
	buffer_load_dword v3, v4, s[0:3], 0 offen offset:8
	s_nop 0
	buffer_load_dword v4, v4, s[0:3], 0 offen offset:12
	s_movk_i32 s6, 0x70
	s_waitcnt vmcnt(0)
	ds_write2_b64 v11, v[1:2], v[3:4] offset1:1
.LBB127_83:                             ; =>This Inner Loop Header: Depth=1
	v_mov_b32_e32 v13, s6
	buffer_load_dword v1, v13, s[0:3], 0 offen
	buffer_load_dword v2, v13, s[0:3], 0 offen offset:4
	buffer_load_dword v3, v13, s[0:3], 0 offen offset:8
	;; [unrolled: 1-line block ×11, first 2 shown]
	v_add_u32_e32 v13, s6, v12
	s_add_i32 s6, s6, 48
	s_cmpk_lg_i32 s6, 0x400
	s_waitcnt vmcnt(8)
	ds_write2_b64 v13, v[1:2], v[3:4] offset1:1
	s_waitcnt vmcnt(4)
	ds_write2_b64 v13, v[5:6], v[7:8] offset0:2 offset1:3
	s_waitcnt vmcnt(0)
	ds_write2_b64 v13, v[9:10], v[18:19] offset0:4 offset1:5
	s_cbranch_scc1 .LBB127_83
; %bb.84:
	ds_read2_b64 v[1:4], v11 offset1:1
	s_waitcnt lgkmcnt(0)
	v_cmp_neq_f64_e32 vcc, 0, v[1:2]
	v_cmp_neq_f64_e64 s[6:7], 0, v[3:4]
	s_or_b64 s[6:7], vcc, s[6:7]
	s_and_b64 exec, exec, s[6:7]
	s_cbranch_execz .LBB127_90
; %bb.85:
	v_cmp_ngt_f64_e64 s[6:7], |v[1:2]|, |v[3:4]|
                                        ; implicit-def: $vgpr5_vgpr6
	s_and_saveexec_b64 s[10:11], s[6:7]
	s_xor_b64 s[6:7], exec, s[10:11]
                                        ; implicit-def: $vgpr7_vgpr8
	s_cbranch_execz .LBB127_87
; %bb.86:
	v_div_scale_f64 v[5:6], s[10:11], v[3:4], v[3:4], v[1:2]
	v_rcp_f64_e32 v[7:8], v[5:6]
	v_fma_f64 v[9:10], -v[5:6], v[7:8], 1.0
	v_fma_f64 v[7:8], v[7:8], v[9:10], v[7:8]
	v_div_scale_f64 v[9:10], vcc, v[1:2], v[3:4], v[1:2]
	v_fma_f64 v[18:19], -v[5:6], v[7:8], 1.0
	v_fma_f64 v[7:8], v[7:8], v[18:19], v[7:8]
	v_mul_f64 v[18:19], v[9:10], v[7:8]
	v_fma_f64 v[5:6], -v[5:6], v[18:19], v[9:10]
	v_div_fmas_f64 v[5:6], v[5:6], v[7:8], v[18:19]
	v_div_fixup_f64 v[5:6], v[5:6], v[3:4], v[1:2]
	v_fma_f64 v[1:2], v[1:2], v[5:6], v[3:4]
	v_div_scale_f64 v[3:4], s[10:11], v[1:2], v[1:2], 1.0
	v_div_scale_f64 v[18:19], vcc, 1.0, v[1:2], 1.0
	v_rcp_f64_e32 v[7:8], v[3:4]
	v_fma_f64 v[9:10], -v[3:4], v[7:8], 1.0
	v_fma_f64 v[7:8], v[7:8], v[9:10], v[7:8]
	v_fma_f64 v[9:10], -v[3:4], v[7:8], 1.0
	v_fma_f64 v[7:8], v[7:8], v[9:10], v[7:8]
	v_mul_f64 v[9:10], v[18:19], v[7:8]
	v_fma_f64 v[3:4], -v[3:4], v[9:10], v[18:19]
	v_div_fmas_f64 v[3:4], v[3:4], v[7:8], v[9:10]
	v_div_fixup_f64 v[7:8], v[3:4], v[1:2], 1.0
                                        ; implicit-def: $vgpr1_vgpr2
	v_mul_f64 v[5:6], v[5:6], v[7:8]
	v_xor_b32_e32 v8, 0x80000000, v8
.LBB127_87:
	s_andn2_saveexec_b64 s[6:7], s[6:7]
	s_cbranch_execz .LBB127_89
; %bb.88:
	v_div_scale_f64 v[5:6], s[10:11], v[1:2], v[1:2], v[3:4]
	v_rcp_f64_e32 v[7:8], v[5:6]
	v_fma_f64 v[9:10], -v[5:6], v[7:8], 1.0
	v_fma_f64 v[7:8], v[7:8], v[9:10], v[7:8]
	v_div_scale_f64 v[9:10], vcc, v[3:4], v[1:2], v[3:4]
	v_fma_f64 v[18:19], -v[5:6], v[7:8], 1.0
	v_fma_f64 v[7:8], v[7:8], v[18:19], v[7:8]
	v_mul_f64 v[18:19], v[9:10], v[7:8]
	v_fma_f64 v[5:6], -v[5:6], v[18:19], v[9:10]
	v_div_fmas_f64 v[5:6], v[5:6], v[7:8], v[18:19]
	v_div_fixup_f64 v[7:8], v[5:6], v[1:2], v[3:4]
	v_fma_f64 v[1:2], v[3:4], v[7:8], v[1:2]
	v_div_scale_f64 v[3:4], s[10:11], v[1:2], v[1:2], 1.0
	v_div_scale_f64 v[18:19], vcc, 1.0, v[1:2], 1.0
	v_rcp_f64_e32 v[5:6], v[3:4]
	v_fma_f64 v[9:10], -v[3:4], v[5:6], 1.0
	v_fma_f64 v[5:6], v[5:6], v[9:10], v[5:6]
	v_fma_f64 v[9:10], -v[3:4], v[5:6], 1.0
	v_fma_f64 v[5:6], v[5:6], v[9:10], v[5:6]
	v_mul_f64 v[9:10], v[18:19], v[5:6]
	v_fma_f64 v[3:4], -v[3:4], v[9:10], v[18:19]
	v_div_fmas_f64 v[3:4], v[3:4], v[5:6], v[9:10]
	v_div_fixup_f64 v[5:6], v[3:4], v[1:2], 1.0
	v_mul_f64 v[7:8], v[7:8], -v[5:6]
.LBB127_89:
	s_or_b64 exec, exec, s[6:7]
	ds_write2_b64 v11, v[5:6], v[7:8] offset1:1
.LBB127_90:
	s_or_b64 exec, exec, s[8:9]
	s_waitcnt lgkmcnt(0)
	s_barrier
	ds_read2_b64 v[1:4], v11 offset1:1
	v_cmp_lt_u32_e32 vcc, 6, v0
	s_waitcnt lgkmcnt(0)
	buffer_store_dword v1, off, s[0:3], 0 offset:1600 ; 4-byte Folded Spill
	s_nop 0
	buffer_store_dword v2, off, s[0:3], 0 offset:1604 ; 4-byte Folded Spill
	buffer_store_dword v3, off, s[0:3], 0 offset:1608 ; 4-byte Folded Spill
	;; [unrolled: 1-line block ×3, first 2 shown]
	s_and_saveexec_b64 s[6:7], vcc
	s_cbranch_execz .LBB127_93
; %bb.91:
	buffer_load_dword v1, off, s[0:3], 0 offset:104
	buffer_load_dword v2, off, s[0:3], 0 offset:108
	;; [unrolled: 1-line block ×4, first 2 shown]
	buffer_load_dword v7, off, s[0:3], 0 offset:1600 ; 4-byte Folded Reload
	buffer_load_dword v8, off, s[0:3], 0 offset:1604 ; 4-byte Folded Reload
	;; [unrolled: 1-line block ×4, first 2 shown]
	s_movk_i32 s8, 0x70
	s_waitcnt vmcnt(0)
	v_mul_f64 v[5:6], v[9:10], v[1:2]
	v_mul_f64 v[1:2], v[7:8], v[1:2]
	v_fma_f64 v[5:6], v[7:8], v[3:4], -v[5:6]
	v_fma_f64 v[1:2], v[9:10], v[3:4], v[1:2]
	buffer_store_dword v5, off, s[0:3], 0 offset:96
	buffer_store_dword v6, off, s[0:3], 0 offset:100
	;; [unrolled: 1-line block ×4, first 2 shown]
.LBB127_92:                             ; =>This Inner Loop Header: Depth=1
	buffer_load_dword v5, off, s[0:3], 0 offset:104
	s_nop 0
	buffer_load_dword v6, off, s[0:3], 0 offset:108
	buffer_load_dword v7, off, s[0:3], 0 offset:96
	;; [unrolled: 1-line block ×3, first 2 shown]
	v_mov_b32_e32 v13, s8
	buffer_load_dword v9, v13, s[0:3], 0 offen
	buffer_load_dword v10, v13, s[0:3], 0 offen offset:4
	buffer_load_dword v18, v13, s[0:3], 0 offen offset:8
	;; [unrolled: 1-line block ×3, first 2 shown]
	v_add_u32_e32 v14, s8, v12
	ds_read2_b64 v[1:4], v14 offset1:1
	buffer_load_dword v20, v13, s[0:3], 0 offen offset:16
	s_add_i32 s8, s8, 48
	s_cmpk_lg_i32 s8, 0x400
	s_waitcnt vmcnt(7) lgkmcnt(0)
	v_mul_f64 v[21:22], v[3:4], v[5:6]
	v_mul_f64 v[5:6], v[1:2], v[5:6]
	s_waitcnt vmcnt(5)
	v_fma_f64 v[1:2], v[1:2], v[7:8], -v[21:22]
	v_fma_f64 v[3:4], v[3:4], v[7:8], v[5:6]
	s_waitcnt vmcnt(3)
	v_add_f64 v[1:2], v[9:10], -v[1:2]
	s_waitcnt vmcnt(1)
	v_add_f64 v[3:4], v[18:19], -v[3:4]
	buffer_store_dword v2, v13, s[0:3], 0 offen offset:4
	buffer_store_dword v1, v13, s[0:3], 0 offen
	buffer_store_dword v4, v13, s[0:3], 0 offen offset:12
	buffer_store_dword v3, v13, s[0:3], 0 offen offset:8
	buffer_load_dword v6, off, s[0:3], 0 offset:108
	buffer_load_dword v5, off, s[0:3], 0 offset:104
	buffer_load_dword v8, off, s[0:3], 0 offset:100
	buffer_load_dword v7, off, s[0:3], 0 offset:96
	buffer_load_dword v21, v13, s[0:3], 0 offen offset:20
	buffer_load_dword v9, v13, s[0:3], 0 offen offset:24
	;; [unrolled: 1-line block ×3, first 2 shown]
	ds_read2_b64 v[1:4], v14 offset0:2 offset1:3
	s_waitcnt vmcnt(5) lgkmcnt(0)
	v_mul_f64 v[18:19], v[3:4], v[5:6]
	v_mul_f64 v[5:6], v[1:2], v[5:6]
	s_waitcnt vmcnt(3)
	v_fma_f64 v[1:2], v[1:2], v[7:8], -v[18:19]
	v_fma_f64 v[3:4], v[3:4], v[7:8], v[5:6]
	s_waitcnt vmcnt(2)
	v_add_f64 v[1:2], v[20:21], -v[1:2]
	s_waitcnt vmcnt(0)
	v_add_f64 v[3:4], v[9:10], -v[3:4]
	buffer_store_dword v2, v13, s[0:3], 0 offen offset:20
	buffer_store_dword v1, v13, s[0:3], 0 offen offset:16
	;; [unrolled: 1-line block ×4, first 2 shown]
	buffer_load_dword v5, off, s[0:3], 0 offset:104
	buffer_load_dword v6, off, s[0:3], 0 offset:108
	;; [unrolled: 1-line block ×4, first 2 shown]
	buffer_load_dword v9, v13, s[0:3], 0 offen offset:32
	buffer_load_dword v10, v13, s[0:3], 0 offen offset:36
	;; [unrolled: 1-line block ×4, first 2 shown]
	ds_read2_b64 v[1:4], v14 offset0:4 offset1:5
	s_waitcnt vmcnt(6) lgkmcnt(0)
	v_mul_f64 v[20:21], v[3:4], v[5:6]
	v_mul_f64 v[5:6], v[1:2], v[5:6]
	s_waitcnt vmcnt(4)
	v_fma_f64 v[1:2], v[1:2], v[7:8], -v[20:21]
	v_fma_f64 v[3:4], v[3:4], v[7:8], v[5:6]
	s_waitcnt vmcnt(2)
	v_add_f64 v[1:2], v[9:10], -v[1:2]
	s_waitcnt vmcnt(0)
	v_add_f64 v[3:4], v[18:19], -v[3:4]
	buffer_store_dword v2, v13, s[0:3], 0 offen offset:36
	buffer_store_dword v1, v13, s[0:3], 0 offen offset:32
	;; [unrolled: 1-line block ×4, first 2 shown]
	s_cbranch_scc1 .LBB127_92
.LBB127_93:
	s_or_b64 exec, exec, s[6:7]
	v_cmp_eq_u32_e32 vcc, 7, v0
	s_waitcnt vmcnt(0)
	s_barrier
	s_and_saveexec_b64 s[8:9], vcc
	s_cbranch_execz .LBB127_102
; %bb.94:
	v_readlane_b32 s6, v126, 6
	v_mov_b32_e32 v4, s6
	buffer_load_dword v1, v4, s[0:3], 0 offen
	buffer_load_dword v2, v4, s[0:3], 0 offen offset:4
	buffer_load_dword v3, v4, s[0:3], 0 offen offset:8
	s_nop 0
	buffer_load_dword v4, v4, s[0:3], 0 offen offset:12
	s_movk_i32 s6, 0x80
	s_waitcnt vmcnt(0)
	ds_write2_b64 v11, v[1:2], v[3:4] offset1:1
.LBB127_95:                             ; =>This Inner Loop Header: Depth=1
	v_mov_b32_e32 v13, s6
	buffer_load_dword v1, v13, s[0:3], 0 offen
	buffer_load_dword v2, v13, s[0:3], 0 offen offset:4
	buffer_load_dword v3, v13, s[0:3], 0 offen offset:8
	;; [unrolled: 1-line block ×15, first 2 shown]
	v_add_u32_e32 v14, s6, v12
	s_addk_i32 s6, 0xe0
	s_cmpk_lg_i32 s6, 0x400
	s_waitcnt vmcnt(12)
	ds_write2_b64 v14, v[1:2], v[3:4] offset1:1
	s_waitcnt vmcnt(8)
	ds_write2_b64 v14, v[5:6], v[7:8] offset0:2 offset1:3
	s_waitcnt vmcnt(4)
	ds_write2_b64 v14, v[9:10], v[18:19] offset0:4 offset1:5
	;; [unrolled: 2-line block ×3, first 2 shown]
	buffer_load_dword v2, v13, s[0:3], 0 offen offset:76
	buffer_load_dword v1, v13, s[0:3], 0 offen offset:72
	buffer_load_dword v4, v13, s[0:3], 0 offen offset:68
	buffer_load_dword v3, v13, s[0:3], 0 offen offset:64
	s_waitcnt vmcnt(0)
	ds_write2_b64 v14, v[3:4], v[1:2] offset0:8 offset1:9
	buffer_load_dword v2, v13, s[0:3], 0 offen offset:92
	buffer_load_dword v1, v13, s[0:3], 0 offen offset:88
	buffer_load_dword v4, v13, s[0:3], 0 offen offset:84
	buffer_load_dword v3, v13, s[0:3], 0 offen offset:80
	s_waitcnt vmcnt(0)
	ds_write2_b64 v14, v[3:4], v[1:2] offset0:10 offset1:11
	;; [unrolled: 6-line block ×10, first 2 shown]
	s_cbranch_scc1 .LBB127_95
; %bb.96:
	ds_read2_b64 v[1:4], v11 offset1:1
	s_waitcnt lgkmcnt(0)
	v_cmp_neq_f64_e32 vcc, 0, v[1:2]
	v_cmp_neq_f64_e64 s[6:7], 0, v[3:4]
	s_or_b64 s[6:7], vcc, s[6:7]
	s_and_b64 exec, exec, s[6:7]
	s_cbranch_execz .LBB127_102
; %bb.97:
	v_cmp_ngt_f64_e64 s[6:7], |v[1:2]|, |v[3:4]|
                                        ; implicit-def: $vgpr5_vgpr6
	s_and_saveexec_b64 s[10:11], s[6:7]
	s_xor_b64 s[6:7], exec, s[10:11]
                                        ; implicit-def: $vgpr7_vgpr8
	s_cbranch_execz .LBB127_99
; %bb.98:
	v_div_scale_f64 v[5:6], s[10:11], v[3:4], v[3:4], v[1:2]
	v_rcp_f64_e32 v[7:8], v[5:6]
	v_fma_f64 v[9:10], -v[5:6], v[7:8], 1.0
	v_fma_f64 v[7:8], v[7:8], v[9:10], v[7:8]
	v_div_scale_f64 v[9:10], vcc, v[1:2], v[3:4], v[1:2]
	v_fma_f64 v[18:19], -v[5:6], v[7:8], 1.0
	v_fma_f64 v[7:8], v[7:8], v[18:19], v[7:8]
	v_mul_f64 v[18:19], v[9:10], v[7:8]
	v_fma_f64 v[5:6], -v[5:6], v[18:19], v[9:10]
	v_div_fmas_f64 v[5:6], v[5:6], v[7:8], v[18:19]
	v_div_fixup_f64 v[5:6], v[5:6], v[3:4], v[1:2]
	v_fma_f64 v[1:2], v[1:2], v[5:6], v[3:4]
	v_div_scale_f64 v[3:4], s[10:11], v[1:2], v[1:2], 1.0
	v_div_scale_f64 v[18:19], vcc, 1.0, v[1:2], 1.0
	v_rcp_f64_e32 v[7:8], v[3:4]
	v_fma_f64 v[9:10], -v[3:4], v[7:8], 1.0
	v_fma_f64 v[7:8], v[7:8], v[9:10], v[7:8]
	v_fma_f64 v[9:10], -v[3:4], v[7:8], 1.0
	v_fma_f64 v[7:8], v[7:8], v[9:10], v[7:8]
	v_mul_f64 v[9:10], v[18:19], v[7:8]
	v_fma_f64 v[3:4], -v[3:4], v[9:10], v[18:19]
	v_div_fmas_f64 v[3:4], v[3:4], v[7:8], v[9:10]
	v_div_fixup_f64 v[7:8], v[3:4], v[1:2], 1.0
                                        ; implicit-def: $vgpr1_vgpr2
	v_mul_f64 v[5:6], v[5:6], v[7:8]
	v_xor_b32_e32 v8, 0x80000000, v8
.LBB127_99:
	s_andn2_saveexec_b64 s[6:7], s[6:7]
	s_cbranch_execz .LBB127_101
; %bb.100:
	v_div_scale_f64 v[5:6], s[10:11], v[1:2], v[1:2], v[3:4]
	v_rcp_f64_e32 v[7:8], v[5:6]
	v_fma_f64 v[9:10], -v[5:6], v[7:8], 1.0
	v_fma_f64 v[7:8], v[7:8], v[9:10], v[7:8]
	v_div_scale_f64 v[9:10], vcc, v[3:4], v[1:2], v[3:4]
	v_fma_f64 v[18:19], -v[5:6], v[7:8], 1.0
	v_fma_f64 v[7:8], v[7:8], v[18:19], v[7:8]
	v_mul_f64 v[18:19], v[9:10], v[7:8]
	v_fma_f64 v[5:6], -v[5:6], v[18:19], v[9:10]
	v_div_fmas_f64 v[5:6], v[5:6], v[7:8], v[18:19]
	v_div_fixup_f64 v[7:8], v[5:6], v[1:2], v[3:4]
	v_fma_f64 v[1:2], v[3:4], v[7:8], v[1:2]
	v_div_scale_f64 v[3:4], s[10:11], v[1:2], v[1:2], 1.0
	v_div_scale_f64 v[18:19], vcc, 1.0, v[1:2], 1.0
	v_rcp_f64_e32 v[5:6], v[3:4]
	v_fma_f64 v[9:10], -v[3:4], v[5:6], 1.0
	v_fma_f64 v[5:6], v[5:6], v[9:10], v[5:6]
	v_fma_f64 v[9:10], -v[3:4], v[5:6], 1.0
	v_fma_f64 v[5:6], v[5:6], v[9:10], v[5:6]
	v_mul_f64 v[9:10], v[18:19], v[5:6]
	v_fma_f64 v[3:4], -v[3:4], v[9:10], v[18:19]
	v_div_fmas_f64 v[3:4], v[3:4], v[5:6], v[9:10]
	v_div_fixup_f64 v[5:6], v[3:4], v[1:2], 1.0
	v_mul_f64 v[7:8], v[7:8], -v[5:6]
.LBB127_101:
	s_or_b64 exec, exec, s[6:7]
	ds_write2_b64 v11, v[5:6], v[7:8] offset1:1
.LBB127_102:
	s_or_b64 exec, exec, s[8:9]
	buffer_store_dword v24, off, s[0:3], 0 offset:1968 ; 4-byte Folded Spill
	s_nop 0
	buffer_store_dword v25, off, s[0:3], 0 offset:1972 ; 4-byte Folded Spill
	buffer_store_dword v26, off, s[0:3], 0 offset:1976 ; 4-byte Folded Spill
	;; [unrolled: 1-line block ×3, first 2 shown]
	s_waitcnt vmcnt(0) lgkmcnt(0)
	s_barrier
	ds_read2_b64 v[1:4], v11 offset1:1
	v_cmp_lt_u32_e32 vcc, 7, v0
	s_waitcnt lgkmcnt(0)
	buffer_store_dword v1, off, s[0:3], 0 offset:1616 ; 4-byte Folded Spill
	s_nop 0
	buffer_store_dword v2, off, s[0:3], 0 offset:1620 ; 4-byte Folded Spill
	buffer_store_dword v3, off, s[0:3], 0 offset:1624 ; 4-byte Folded Spill
	;; [unrolled: 1-line block ×3, first 2 shown]
	s_and_saveexec_b64 s[6:7], vcc
	s_cbranch_execz .LBB127_105
; %bb.103:
	buffer_load_dword v1, off, s[0:3], 0 offset:120
	buffer_load_dword v2, off, s[0:3], 0 offset:124
	;; [unrolled: 1-line block ×4, first 2 shown]
	buffer_load_dword v18, off, s[0:3], 0 offset:1616 ; 4-byte Folded Reload
	buffer_load_dword v19, off, s[0:3], 0 offset:1620 ; 4-byte Folded Reload
	;; [unrolled: 1-line block ×4, first 2 shown]
	s_movk_i32 s8, 0x80
	s_waitcnt vmcnt(2)
	v_mul_f64 v[7:8], v[18:19], v[1:2]
	s_waitcnt vmcnt(0)
	v_mul_f64 v[5:6], v[20:21], v[1:2]
	v_fma_f64 v[1:2], v[18:19], v[3:4], -v[5:6]
	v_fma_f64 v[3:4], v[20:21], v[3:4], v[7:8]
	buffer_store_dword v1, off, s[0:3], 0 offset:112
	buffer_store_dword v2, off, s[0:3], 0 offset:116
	;; [unrolled: 1-line block ×4, first 2 shown]
.LBB127_104:                            ; =>This Inner Loop Header: Depth=1
	v_mov_b32_e32 v5, s8
	buffer_load_dword v18, v5, s[0:3], 0 offen
	buffer_load_dword v19, v5, s[0:3], 0 offen offset:4
	buffer_load_dword v20, v5, s[0:3], 0 offen offset:8
	;; [unrolled: 1-line block ×3, first 2 shown]
	v_add_u32_e32 v6, s8, v12
	ds_read2_b64 v[7:10], v6 offset1:1
	buffer_load_dword v22, v5, s[0:3], 0 offen offset:16
	buffer_load_dword v23, v5, s[0:3], 0 offen offset:20
	;; [unrolled: 1-line block ×3, first 2 shown]
	s_addk_i32 s8, 0x70
	s_cmpk_lg_i32 s8, 0x400
	s_waitcnt lgkmcnt(0)
	v_mul_f64 v[25:26], v[9:10], v[3:4]
	v_mul_f64 v[3:4], v[7:8], v[3:4]
	v_fma_f64 v[7:8], v[7:8], v[1:2], -v[25:26]
	v_fma_f64 v[1:2], v[9:10], v[1:2], v[3:4]
	s_waitcnt vmcnt(5)
	v_add_f64 v[3:4], v[18:19], -v[7:8]
	s_waitcnt vmcnt(3)
	v_add_f64 v[1:2], v[20:21], -v[1:2]
	buffer_store_dword v4, v5, s[0:3], 0 offen offset:4
	buffer_store_dword v3, v5, s[0:3], 0 offen
	buffer_store_dword v2, v5, s[0:3], 0 offen offset:12
	buffer_store_dword v1, v5, s[0:3], 0 offen offset:8
	buffer_load_dword v8, off, s[0:3], 0 offset:124
	buffer_load_dword v7, off, s[0:3], 0 offset:120
	buffer_load_dword v10, off, s[0:3], 0 offset:116
	buffer_load_dword v9, off, s[0:3], 0 offset:112
	buffer_load_dword v25, v5, s[0:3], 0 offen offset:28
	ds_read2_b64 v[1:4], v6 offset0:2 offset1:3
	buffer_load_dword v18, v5, s[0:3], 0 offen offset:32
	buffer_load_dword v19, v5, s[0:3], 0 offen offset:36
	buffer_load_dword v20, v5, s[0:3], 0 offen offset:40
	s_waitcnt vmcnt(6) lgkmcnt(0)
	v_mul_f64 v[26:27], v[3:4], v[7:8]
	v_mul_f64 v[7:8], v[1:2], v[7:8]
	s_waitcnt vmcnt(4)
	v_fma_f64 v[1:2], v[1:2], v[9:10], -v[26:27]
	v_fma_f64 v[3:4], v[3:4], v[9:10], v[7:8]
	v_add_f64 v[1:2], v[22:23], -v[1:2]
	s_waitcnt vmcnt(3)
	v_add_f64 v[3:4], v[24:25], -v[3:4]
	buffer_store_dword v2, v5, s[0:3], 0 offen offset:20
	buffer_store_dword v1, v5, s[0:3], 0 offen offset:16
	buffer_store_dword v4, v5, s[0:3], 0 offen offset:28
	buffer_store_dword v3, v5, s[0:3], 0 offen offset:24
	buffer_load_dword v7, off, s[0:3], 0 offset:120
	buffer_load_dword v8, off, s[0:3], 0 offset:124
	buffer_load_dword v9, off, s[0:3], 0 offset:112
	buffer_load_dword v10, off, s[0:3], 0 offset:116
	buffer_load_dword v21, v5, s[0:3], 0 offen offset:44
	ds_read2_b64 v[1:4], v6 offset0:4 offset1:5
	buffer_load_dword v22, v5, s[0:3], 0 offen offset:48
	buffer_load_dword v23, v5, s[0:3], 0 offen offset:52
	buffer_load_dword v24, v5, s[0:3], 0 offen offset:56
	s_waitcnt vmcnt(6) lgkmcnt(0)
	v_mul_f64 v[25:26], v[3:4], v[7:8]
	v_mul_f64 v[7:8], v[1:2], v[7:8]
	s_waitcnt vmcnt(4)
	v_fma_f64 v[1:2], v[1:2], v[9:10], -v[25:26]
	v_fma_f64 v[3:4], v[3:4], v[9:10], v[7:8]
	v_add_f64 v[1:2], v[18:19], -v[1:2]
	s_waitcnt vmcnt(3)
	v_add_f64 v[3:4], v[20:21], -v[3:4]
	buffer_store_dword v2, v5, s[0:3], 0 offen offset:36
	buffer_store_dword v1, v5, s[0:3], 0 offen offset:32
	;; [unrolled: 22-line block ×3, first 2 shown]
	buffer_store_dword v4, v5, s[0:3], 0 offen offset:60
	buffer_store_dword v3, v5, s[0:3], 0 offen offset:56
	buffer_load_dword v7, off, s[0:3], 0 offset:120
	buffer_load_dword v8, off, s[0:3], 0 offset:124
	;; [unrolled: 1-line block ×4, first 2 shown]
	buffer_load_dword v21, v5, s[0:3], 0 offen offset:76
	ds_read2_b64 v[1:4], v6 offset0:8 offset1:9
	buffer_load_dword v22, v5, s[0:3], 0 offen offset:80
	s_waitcnt vmcnt(4) lgkmcnt(0)
	v_mul_f64 v[23:24], v[3:4], v[7:8]
	v_mul_f64 v[7:8], v[1:2], v[7:8]
	s_waitcnt vmcnt(2)
	v_fma_f64 v[1:2], v[1:2], v[9:10], -v[23:24]
	v_fma_f64 v[3:4], v[3:4], v[9:10], v[7:8]
	v_add_f64 v[1:2], v[18:19], -v[1:2]
	s_waitcnt vmcnt(1)
	v_add_f64 v[3:4], v[20:21], -v[3:4]
	buffer_store_dword v2, v5, s[0:3], 0 offen offset:68
	buffer_store_dword v1, v5, s[0:3], 0 offen offset:64
	;; [unrolled: 1-line block ×4, first 2 shown]
	buffer_load_dword v7, off, s[0:3], 0 offset:120
	buffer_load_dword v8, off, s[0:3], 0 offset:124
	;; [unrolled: 1-line block ×4, first 2 shown]
	buffer_load_dword v23, v5, s[0:3], 0 offen offset:84
	buffer_load_dword v18, v5, s[0:3], 0 offen offset:88
	;; [unrolled: 1-line block ×3, first 2 shown]
	ds_read2_b64 v[1:4], v6 offset0:10 offset1:11
	s_waitcnt vmcnt(5) lgkmcnt(0)
	v_mul_f64 v[20:21], v[3:4], v[7:8]
	v_mul_f64 v[7:8], v[1:2], v[7:8]
	s_waitcnt vmcnt(3)
	v_fma_f64 v[1:2], v[1:2], v[9:10], -v[20:21]
	v_fma_f64 v[3:4], v[3:4], v[9:10], v[7:8]
	s_waitcnt vmcnt(2)
	v_add_f64 v[1:2], v[22:23], -v[1:2]
	s_waitcnt vmcnt(0)
	v_add_f64 v[3:4], v[18:19], -v[3:4]
	buffer_store_dword v2, v5, s[0:3], 0 offen offset:84
	buffer_store_dword v1, v5, s[0:3], 0 offen offset:80
	buffer_store_dword v4, v5, s[0:3], 0 offen offset:92
	buffer_store_dword v3, v5, s[0:3], 0 offen offset:88
	buffer_load_dword v3, off, s[0:3], 0 offset:120
	s_nop 0
	buffer_load_dword v4, off, s[0:3], 0 offset:124
	buffer_load_dword v1, off, s[0:3], 0 offset:112
	;; [unrolled: 1-line block ×3, first 2 shown]
	buffer_load_dword v18, v5, s[0:3], 0 offen offset:96
	buffer_load_dword v19, v5, s[0:3], 0 offen offset:100
	buffer_load_dword v20, v5, s[0:3], 0 offen offset:104
	buffer_load_dword v21, v5, s[0:3], 0 offen offset:108
	ds_read2_b64 v[6:9], v6 offset0:12 offset1:13
	s_waitcnt vmcnt(6) lgkmcnt(0)
	v_mul_f64 v[22:23], v[8:9], v[3:4]
	v_mul_f64 v[24:25], v[6:7], v[3:4]
	s_waitcnt vmcnt(4)
	v_fma_f64 v[6:7], v[6:7], v[1:2], -v[22:23]
	v_fma_f64 v[8:9], v[8:9], v[1:2], v[24:25]
	s_waitcnt vmcnt(2)
	v_add_f64 v[6:7], v[18:19], -v[6:7]
	s_waitcnt vmcnt(0)
	v_add_f64 v[8:9], v[20:21], -v[8:9]
	buffer_store_dword v7, v5, s[0:3], 0 offen offset:100
	buffer_store_dword v6, v5, s[0:3], 0 offen offset:96
	;; [unrolled: 1-line block ×4, first 2 shown]
	s_cbranch_scc1 .LBB127_104
.LBB127_105:
	s_or_b64 exec, exec, s[6:7]
	v_cmp_eq_u32_e32 vcc, 8, v0
	s_waitcnt vmcnt(0)
	s_barrier
	s_and_saveexec_b64 s[8:9], vcc
	s_cbranch_execz .LBB127_114
; %bb.106:
	v_readlane_b32 s6, v126, 7
	v_mov_b32_e32 v4, s6
	buffer_load_dword v1, v4, s[0:3], 0 offen
	buffer_load_dword v2, v4, s[0:3], 0 offen offset:4
	buffer_load_dword v3, v4, s[0:3], 0 offen offset:8
	s_nop 0
	buffer_load_dword v4, v4, s[0:3], 0 offen offset:12
	s_movk_i32 s6, 0x90
	s_waitcnt vmcnt(0)
	ds_write2_b64 v11, v[1:2], v[3:4] offset1:1
.LBB127_107:                            ; =>This Inner Loop Header: Depth=1
	v_mov_b32_e32 v13, s6
	buffer_load_dword v1, v13, s[0:3], 0 offen
	buffer_load_dword v2, v13, s[0:3], 0 offen offset:4
	buffer_load_dword v3, v13, s[0:3], 0 offen offset:8
	;; [unrolled: 1-line block ×15, first 2 shown]
	v_add_u32_e32 v14, s6, v12
	s_addk_i32 s6, 0xb0
	s_cmpk_lg_i32 s6, 0x400
	s_waitcnt vmcnt(12)
	ds_write2_b64 v14, v[1:2], v[3:4] offset1:1
	s_waitcnt vmcnt(8)
	ds_write2_b64 v14, v[5:6], v[7:8] offset0:2 offset1:3
	s_waitcnt vmcnt(4)
	ds_write2_b64 v14, v[9:10], v[18:19] offset0:4 offset1:5
	;; [unrolled: 2-line block ×3, first 2 shown]
	buffer_load_dword v2, v13, s[0:3], 0 offen offset:76
	buffer_load_dword v1, v13, s[0:3], 0 offen offset:72
	buffer_load_dword v4, v13, s[0:3], 0 offen offset:68
	buffer_load_dword v3, v13, s[0:3], 0 offen offset:64
	s_waitcnt vmcnt(0)
	ds_write2_b64 v14, v[3:4], v[1:2] offset0:8 offset1:9
	buffer_load_dword v2, v13, s[0:3], 0 offen offset:92
	buffer_load_dword v1, v13, s[0:3], 0 offen offset:88
	buffer_load_dword v4, v13, s[0:3], 0 offen offset:84
	buffer_load_dword v3, v13, s[0:3], 0 offen offset:80
	s_waitcnt vmcnt(0)
	ds_write2_b64 v14, v[3:4], v[1:2] offset0:10 offset1:11
	;; [unrolled: 6-line block ×7, first 2 shown]
	s_cbranch_scc1 .LBB127_107
; %bb.108:
	ds_read2_b64 v[1:4], v11 offset1:1
	s_waitcnt lgkmcnt(0)
	v_cmp_neq_f64_e32 vcc, 0, v[1:2]
	v_cmp_neq_f64_e64 s[6:7], 0, v[3:4]
	s_or_b64 s[6:7], vcc, s[6:7]
	s_and_b64 exec, exec, s[6:7]
	s_cbranch_execz .LBB127_114
; %bb.109:
	v_cmp_ngt_f64_e64 s[6:7], |v[1:2]|, |v[3:4]|
                                        ; implicit-def: $vgpr5_vgpr6
	s_and_saveexec_b64 s[10:11], s[6:7]
	s_xor_b64 s[6:7], exec, s[10:11]
                                        ; implicit-def: $vgpr7_vgpr8
	s_cbranch_execz .LBB127_111
; %bb.110:
	v_div_scale_f64 v[5:6], s[10:11], v[3:4], v[3:4], v[1:2]
	v_rcp_f64_e32 v[7:8], v[5:6]
	v_fma_f64 v[9:10], -v[5:6], v[7:8], 1.0
	v_fma_f64 v[7:8], v[7:8], v[9:10], v[7:8]
	v_div_scale_f64 v[9:10], vcc, v[1:2], v[3:4], v[1:2]
	v_fma_f64 v[18:19], -v[5:6], v[7:8], 1.0
	v_fma_f64 v[7:8], v[7:8], v[18:19], v[7:8]
	v_mul_f64 v[18:19], v[9:10], v[7:8]
	v_fma_f64 v[5:6], -v[5:6], v[18:19], v[9:10]
	v_div_fmas_f64 v[5:6], v[5:6], v[7:8], v[18:19]
	v_div_fixup_f64 v[5:6], v[5:6], v[3:4], v[1:2]
	v_fma_f64 v[1:2], v[1:2], v[5:6], v[3:4]
	v_div_scale_f64 v[3:4], s[10:11], v[1:2], v[1:2], 1.0
	v_div_scale_f64 v[18:19], vcc, 1.0, v[1:2], 1.0
	v_rcp_f64_e32 v[7:8], v[3:4]
	v_fma_f64 v[9:10], -v[3:4], v[7:8], 1.0
	v_fma_f64 v[7:8], v[7:8], v[9:10], v[7:8]
	v_fma_f64 v[9:10], -v[3:4], v[7:8], 1.0
	v_fma_f64 v[7:8], v[7:8], v[9:10], v[7:8]
	v_mul_f64 v[9:10], v[18:19], v[7:8]
	v_fma_f64 v[3:4], -v[3:4], v[9:10], v[18:19]
	v_div_fmas_f64 v[3:4], v[3:4], v[7:8], v[9:10]
	v_div_fixup_f64 v[7:8], v[3:4], v[1:2], 1.0
                                        ; implicit-def: $vgpr1_vgpr2
	v_mul_f64 v[5:6], v[5:6], v[7:8]
	v_xor_b32_e32 v8, 0x80000000, v8
.LBB127_111:
	s_andn2_saveexec_b64 s[6:7], s[6:7]
	s_cbranch_execz .LBB127_113
; %bb.112:
	v_div_scale_f64 v[5:6], s[10:11], v[1:2], v[1:2], v[3:4]
	v_rcp_f64_e32 v[7:8], v[5:6]
	v_fma_f64 v[9:10], -v[5:6], v[7:8], 1.0
	v_fma_f64 v[7:8], v[7:8], v[9:10], v[7:8]
	v_div_scale_f64 v[9:10], vcc, v[3:4], v[1:2], v[3:4]
	v_fma_f64 v[18:19], -v[5:6], v[7:8], 1.0
	v_fma_f64 v[7:8], v[7:8], v[18:19], v[7:8]
	v_mul_f64 v[18:19], v[9:10], v[7:8]
	v_fma_f64 v[5:6], -v[5:6], v[18:19], v[9:10]
	v_div_fmas_f64 v[5:6], v[5:6], v[7:8], v[18:19]
	v_div_fixup_f64 v[7:8], v[5:6], v[1:2], v[3:4]
	v_fma_f64 v[1:2], v[3:4], v[7:8], v[1:2]
	v_div_scale_f64 v[3:4], s[10:11], v[1:2], v[1:2], 1.0
	v_div_scale_f64 v[18:19], vcc, 1.0, v[1:2], 1.0
	v_rcp_f64_e32 v[5:6], v[3:4]
	v_fma_f64 v[9:10], -v[3:4], v[5:6], 1.0
	v_fma_f64 v[5:6], v[5:6], v[9:10], v[5:6]
	v_fma_f64 v[9:10], -v[3:4], v[5:6], 1.0
	v_fma_f64 v[5:6], v[5:6], v[9:10], v[5:6]
	v_mul_f64 v[9:10], v[18:19], v[5:6]
	v_fma_f64 v[3:4], -v[3:4], v[9:10], v[18:19]
	v_div_fmas_f64 v[3:4], v[3:4], v[5:6], v[9:10]
	v_div_fixup_f64 v[5:6], v[3:4], v[1:2], 1.0
	v_mul_f64 v[7:8], v[7:8], -v[5:6]
.LBB127_113:
	s_or_b64 exec, exec, s[6:7]
	ds_write2_b64 v11, v[5:6], v[7:8] offset1:1
.LBB127_114:
	s_or_b64 exec, exec, s[8:9]
	s_waitcnt lgkmcnt(0)
	s_barrier
	ds_read2_b64 v[1:4], v11 offset1:1
	v_cmp_lt_u32_e32 vcc, 8, v0
	s_waitcnt lgkmcnt(0)
	buffer_store_dword v1, off, s[0:3], 0 offset:1632 ; 4-byte Folded Spill
	s_nop 0
	buffer_store_dword v2, off, s[0:3], 0 offset:1636 ; 4-byte Folded Spill
	buffer_store_dword v3, off, s[0:3], 0 offset:1640 ; 4-byte Folded Spill
	;; [unrolled: 1-line block ×3, first 2 shown]
	s_and_saveexec_b64 s[6:7], vcc
	s_cbranch_execz .LBB127_117
; %bb.115:
	buffer_load_dword v1, off, s[0:3], 0 offset:136
	buffer_load_dword v2, off, s[0:3], 0 offset:140
	;; [unrolled: 1-line block ×4, first 2 shown]
	buffer_load_dword v7, off, s[0:3], 0 offset:1632 ; 4-byte Folded Reload
	buffer_load_dword v8, off, s[0:3], 0 offset:1636 ; 4-byte Folded Reload
	;; [unrolled: 1-line block ×4, first 2 shown]
	s_movk_i32 s8, 0x90
	s_waitcnt vmcnt(0)
	v_mul_f64 v[5:6], v[9:10], v[1:2]
	v_mul_f64 v[1:2], v[7:8], v[1:2]
	v_fma_f64 v[5:6], v[7:8], v[3:4], -v[5:6]
	v_fma_f64 v[1:2], v[9:10], v[3:4], v[1:2]
	buffer_store_dword v5, off, s[0:3], 0 offset:128
	buffer_store_dword v6, off, s[0:3], 0 offset:132
	;; [unrolled: 1-line block ×4, first 2 shown]
.LBB127_116:                            ; =>This Inner Loop Header: Depth=1
	buffer_load_dword v7, off, s[0:3], 0 offset:136
	buffer_load_dword v8, off, s[0:3], 0 offset:140
	;; [unrolled: 1-line block ×4, first 2 shown]
	v_mov_b32_e32 v1, s8
	buffer_load_dword v18, v1, s[0:3], 0 offen
	buffer_load_dword v19, v1, s[0:3], 0 offen offset:4
	buffer_load_dword v20, v1, s[0:3], 0 offen offset:8
	;; [unrolled: 1-line block ×3, first 2 shown]
	v_add_u32_e32 v2, s8, v12
	ds_read2_b64 v[3:6], v2 offset1:1
	buffer_load_dword v22, v1, s[0:3], 0 offen offset:16
	buffer_load_dword v23, v1, s[0:3], 0 offen offset:20
	;; [unrolled: 1-line block ×3, first 2 shown]
	s_addk_i32 s8, 0x50
	s_cmpk_lg_i32 s8, 0x400
	s_waitcnt vmcnt(9) lgkmcnt(0)
	v_mul_f64 v[25:26], v[5:6], v[7:8]
	v_mul_f64 v[7:8], v[3:4], v[7:8]
	s_waitcnt vmcnt(7)
	v_fma_f64 v[3:4], v[3:4], v[9:10], -v[25:26]
	v_fma_f64 v[5:6], v[5:6], v[9:10], v[7:8]
	s_waitcnt vmcnt(5)
	v_add_f64 v[3:4], v[18:19], -v[3:4]
	s_waitcnt vmcnt(3)
	v_add_f64 v[5:6], v[20:21], -v[5:6]
	buffer_store_dword v4, v1, s[0:3], 0 offen offset:4
	buffer_store_dword v3, v1, s[0:3], 0 offen
	buffer_store_dword v6, v1, s[0:3], 0 offen offset:12
	buffer_store_dword v5, v1, s[0:3], 0 offen offset:8
	buffer_load_dword v8, off, s[0:3], 0 offset:140
	buffer_load_dword v7, off, s[0:3], 0 offset:136
	;; [unrolled: 1-line block ×4, first 2 shown]
	buffer_load_dword v25, v1, s[0:3], 0 offen offset:28
	ds_read2_b64 v[3:6], v2 offset0:2 offset1:3
	buffer_load_dword v18, v1, s[0:3], 0 offen offset:32
	buffer_load_dword v19, v1, s[0:3], 0 offen offset:36
	;; [unrolled: 1-line block ×3, first 2 shown]
	s_waitcnt vmcnt(6) lgkmcnt(0)
	v_mul_f64 v[26:27], v[5:6], v[7:8]
	v_mul_f64 v[7:8], v[3:4], v[7:8]
	s_waitcnt vmcnt(4)
	v_fma_f64 v[3:4], v[3:4], v[9:10], -v[26:27]
	v_fma_f64 v[5:6], v[5:6], v[9:10], v[7:8]
	v_add_f64 v[3:4], v[22:23], -v[3:4]
	s_waitcnt vmcnt(3)
	v_add_f64 v[5:6], v[24:25], -v[5:6]
	buffer_store_dword v4, v1, s[0:3], 0 offen offset:20
	buffer_store_dword v3, v1, s[0:3], 0 offen offset:16
	;; [unrolled: 1-line block ×4, first 2 shown]
	buffer_load_dword v7, off, s[0:3], 0 offset:136
	buffer_load_dword v8, off, s[0:3], 0 offset:140
	;; [unrolled: 1-line block ×4, first 2 shown]
	buffer_load_dword v21, v1, s[0:3], 0 offen offset:44
	ds_read2_b64 v[3:6], v2 offset0:4 offset1:5
	buffer_load_dword v22, v1, s[0:3], 0 offen offset:48
	s_waitcnt vmcnt(4) lgkmcnt(0)
	v_mul_f64 v[23:24], v[5:6], v[7:8]
	v_mul_f64 v[7:8], v[3:4], v[7:8]
	s_waitcnt vmcnt(2)
	v_fma_f64 v[3:4], v[3:4], v[9:10], -v[23:24]
	v_fma_f64 v[5:6], v[5:6], v[9:10], v[7:8]
	v_add_f64 v[3:4], v[18:19], -v[3:4]
	s_waitcnt vmcnt(1)
	v_add_f64 v[5:6], v[20:21], -v[5:6]
	buffer_store_dword v4, v1, s[0:3], 0 offen offset:36
	buffer_store_dword v3, v1, s[0:3], 0 offen offset:32
	;; [unrolled: 1-line block ×4, first 2 shown]
	buffer_load_dword v7, off, s[0:3], 0 offset:136
	buffer_load_dword v8, off, s[0:3], 0 offset:140
	;; [unrolled: 1-line block ×4, first 2 shown]
	buffer_load_dword v23, v1, s[0:3], 0 offen offset:52
	buffer_load_dword v18, v1, s[0:3], 0 offen offset:56
	;; [unrolled: 1-line block ×3, first 2 shown]
	ds_read2_b64 v[3:6], v2 offset0:6 offset1:7
	s_waitcnt vmcnt(5) lgkmcnt(0)
	v_mul_f64 v[20:21], v[5:6], v[7:8]
	v_mul_f64 v[7:8], v[3:4], v[7:8]
	s_waitcnt vmcnt(3)
	v_fma_f64 v[3:4], v[3:4], v[9:10], -v[20:21]
	v_fma_f64 v[5:6], v[5:6], v[9:10], v[7:8]
	s_waitcnt vmcnt(2)
	v_add_f64 v[3:4], v[22:23], -v[3:4]
	s_waitcnt vmcnt(0)
	v_add_f64 v[5:6], v[18:19], -v[5:6]
	buffer_store_dword v4, v1, s[0:3], 0 offen offset:52
	buffer_store_dword v3, v1, s[0:3], 0 offen offset:48
	;; [unrolled: 1-line block ×4, first 2 shown]
	buffer_load_dword v6, off, s[0:3], 0 offset:136
	s_nop 0
	buffer_load_dword v7, off, s[0:3], 0 offset:140
	buffer_load_dword v8, off, s[0:3], 0 offset:128
	;; [unrolled: 1-line block ×3, first 2 shown]
	buffer_load_dword v18, v1, s[0:3], 0 offen offset:64
	buffer_load_dword v19, v1, s[0:3], 0 offen offset:68
	;; [unrolled: 1-line block ×4, first 2 shown]
	ds_read2_b64 v[2:5], v2 offset0:8 offset1:9
	s_waitcnt vmcnt(6) lgkmcnt(0)
	v_mul_f64 v[22:23], v[4:5], v[6:7]
	v_mul_f64 v[6:7], v[2:3], v[6:7]
	s_waitcnt vmcnt(4)
	v_fma_f64 v[2:3], v[2:3], v[8:9], -v[22:23]
	v_fma_f64 v[4:5], v[4:5], v[8:9], v[6:7]
	s_waitcnt vmcnt(2)
	v_add_f64 v[2:3], v[18:19], -v[2:3]
	s_waitcnt vmcnt(0)
	v_add_f64 v[4:5], v[20:21], -v[4:5]
	buffer_store_dword v3, v1, s[0:3], 0 offen offset:68
	buffer_store_dword v2, v1, s[0:3], 0 offen offset:64
	;; [unrolled: 1-line block ×4, first 2 shown]
	s_cbranch_scc1 .LBB127_116
.LBB127_117:
	s_or_b64 exec, exec, s[6:7]
	v_cmp_eq_u32_e32 vcc, 9, v0
	s_waitcnt vmcnt(0)
	s_barrier
	s_and_saveexec_b64 s[8:9], vcc
	s_cbranch_execz .LBB127_126
; %bb.118:
	v_mov_b32_e32 v4, s97
	buffer_load_dword v1, v4, s[0:3], 0 offen
	buffer_load_dword v2, v4, s[0:3], 0 offen offset:4
	buffer_load_dword v3, v4, s[0:3], 0 offen offset:8
	s_nop 0
	buffer_load_dword v4, v4, s[0:3], 0 offen offset:12
	s_movk_i32 s6, 0xa0
	s_waitcnt vmcnt(0)
	ds_write2_b64 v11, v[1:2], v[3:4] offset1:1
.LBB127_119:                            ; =>This Inner Loop Header: Depth=1
	v_mov_b32_e32 v13, s6
	buffer_load_dword v1, v13, s[0:3], 0 offen
	buffer_load_dword v2, v13, s[0:3], 0 offen offset:4
	buffer_load_dword v3, v13, s[0:3], 0 offen offset:8
	;; [unrolled: 1-line block ×15, first 2 shown]
	v_add_u32_e32 v14, s6, v12
	s_addk_i32 s6, 0x120
	s_cmpk_lg_i32 s6, 0x400
	s_waitcnt vmcnt(12)
	ds_write2_b64 v14, v[1:2], v[3:4] offset1:1
	s_waitcnt vmcnt(8)
	ds_write2_b64 v14, v[5:6], v[7:8] offset0:2 offset1:3
	s_waitcnt vmcnt(4)
	ds_write2_b64 v14, v[9:10], v[18:19] offset0:4 offset1:5
	;; [unrolled: 2-line block ×3, first 2 shown]
	buffer_load_dword v2, v13, s[0:3], 0 offen offset:76
	buffer_load_dword v1, v13, s[0:3], 0 offen offset:72
	buffer_load_dword v4, v13, s[0:3], 0 offen offset:68
	buffer_load_dword v3, v13, s[0:3], 0 offen offset:64
	s_waitcnt vmcnt(0)
	ds_write2_b64 v14, v[3:4], v[1:2] offset0:8 offset1:9
	buffer_load_dword v2, v13, s[0:3], 0 offen offset:92
	buffer_load_dword v1, v13, s[0:3], 0 offen offset:88
	buffer_load_dword v4, v13, s[0:3], 0 offen offset:84
	buffer_load_dword v3, v13, s[0:3], 0 offen offset:80
	s_waitcnt vmcnt(0)
	ds_write2_b64 v14, v[3:4], v[1:2] offset0:10 offset1:11
	;; [unrolled: 6-line block ×14, first 2 shown]
	s_cbranch_scc1 .LBB127_119
; %bb.120:
	ds_read2_b64 v[1:4], v11 offset1:1
	s_waitcnt lgkmcnt(0)
	v_cmp_neq_f64_e32 vcc, 0, v[1:2]
	v_cmp_neq_f64_e64 s[6:7], 0, v[3:4]
	s_or_b64 s[6:7], vcc, s[6:7]
	s_and_b64 exec, exec, s[6:7]
	s_cbranch_execz .LBB127_126
; %bb.121:
	v_cmp_ngt_f64_e64 s[6:7], |v[1:2]|, |v[3:4]|
                                        ; implicit-def: $vgpr5_vgpr6
	s_and_saveexec_b64 s[10:11], s[6:7]
	s_xor_b64 s[6:7], exec, s[10:11]
                                        ; implicit-def: $vgpr7_vgpr8
	s_cbranch_execz .LBB127_123
; %bb.122:
	v_div_scale_f64 v[5:6], s[10:11], v[3:4], v[3:4], v[1:2]
	v_rcp_f64_e32 v[7:8], v[5:6]
	v_fma_f64 v[9:10], -v[5:6], v[7:8], 1.0
	v_fma_f64 v[7:8], v[7:8], v[9:10], v[7:8]
	v_div_scale_f64 v[9:10], vcc, v[1:2], v[3:4], v[1:2]
	v_fma_f64 v[18:19], -v[5:6], v[7:8], 1.0
	v_fma_f64 v[7:8], v[7:8], v[18:19], v[7:8]
	v_mul_f64 v[18:19], v[9:10], v[7:8]
	v_fma_f64 v[5:6], -v[5:6], v[18:19], v[9:10]
	v_div_fmas_f64 v[5:6], v[5:6], v[7:8], v[18:19]
	v_div_fixup_f64 v[5:6], v[5:6], v[3:4], v[1:2]
	v_fma_f64 v[1:2], v[1:2], v[5:6], v[3:4]
	v_div_scale_f64 v[3:4], s[10:11], v[1:2], v[1:2], 1.0
	v_div_scale_f64 v[18:19], vcc, 1.0, v[1:2], 1.0
	v_rcp_f64_e32 v[7:8], v[3:4]
	v_fma_f64 v[9:10], -v[3:4], v[7:8], 1.0
	v_fma_f64 v[7:8], v[7:8], v[9:10], v[7:8]
	v_fma_f64 v[9:10], -v[3:4], v[7:8], 1.0
	v_fma_f64 v[7:8], v[7:8], v[9:10], v[7:8]
	v_mul_f64 v[9:10], v[18:19], v[7:8]
	v_fma_f64 v[3:4], -v[3:4], v[9:10], v[18:19]
	v_div_fmas_f64 v[3:4], v[3:4], v[7:8], v[9:10]
	v_div_fixup_f64 v[7:8], v[3:4], v[1:2], 1.0
                                        ; implicit-def: $vgpr1_vgpr2
	v_mul_f64 v[5:6], v[5:6], v[7:8]
	v_xor_b32_e32 v8, 0x80000000, v8
.LBB127_123:
	s_andn2_saveexec_b64 s[6:7], s[6:7]
	s_cbranch_execz .LBB127_125
; %bb.124:
	v_div_scale_f64 v[5:6], s[10:11], v[1:2], v[1:2], v[3:4]
	v_rcp_f64_e32 v[7:8], v[5:6]
	v_fma_f64 v[9:10], -v[5:6], v[7:8], 1.0
	v_fma_f64 v[7:8], v[7:8], v[9:10], v[7:8]
	v_div_scale_f64 v[9:10], vcc, v[3:4], v[1:2], v[3:4]
	v_fma_f64 v[18:19], -v[5:6], v[7:8], 1.0
	v_fma_f64 v[7:8], v[7:8], v[18:19], v[7:8]
	v_mul_f64 v[18:19], v[9:10], v[7:8]
	v_fma_f64 v[5:6], -v[5:6], v[18:19], v[9:10]
	v_div_fmas_f64 v[5:6], v[5:6], v[7:8], v[18:19]
	v_div_fixup_f64 v[7:8], v[5:6], v[1:2], v[3:4]
	v_fma_f64 v[1:2], v[3:4], v[7:8], v[1:2]
	v_div_scale_f64 v[3:4], s[10:11], v[1:2], v[1:2], 1.0
	v_div_scale_f64 v[18:19], vcc, 1.0, v[1:2], 1.0
	v_rcp_f64_e32 v[5:6], v[3:4]
	v_fma_f64 v[9:10], -v[3:4], v[5:6], 1.0
	v_fma_f64 v[5:6], v[5:6], v[9:10], v[5:6]
	v_fma_f64 v[9:10], -v[3:4], v[5:6], 1.0
	v_fma_f64 v[5:6], v[5:6], v[9:10], v[5:6]
	v_mul_f64 v[9:10], v[18:19], v[5:6]
	v_fma_f64 v[3:4], -v[3:4], v[9:10], v[18:19]
	v_div_fmas_f64 v[3:4], v[3:4], v[5:6], v[9:10]
	v_div_fixup_f64 v[5:6], v[3:4], v[1:2], 1.0
	v_mul_f64 v[7:8], v[7:8], -v[5:6]
.LBB127_125:
	s_or_b64 exec, exec, s[6:7]
	ds_write2_b64 v11, v[5:6], v[7:8] offset1:1
.LBB127_126:
	s_or_b64 exec, exec, s[8:9]
	s_waitcnt lgkmcnt(0)
	s_barrier
	ds_read2_b64 v[1:4], v11 offset1:1
	v_cmp_lt_u32_e32 vcc, 9, v0
	s_waitcnt lgkmcnt(0)
	buffer_store_dword v1, off, s[0:3], 0 offset:1648 ; 4-byte Folded Spill
	s_nop 0
	buffer_store_dword v2, off, s[0:3], 0 offset:1652 ; 4-byte Folded Spill
	buffer_store_dword v3, off, s[0:3], 0 offset:1656 ; 4-byte Folded Spill
	;; [unrolled: 1-line block ×3, first 2 shown]
	s_and_saveexec_b64 s[6:7], vcc
	s_cbranch_execz .LBB127_129
; %bb.127:
	buffer_load_dword v1, off, s[0:3], 0 offset:152
	buffer_load_dword v2, off, s[0:3], 0 offset:156
	buffer_load_dword v3, off, s[0:3], 0 offset:144
	buffer_load_dword v4, off, s[0:3], 0 offset:148
	buffer_load_dword v7, off, s[0:3], 0 offset:1648 ; 4-byte Folded Reload
	buffer_load_dword v8, off, s[0:3], 0 offset:1652 ; 4-byte Folded Reload
	;; [unrolled: 1-line block ×4, first 2 shown]
	s_movk_i32 s8, 0xa0
	s_waitcnt vmcnt(0)
	v_mul_f64 v[5:6], v[9:10], v[1:2]
	v_mul_f64 v[1:2], v[7:8], v[1:2]
	v_fma_f64 v[5:6], v[7:8], v[3:4], -v[5:6]
	v_fma_f64 v[1:2], v[9:10], v[3:4], v[1:2]
	buffer_store_dword v5, off, s[0:3], 0 offset:144
	buffer_store_dword v6, off, s[0:3], 0 offset:148
	;; [unrolled: 1-line block ×4, first 2 shown]
.LBB127_128:                            ; =>This Inner Loop Header: Depth=1
	buffer_load_dword v7, off, s[0:3], 0 offset:152
	buffer_load_dword v8, off, s[0:3], 0 offset:156
	;; [unrolled: 1-line block ×4, first 2 shown]
	v_mov_b32_e32 v1, s8
	buffer_load_dword v18, v1, s[0:3], 0 offen
	buffer_load_dword v19, v1, s[0:3], 0 offen offset:4
	buffer_load_dword v20, v1, s[0:3], 0 offen offset:8
	;; [unrolled: 1-line block ×3, first 2 shown]
	v_add_u32_e32 v2, s8, v12
	ds_read2_b64 v[3:6], v2 offset1:1
	buffer_load_dword v22, v1, s[0:3], 0 offen offset:16
	buffer_load_dword v23, v1, s[0:3], 0 offen offset:20
	;; [unrolled: 1-line block ×3, first 2 shown]
	s_addk_i32 s8, 0x60
	s_cmpk_lg_i32 s8, 0x400
	s_waitcnt vmcnt(9) lgkmcnt(0)
	v_mul_f64 v[25:26], v[5:6], v[7:8]
	v_mul_f64 v[7:8], v[3:4], v[7:8]
	s_waitcnt vmcnt(7)
	v_fma_f64 v[3:4], v[3:4], v[9:10], -v[25:26]
	v_fma_f64 v[5:6], v[5:6], v[9:10], v[7:8]
	s_waitcnt vmcnt(5)
	v_add_f64 v[3:4], v[18:19], -v[3:4]
	s_waitcnt vmcnt(3)
	v_add_f64 v[5:6], v[20:21], -v[5:6]
	buffer_store_dword v4, v1, s[0:3], 0 offen offset:4
	buffer_store_dword v3, v1, s[0:3], 0 offen
	buffer_store_dword v6, v1, s[0:3], 0 offen offset:12
	buffer_store_dword v5, v1, s[0:3], 0 offen offset:8
	buffer_load_dword v8, off, s[0:3], 0 offset:156
	buffer_load_dword v7, off, s[0:3], 0 offset:152
	;; [unrolled: 1-line block ×4, first 2 shown]
	buffer_load_dword v25, v1, s[0:3], 0 offen offset:28
	ds_read2_b64 v[3:6], v2 offset0:2 offset1:3
	buffer_load_dword v18, v1, s[0:3], 0 offen offset:32
	buffer_load_dword v19, v1, s[0:3], 0 offen offset:36
	buffer_load_dword v20, v1, s[0:3], 0 offen offset:40
	s_waitcnt vmcnt(6) lgkmcnt(0)
	v_mul_f64 v[26:27], v[5:6], v[7:8]
	v_mul_f64 v[7:8], v[3:4], v[7:8]
	s_waitcnt vmcnt(4)
	v_fma_f64 v[3:4], v[3:4], v[9:10], -v[26:27]
	v_fma_f64 v[5:6], v[5:6], v[9:10], v[7:8]
	v_add_f64 v[3:4], v[22:23], -v[3:4]
	s_waitcnt vmcnt(3)
	v_add_f64 v[5:6], v[24:25], -v[5:6]
	buffer_store_dword v4, v1, s[0:3], 0 offen offset:20
	buffer_store_dword v3, v1, s[0:3], 0 offen offset:16
	;; [unrolled: 1-line block ×4, first 2 shown]
	buffer_load_dword v7, off, s[0:3], 0 offset:152
	buffer_load_dword v8, off, s[0:3], 0 offset:156
	;; [unrolled: 1-line block ×4, first 2 shown]
	buffer_load_dword v21, v1, s[0:3], 0 offen offset:44
	ds_read2_b64 v[3:6], v2 offset0:4 offset1:5
	buffer_load_dword v22, v1, s[0:3], 0 offen offset:48
	buffer_load_dword v23, v1, s[0:3], 0 offen offset:52
	;; [unrolled: 1-line block ×3, first 2 shown]
	s_waitcnt vmcnt(6) lgkmcnt(0)
	v_mul_f64 v[25:26], v[5:6], v[7:8]
	v_mul_f64 v[7:8], v[3:4], v[7:8]
	s_waitcnt vmcnt(4)
	v_fma_f64 v[3:4], v[3:4], v[9:10], -v[25:26]
	v_fma_f64 v[5:6], v[5:6], v[9:10], v[7:8]
	v_add_f64 v[3:4], v[18:19], -v[3:4]
	s_waitcnt vmcnt(3)
	v_add_f64 v[5:6], v[20:21], -v[5:6]
	buffer_store_dword v4, v1, s[0:3], 0 offen offset:36
	buffer_store_dword v3, v1, s[0:3], 0 offen offset:32
	;; [unrolled: 1-line block ×4, first 2 shown]
	buffer_load_dword v7, off, s[0:3], 0 offset:152
	buffer_load_dword v8, off, s[0:3], 0 offset:156
	;; [unrolled: 1-line block ×4, first 2 shown]
	buffer_load_dword v25, v1, s[0:3], 0 offen offset:60
	ds_read2_b64 v[3:6], v2 offset0:6 offset1:7
	buffer_load_dword v18, v1, s[0:3], 0 offen offset:64
	s_waitcnt vmcnt(4) lgkmcnt(0)
	v_mul_f64 v[19:20], v[5:6], v[7:8]
	v_mul_f64 v[7:8], v[3:4], v[7:8]
	s_waitcnt vmcnt(2)
	v_fma_f64 v[3:4], v[3:4], v[9:10], -v[19:20]
	v_fma_f64 v[5:6], v[5:6], v[9:10], v[7:8]
	v_add_f64 v[3:4], v[22:23], -v[3:4]
	s_waitcnt vmcnt(1)
	v_add_f64 v[5:6], v[24:25], -v[5:6]
	buffer_store_dword v4, v1, s[0:3], 0 offen offset:52
	buffer_store_dword v3, v1, s[0:3], 0 offen offset:48
	buffer_store_dword v6, v1, s[0:3], 0 offen offset:60
	buffer_store_dword v5, v1, s[0:3], 0 offen offset:56
	buffer_load_dword v7, off, s[0:3], 0 offset:152
	buffer_load_dword v8, off, s[0:3], 0 offset:156
	buffer_load_dword v9, off, s[0:3], 0 offset:144
	buffer_load_dword v10, off, s[0:3], 0 offset:148
	buffer_load_dword v19, v1, s[0:3], 0 offen offset:68
	buffer_load_dword v20, v1, s[0:3], 0 offen offset:72
	;; [unrolled: 1-line block ×3, first 2 shown]
	ds_read2_b64 v[3:6], v2 offset0:8 offset1:9
	s_waitcnt vmcnt(5) lgkmcnt(0)
	v_mul_f64 v[22:23], v[5:6], v[7:8]
	v_mul_f64 v[7:8], v[3:4], v[7:8]
	s_waitcnt vmcnt(3)
	v_fma_f64 v[3:4], v[3:4], v[9:10], -v[22:23]
	v_fma_f64 v[5:6], v[5:6], v[9:10], v[7:8]
	s_waitcnt vmcnt(2)
	v_add_f64 v[3:4], v[18:19], -v[3:4]
	s_waitcnt vmcnt(0)
	v_add_f64 v[5:6], v[20:21], -v[5:6]
	buffer_store_dword v4, v1, s[0:3], 0 offen offset:68
	buffer_store_dword v3, v1, s[0:3], 0 offen offset:64
	;; [unrolled: 1-line block ×4, first 2 shown]
	buffer_load_dword v6, off, s[0:3], 0 offset:152
	s_nop 0
	buffer_load_dword v7, off, s[0:3], 0 offset:156
	buffer_load_dword v8, off, s[0:3], 0 offset:144
	;; [unrolled: 1-line block ×3, first 2 shown]
	buffer_load_dword v18, v1, s[0:3], 0 offen offset:80
	buffer_load_dword v19, v1, s[0:3], 0 offen offset:84
	;; [unrolled: 1-line block ×4, first 2 shown]
	ds_read2_b64 v[2:5], v2 offset0:10 offset1:11
	s_waitcnt vmcnt(6) lgkmcnt(0)
	v_mul_f64 v[22:23], v[4:5], v[6:7]
	v_mul_f64 v[6:7], v[2:3], v[6:7]
	s_waitcnt vmcnt(4)
	v_fma_f64 v[2:3], v[2:3], v[8:9], -v[22:23]
	v_fma_f64 v[4:5], v[4:5], v[8:9], v[6:7]
	s_waitcnt vmcnt(2)
	v_add_f64 v[2:3], v[18:19], -v[2:3]
	s_waitcnt vmcnt(0)
	v_add_f64 v[4:5], v[20:21], -v[4:5]
	buffer_store_dword v3, v1, s[0:3], 0 offen offset:84
	buffer_store_dword v2, v1, s[0:3], 0 offen offset:80
	;; [unrolled: 1-line block ×4, first 2 shown]
	s_cbranch_scc1 .LBB127_128
.LBB127_129:
	s_or_b64 exec, exec, s[6:7]
	v_cmp_eq_u32_e32 vcc, 10, v0
	s_waitcnt vmcnt(0)
	s_barrier
	s_and_saveexec_b64 s[8:9], vcc
	s_cbranch_execz .LBB127_140
; %bb.130:
	v_mov_b32_e32 v4, s96
	buffer_load_dword v1, v4, s[0:3], 0 offen
	buffer_load_dword v2, v4, s[0:3], 0 offen offset:4
	buffer_load_dword v3, v4, s[0:3], 0 offen offset:8
	s_nop 0
	buffer_load_dword v4, v4, s[0:3], 0 offen offset:12
	s_movk_i32 s10, 0xb0
	s_waitcnt vmcnt(0)
	ds_write2_b64 v11, v[1:2], v[3:4] offset1:1
	s_branch .LBB127_132
.LBB127_131:                            ;   in Loop: Header=BB127_132 Depth=1
	s_andn2_b64 vcc, exec, s[6:7]
	s_cbranch_vccz .LBB127_134
.LBB127_132:                            ; =>This Inner Loop Header: Depth=1
	v_mov_b32_e32 v10, s10
	buffer_load_dword v2, v10, s[0:3], 0 offen
	buffer_load_dword v3, v10, s[0:3], 0 offen offset:4
	buffer_load_dword v4, v10, s[0:3], 0 offen offset:8
	;; [unrolled: 1-line block ×15, first 2 shown]
	v_add_u32_e32 v1, s10, v12
	s_mov_b32 s11, s10
	s_mov_b64 s[6:7], -1
	s_cmpk_eq_i32 s10, 0x3b0
	s_waitcnt vmcnt(12)
	ds_write2_b64 v1, v[2:3], v[4:5] offset1:1
	s_waitcnt vmcnt(8)
	ds_write2_b64 v1, v[6:7], v[8:9] offset0:2 offset1:3
	s_waitcnt vmcnt(4)
	ds_write2_b64 v1, v[18:19], v[20:21] offset0:4 offset1:5
	;; [unrolled: 2-line block ×3, first 2 shown]
	buffer_load_dword v3, v10, s[0:3], 0 offen offset:76
	buffer_load_dword v2, v10, s[0:3], 0 offen offset:72
	;; [unrolled: 1-line block ×4, first 2 shown]
	s_waitcnt vmcnt(0)
	ds_write2_b64 v1, v[4:5], v[2:3] offset0:8 offset1:9
	s_cbranch_scc1 .LBB127_131
; %bb.133:                              ;   in Loop: Header=BB127_132 Depth=1
	v_mov_b32_e32 v10, s11
	buffer_load_dword v2, v10, s[0:3], 0 offen offset:80
	buffer_load_dword v3, v10, s[0:3], 0 offen offset:84
	;; [unrolled: 1-line block ×12, first 2 shown]
	s_addk_i32 s10, 0x80
	s_mov_b64 s[6:7], 0
	s_waitcnt vmcnt(8)
	ds_write2_b64 v1, v[2:3], v[4:5] offset0:10 offset1:11
	s_waitcnt vmcnt(4)
	ds_write2_b64 v1, v[6:7], v[8:9] offset0:12 offset1:13
	;; [unrolled: 2-line block ×3, first 2 shown]
	s_branch .LBB127_131
.LBB127_134:
	ds_read2_b64 v[1:4], v11 offset1:1
	s_waitcnt lgkmcnt(0)
	v_cmp_neq_f64_e32 vcc, 0, v[1:2]
	v_cmp_neq_f64_e64 s[6:7], 0, v[3:4]
	s_or_b64 s[6:7], vcc, s[6:7]
	s_and_b64 exec, exec, s[6:7]
	s_cbranch_execz .LBB127_140
; %bb.135:
	v_cmp_ngt_f64_e64 s[6:7], |v[1:2]|, |v[3:4]|
                                        ; implicit-def: $vgpr5_vgpr6
	s_and_saveexec_b64 s[10:11], s[6:7]
	s_xor_b64 s[6:7], exec, s[10:11]
                                        ; implicit-def: $vgpr7_vgpr8
	s_cbranch_execz .LBB127_137
; %bb.136:
	v_div_scale_f64 v[5:6], s[10:11], v[3:4], v[3:4], v[1:2]
	v_rcp_f64_e32 v[7:8], v[5:6]
	v_fma_f64 v[9:10], -v[5:6], v[7:8], 1.0
	v_fma_f64 v[7:8], v[7:8], v[9:10], v[7:8]
	v_div_scale_f64 v[9:10], vcc, v[1:2], v[3:4], v[1:2]
	v_fma_f64 v[18:19], -v[5:6], v[7:8], 1.0
	v_fma_f64 v[7:8], v[7:8], v[18:19], v[7:8]
	v_mul_f64 v[18:19], v[9:10], v[7:8]
	v_fma_f64 v[5:6], -v[5:6], v[18:19], v[9:10]
	v_div_fmas_f64 v[5:6], v[5:6], v[7:8], v[18:19]
	v_div_fixup_f64 v[5:6], v[5:6], v[3:4], v[1:2]
	v_fma_f64 v[1:2], v[1:2], v[5:6], v[3:4]
	v_div_scale_f64 v[3:4], s[10:11], v[1:2], v[1:2], 1.0
	v_div_scale_f64 v[18:19], vcc, 1.0, v[1:2], 1.0
	v_rcp_f64_e32 v[7:8], v[3:4]
	v_fma_f64 v[9:10], -v[3:4], v[7:8], 1.0
	v_fma_f64 v[7:8], v[7:8], v[9:10], v[7:8]
	v_fma_f64 v[9:10], -v[3:4], v[7:8], 1.0
	v_fma_f64 v[7:8], v[7:8], v[9:10], v[7:8]
	v_mul_f64 v[9:10], v[18:19], v[7:8]
	v_fma_f64 v[3:4], -v[3:4], v[9:10], v[18:19]
	v_div_fmas_f64 v[3:4], v[3:4], v[7:8], v[9:10]
	v_div_fixup_f64 v[7:8], v[3:4], v[1:2], 1.0
                                        ; implicit-def: $vgpr1_vgpr2
	v_mul_f64 v[5:6], v[5:6], v[7:8]
	v_xor_b32_e32 v8, 0x80000000, v8
.LBB127_137:
	s_andn2_saveexec_b64 s[6:7], s[6:7]
	s_cbranch_execz .LBB127_139
; %bb.138:
	v_div_scale_f64 v[5:6], s[10:11], v[1:2], v[1:2], v[3:4]
	v_rcp_f64_e32 v[7:8], v[5:6]
	v_fma_f64 v[9:10], -v[5:6], v[7:8], 1.0
	v_fma_f64 v[7:8], v[7:8], v[9:10], v[7:8]
	v_div_scale_f64 v[9:10], vcc, v[3:4], v[1:2], v[3:4]
	v_fma_f64 v[18:19], -v[5:6], v[7:8], 1.0
	v_fma_f64 v[7:8], v[7:8], v[18:19], v[7:8]
	v_mul_f64 v[18:19], v[9:10], v[7:8]
	v_fma_f64 v[5:6], -v[5:6], v[18:19], v[9:10]
	v_div_fmas_f64 v[5:6], v[5:6], v[7:8], v[18:19]
	v_div_fixup_f64 v[7:8], v[5:6], v[1:2], v[3:4]
	v_fma_f64 v[1:2], v[3:4], v[7:8], v[1:2]
	v_div_scale_f64 v[3:4], s[10:11], v[1:2], v[1:2], 1.0
	v_div_scale_f64 v[18:19], vcc, 1.0, v[1:2], 1.0
	v_rcp_f64_e32 v[5:6], v[3:4]
	v_fma_f64 v[9:10], -v[3:4], v[5:6], 1.0
	v_fma_f64 v[5:6], v[5:6], v[9:10], v[5:6]
	v_fma_f64 v[9:10], -v[3:4], v[5:6], 1.0
	v_fma_f64 v[5:6], v[5:6], v[9:10], v[5:6]
	v_mul_f64 v[9:10], v[18:19], v[5:6]
	v_fma_f64 v[3:4], -v[3:4], v[9:10], v[18:19]
	v_div_fmas_f64 v[3:4], v[3:4], v[5:6], v[9:10]
	v_div_fixup_f64 v[5:6], v[3:4], v[1:2], 1.0
	v_mul_f64 v[7:8], v[7:8], -v[5:6]
.LBB127_139:
	s_or_b64 exec, exec, s[6:7]
	ds_write2_b64 v11, v[5:6], v[7:8] offset1:1
.LBB127_140:
	s_or_b64 exec, exec, s[8:9]
	s_waitcnt lgkmcnt(0)
	s_barrier
	ds_read2_b64 v[24:27], v11 offset1:1
	v_cmp_lt_u32_e32 vcc, 10, v0
	s_and_saveexec_b64 s[6:7], vcc
	s_cbranch_execz .LBB127_145
; %bb.141:
	buffer_load_dword v1, off, s[0:3], 0 offset:168
	buffer_load_dword v2, off, s[0:3], 0 offset:172
	;; [unrolled: 1-line block ×4, first 2 shown]
	s_movk_i32 s10, 0xb0
	s_waitcnt vmcnt(2) lgkmcnt(0)
	v_mul_f64 v[5:6], v[26:27], v[1:2]
	v_mul_f64 v[7:8], v[24:25], v[1:2]
	s_waitcnt vmcnt(0)
	v_fma_f64 v[1:2], v[24:25], v[3:4], -v[5:6]
	v_fma_f64 v[3:4], v[26:27], v[3:4], v[7:8]
	buffer_store_dword v1, off, s[0:3], 0 offset:160
	buffer_store_dword v2, off, s[0:3], 0 offset:164
	;; [unrolled: 1-line block ×4, first 2 shown]
	s_branch .LBB127_143
.LBB127_142:                            ;   in Loop: Header=BB127_143 Depth=1
	s_andn2_b64 vcc, exec, s[8:9]
	s_cbranch_vccz .LBB127_145
.LBB127_143:                            ; =>This Inner Loop Header: Depth=1
	v_add_u32_e32 v5, s10, v12
	ds_read2_b64 v[6:9], v5 offset1:1
	s_mov_b32 s11, s10
	s_mov_b64 s[8:9], -1
	s_cmpk_eq_i32 s10, 0x3f0
	s_waitcnt vmcnt(0) lgkmcnt(0)
	v_mul_f64 v[18:19], v[8:9], v[3:4]
	v_mul_f64 v[3:4], v[6:7], v[3:4]
	v_fma_f64 v[18:19], v[6:7], v[1:2], -v[18:19]
	v_fma_f64 v[1:2], v[8:9], v[1:2], v[3:4]
	v_mov_b32_e32 v8, s10
	buffer_load_dword v3, v8, s[0:3], 0 offen
	buffer_load_dword v4, v8, s[0:3], 0 offen offset:4
	buffer_load_dword v6, v8, s[0:3], 0 offen offset:8
	;; [unrolled: 1-line block ×3, first 2 shown]
	s_waitcnt vmcnt(2)
	v_add_f64 v[3:4], v[3:4], -v[18:19]
	s_waitcnt vmcnt(0)
	v_add_f64 v[1:2], v[6:7], -v[1:2]
	buffer_store_dword v3, v8, s[0:3], 0 offen
	buffer_store_dword v4, v8, s[0:3], 0 offen offset:4
	buffer_store_dword v1, v8, s[0:3], 0 offen offset:8
	;; [unrolled: 1-line block ×3, first 2 shown]
                                        ; implicit-def: $vgpr1_vgpr2
                                        ; implicit-def: $vgpr3_vgpr4
	s_cbranch_scc1 .LBB127_142
; %bb.144:                              ;   in Loop: Header=BB127_143 Depth=1
	buffer_load_dword v6, off, s[0:3], 0 offset:168
	buffer_load_dword v7, off, s[0:3], 0 offset:172
	;; [unrolled: 1-line block ×4, first 2 shown]
	v_mov_b32_e32 v10, s11
	buffer_load_dword v18, v10, s[0:3], 0 offen offset:16
	buffer_load_dword v19, v10, s[0:3], 0 offen offset:20
	;; [unrolled: 1-line block ×4, first 2 shown]
	ds_read2_b64 v[1:4], v5 offset0:2 offset1:3
	s_add_i32 s10, s10, 64
	s_mov_b64 s[8:9], 0
	s_waitcnt vmcnt(6) lgkmcnt(0)
	v_mul_f64 v[22:23], v[3:4], v[6:7]
	v_mul_f64 v[6:7], v[1:2], v[6:7]
	s_waitcnt vmcnt(4)
	v_fma_f64 v[1:2], v[1:2], v[8:9], -v[22:23]
	v_fma_f64 v[3:4], v[3:4], v[8:9], v[6:7]
	s_waitcnt vmcnt(2)
	v_add_f64 v[1:2], v[18:19], -v[1:2]
	s_waitcnt vmcnt(0)
	v_add_f64 v[3:4], v[20:21], -v[3:4]
	buffer_store_dword v2, v10, s[0:3], 0 offen offset:20
	buffer_store_dword v1, v10, s[0:3], 0 offen offset:16
	;; [unrolled: 1-line block ×4, first 2 shown]
	buffer_load_dword v7, off, s[0:3], 0 offset:172
	buffer_load_dword v6, off, s[0:3], 0 offset:168
	buffer_load_dword v9, off, s[0:3], 0 offset:164
	buffer_load_dword v8, off, s[0:3], 0 offset:160
	buffer_load_dword v19, v10, s[0:3], 0 offen offset:36
	buffer_load_dword v18, v10, s[0:3], 0 offen offset:32
	;; [unrolled: 1-line block ×4, first 2 shown]
	ds_read2_b64 v[1:4], v5 offset0:4 offset1:5
	s_waitcnt vmcnt(6) lgkmcnt(0)
	v_mul_f64 v[22:23], v[3:4], v[6:7]
	v_mul_f64 v[6:7], v[1:2], v[6:7]
	s_waitcnt vmcnt(4)
	v_fma_f64 v[1:2], v[1:2], v[8:9], -v[22:23]
	v_fma_f64 v[3:4], v[3:4], v[8:9], v[6:7]
	s_waitcnt vmcnt(2)
	v_add_f64 v[1:2], v[18:19], -v[1:2]
	s_waitcnt vmcnt(0)
	v_add_f64 v[3:4], v[20:21], -v[3:4]
	buffer_store_dword v2, v10, s[0:3], 0 offen offset:36
	buffer_store_dword v1, v10, s[0:3], 0 offen offset:32
	;; [unrolled: 1-line block ×4, first 2 shown]
	buffer_load_dword v6, off, s[0:3], 0 offset:168
	buffer_load_dword v7, off, s[0:3], 0 offset:172
	;; [unrolled: 1-line block ×4, first 2 shown]
	buffer_load_dword v19, v10, s[0:3], 0 offen offset:52
	buffer_load_dword v18, v10, s[0:3], 0 offen offset:48
	;; [unrolled: 1-line block ×4, first 2 shown]
	ds_read2_b64 v[1:4], v5 offset0:6 offset1:7
	s_waitcnt vmcnt(6) lgkmcnt(0)
	v_mul_f64 v[22:23], v[3:4], v[6:7]
	v_mul_f64 v[5:6], v[1:2], v[6:7]
	s_waitcnt vmcnt(4)
	v_fma_f64 v[1:2], v[1:2], v[8:9], -v[22:23]
	v_fma_f64 v[3:4], v[3:4], v[8:9], v[5:6]
	s_waitcnt vmcnt(2)
	v_add_f64 v[1:2], v[18:19], -v[1:2]
	s_waitcnt vmcnt(0)
	v_add_f64 v[3:4], v[20:21], -v[3:4]
	buffer_store_dword v2, v10, s[0:3], 0 offen offset:52
	buffer_store_dword v1, v10, s[0:3], 0 offen offset:48
	;; [unrolled: 1-line block ×4, first 2 shown]
	buffer_load_dword v1, off, s[0:3], 0 offset:160
	s_nop 0
	buffer_load_dword v2, off, s[0:3], 0 offset:164
	buffer_load_dword v3, off, s[0:3], 0 offset:168
	;; [unrolled: 1-line block ×3, first 2 shown]
	s_branch .LBB127_142
.LBB127_145:
	s_or_b64 exec, exec, s[6:7]
	v_cmp_eq_u32_e32 vcc, 11, v0
	s_waitcnt vmcnt(0) lgkmcnt(0)
	s_barrier
	s_and_saveexec_b64 s[8:9], vcc
	s_cbranch_execz .LBB127_154
; %bb.146:
	v_mov_b32_e32 v4, s95
	buffer_load_dword v1, v4, s[0:3], 0 offen
	buffer_load_dword v2, v4, s[0:3], 0 offen offset:4
	buffer_load_dword v3, v4, s[0:3], 0 offen offset:8
	s_nop 0
	buffer_load_dword v4, v4, s[0:3], 0 offen offset:12
	s_movk_i32 s6, 0xc0
	s_waitcnt vmcnt(0)
	ds_write2_b64 v11, v[1:2], v[3:4] offset1:1
.LBB127_147:                            ; =>This Inner Loop Header: Depth=1
	v_mov_b32_e32 v13, s6
	buffer_load_dword v1, v13, s[0:3], 0 offen
	buffer_load_dword v2, v13, s[0:3], 0 offen offset:4
	buffer_load_dword v3, v13, s[0:3], 0 offen offset:8
	;; [unrolled: 1-line block ×15, first 2 shown]
	v_add_u32_e32 v14, s6, v12
	s_addk_i32 s6, 0xd0
	s_cmpk_lg_i32 s6, 0x400
	s_waitcnt vmcnt(12)
	ds_write2_b64 v14, v[1:2], v[3:4] offset1:1
	s_waitcnt vmcnt(8)
	ds_write2_b64 v14, v[5:6], v[7:8] offset0:2 offset1:3
	s_waitcnt vmcnt(4)
	ds_write2_b64 v14, v[9:10], v[18:19] offset0:4 offset1:5
	;; [unrolled: 2-line block ×3, first 2 shown]
	buffer_load_dword v2, v13, s[0:3], 0 offen offset:76
	buffer_load_dword v1, v13, s[0:3], 0 offen offset:72
	buffer_load_dword v4, v13, s[0:3], 0 offen offset:68
	buffer_load_dword v3, v13, s[0:3], 0 offen offset:64
	s_waitcnt vmcnt(0)
	ds_write2_b64 v14, v[3:4], v[1:2] offset0:8 offset1:9
	buffer_load_dword v2, v13, s[0:3], 0 offen offset:92
	buffer_load_dword v1, v13, s[0:3], 0 offen offset:88
	buffer_load_dword v4, v13, s[0:3], 0 offen offset:84
	buffer_load_dword v3, v13, s[0:3], 0 offen offset:80
	s_waitcnt vmcnt(0)
	ds_write2_b64 v14, v[3:4], v[1:2] offset0:10 offset1:11
	buffer_load_dword v2, v13, s[0:3], 0 offen offset:108
	buffer_load_dword v1, v13, s[0:3], 0 offen offset:104
	buffer_load_dword v4, v13, s[0:3], 0 offen offset:100
	buffer_load_dword v3, v13, s[0:3], 0 offen offset:96
	s_waitcnt vmcnt(0)
	ds_write2_b64 v14, v[3:4], v[1:2] offset0:12 offset1:13
	buffer_load_dword v2, v13, s[0:3], 0 offen offset:124
	buffer_load_dword v1, v13, s[0:3], 0 offen offset:120
	buffer_load_dword v4, v13, s[0:3], 0 offen offset:116
	buffer_load_dword v3, v13, s[0:3], 0 offen offset:112
	s_waitcnt vmcnt(0)
	ds_write2_b64 v14, v[3:4], v[1:2] offset0:14 offset1:15
	buffer_load_dword v1, v13, s[0:3], 0 offen offset:128
	buffer_load_dword v2, v13, s[0:3], 0 offen offset:132
	buffer_load_dword v3, v13, s[0:3], 0 offen offset:136
	buffer_load_dword v4, v13, s[0:3], 0 offen offset:140
	s_waitcnt vmcnt(0)
	ds_write2_b64 v14, v[1:2], v[3:4] offset0:16 offset1:17
	buffer_load_dword v1, v13, s[0:3], 0 offen offset:144
	buffer_load_dword v2, v13, s[0:3], 0 offen offset:148
	buffer_load_dword v3, v13, s[0:3], 0 offen offset:152
	buffer_load_dword v4, v13, s[0:3], 0 offen offset:156
	s_waitcnt vmcnt(0)
	ds_write2_b64 v14, v[1:2], v[3:4] offset0:18 offset1:19
	buffer_load_dword v1, v13, s[0:3], 0 offen offset:160
	buffer_load_dword v2, v13, s[0:3], 0 offen offset:164
	buffer_load_dword v3, v13, s[0:3], 0 offen offset:168
	buffer_load_dword v4, v13, s[0:3], 0 offen offset:172
	s_waitcnt vmcnt(0)
	ds_write2_b64 v14, v[1:2], v[3:4] offset0:20 offset1:21
	buffer_load_dword v1, v13, s[0:3], 0 offen offset:176
	buffer_load_dword v2, v13, s[0:3], 0 offen offset:180
	buffer_load_dword v3, v13, s[0:3], 0 offen offset:184
	buffer_load_dword v4, v13, s[0:3], 0 offen offset:188
	s_waitcnt vmcnt(0)
	ds_write2_b64 v14, v[1:2], v[3:4] offset0:22 offset1:23
	buffer_load_dword v1, v13, s[0:3], 0 offen offset:192
	buffer_load_dword v2, v13, s[0:3], 0 offen offset:196
	buffer_load_dword v3, v13, s[0:3], 0 offen offset:200
	buffer_load_dword v4, v13, s[0:3], 0 offen offset:204
	s_waitcnt vmcnt(0)
	ds_write2_b64 v14, v[1:2], v[3:4] offset0:24 offset1:25
	s_cbranch_scc1 .LBB127_147
; %bb.148:
	ds_read2_b64 v[1:4], v11 offset1:1
	s_waitcnt lgkmcnt(0)
	v_cmp_neq_f64_e32 vcc, 0, v[1:2]
	v_cmp_neq_f64_e64 s[6:7], 0, v[3:4]
	s_or_b64 s[6:7], vcc, s[6:7]
	s_and_b64 exec, exec, s[6:7]
	s_cbranch_execz .LBB127_154
; %bb.149:
	v_cmp_ngt_f64_e64 s[6:7], |v[1:2]|, |v[3:4]|
                                        ; implicit-def: $vgpr5_vgpr6
	s_and_saveexec_b64 s[10:11], s[6:7]
	s_xor_b64 s[6:7], exec, s[10:11]
                                        ; implicit-def: $vgpr7_vgpr8
	s_cbranch_execz .LBB127_151
; %bb.150:
	v_div_scale_f64 v[5:6], s[10:11], v[3:4], v[3:4], v[1:2]
	v_rcp_f64_e32 v[7:8], v[5:6]
	v_fma_f64 v[9:10], -v[5:6], v[7:8], 1.0
	v_fma_f64 v[7:8], v[7:8], v[9:10], v[7:8]
	v_div_scale_f64 v[9:10], vcc, v[1:2], v[3:4], v[1:2]
	v_fma_f64 v[18:19], -v[5:6], v[7:8], 1.0
	v_fma_f64 v[7:8], v[7:8], v[18:19], v[7:8]
	v_mul_f64 v[18:19], v[9:10], v[7:8]
	v_fma_f64 v[5:6], -v[5:6], v[18:19], v[9:10]
	v_div_fmas_f64 v[5:6], v[5:6], v[7:8], v[18:19]
	v_div_fixup_f64 v[5:6], v[5:6], v[3:4], v[1:2]
	v_fma_f64 v[1:2], v[1:2], v[5:6], v[3:4]
	v_div_scale_f64 v[3:4], s[10:11], v[1:2], v[1:2], 1.0
	v_div_scale_f64 v[18:19], vcc, 1.0, v[1:2], 1.0
	v_rcp_f64_e32 v[7:8], v[3:4]
	v_fma_f64 v[9:10], -v[3:4], v[7:8], 1.0
	v_fma_f64 v[7:8], v[7:8], v[9:10], v[7:8]
	v_fma_f64 v[9:10], -v[3:4], v[7:8], 1.0
	v_fma_f64 v[7:8], v[7:8], v[9:10], v[7:8]
	v_mul_f64 v[9:10], v[18:19], v[7:8]
	v_fma_f64 v[3:4], -v[3:4], v[9:10], v[18:19]
	v_div_fmas_f64 v[3:4], v[3:4], v[7:8], v[9:10]
	v_div_fixup_f64 v[7:8], v[3:4], v[1:2], 1.0
                                        ; implicit-def: $vgpr1_vgpr2
	v_mul_f64 v[5:6], v[5:6], v[7:8]
	v_xor_b32_e32 v8, 0x80000000, v8
.LBB127_151:
	s_andn2_saveexec_b64 s[6:7], s[6:7]
	s_cbranch_execz .LBB127_153
; %bb.152:
	v_div_scale_f64 v[5:6], s[10:11], v[1:2], v[1:2], v[3:4]
	v_rcp_f64_e32 v[7:8], v[5:6]
	v_fma_f64 v[9:10], -v[5:6], v[7:8], 1.0
	v_fma_f64 v[7:8], v[7:8], v[9:10], v[7:8]
	v_div_scale_f64 v[9:10], vcc, v[3:4], v[1:2], v[3:4]
	v_fma_f64 v[18:19], -v[5:6], v[7:8], 1.0
	v_fma_f64 v[7:8], v[7:8], v[18:19], v[7:8]
	v_mul_f64 v[18:19], v[9:10], v[7:8]
	v_fma_f64 v[5:6], -v[5:6], v[18:19], v[9:10]
	v_div_fmas_f64 v[5:6], v[5:6], v[7:8], v[18:19]
	v_div_fixup_f64 v[7:8], v[5:6], v[1:2], v[3:4]
	v_fma_f64 v[1:2], v[3:4], v[7:8], v[1:2]
	v_div_scale_f64 v[3:4], s[10:11], v[1:2], v[1:2], 1.0
	v_div_scale_f64 v[18:19], vcc, 1.0, v[1:2], 1.0
	v_rcp_f64_e32 v[5:6], v[3:4]
	v_fma_f64 v[9:10], -v[3:4], v[5:6], 1.0
	v_fma_f64 v[5:6], v[5:6], v[9:10], v[5:6]
	v_fma_f64 v[9:10], -v[3:4], v[5:6], 1.0
	v_fma_f64 v[5:6], v[5:6], v[9:10], v[5:6]
	v_mul_f64 v[9:10], v[18:19], v[5:6]
	v_fma_f64 v[3:4], -v[3:4], v[9:10], v[18:19]
	v_div_fmas_f64 v[3:4], v[3:4], v[5:6], v[9:10]
	v_div_fixup_f64 v[5:6], v[3:4], v[1:2], 1.0
	v_mul_f64 v[7:8], v[7:8], -v[5:6]
.LBB127_153:
	s_or_b64 exec, exec, s[6:7]
	ds_write2_b64 v11, v[5:6], v[7:8] offset1:1
.LBB127_154:
	s_or_b64 exec, exec, s[8:9]
	buffer_store_dword v24, off, s[0:3], 0 offset:1984 ; 4-byte Folded Spill
	s_nop 0
	buffer_store_dword v25, off, s[0:3], 0 offset:1988 ; 4-byte Folded Spill
	buffer_store_dword v26, off, s[0:3], 0 offset:1992 ; 4-byte Folded Spill
	;; [unrolled: 1-line block ×3, first 2 shown]
	s_waitcnt vmcnt(0) lgkmcnt(0)
	s_barrier
	ds_read2_b64 v[1:4], v11 offset1:1
	v_cmp_lt_u32_e32 vcc, 11, v0
	s_waitcnt lgkmcnt(0)
	buffer_store_dword v1, off, s[0:3], 0 offset:1664 ; 4-byte Folded Spill
	s_nop 0
	buffer_store_dword v2, off, s[0:3], 0 offset:1668 ; 4-byte Folded Spill
	buffer_store_dword v3, off, s[0:3], 0 offset:1672 ; 4-byte Folded Spill
	;; [unrolled: 1-line block ×3, first 2 shown]
	s_and_saveexec_b64 s[6:7], vcc
	s_cbranch_execz .LBB127_157
; %bb.155:
	buffer_load_dword v1, off, s[0:3], 0 offset:184
	buffer_load_dword v2, off, s[0:3], 0 offset:188
	;; [unrolled: 1-line block ×4, first 2 shown]
	buffer_load_dword v7, off, s[0:3], 0 offset:1664 ; 4-byte Folded Reload
	buffer_load_dword v8, off, s[0:3], 0 offset:1668 ; 4-byte Folded Reload
	;; [unrolled: 1-line block ×4, first 2 shown]
	s_movk_i32 s8, 0xc0
	s_waitcnt vmcnt(0)
	v_mul_f64 v[5:6], v[9:10], v[1:2]
	v_mul_f64 v[1:2], v[7:8], v[1:2]
	v_fma_f64 v[5:6], v[7:8], v[3:4], -v[5:6]
	v_fma_f64 v[1:2], v[9:10], v[3:4], v[1:2]
	buffer_store_dword v5, off, s[0:3], 0 offset:176
	buffer_store_dword v6, off, s[0:3], 0 offset:180
	;; [unrolled: 1-line block ×4, first 2 shown]
.LBB127_156:                            ; =>This Inner Loop Header: Depth=1
	buffer_load_dword v7, off, s[0:3], 0 offset:184
	buffer_load_dword v8, off, s[0:3], 0 offset:188
	buffer_load_dword v9, off, s[0:3], 0 offset:176
	buffer_load_dword v10, off, s[0:3], 0 offset:180
	v_mov_b32_e32 v1, s8
	buffer_load_dword v18, v1, s[0:3], 0 offen
	buffer_load_dword v19, v1, s[0:3], 0 offen offset:4
	buffer_load_dword v20, v1, s[0:3], 0 offen offset:8
	;; [unrolled: 1-line block ×3, first 2 shown]
	v_add_u32_e32 v2, s8, v12
	ds_read2_b64 v[3:6], v2 offset1:1
	buffer_load_dword v22, v1, s[0:3], 0 offen offset:16
	buffer_load_dword v23, v1, s[0:3], 0 offen offset:20
	;; [unrolled: 1-line block ×3, first 2 shown]
	s_add_i32 s8, s8, 64
	s_cmpk_lg_i32 s8, 0x400
	s_waitcnt vmcnt(9) lgkmcnt(0)
	v_mul_f64 v[25:26], v[5:6], v[7:8]
	v_mul_f64 v[7:8], v[3:4], v[7:8]
	s_waitcnt vmcnt(7)
	v_fma_f64 v[3:4], v[3:4], v[9:10], -v[25:26]
	v_fma_f64 v[5:6], v[5:6], v[9:10], v[7:8]
	s_waitcnt vmcnt(5)
	v_add_f64 v[3:4], v[18:19], -v[3:4]
	s_waitcnt vmcnt(3)
	v_add_f64 v[5:6], v[20:21], -v[5:6]
	buffer_store_dword v4, v1, s[0:3], 0 offen offset:4
	buffer_store_dword v3, v1, s[0:3], 0 offen
	buffer_store_dword v6, v1, s[0:3], 0 offen offset:12
	buffer_store_dword v5, v1, s[0:3], 0 offen offset:8
	buffer_load_dword v8, off, s[0:3], 0 offset:188
	buffer_load_dword v7, off, s[0:3], 0 offset:184
	;; [unrolled: 1-line block ×4, first 2 shown]
	buffer_load_dword v25, v1, s[0:3], 0 offen offset:28
	ds_read2_b64 v[3:6], v2 offset0:2 offset1:3
	buffer_load_dword v18, v1, s[0:3], 0 offen offset:32
	s_waitcnt vmcnt(4) lgkmcnt(0)
	v_mul_f64 v[19:20], v[5:6], v[7:8]
	v_mul_f64 v[7:8], v[3:4], v[7:8]
	s_waitcnt vmcnt(2)
	v_fma_f64 v[3:4], v[3:4], v[9:10], -v[19:20]
	v_fma_f64 v[5:6], v[5:6], v[9:10], v[7:8]
	v_add_f64 v[3:4], v[22:23], -v[3:4]
	s_waitcnt vmcnt(1)
	v_add_f64 v[5:6], v[24:25], -v[5:6]
	buffer_store_dword v4, v1, s[0:3], 0 offen offset:20
	buffer_store_dword v3, v1, s[0:3], 0 offen offset:16
	;; [unrolled: 1-line block ×4, first 2 shown]
	buffer_load_dword v7, off, s[0:3], 0 offset:184
	buffer_load_dword v8, off, s[0:3], 0 offset:188
	;; [unrolled: 1-line block ×4, first 2 shown]
	buffer_load_dword v19, v1, s[0:3], 0 offen offset:36
	buffer_load_dword v20, v1, s[0:3], 0 offen offset:40
	;; [unrolled: 1-line block ×3, first 2 shown]
	ds_read2_b64 v[3:6], v2 offset0:4 offset1:5
	s_waitcnt vmcnt(5) lgkmcnt(0)
	v_mul_f64 v[22:23], v[5:6], v[7:8]
	v_mul_f64 v[7:8], v[3:4], v[7:8]
	s_waitcnt vmcnt(3)
	v_fma_f64 v[3:4], v[3:4], v[9:10], -v[22:23]
	v_fma_f64 v[5:6], v[5:6], v[9:10], v[7:8]
	s_waitcnt vmcnt(2)
	v_add_f64 v[3:4], v[18:19], -v[3:4]
	s_waitcnt vmcnt(0)
	v_add_f64 v[5:6], v[20:21], -v[5:6]
	buffer_store_dword v4, v1, s[0:3], 0 offen offset:36
	buffer_store_dword v3, v1, s[0:3], 0 offen offset:32
	buffer_store_dword v6, v1, s[0:3], 0 offen offset:44
	buffer_store_dword v5, v1, s[0:3], 0 offen offset:40
	buffer_load_dword v6, off, s[0:3], 0 offset:184
	s_nop 0
	buffer_load_dword v7, off, s[0:3], 0 offset:188
	buffer_load_dword v8, off, s[0:3], 0 offset:176
	;; [unrolled: 1-line block ×3, first 2 shown]
	buffer_load_dword v18, v1, s[0:3], 0 offen offset:48
	buffer_load_dword v19, v1, s[0:3], 0 offen offset:52
	;; [unrolled: 1-line block ×4, first 2 shown]
	ds_read2_b64 v[2:5], v2 offset0:6 offset1:7
	s_waitcnt vmcnt(6) lgkmcnt(0)
	v_mul_f64 v[22:23], v[4:5], v[6:7]
	v_mul_f64 v[6:7], v[2:3], v[6:7]
	s_waitcnt vmcnt(4)
	v_fma_f64 v[2:3], v[2:3], v[8:9], -v[22:23]
	v_fma_f64 v[4:5], v[4:5], v[8:9], v[6:7]
	s_waitcnt vmcnt(2)
	v_add_f64 v[2:3], v[18:19], -v[2:3]
	s_waitcnt vmcnt(0)
	v_add_f64 v[4:5], v[20:21], -v[4:5]
	buffer_store_dword v3, v1, s[0:3], 0 offen offset:52
	buffer_store_dword v2, v1, s[0:3], 0 offen offset:48
	;; [unrolled: 1-line block ×4, first 2 shown]
	s_cbranch_scc1 .LBB127_156
.LBB127_157:
	s_or_b64 exec, exec, s[6:7]
	v_cmp_eq_u32_e32 vcc, 12, v0
	s_waitcnt vmcnt(0)
	s_barrier
	s_and_saveexec_b64 s[8:9], vcc
	s_cbranch_execz .LBB127_166
; %bb.158:
	v_mov_b32_e32 v4, s94
	buffer_load_dword v1, v4, s[0:3], 0 offen
	buffer_load_dword v2, v4, s[0:3], 0 offen offset:4
	buffer_load_dword v3, v4, s[0:3], 0 offen offset:8
	s_nop 0
	buffer_load_dword v4, v4, s[0:3], 0 offen offset:12
	s_movk_i32 s6, 0xd0
	s_waitcnt vmcnt(0)
	ds_write2_b64 v11, v[1:2], v[3:4] offset1:1
.LBB127_159:                            ; =>This Inner Loop Header: Depth=1
	v_mov_b32_e32 v13, s6
	buffer_load_dword v1, v13, s[0:3], 0 offen
	buffer_load_dword v2, v13, s[0:3], 0 offen offset:4
	buffer_load_dword v3, v13, s[0:3], 0 offen offset:8
	;; [unrolled: 1-line block ×15, first 2 shown]
	v_add_u32_e32 v14, s6, v12
	s_addk_i32 s6, 0x110
	s_cmpk_lg_i32 s6, 0x400
	s_waitcnt vmcnt(12)
	ds_write2_b64 v14, v[1:2], v[3:4] offset1:1
	s_waitcnt vmcnt(8)
	ds_write2_b64 v14, v[5:6], v[7:8] offset0:2 offset1:3
	s_waitcnt vmcnt(4)
	ds_write2_b64 v14, v[9:10], v[18:19] offset0:4 offset1:5
	;; [unrolled: 2-line block ×3, first 2 shown]
	buffer_load_dword v2, v13, s[0:3], 0 offen offset:76
	buffer_load_dword v1, v13, s[0:3], 0 offen offset:72
	buffer_load_dword v4, v13, s[0:3], 0 offen offset:68
	buffer_load_dword v3, v13, s[0:3], 0 offen offset:64
	s_waitcnt vmcnt(0)
	ds_write2_b64 v14, v[3:4], v[1:2] offset0:8 offset1:9
	buffer_load_dword v2, v13, s[0:3], 0 offen offset:92
	buffer_load_dword v1, v13, s[0:3], 0 offen offset:88
	buffer_load_dword v4, v13, s[0:3], 0 offen offset:84
	buffer_load_dword v3, v13, s[0:3], 0 offen offset:80
	s_waitcnt vmcnt(0)
	ds_write2_b64 v14, v[3:4], v[1:2] offset0:10 offset1:11
	;; [unrolled: 6-line block ×13, first 2 shown]
	s_cbranch_scc1 .LBB127_159
; %bb.160:
	ds_read2_b64 v[1:4], v11 offset1:1
	s_waitcnt lgkmcnt(0)
	v_cmp_neq_f64_e32 vcc, 0, v[1:2]
	v_cmp_neq_f64_e64 s[6:7], 0, v[3:4]
	s_or_b64 s[6:7], vcc, s[6:7]
	s_and_b64 exec, exec, s[6:7]
	s_cbranch_execz .LBB127_166
; %bb.161:
	v_cmp_ngt_f64_e64 s[6:7], |v[1:2]|, |v[3:4]|
                                        ; implicit-def: $vgpr5_vgpr6
	s_and_saveexec_b64 s[10:11], s[6:7]
	s_xor_b64 s[6:7], exec, s[10:11]
                                        ; implicit-def: $vgpr7_vgpr8
	s_cbranch_execz .LBB127_163
; %bb.162:
	v_div_scale_f64 v[5:6], s[10:11], v[3:4], v[3:4], v[1:2]
	v_rcp_f64_e32 v[7:8], v[5:6]
	v_fma_f64 v[9:10], -v[5:6], v[7:8], 1.0
	v_fma_f64 v[7:8], v[7:8], v[9:10], v[7:8]
	v_div_scale_f64 v[9:10], vcc, v[1:2], v[3:4], v[1:2]
	v_fma_f64 v[18:19], -v[5:6], v[7:8], 1.0
	v_fma_f64 v[7:8], v[7:8], v[18:19], v[7:8]
	v_mul_f64 v[18:19], v[9:10], v[7:8]
	v_fma_f64 v[5:6], -v[5:6], v[18:19], v[9:10]
	v_div_fmas_f64 v[5:6], v[5:6], v[7:8], v[18:19]
	v_div_fixup_f64 v[5:6], v[5:6], v[3:4], v[1:2]
	v_fma_f64 v[1:2], v[1:2], v[5:6], v[3:4]
	v_div_scale_f64 v[3:4], s[10:11], v[1:2], v[1:2], 1.0
	v_div_scale_f64 v[18:19], vcc, 1.0, v[1:2], 1.0
	v_rcp_f64_e32 v[7:8], v[3:4]
	v_fma_f64 v[9:10], -v[3:4], v[7:8], 1.0
	v_fma_f64 v[7:8], v[7:8], v[9:10], v[7:8]
	v_fma_f64 v[9:10], -v[3:4], v[7:8], 1.0
	v_fma_f64 v[7:8], v[7:8], v[9:10], v[7:8]
	v_mul_f64 v[9:10], v[18:19], v[7:8]
	v_fma_f64 v[3:4], -v[3:4], v[9:10], v[18:19]
	v_div_fmas_f64 v[3:4], v[3:4], v[7:8], v[9:10]
	v_div_fixup_f64 v[7:8], v[3:4], v[1:2], 1.0
                                        ; implicit-def: $vgpr1_vgpr2
	v_mul_f64 v[5:6], v[5:6], v[7:8]
	v_xor_b32_e32 v8, 0x80000000, v8
.LBB127_163:
	s_andn2_saveexec_b64 s[6:7], s[6:7]
	s_cbranch_execz .LBB127_165
; %bb.164:
	v_div_scale_f64 v[5:6], s[10:11], v[1:2], v[1:2], v[3:4]
	v_rcp_f64_e32 v[7:8], v[5:6]
	v_fma_f64 v[9:10], -v[5:6], v[7:8], 1.0
	v_fma_f64 v[7:8], v[7:8], v[9:10], v[7:8]
	v_div_scale_f64 v[9:10], vcc, v[3:4], v[1:2], v[3:4]
	v_fma_f64 v[18:19], -v[5:6], v[7:8], 1.0
	v_fma_f64 v[7:8], v[7:8], v[18:19], v[7:8]
	v_mul_f64 v[18:19], v[9:10], v[7:8]
	v_fma_f64 v[5:6], -v[5:6], v[18:19], v[9:10]
	v_div_fmas_f64 v[5:6], v[5:6], v[7:8], v[18:19]
	v_div_fixup_f64 v[7:8], v[5:6], v[1:2], v[3:4]
	v_fma_f64 v[1:2], v[3:4], v[7:8], v[1:2]
	v_div_scale_f64 v[3:4], s[10:11], v[1:2], v[1:2], 1.0
	v_div_scale_f64 v[18:19], vcc, 1.0, v[1:2], 1.0
	v_rcp_f64_e32 v[5:6], v[3:4]
	v_fma_f64 v[9:10], -v[3:4], v[5:6], 1.0
	v_fma_f64 v[5:6], v[5:6], v[9:10], v[5:6]
	v_fma_f64 v[9:10], -v[3:4], v[5:6], 1.0
	v_fma_f64 v[5:6], v[5:6], v[9:10], v[5:6]
	v_mul_f64 v[9:10], v[18:19], v[5:6]
	v_fma_f64 v[3:4], -v[3:4], v[9:10], v[18:19]
	v_div_fmas_f64 v[3:4], v[3:4], v[5:6], v[9:10]
	v_div_fixup_f64 v[5:6], v[3:4], v[1:2], 1.0
	v_mul_f64 v[7:8], v[7:8], -v[5:6]
.LBB127_165:
	s_or_b64 exec, exec, s[6:7]
	ds_write2_b64 v11, v[5:6], v[7:8] offset1:1
.LBB127_166:
	s_or_b64 exec, exec, s[8:9]
	s_waitcnt lgkmcnt(0)
	s_barrier
	ds_read2_b64 v[24:27], v11 offset1:1
	v_cmp_lt_u32_e32 vcc, 12, v0
	s_and_saveexec_b64 s[6:7], vcc
	s_cbranch_execz .LBB127_169
; %bb.167:
	buffer_load_dword v1, off, s[0:3], 0 offset:200
	buffer_load_dword v2, off, s[0:3], 0 offset:204
	;; [unrolled: 1-line block ×4, first 2 shown]
	s_movk_i32 s8, 0xd0
	s_waitcnt vmcnt(2) lgkmcnt(0)
	v_mul_f64 v[5:6], v[26:27], v[1:2]
	v_mul_f64 v[1:2], v[24:25], v[1:2]
	s_waitcnt vmcnt(0)
	v_fma_f64 v[5:6], v[24:25], v[3:4], -v[5:6]
	v_fma_f64 v[1:2], v[26:27], v[3:4], v[1:2]
	buffer_store_dword v5, off, s[0:3], 0 offset:192
	buffer_store_dword v6, off, s[0:3], 0 offset:196
	;; [unrolled: 1-line block ×4, first 2 shown]
.LBB127_168:                            ; =>This Inner Loop Header: Depth=1
	buffer_load_dword v5, off, s[0:3], 0 offset:200
	s_nop 0
	buffer_load_dword v6, off, s[0:3], 0 offset:204
	buffer_load_dword v7, off, s[0:3], 0 offset:192
	;; [unrolled: 1-line block ×3, first 2 shown]
	v_mov_b32_e32 v13, s8
	buffer_load_dword v9, v13, s[0:3], 0 offen
	buffer_load_dword v10, v13, s[0:3], 0 offen offset:4
	buffer_load_dword v18, v13, s[0:3], 0 offen offset:8
	;; [unrolled: 1-line block ×3, first 2 shown]
	v_add_u32_e32 v14, s8, v12
	ds_read2_b64 v[1:4], v14 offset1:1
	buffer_load_dword v20, v13, s[0:3], 0 offen offset:16
	s_add_i32 s8, s8, 48
	s_cmpk_lg_i32 s8, 0x400
	s_waitcnt vmcnt(7) lgkmcnt(0)
	v_mul_f64 v[21:22], v[3:4], v[5:6]
	v_mul_f64 v[5:6], v[1:2], v[5:6]
	s_waitcnt vmcnt(5)
	v_fma_f64 v[1:2], v[1:2], v[7:8], -v[21:22]
	v_fma_f64 v[3:4], v[3:4], v[7:8], v[5:6]
	s_waitcnt vmcnt(3)
	v_add_f64 v[1:2], v[9:10], -v[1:2]
	s_waitcnt vmcnt(1)
	v_add_f64 v[3:4], v[18:19], -v[3:4]
	buffer_store_dword v2, v13, s[0:3], 0 offen offset:4
	buffer_store_dword v1, v13, s[0:3], 0 offen
	buffer_store_dword v4, v13, s[0:3], 0 offen offset:12
	buffer_store_dword v3, v13, s[0:3], 0 offen offset:8
	buffer_load_dword v6, off, s[0:3], 0 offset:204
	buffer_load_dword v5, off, s[0:3], 0 offset:200
	;; [unrolled: 1-line block ×4, first 2 shown]
	buffer_load_dword v21, v13, s[0:3], 0 offen offset:20
	buffer_load_dword v9, v13, s[0:3], 0 offen offset:24
	buffer_load_dword v10, v13, s[0:3], 0 offen offset:28
	ds_read2_b64 v[1:4], v14 offset0:2 offset1:3
	s_waitcnt vmcnt(5) lgkmcnt(0)
	v_mul_f64 v[18:19], v[3:4], v[5:6]
	v_mul_f64 v[5:6], v[1:2], v[5:6]
	s_waitcnt vmcnt(3)
	v_fma_f64 v[1:2], v[1:2], v[7:8], -v[18:19]
	v_fma_f64 v[3:4], v[3:4], v[7:8], v[5:6]
	s_waitcnt vmcnt(2)
	v_add_f64 v[1:2], v[20:21], -v[1:2]
	s_waitcnt vmcnt(0)
	v_add_f64 v[3:4], v[9:10], -v[3:4]
	buffer_store_dword v2, v13, s[0:3], 0 offen offset:20
	buffer_store_dword v1, v13, s[0:3], 0 offen offset:16
	buffer_store_dword v4, v13, s[0:3], 0 offen offset:28
	buffer_store_dword v3, v13, s[0:3], 0 offen offset:24
	buffer_load_dword v5, off, s[0:3], 0 offset:200
	buffer_load_dword v6, off, s[0:3], 0 offset:204
	;; [unrolled: 1-line block ×4, first 2 shown]
	buffer_load_dword v9, v13, s[0:3], 0 offen offset:32
	buffer_load_dword v10, v13, s[0:3], 0 offen offset:36
	;; [unrolled: 1-line block ×4, first 2 shown]
	ds_read2_b64 v[1:4], v14 offset0:4 offset1:5
	s_waitcnt vmcnt(6) lgkmcnt(0)
	v_mul_f64 v[20:21], v[3:4], v[5:6]
	v_mul_f64 v[5:6], v[1:2], v[5:6]
	s_waitcnt vmcnt(4)
	v_fma_f64 v[1:2], v[1:2], v[7:8], -v[20:21]
	v_fma_f64 v[3:4], v[3:4], v[7:8], v[5:6]
	s_waitcnt vmcnt(2)
	v_add_f64 v[1:2], v[9:10], -v[1:2]
	s_waitcnt vmcnt(0)
	v_add_f64 v[3:4], v[18:19], -v[3:4]
	buffer_store_dword v2, v13, s[0:3], 0 offen offset:36
	buffer_store_dword v1, v13, s[0:3], 0 offen offset:32
	;; [unrolled: 1-line block ×4, first 2 shown]
	s_cbranch_scc1 .LBB127_168
.LBB127_169:
	s_or_b64 exec, exec, s[6:7]
	v_cmp_eq_u32_e32 vcc, 13, v0
	s_waitcnt vmcnt(0) lgkmcnt(0)
	s_barrier
	s_and_saveexec_b64 s[8:9], vcc
	s_cbranch_execz .LBB127_178
; %bb.170:
	v_mov_b32_e32 v4, s93
	buffer_load_dword v1, v4, s[0:3], 0 offen
	buffer_load_dword v2, v4, s[0:3], 0 offen offset:4
	buffer_load_dword v3, v4, s[0:3], 0 offen offset:8
	s_nop 0
	buffer_load_dword v4, v4, s[0:3], 0 offen offset:12
	s_movk_i32 s6, 0xe0
	s_waitcnt vmcnt(0)
	ds_write2_b64 v11, v[1:2], v[3:4] offset1:1
.LBB127_171:                            ; =>This Inner Loop Header: Depth=1
	v_mov_b32_e32 v13, s6
	buffer_load_dword v1, v13, s[0:3], 0 offen
	buffer_load_dword v2, v13, s[0:3], 0 offen offset:4
	buffer_load_dword v3, v13, s[0:3], 0 offen offset:8
	;; [unrolled: 1-line block ×15, first 2 shown]
	v_add_u32_e32 v14, s6, v12
	s_addk_i32 s6, 0xa0
	s_cmpk_lg_i32 s6, 0x400
	s_waitcnt vmcnt(12)
	ds_write2_b64 v14, v[1:2], v[3:4] offset1:1
	s_waitcnt vmcnt(8)
	ds_write2_b64 v14, v[5:6], v[7:8] offset0:2 offset1:3
	s_waitcnt vmcnt(4)
	ds_write2_b64 v14, v[9:10], v[18:19] offset0:4 offset1:5
	;; [unrolled: 2-line block ×3, first 2 shown]
	buffer_load_dword v2, v13, s[0:3], 0 offen offset:76
	buffer_load_dword v1, v13, s[0:3], 0 offen offset:72
	buffer_load_dword v4, v13, s[0:3], 0 offen offset:68
	buffer_load_dword v3, v13, s[0:3], 0 offen offset:64
	s_waitcnt vmcnt(0)
	ds_write2_b64 v14, v[3:4], v[1:2] offset0:8 offset1:9
	buffer_load_dword v2, v13, s[0:3], 0 offen offset:92
	buffer_load_dword v1, v13, s[0:3], 0 offen offset:88
	buffer_load_dword v4, v13, s[0:3], 0 offen offset:84
	buffer_load_dword v3, v13, s[0:3], 0 offen offset:80
	s_waitcnt vmcnt(0)
	ds_write2_b64 v14, v[3:4], v[1:2] offset0:10 offset1:11
	;; [unrolled: 6-line block ×6, first 2 shown]
	s_cbranch_scc1 .LBB127_171
; %bb.172:
	ds_read2_b64 v[1:4], v11 offset1:1
	s_waitcnt lgkmcnt(0)
	v_cmp_neq_f64_e32 vcc, 0, v[1:2]
	v_cmp_neq_f64_e64 s[6:7], 0, v[3:4]
	s_or_b64 s[6:7], vcc, s[6:7]
	s_and_b64 exec, exec, s[6:7]
	s_cbranch_execz .LBB127_178
; %bb.173:
	v_cmp_ngt_f64_e64 s[6:7], |v[1:2]|, |v[3:4]|
                                        ; implicit-def: $vgpr5_vgpr6
	s_and_saveexec_b64 s[10:11], s[6:7]
	s_xor_b64 s[6:7], exec, s[10:11]
                                        ; implicit-def: $vgpr7_vgpr8
	s_cbranch_execz .LBB127_175
; %bb.174:
	v_div_scale_f64 v[5:6], s[10:11], v[3:4], v[3:4], v[1:2]
	v_rcp_f64_e32 v[7:8], v[5:6]
	v_fma_f64 v[9:10], -v[5:6], v[7:8], 1.0
	v_fma_f64 v[7:8], v[7:8], v[9:10], v[7:8]
	v_div_scale_f64 v[9:10], vcc, v[1:2], v[3:4], v[1:2]
	v_fma_f64 v[18:19], -v[5:6], v[7:8], 1.0
	v_fma_f64 v[7:8], v[7:8], v[18:19], v[7:8]
	v_mul_f64 v[18:19], v[9:10], v[7:8]
	v_fma_f64 v[5:6], -v[5:6], v[18:19], v[9:10]
	v_div_fmas_f64 v[5:6], v[5:6], v[7:8], v[18:19]
	v_div_fixup_f64 v[5:6], v[5:6], v[3:4], v[1:2]
	v_fma_f64 v[1:2], v[1:2], v[5:6], v[3:4]
	v_div_scale_f64 v[3:4], s[10:11], v[1:2], v[1:2], 1.0
	v_div_scale_f64 v[18:19], vcc, 1.0, v[1:2], 1.0
	v_rcp_f64_e32 v[7:8], v[3:4]
	v_fma_f64 v[9:10], -v[3:4], v[7:8], 1.0
	v_fma_f64 v[7:8], v[7:8], v[9:10], v[7:8]
	v_fma_f64 v[9:10], -v[3:4], v[7:8], 1.0
	v_fma_f64 v[7:8], v[7:8], v[9:10], v[7:8]
	v_mul_f64 v[9:10], v[18:19], v[7:8]
	v_fma_f64 v[3:4], -v[3:4], v[9:10], v[18:19]
	v_div_fmas_f64 v[3:4], v[3:4], v[7:8], v[9:10]
	v_div_fixup_f64 v[7:8], v[3:4], v[1:2], 1.0
                                        ; implicit-def: $vgpr1_vgpr2
	v_mul_f64 v[5:6], v[5:6], v[7:8]
	v_xor_b32_e32 v8, 0x80000000, v8
.LBB127_175:
	s_andn2_saveexec_b64 s[6:7], s[6:7]
	s_cbranch_execz .LBB127_177
; %bb.176:
	v_div_scale_f64 v[5:6], s[10:11], v[1:2], v[1:2], v[3:4]
	v_rcp_f64_e32 v[7:8], v[5:6]
	v_fma_f64 v[9:10], -v[5:6], v[7:8], 1.0
	v_fma_f64 v[7:8], v[7:8], v[9:10], v[7:8]
	v_div_scale_f64 v[9:10], vcc, v[3:4], v[1:2], v[3:4]
	v_fma_f64 v[18:19], -v[5:6], v[7:8], 1.0
	v_fma_f64 v[7:8], v[7:8], v[18:19], v[7:8]
	v_mul_f64 v[18:19], v[9:10], v[7:8]
	v_fma_f64 v[5:6], -v[5:6], v[18:19], v[9:10]
	v_div_fmas_f64 v[5:6], v[5:6], v[7:8], v[18:19]
	v_div_fixup_f64 v[7:8], v[5:6], v[1:2], v[3:4]
	v_fma_f64 v[1:2], v[3:4], v[7:8], v[1:2]
	v_div_scale_f64 v[3:4], s[10:11], v[1:2], v[1:2], 1.0
	v_div_scale_f64 v[18:19], vcc, 1.0, v[1:2], 1.0
	v_rcp_f64_e32 v[5:6], v[3:4]
	v_fma_f64 v[9:10], -v[3:4], v[5:6], 1.0
	v_fma_f64 v[5:6], v[5:6], v[9:10], v[5:6]
	v_fma_f64 v[9:10], -v[3:4], v[5:6], 1.0
	v_fma_f64 v[5:6], v[5:6], v[9:10], v[5:6]
	v_mul_f64 v[9:10], v[18:19], v[5:6]
	v_fma_f64 v[3:4], -v[3:4], v[9:10], v[18:19]
	v_div_fmas_f64 v[3:4], v[3:4], v[5:6], v[9:10]
	v_div_fixup_f64 v[5:6], v[3:4], v[1:2], 1.0
	v_mul_f64 v[7:8], v[7:8], -v[5:6]
.LBB127_177:
	s_or_b64 exec, exec, s[6:7]
	ds_write2_b64 v11, v[5:6], v[7:8] offset1:1
.LBB127_178:
	s_or_b64 exec, exec, s[8:9]
	buffer_store_dword v24, off, s[0:3], 0 offset:2000 ; 4-byte Folded Spill
	s_nop 0
	buffer_store_dword v25, off, s[0:3], 0 offset:2004 ; 4-byte Folded Spill
	buffer_store_dword v26, off, s[0:3], 0 offset:2008 ; 4-byte Folded Spill
	;; [unrolled: 1-line block ×3, first 2 shown]
	s_waitcnt vmcnt(0) lgkmcnt(0)
	s_barrier
	ds_read2_b64 v[1:4], v11 offset1:1
	v_cmp_lt_u32_e32 vcc, 13, v0
	s_waitcnt lgkmcnt(0)
	buffer_store_dword v1, off, s[0:3], 0 offset:1680 ; 4-byte Folded Spill
	s_nop 0
	buffer_store_dword v2, off, s[0:3], 0 offset:1684 ; 4-byte Folded Spill
	buffer_store_dword v3, off, s[0:3], 0 offset:1688 ; 4-byte Folded Spill
	;; [unrolled: 1-line block ×3, first 2 shown]
	s_and_saveexec_b64 s[6:7], vcc
	s_cbranch_execz .LBB127_181
; %bb.179:
	buffer_load_dword v1, off, s[0:3], 0 offset:216
	buffer_load_dword v2, off, s[0:3], 0 offset:220
	;; [unrolled: 1-line block ×4, first 2 shown]
	buffer_load_dword v7, off, s[0:3], 0 offset:1680 ; 4-byte Folded Reload
	buffer_load_dword v8, off, s[0:3], 0 offset:1684 ; 4-byte Folded Reload
	;; [unrolled: 1-line block ×4, first 2 shown]
	s_movk_i32 s8, 0xe0
	s_waitcnt vmcnt(0)
	v_mul_f64 v[5:6], v[9:10], v[1:2]
	v_mul_f64 v[1:2], v[7:8], v[1:2]
	v_fma_f64 v[5:6], v[7:8], v[3:4], -v[5:6]
	v_fma_f64 v[1:2], v[9:10], v[3:4], v[1:2]
	buffer_store_dword v5, off, s[0:3], 0 offset:208
	buffer_store_dword v6, off, s[0:3], 0 offset:212
	;; [unrolled: 1-line block ×4, first 2 shown]
.LBB127_180:                            ; =>This Inner Loop Header: Depth=1
	buffer_load_dword v7, off, s[0:3], 0 offset:216
	buffer_load_dword v8, off, s[0:3], 0 offset:220
	buffer_load_dword v9, off, s[0:3], 0 offset:208
	buffer_load_dword v10, off, s[0:3], 0 offset:212
	v_mov_b32_e32 v1, s8
	buffer_load_dword v18, v1, s[0:3], 0 offen
	buffer_load_dword v19, v1, s[0:3], 0 offen offset:4
	buffer_load_dword v20, v1, s[0:3], 0 offen offset:8
	;; [unrolled: 1-line block ×3, first 2 shown]
	v_add_u32_e32 v2, s8, v12
	ds_read2_b64 v[3:6], v2 offset1:1
	buffer_load_dword v22, v1, s[0:3], 0 offen offset:16
	buffer_load_dword v23, v1, s[0:3], 0 offen offset:20
	buffer_load_dword v24, v1, s[0:3], 0 offen offset:24
	s_addk_i32 s8, 0x50
	s_cmpk_lg_i32 s8, 0x400
	s_waitcnt vmcnt(9) lgkmcnt(0)
	v_mul_f64 v[25:26], v[5:6], v[7:8]
	v_mul_f64 v[7:8], v[3:4], v[7:8]
	s_waitcnt vmcnt(7)
	v_fma_f64 v[3:4], v[3:4], v[9:10], -v[25:26]
	v_fma_f64 v[5:6], v[5:6], v[9:10], v[7:8]
	s_waitcnt vmcnt(5)
	v_add_f64 v[3:4], v[18:19], -v[3:4]
	s_waitcnt vmcnt(3)
	v_add_f64 v[5:6], v[20:21], -v[5:6]
	buffer_store_dword v4, v1, s[0:3], 0 offen offset:4
	buffer_store_dword v3, v1, s[0:3], 0 offen
	buffer_store_dword v6, v1, s[0:3], 0 offen offset:12
	buffer_store_dword v5, v1, s[0:3], 0 offen offset:8
	buffer_load_dword v8, off, s[0:3], 0 offset:220
	buffer_load_dword v7, off, s[0:3], 0 offset:216
	;; [unrolled: 1-line block ×4, first 2 shown]
	buffer_load_dword v25, v1, s[0:3], 0 offen offset:28
	ds_read2_b64 v[3:6], v2 offset0:2 offset1:3
	buffer_load_dword v18, v1, s[0:3], 0 offen offset:32
	buffer_load_dword v19, v1, s[0:3], 0 offen offset:36
	;; [unrolled: 1-line block ×3, first 2 shown]
	s_waitcnt vmcnt(6) lgkmcnt(0)
	v_mul_f64 v[26:27], v[5:6], v[7:8]
	v_mul_f64 v[7:8], v[3:4], v[7:8]
	s_waitcnt vmcnt(4)
	v_fma_f64 v[3:4], v[3:4], v[9:10], -v[26:27]
	v_fma_f64 v[5:6], v[5:6], v[9:10], v[7:8]
	v_add_f64 v[3:4], v[22:23], -v[3:4]
	s_waitcnt vmcnt(3)
	v_add_f64 v[5:6], v[24:25], -v[5:6]
	buffer_store_dword v4, v1, s[0:3], 0 offen offset:20
	buffer_store_dword v3, v1, s[0:3], 0 offen offset:16
	;; [unrolled: 1-line block ×4, first 2 shown]
	buffer_load_dword v7, off, s[0:3], 0 offset:216
	buffer_load_dword v8, off, s[0:3], 0 offset:220
	buffer_load_dword v9, off, s[0:3], 0 offset:208
	buffer_load_dword v10, off, s[0:3], 0 offset:212
	buffer_load_dword v21, v1, s[0:3], 0 offen offset:44
	ds_read2_b64 v[3:6], v2 offset0:4 offset1:5
	buffer_load_dword v22, v1, s[0:3], 0 offen offset:48
	s_waitcnt vmcnt(4) lgkmcnt(0)
	v_mul_f64 v[23:24], v[5:6], v[7:8]
	v_mul_f64 v[7:8], v[3:4], v[7:8]
	s_waitcnt vmcnt(2)
	v_fma_f64 v[3:4], v[3:4], v[9:10], -v[23:24]
	v_fma_f64 v[5:6], v[5:6], v[9:10], v[7:8]
	v_add_f64 v[3:4], v[18:19], -v[3:4]
	s_waitcnt vmcnt(1)
	v_add_f64 v[5:6], v[20:21], -v[5:6]
	buffer_store_dword v4, v1, s[0:3], 0 offen offset:36
	buffer_store_dword v3, v1, s[0:3], 0 offen offset:32
	;; [unrolled: 1-line block ×4, first 2 shown]
	buffer_load_dword v7, off, s[0:3], 0 offset:216
	buffer_load_dword v8, off, s[0:3], 0 offset:220
	;; [unrolled: 1-line block ×4, first 2 shown]
	buffer_load_dword v23, v1, s[0:3], 0 offen offset:52
	buffer_load_dword v18, v1, s[0:3], 0 offen offset:56
	buffer_load_dword v19, v1, s[0:3], 0 offen offset:60
	ds_read2_b64 v[3:6], v2 offset0:6 offset1:7
	s_waitcnt vmcnt(5) lgkmcnt(0)
	v_mul_f64 v[20:21], v[5:6], v[7:8]
	v_mul_f64 v[7:8], v[3:4], v[7:8]
	s_waitcnt vmcnt(3)
	v_fma_f64 v[3:4], v[3:4], v[9:10], -v[20:21]
	v_fma_f64 v[5:6], v[5:6], v[9:10], v[7:8]
	s_waitcnt vmcnt(2)
	v_add_f64 v[3:4], v[22:23], -v[3:4]
	s_waitcnt vmcnt(0)
	v_add_f64 v[5:6], v[18:19], -v[5:6]
	buffer_store_dword v4, v1, s[0:3], 0 offen offset:52
	buffer_store_dword v3, v1, s[0:3], 0 offen offset:48
	;; [unrolled: 1-line block ×4, first 2 shown]
	buffer_load_dword v6, off, s[0:3], 0 offset:216
	s_nop 0
	buffer_load_dword v7, off, s[0:3], 0 offset:220
	buffer_load_dword v8, off, s[0:3], 0 offset:208
	;; [unrolled: 1-line block ×3, first 2 shown]
	buffer_load_dword v18, v1, s[0:3], 0 offen offset:64
	buffer_load_dword v19, v1, s[0:3], 0 offen offset:68
	buffer_load_dword v20, v1, s[0:3], 0 offen offset:72
	buffer_load_dword v21, v1, s[0:3], 0 offen offset:76
	ds_read2_b64 v[2:5], v2 offset0:8 offset1:9
	s_waitcnt vmcnt(6) lgkmcnt(0)
	v_mul_f64 v[22:23], v[4:5], v[6:7]
	v_mul_f64 v[6:7], v[2:3], v[6:7]
	s_waitcnt vmcnt(4)
	v_fma_f64 v[2:3], v[2:3], v[8:9], -v[22:23]
	v_fma_f64 v[4:5], v[4:5], v[8:9], v[6:7]
	s_waitcnt vmcnt(2)
	v_add_f64 v[2:3], v[18:19], -v[2:3]
	s_waitcnt vmcnt(0)
	v_add_f64 v[4:5], v[20:21], -v[4:5]
	buffer_store_dword v3, v1, s[0:3], 0 offen offset:68
	buffer_store_dword v2, v1, s[0:3], 0 offen offset:64
	;; [unrolled: 1-line block ×4, first 2 shown]
	s_cbranch_scc1 .LBB127_180
.LBB127_181:
	s_or_b64 exec, exec, s[6:7]
	v_cmp_eq_u32_e32 vcc, 14, v0
	s_waitcnt vmcnt(0)
	s_barrier
	s_and_saveexec_b64 s[8:9], vcc
	s_cbranch_execz .LBB127_190
; %bb.182:
	v_mov_b32_e32 v4, s92
	buffer_load_dword v1, v4, s[0:3], 0 offen
	buffer_load_dword v2, v4, s[0:3], 0 offen offset:4
	buffer_load_dword v3, v4, s[0:3], 0 offen offset:8
	s_nop 0
	buffer_load_dword v4, v4, s[0:3], 0 offen offset:12
	s_movk_i32 s6, 0xf0
	s_waitcnt vmcnt(0)
	ds_write2_b64 v11, v[1:2], v[3:4] offset1:1
.LBB127_183:                            ; =>This Inner Loop Header: Depth=1
	v_mov_b32_e32 v13, s6
	buffer_load_dword v1, v13, s[0:3], 0 offen
	buffer_load_dword v2, v13, s[0:3], 0 offen offset:4
	buffer_load_dword v3, v13, s[0:3], 0 offen offset:8
	;; [unrolled: 1-line block ×15, first 2 shown]
	v_add_u32_e32 v14, s6, v12
	s_addk_i32 s6, 0x70
	s_cmpk_lg_i32 s6, 0x400
	s_waitcnt vmcnt(12)
	ds_write2_b64 v14, v[1:2], v[3:4] offset1:1
	s_waitcnt vmcnt(8)
	ds_write2_b64 v14, v[5:6], v[7:8] offset0:2 offset1:3
	s_waitcnt vmcnt(4)
	ds_write2_b64 v14, v[9:10], v[18:19] offset0:4 offset1:5
	;; [unrolled: 2-line block ×3, first 2 shown]
	buffer_load_dword v2, v13, s[0:3], 0 offen offset:76
	buffer_load_dword v1, v13, s[0:3], 0 offen offset:72
	buffer_load_dword v4, v13, s[0:3], 0 offen offset:68
	buffer_load_dword v3, v13, s[0:3], 0 offen offset:64
	s_waitcnt vmcnt(0)
	ds_write2_b64 v14, v[3:4], v[1:2] offset0:8 offset1:9
	buffer_load_dword v2, v13, s[0:3], 0 offen offset:92
	buffer_load_dword v1, v13, s[0:3], 0 offen offset:88
	buffer_load_dword v4, v13, s[0:3], 0 offen offset:84
	buffer_load_dword v3, v13, s[0:3], 0 offen offset:80
	s_waitcnt vmcnt(0)
	ds_write2_b64 v14, v[3:4], v[1:2] offset0:10 offset1:11
	;; [unrolled: 6-line block ×3, first 2 shown]
	s_cbranch_scc1 .LBB127_183
; %bb.184:
	ds_read2_b64 v[1:4], v11 offset1:1
	s_waitcnt lgkmcnt(0)
	v_cmp_neq_f64_e32 vcc, 0, v[1:2]
	v_cmp_neq_f64_e64 s[6:7], 0, v[3:4]
	s_or_b64 s[6:7], vcc, s[6:7]
	s_and_b64 exec, exec, s[6:7]
	s_cbranch_execz .LBB127_190
; %bb.185:
	v_cmp_ngt_f64_e64 s[6:7], |v[1:2]|, |v[3:4]|
                                        ; implicit-def: $vgpr5_vgpr6
	s_and_saveexec_b64 s[10:11], s[6:7]
	s_xor_b64 s[6:7], exec, s[10:11]
                                        ; implicit-def: $vgpr7_vgpr8
	s_cbranch_execz .LBB127_187
; %bb.186:
	v_div_scale_f64 v[5:6], s[10:11], v[3:4], v[3:4], v[1:2]
	v_rcp_f64_e32 v[7:8], v[5:6]
	v_fma_f64 v[9:10], -v[5:6], v[7:8], 1.0
	v_fma_f64 v[7:8], v[7:8], v[9:10], v[7:8]
	v_div_scale_f64 v[9:10], vcc, v[1:2], v[3:4], v[1:2]
	v_fma_f64 v[18:19], -v[5:6], v[7:8], 1.0
	v_fma_f64 v[7:8], v[7:8], v[18:19], v[7:8]
	v_mul_f64 v[18:19], v[9:10], v[7:8]
	v_fma_f64 v[5:6], -v[5:6], v[18:19], v[9:10]
	v_div_fmas_f64 v[5:6], v[5:6], v[7:8], v[18:19]
	v_div_fixup_f64 v[5:6], v[5:6], v[3:4], v[1:2]
	v_fma_f64 v[1:2], v[1:2], v[5:6], v[3:4]
	v_div_scale_f64 v[3:4], s[10:11], v[1:2], v[1:2], 1.0
	v_div_scale_f64 v[18:19], vcc, 1.0, v[1:2], 1.0
	v_rcp_f64_e32 v[7:8], v[3:4]
	v_fma_f64 v[9:10], -v[3:4], v[7:8], 1.0
	v_fma_f64 v[7:8], v[7:8], v[9:10], v[7:8]
	v_fma_f64 v[9:10], -v[3:4], v[7:8], 1.0
	v_fma_f64 v[7:8], v[7:8], v[9:10], v[7:8]
	v_mul_f64 v[9:10], v[18:19], v[7:8]
	v_fma_f64 v[3:4], -v[3:4], v[9:10], v[18:19]
	v_div_fmas_f64 v[3:4], v[3:4], v[7:8], v[9:10]
	v_div_fixup_f64 v[7:8], v[3:4], v[1:2], 1.0
                                        ; implicit-def: $vgpr1_vgpr2
	v_mul_f64 v[5:6], v[5:6], v[7:8]
	v_xor_b32_e32 v8, 0x80000000, v8
.LBB127_187:
	s_andn2_saveexec_b64 s[6:7], s[6:7]
	s_cbranch_execz .LBB127_189
; %bb.188:
	v_div_scale_f64 v[5:6], s[10:11], v[1:2], v[1:2], v[3:4]
	v_rcp_f64_e32 v[7:8], v[5:6]
	v_fma_f64 v[9:10], -v[5:6], v[7:8], 1.0
	v_fma_f64 v[7:8], v[7:8], v[9:10], v[7:8]
	v_div_scale_f64 v[9:10], vcc, v[3:4], v[1:2], v[3:4]
	v_fma_f64 v[18:19], -v[5:6], v[7:8], 1.0
	v_fma_f64 v[7:8], v[7:8], v[18:19], v[7:8]
	v_mul_f64 v[18:19], v[9:10], v[7:8]
	v_fma_f64 v[5:6], -v[5:6], v[18:19], v[9:10]
	v_div_fmas_f64 v[5:6], v[5:6], v[7:8], v[18:19]
	v_div_fixup_f64 v[7:8], v[5:6], v[1:2], v[3:4]
	v_fma_f64 v[1:2], v[3:4], v[7:8], v[1:2]
	v_div_scale_f64 v[3:4], s[10:11], v[1:2], v[1:2], 1.0
	v_div_scale_f64 v[18:19], vcc, 1.0, v[1:2], 1.0
	v_rcp_f64_e32 v[5:6], v[3:4]
	v_fma_f64 v[9:10], -v[3:4], v[5:6], 1.0
	v_fma_f64 v[5:6], v[5:6], v[9:10], v[5:6]
	v_fma_f64 v[9:10], -v[3:4], v[5:6], 1.0
	v_fma_f64 v[5:6], v[5:6], v[9:10], v[5:6]
	v_mul_f64 v[9:10], v[18:19], v[5:6]
	v_fma_f64 v[3:4], -v[3:4], v[9:10], v[18:19]
	v_div_fmas_f64 v[3:4], v[3:4], v[5:6], v[9:10]
	v_div_fixup_f64 v[5:6], v[3:4], v[1:2], 1.0
	v_mul_f64 v[7:8], v[7:8], -v[5:6]
.LBB127_189:
	s_or_b64 exec, exec, s[6:7]
	ds_write2_b64 v11, v[5:6], v[7:8] offset1:1
.LBB127_190:
	s_or_b64 exec, exec, s[8:9]
	s_waitcnt lgkmcnt(0)
	s_barrier
	ds_read2_b64 v[1:4], v11 offset1:1
	v_cmp_lt_u32_e32 vcc, 14, v0
	s_waitcnt lgkmcnt(0)
	buffer_store_dword v1, off, s[0:3], 0 offset:1696 ; 4-byte Folded Spill
	s_nop 0
	buffer_store_dword v2, off, s[0:3], 0 offset:1700 ; 4-byte Folded Spill
	buffer_store_dword v3, off, s[0:3], 0 offset:1704 ; 4-byte Folded Spill
	buffer_store_dword v4, off, s[0:3], 0 offset:1708 ; 4-byte Folded Spill
	s_and_saveexec_b64 s[6:7], vcc
	s_cbranch_execz .LBB127_193
; %bb.191:
	buffer_load_dword v1, off, s[0:3], 0 offset:232
	buffer_load_dword v2, off, s[0:3], 0 offset:236
	buffer_load_dword v3, off, s[0:3], 0 offset:224
	buffer_load_dword v4, off, s[0:3], 0 offset:228
	buffer_load_dword v7, off, s[0:3], 0 offset:1696 ; 4-byte Folded Reload
	buffer_load_dword v8, off, s[0:3], 0 offset:1700 ; 4-byte Folded Reload
	buffer_load_dword v9, off, s[0:3], 0 offset:1704 ; 4-byte Folded Reload
	buffer_load_dword v10, off, s[0:3], 0 offset:1708 ; 4-byte Folded Reload
	s_movk_i32 s8, 0xf0
	s_waitcnt vmcnt(0)
	v_mul_f64 v[5:6], v[9:10], v[1:2]
	v_mul_f64 v[1:2], v[7:8], v[1:2]
	v_fma_f64 v[5:6], v[7:8], v[3:4], -v[5:6]
	v_fma_f64 v[1:2], v[9:10], v[3:4], v[1:2]
	buffer_store_dword v5, off, s[0:3], 0 offset:224
	buffer_store_dword v6, off, s[0:3], 0 offset:228
	;; [unrolled: 1-line block ×4, first 2 shown]
.LBB127_192:                            ; =>This Inner Loop Header: Depth=1
	buffer_load_dword v7, off, s[0:3], 0 offset:232
	buffer_load_dword v8, off, s[0:3], 0 offset:236
	;; [unrolled: 1-line block ×4, first 2 shown]
	v_mov_b32_e32 v1, s8
	buffer_load_dword v18, v1, s[0:3], 0 offen
	buffer_load_dword v19, v1, s[0:3], 0 offen offset:4
	buffer_load_dword v20, v1, s[0:3], 0 offen offset:8
	;; [unrolled: 1-line block ×3, first 2 shown]
	v_add_u32_e32 v2, s8, v12
	ds_read2_b64 v[3:6], v2 offset1:1
	buffer_load_dword v22, v1, s[0:3], 0 offen offset:16
	buffer_load_dword v23, v1, s[0:3], 0 offen offset:20
	;; [unrolled: 1-line block ×3, first 2 shown]
	s_addk_i32 s8, 0x70
	s_cmpk_lg_i32 s8, 0x400
	s_waitcnt vmcnt(9) lgkmcnt(0)
	v_mul_f64 v[25:26], v[5:6], v[7:8]
	v_mul_f64 v[7:8], v[3:4], v[7:8]
	s_waitcnt vmcnt(7)
	v_fma_f64 v[3:4], v[3:4], v[9:10], -v[25:26]
	v_fma_f64 v[5:6], v[5:6], v[9:10], v[7:8]
	s_waitcnt vmcnt(5)
	v_add_f64 v[3:4], v[18:19], -v[3:4]
	s_waitcnt vmcnt(3)
	v_add_f64 v[5:6], v[20:21], -v[5:6]
	buffer_store_dword v4, v1, s[0:3], 0 offen offset:4
	buffer_store_dword v3, v1, s[0:3], 0 offen
	buffer_store_dword v6, v1, s[0:3], 0 offen offset:12
	buffer_store_dword v5, v1, s[0:3], 0 offen offset:8
	buffer_load_dword v8, off, s[0:3], 0 offset:236
	buffer_load_dword v7, off, s[0:3], 0 offset:232
	buffer_load_dword v10, off, s[0:3], 0 offset:228
	buffer_load_dword v9, off, s[0:3], 0 offset:224
	buffer_load_dword v25, v1, s[0:3], 0 offen offset:28
	ds_read2_b64 v[3:6], v2 offset0:2 offset1:3
	buffer_load_dword v18, v1, s[0:3], 0 offen offset:32
	buffer_load_dword v19, v1, s[0:3], 0 offen offset:36
	buffer_load_dword v20, v1, s[0:3], 0 offen offset:40
	s_waitcnt vmcnt(6) lgkmcnt(0)
	v_mul_f64 v[26:27], v[5:6], v[7:8]
	v_mul_f64 v[7:8], v[3:4], v[7:8]
	s_waitcnt vmcnt(4)
	v_fma_f64 v[3:4], v[3:4], v[9:10], -v[26:27]
	v_fma_f64 v[5:6], v[5:6], v[9:10], v[7:8]
	v_add_f64 v[3:4], v[22:23], -v[3:4]
	s_waitcnt vmcnt(3)
	v_add_f64 v[5:6], v[24:25], -v[5:6]
	buffer_store_dword v4, v1, s[0:3], 0 offen offset:20
	buffer_store_dword v3, v1, s[0:3], 0 offen offset:16
	buffer_store_dword v6, v1, s[0:3], 0 offen offset:28
	buffer_store_dword v5, v1, s[0:3], 0 offen offset:24
	buffer_load_dword v7, off, s[0:3], 0 offset:232
	buffer_load_dword v8, off, s[0:3], 0 offset:236
	buffer_load_dword v9, off, s[0:3], 0 offset:224
	buffer_load_dword v10, off, s[0:3], 0 offset:228
	buffer_load_dword v21, v1, s[0:3], 0 offen offset:44
	ds_read2_b64 v[3:6], v2 offset0:4 offset1:5
	buffer_load_dword v22, v1, s[0:3], 0 offen offset:48
	buffer_load_dword v23, v1, s[0:3], 0 offen offset:52
	buffer_load_dword v24, v1, s[0:3], 0 offen offset:56
	s_waitcnt vmcnt(6) lgkmcnt(0)
	v_mul_f64 v[25:26], v[5:6], v[7:8]
	v_mul_f64 v[7:8], v[3:4], v[7:8]
	s_waitcnt vmcnt(4)
	v_fma_f64 v[3:4], v[3:4], v[9:10], -v[25:26]
	v_fma_f64 v[5:6], v[5:6], v[9:10], v[7:8]
	v_add_f64 v[3:4], v[18:19], -v[3:4]
	s_waitcnt vmcnt(3)
	v_add_f64 v[5:6], v[20:21], -v[5:6]
	buffer_store_dword v4, v1, s[0:3], 0 offen offset:36
	buffer_store_dword v3, v1, s[0:3], 0 offen offset:32
	;; [unrolled: 22-line block ×3, first 2 shown]
	buffer_store_dword v6, v1, s[0:3], 0 offen offset:60
	buffer_store_dword v5, v1, s[0:3], 0 offen offset:56
	buffer_load_dword v7, off, s[0:3], 0 offset:232
	buffer_load_dword v8, off, s[0:3], 0 offset:236
	;; [unrolled: 1-line block ×4, first 2 shown]
	buffer_load_dword v21, v1, s[0:3], 0 offen offset:76
	ds_read2_b64 v[3:6], v2 offset0:8 offset1:9
	buffer_load_dword v22, v1, s[0:3], 0 offen offset:80
	s_waitcnt vmcnt(4) lgkmcnt(0)
	v_mul_f64 v[23:24], v[5:6], v[7:8]
	v_mul_f64 v[7:8], v[3:4], v[7:8]
	s_waitcnt vmcnt(2)
	v_fma_f64 v[3:4], v[3:4], v[9:10], -v[23:24]
	v_fma_f64 v[5:6], v[5:6], v[9:10], v[7:8]
	v_add_f64 v[3:4], v[18:19], -v[3:4]
	s_waitcnt vmcnt(1)
	v_add_f64 v[5:6], v[20:21], -v[5:6]
	buffer_store_dword v4, v1, s[0:3], 0 offen offset:68
	buffer_store_dword v3, v1, s[0:3], 0 offen offset:64
	;; [unrolled: 1-line block ×4, first 2 shown]
	buffer_load_dword v7, off, s[0:3], 0 offset:232
	buffer_load_dword v8, off, s[0:3], 0 offset:236
	buffer_load_dword v9, off, s[0:3], 0 offset:224
	buffer_load_dword v10, off, s[0:3], 0 offset:228
	buffer_load_dword v23, v1, s[0:3], 0 offen offset:84
	buffer_load_dword v18, v1, s[0:3], 0 offen offset:88
	;; [unrolled: 1-line block ×3, first 2 shown]
	ds_read2_b64 v[3:6], v2 offset0:10 offset1:11
	s_waitcnt vmcnt(5) lgkmcnt(0)
	v_mul_f64 v[20:21], v[5:6], v[7:8]
	v_mul_f64 v[7:8], v[3:4], v[7:8]
	s_waitcnt vmcnt(3)
	v_fma_f64 v[3:4], v[3:4], v[9:10], -v[20:21]
	v_fma_f64 v[5:6], v[5:6], v[9:10], v[7:8]
	s_waitcnt vmcnt(2)
	v_add_f64 v[3:4], v[22:23], -v[3:4]
	s_waitcnt vmcnt(0)
	v_add_f64 v[5:6], v[18:19], -v[5:6]
	buffer_store_dword v4, v1, s[0:3], 0 offen offset:84
	buffer_store_dword v3, v1, s[0:3], 0 offen offset:80
	;; [unrolled: 1-line block ×4, first 2 shown]
	buffer_load_dword v6, off, s[0:3], 0 offset:232
	s_nop 0
	buffer_load_dword v7, off, s[0:3], 0 offset:236
	buffer_load_dword v8, off, s[0:3], 0 offset:224
	;; [unrolled: 1-line block ×3, first 2 shown]
	buffer_load_dword v18, v1, s[0:3], 0 offen offset:96
	buffer_load_dword v19, v1, s[0:3], 0 offen offset:100
	;; [unrolled: 1-line block ×4, first 2 shown]
	ds_read2_b64 v[2:5], v2 offset0:12 offset1:13
	s_waitcnt vmcnt(6) lgkmcnt(0)
	v_mul_f64 v[22:23], v[4:5], v[6:7]
	v_mul_f64 v[6:7], v[2:3], v[6:7]
	s_waitcnt vmcnt(4)
	v_fma_f64 v[2:3], v[2:3], v[8:9], -v[22:23]
	v_fma_f64 v[4:5], v[4:5], v[8:9], v[6:7]
	s_waitcnt vmcnt(2)
	v_add_f64 v[2:3], v[18:19], -v[2:3]
	s_waitcnt vmcnt(0)
	v_add_f64 v[4:5], v[20:21], -v[4:5]
	buffer_store_dword v3, v1, s[0:3], 0 offen offset:100
	buffer_store_dword v2, v1, s[0:3], 0 offen offset:96
	;; [unrolled: 1-line block ×4, first 2 shown]
	s_cbranch_scc1 .LBB127_192
.LBB127_193:
	s_or_b64 exec, exec, s[6:7]
	v_cmp_eq_u32_e32 vcc, 15, v0
	s_waitcnt vmcnt(0)
	s_barrier
	s_and_saveexec_b64 s[8:9], vcc
	s_cbranch_execz .LBB127_202
; %bb.194:
	v_mov_b32_e32 v4, s91
	buffer_load_dword v1, v4, s[0:3], 0 offen
	buffer_load_dword v2, v4, s[0:3], 0 offen offset:4
	buffer_load_dword v3, v4, s[0:3], 0 offen offset:8
	s_nop 0
	buffer_load_dword v4, v4, s[0:3], 0 offen offset:12
	s_movk_i32 s6, 0x100
	s_waitcnt vmcnt(0)
	ds_write2_b64 v11, v[1:2], v[3:4] offset1:1
.LBB127_195:                            ; =>This Inner Loop Header: Depth=1
	v_mov_b32_e32 v13, s6
	buffer_load_dword v1, v13, s[0:3], 0 offen
	buffer_load_dword v2, v13, s[0:3], 0 offen offset:4
	buffer_load_dword v3, v13, s[0:3], 0 offen offset:8
	;; [unrolled: 1-line block ×15, first 2 shown]
	v_add_u32_e32 v14, s6, v12
	s_addk_i32 s6, 0x100
	s_cmpk_lg_i32 s6, 0x400
	s_waitcnt vmcnt(12)
	ds_write2_b64 v14, v[1:2], v[3:4] offset1:1
	s_waitcnt vmcnt(8)
	ds_write2_b64 v14, v[5:6], v[7:8] offset0:2 offset1:3
	s_waitcnt vmcnt(4)
	ds_write2_b64 v14, v[9:10], v[18:19] offset0:4 offset1:5
	;; [unrolled: 2-line block ×3, first 2 shown]
	buffer_load_dword v2, v13, s[0:3], 0 offen offset:76
	buffer_load_dword v1, v13, s[0:3], 0 offen offset:72
	buffer_load_dword v4, v13, s[0:3], 0 offen offset:68
	buffer_load_dword v3, v13, s[0:3], 0 offen offset:64
	s_waitcnt vmcnt(0)
	ds_write2_b64 v14, v[3:4], v[1:2] offset0:8 offset1:9
	buffer_load_dword v2, v13, s[0:3], 0 offen offset:92
	buffer_load_dword v1, v13, s[0:3], 0 offen offset:88
	buffer_load_dword v4, v13, s[0:3], 0 offen offset:84
	buffer_load_dword v3, v13, s[0:3], 0 offen offset:80
	s_waitcnt vmcnt(0)
	ds_write2_b64 v14, v[3:4], v[1:2] offset0:10 offset1:11
	buffer_load_dword v2, v13, s[0:3], 0 offen offset:108
	buffer_load_dword v1, v13, s[0:3], 0 offen offset:104
	buffer_load_dword v4, v13, s[0:3], 0 offen offset:100
	buffer_load_dword v3, v13, s[0:3], 0 offen offset:96
	s_waitcnt vmcnt(0)
	ds_write2_b64 v14, v[3:4], v[1:2] offset0:12 offset1:13
	buffer_load_dword v2, v13, s[0:3], 0 offen offset:124
	buffer_load_dword v1, v13, s[0:3], 0 offen offset:120
	buffer_load_dword v4, v13, s[0:3], 0 offen offset:116
	buffer_load_dword v3, v13, s[0:3], 0 offen offset:112
	s_waitcnt vmcnt(0)
	ds_write2_b64 v14, v[3:4], v[1:2] offset0:14 offset1:15
	buffer_load_dword v1, v13, s[0:3], 0 offen offset:128
	buffer_load_dword v2, v13, s[0:3], 0 offen offset:132
	buffer_load_dword v3, v13, s[0:3], 0 offen offset:136
	buffer_load_dword v4, v13, s[0:3], 0 offen offset:140
	s_waitcnt vmcnt(0)
	ds_write2_b64 v14, v[1:2], v[3:4] offset0:16 offset1:17
	buffer_load_dword v1, v13, s[0:3], 0 offen offset:144
	buffer_load_dword v2, v13, s[0:3], 0 offen offset:148
	buffer_load_dword v3, v13, s[0:3], 0 offen offset:152
	buffer_load_dword v4, v13, s[0:3], 0 offen offset:156
	s_waitcnt vmcnt(0)
	ds_write2_b64 v14, v[1:2], v[3:4] offset0:18 offset1:19
	buffer_load_dword v1, v13, s[0:3], 0 offen offset:160
	buffer_load_dword v2, v13, s[0:3], 0 offen offset:164
	buffer_load_dword v3, v13, s[0:3], 0 offen offset:168
	buffer_load_dword v4, v13, s[0:3], 0 offen offset:172
	s_waitcnt vmcnt(0)
	ds_write2_b64 v14, v[1:2], v[3:4] offset0:20 offset1:21
	buffer_load_dword v1, v13, s[0:3], 0 offen offset:176
	buffer_load_dword v2, v13, s[0:3], 0 offen offset:180
	buffer_load_dword v3, v13, s[0:3], 0 offen offset:184
	buffer_load_dword v4, v13, s[0:3], 0 offen offset:188
	s_waitcnt vmcnt(0)
	ds_write2_b64 v14, v[1:2], v[3:4] offset0:22 offset1:23
	buffer_load_dword v1, v13, s[0:3], 0 offen offset:192
	buffer_load_dword v2, v13, s[0:3], 0 offen offset:196
	buffer_load_dword v3, v13, s[0:3], 0 offen offset:200
	buffer_load_dword v4, v13, s[0:3], 0 offen offset:204
	s_waitcnt vmcnt(0)
	ds_write2_b64 v14, v[1:2], v[3:4] offset0:24 offset1:25
	buffer_load_dword v1, v13, s[0:3], 0 offen offset:208
	buffer_load_dword v2, v13, s[0:3], 0 offen offset:212
	buffer_load_dword v3, v13, s[0:3], 0 offen offset:216
	buffer_load_dword v4, v13, s[0:3], 0 offen offset:220
	s_waitcnt vmcnt(0)
	ds_write2_b64 v14, v[1:2], v[3:4] offset0:26 offset1:27
	buffer_load_dword v1, v13, s[0:3], 0 offen offset:224
	buffer_load_dword v2, v13, s[0:3], 0 offen offset:228
	buffer_load_dword v3, v13, s[0:3], 0 offen offset:232
	buffer_load_dword v4, v13, s[0:3], 0 offen offset:236
	s_waitcnt vmcnt(0)
	ds_write2_b64 v14, v[1:2], v[3:4] offset0:28 offset1:29
	buffer_load_dword v1, v13, s[0:3], 0 offen offset:240
	buffer_load_dword v2, v13, s[0:3], 0 offen offset:244
	buffer_load_dword v3, v13, s[0:3], 0 offen offset:248
	buffer_load_dword v4, v13, s[0:3], 0 offen offset:252
	s_waitcnt vmcnt(0)
	ds_write2_b64 v14, v[1:2], v[3:4] offset0:30 offset1:31
	s_cbranch_scc1 .LBB127_195
; %bb.196:
	ds_read2_b64 v[1:4], v11 offset1:1
	s_waitcnt lgkmcnt(0)
	v_cmp_neq_f64_e32 vcc, 0, v[1:2]
	v_cmp_neq_f64_e64 s[6:7], 0, v[3:4]
	s_or_b64 s[6:7], vcc, s[6:7]
	s_and_b64 exec, exec, s[6:7]
	s_cbranch_execz .LBB127_202
; %bb.197:
	v_cmp_ngt_f64_e64 s[6:7], |v[1:2]|, |v[3:4]|
                                        ; implicit-def: $vgpr5_vgpr6
	s_and_saveexec_b64 s[10:11], s[6:7]
	s_xor_b64 s[6:7], exec, s[10:11]
                                        ; implicit-def: $vgpr7_vgpr8
	s_cbranch_execz .LBB127_199
; %bb.198:
	v_div_scale_f64 v[5:6], s[10:11], v[3:4], v[3:4], v[1:2]
	v_rcp_f64_e32 v[7:8], v[5:6]
	v_fma_f64 v[9:10], -v[5:6], v[7:8], 1.0
	v_fma_f64 v[7:8], v[7:8], v[9:10], v[7:8]
	v_div_scale_f64 v[9:10], vcc, v[1:2], v[3:4], v[1:2]
	v_fma_f64 v[18:19], -v[5:6], v[7:8], 1.0
	v_fma_f64 v[7:8], v[7:8], v[18:19], v[7:8]
	v_mul_f64 v[18:19], v[9:10], v[7:8]
	v_fma_f64 v[5:6], -v[5:6], v[18:19], v[9:10]
	v_div_fmas_f64 v[5:6], v[5:6], v[7:8], v[18:19]
	v_div_fixup_f64 v[5:6], v[5:6], v[3:4], v[1:2]
	v_fma_f64 v[1:2], v[1:2], v[5:6], v[3:4]
	v_div_scale_f64 v[3:4], s[10:11], v[1:2], v[1:2], 1.0
	v_div_scale_f64 v[18:19], vcc, 1.0, v[1:2], 1.0
	v_rcp_f64_e32 v[7:8], v[3:4]
	v_fma_f64 v[9:10], -v[3:4], v[7:8], 1.0
	v_fma_f64 v[7:8], v[7:8], v[9:10], v[7:8]
	v_fma_f64 v[9:10], -v[3:4], v[7:8], 1.0
	v_fma_f64 v[7:8], v[7:8], v[9:10], v[7:8]
	v_mul_f64 v[9:10], v[18:19], v[7:8]
	v_fma_f64 v[3:4], -v[3:4], v[9:10], v[18:19]
	v_div_fmas_f64 v[3:4], v[3:4], v[7:8], v[9:10]
	v_div_fixup_f64 v[7:8], v[3:4], v[1:2], 1.0
                                        ; implicit-def: $vgpr1_vgpr2
	v_mul_f64 v[5:6], v[5:6], v[7:8]
	v_xor_b32_e32 v8, 0x80000000, v8
.LBB127_199:
	s_andn2_saveexec_b64 s[6:7], s[6:7]
	s_cbranch_execz .LBB127_201
; %bb.200:
	v_div_scale_f64 v[5:6], s[10:11], v[1:2], v[1:2], v[3:4]
	v_rcp_f64_e32 v[7:8], v[5:6]
	v_fma_f64 v[9:10], -v[5:6], v[7:8], 1.0
	v_fma_f64 v[7:8], v[7:8], v[9:10], v[7:8]
	v_div_scale_f64 v[9:10], vcc, v[3:4], v[1:2], v[3:4]
	v_fma_f64 v[18:19], -v[5:6], v[7:8], 1.0
	v_fma_f64 v[7:8], v[7:8], v[18:19], v[7:8]
	v_mul_f64 v[18:19], v[9:10], v[7:8]
	v_fma_f64 v[5:6], -v[5:6], v[18:19], v[9:10]
	v_div_fmas_f64 v[5:6], v[5:6], v[7:8], v[18:19]
	v_div_fixup_f64 v[7:8], v[5:6], v[1:2], v[3:4]
	v_fma_f64 v[1:2], v[3:4], v[7:8], v[1:2]
	v_div_scale_f64 v[3:4], s[10:11], v[1:2], v[1:2], 1.0
	v_div_scale_f64 v[18:19], vcc, 1.0, v[1:2], 1.0
	v_rcp_f64_e32 v[5:6], v[3:4]
	v_fma_f64 v[9:10], -v[3:4], v[5:6], 1.0
	v_fma_f64 v[5:6], v[5:6], v[9:10], v[5:6]
	v_fma_f64 v[9:10], -v[3:4], v[5:6], 1.0
	v_fma_f64 v[5:6], v[5:6], v[9:10], v[5:6]
	v_mul_f64 v[9:10], v[18:19], v[5:6]
	v_fma_f64 v[3:4], -v[3:4], v[9:10], v[18:19]
	v_div_fmas_f64 v[3:4], v[3:4], v[5:6], v[9:10]
	v_div_fixup_f64 v[5:6], v[3:4], v[1:2], 1.0
	v_mul_f64 v[7:8], v[7:8], -v[5:6]
.LBB127_201:
	s_or_b64 exec, exec, s[6:7]
	ds_write2_b64 v11, v[5:6], v[7:8] offset1:1
.LBB127_202:
	s_or_b64 exec, exec, s[8:9]
	s_waitcnt lgkmcnt(0)
	s_barrier
	ds_read2_b64 v[1:4], v11 offset1:1
	v_cmp_lt_u32_e32 vcc, 15, v0
	s_waitcnt lgkmcnt(0)
	buffer_store_dword v1, off, s[0:3], 0 offset:1712 ; 4-byte Folded Spill
	s_nop 0
	buffer_store_dword v2, off, s[0:3], 0 offset:1716 ; 4-byte Folded Spill
	buffer_store_dword v3, off, s[0:3], 0 offset:1720 ; 4-byte Folded Spill
	;; [unrolled: 1-line block ×3, first 2 shown]
	s_and_saveexec_b64 s[6:7], vcc
	s_cbranch_execz .LBB127_205
; %bb.203:
	buffer_load_dword v1, off, s[0:3], 0 offset:248
	buffer_load_dword v2, off, s[0:3], 0 offset:252
	;; [unrolled: 1-line block ×4, first 2 shown]
	buffer_load_dword v7, off, s[0:3], 0 offset:1712 ; 4-byte Folded Reload
	buffer_load_dword v8, off, s[0:3], 0 offset:1716 ; 4-byte Folded Reload
	;; [unrolled: 1-line block ×4, first 2 shown]
	s_movk_i32 s8, 0x100
	s_waitcnt vmcnt(0)
	v_mul_f64 v[5:6], v[9:10], v[1:2]
	v_mul_f64 v[1:2], v[7:8], v[1:2]
	v_fma_f64 v[5:6], v[7:8], v[3:4], -v[5:6]
	v_fma_f64 v[1:2], v[9:10], v[3:4], v[1:2]
	buffer_store_dword v5, off, s[0:3], 0 offset:240
	buffer_store_dword v6, off, s[0:3], 0 offset:244
	;; [unrolled: 1-line block ×4, first 2 shown]
.LBB127_204:                            ; =>This Inner Loop Header: Depth=1
	buffer_load_dword v7, off, s[0:3], 0 offset:248
	buffer_load_dword v8, off, s[0:3], 0 offset:252
	;; [unrolled: 1-line block ×4, first 2 shown]
	v_mov_b32_e32 v1, s8
	buffer_load_dword v18, v1, s[0:3], 0 offen
	buffer_load_dword v19, v1, s[0:3], 0 offen offset:4
	buffer_load_dword v20, v1, s[0:3], 0 offen offset:8
	;; [unrolled: 1-line block ×3, first 2 shown]
	v_add_u32_e32 v2, s8, v12
	ds_read2_b64 v[3:6], v2 offset1:1
	buffer_load_dword v22, v1, s[0:3], 0 offen offset:16
	buffer_load_dword v23, v1, s[0:3], 0 offen offset:20
	;; [unrolled: 1-line block ×3, first 2 shown]
	s_addk_i32 s8, 0x60
	s_cmpk_lg_i32 s8, 0x400
	s_waitcnt vmcnt(9) lgkmcnt(0)
	v_mul_f64 v[25:26], v[5:6], v[7:8]
	v_mul_f64 v[7:8], v[3:4], v[7:8]
	s_waitcnt vmcnt(7)
	v_fma_f64 v[3:4], v[3:4], v[9:10], -v[25:26]
	v_fma_f64 v[5:6], v[5:6], v[9:10], v[7:8]
	s_waitcnt vmcnt(5)
	v_add_f64 v[3:4], v[18:19], -v[3:4]
	s_waitcnt vmcnt(3)
	v_add_f64 v[5:6], v[20:21], -v[5:6]
	buffer_store_dword v4, v1, s[0:3], 0 offen offset:4
	buffer_store_dword v3, v1, s[0:3], 0 offen
	buffer_store_dword v6, v1, s[0:3], 0 offen offset:12
	buffer_store_dword v5, v1, s[0:3], 0 offen offset:8
	buffer_load_dword v8, off, s[0:3], 0 offset:252
	buffer_load_dword v7, off, s[0:3], 0 offset:248
	;; [unrolled: 1-line block ×4, first 2 shown]
	buffer_load_dword v25, v1, s[0:3], 0 offen offset:28
	ds_read2_b64 v[3:6], v2 offset0:2 offset1:3
	buffer_load_dword v18, v1, s[0:3], 0 offen offset:32
	buffer_load_dword v19, v1, s[0:3], 0 offen offset:36
	;; [unrolled: 1-line block ×3, first 2 shown]
	s_waitcnt vmcnt(6) lgkmcnt(0)
	v_mul_f64 v[26:27], v[5:6], v[7:8]
	v_mul_f64 v[7:8], v[3:4], v[7:8]
	s_waitcnt vmcnt(4)
	v_fma_f64 v[3:4], v[3:4], v[9:10], -v[26:27]
	v_fma_f64 v[5:6], v[5:6], v[9:10], v[7:8]
	v_add_f64 v[3:4], v[22:23], -v[3:4]
	s_waitcnt vmcnt(3)
	v_add_f64 v[5:6], v[24:25], -v[5:6]
	buffer_store_dword v4, v1, s[0:3], 0 offen offset:20
	buffer_store_dword v3, v1, s[0:3], 0 offen offset:16
	;; [unrolled: 1-line block ×4, first 2 shown]
	buffer_load_dword v7, off, s[0:3], 0 offset:248
	buffer_load_dword v8, off, s[0:3], 0 offset:252
	;; [unrolled: 1-line block ×4, first 2 shown]
	buffer_load_dword v21, v1, s[0:3], 0 offen offset:44
	ds_read2_b64 v[3:6], v2 offset0:4 offset1:5
	buffer_load_dword v22, v1, s[0:3], 0 offen offset:48
	buffer_load_dword v23, v1, s[0:3], 0 offen offset:52
	;; [unrolled: 1-line block ×3, first 2 shown]
	s_waitcnt vmcnt(6) lgkmcnt(0)
	v_mul_f64 v[25:26], v[5:6], v[7:8]
	v_mul_f64 v[7:8], v[3:4], v[7:8]
	s_waitcnt vmcnt(4)
	v_fma_f64 v[3:4], v[3:4], v[9:10], -v[25:26]
	v_fma_f64 v[5:6], v[5:6], v[9:10], v[7:8]
	v_add_f64 v[3:4], v[18:19], -v[3:4]
	s_waitcnt vmcnt(3)
	v_add_f64 v[5:6], v[20:21], -v[5:6]
	buffer_store_dword v4, v1, s[0:3], 0 offen offset:36
	buffer_store_dword v3, v1, s[0:3], 0 offen offset:32
	;; [unrolled: 1-line block ×4, first 2 shown]
	buffer_load_dword v7, off, s[0:3], 0 offset:248
	buffer_load_dword v8, off, s[0:3], 0 offset:252
	;; [unrolled: 1-line block ×4, first 2 shown]
	buffer_load_dword v25, v1, s[0:3], 0 offen offset:60
	ds_read2_b64 v[3:6], v2 offset0:6 offset1:7
	buffer_load_dword v18, v1, s[0:3], 0 offen offset:64
	s_waitcnt vmcnt(4) lgkmcnt(0)
	v_mul_f64 v[19:20], v[5:6], v[7:8]
	v_mul_f64 v[7:8], v[3:4], v[7:8]
	s_waitcnt vmcnt(2)
	v_fma_f64 v[3:4], v[3:4], v[9:10], -v[19:20]
	v_fma_f64 v[5:6], v[5:6], v[9:10], v[7:8]
	v_add_f64 v[3:4], v[22:23], -v[3:4]
	s_waitcnt vmcnt(1)
	v_add_f64 v[5:6], v[24:25], -v[5:6]
	buffer_store_dword v4, v1, s[0:3], 0 offen offset:52
	buffer_store_dword v3, v1, s[0:3], 0 offen offset:48
	;; [unrolled: 1-line block ×4, first 2 shown]
	buffer_load_dword v7, off, s[0:3], 0 offset:248
	buffer_load_dword v8, off, s[0:3], 0 offset:252
	;; [unrolled: 1-line block ×4, first 2 shown]
	buffer_load_dword v19, v1, s[0:3], 0 offen offset:68
	buffer_load_dword v20, v1, s[0:3], 0 offen offset:72
	;; [unrolled: 1-line block ×3, first 2 shown]
	ds_read2_b64 v[3:6], v2 offset0:8 offset1:9
	s_waitcnt vmcnt(5) lgkmcnt(0)
	v_mul_f64 v[22:23], v[5:6], v[7:8]
	v_mul_f64 v[7:8], v[3:4], v[7:8]
	s_waitcnt vmcnt(3)
	v_fma_f64 v[3:4], v[3:4], v[9:10], -v[22:23]
	v_fma_f64 v[5:6], v[5:6], v[9:10], v[7:8]
	s_waitcnt vmcnt(2)
	v_add_f64 v[3:4], v[18:19], -v[3:4]
	s_waitcnt vmcnt(0)
	v_add_f64 v[5:6], v[20:21], -v[5:6]
	buffer_store_dword v4, v1, s[0:3], 0 offen offset:68
	buffer_store_dword v3, v1, s[0:3], 0 offen offset:64
	;; [unrolled: 1-line block ×4, first 2 shown]
	buffer_load_dword v6, off, s[0:3], 0 offset:248
	s_nop 0
	buffer_load_dword v7, off, s[0:3], 0 offset:252
	buffer_load_dword v8, off, s[0:3], 0 offset:240
	;; [unrolled: 1-line block ×3, first 2 shown]
	buffer_load_dword v18, v1, s[0:3], 0 offen offset:80
	buffer_load_dword v19, v1, s[0:3], 0 offen offset:84
	;; [unrolled: 1-line block ×4, first 2 shown]
	ds_read2_b64 v[2:5], v2 offset0:10 offset1:11
	s_waitcnt vmcnt(6) lgkmcnt(0)
	v_mul_f64 v[22:23], v[4:5], v[6:7]
	v_mul_f64 v[6:7], v[2:3], v[6:7]
	s_waitcnt vmcnt(4)
	v_fma_f64 v[2:3], v[2:3], v[8:9], -v[22:23]
	v_fma_f64 v[4:5], v[4:5], v[8:9], v[6:7]
	s_waitcnt vmcnt(2)
	v_add_f64 v[2:3], v[18:19], -v[2:3]
	s_waitcnt vmcnt(0)
	v_add_f64 v[4:5], v[20:21], -v[4:5]
	buffer_store_dword v3, v1, s[0:3], 0 offen offset:84
	buffer_store_dword v2, v1, s[0:3], 0 offen offset:80
	;; [unrolled: 1-line block ×4, first 2 shown]
	s_cbranch_scc1 .LBB127_204
.LBB127_205:
	s_or_b64 exec, exec, s[6:7]
	v_cmp_eq_u32_e32 vcc, 16, v0
	s_waitcnt vmcnt(0)
	s_barrier
	s_and_saveexec_b64 s[8:9], vcc
	s_cbranch_execz .LBB127_216
; %bb.206:
	v_mov_b32_e32 v4, s90
	buffer_load_dword v1, v4, s[0:3], 0 offen
	buffer_load_dword v2, v4, s[0:3], 0 offen offset:4
	buffer_load_dword v3, v4, s[0:3], 0 offen offset:8
	s_nop 0
	buffer_load_dword v4, v4, s[0:3], 0 offen offset:12
	s_movk_i32 s10, 0x110
	s_waitcnt vmcnt(0)
	ds_write2_b64 v11, v[1:2], v[3:4] offset1:1
	s_branch .LBB127_208
.LBB127_207:                            ;   in Loop: Header=BB127_208 Depth=1
	s_andn2_b64 vcc, exec, s[6:7]
	s_cbranch_vccz .LBB127_210
.LBB127_208:                            ; =>This Inner Loop Header: Depth=1
	v_mov_b32_e32 v10, s10
	buffer_load_dword v2, v10, s[0:3], 0 offen
	buffer_load_dword v3, v10, s[0:3], 0 offen offset:4
	buffer_load_dword v4, v10, s[0:3], 0 offen offset:8
	;; [unrolled: 1-line block ×15, first 2 shown]
	v_add_u32_e32 v1, s10, v12
	s_mov_b32 s11, s10
	s_mov_b64 s[6:7], -1
	s_cmpk_eq_i32 s10, 0x390
	s_waitcnt vmcnt(12)
	ds_write2_b64 v1, v[2:3], v[4:5] offset1:1
	s_waitcnt vmcnt(8)
	ds_write2_b64 v1, v[6:7], v[8:9] offset0:2 offset1:3
	s_waitcnt vmcnt(4)
	ds_write2_b64 v1, v[18:19], v[20:21] offset0:4 offset1:5
	;; [unrolled: 2-line block ×3, first 2 shown]
	buffer_load_dword v3, v10, s[0:3], 0 offen offset:76
	buffer_load_dword v2, v10, s[0:3], 0 offen offset:72
	buffer_load_dword v5, v10, s[0:3], 0 offen offset:68
	buffer_load_dword v4, v10, s[0:3], 0 offen offset:64
	s_waitcnt vmcnt(0)
	ds_write2_b64 v1, v[4:5], v[2:3] offset0:8 offset1:9
	buffer_load_dword v3, v10, s[0:3], 0 offen offset:92
	buffer_load_dword v2, v10, s[0:3], 0 offen offset:88
	buffer_load_dword v5, v10, s[0:3], 0 offen offset:84
	buffer_load_dword v4, v10, s[0:3], 0 offen offset:80
	s_waitcnt vmcnt(0)
	ds_write2_b64 v1, v[4:5], v[2:3] offset0:10 offset1:11
	;; [unrolled: 6-line block ×3, first 2 shown]
	s_cbranch_scc1 .LBB127_207
; %bb.209:                              ;   in Loop: Header=BB127_208 Depth=1
	v_mov_b32_e32 v5, s11
	buffer_load_dword v2, v5, s[0:3], 0 offen offset:112
	buffer_load_dword v3, v5, s[0:3], 0 offen offset:116
	;; [unrolled: 1-line block ×3, first 2 shown]
	s_nop 0
	buffer_load_dword v5, v5, s[0:3], 0 offen offset:124
	s_addk_i32 s10, 0x80
	s_mov_b64 s[6:7], 0
	s_waitcnt vmcnt(0)
	ds_write2_b64 v1, v[2:3], v[4:5] offset0:14 offset1:15
	s_branch .LBB127_207
.LBB127_210:
	ds_read2_b64 v[1:4], v11 offset1:1
	s_waitcnt lgkmcnt(0)
	v_cmp_neq_f64_e32 vcc, 0, v[1:2]
	v_cmp_neq_f64_e64 s[6:7], 0, v[3:4]
	s_or_b64 s[6:7], vcc, s[6:7]
	s_and_b64 exec, exec, s[6:7]
	s_cbranch_execz .LBB127_216
; %bb.211:
	v_cmp_ngt_f64_e64 s[6:7], |v[1:2]|, |v[3:4]|
                                        ; implicit-def: $vgpr5_vgpr6
	s_and_saveexec_b64 s[10:11], s[6:7]
	s_xor_b64 s[6:7], exec, s[10:11]
                                        ; implicit-def: $vgpr7_vgpr8
	s_cbranch_execz .LBB127_213
; %bb.212:
	v_div_scale_f64 v[5:6], s[10:11], v[3:4], v[3:4], v[1:2]
	v_rcp_f64_e32 v[7:8], v[5:6]
	v_fma_f64 v[9:10], -v[5:6], v[7:8], 1.0
	v_fma_f64 v[7:8], v[7:8], v[9:10], v[7:8]
	v_div_scale_f64 v[9:10], vcc, v[1:2], v[3:4], v[1:2]
	v_fma_f64 v[18:19], -v[5:6], v[7:8], 1.0
	v_fma_f64 v[7:8], v[7:8], v[18:19], v[7:8]
	v_mul_f64 v[18:19], v[9:10], v[7:8]
	v_fma_f64 v[5:6], -v[5:6], v[18:19], v[9:10]
	v_div_fmas_f64 v[5:6], v[5:6], v[7:8], v[18:19]
	v_div_fixup_f64 v[5:6], v[5:6], v[3:4], v[1:2]
	v_fma_f64 v[1:2], v[1:2], v[5:6], v[3:4]
	v_div_scale_f64 v[3:4], s[10:11], v[1:2], v[1:2], 1.0
	v_div_scale_f64 v[18:19], vcc, 1.0, v[1:2], 1.0
	v_rcp_f64_e32 v[7:8], v[3:4]
	v_fma_f64 v[9:10], -v[3:4], v[7:8], 1.0
	v_fma_f64 v[7:8], v[7:8], v[9:10], v[7:8]
	v_fma_f64 v[9:10], -v[3:4], v[7:8], 1.0
	v_fma_f64 v[7:8], v[7:8], v[9:10], v[7:8]
	v_mul_f64 v[9:10], v[18:19], v[7:8]
	v_fma_f64 v[3:4], -v[3:4], v[9:10], v[18:19]
	v_div_fmas_f64 v[3:4], v[3:4], v[7:8], v[9:10]
	v_div_fixup_f64 v[7:8], v[3:4], v[1:2], 1.0
                                        ; implicit-def: $vgpr1_vgpr2
	v_mul_f64 v[5:6], v[5:6], v[7:8]
	v_xor_b32_e32 v8, 0x80000000, v8
.LBB127_213:
	s_andn2_saveexec_b64 s[6:7], s[6:7]
	s_cbranch_execz .LBB127_215
; %bb.214:
	v_div_scale_f64 v[5:6], s[10:11], v[1:2], v[1:2], v[3:4]
	v_rcp_f64_e32 v[7:8], v[5:6]
	v_fma_f64 v[9:10], -v[5:6], v[7:8], 1.0
	v_fma_f64 v[7:8], v[7:8], v[9:10], v[7:8]
	v_div_scale_f64 v[9:10], vcc, v[3:4], v[1:2], v[3:4]
	v_fma_f64 v[18:19], -v[5:6], v[7:8], 1.0
	v_fma_f64 v[7:8], v[7:8], v[18:19], v[7:8]
	v_mul_f64 v[18:19], v[9:10], v[7:8]
	v_fma_f64 v[5:6], -v[5:6], v[18:19], v[9:10]
	v_div_fmas_f64 v[5:6], v[5:6], v[7:8], v[18:19]
	v_div_fixup_f64 v[7:8], v[5:6], v[1:2], v[3:4]
	v_fma_f64 v[1:2], v[3:4], v[7:8], v[1:2]
	v_div_scale_f64 v[3:4], s[10:11], v[1:2], v[1:2], 1.0
	v_div_scale_f64 v[18:19], vcc, 1.0, v[1:2], 1.0
	v_rcp_f64_e32 v[5:6], v[3:4]
	v_fma_f64 v[9:10], -v[3:4], v[5:6], 1.0
	v_fma_f64 v[5:6], v[5:6], v[9:10], v[5:6]
	v_fma_f64 v[9:10], -v[3:4], v[5:6], 1.0
	v_fma_f64 v[5:6], v[5:6], v[9:10], v[5:6]
	v_mul_f64 v[9:10], v[18:19], v[5:6]
	v_fma_f64 v[3:4], -v[3:4], v[9:10], v[18:19]
	v_div_fmas_f64 v[3:4], v[3:4], v[5:6], v[9:10]
	v_div_fixup_f64 v[5:6], v[3:4], v[1:2], 1.0
	v_mul_f64 v[7:8], v[7:8], -v[5:6]
.LBB127_215:
	s_or_b64 exec, exec, s[6:7]
	ds_write2_b64 v11, v[5:6], v[7:8] offset1:1
.LBB127_216:
	s_or_b64 exec, exec, s[8:9]
	s_waitcnt lgkmcnt(0)
	s_barrier
	ds_read2_b64 v[24:27], v11 offset1:1
	v_cmp_lt_u32_e32 vcc, 16, v0
	s_and_saveexec_b64 s[6:7], vcc
	s_cbranch_execz .LBB127_221
; %bb.217:
	buffer_load_dword v1, off, s[0:3], 0 offset:264
	buffer_load_dword v2, off, s[0:3], 0 offset:268
	;; [unrolled: 1-line block ×4, first 2 shown]
	s_movk_i32 s10, 0x110
	s_waitcnt vmcnt(2) lgkmcnt(0)
	v_mul_f64 v[5:6], v[26:27], v[1:2]
	v_mul_f64 v[7:8], v[24:25], v[1:2]
	s_waitcnt vmcnt(0)
	v_fma_f64 v[1:2], v[24:25], v[3:4], -v[5:6]
	v_fma_f64 v[3:4], v[26:27], v[3:4], v[7:8]
	buffer_store_dword v1, off, s[0:3], 0 offset:256
	buffer_store_dword v2, off, s[0:3], 0 offset:260
	;; [unrolled: 1-line block ×4, first 2 shown]
	s_branch .LBB127_219
.LBB127_218:                            ;   in Loop: Header=BB127_219 Depth=1
	s_andn2_b64 vcc, exec, s[8:9]
	s_cbranch_vccz .LBB127_221
.LBB127_219:                            ; =>This Inner Loop Header: Depth=1
	v_mov_b32_e32 v10, s10
	buffer_load_dword v18, v10, s[0:3], 0 offen
	buffer_load_dword v19, v10, s[0:3], 0 offen offset:4
	buffer_load_dword v20, v10, s[0:3], 0 offen offset:8
	;; [unrolled: 1-line block ×3, first 2 shown]
	v_add_u32_e32 v5, s10, v12
	ds_read2_b64 v[6:9], v5 offset1:1
	s_mov_b32 s11, s10
	s_cmpk_eq_i32 s10, 0x3d0
	s_mov_b64 s[8:9], -1
	s_waitcnt vmcnt(4) lgkmcnt(0)
	v_mul_f64 v[22:23], v[8:9], v[3:4]
	v_mul_f64 v[3:4], v[6:7], v[3:4]
	v_fma_f64 v[6:7], v[6:7], v[1:2], -v[22:23]
	v_fma_f64 v[1:2], v[8:9], v[1:2], v[3:4]
	s_waitcnt vmcnt(2)
	v_add_f64 v[3:4], v[18:19], -v[6:7]
	s_waitcnt vmcnt(0)
	v_add_f64 v[1:2], v[20:21], -v[1:2]
	buffer_store_dword v4, v10, s[0:3], 0 offen offset:4
	buffer_store_dword v3, v10, s[0:3], 0 offen
	buffer_store_dword v2, v10, s[0:3], 0 offen offset:12
	buffer_store_dword v1, v10, s[0:3], 0 offen offset:8
	buffer_load_dword v7, off, s[0:3], 0 offset:268
	buffer_load_dword v6, off, s[0:3], 0 offset:264
	;; [unrolled: 1-line block ×4, first 2 shown]
	buffer_load_dword v19, v10, s[0:3], 0 offen offset:20
	buffer_load_dword v18, v10, s[0:3], 0 offen offset:16
	;; [unrolled: 1-line block ×4, first 2 shown]
	ds_read2_b64 v[1:4], v5 offset0:2 offset1:3
	s_waitcnt vmcnt(6) lgkmcnt(0)
	v_mul_f64 v[22:23], v[3:4], v[6:7]
	v_mul_f64 v[6:7], v[1:2], v[6:7]
	s_waitcnt vmcnt(4)
	v_fma_f64 v[1:2], v[1:2], v[8:9], -v[22:23]
	v_fma_f64 v[3:4], v[3:4], v[8:9], v[6:7]
	s_waitcnt vmcnt(2)
	v_add_f64 v[1:2], v[18:19], -v[1:2]
	s_waitcnt vmcnt(0)
	v_add_f64 v[3:4], v[20:21], -v[3:4]
	buffer_store_dword v2, v10, s[0:3], 0 offen offset:20
	buffer_store_dword v1, v10, s[0:3], 0 offen offset:16
	;; [unrolled: 1-line block ×4, first 2 shown]
	buffer_load_dword v6, off, s[0:3], 0 offset:264
	buffer_load_dword v7, off, s[0:3], 0 offset:268
	;; [unrolled: 1-line block ×4, first 2 shown]
	buffer_load_dword v19, v10, s[0:3], 0 offen offset:36
	buffer_load_dword v18, v10, s[0:3], 0 offen offset:32
	;; [unrolled: 1-line block ×4, first 2 shown]
	ds_read2_b64 v[1:4], v5 offset0:4 offset1:5
	s_waitcnt vmcnt(6) lgkmcnt(0)
	v_mul_f64 v[22:23], v[3:4], v[6:7]
	v_mul_f64 v[6:7], v[1:2], v[6:7]
	s_waitcnt vmcnt(4)
	v_fma_f64 v[1:2], v[1:2], v[8:9], -v[22:23]
	v_fma_f64 v[3:4], v[3:4], v[8:9], v[6:7]
	s_waitcnt vmcnt(2)
	v_add_f64 v[1:2], v[18:19], -v[1:2]
	s_waitcnt vmcnt(0)
	v_add_f64 v[3:4], v[20:21], -v[3:4]
	buffer_store_dword v2, v10, s[0:3], 0 offen offset:36
	buffer_store_dword v1, v10, s[0:3], 0 offen offset:32
	;; [unrolled: 1-line block ×4, first 2 shown]
                                        ; implicit-def: $vgpr1_vgpr2
                                        ; implicit-def: $vgpr3_vgpr4
	s_cbranch_scc1 .LBB127_218
; %bb.220:                              ;   in Loop: Header=BB127_219 Depth=1
	ds_read2_b64 v[1:4], v5 offset0:6 offset1:7
	buffer_load_dword v5, off, s[0:3], 0 offset:256
	buffer_load_dword v6, off, s[0:3], 0 offset:260
	buffer_load_dword v7, off, s[0:3], 0 offset:264
	buffer_load_dword v8, off, s[0:3], 0 offset:268
	s_add_i32 s10, s10, 64
	s_mov_b64 s[8:9], 0
	s_waitcnt vmcnt(0) lgkmcnt(0)
	v_mul_f64 v[9:10], v[3:4], v[7:8]
	v_fma_f64 v[9:10], v[1:2], v[5:6], -v[9:10]
	v_mul_f64 v[1:2], v[1:2], v[7:8]
	v_mov_b32_e32 v7, s11
	v_fma_f64 v[1:2], v[3:4], v[5:6], v[1:2]
	buffer_load_dword v3, v7, s[0:3], 0 offen offset:48
	buffer_load_dword v4, v7, s[0:3], 0 offen offset:52
	;; [unrolled: 1-line block ×4, first 2 shown]
	s_waitcnt vmcnt(2)
	v_add_f64 v[3:4], v[3:4], -v[9:10]
	s_waitcnt vmcnt(0)
	v_add_f64 v[1:2], v[5:6], -v[1:2]
	buffer_store_dword v4, v7, s[0:3], 0 offen offset:52
	buffer_store_dword v3, v7, s[0:3], 0 offen offset:48
	;; [unrolled: 1-line block ×4, first 2 shown]
	buffer_load_dword v2, off, s[0:3], 0 offset:260
	s_nop 0
	buffer_load_dword v1, off, s[0:3], 0 offset:256
	buffer_load_dword v4, off, s[0:3], 0 offset:268
	;; [unrolled: 1-line block ×3, first 2 shown]
	s_branch .LBB127_218
.LBB127_221:
	s_or_b64 exec, exec, s[6:7]
	v_cmp_eq_u32_e32 vcc, 17, v0
	s_waitcnt vmcnt(0) lgkmcnt(0)
	s_barrier
	s_and_saveexec_b64 s[8:9], vcc
	s_cbranch_execz .LBB127_230
; %bb.222:
	v_mov_b32_e32 v4, s89
	buffer_load_dword v1, v4, s[0:3], 0 offen
	buffer_load_dword v2, v4, s[0:3], 0 offen offset:4
	buffer_load_dword v3, v4, s[0:3], 0 offen offset:8
	s_nop 0
	buffer_load_dword v4, v4, s[0:3], 0 offen offset:12
	s_movk_i32 s6, 0x120
	s_waitcnt vmcnt(0)
	ds_write2_b64 v11, v[1:2], v[3:4] offset1:1
.LBB127_223:                            ; =>This Inner Loop Header: Depth=1
	v_mov_b32_e32 v8, s6
	buffer_load_dword v1, v8, s[0:3], 0 offen
	buffer_load_dword v2, v8, s[0:3], 0 offen offset:4
	buffer_load_dword v3, v8, s[0:3], 0 offen offset:8
	;; [unrolled: 1-line block ×6, first 2 shown]
	s_nop 0
	buffer_load_dword v8, v8, s[0:3], 0 offen offset:28
	v_add_u32_e32 v9, s6, v12
	s_add_i32 s6, s6, 32
	s_cmpk_lg_i32 s6, 0x400
	s_waitcnt vmcnt(4)
	ds_write2_b64 v9, v[1:2], v[3:4] offset1:1
	s_waitcnt vmcnt(0)
	ds_write2_b64 v9, v[5:6], v[7:8] offset0:2 offset1:3
	s_cbranch_scc1 .LBB127_223
; %bb.224:
	ds_read2_b64 v[1:4], v11 offset1:1
	s_waitcnt lgkmcnt(0)
	v_cmp_neq_f64_e32 vcc, 0, v[1:2]
	v_cmp_neq_f64_e64 s[6:7], 0, v[3:4]
	s_or_b64 s[6:7], vcc, s[6:7]
	s_and_b64 exec, exec, s[6:7]
	s_cbranch_execz .LBB127_230
; %bb.225:
	v_cmp_ngt_f64_e64 s[6:7], |v[1:2]|, |v[3:4]|
                                        ; implicit-def: $vgpr5_vgpr6
	s_and_saveexec_b64 s[10:11], s[6:7]
	s_xor_b64 s[6:7], exec, s[10:11]
                                        ; implicit-def: $vgpr7_vgpr8
	s_cbranch_execz .LBB127_227
; %bb.226:
	v_div_scale_f64 v[5:6], s[10:11], v[3:4], v[3:4], v[1:2]
	v_rcp_f64_e32 v[7:8], v[5:6]
	v_fma_f64 v[9:10], -v[5:6], v[7:8], 1.0
	v_fma_f64 v[7:8], v[7:8], v[9:10], v[7:8]
	v_div_scale_f64 v[9:10], vcc, v[1:2], v[3:4], v[1:2]
	v_fma_f64 v[18:19], -v[5:6], v[7:8], 1.0
	v_fma_f64 v[7:8], v[7:8], v[18:19], v[7:8]
	v_mul_f64 v[18:19], v[9:10], v[7:8]
	v_fma_f64 v[5:6], -v[5:6], v[18:19], v[9:10]
	v_div_fmas_f64 v[5:6], v[5:6], v[7:8], v[18:19]
	v_div_fixup_f64 v[5:6], v[5:6], v[3:4], v[1:2]
	v_fma_f64 v[1:2], v[1:2], v[5:6], v[3:4]
	v_div_scale_f64 v[3:4], s[10:11], v[1:2], v[1:2], 1.0
	v_div_scale_f64 v[18:19], vcc, 1.0, v[1:2], 1.0
	v_rcp_f64_e32 v[7:8], v[3:4]
	v_fma_f64 v[9:10], -v[3:4], v[7:8], 1.0
	v_fma_f64 v[7:8], v[7:8], v[9:10], v[7:8]
	v_fma_f64 v[9:10], -v[3:4], v[7:8], 1.0
	v_fma_f64 v[7:8], v[7:8], v[9:10], v[7:8]
	v_mul_f64 v[9:10], v[18:19], v[7:8]
	v_fma_f64 v[3:4], -v[3:4], v[9:10], v[18:19]
	v_div_fmas_f64 v[3:4], v[3:4], v[7:8], v[9:10]
	v_div_fixup_f64 v[7:8], v[3:4], v[1:2], 1.0
                                        ; implicit-def: $vgpr1_vgpr2
	v_mul_f64 v[5:6], v[5:6], v[7:8]
	v_xor_b32_e32 v8, 0x80000000, v8
.LBB127_227:
	s_andn2_saveexec_b64 s[6:7], s[6:7]
	s_cbranch_execz .LBB127_229
; %bb.228:
	v_div_scale_f64 v[5:6], s[10:11], v[1:2], v[1:2], v[3:4]
	v_rcp_f64_e32 v[7:8], v[5:6]
	v_fma_f64 v[9:10], -v[5:6], v[7:8], 1.0
	v_fma_f64 v[7:8], v[7:8], v[9:10], v[7:8]
	v_div_scale_f64 v[9:10], vcc, v[3:4], v[1:2], v[3:4]
	v_fma_f64 v[18:19], -v[5:6], v[7:8], 1.0
	v_fma_f64 v[7:8], v[7:8], v[18:19], v[7:8]
	v_mul_f64 v[18:19], v[9:10], v[7:8]
	v_fma_f64 v[5:6], -v[5:6], v[18:19], v[9:10]
	v_div_fmas_f64 v[5:6], v[5:6], v[7:8], v[18:19]
	v_div_fixup_f64 v[7:8], v[5:6], v[1:2], v[3:4]
	v_fma_f64 v[1:2], v[3:4], v[7:8], v[1:2]
	v_div_scale_f64 v[3:4], s[10:11], v[1:2], v[1:2], 1.0
	v_div_scale_f64 v[18:19], vcc, 1.0, v[1:2], 1.0
	v_rcp_f64_e32 v[5:6], v[3:4]
	v_fma_f64 v[9:10], -v[3:4], v[5:6], 1.0
	v_fma_f64 v[5:6], v[5:6], v[9:10], v[5:6]
	v_fma_f64 v[9:10], -v[3:4], v[5:6], 1.0
	v_fma_f64 v[5:6], v[5:6], v[9:10], v[5:6]
	v_mul_f64 v[9:10], v[18:19], v[5:6]
	v_fma_f64 v[3:4], -v[3:4], v[9:10], v[18:19]
	v_div_fmas_f64 v[3:4], v[3:4], v[5:6], v[9:10]
	v_div_fixup_f64 v[5:6], v[3:4], v[1:2], 1.0
	v_mul_f64 v[7:8], v[7:8], -v[5:6]
.LBB127_229:
	s_or_b64 exec, exec, s[6:7]
	ds_write2_b64 v11, v[5:6], v[7:8] offset1:1
.LBB127_230:
	s_or_b64 exec, exec, s[8:9]
	s_waitcnt lgkmcnt(0)
	s_barrier
	ds_read2_b64 v[1:4], v11 offset1:1
	v_cmp_lt_u32_e32 vcc, 17, v0
	s_waitcnt lgkmcnt(0)
	buffer_store_dword v1, off, s[0:3], 0 offset:1728 ; 4-byte Folded Spill
	s_nop 0
	buffer_store_dword v2, off, s[0:3], 0 offset:1732 ; 4-byte Folded Spill
	buffer_store_dword v3, off, s[0:3], 0 offset:1736 ; 4-byte Folded Spill
	;; [unrolled: 1-line block ×3, first 2 shown]
	s_and_saveexec_b64 s[6:7], vcc
	s_cbranch_execz .LBB127_233
; %bb.231:
	buffer_load_dword v1, off, s[0:3], 0 offset:280
	buffer_load_dword v2, off, s[0:3], 0 offset:284
	;; [unrolled: 1-line block ×4, first 2 shown]
	buffer_load_dword v7, off, s[0:3], 0 offset:1728 ; 4-byte Folded Reload
	buffer_load_dword v8, off, s[0:3], 0 offset:1732 ; 4-byte Folded Reload
	;; [unrolled: 1-line block ×4, first 2 shown]
	s_movk_i32 s8, 0x120
	s_waitcnt vmcnt(0)
	v_mul_f64 v[5:6], v[9:10], v[1:2]
	v_mul_f64 v[1:2], v[7:8], v[1:2]
	v_fma_f64 v[5:6], v[7:8], v[3:4], -v[5:6]
	v_fma_f64 v[1:2], v[9:10], v[3:4], v[1:2]
	buffer_store_dword v5, off, s[0:3], 0 offset:272
	buffer_store_dword v6, off, s[0:3], 0 offset:276
	;; [unrolled: 1-line block ×4, first 2 shown]
.LBB127_232:                            ; =>This Inner Loop Header: Depth=1
	v_add_u32_e32 v13, s8, v12
	ds_read2_b64 v[1:4], v13 offset1:1
	buffer_load_dword v5, off, s[0:3], 0 offset:272
	buffer_load_dword v6, off, s[0:3], 0 offset:276
	;; [unrolled: 1-line block ×4, first 2 shown]
	v_mov_b32_e32 v14, s8
	s_add_i32 s8, s8, 32
	s_cmpk_lg_i32 s8, 0x400
	s_waitcnt vmcnt(0) lgkmcnt(0)
	v_mul_f64 v[9:10], v[3:4], v[7:8]
	v_fma_f64 v[9:10], v[1:2], v[5:6], -v[9:10]
	v_mul_f64 v[1:2], v[1:2], v[7:8]
	v_fma_f64 v[1:2], v[3:4], v[5:6], v[1:2]
	buffer_load_dword v3, v14, s[0:3], 0 offen
	buffer_load_dword v4, v14, s[0:3], 0 offen offset:4
	buffer_load_dword v5, v14, s[0:3], 0 offen offset:8
	;; [unrolled: 1-line block ×7, first 2 shown]
	s_waitcnt vmcnt(6)
	v_add_f64 v[3:4], v[3:4], -v[9:10]
	s_waitcnt vmcnt(4)
	v_add_f64 v[1:2], v[5:6], -v[1:2]
	buffer_store_dword v4, v14, s[0:3], 0 offen offset:4
	buffer_store_dword v3, v14, s[0:3], 0 offen
	buffer_store_dword v2, v14, s[0:3], 0 offen offset:12
	buffer_store_dword v1, v14, s[0:3], 0 offen offset:8
	ds_read2_b64 v[1:4], v13 offset0:2 offset1:3
	buffer_load_dword v6, off, s[0:3], 0 offset:276
	buffer_load_dword v5, off, s[0:3], 0 offset:272
	;; [unrolled: 1-line block ×4, first 2 shown]
	s_waitcnt vmcnt(0) lgkmcnt(0)
	v_mul_f64 v[20:21], v[3:4], v[9:10]
	v_fma_f64 v[20:21], v[1:2], v[5:6], -v[20:21]
	v_mul_f64 v[1:2], v[1:2], v[9:10]
	v_fma_f64 v[1:2], v[3:4], v[5:6], v[1:2]
	v_add_f64 v[3:4], v[7:8], -v[20:21]
	v_add_f64 v[1:2], v[18:19], -v[1:2]
	buffer_store_dword v4, v14, s[0:3], 0 offen offset:20
	buffer_store_dword v3, v14, s[0:3], 0 offen offset:16
	;; [unrolled: 1-line block ×4, first 2 shown]
	s_cbranch_scc1 .LBB127_232
.LBB127_233:
	s_or_b64 exec, exec, s[6:7]
	v_cmp_eq_u32_e32 vcc, 18, v0
	s_waitcnt vmcnt(0)
	s_barrier
	s_and_saveexec_b64 s[8:9], vcc
	s_cbranch_execz .LBB127_242
; %bb.234:
	v_mov_b32_e32 v4, s88
	buffer_load_dword v1, v4, s[0:3], 0 offen
	buffer_load_dword v2, v4, s[0:3], 0 offen offset:4
	buffer_load_dword v3, v4, s[0:3], 0 offen offset:8
	s_nop 0
	buffer_load_dword v4, v4, s[0:3], 0 offen offset:12
	s_movk_i32 s6, 0x130
	s_waitcnt vmcnt(0)
	ds_write2_b64 v11, v[1:2], v[3:4] offset1:1
.LBB127_235:                            ; =>This Inner Loop Header: Depth=1
	v_mov_b32_e32 v13, s6
	buffer_load_dword v1, v13, s[0:3], 0 offen
	buffer_load_dword v2, v13, s[0:3], 0 offen offset:4
	buffer_load_dword v3, v13, s[0:3], 0 offen offset:8
	buffer_load_dword v4, v13, s[0:3], 0 offen offset:12
	buffer_load_dword v5, v13, s[0:3], 0 offen offset:16
	buffer_load_dword v6, v13, s[0:3], 0 offen offset:20
	buffer_load_dword v7, v13, s[0:3], 0 offen offset:24
	buffer_load_dword v8, v13, s[0:3], 0 offen offset:28
	buffer_load_dword v9, v13, s[0:3], 0 offen offset:32
	buffer_load_dword v10, v13, s[0:3], 0 offen offset:36
	buffer_load_dword v18, v13, s[0:3], 0 offen offset:40
	buffer_load_dword v19, v13, s[0:3], 0 offen offset:44
	buffer_load_dword v20, v13, s[0:3], 0 offen offset:48
	buffer_load_dword v21, v13, s[0:3], 0 offen offset:52
	buffer_load_dword v22, v13, s[0:3], 0 offen offset:56
	buffer_load_dword v23, v13, s[0:3], 0 offen offset:60
	v_add_u32_e32 v14, s6, v12
	s_addk_i32 s6, 0xf0
	s_cmpk_lg_i32 s6, 0x400
	s_waitcnt vmcnt(12)
	ds_write2_b64 v14, v[1:2], v[3:4] offset1:1
	s_waitcnt vmcnt(8)
	ds_write2_b64 v14, v[5:6], v[7:8] offset0:2 offset1:3
	s_waitcnt vmcnt(4)
	ds_write2_b64 v14, v[9:10], v[18:19] offset0:4 offset1:5
	;; [unrolled: 2-line block ×3, first 2 shown]
	buffer_load_dword v2, v13, s[0:3], 0 offen offset:76
	buffer_load_dword v1, v13, s[0:3], 0 offen offset:72
	buffer_load_dword v4, v13, s[0:3], 0 offen offset:68
	buffer_load_dword v3, v13, s[0:3], 0 offen offset:64
	s_waitcnt vmcnt(0)
	ds_write2_b64 v14, v[3:4], v[1:2] offset0:8 offset1:9
	buffer_load_dword v2, v13, s[0:3], 0 offen offset:92
	buffer_load_dword v1, v13, s[0:3], 0 offen offset:88
	buffer_load_dword v4, v13, s[0:3], 0 offen offset:84
	buffer_load_dword v3, v13, s[0:3], 0 offen offset:80
	s_waitcnt vmcnt(0)
	ds_write2_b64 v14, v[3:4], v[1:2] offset0:10 offset1:11
	;; [unrolled: 6-line block ×11, first 2 shown]
	s_cbranch_scc1 .LBB127_235
; %bb.236:
	ds_read2_b64 v[1:4], v11 offset1:1
	s_waitcnt lgkmcnt(0)
	v_cmp_neq_f64_e32 vcc, 0, v[1:2]
	v_cmp_neq_f64_e64 s[6:7], 0, v[3:4]
	s_or_b64 s[6:7], vcc, s[6:7]
	s_and_b64 exec, exec, s[6:7]
	s_cbranch_execz .LBB127_242
; %bb.237:
	v_cmp_ngt_f64_e64 s[6:7], |v[1:2]|, |v[3:4]|
                                        ; implicit-def: $vgpr5_vgpr6
	s_and_saveexec_b64 s[10:11], s[6:7]
	s_xor_b64 s[6:7], exec, s[10:11]
                                        ; implicit-def: $vgpr7_vgpr8
	s_cbranch_execz .LBB127_239
; %bb.238:
	v_div_scale_f64 v[5:6], s[10:11], v[3:4], v[3:4], v[1:2]
	v_rcp_f64_e32 v[7:8], v[5:6]
	v_fma_f64 v[9:10], -v[5:6], v[7:8], 1.0
	v_fma_f64 v[7:8], v[7:8], v[9:10], v[7:8]
	v_div_scale_f64 v[9:10], vcc, v[1:2], v[3:4], v[1:2]
	v_fma_f64 v[18:19], -v[5:6], v[7:8], 1.0
	v_fma_f64 v[7:8], v[7:8], v[18:19], v[7:8]
	v_mul_f64 v[18:19], v[9:10], v[7:8]
	v_fma_f64 v[5:6], -v[5:6], v[18:19], v[9:10]
	v_div_fmas_f64 v[5:6], v[5:6], v[7:8], v[18:19]
	v_div_fixup_f64 v[5:6], v[5:6], v[3:4], v[1:2]
	v_fma_f64 v[1:2], v[1:2], v[5:6], v[3:4]
	v_div_scale_f64 v[3:4], s[10:11], v[1:2], v[1:2], 1.0
	v_div_scale_f64 v[18:19], vcc, 1.0, v[1:2], 1.0
	v_rcp_f64_e32 v[7:8], v[3:4]
	v_fma_f64 v[9:10], -v[3:4], v[7:8], 1.0
	v_fma_f64 v[7:8], v[7:8], v[9:10], v[7:8]
	v_fma_f64 v[9:10], -v[3:4], v[7:8], 1.0
	v_fma_f64 v[7:8], v[7:8], v[9:10], v[7:8]
	v_mul_f64 v[9:10], v[18:19], v[7:8]
	v_fma_f64 v[3:4], -v[3:4], v[9:10], v[18:19]
	v_div_fmas_f64 v[3:4], v[3:4], v[7:8], v[9:10]
	v_div_fixup_f64 v[7:8], v[3:4], v[1:2], 1.0
                                        ; implicit-def: $vgpr1_vgpr2
	v_mul_f64 v[5:6], v[5:6], v[7:8]
	v_xor_b32_e32 v8, 0x80000000, v8
.LBB127_239:
	s_andn2_saveexec_b64 s[6:7], s[6:7]
	s_cbranch_execz .LBB127_241
; %bb.240:
	v_div_scale_f64 v[5:6], s[10:11], v[1:2], v[1:2], v[3:4]
	v_rcp_f64_e32 v[7:8], v[5:6]
	v_fma_f64 v[9:10], -v[5:6], v[7:8], 1.0
	v_fma_f64 v[7:8], v[7:8], v[9:10], v[7:8]
	v_div_scale_f64 v[9:10], vcc, v[3:4], v[1:2], v[3:4]
	v_fma_f64 v[18:19], -v[5:6], v[7:8], 1.0
	v_fma_f64 v[7:8], v[7:8], v[18:19], v[7:8]
	v_mul_f64 v[18:19], v[9:10], v[7:8]
	v_fma_f64 v[5:6], -v[5:6], v[18:19], v[9:10]
	v_div_fmas_f64 v[5:6], v[5:6], v[7:8], v[18:19]
	v_div_fixup_f64 v[7:8], v[5:6], v[1:2], v[3:4]
	v_fma_f64 v[1:2], v[3:4], v[7:8], v[1:2]
	v_div_scale_f64 v[3:4], s[10:11], v[1:2], v[1:2], 1.0
	v_div_scale_f64 v[18:19], vcc, 1.0, v[1:2], 1.0
	v_rcp_f64_e32 v[5:6], v[3:4]
	v_fma_f64 v[9:10], -v[3:4], v[5:6], 1.0
	v_fma_f64 v[5:6], v[5:6], v[9:10], v[5:6]
	v_fma_f64 v[9:10], -v[3:4], v[5:6], 1.0
	v_fma_f64 v[5:6], v[5:6], v[9:10], v[5:6]
	v_mul_f64 v[9:10], v[18:19], v[5:6]
	v_fma_f64 v[3:4], -v[3:4], v[9:10], v[18:19]
	v_div_fmas_f64 v[3:4], v[3:4], v[5:6], v[9:10]
	v_div_fixup_f64 v[5:6], v[3:4], v[1:2], 1.0
	v_mul_f64 v[7:8], v[7:8], -v[5:6]
.LBB127_241:
	s_or_b64 exec, exec, s[6:7]
	ds_write2_b64 v11, v[5:6], v[7:8] offset1:1
.LBB127_242:
	s_or_b64 exec, exec, s[8:9]
	buffer_store_dword v24, off, s[0:3], 0 offset:2016 ; 4-byte Folded Spill
	s_nop 0
	buffer_store_dword v25, off, s[0:3], 0 offset:2020 ; 4-byte Folded Spill
	buffer_store_dword v26, off, s[0:3], 0 offset:2024 ; 4-byte Folded Spill
	;; [unrolled: 1-line block ×3, first 2 shown]
	s_waitcnt vmcnt(0) lgkmcnt(0)
	s_barrier
	ds_read2_b64 v[1:4], v11 offset1:1
	v_cmp_lt_u32_e32 vcc, 18, v0
	s_waitcnt lgkmcnt(0)
	buffer_store_dword v1, off, s[0:3], 0 offset:1744 ; 4-byte Folded Spill
	s_nop 0
	buffer_store_dword v2, off, s[0:3], 0 offset:1748 ; 4-byte Folded Spill
	buffer_store_dword v3, off, s[0:3], 0 offset:1752 ; 4-byte Folded Spill
	;; [unrolled: 1-line block ×3, first 2 shown]
	s_and_saveexec_b64 s[6:7], vcc
	s_cbranch_execz .LBB127_245
; %bb.243:
	buffer_load_dword v1, off, s[0:3], 0 offset:296
	buffer_load_dword v2, off, s[0:3], 0 offset:300
	;; [unrolled: 1-line block ×4, first 2 shown]
	buffer_load_dword v7, off, s[0:3], 0 offset:1744 ; 4-byte Folded Reload
	buffer_load_dword v8, off, s[0:3], 0 offset:1748 ; 4-byte Folded Reload
	;; [unrolled: 1-line block ×4, first 2 shown]
	s_movk_i32 s8, 0x130
	s_waitcnt vmcnt(0)
	v_mul_f64 v[5:6], v[9:10], v[1:2]
	v_mul_f64 v[1:2], v[7:8], v[1:2]
	v_fma_f64 v[5:6], v[7:8], v[3:4], -v[5:6]
	v_fma_f64 v[1:2], v[9:10], v[3:4], v[1:2]
	buffer_store_dword v5, off, s[0:3], 0 offset:288
	buffer_store_dword v6, off, s[0:3], 0 offset:292
	;; [unrolled: 1-line block ×4, first 2 shown]
.LBB127_244:                            ; =>This Inner Loop Header: Depth=1
	buffer_load_dword v7, off, s[0:3], 0 offset:296
	buffer_load_dword v8, off, s[0:3], 0 offset:300
	;; [unrolled: 1-line block ×4, first 2 shown]
	v_mov_b32_e32 v1, s8
	buffer_load_dword v18, v1, s[0:3], 0 offen
	buffer_load_dword v19, v1, s[0:3], 0 offen offset:4
	buffer_load_dword v20, v1, s[0:3], 0 offen offset:8
	;; [unrolled: 1-line block ×3, first 2 shown]
	v_add_u32_e32 v2, s8, v12
	ds_read2_b64 v[3:6], v2 offset1:1
	buffer_load_dword v22, v1, s[0:3], 0 offen offset:16
	buffer_load_dword v23, v1, s[0:3], 0 offen offset:20
	;; [unrolled: 1-line block ×3, first 2 shown]
	s_addk_i32 s8, 0x50
	s_cmpk_lg_i32 s8, 0x400
	s_waitcnt vmcnt(9) lgkmcnt(0)
	v_mul_f64 v[25:26], v[5:6], v[7:8]
	v_mul_f64 v[7:8], v[3:4], v[7:8]
	s_waitcnt vmcnt(7)
	v_fma_f64 v[3:4], v[3:4], v[9:10], -v[25:26]
	v_fma_f64 v[5:6], v[5:6], v[9:10], v[7:8]
	s_waitcnt vmcnt(5)
	v_add_f64 v[3:4], v[18:19], -v[3:4]
	s_waitcnt vmcnt(3)
	v_add_f64 v[5:6], v[20:21], -v[5:6]
	buffer_store_dword v4, v1, s[0:3], 0 offen offset:4
	buffer_store_dword v3, v1, s[0:3], 0 offen
	buffer_store_dword v6, v1, s[0:3], 0 offen offset:12
	buffer_store_dword v5, v1, s[0:3], 0 offen offset:8
	buffer_load_dword v8, off, s[0:3], 0 offset:300
	buffer_load_dword v7, off, s[0:3], 0 offset:296
	;; [unrolled: 1-line block ×4, first 2 shown]
	buffer_load_dword v25, v1, s[0:3], 0 offen offset:28
	ds_read2_b64 v[3:6], v2 offset0:2 offset1:3
	buffer_load_dword v18, v1, s[0:3], 0 offen offset:32
	buffer_load_dword v19, v1, s[0:3], 0 offen offset:36
	;; [unrolled: 1-line block ×3, first 2 shown]
	s_waitcnt vmcnt(6) lgkmcnt(0)
	v_mul_f64 v[26:27], v[5:6], v[7:8]
	v_mul_f64 v[7:8], v[3:4], v[7:8]
	s_waitcnt vmcnt(4)
	v_fma_f64 v[3:4], v[3:4], v[9:10], -v[26:27]
	v_fma_f64 v[5:6], v[5:6], v[9:10], v[7:8]
	v_add_f64 v[3:4], v[22:23], -v[3:4]
	s_waitcnt vmcnt(3)
	v_add_f64 v[5:6], v[24:25], -v[5:6]
	buffer_store_dword v4, v1, s[0:3], 0 offen offset:20
	buffer_store_dword v3, v1, s[0:3], 0 offen offset:16
	;; [unrolled: 1-line block ×4, first 2 shown]
	buffer_load_dword v7, off, s[0:3], 0 offset:296
	buffer_load_dword v8, off, s[0:3], 0 offset:300
	;; [unrolled: 1-line block ×4, first 2 shown]
	buffer_load_dword v21, v1, s[0:3], 0 offen offset:44
	ds_read2_b64 v[3:6], v2 offset0:4 offset1:5
	buffer_load_dword v22, v1, s[0:3], 0 offen offset:48
	s_waitcnt vmcnt(4) lgkmcnt(0)
	v_mul_f64 v[23:24], v[5:6], v[7:8]
	v_mul_f64 v[7:8], v[3:4], v[7:8]
	s_waitcnt vmcnt(2)
	v_fma_f64 v[3:4], v[3:4], v[9:10], -v[23:24]
	v_fma_f64 v[5:6], v[5:6], v[9:10], v[7:8]
	v_add_f64 v[3:4], v[18:19], -v[3:4]
	s_waitcnt vmcnt(1)
	v_add_f64 v[5:6], v[20:21], -v[5:6]
	buffer_store_dword v4, v1, s[0:3], 0 offen offset:36
	buffer_store_dword v3, v1, s[0:3], 0 offen offset:32
	;; [unrolled: 1-line block ×4, first 2 shown]
	buffer_load_dword v7, off, s[0:3], 0 offset:296
	buffer_load_dword v8, off, s[0:3], 0 offset:300
	;; [unrolled: 1-line block ×4, first 2 shown]
	buffer_load_dword v23, v1, s[0:3], 0 offen offset:52
	buffer_load_dword v18, v1, s[0:3], 0 offen offset:56
	buffer_load_dword v19, v1, s[0:3], 0 offen offset:60
	ds_read2_b64 v[3:6], v2 offset0:6 offset1:7
	s_waitcnt vmcnt(5) lgkmcnt(0)
	v_mul_f64 v[20:21], v[5:6], v[7:8]
	v_mul_f64 v[7:8], v[3:4], v[7:8]
	s_waitcnt vmcnt(3)
	v_fma_f64 v[3:4], v[3:4], v[9:10], -v[20:21]
	v_fma_f64 v[5:6], v[5:6], v[9:10], v[7:8]
	s_waitcnt vmcnt(2)
	v_add_f64 v[3:4], v[22:23], -v[3:4]
	s_waitcnt vmcnt(0)
	v_add_f64 v[5:6], v[18:19], -v[5:6]
	buffer_store_dword v4, v1, s[0:3], 0 offen offset:52
	buffer_store_dword v3, v1, s[0:3], 0 offen offset:48
	;; [unrolled: 1-line block ×4, first 2 shown]
	buffer_load_dword v6, off, s[0:3], 0 offset:296
	s_nop 0
	buffer_load_dword v7, off, s[0:3], 0 offset:300
	buffer_load_dword v8, off, s[0:3], 0 offset:288
	;; [unrolled: 1-line block ×3, first 2 shown]
	buffer_load_dword v18, v1, s[0:3], 0 offen offset:64
	buffer_load_dword v19, v1, s[0:3], 0 offen offset:68
	;; [unrolled: 1-line block ×4, first 2 shown]
	ds_read2_b64 v[2:5], v2 offset0:8 offset1:9
	s_waitcnt vmcnt(6) lgkmcnt(0)
	v_mul_f64 v[22:23], v[4:5], v[6:7]
	v_mul_f64 v[6:7], v[2:3], v[6:7]
	s_waitcnt vmcnt(4)
	v_fma_f64 v[2:3], v[2:3], v[8:9], -v[22:23]
	v_fma_f64 v[4:5], v[4:5], v[8:9], v[6:7]
	s_waitcnt vmcnt(2)
	v_add_f64 v[2:3], v[18:19], -v[2:3]
	s_waitcnt vmcnt(0)
	v_add_f64 v[4:5], v[20:21], -v[4:5]
	buffer_store_dword v3, v1, s[0:3], 0 offen offset:68
	buffer_store_dword v2, v1, s[0:3], 0 offen offset:64
	;; [unrolled: 1-line block ×4, first 2 shown]
	s_cbranch_scc1 .LBB127_244
.LBB127_245:
	s_or_b64 exec, exec, s[6:7]
	v_cmp_eq_u32_e32 vcc, 19, v0
	s_waitcnt vmcnt(0)
	s_barrier
	s_and_saveexec_b64 s[8:9], vcc
	s_cbranch_execz .LBB127_254
; %bb.246:
	v_mov_b32_e32 v4, s87
	buffer_load_dword v1, v4, s[0:3], 0 offen
	buffer_load_dword v2, v4, s[0:3], 0 offen offset:4
	buffer_load_dword v3, v4, s[0:3], 0 offen offset:8
	s_nop 0
	buffer_load_dword v4, v4, s[0:3], 0 offen offset:12
	s_movk_i32 s6, 0x140
	s_waitcnt vmcnt(0)
	ds_write2_b64 v11, v[1:2], v[3:4] offset1:1
.LBB127_247:                            ; =>This Inner Loop Header: Depth=1
	v_mov_b32_e32 v13, s6
	buffer_load_dword v1, v13, s[0:3], 0 offen
	buffer_load_dword v2, v13, s[0:3], 0 offen offset:4
	buffer_load_dword v3, v13, s[0:3], 0 offen offset:8
	;; [unrolled: 1-line block ×15, first 2 shown]
	v_add_u32_e32 v14, s6, v12
	s_addk_i32 s6, 0xb0
	s_cmpk_lg_i32 s6, 0x400
	s_waitcnt vmcnt(12)
	ds_write2_b64 v14, v[1:2], v[3:4] offset1:1
	s_waitcnt vmcnt(8)
	ds_write2_b64 v14, v[5:6], v[7:8] offset0:2 offset1:3
	s_waitcnt vmcnt(4)
	ds_write2_b64 v14, v[9:10], v[18:19] offset0:4 offset1:5
	;; [unrolled: 2-line block ×3, first 2 shown]
	buffer_load_dword v2, v13, s[0:3], 0 offen offset:76
	buffer_load_dword v1, v13, s[0:3], 0 offen offset:72
	buffer_load_dword v4, v13, s[0:3], 0 offen offset:68
	buffer_load_dword v3, v13, s[0:3], 0 offen offset:64
	s_waitcnt vmcnt(0)
	ds_write2_b64 v14, v[3:4], v[1:2] offset0:8 offset1:9
	buffer_load_dword v2, v13, s[0:3], 0 offen offset:92
	buffer_load_dword v1, v13, s[0:3], 0 offen offset:88
	buffer_load_dword v4, v13, s[0:3], 0 offen offset:84
	buffer_load_dword v3, v13, s[0:3], 0 offen offset:80
	s_waitcnt vmcnt(0)
	ds_write2_b64 v14, v[3:4], v[1:2] offset0:10 offset1:11
	;; [unrolled: 6-line block ×7, first 2 shown]
	s_cbranch_scc1 .LBB127_247
; %bb.248:
	ds_read2_b64 v[1:4], v11 offset1:1
	s_waitcnt lgkmcnt(0)
	v_cmp_neq_f64_e32 vcc, 0, v[1:2]
	v_cmp_neq_f64_e64 s[6:7], 0, v[3:4]
	s_or_b64 s[6:7], vcc, s[6:7]
	s_and_b64 exec, exec, s[6:7]
	s_cbranch_execz .LBB127_254
; %bb.249:
	v_cmp_ngt_f64_e64 s[6:7], |v[1:2]|, |v[3:4]|
                                        ; implicit-def: $vgpr5_vgpr6
	s_and_saveexec_b64 s[10:11], s[6:7]
	s_xor_b64 s[6:7], exec, s[10:11]
                                        ; implicit-def: $vgpr7_vgpr8
	s_cbranch_execz .LBB127_251
; %bb.250:
	v_div_scale_f64 v[5:6], s[10:11], v[3:4], v[3:4], v[1:2]
	v_rcp_f64_e32 v[7:8], v[5:6]
	v_fma_f64 v[9:10], -v[5:6], v[7:8], 1.0
	v_fma_f64 v[7:8], v[7:8], v[9:10], v[7:8]
	v_div_scale_f64 v[9:10], vcc, v[1:2], v[3:4], v[1:2]
	v_fma_f64 v[18:19], -v[5:6], v[7:8], 1.0
	v_fma_f64 v[7:8], v[7:8], v[18:19], v[7:8]
	v_mul_f64 v[18:19], v[9:10], v[7:8]
	v_fma_f64 v[5:6], -v[5:6], v[18:19], v[9:10]
	v_div_fmas_f64 v[5:6], v[5:6], v[7:8], v[18:19]
	v_div_fixup_f64 v[5:6], v[5:6], v[3:4], v[1:2]
	v_fma_f64 v[1:2], v[1:2], v[5:6], v[3:4]
	v_div_scale_f64 v[3:4], s[10:11], v[1:2], v[1:2], 1.0
	v_div_scale_f64 v[18:19], vcc, 1.0, v[1:2], 1.0
	v_rcp_f64_e32 v[7:8], v[3:4]
	v_fma_f64 v[9:10], -v[3:4], v[7:8], 1.0
	v_fma_f64 v[7:8], v[7:8], v[9:10], v[7:8]
	v_fma_f64 v[9:10], -v[3:4], v[7:8], 1.0
	v_fma_f64 v[7:8], v[7:8], v[9:10], v[7:8]
	v_mul_f64 v[9:10], v[18:19], v[7:8]
	v_fma_f64 v[3:4], -v[3:4], v[9:10], v[18:19]
	v_div_fmas_f64 v[3:4], v[3:4], v[7:8], v[9:10]
	v_div_fixup_f64 v[7:8], v[3:4], v[1:2], 1.0
                                        ; implicit-def: $vgpr1_vgpr2
	v_mul_f64 v[5:6], v[5:6], v[7:8]
	v_xor_b32_e32 v8, 0x80000000, v8
.LBB127_251:
	s_andn2_saveexec_b64 s[6:7], s[6:7]
	s_cbranch_execz .LBB127_253
; %bb.252:
	v_div_scale_f64 v[5:6], s[10:11], v[1:2], v[1:2], v[3:4]
	v_rcp_f64_e32 v[7:8], v[5:6]
	v_fma_f64 v[9:10], -v[5:6], v[7:8], 1.0
	v_fma_f64 v[7:8], v[7:8], v[9:10], v[7:8]
	v_div_scale_f64 v[9:10], vcc, v[3:4], v[1:2], v[3:4]
	v_fma_f64 v[18:19], -v[5:6], v[7:8], 1.0
	v_fma_f64 v[7:8], v[7:8], v[18:19], v[7:8]
	v_mul_f64 v[18:19], v[9:10], v[7:8]
	v_fma_f64 v[5:6], -v[5:6], v[18:19], v[9:10]
	v_div_fmas_f64 v[5:6], v[5:6], v[7:8], v[18:19]
	v_div_fixup_f64 v[7:8], v[5:6], v[1:2], v[3:4]
	v_fma_f64 v[1:2], v[3:4], v[7:8], v[1:2]
	v_div_scale_f64 v[3:4], s[10:11], v[1:2], v[1:2], 1.0
	v_div_scale_f64 v[18:19], vcc, 1.0, v[1:2], 1.0
	v_rcp_f64_e32 v[5:6], v[3:4]
	v_fma_f64 v[9:10], -v[3:4], v[5:6], 1.0
	v_fma_f64 v[5:6], v[5:6], v[9:10], v[5:6]
	v_fma_f64 v[9:10], -v[3:4], v[5:6], 1.0
	v_fma_f64 v[5:6], v[5:6], v[9:10], v[5:6]
	v_mul_f64 v[9:10], v[18:19], v[5:6]
	v_fma_f64 v[3:4], -v[3:4], v[9:10], v[18:19]
	v_div_fmas_f64 v[3:4], v[3:4], v[5:6], v[9:10]
	v_div_fixup_f64 v[5:6], v[3:4], v[1:2], 1.0
	v_mul_f64 v[7:8], v[7:8], -v[5:6]
.LBB127_253:
	s_or_b64 exec, exec, s[6:7]
	ds_write2_b64 v11, v[5:6], v[7:8] offset1:1
.LBB127_254:
	s_or_b64 exec, exec, s[8:9]
	s_waitcnt lgkmcnt(0)
	s_barrier
	ds_read2_b64 v[1:4], v11 offset1:1
	v_cmp_lt_u32_e32 vcc, 19, v0
	s_waitcnt lgkmcnt(0)
	buffer_store_dword v1, off, s[0:3], 0 offset:1760 ; 4-byte Folded Spill
	s_nop 0
	buffer_store_dword v2, off, s[0:3], 0 offset:1764 ; 4-byte Folded Spill
	buffer_store_dword v3, off, s[0:3], 0 offset:1768 ; 4-byte Folded Spill
	;; [unrolled: 1-line block ×3, first 2 shown]
	s_and_saveexec_b64 s[6:7], vcc
	s_cbranch_execz .LBB127_257
; %bb.255:
	buffer_load_dword v1, off, s[0:3], 0 offset:312
	buffer_load_dword v2, off, s[0:3], 0 offset:316
	;; [unrolled: 1-line block ×4, first 2 shown]
	buffer_load_dword v7, off, s[0:3], 0 offset:1760 ; 4-byte Folded Reload
	buffer_load_dword v8, off, s[0:3], 0 offset:1764 ; 4-byte Folded Reload
	;; [unrolled: 1-line block ×4, first 2 shown]
	s_movk_i32 s8, 0x140
	s_waitcnt vmcnt(0)
	v_mul_f64 v[5:6], v[9:10], v[1:2]
	v_mul_f64 v[1:2], v[7:8], v[1:2]
	v_fma_f64 v[5:6], v[7:8], v[3:4], -v[5:6]
	v_fma_f64 v[1:2], v[9:10], v[3:4], v[1:2]
	buffer_store_dword v5, off, s[0:3], 0 offset:304
	buffer_store_dword v6, off, s[0:3], 0 offset:308
	;; [unrolled: 1-line block ×4, first 2 shown]
.LBB127_256:                            ; =>This Inner Loop Header: Depth=1
	buffer_load_dword v7, off, s[0:3], 0 offset:312
	buffer_load_dword v8, off, s[0:3], 0 offset:316
	;; [unrolled: 1-line block ×4, first 2 shown]
	v_mov_b32_e32 v1, s8
	buffer_load_dword v18, v1, s[0:3], 0 offen
	buffer_load_dword v19, v1, s[0:3], 0 offen offset:4
	buffer_load_dword v20, v1, s[0:3], 0 offen offset:8
	;; [unrolled: 1-line block ×3, first 2 shown]
	v_add_u32_e32 v2, s8, v12
	ds_read2_b64 v[3:6], v2 offset1:1
	buffer_load_dword v22, v1, s[0:3], 0 offen offset:16
	buffer_load_dword v23, v1, s[0:3], 0 offen offset:20
	;; [unrolled: 1-line block ×3, first 2 shown]
	s_add_i32 s8, s8, 64
	s_cmpk_lg_i32 s8, 0x400
	s_waitcnt vmcnt(9) lgkmcnt(0)
	v_mul_f64 v[25:26], v[5:6], v[7:8]
	v_mul_f64 v[7:8], v[3:4], v[7:8]
	s_waitcnt vmcnt(7)
	v_fma_f64 v[3:4], v[3:4], v[9:10], -v[25:26]
	v_fma_f64 v[5:6], v[5:6], v[9:10], v[7:8]
	s_waitcnt vmcnt(5)
	v_add_f64 v[3:4], v[18:19], -v[3:4]
	s_waitcnt vmcnt(3)
	v_add_f64 v[5:6], v[20:21], -v[5:6]
	buffer_store_dword v4, v1, s[0:3], 0 offen offset:4
	buffer_store_dword v3, v1, s[0:3], 0 offen
	buffer_store_dword v6, v1, s[0:3], 0 offen offset:12
	buffer_store_dword v5, v1, s[0:3], 0 offen offset:8
	buffer_load_dword v8, off, s[0:3], 0 offset:316
	buffer_load_dword v7, off, s[0:3], 0 offset:312
	;; [unrolled: 1-line block ×4, first 2 shown]
	buffer_load_dword v25, v1, s[0:3], 0 offen offset:28
	ds_read2_b64 v[3:6], v2 offset0:2 offset1:3
	buffer_load_dword v18, v1, s[0:3], 0 offen offset:32
	s_waitcnt vmcnt(4) lgkmcnt(0)
	v_mul_f64 v[19:20], v[5:6], v[7:8]
	v_mul_f64 v[7:8], v[3:4], v[7:8]
	s_waitcnt vmcnt(2)
	v_fma_f64 v[3:4], v[3:4], v[9:10], -v[19:20]
	v_fma_f64 v[5:6], v[5:6], v[9:10], v[7:8]
	v_add_f64 v[3:4], v[22:23], -v[3:4]
	s_waitcnt vmcnt(1)
	v_add_f64 v[5:6], v[24:25], -v[5:6]
	buffer_store_dword v4, v1, s[0:3], 0 offen offset:20
	buffer_store_dword v3, v1, s[0:3], 0 offen offset:16
	buffer_store_dword v6, v1, s[0:3], 0 offen offset:28
	buffer_store_dword v5, v1, s[0:3], 0 offen offset:24
	buffer_load_dword v7, off, s[0:3], 0 offset:312
	buffer_load_dword v8, off, s[0:3], 0 offset:316
	;; [unrolled: 1-line block ×4, first 2 shown]
	buffer_load_dword v19, v1, s[0:3], 0 offen offset:36
	buffer_load_dword v20, v1, s[0:3], 0 offen offset:40
	buffer_load_dword v21, v1, s[0:3], 0 offen offset:44
	ds_read2_b64 v[3:6], v2 offset0:4 offset1:5
	s_waitcnt vmcnt(5) lgkmcnt(0)
	v_mul_f64 v[22:23], v[5:6], v[7:8]
	v_mul_f64 v[7:8], v[3:4], v[7:8]
	s_waitcnt vmcnt(3)
	v_fma_f64 v[3:4], v[3:4], v[9:10], -v[22:23]
	v_fma_f64 v[5:6], v[5:6], v[9:10], v[7:8]
	s_waitcnt vmcnt(2)
	v_add_f64 v[3:4], v[18:19], -v[3:4]
	s_waitcnt vmcnt(0)
	v_add_f64 v[5:6], v[20:21], -v[5:6]
	buffer_store_dword v4, v1, s[0:3], 0 offen offset:36
	buffer_store_dword v3, v1, s[0:3], 0 offen offset:32
	;; [unrolled: 1-line block ×4, first 2 shown]
	buffer_load_dword v6, off, s[0:3], 0 offset:312
	s_nop 0
	buffer_load_dword v7, off, s[0:3], 0 offset:316
	buffer_load_dword v8, off, s[0:3], 0 offset:304
	;; [unrolled: 1-line block ×3, first 2 shown]
	buffer_load_dword v18, v1, s[0:3], 0 offen offset:48
	buffer_load_dword v19, v1, s[0:3], 0 offen offset:52
	;; [unrolled: 1-line block ×4, first 2 shown]
	ds_read2_b64 v[2:5], v2 offset0:6 offset1:7
	s_waitcnt vmcnt(6) lgkmcnt(0)
	v_mul_f64 v[22:23], v[4:5], v[6:7]
	v_mul_f64 v[6:7], v[2:3], v[6:7]
	s_waitcnt vmcnt(4)
	v_fma_f64 v[2:3], v[2:3], v[8:9], -v[22:23]
	v_fma_f64 v[4:5], v[4:5], v[8:9], v[6:7]
	s_waitcnt vmcnt(2)
	v_add_f64 v[2:3], v[18:19], -v[2:3]
	s_waitcnt vmcnt(0)
	v_add_f64 v[4:5], v[20:21], -v[4:5]
	buffer_store_dword v3, v1, s[0:3], 0 offen offset:52
	buffer_store_dword v2, v1, s[0:3], 0 offen offset:48
	;; [unrolled: 1-line block ×4, first 2 shown]
	s_cbranch_scc1 .LBB127_256
.LBB127_257:
	s_or_b64 exec, exec, s[6:7]
	v_cmp_eq_u32_e32 vcc, 20, v0
	s_waitcnt vmcnt(0)
	s_barrier
	s_and_saveexec_b64 s[8:9], vcc
	s_cbranch_execz .LBB127_268
; %bb.258:
	v_mov_b32_e32 v4, s86
	buffer_load_dword v1, v4, s[0:3], 0 offen
	buffer_load_dword v2, v4, s[0:3], 0 offen offset:4
	buffer_load_dword v3, v4, s[0:3], 0 offen offset:8
	s_nop 0
	buffer_load_dword v4, v4, s[0:3], 0 offen offset:12
	s_movk_i32 s10, 0x150
	s_waitcnt vmcnt(0)
	ds_write2_b64 v11, v[1:2], v[3:4] offset1:1
	s_branch .LBB127_260
.LBB127_259:                            ;   in Loop: Header=BB127_260 Depth=1
	s_andn2_b64 vcc, exec, s[6:7]
	s_cbranch_vccz .LBB127_262
.LBB127_260:                            ; =>This Inner Loop Header: Depth=1
	v_mov_b32_e32 v1, s10
	buffer_load_dword v2, v1, s[0:3], 0 offen
	buffer_load_dword v3, v1, s[0:3], 0 offen offset:4
	buffer_load_dword v4, v1, s[0:3], 0 offen offset:8
	;; [unrolled: 1-line block ×11, first 2 shown]
	s_mov_b32 s11, s10
	v_add_u32_e32 v1, s10, v12
	s_cmpk_eq_i32 s10, 0x3d0
	s_mov_b64 s[6:7], -1
	s_waitcnt vmcnt(8)
	ds_write2_b64 v1, v[2:3], v[4:5] offset1:1
	s_waitcnt vmcnt(4)
	ds_write2_b64 v1, v[6:7], v[8:9] offset0:2 offset1:3
	s_waitcnt vmcnt(0)
	ds_write2_b64 v1, v[18:19], v[20:21] offset0:4 offset1:5
	s_cbranch_scc1 .LBB127_259
; %bb.261:                              ;   in Loop: Header=BB127_260 Depth=1
	v_mov_b32_e32 v10, s11
	buffer_load_dword v2, v10, s[0:3], 0 offen offset:48
	buffer_load_dword v3, v10, s[0:3], 0 offen offset:52
	;; [unrolled: 1-line block ×16, first 2 shown]
	s_addk_i32 s10, 0x80
	s_mov_b64 s[6:7], 0
	s_waitcnt vmcnt(12)
	ds_write2_b64 v1, v[2:3], v[4:5] offset0:6 offset1:7
	s_waitcnt vmcnt(8)
	ds_write2_b64 v1, v[6:7], v[8:9] offset0:8 offset1:9
	;; [unrolled: 2-line block ×4, first 2 shown]
	buffer_load_dword v3, v10, s[0:3], 0 offen offset:124
	buffer_load_dword v2, v10, s[0:3], 0 offen offset:120
	buffer_load_dword v5, v10, s[0:3], 0 offen offset:116
	buffer_load_dword v4, v10, s[0:3], 0 offen offset:112
	s_waitcnt vmcnt(0)
	ds_write2_b64 v1, v[4:5], v[2:3] offset0:14 offset1:15
	s_branch .LBB127_259
.LBB127_262:
	ds_read2_b64 v[1:4], v11 offset1:1
	s_waitcnt lgkmcnt(0)
	v_cmp_neq_f64_e32 vcc, 0, v[1:2]
	v_cmp_neq_f64_e64 s[6:7], 0, v[3:4]
	s_or_b64 s[6:7], vcc, s[6:7]
	s_and_b64 exec, exec, s[6:7]
	s_cbranch_execz .LBB127_268
; %bb.263:
	v_cmp_ngt_f64_e64 s[6:7], |v[1:2]|, |v[3:4]|
                                        ; implicit-def: $vgpr5_vgpr6
	s_and_saveexec_b64 s[10:11], s[6:7]
	s_xor_b64 s[6:7], exec, s[10:11]
                                        ; implicit-def: $vgpr7_vgpr8
	s_cbranch_execz .LBB127_265
; %bb.264:
	v_div_scale_f64 v[5:6], s[10:11], v[3:4], v[3:4], v[1:2]
	v_rcp_f64_e32 v[7:8], v[5:6]
	v_fma_f64 v[9:10], -v[5:6], v[7:8], 1.0
	v_fma_f64 v[7:8], v[7:8], v[9:10], v[7:8]
	v_div_scale_f64 v[9:10], vcc, v[1:2], v[3:4], v[1:2]
	v_fma_f64 v[18:19], -v[5:6], v[7:8], 1.0
	v_fma_f64 v[7:8], v[7:8], v[18:19], v[7:8]
	v_mul_f64 v[18:19], v[9:10], v[7:8]
	v_fma_f64 v[5:6], -v[5:6], v[18:19], v[9:10]
	v_div_fmas_f64 v[5:6], v[5:6], v[7:8], v[18:19]
	v_div_fixup_f64 v[5:6], v[5:6], v[3:4], v[1:2]
	v_fma_f64 v[1:2], v[1:2], v[5:6], v[3:4]
	v_div_scale_f64 v[3:4], s[10:11], v[1:2], v[1:2], 1.0
	v_div_scale_f64 v[18:19], vcc, 1.0, v[1:2], 1.0
	v_rcp_f64_e32 v[7:8], v[3:4]
	v_fma_f64 v[9:10], -v[3:4], v[7:8], 1.0
	v_fma_f64 v[7:8], v[7:8], v[9:10], v[7:8]
	v_fma_f64 v[9:10], -v[3:4], v[7:8], 1.0
	v_fma_f64 v[7:8], v[7:8], v[9:10], v[7:8]
	v_mul_f64 v[9:10], v[18:19], v[7:8]
	v_fma_f64 v[3:4], -v[3:4], v[9:10], v[18:19]
	v_div_fmas_f64 v[3:4], v[3:4], v[7:8], v[9:10]
	v_div_fixup_f64 v[7:8], v[3:4], v[1:2], 1.0
                                        ; implicit-def: $vgpr1_vgpr2
	v_mul_f64 v[5:6], v[5:6], v[7:8]
	v_xor_b32_e32 v8, 0x80000000, v8
.LBB127_265:
	s_andn2_saveexec_b64 s[6:7], s[6:7]
	s_cbranch_execz .LBB127_267
; %bb.266:
	v_div_scale_f64 v[5:6], s[10:11], v[1:2], v[1:2], v[3:4]
	v_rcp_f64_e32 v[7:8], v[5:6]
	v_fma_f64 v[9:10], -v[5:6], v[7:8], 1.0
	v_fma_f64 v[7:8], v[7:8], v[9:10], v[7:8]
	v_div_scale_f64 v[9:10], vcc, v[3:4], v[1:2], v[3:4]
	v_fma_f64 v[18:19], -v[5:6], v[7:8], 1.0
	v_fma_f64 v[7:8], v[7:8], v[18:19], v[7:8]
	v_mul_f64 v[18:19], v[9:10], v[7:8]
	v_fma_f64 v[5:6], -v[5:6], v[18:19], v[9:10]
	v_div_fmas_f64 v[5:6], v[5:6], v[7:8], v[18:19]
	v_div_fixup_f64 v[7:8], v[5:6], v[1:2], v[3:4]
	v_fma_f64 v[1:2], v[3:4], v[7:8], v[1:2]
	v_div_scale_f64 v[3:4], s[10:11], v[1:2], v[1:2], 1.0
	v_div_scale_f64 v[18:19], vcc, 1.0, v[1:2], 1.0
	v_rcp_f64_e32 v[5:6], v[3:4]
	v_fma_f64 v[9:10], -v[3:4], v[5:6], 1.0
	v_fma_f64 v[5:6], v[5:6], v[9:10], v[5:6]
	v_fma_f64 v[9:10], -v[3:4], v[5:6], 1.0
	v_fma_f64 v[5:6], v[5:6], v[9:10], v[5:6]
	v_mul_f64 v[9:10], v[18:19], v[5:6]
	v_fma_f64 v[3:4], -v[3:4], v[9:10], v[18:19]
	v_div_fmas_f64 v[3:4], v[3:4], v[5:6], v[9:10]
	v_div_fixup_f64 v[5:6], v[3:4], v[1:2], 1.0
	v_mul_f64 v[7:8], v[7:8], -v[5:6]
.LBB127_267:
	s_or_b64 exec, exec, s[6:7]
	ds_write2_b64 v11, v[5:6], v[7:8] offset1:1
.LBB127_268:
	s_or_b64 exec, exec, s[8:9]
	s_waitcnt lgkmcnt(0)
	s_barrier
	ds_read2_b64 v[24:27], v11 offset1:1
	v_cmp_lt_u32_e32 vcc, 20, v0
	s_and_saveexec_b64 s[6:7], vcc
	s_cbranch_execz .LBB127_273
; %bb.269:
	buffer_load_dword v1, off, s[0:3], 0 offset:328
	buffer_load_dword v2, off, s[0:3], 0 offset:332
	;; [unrolled: 1-line block ×4, first 2 shown]
	s_movk_i32 s10, 0x150
	s_waitcnt vmcnt(2) lgkmcnt(0)
	v_mul_f64 v[5:6], v[26:27], v[1:2]
	v_mul_f64 v[7:8], v[24:25], v[1:2]
	s_waitcnt vmcnt(0)
	v_fma_f64 v[1:2], v[24:25], v[3:4], -v[5:6]
	v_fma_f64 v[3:4], v[26:27], v[3:4], v[7:8]
	buffer_store_dword v1, off, s[0:3], 0 offset:320
	buffer_store_dword v2, off, s[0:3], 0 offset:324
	;; [unrolled: 1-line block ×4, first 2 shown]
	s_branch .LBB127_271
.LBB127_270:                            ;   in Loop: Header=BB127_271 Depth=1
	s_andn2_b64 vcc, exec, s[8:9]
	s_cbranch_vccz .LBB127_273
.LBB127_271:                            ; =>This Inner Loop Header: Depth=1
	v_mov_b32_e32 v10, s10
	buffer_load_dword v18, v10, s[0:3], 0 offen
	buffer_load_dword v19, v10, s[0:3], 0 offen offset:4
	buffer_load_dword v20, v10, s[0:3], 0 offen offset:8
	;; [unrolled: 1-line block ×3, first 2 shown]
	v_add_u32_e32 v5, s10, v12
	ds_read2_b64 v[6:9], v5 offset1:1
	s_mov_b32 s11, s10
	s_cmpk_eq_i32 s10, 0x3d0
	s_mov_b64 s[8:9], -1
	s_waitcnt vmcnt(4) lgkmcnt(0)
	v_mul_f64 v[22:23], v[8:9], v[3:4]
	v_mul_f64 v[3:4], v[6:7], v[3:4]
	v_fma_f64 v[6:7], v[6:7], v[1:2], -v[22:23]
	v_fma_f64 v[1:2], v[8:9], v[1:2], v[3:4]
	s_waitcnt vmcnt(2)
	v_add_f64 v[3:4], v[18:19], -v[6:7]
	s_waitcnt vmcnt(0)
	v_add_f64 v[1:2], v[20:21], -v[1:2]
	buffer_store_dword v4, v10, s[0:3], 0 offen offset:4
	buffer_store_dword v3, v10, s[0:3], 0 offen
	buffer_store_dword v2, v10, s[0:3], 0 offen offset:12
	buffer_store_dword v1, v10, s[0:3], 0 offen offset:8
	buffer_load_dword v7, off, s[0:3], 0 offset:332
	buffer_load_dword v6, off, s[0:3], 0 offset:328
	;; [unrolled: 1-line block ×4, first 2 shown]
	buffer_load_dword v19, v10, s[0:3], 0 offen offset:20
	buffer_load_dword v18, v10, s[0:3], 0 offen offset:16
	;; [unrolled: 1-line block ×4, first 2 shown]
	ds_read2_b64 v[1:4], v5 offset0:2 offset1:3
	s_waitcnt vmcnt(6) lgkmcnt(0)
	v_mul_f64 v[22:23], v[3:4], v[6:7]
	v_mul_f64 v[6:7], v[1:2], v[6:7]
	s_waitcnt vmcnt(4)
	v_fma_f64 v[1:2], v[1:2], v[8:9], -v[22:23]
	v_fma_f64 v[3:4], v[3:4], v[8:9], v[6:7]
	s_waitcnt vmcnt(2)
	v_add_f64 v[1:2], v[18:19], -v[1:2]
	s_waitcnt vmcnt(0)
	v_add_f64 v[3:4], v[20:21], -v[3:4]
	buffer_store_dword v2, v10, s[0:3], 0 offen offset:20
	buffer_store_dword v1, v10, s[0:3], 0 offen offset:16
	;; [unrolled: 1-line block ×4, first 2 shown]
	buffer_load_dword v6, off, s[0:3], 0 offset:328
	buffer_load_dword v7, off, s[0:3], 0 offset:332
	;; [unrolled: 1-line block ×4, first 2 shown]
	buffer_load_dword v19, v10, s[0:3], 0 offen offset:36
	buffer_load_dword v18, v10, s[0:3], 0 offen offset:32
	;; [unrolled: 1-line block ×4, first 2 shown]
	ds_read2_b64 v[1:4], v5 offset0:4 offset1:5
	s_waitcnt vmcnt(6) lgkmcnt(0)
	v_mul_f64 v[22:23], v[3:4], v[6:7]
	v_mul_f64 v[6:7], v[1:2], v[6:7]
	s_waitcnt vmcnt(4)
	v_fma_f64 v[1:2], v[1:2], v[8:9], -v[22:23]
	v_fma_f64 v[3:4], v[3:4], v[8:9], v[6:7]
	s_waitcnt vmcnt(2)
	v_add_f64 v[1:2], v[18:19], -v[1:2]
	s_waitcnt vmcnt(0)
	v_add_f64 v[3:4], v[20:21], -v[3:4]
	buffer_store_dword v2, v10, s[0:3], 0 offen offset:36
	buffer_store_dword v1, v10, s[0:3], 0 offen offset:32
	;; [unrolled: 1-line block ×4, first 2 shown]
                                        ; implicit-def: $vgpr1_vgpr2
                                        ; implicit-def: $vgpr3_vgpr4
	s_cbranch_scc1 .LBB127_270
; %bb.272:                              ;   in Loop: Header=BB127_271 Depth=1
	ds_read2_b64 v[1:4], v5 offset0:6 offset1:7
	buffer_load_dword v5, off, s[0:3], 0 offset:320
	buffer_load_dword v6, off, s[0:3], 0 offset:324
	;; [unrolled: 1-line block ×4, first 2 shown]
	s_add_i32 s10, s10, 64
	s_mov_b64 s[8:9], 0
	s_waitcnt vmcnt(0) lgkmcnt(0)
	v_mul_f64 v[9:10], v[3:4], v[7:8]
	v_fma_f64 v[9:10], v[1:2], v[5:6], -v[9:10]
	v_mul_f64 v[1:2], v[1:2], v[7:8]
	v_mov_b32_e32 v7, s11
	v_fma_f64 v[1:2], v[3:4], v[5:6], v[1:2]
	buffer_load_dword v3, v7, s[0:3], 0 offen offset:48
	buffer_load_dword v4, v7, s[0:3], 0 offen offset:52
	buffer_load_dword v5, v7, s[0:3], 0 offen offset:56
	buffer_load_dword v6, v7, s[0:3], 0 offen offset:60
	s_waitcnt vmcnt(2)
	v_add_f64 v[3:4], v[3:4], -v[9:10]
	s_waitcnt vmcnt(0)
	v_add_f64 v[1:2], v[5:6], -v[1:2]
	buffer_store_dword v4, v7, s[0:3], 0 offen offset:52
	buffer_store_dword v3, v7, s[0:3], 0 offen offset:48
	;; [unrolled: 1-line block ×4, first 2 shown]
	buffer_load_dword v2, off, s[0:3], 0 offset:324
	s_nop 0
	buffer_load_dword v1, off, s[0:3], 0 offset:320
	buffer_load_dword v4, off, s[0:3], 0 offset:332
	;; [unrolled: 1-line block ×3, first 2 shown]
	s_branch .LBB127_270
.LBB127_273:
	s_or_b64 exec, exec, s[6:7]
	v_cmp_eq_u32_e32 vcc, 21, v0
	s_waitcnt vmcnt(0) lgkmcnt(0)
	s_barrier
	s_and_saveexec_b64 s[8:9], vcc
	s_cbranch_execz .LBB127_282
; %bb.274:
	v_mov_b32_e32 v4, s85
	buffer_load_dword v1, v4, s[0:3], 0 offen
	buffer_load_dword v2, v4, s[0:3], 0 offen offset:4
	buffer_load_dword v3, v4, s[0:3], 0 offen offset:8
	s_nop 0
	buffer_load_dword v4, v4, s[0:3], 0 offen offset:12
	s_movk_i32 s6, 0x160
	s_waitcnt vmcnt(0)
	ds_write2_b64 v11, v[1:2], v[3:4] offset1:1
.LBB127_275:                            ; =>This Inner Loop Header: Depth=1
	v_mov_b32_e32 v13, s6
	buffer_load_dword v1, v13, s[0:3], 0 offen
	buffer_load_dword v2, v13, s[0:3], 0 offen offset:4
	buffer_load_dword v3, v13, s[0:3], 0 offen offset:8
	;; [unrolled: 1-line block ×15, first 2 shown]
	v_add_u32_e32 v14, s6, v12
	s_addk_i32 s6, 0xe0
	s_cmpk_lg_i32 s6, 0x400
	s_waitcnt vmcnt(12)
	ds_write2_b64 v14, v[1:2], v[3:4] offset1:1
	s_waitcnt vmcnt(8)
	ds_write2_b64 v14, v[5:6], v[7:8] offset0:2 offset1:3
	s_waitcnt vmcnt(4)
	ds_write2_b64 v14, v[9:10], v[18:19] offset0:4 offset1:5
	;; [unrolled: 2-line block ×3, first 2 shown]
	buffer_load_dword v2, v13, s[0:3], 0 offen offset:76
	buffer_load_dword v1, v13, s[0:3], 0 offen offset:72
	buffer_load_dword v4, v13, s[0:3], 0 offen offset:68
	buffer_load_dword v3, v13, s[0:3], 0 offen offset:64
	s_waitcnt vmcnt(0)
	ds_write2_b64 v14, v[3:4], v[1:2] offset0:8 offset1:9
	buffer_load_dword v2, v13, s[0:3], 0 offen offset:92
	buffer_load_dword v1, v13, s[0:3], 0 offen offset:88
	buffer_load_dword v4, v13, s[0:3], 0 offen offset:84
	buffer_load_dword v3, v13, s[0:3], 0 offen offset:80
	s_waitcnt vmcnt(0)
	ds_write2_b64 v14, v[3:4], v[1:2] offset0:10 offset1:11
	;; [unrolled: 6-line block ×10, first 2 shown]
	s_cbranch_scc1 .LBB127_275
; %bb.276:
	ds_read2_b64 v[1:4], v11 offset1:1
	s_waitcnt lgkmcnt(0)
	v_cmp_neq_f64_e32 vcc, 0, v[1:2]
	v_cmp_neq_f64_e64 s[6:7], 0, v[3:4]
	s_or_b64 s[6:7], vcc, s[6:7]
	s_and_b64 exec, exec, s[6:7]
	s_cbranch_execz .LBB127_282
; %bb.277:
	v_cmp_ngt_f64_e64 s[6:7], |v[1:2]|, |v[3:4]|
                                        ; implicit-def: $vgpr5_vgpr6
	s_and_saveexec_b64 s[10:11], s[6:7]
	s_xor_b64 s[6:7], exec, s[10:11]
                                        ; implicit-def: $vgpr7_vgpr8
	s_cbranch_execz .LBB127_279
; %bb.278:
	v_div_scale_f64 v[5:6], s[10:11], v[3:4], v[3:4], v[1:2]
	v_rcp_f64_e32 v[7:8], v[5:6]
	v_fma_f64 v[9:10], -v[5:6], v[7:8], 1.0
	v_fma_f64 v[7:8], v[7:8], v[9:10], v[7:8]
	v_div_scale_f64 v[9:10], vcc, v[1:2], v[3:4], v[1:2]
	v_fma_f64 v[18:19], -v[5:6], v[7:8], 1.0
	v_fma_f64 v[7:8], v[7:8], v[18:19], v[7:8]
	v_mul_f64 v[18:19], v[9:10], v[7:8]
	v_fma_f64 v[5:6], -v[5:6], v[18:19], v[9:10]
	v_div_fmas_f64 v[5:6], v[5:6], v[7:8], v[18:19]
	v_div_fixup_f64 v[5:6], v[5:6], v[3:4], v[1:2]
	v_fma_f64 v[1:2], v[1:2], v[5:6], v[3:4]
	v_div_scale_f64 v[3:4], s[10:11], v[1:2], v[1:2], 1.0
	v_div_scale_f64 v[18:19], vcc, 1.0, v[1:2], 1.0
	v_rcp_f64_e32 v[7:8], v[3:4]
	v_fma_f64 v[9:10], -v[3:4], v[7:8], 1.0
	v_fma_f64 v[7:8], v[7:8], v[9:10], v[7:8]
	v_fma_f64 v[9:10], -v[3:4], v[7:8], 1.0
	v_fma_f64 v[7:8], v[7:8], v[9:10], v[7:8]
	v_mul_f64 v[9:10], v[18:19], v[7:8]
	v_fma_f64 v[3:4], -v[3:4], v[9:10], v[18:19]
	v_div_fmas_f64 v[3:4], v[3:4], v[7:8], v[9:10]
	v_div_fixup_f64 v[7:8], v[3:4], v[1:2], 1.0
                                        ; implicit-def: $vgpr1_vgpr2
	v_mul_f64 v[5:6], v[5:6], v[7:8]
	v_xor_b32_e32 v8, 0x80000000, v8
.LBB127_279:
	s_andn2_saveexec_b64 s[6:7], s[6:7]
	s_cbranch_execz .LBB127_281
; %bb.280:
	v_div_scale_f64 v[5:6], s[10:11], v[1:2], v[1:2], v[3:4]
	v_rcp_f64_e32 v[7:8], v[5:6]
	v_fma_f64 v[9:10], -v[5:6], v[7:8], 1.0
	v_fma_f64 v[7:8], v[7:8], v[9:10], v[7:8]
	v_div_scale_f64 v[9:10], vcc, v[3:4], v[1:2], v[3:4]
	v_fma_f64 v[18:19], -v[5:6], v[7:8], 1.0
	v_fma_f64 v[7:8], v[7:8], v[18:19], v[7:8]
	v_mul_f64 v[18:19], v[9:10], v[7:8]
	v_fma_f64 v[5:6], -v[5:6], v[18:19], v[9:10]
	v_div_fmas_f64 v[5:6], v[5:6], v[7:8], v[18:19]
	v_div_fixup_f64 v[7:8], v[5:6], v[1:2], v[3:4]
	v_fma_f64 v[1:2], v[3:4], v[7:8], v[1:2]
	v_div_scale_f64 v[3:4], s[10:11], v[1:2], v[1:2], 1.0
	v_div_scale_f64 v[18:19], vcc, 1.0, v[1:2], 1.0
	v_rcp_f64_e32 v[5:6], v[3:4]
	v_fma_f64 v[9:10], -v[3:4], v[5:6], 1.0
	v_fma_f64 v[5:6], v[5:6], v[9:10], v[5:6]
	v_fma_f64 v[9:10], -v[3:4], v[5:6], 1.0
	v_fma_f64 v[5:6], v[5:6], v[9:10], v[5:6]
	v_mul_f64 v[9:10], v[18:19], v[5:6]
	v_fma_f64 v[3:4], -v[3:4], v[9:10], v[18:19]
	v_div_fmas_f64 v[3:4], v[3:4], v[5:6], v[9:10]
	v_div_fixup_f64 v[5:6], v[3:4], v[1:2], 1.0
	v_mul_f64 v[7:8], v[7:8], -v[5:6]
.LBB127_281:
	s_or_b64 exec, exec, s[6:7]
	ds_write2_b64 v11, v[5:6], v[7:8] offset1:1
.LBB127_282:
	s_or_b64 exec, exec, s[8:9]
	buffer_store_dword v24, off, s[0:3], 0 offset:2032 ; 4-byte Folded Spill
	s_nop 0
	buffer_store_dword v25, off, s[0:3], 0 offset:2036 ; 4-byte Folded Spill
	buffer_store_dword v26, off, s[0:3], 0 offset:2040 ; 4-byte Folded Spill
	;; [unrolled: 1-line block ×3, first 2 shown]
	s_waitcnt vmcnt(0) lgkmcnt(0)
	s_barrier
	ds_read2_b64 v[1:4], v11 offset1:1
	v_cmp_lt_u32_e32 vcc, 21, v0
	s_waitcnt lgkmcnt(0)
	buffer_store_dword v1, off, s[0:3], 0 offset:1776 ; 4-byte Folded Spill
	s_nop 0
	buffer_store_dword v2, off, s[0:3], 0 offset:1780 ; 4-byte Folded Spill
	buffer_store_dword v3, off, s[0:3], 0 offset:1784 ; 4-byte Folded Spill
	;; [unrolled: 1-line block ×3, first 2 shown]
	s_and_saveexec_b64 s[6:7], vcc
	s_cbranch_execz .LBB127_285
; %bb.283:
	buffer_load_dword v1, off, s[0:3], 0 offset:344
	buffer_load_dword v2, off, s[0:3], 0 offset:348
	;; [unrolled: 1-line block ×4, first 2 shown]
	buffer_load_dword v7, off, s[0:3], 0 offset:1776 ; 4-byte Folded Reload
	buffer_load_dword v8, off, s[0:3], 0 offset:1780 ; 4-byte Folded Reload
	;; [unrolled: 1-line block ×4, first 2 shown]
	s_movk_i32 s8, 0x160
	s_waitcnt vmcnt(0)
	v_mul_f64 v[5:6], v[9:10], v[1:2]
	v_mul_f64 v[1:2], v[7:8], v[1:2]
	v_fma_f64 v[5:6], v[7:8], v[3:4], -v[5:6]
	v_fma_f64 v[1:2], v[9:10], v[3:4], v[1:2]
	buffer_store_dword v5, off, s[0:3], 0 offset:336
	buffer_store_dword v6, off, s[0:3], 0 offset:340
	;; [unrolled: 1-line block ×4, first 2 shown]
.LBB127_284:                            ; =>This Inner Loop Header: Depth=1
	buffer_load_dword v7, off, s[0:3], 0 offset:344
	buffer_load_dword v8, off, s[0:3], 0 offset:348
	;; [unrolled: 1-line block ×4, first 2 shown]
	v_mov_b32_e32 v1, s8
	buffer_load_dword v18, v1, s[0:3], 0 offen
	buffer_load_dword v19, v1, s[0:3], 0 offen offset:4
	buffer_load_dword v20, v1, s[0:3], 0 offen offset:8
	;; [unrolled: 1-line block ×3, first 2 shown]
	v_add_u32_e32 v2, s8, v12
	ds_read2_b64 v[3:6], v2 offset1:1
	buffer_load_dword v22, v1, s[0:3], 0 offen offset:16
	buffer_load_dword v23, v1, s[0:3], 0 offen offset:20
	;; [unrolled: 1-line block ×3, first 2 shown]
	s_addk_i32 s8, 0x70
	s_cmpk_lg_i32 s8, 0x400
	s_waitcnt vmcnt(9) lgkmcnt(0)
	v_mul_f64 v[25:26], v[5:6], v[7:8]
	v_mul_f64 v[7:8], v[3:4], v[7:8]
	s_waitcnt vmcnt(7)
	v_fma_f64 v[3:4], v[3:4], v[9:10], -v[25:26]
	v_fma_f64 v[5:6], v[5:6], v[9:10], v[7:8]
	s_waitcnt vmcnt(5)
	v_add_f64 v[3:4], v[18:19], -v[3:4]
	s_waitcnt vmcnt(3)
	v_add_f64 v[5:6], v[20:21], -v[5:6]
	buffer_store_dword v4, v1, s[0:3], 0 offen offset:4
	buffer_store_dword v3, v1, s[0:3], 0 offen
	buffer_store_dword v6, v1, s[0:3], 0 offen offset:12
	buffer_store_dword v5, v1, s[0:3], 0 offen offset:8
	buffer_load_dword v8, off, s[0:3], 0 offset:348
	buffer_load_dword v7, off, s[0:3], 0 offset:344
	buffer_load_dword v10, off, s[0:3], 0 offset:340
	buffer_load_dword v9, off, s[0:3], 0 offset:336
	buffer_load_dword v25, v1, s[0:3], 0 offen offset:28
	ds_read2_b64 v[3:6], v2 offset0:2 offset1:3
	buffer_load_dword v18, v1, s[0:3], 0 offen offset:32
	buffer_load_dword v19, v1, s[0:3], 0 offen offset:36
	buffer_load_dword v20, v1, s[0:3], 0 offen offset:40
	s_waitcnt vmcnt(6) lgkmcnt(0)
	v_mul_f64 v[26:27], v[5:6], v[7:8]
	v_mul_f64 v[7:8], v[3:4], v[7:8]
	s_waitcnt vmcnt(4)
	v_fma_f64 v[3:4], v[3:4], v[9:10], -v[26:27]
	v_fma_f64 v[5:6], v[5:6], v[9:10], v[7:8]
	v_add_f64 v[3:4], v[22:23], -v[3:4]
	s_waitcnt vmcnt(3)
	v_add_f64 v[5:6], v[24:25], -v[5:6]
	buffer_store_dword v4, v1, s[0:3], 0 offen offset:20
	buffer_store_dword v3, v1, s[0:3], 0 offen offset:16
	buffer_store_dword v6, v1, s[0:3], 0 offen offset:28
	buffer_store_dword v5, v1, s[0:3], 0 offen offset:24
	buffer_load_dword v7, off, s[0:3], 0 offset:344
	buffer_load_dword v8, off, s[0:3], 0 offset:348
	buffer_load_dword v9, off, s[0:3], 0 offset:336
	buffer_load_dword v10, off, s[0:3], 0 offset:340
	buffer_load_dword v21, v1, s[0:3], 0 offen offset:44
	ds_read2_b64 v[3:6], v2 offset0:4 offset1:5
	buffer_load_dword v22, v1, s[0:3], 0 offen offset:48
	buffer_load_dword v23, v1, s[0:3], 0 offen offset:52
	buffer_load_dword v24, v1, s[0:3], 0 offen offset:56
	s_waitcnt vmcnt(6) lgkmcnt(0)
	v_mul_f64 v[25:26], v[5:6], v[7:8]
	v_mul_f64 v[7:8], v[3:4], v[7:8]
	s_waitcnt vmcnt(4)
	v_fma_f64 v[3:4], v[3:4], v[9:10], -v[25:26]
	v_fma_f64 v[5:6], v[5:6], v[9:10], v[7:8]
	v_add_f64 v[3:4], v[18:19], -v[3:4]
	s_waitcnt vmcnt(3)
	v_add_f64 v[5:6], v[20:21], -v[5:6]
	buffer_store_dword v4, v1, s[0:3], 0 offen offset:36
	buffer_store_dword v3, v1, s[0:3], 0 offen offset:32
	;; [unrolled: 22-line block ×3, first 2 shown]
	buffer_store_dword v6, v1, s[0:3], 0 offen offset:60
	buffer_store_dword v5, v1, s[0:3], 0 offen offset:56
	buffer_load_dword v7, off, s[0:3], 0 offset:344
	buffer_load_dword v8, off, s[0:3], 0 offset:348
	;; [unrolled: 1-line block ×4, first 2 shown]
	buffer_load_dword v21, v1, s[0:3], 0 offen offset:76
	ds_read2_b64 v[3:6], v2 offset0:8 offset1:9
	buffer_load_dword v22, v1, s[0:3], 0 offen offset:80
	s_waitcnt vmcnt(4) lgkmcnt(0)
	v_mul_f64 v[23:24], v[5:6], v[7:8]
	v_mul_f64 v[7:8], v[3:4], v[7:8]
	s_waitcnt vmcnt(2)
	v_fma_f64 v[3:4], v[3:4], v[9:10], -v[23:24]
	v_fma_f64 v[5:6], v[5:6], v[9:10], v[7:8]
	v_add_f64 v[3:4], v[18:19], -v[3:4]
	s_waitcnt vmcnt(1)
	v_add_f64 v[5:6], v[20:21], -v[5:6]
	buffer_store_dword v4, v1, s[0:3], 0 offen offset:68
	buffer_store_dword v3, v1, s[0:3], 0 offen offset:64
	buffer_store_dword v6, v1, s[0:3], 0 offen offset:76
	buffer_store_dword v5, v1, s[0:3], 0 offen offset:72
	buffer_load_dword v7, off, s[0:3], 0 offset:344
	buffer_load_dword v8, off, s[0:3], 0 offset:348
	;; [unrolled: 1-line block ×4, first 2 shown]
	buffer_load_dword v23, v1, s[0:3], 0 offen offset:84
	buffer_load_dword v18, v1, s[0:3], 0 offen offset:88
	;; [unrolled: 1-line block ×3, first 2 shown]
	ds_read2_b64 v[3:6], v2 offset0:10 offset1:11
	s_waitcnt vmcnt(5) lgkmcnt(0)
	v_mul_f64 v[20:21], v[5:6], v[7:8]
	v_mul_f64 v[7:8], v[3:4], v[7:8]
	s_waitcnt vmcnt(3)
	v_fma_f64 v[3:4], v[3:4], v[9:10], -v[20:21]
	v_fma_f64 v[5:6], v[5:6], v[9:10], v[7:8]
	s_waitcnt vmcnt(2)
	v_add_f64 v[3:4], v[22:23], -v[3:4]
	s_waitcnt vmcnt(0)
	v_add_f64 v[5:6], v[18:19], -v[5:6]
	buffer_store_dword v4, v1, s[0:3], 0 offen offset:84
	buffer_store_dword v3, v1, s[0:3], 0 offen offset:80
	;; [unrolled: 1-line block ×4, first 2 shown]
	buffer_load_dword v6, off, s[0:3], 0 offset:344
	s_nop 0
	buffer_load_dword v7, off, s[0:3], 0 offset:348
	buffer_load_dword v8, off, s[0:3], 0 offset:336
	;; [unrolled: 1-line block ×3, first 2 shown]
	buffer_load_dword v18, v1, s[0:3], 0 offen offset:96
	buffer_load_dword v19, v1, s[0:3], 0 offen offset:100
	;; [unrolled: 1-line block ×4, first 2 shown]
	ds_read2_b64 v[2:5], v2 offset0:12 offset1:13
	s_waitcnt vmcnt(6) lgkmcnt(0)
	v_mul_f64 v[22:23], v[4:5], v[6:7]
	v_mul_f64 v[6:7], v[2:3], v[6:7]
	s_waitcnt vmcnt(4)
	v_fma_f64 v[2:3], v[2:3], v[8:9], -v[22:23]
	v_fma_f64 v[4:5], v[4:5], v[8:9], v[6:7]
	s_waitcnt vmcnt(2)
	v_add_f64 v[2:3], v[18:19], -v[2:3]
	s_waitcnt vmcnt(0)
	v_add_f64 v[4:5], v[20:21], -v[4:5]
	buffer_store_dword v3, v1, s[0:3], 0 offen offset:100
	buffer_store_dword v2, v1, s[0:3], 0 offen offset:96
	buffer_store_dword v5, v1, s[0:3], 0 offen offset:108
	buffer_store_dword v4, v1, s[0:3], 0 offen offset:104
	s_cbranch_scc1 .LBB127_284
.LBB127_285:
	s_or_b64 exec, exec, s[6:7]
	v_cmp_eq_u32_e32 vcc, 22, v0
	s_waitcnt vmcnt(0)
	s_barrier
	s_and_saveexec_b64 s[8:9], vcc
	s_cbranch_execz .LBB127_296
; %bb.286:
	v_mov_b32_e32 v4, s84
	buffer_load_dword v1, v4, s[0:3], 0 offen
	buffer_load_dword v2, v4, s[0:3], 0 offen offset:4
	buffer_load_dword v3, v4, s[0:3], 0 offen offset:8
	s_nop 0
	buffer_load_dword v4, v4, s[0:3], 0 offen offset:12
	s_movk_i32 s10, 0x170
	s_waitcnt vmcnt(0)
	ds_write2_b64 v11, v[1:2], v[3:4] offset1:1
	s_branch .LBB127_288
.LBB127_287:                            ;   in Loop: Header=BB127_288 Depth=1
	s_andn2_b64 vcc, exec, s[6:7]
	s_cbranch_vccz .LBB127_290
.LBB127_288:                            ; =>This Inner Loop Header: Depth=1
	v_mov_b32_e32 v1, s10
	buffer_load_dword v2, v1, s[0:3], 0 offen
	buffer_load_dword v3, v1, s[0:3], 0 offen offset:4
	buffer_load_dword v4, v1, s[0:3], 0 offen offset:8
	buffer_load_dword v5, v1, s[0:3], 0 offen offset:12
	s_mov_b32 s11, s10
	v_add_u32_e32 v1, s10, v12
	s_cmpk_eq_i32 s10, 0x3f0
	s_mov_b64 s[6:7], -1
	s_waitcnt vmcnt(0)
	ds_write2_b64 v1, v[2:3], v[4:5] offset1:1
	s_cbranch_scc1 .LBB127_287
; %bb.289:                              ;   in Loop: Header=BB127_288 Depth=1
	v_mov_b32_e32 v10, s11
	buffer_load_dword v2, v10, s[0:3], 0 offen offset:16
	buffer_load_dword v3, v10, s[0:3], 0 offen offset:20
	;; [unrolled: 1-line block ×16, first 2 shown]
	s_addk_i32 s10, 0x80
	s_mov_b64 s[6:7], 0
	s_waitcnt vmcnt(12)
	ds_write2_b64 v1, v[2:3], v[4:5] offset0:2 offset1:3
	s_waitcnt vmcnt(8)
	ds_write2_b64 v1, v[6:7], v[8:9] offset0:4 offset1:5
	;; [unrolled: 2-line block ×4, first 2 shown]
	buffer_load_dword v3, v10, s[0:3], 0 offen offset:92
	buffer_load_dword v2, v10, s[0:3], 0 offen offset:88
	buffer_load_dword v5, v10, s[0:3], 0 offen offset:84
	buffer_load_dword v4, v10, s[0:3], 0 offen offset:80
	s_waitcnt vmcnt(0)
	ds_write2_b64 v1, v[4:5], v[2:3] offset0:10 offset1:11
	buffer_load_dword v3, v10, s[0:3], 0 offen offset:108
	buffer_load_dword v2, v10, s[0:3], 0 offen offset:104
	buffer_load_dword v5, v10, s[0:3], 0 offen offset:100
	buffer_load_dword v4, v10, s[0:3], 0 offen offset:96
	s_waitcnt vmcnt(0)
	ds_write2_b64 v1, v[4:5], v[2:3] offset0:12 offset1:13
	;; [unrolled: 6-line block ×3, first 2 shown]
	s_branch .LBB127_287
.LBB127_290:
	ds_read2_b64 v[1:4], v11 offset1:1
	s_waitcnt lgkmcnt(0)
	v_cmp_neq_f64_e32 vcc, 0, v[1:2]
	v_cmp_neq_f64_e64 s[6:7], 0, v[3:4]
	s_or_b64 s[6:7], vcc, s[6:7]
	s_and_b64 exec, exec, s[6:7]
	s_cbranch_execz .LBB127_296
; %bb.291:
	v_cmp_ngt_f64_e64 s[6:7], |v[1:2]|, |v[3:4]|
                                        ; implicit-def: $vgpr5_vgpr6
	s_and_saveexec_b64 s[10:11], s[6:7]
	s_xor_b64 s[6:7], exec, s[10:11]
                                        ; implicit-def: $vgpr7_vgpr8
	s_cbranch_execz .LBB127_293
; %bb.292:
	v_div_scale_f64 v[5:6], s[10:11], v[3:4], v[3:4], v[1:2]
	v_rcp_f64_e32 v[7:8], v[5:6]
	v_fma_f64 v[9:10], -v[5:6], v[7:8], 1.0
	v_fma_f64 v[7:8], v[7:8], v[9:10], v[7:8]
	v_div_scale_f64 v[9:10], vcc, v[1:2], v[3:4], v[1:2]
	v_fma_f64 v[18:19], -v[5:6], v[7:8], 1.0
	v_fma_f64 v[7:8], v[7:8], v[18:19], v[7:8]
	v_mul_f64 v[18:19], v[9:10], v[7:8]
	v_fma_f64 v[5:6], -v[5:6], v[18:19], v[9:10]
	v_div_fmas_f64 v[5:6], v[5:6], v[7:8], v[18:19]
	v_div_fixup_f64 v[5:6], v[5:6], v[3:4], v[1:2]
	v_fma_f64 v[1:2], v[1:2], v[5:6], v[3:4]
	v_div_scale_f64 v[3:4], s[10:11], v[1:2], v[1:2], 1.0
	v_div_scale_f64 v[18:19], vcc, 1.0, v[1:2], 1.0
	v_rcp_f64_e32 v[7:8], v[3:4]
	v_fma_f64 v[9:10], -v[3:4], v[7:8], 1.0
	v_fma_f64 v[7:8], v[7:8], v[9:10], v[7:8]
	v_fma_f64 v[9:10], -v[3:4], v[7:8], 1.0
	v_fma_f64 v[7:8], v[7:8], v[9:10], v[7:8]
	v_mul_f64 v[9:10], v[18:19], v[7:8]
	v_fma_f64 v[3:4], -v[3:4], v[9:10], v[18:19]
	v_div_fmas_f64 v[3:4], v[3:4], v[7:8], v[9:10]
	v_div_fixup_f64 v[7:8], v[3:4], v[1:2], 1.0
                                        ; implicit-def: $vgpr1_vgpr2
	v_mul_f64 v[5:6], v[5:6], v[7:8]
	v_xor_b32_e32 v8, 0x80000000, v8
.LBB127_293:
	s_andn2_saveexec_b64 s[6:7], s[6:7]
	s_cbranch_execz .LBB127_295
; %bb.294:
	v_div_scale_f64 v[5:6], s[10:11], v[1:2], v[1:2], v[3:4]
	v_rcp_f64_e32 v[7:8], v[5:6]
	v_fma_f64 v[9:10], -v[5:6], v[7:8], 1.0
	v_fma_f64 v[7:8], v[7:8], v[9:10], v[7:8]
	v_div_scale_f64 v[9:10], vcc, v[3:4], v[1:2], v[3:4]
	v_fma_f64 v[18:19], -v[5:6], v[7:8], 1.0
	v_fma_f64 v[7:8], v[7:8], v[18:19], v[7:8]
	v_mul_f64 v[18:19], v[9:10], v[7:8]
	v_fma_f64 v[5:6], -v[5:6], v[18:19], v[9:10]
	v_div_fmas_f64 v[5:6], v[5:6], v[7:8], v[18:19]
	v_div_fixup_f64 v[7:8], v[5:6], v[1:2], v[3:4]
	v_fma_f64 v[1:2], v[3:4], v[7:8], v[1:2]
	v_div_scale_f64 v[3:4], s[10:11], v[1:2], v[1:2], 1.0
	v_div_scale_f64 v[18:19], vcc, 1.0, v[1:2], 1.0
	v_rcp_f64_e32 v[5:6], v[3:4]
	v_fma_f64 v[9:10], -v[3:4], v[5:6], 1.0
	v_fma_f64 v[5:6], v[5:6], v[9:10], v[5:6]
	v_fma_f64 v[9:10], -v[3:4], v[5:6], 1.0
	v_fma_f64 v[5:6], v[5:6], v[9:10], v[5:6]
	v_mul_f64 v[9:10], v[18:19], v[5:6]
	v_fma_f64 v[3:4], -v[3:4], v[9:10], v[18:19]
	v_div_fmas_f64 v[3:4], v[3:4], v[5:6], v[9:10]
	v_div_fixup_f64 v[5:6], v[3:4], v[1:2], 1.0
	v_mul_f64 v[7:8], v[7:8], -v[5:6]
.LBB127_295:
	s_or_b64 exec, exec, s[6:7]
	ds_write2_b64 v11, v[5:6], v[7:8] offset1:1
.LBB127_296:
	s_or_b64 exec, exec, s[8:9]
	s_waitcnt lgkmcnt(0)
	s_barrier
	ds_read2_b64 v[24:27], v11 offset1:1
	v_cmp_lt_u32_e32 vcc, 22, v0
	s_and_saveexec_b64 s[6:7], vcc
	s_cbranch_execz .LBB127_301
; %bb.297:
	buffer_load_dword v1, off, s[0:3], 0 offset:360
	buffer_load_dword v2, off, s[0:3], 0 offset:364
	;; [unrolled: 1-line block ×4, first 2 shown]
	s_movk_i32 s10, 0x170
	s_waitcnt vmcnt(2) lgkmcnt(0)
	v_mul_f64 v[5:6], v[26:27], v[1:2]
	v_mul_f64 v[7:8], v[24:25], v[1:2]
	s_waitcnt vmcnt(0)
	v_fma_f64 v[1:2], v[24:25], v[3:4], -v[5:6]
	v_fma_f64 v[3:4], v[26:27], v[3:4], v[7:8]
	buffer_store_dword v1, off, s[0:3], 0 offset:352
	buffer_store_dword v2, off, s[0:3], 0 offset:356
	buffer_store_dword v3, off, s[0:3], 0 offset:360
	buffer_store_dword v4, off, s[0:3], 0 offset:364
	s_branch .LBB127_299
.LBB127_298:                            ;   in Loop: Header=BB127_299 Depth=1
	s_andn2_b64 vcc, exec, s[8:9]
	s_cbranch_vccz .LBB127_301
.LBB127_299:                            ; =>This Inner Loop Header: Depth=1
	v_add_u32_e32 v5, s10, v12
	ds_read2_b64 v[6:9], v5 offset1:1
	s_mov_b32 s11, s10
	s_mov_b64 s[8:9], -1
	s_cmpk_eq_i32 s10, 0x3f0
	s_waitcnt vmcnt(0) lgkmcnt(0)
	v_mul_f64 v[18:19], v[8:9], v[3:4]
	v_mul_f64 v[3:4], v[6:7], v[3:4]
	v_fma_f64 v[18:19], v[6:7], v[1:2], -v[18:19]
	v_fma_f64 v[1:2], v[8:9], v[1:2], v[3:4]
	v_mov_b32_e32 v8, s10
	buffer_load_dword v3, v8, s[0:3], 0 offen
	buffer_load_dword v4, v8, s[0:3], 0 offen offset:4
	buffer_load_dword v6, v8, s[0:3], 0 offen offset:8
	;; [unrolled: 1-line block ×3, first 2 shown]
	s_waitcnt vmcnt(2)
	v_add_f64 v[3:4], v[3:4], -v[18:19]
	s_waitcnt vmcnt(0)
	v_add_f64 v[1:2], v[6:7], -v[1:2]
	buffer_store_dword v3, v8, s[0:3], 0 offen
	buffer_store_dword v4, v8, s[0:3], 0 offen offset:4
	buffer_store_dword v1, v8, s[0:3], 0 offen offset:8
	;; [unrolled: 1-line block ×3, first 2 shown]
                                        ; implicit-def: $vgpr1_vgpr2
                                        ; implicit-def: $vgpr3_vgpr4
	s_cbranch_scc1 .LBB127_298
; %bb.300:                              ;   in Loop: Header=BB127_299 Depth=1
	buffer_load_dword v6, off, s[0:3], 0 offset:360
	buffer_load_dword v7, off, s[0:3], 0 offset:364
	;; [unrolled: 1-line block ×4, first 2 shown]
	v_mov_b32_e32 v10, s11
	buffer_load_dword v18, v10, s[0:3], 0 offen offset:16
	buffer_load_dword v19, v10, s[0:3], 0 offen offset:20
	;; [unrolled: 1-line block ×4, first 2 shown]
	ds_read2_b64 v[1:4], v5 offset0:2 offset1:3
	s_add_i32 s10, s10, 64
	s_mov_b64 s[8:9], 0
	s_waitcnt vmcnt(6) lgkmcnt(0)
	v_mul_f64 v[22:23], v[3:4], v[6:7]
	v_mul_f64 v[6:7], v[1:2], v[6:7]
	s_waitcnt vmcnt(4)
	v_fma_f64 v[1:2], v[1:2], v[8:9], -v[22:23]
	v_fma_f64 v[3:4], v[3:4], v[8:9], v[6:7]
	s_waitcnt vmcnt(2)
	v_add_f64 v[1:2], v[18:19], -v[1:2]
	s_waitcnt vmcnt(0)
	v_add_f64 v[3:4], v[20:21], -v[3:4]
	buffer_store_dword v2, v10, s[0:3], 0 offen offset:20
	buffer_store_dword v1, v10, s[0:3], 0 offen offset:16
	;; [unrolled: 1-line block ×4, first 2 shown]
	buffer_load_dword v7, off, s[0:3], 0 offset:364
	buffer_load_dword v6, off, s[0:3], 0 offset:360
	buffer_load_dword v9, off, s[0:3], 0 offset:356
	buffer_load_dword v8, off, s[0:3], 0 offset:352
	buffer_load_dword v19, v10, s[0:3], 0 offen offset:36
	buffer_load_dword v18, v10, s[0:3], 0 offen offset:32
	;; [unrolled: 1-line block ×4, first 2 shown]
	ds_read2_b64 v[1:4], v5 offset0:4 offset1:5
	s_waitcnt vmcnt(6) lgkmcnt(0)
	v_mul_f64 v[22:23], v[3:4], v[6:7]
	v_mul_f64 v[6:7], v[1:2], v[6:7]
	s_waitcnt vmcnt(4)
	v_fma_f64 v[1:2], v[1:2], v[8:9], -v[22:23]
	v_fma_f64 v[3:4], v[3:4], v[8:9], v[6:7]
	s_waitcnt vmcnt(2)
	v_add_f64 v[1:2], v[18:19], -v[1:2]
	s_waitcnt vmcnt(0)
	v_add_f64 v[3:4], v[20:21], -v[3:4]
	buffer_store_dword v2, v10, s[0:3], 0 offen offset:36
	buffer_store_dword v1, v10, s[0:3], 0 offen offset:32
	;; [unrolled: 1-line block ×4, first 2 shown]
	buffer_load_dword v6, off, s[0:3], 0 offset:360
	buffer_load_dword v7, off, s[0:3], 0 offset:364
	;; [unrolled: 1-line block ×4, first 2 shown]
	buffer_load_dword v19, v10, s[0:3], 0 offen offset:52
	buffer_load_dword v18, v10, s[0:3], 0 offen offset:48
	;; [unrolled: 1-line block ×4, first 2 shown]
	ds_read2_b64 v[1:4], v5 offset0:6 offset1:7
	s_waitcnt vmcnt(6) lgkmcnt(0)
	v_mul_f64 v[22:23], v[3:4], v[6:7]
	v_mul_f64 v[5:6], v[1:2], v[6:7]
	s_waitcnt vmcnt(4)
	v_fma_f64 v[1:2], v[1:2], v[8:9], -v[22:23]
	v_fma_f64 v[3:4], v[3:4], v[8:9], v[5:6]
	s_waitcnt vmcnt(2)
	v_add_f64 v[1:2], v[18:19], -v[1:2]
	s_waitcnt vmcnt(0)
	v_add_f64 v[3:4], v[20:21], -v[3:4]
	buffer_store_dword v2, v10, s[0:3], 0 offen offset:52
	buffer_store_dword v1, v10, s[0:3], 0 offen offset:48
	;; [unrolled: 1-line block ×4, first 2 shown]
	buffer_load_dword v1, off, s[0:3], 0 offset:352
	s_nop 0
	buffer_load_dword v2, off, s[0:3], 0 offset:356
	buffer_load_dword v3, off, s[0:3], 0 offset:360
	buffer_load_dword v4, off, s[0:3], 0 offset:364
	s_branch .LBB127_298
.LBB127_301:
	s_or_b64 exec, exec, s[6:7]
	v_cmp_eq_u32_e32 vcc, 23, v0
	s_waitcnt vmcnt(0) lgkmcnt(0)
	s_barrier
	s_and_saveexec_b64 s[8:9], vcc
	s_cbranch_execz .LBB127_310
; %bb.302:
	v_mov_b32_e32 v4, s81
	buffer_load_dword v1, v4, s[0:3], 0 offen
	buffer_load_dword v2, v4, s[0:3], 0 offen offset:4
	buffer_load_dword v3, v4, s[0:3], 0 offen offset:8
	s_nop 0
	buffer_load_dword v4, v4, s[0:3], 0 offen offset:12
	s_movk_i32 s6, 0x180
	s_waitcnt vmcnt(0)
	ds_write2_b64 v11, v[1:2], v[3:4] offset1:1
.LBB127_303:                            ; =>This Inner Loop Header: Depth=1
	v_mov_b32_e32 v13, s6
	buffer_load_dword v1, v13, s[0:3], 0 offen
	buffer_load_dword v2, v13, s[0:3], 0 offen offset:4
	buffer_load_dword v3, v13, s[0:3], 0 offen offset:8
	;; [unrolled: 1-line block ×15, first 2 shown]
	v_add_u32_e32 v14, s6, v12
	s_addk_i32 s6, 0xa0
	s_cmpk_lg_i32 s6, 0x400
	s_waitcnt vmcnt(12)
	ds_write2_b64 v14, v[1:2], v[3:4] offset1:1
	s_waitcnt vmcnt(8)
	ds_write2_b64 v14, v[5:6], v[7:8] offset0:2 offset1:3
	s_waitcnt vmcnt(4)
	ds_write2_b64 v14, v[9:10], v[18:19] offset0:4 offset1:5
	;; [unrolled: 2-line block ×3, first 2 shown]
	buffer_load_dword v2, v13, s[0:3], 0 offen offset:76
	buffer_load_dword v1, v13, s[0:3], 0 offen offset:72
	buffer_load_dword v4, v13, s[0:3], 0 offen offset:68
	buffer_load_dword v3, v13, s[0:3], 0 offen offset:64
	s_waitcnt vmcnt(0)
	ds_write2_b64 v14, v[3:4], v[1:2] offset0:8 offset1:9
	buffer_load_dword v2, v13, s[0:3], 0 offen offset:92
	buffer_load_dword v1, v13, s[0:3], 0 offen offset:88
	buffer_load_dword v4, v13, s[0:3], 0 offen offset:84
	buffer_load_dword v3, v13, s[0:3], 0 offen offset:80
	s_waitcnt vmcnt(0)
	ds_write2_b64 v14, v[3:4], v[1:2] offset0:10 offset1:11
	;; [unrolled: 6-line block ×6, first 2 shown]
	s_cbranch_scc1 .LBB127_303
; %bb.304:
	ds_read2_b64 v[1:4], v11 offset1:1
	s_waitcnt lgkmcnt(0)
	v_cmp_neq_f64_e32 vcc, 0, v[1:2]
	v_cmp_neq_f64_e64 s[6:7], 0, v[3:4]
	s_or_b64 s[6:7], vcc, s[6:7]
	s_and_b64 exec, exec, s[6:7]
	s_cbranch_execz .LBB127_310
; %bb.305:
	v_cmp_ngt_f64_e64 s[6:7], |v[1:2]|, |v[3:4]|
                                        ; implicit-def: $vgpr5_vgpr6
	s_and_saveexec_b64 s[10:11], s[6:7]
	s_xor_b64 s[6:7], exec, s[10:11]
                                        ; implicit-def: $vgpr7_vgpr8
	s_cbranch_execz .LBB127_307
; %bb.306:
	v_div_scale_f64 v[5:6], s[10:11], v[3:4], v[3:4], v[1:2]
	v_rcp_f64_e32 v[7:8], v[5:6]
	v_fma_f64 v[9:10], -v[5:6], v[7:8], 1.0
	v_fma_f64 v[7:8], v[7:8], v[9:10], v[7:8]
	v_div_scale_f64 v[9:10], vcc, v[1:2], v[3:4], v[1:2]
	v_fma_f64 v[18:19], -v[5:6], v[7:8], 1.0
	v_fma_f64 v[7:8], v[7:8], v[18:19], v[7:8]
	v_mul_f64 v[18:19], v[9:10], v[7:8]
	v_fma_f64 v[5:6], -v[5:6], v[18:19], v[9:10]
	v_div_fmas_f64 v[5:6], v[5:6], v[7:8], v[18:19]
	v_div_fixup_f64 v[5:6], v[5:6], v[3:4], v[1:2]
	v_fma_f64 v[1:2], v[1:2], v[5:6], v[3:4]
	v_div_scale_f64 v[3:4], s[10:11], v[1:2], v[1:2], 1.0
	v_div_scale_f64 v[18:19], vcc, 1.0, v[1:2], 1.0
	v_rcp_f64_e32 v[7:8], v[3:4]
	v_fma_f64 v[9:10], -v[3:4], v[7:8], 1.0
	v_fma_f64 v[7:8], v[7:8], v[9:10], v[7:8]
	v_fma_f64 v[9:10], -v[3:4], v[7:8], 1.0
	v_fma_f64 v[7:8], v[7:8], v[9:10], v[7:8]
	v_mul_f64 v[9:10], v[18:19], v[7:8]
	v_fma_f64 v[3:4], -v[3:4], v[9:10], v[18:19]
	v_div_fmas_f64 v[3:4], v[3:4], v[7:8], v[9:10]
	v_div_fixup_f64 v[7:8], v[3:4], v[1:2], 1.0
                                        ; implicit-def: $vgpr1_vgpr2
	v_mul_f64 v[5:6], v[5:6], v[7:8]
	v_xor_b32_e32 v8, 0x80000000, v8
.LBB127_307:
	s_andn2_saveexec_b64 s[6:7], s[6:7]
	s_cbranch_execz .LBB127_309
; %bb.308:
	v_div_scale_f64 v[5:6], s[10:11], v[1:2], v[1:2], v[3:4]
	v_rcp_f64_e32 v[7:8], v[5:6]
	v_fma_f64 v[9:10], -v[5:6], v[7:8], 1.0
	v_fma_f64 v[7:8], v[7:8], v[9:10], v[7:8]
	v_div_scale_f64 v[9:10], vcc, v[3:4], v[1:2], v[3:4]
	v_fma_f64 v[18:19], -v[5:6], v[7:8], 1.0
	v_fma_f64 v[7:8], v[7:8], v[18:19], v[7:8]
	v_mul_f64 v[18:19], v[9:10], v[7:8]
	v_fma_f64 v[5:6], -v[5:6], v[18:19], v[9:10]
	v_div_fmas_f64 v[5:6], v[5:6], v[7:8], v[18:19]
	v_div_fixup_f64 v[7:8], v[5:6], v[1:2], v[3:4]
	v_fma_f64 v[1:2], v[3:4], v[7:8], v[1:2]
	v_div_scale_f64 v[3:4], s[10:11], v[1:2], v[1:2], 1.0
	v_div_scale_f64 v[18:19], vcc, 1.0, v[1:2], 1.0
	v_rcp_f64_e32 v[5:6], v[3:4]
	v_fma_f64 v[9:10], -v[3:4], v[5:6], 1.0
	v_fma_f64 v[5:6], v[5:6], v[9:10], v[5:6]
	v_fma_f64 v[9:10], -v[3:4], v[5:6], 1.0
	v_fma_f64 v[5:6], v[5:6], v[9:10], v[5:6]
	v_mul_f64 v[9:10], v[18:19], v[5:6]
	v_fma_f64 v[3:4], -v[3:4], v[9:10], v[18:19]
	v_div_fmas_f64 v[3:4], v[3:4], v[5:6], v[9:10]
	v_div_fixup_f64 v[5:6], v[3:4], v[1:2], 1.0
	v_mul_f64 v[7:8], v[7:8], -v[5:6]
.LBB127_309:
	s_or_b64 exec, exec, s[6:7]
	ds_write2_b64 v11, v[5:6], v[7:8] offset1:1
.LBB127_310:
	s_or_b64 exec, exec, s[8:9]
	buffer_store_dword v24, off, s[0:3], 0 offset:2048 ; 4-byte Folded Spill
	s_nop 0
	buffer_store_dword v25, off, s[0:3], 0 offset:2052 ; 4-byte Folded Spill
	buffer_store_dword v26, off, s[0:3], 0 offset:2056 ; 4-byte Folded Spill
	;; [unrolled: 1-line block ×3, first 2 shown]
	s_waitcnt vmcnt(0) lgkmcnt(0)
	s_barrier
	ds_read2_b64 v[1:4], v11 offset1:1
	v_cmp_lt_u32_e32 vcc, 23, v0
	s_waitcnt lgkmcnt(0)
	buffer_store_dword v1, off, s[0:3], 0 offset:1792 ; 4-byte Folded Spill
	s_nop 0
	buffer_store_dword v2, off, s[0:3], 0 offset:1796 ; 4-byte Folded Spill
	buffer_store_dword v3, off, s[0:3], 0 offset:1800 ; 4-byte Folded Spill
	;; [unrolled: 1-line block ×3, first 2 shown]
	s_and_saveexec_b64 s[6:7], vcc
	s_cbranch_execz .LBB127_313
; %bb.311:
	buffer_load_dword v1, off, s[0:3], 0 offset:376
	buffer_load_dword v2, off, s[0:3], 0 offset:380
	;; [unrolled: 1-line block ×4, first 2 shown]
	buffer_load_dword v7, off, s[0:3], 0 offset:1792 ; 4-byte Folded Reload
	buffer_load_dword v8, off, s[0:3], 0 offset:1796 ; 4-byte Folded Reload
	;; [unrolled: 1-line block ×4, first 2 shown]
	s_movk_i32 s8, 0x180
	s_waitcnt vmcnt(0)
	v_mul_f64 v[5:6], v[9:10], v[1:2]
	v_mul_f64 v[1:2], v[7:8], v[1:2]
	v_fma_f64 v[5:6], v[7:8], v[3:4], -v[5:6]
	v_fma_f64 v[1:2], v[9:10], v[3:4], v[1:2]
	buffer_store_dword v5, off, s[0:3], 0 offset:368
	buffer_store_dword v6, off, s[0:3], 0 offset:372
	;; [unrolled: 1-line block ×4, first 2 shown]
.LBB127_312:                            ; =>This Inner Loop Header: Depth=1
	buffer_load_dword v7, off, s[0:3], 0 offset:376
	buffer_load_dword v8, off, s[0:3], 0 offset:380
	buffer_load_dword v9, off, s[0:3], 0 offset:368
	buffer_load_dword v10, off, s[0:3], 0 offset:372
	v_mov_b32_e32 v1, s8
	buffer_load_dword v18, v1, s[0:3], 0 offen
	buffer_load_dword v19, v1, s[0:3], 0 offen offset:4
	buffer_load_dword v20, v1, s[0:3], 0 offen offset:8
	;; [unrolled: 1-line block ×3, first 2 shown]
	v_add_u32_e32 v2, s8, v12
	ds_read2_b64 v[3:6], v2 offset1:1
	buffer_load_dword v22, v1, s[0:3], 0 offen offset:16
	buffer_load_dword v23, v1, s[0:3], 0 offen offset:20
	;; [unrolled: 1-line block ×3, first 2 shown]
	s_addk_i32 s8, 0x50
	s_cmpk_lg_i32 s8, 0x400
	s_waitcnt vmcnt(9) lgkmcnt(0)
	v_mul_f64 v[25:26], v[5:6], v[7:8]
	v_mul_f64 v[7:8], v[3:4], v[7:8]
	s_waitcnt vmcnt(7)
	v_fma_f64 v[3:4], v[3:4], v[9:10], -v[25:26]
	v_fma_f64 v[5:6], v[5:6], v[9:10], v[7:8]
	s_waitcnt vmcnt(5)
	v_add_f64 v[3:4], v[18:19], -v[3:4]
	s_waitcnt vmcnt(3)
	v_add_f64 v[5:6], v[20:21], -v[5:6]
	buffer_store_dword v4, v1, s[0:3], 0 offen offset:4
	buffer_store_dword v3, v1, s[0:3], 0 offen
	buffer_store_dword v6, v1, s[0:3], 0 offen offset:12
	buffer_store_dword v5, v1, s[0:3], 0 offen offset:8
	buffer_load_dword v8, off, s[0:3], 0 offset:380
	buffer_load_dword v7, off, s[0:3], 0 offset:376
	;; [unrolled: 1-line block ×4, first 2 shown]
	buffer_load_dword v25, v1, s[0:3], 0 offen offset:28
	ds_read2_b64 v[3:6], v2 offset0:2 offset1:3
	buffer_load_dword v18, v1, s[0:3], 0 offen offset:32
	buffer_load_dword v19, v1, s[0:3], 0 offen offset:36
	;; [unrolled: 1-line block ×3, first 2 shown]
	s_waitcnt vmcnt(6) lgkmcnt(0)
	v_mul_f64 v[26:27], v[5:6], v[7:8]
	v_mul_f64 v[7:8], v[3:4], v[7:8]
	s_waitcnt vmcnt(4)
	v_fma_f64 v[3:4], v[3:4], v[9:10], -v[26:27]
	v_fma_f64 v[5:6], v[5:6], v[9:10], v[7:8]
	v_add_f64 v[3:4], v[22:23], -v[3:4]
	s_waitcnt vmcnt(3)
	v_add_f64 v[5:6], v[24:25], -v[5:6]
	buffer_store_dword v4, v1, s[0:3], 0 offen offset:20
	buffer_store_dword v3, v1, s[0:3], 0 offen offset:16
	;; [unrolled: 1-line block ×4, first 2 shown]
	buffer_load_dword v7, off, s[0:3], 0 offset:376
	buffer_load_dword v8, off, s[0:3], 0 offset:380
	;; [unrolled: 1-line block ×4, first 2 shown]
	buffer_load_dword v21, v1, s[0:3], 0 offen offset:44
	ds_read2_b64 v[3:6], v2 offset0:4 offset1:5
	buffer_load_dword v22, v1, s[0:3], 0 offen offset:48
	s_waitcnt vmcnt(4) lgkmcnt(0)
	v_mul_f64 v[23:24], v[5:6], v[7:8]
	v_mul_f64 v[7:8], v[3:4], v[7:8]
	s_waitcnt vmcnt(2)
	v_fma_f64 v[3:4], v[3:4], v[9:10], -v[23:24]
	v_fma_f64 v[5:6], v[5:6], v[9:10], v[7:8]
	v_add_f64 v[3:4], v[18:19], -v[3:4]
	s_waitcnt vmcnt(1)
	v_add_f64 v[5:6], v[20:21], -v[5:6]
	buffer_store_dword v4, v1, s[0:3], 0 offen offset:36
	buffer_store_dword v3, v1, s[0:3], 0 offen offset:32
	;; [unrolled: 1-line block ×4, first 2 shown]
	buffer_load_dword v7, off, s[0:3], 0 offset:376
	buffer_load_dword v8, off, s[0:3], 0 offset:380
	;; [unrolled: 1-line block ×4, first 2 shown]
	buffer_load_dword v23, v1, s[0:3], 0 offen offset:52
	buffer_load_dword v18, v1, s[0:3], 0 offen offset:56
	buffer_load_dword v19, v1, s[0:3], 0 offen offset:60
	ds_read2_b64 v[3:6], v2 offset0:6 offset1:7
	s_waitcnt vmcnt(5) lgkmcnt(0)
	v_mul_f64 v[20:21], v[5:6], v[7:8]
	v_mul_f64 v[7:8], v[3:4], v[7:8]
	s_waitcnt vmcnt(3)
	v_fma_f64 v[3:4], v[3:4], v[9:10], -v[20:21]
	v_fma_f64 v[5:6], v[5:6], v[9:10], v[7:8]
	s_waitcnt vmcnt(2)
	v_add_f64 v[3:4], v[22:23], -v[3:4]
	s_waitcnt vmcnt(0)
	v_add_f64 v[5:6], v[18:19], -v[5:6]
	buffer_store_dword v4, v1, s[0:3], 0 offen offset:52
	buffer_store_dword v3, v1, s[0:3], 0 offen offset:48
	buffer_store_dword v6, v1, s[0:3], 0 offen offset:60
	buffer_store_dword v5, v1, s[0:3], 0 offen offset:56
	buffer_load_dword v6, off, s[0:3], 0 offset:376
	s_nop 0
	buffer_load_dword v7, off, s[0:3], 0 offset:380
	buffer_load_dword v8, off, s[0:3], 0 offset:368
	;; [unrolled: 1-line block ×3, first 2 shown]
	buffer_load_dword v18, v1, s[0:3], 0 offen offset:64
	buffer_load_dword v19, v1, s[0:3], 0 offen offset:68
	;; [unrolled: 1-line block ×4, first 2 shown]
	ds_read2_b64 v[2:5], v2 offset0:8 offset1:9
	s_waitcnt vmcnt(6) lgkmcnt(0)
	v_mul_f64 v[22:23], v[4:5], v[6:7]
	v_mul_f64 v[6:7], v[2:3], v[6:7]
	s_waitcnt vmcnt(4)
	v_fma_f64 v[2:3], v[2:3], v[8:9], -v[22:23]
	v_fma_f64 v[4:5], v[4:5], v[8:9], v[6:7]
	s_waitcnt vmcnt(2)
	v_add_f64 v[2:3], v[18:19], -v[2:3]
	s_waitcnt vmcnt(0)
	v_add_f64 v[4:5], v[20:21], -v[4:5]
	buffer_store_dword v3, v1, s[0:3], 0 offen offset:68
	buffer_store_dword v2, v1, s[0:3], 0 offen offset:64
	;; [unrolled: 1-line block ×4, first 2 shown]
	s_cbranch_scc1 .LBB127_312
.LBB127_313:
	s_or_b64 exec, exec, s[6:7]
	v_cmp_eq_u32_e32 vcc, 24, v0
	s_waitcnt vmcnt(0)
	s_barrier
	s_and_saveexec_b64 s[8:9], vcc
	s_cbranch_execz .LBB127_322
; %bb.314:
	v_mov_b32_e32 v4, s80
	buffer_load_dword v1, v4, s[0:3], 0 offen
	buffer_load_dword v2, v4, s[0:3], 0 offen offset:4
	buffer_load_dword v3, v4, s[0:3], 0 offen offset:8
	s_nop 0
	buffer_load_dword v4, v4, s[0:3], 0 offen offset:12
	s_movk_i32 s6, 0x190
	s_waitcnt vmcnt(0)
	ds_write2_b64 v11, v[1:2], v[3:4] offset1:1
.LBB127_315:                            ; =>This Inner Loop Header: Depth=1
	v_mov_b32_e32 v13, s6
	buffer_load_dword v1, v13, s[0:3], 0 offen
	buffer_load_dword v2, v13, s[0:3], 0 offen offset:4
	buffer_load_dword v3, v13, s[0:3], 0 offen offset:8
	;; [unrolled: 1-line block ×15, first 2 shown]
	v_add_u32_e32 v14, s6, v12
	s_addk_i32 s6, 0xd0
	s_cmpk_lg_i32 s6, 0x400
	s_waitcnt vmcnt(12)
	ds_write2_b64 v14, v[1:2], v[3:4] offset1:1
	s_waitcnt vmcnt(8)
	ds_write2_b64 v14, v[5:6], v[7:8] offset0:2 offset1:3
	s_waitcnt vmcnt(4)
	ds_write2_b64 v14, v[9:10], v[18:19] offset0:4 offset1:5
	;; [unrolled: 2-line block ×3, first 2 shown]
	buffer_load_dword v2, v13, s[0:3], 0 offen offset:76
	buffer_load_dword v1, v13, s[0:3], 0 offen offset:72
	buffer_load_dword v4, v13, s[0:3], 0 offen offset:68
	buffer_load_dword v3, v13, s[0:3], 0 offen offset:64
	s_waitcnt vmcnt(0)
	ds_write2_b64 v14, v[3:4], v[1:2] offset0:8 offset1:9
	buffer_load_dword v2, v13, s[0:3], 0 offen offset:92
	buffer_load_dword v1, v13, s[0:3], 0 offen offset:88
	buffer_load_dword v4, v13, s[0:3], 0 offen offset:84
	buffer_load_dword v3, v13, s[0:3], 0 offen offset:80
	s_waitcnt vmcnt(0)
	ds_write2_b64 v14, v[3:4], v[1:2] offset0:10 offset1:11
	;; [unrolled: 6-line block ×9, first 2 shown]
	s_cbranch_scc1 .LBB127_315
; %bb.316:
	ds_read2_b64 v[1:4], v11 offset1:1
	s_waitcnt lgkmcnt(0)
	v_cmp_neq_f64_e32 vcc, 0, v[1:2]
	v_cmp_neq_f64_e64 s[6:7], 0, v[3:4]
	s_or_b64 s[6:7], vcc, s[6:7]
	s_and_b64 exec, exec, s[6:7]
	s_cbranch_execz .LBB127_322
; %bb.317:
	v_cmp_ngt_f64_e64 s[6:7], |v[1:2]|, |v[3:4]|
                                        ; implicit-def: $vgpr5_vgpr6
	s_and_saveexec_b64 s[10:11], s[6:7]
	s_xor_b64 s[6:7], exec, s[10:11]
                                        ; implicit-def: $vgpr7_vgpr8
	s_cbranch_execz .LBB127_319
; %bb.318:
	v_div_scale_f64 v[5:6], s[10:11], v[3:4], v[3:4], v[1:2]
	v_rcp_f64_e32 v[7:8], v[5:6]
	v_fma_f64 v[9:10], -v[5:6], v[7:8], 1.0
	v_fma_f64 v[7:8], v[7:8], v[9:10], v[7:8]
	v_div_scale_f64 v[9:10], vcc, v[1:2], v[3:4], v[1:2]
	v_fma_f64 v[18:19], -v[5:6], v[7:8], 1.0
	v_fma_f64 v[7:8], v[7:8], v[18:19], v[7:8]
	v_mul_f64 v[18:19], v[9:10], v[7:8]
	v_fma_f64 v[5:6], -v[5:6], v[18:19], v[9:10]
	v_div_fmas_f64 v[5:6], v[5:6], v[7:8], v[18:19]
	v_div_fixup_f64 v[5:6], v[5:6], v[3:4], v[1:2]
	v_fma_f64 v[1:2], v[1:2], v[5:6], v[3:4]
	v_div_scale_f64 v[3:4], s[10:11], v[1:2], v[1:2], 1.0
	v_div_scale_f64 v[18:19], vcc, 1.0, v[1:2], 1.0
	v_rcp_f64_e32 v[7:8], v[3:4]
	v_fma_f64 v[9:10], -v[3:4], v[7:8], 1.0
	v_fma_f64 v[7:8], v[7:8], v[9:10], v[7:8]
	v_fma_f64 v[9:10], -v[3:4], v[7:8], 1.0
	v_fma_f64 v[7:8], v[7:8], v[9:10], v[7:8]
	v_mul_f64 v[9:10], v[18:19], v[7:8]
	v_fma_f64 v[3:4], -v[3:4], v[9:10], v[18:19]
	v_div_fmas_f64 v[3:4], v[3:4], v[7:8], v[9:10]
	v_div_fixup_f64 v[7:8], v[3:4], v[1:2], 1.0
                                        ; implicit-def: $vgpr1_vgpr2
	v_mul_f64 v[5:6], v[5:6], v[7:8]
	v_xor_b32_e32 v8, 0x80000000, v8
.LBB127_319:
	s_andn2_saveexec_b64 s[6:7], s[6:7]
	s_cbranch_execz .LBB127_321
; %bb.320:
	v_div_scale_f64 v[5:6], s[10:11], v[1:2], v[1:2], v[3:4]
	v_rcp_f64_e32 v[7:8], v[5:6]
	v_fma_f64 v[9:10], -v[5:6], v[7:8], 1.0
	v_fma_f64 v[7:8], v[7:8], v[9:10], v[7:8]
	v_div_scale_f64 v[9:10], vcc, v[3:4], v[1:2], v[3:4]
	v_fma_f64 v[18:19], -v[5:6], v[7:8], 1.0
	v_fma_f64 v[7:8], v[7:8], v[18:19], v[7:8]
	v_mul_f64 v[18:19], v[9:10], v[7:8]
	v_fma_f64 v[5:6], -v[5:6], v[18:19], v[9:10]
	v_div_fmas_f64 v[5:6], v[5:6], v[7:8], v[18:19]
	v_div_fixup_f64 v[7:8], v[5:6], v[1:2], v[3:4]
	v_fma_f64 v[1:2], v[3:4], v[7:8], v[1:2]
	v_div_scale_f64 v[3:4], s[10:11], v[1:2], v[1:2], 1.0
	v_div_scale_f64 v[18:19], vcc, 1.0, v[1:2], 1.0
	v_rcp_f64_e32 v[5:6], v[3:4]
	v_fma_f64 v[9:10], -v[3:4], v[5:6], 1.0
	v_fma_f64 v[5:6], v[5:6], v[9:10], v[5:6]
	v_fma_f64 v[9:10], -v[3:4], v[5:6], 1.0
	v_fma_f64 v[5:6], v[5:6], v[9:10], v[5:6]
	v_mul_f64 v[9:10], v[18:19], v[5:6]
	v_fma_f64 v[3:4], -v[3:4], v[9:10], v[18:19]
	v_div_fmas_f64 v[3:4], v[3:4], v[5:6], v[9:10]
	v_div_fixup_f64 v[5:6], v[3:4], v[1:2], 1.0
	v_mul_f64 v[7:8], v[7:8], -v[5:6]
.LBB127_321:
	s_or_b64 exec, exec, s[6:7]
	ds_write2_b64 v11, v[5:6], v[7:8] offset1:1
.LBB127_322:
	s_or_b64 exec, exec, s[8:9]
	s_waitcnt lgkmcnt(0)
	s_barrier
	ds_read2_b64 v[26:29], v11 offset1:1
	v_cmp_lt_u32_e32 vcc, 24, v0
	s_and_saveexec_b64 s[6:7], vcc
	s_cbranch_execz .LBB127_325
; %bb.323:
	buffer_load_dword v1, off, s[0:3], 0 offset:392
	buffer_load_dword v2, off, s[0:3], 0 offset:396
	;; [unrolled: 1-line block ×4, first 2 shown]
	s_movk_i32 s8, 0x190
	s_waitcnt vmcnt(2) lgkmcnt(0)
	v_mul_f64 v[5:6], v[28:29], v[1:2]
	v_mul_f64 v[1:2], v[26:27], v[1:2]
	s_waitcnt vmcnt(0)
	v_fma_f64 v[5:6], v[26:27], v[3:4], -v[5:6]
	v_fma_f64 v[1:2], v[28:29], v[3:4], v[1:2]
	buffer_store_dword v5, off, s[0:3], 0 offset:384
	buffer_store_dword v6, off, s[0:3], 0 offset:388
	buffer_store_dword v1, off, s[0:3], 0 offset:392
	buffer_store_dword v2, off, s[0:3], 0 offset:396
.LBB127_324:                            ; =>This Inner Loop Header: Depth=1
	buffer_load_dword v5, off, s[0:3], 0 offset:392
	s_nop 0
	buffer_load_dword v6, off, s[0:3], 0 offset:396
	buffer_load_dword v7, off, s[0:3], 0 offset:384
	;; [unrolled: 1-line block ×3, first 2 shown]
	v_mov_b32_e32 v13, s8
	buffer_load_dword v9, v13, s[0:3], 0 offen
	buffer_load_dword v10, v13, s[0:3], 0 offen offset:4
	buffer_load_dword v18, v13, s[0:3], 0 offen offset:8
	;; [unrolled: 1-line block ×3, first 2 shown]
	v_add_u32_e32 v14, s8, v12
	ds_read2_b64 v[1:4], v14 offset1:1
	buffer_load_dword v20, v13, s[0:3], 0 offen offset:16
	s_add_i32 s8, s8, 48
	s_cmpk_lg_i32 s8, 0x400
	s_waitcnt vmcnt(7) lgkmcnt(0)
	v_mul_f64 v[21:22], v[3:4], v[5:6]
	v_mul_f64 v[5:6], v[1:2], v[5:6]
	s_waitcnt vmcnt(5)
	v_fma_f64 v[1:2], v[1:2], v[7:8], -v[21:22]
	v_fma_f64 v[3:4], v[3:4], v[7:8], v[5:6]
	s_waitcnt vmcnt(3)
	v_add_f64 v[1:2], v[9:10], -v[1:2]
	s_waitcnt vmcnt(1)
	v_add_f64 v[3:4], v[18:19], -v[3:4]
	buffer_store_dword v2, v13, s[0:3], 0 offen offset:4
	buffer_store_dword v1, v13, s[0:3], 0 offen
	buffer_store_dword v4, v13, s[0:3], 0 offen offset:12
	buffer_store_dword v3, v13, s[0:3], 0 offen offset:8
	buffer_load_dword v6, off, s[0:3], 0 offset:396
	buffer_load_dword v5, off, s[0:3], 0 offset:392
	;; [unrolled: 1-line block ×4, first 2 shown]
	buffer_load_dword v21, v13, s[0:3], 0 offen offset:20
	buffer_load_dword v9, v13, s[0:3], 0 offen offset:24
	;; [unrolled: 1-line block ×3, first 2 shown]
	ds_read2_b64 v[1:4], v14 offset0:2 offset1:3
	s_waitcnt vmcnt(5) lgkmcnt(0)
	v_mul_f64 v[18:19], v[3:4], v[5:6]
	v_mul_f64 v[5:6], v[1:2], v[5:6]
	s_waitcnt vmcnt(3)
	v_fma_f64 v[1:2], v[1:2], v[7:8], -v[18:19]
	v_fma_f64 v[3:4], v[3:4], v[7:8], v[5:6]
	s_waitcnt vmcnt(2)
	v_add_f64 v[1:2], v[20:21], -v[1:2]
	s_waitcnt vmcnt(0)
	v_add_f64 v[3:4], v[9:10], -v[3:4]
	buffer_store_dword v2, v13, s[0:3], 0 offen offset:20
	buffer_store_dword v1, v13, s[0:3], 0 offen offset:16
	buffer_store_dword v4, v13, s[0:3], 0 offen offset:28
	buffer_store_dword v3, v13, s[0:3], 0 offen offset:24
	buffer_load_dword v5, off, s[0:3], 0 offset:392
	buffer_load_dword v6, off, s[0:3], 0 offset:396
	;; [unrolled: 1-line block ×4, first 2 shown]
	buffer_load_dword v9, v13, s[0:3], 0 offen offset:32
	buffer_load_dword v10, v13, s[0:3], 0 offen offset:36
	;; [unrolled: 1-line block ×4, first 2 shown]
	ds_read2_b64 v[1:4], v14 offset0:4 offset1:5
	s_waitcnt vmcnt(6) lgkmcnt(0)
	v_mul_f64 v[20:21], v[3:4], v[5:6]
	v_mul_f64 v[5:6], v[1:2], v[5:6]
	s_waitcnt vmcnt(4)
	v_fma_f64 v[1:2], v[1:2], v[7:8], -v[20:21]
	v_fma_f64 v[3:4], v[3:4], v[7:8], v[5:6]
	s_waitcnt vmcnt(2)
	v_add_f64 v[1:2], v[9:10], -v[1:2]
	s_waitcnt vmcnt(0)
	v_add_f64 v[3:4], v[18:19], -v[3:4]
	buffer_store_dword v2, v13, s[0:3], 0 offen offset:36
	buffer_store_dword v1, v13, s[0:3], 0 offen offset:32
	;; [unrolled: 1-line block ×4, first 2 shown]
	s_cbranch_scc1 .LBB127_324
.LBB127_325:
	s_or_b64 exec, exec, s[6:7]
	v_cmp_eq_u32_e32 vcc, 25, v0
	s_waitcnt vmcnt(0) lgkmcnt(0)
	s_barrier
	s_and_saveexec_b64 s[8:9], vcc
	s_cbranch_execz .LBB127_334
; %bb.326:
	v_mov_b32_e32 v4, s79
	buffer_load_dword v1, v4, s[0:3], 0 offen
	buffer_load_dword v2, v4, s[0:3], 0 offen offset:4
	buffer_load_dword v3, v4, s[0:3], 0 offen offset:8
	s_nop 0
	buffer_load_dword v4, v4, s[0:3], 0 offen offset:12
	s_movk_i32 s6, 0x1a0
	s_waitcnt vmcnt(0)
	ds_write2_b64 v11, v[1:2], v[3:4] offset1:1
.LBB127_327:                            ; =>This Inner Loop Header: Depth=1
	v_mov_b32_e32 v8, s6
	buffer_load_dword v1, v8, s[0:3], 0 offen
	buffer_load_dword v2, v8, s[0:3], 0 offen offset:4
	buffer_load_dword v3, v8, s[0:3], 0 offen offset:8
	;; [unrolled: 1-line block ×6, first 2 shown]
	s_nop 0
	buffer_load_dword v8, v8, s[0:3], 0 offen offset:28
	v_add_u32_e32 v9, s6, v12
	s_add_i32 s6, s6, 32
	s_cmpk_lg_i32 s6, 0x400
	s_waitcnt vmcnt(4)
	ds_write2_b64 v9, v[1:2], v[3:4] offset1:1
	s_waitcnt vmcnt(0)
	ds_write2_b64 v9, v[5:6], v[7:8] offset0:2 offset1:3
	s_cbranch_scc1 .LBB127_327
; %bb.328:
	ds_read2_b64 v[1:4], v11 offset1:1
	s_waitcnt lgkmcnt(0)
	v_cmp_neq_f64_e32 vcc, 0, v[1:2]
	v_cmp_neq_f64_e64 s[6:7], 0, v[3:4]
	s_or_b64 s[6:7], vcc, s[6:7]
	s_and_b64 exec, exec, s[6:7]
	s_cbranch_execz .LBB127_334
; %bb.329:
	v_cmp_ngt_f64_e64 s[6:7], |v[1:2]|, |v[3:4]|
                                        ; implicit-def: $vgpr5_vgpr6
	s_and_saveexec_b64 s[10:11], s[6:7]
	s_xor_b64 s[6:7], exec, s[10:11]
                                        ; implicit-def: $vgpr7_vgpr8
	s_cbranch_execz .LBB127_331
; %bb.330:
	v_div_scale_f64 v[5:6], s[10:11], v[3:4], v[3:4], v[1:2]
	v_rcp_f64_e32 v[7:8], v[5:6]
	v_fma_f64 v[9:10], -v[5:6], v[7:8], 1.0
	v_fma_f64 v[7:8], v[7:8], v[9:10], v[7:8]
	v_div_scale_f64 v[9:10], vcc, v[1:2], v[3:4], v[1:2]
	v_fma_f64 v[18:19], -v[5:6], v[7:8], 1.0
	v_fma_f64 v[7:8], v[7:8], v[18:19], v[7:8]
	v_mul_f64 v[18:19], v[9:10], v[7:8]
	v_fma_f64 v[5:6], -v[5:6], v[18:19], v[9:10]
	v_div_fmas_f64 v[5:6], v[5:6], v[7:8], v[18:19]
	v_div_fixup_f64 v[5:6], v[5:6], v[3:4], v[1:2]
	v_fma_f64 v[1:2], v[1:2], v[5:6], v[3:4]
	v_div_scale_f64 v[3:4], s[10:11], v[1:2], v[1:2], 1.0
	v_div_scale_f64 v[18:19], vcc, 1.0, v[1:2], 1.0
	v_rcp_f64_e32 v[7:8], v[3:4]
	v_fma_f64 v[9:10], -v[3:4], v[7:8], 1.0
	v_fma_f64 v[7:8], v[7:8], v[9:10], v[7:8]
	v_fma_f64 v[9:10], -v[3:4], v[7:8], 1.0
	v_fma_f64 v[7:8], v[7:8], v[9:10], v[7:8]
	v_mul_f64 v[9:10], v[18:19], v[7:8]
	v_fma_f64 v[3:4], -v[3:4], v[9:10], v[18:19]
	v_div_fmas_f64 v[3:4], v[3:4], v[7:8], v[9:10]
	v_div_fixup_f64 v[7:8], v[3:4], v[1:2], 1.0
                                        ; implicit-def: $vgpr1_vgpr2
	v_mul_f64 v[5:6], v[5:6], v[7:8]
	v_xor_b32_e32 v8, 0x80000000, v8
.LBB127_331:
	s_andn2_saveexec_b64 s[6:7], s[6:7]
	s_cbranch_execz .LBB127_333
; %bb.332:
	v_div_scale_f64 v[5:6], s[10:11], v[1:2], v[1:2], v[3:4]
	v_rcp_f64_e32 v[7:8], v[5:6]
	v_fma_f64 v[9:10], -v[5:6], v[7:8], 1.0
	v_fma_f64 v[7:8], v[7:8], v[9:10], v[7:8]
	v_div_scale_f64 v[9:10], vcc, v[3:4], v[1:2], v[3:4]
	v_fma_f64 v[18:19], -v[5:6], v[7:8], 1.0
	v_fma_f64 v[7:8], v[7:8], v[18:19], v[7:8]
	v_mul_f64 v[18:19], v[9:10], v[7:8]
	v_fma_f64 v[5:6], -v[5:6], v[18:19], v[9:10]
	v_div_fmas_f64 v[5:6], v[5:6], v[7:8], v[18:19]
	v_div_fixup_f64 v[7:8], v[5:6], v[1:2], v[3:4]
	v_fma_f64 v[1:2], v[3:4], v[7:8], v[1:2]
	v_div_scale_f64 v[3:4], s[10:11], v[1:2], v[1:2], 1.0
	v_div_scale_f64 v[18:19], vcc, 1.0, v[1:2], 1.0
	v_rcp_f64_e32 v[5:6], v[3:4]
	v_fma_f64 v[9:10], -v[3:4], v[5:6], 1.0
	v_fma_f64 v[5:6], v[5:6], v[9:10], v[5:6]
	v_fma_f64 v[9:10], -v[3:4], v[5:6], 1.0
	v_fma_f64 v[5:6], v[5:6], v[9:10], v[5:6]
	v_mul_f64 v[9:10], v[18:19], v[5:6]
	v_fma_f64 v[3:4], -v[3:4], v[9:10], v[18:19]
	v_div_fmas_f64 v[3:4], v[3:4], v[5:6], v[9:10]
	v_div_fixup_f64 v[5:6], v[3:4], v[1:2], 1.0
	v_mul_f64 v[7:8], v[7:8], -v[5:6]
.LBB127_333:
	s_or_b64 exec, exec, s[6:7]
	ds_write2_b64 v11, v[5:6], v[7:8] offset1:1
.LBB127_334:
	s_or_b64 exec, exec, s[8:9]
	s_waitcnt lgkmcnt(0)
	s_barrier
	ds_read2_b64 v[1:4], v11 offset1:1
	v_cmp_lt_u32_e32 vcc, 25, v0
	s_waitcnt lgkmcnt(0)
	buffer_store_dword v1, off, s[0:3], 0 offset:1808 ; 4-byte Folded Spill
	s_nop 0
	buffer_store_dword v2, off, s[0:3], 0 offset:1812 ; 4-byte Folded Spill
	buffer_store_dword v3, off, s[0:3], 0 offset:1816 ; 4-byte Folded Spill
	buffer_store_dword v4, off, s[0:3], 0 offset:1820 ; 4-byte Folded Spill
	s_and_saveexec_b64 s[6:7], vcc
	s_cbranch_execz .LBB127_337
; %bb.335:
	buffer_load_dword v1, off, s[0:3], 0 offset:408
	buffer_load_dword v2, off, s[0:3], 0 offset:412
	;; [unrolled: 1-line block ×4, first 2 shown]
	buffer_load_dword v7, off, s[0:3], 0 offset:1808 ; 4-byte Folded Reload
	buffer_load_dword v8, off, s[0:3], 0 offset:1812 ; 4-byte Folded Reload
	;; [unrolled: 1-line block ×4, first 2 shown]
	s_movk_i32 s8, 0x1a0
	s_waitcnt vmcnt(0)
	v_mul_f64 v[5:6], v[9:10], v[1:2]
	v_mul_f64 v[1:2], v[7:8], v[1:2]
	v_fma_f64 v[5:6], v[7:8], v[3:4], -v[5:6]
	v_fma_f64 v[1:2], v[9:10], v[3:4], v[1:2]
	buffer_store_dword v5, off, s[0:3], 0 offset:400
	buffer_store_dword v6, off, s[0:3], 0 offset:404
	;; [unrolled: 1-line block ×4, first 2 shown]
.LBB127_336:                            ; =>This Inner Loop Header: Depth=1
	v_add_u32_e32 v13, s8, v12
	ds_read2_b64 v[1:4], v13 offset1:1
	buffer_load_dword v5, off, s[0:3], 0 offset:400
	buffer_load_dword v6, off, s[0:3], 0 offset:404
	;; [unrolled: 1-line block ×4, first 2 shown]
	v_mov_b32_e32 v14, s8
	s_add_i32 s8, s8, 32
	s_cmpk_lg_i32 s8, 0x400
	s_waitcnt vmcnt(0) lgkmcnt(0)
	v_mul_f64 v[9:10], v[3:4], v[7:8]
	v_fma_f64 v[9:10], v[1:2], v[5:6], -v[9:10]
	v_mul_f64 v[1:2], v[1:2], v[7:8]
	v_fma_f64 v[1:2], v[3:4], v[5:6], v[1:2]
	buffer_load_dword v3, v14, s[0:3], 0 offen
	buffer_load_dword v4, v14, s[0:3], 0 offen offset:4
	buffer_load_dword v5, v14, s[0:3], 0 offen offset:8
	;; [unrolled: 1-line block ×7, first 2 shown]
	s_waitcnt vmcnt(6)
	v_add_f64 v[3:4], v[3:4], -v[9:10]
	s_waitcnt vmcnt(4)
	v_add_f64 v[1:2], v[5:6], -v[1:2]
	buffer_store_dword v4, v14, s[0:3], 0 offen offset:4
	buffer_store_dword v3, v14, s[0:3], 0 offen
	buffer_store_dword v2, v14, s[0:3], 0 offen offset:12
	buffer_store_dword v1, v14, s[0:3], 0 offen offset:8
	ds_read2_b64 v[1:4], v13 offset0:2 offset1:3
	buffer_load_dword v6, off, s[0:3], 0 offset:404
	buffer_load_dword v5, off, s[0:3], 0 offset:400
	;; [unrolled: 1-line block ×4, first 2 shown]
	s_waitcnt vmcnt(0) lgkmcnt(0)
	v_mul_f64 v[20:21], v[3:4], v[9:10]
	v_fma_f64 v[20:21], v[1:2], v[5:6], -v[20:21]
	v_mul_f64 v[1:2], v[1:2], v[9:10]
	v_fma_f64 v[1:2], v[3:4], v[5:6], v[1:2]
	v_add_f64 v[3:4], v[7:8], -v[20:21]
	v_add_f64 v[1:2], v[18:19], -v[1:2]
	buffer_store_dword v4, v14, s[0:3], 0 offen offset:20
	buffer_store_dword v3, v14, s[0:3], 0 offen offset:16
	;; [unrolled: 1-line block ×4, first 2 shown]
	s_cbranch_scc1 .LBB127_336
.LBB127_337:
	s_or_b64 exec, exec, s[6:7]
	v_cmp_eq_u32_e32 vcc, 26, v0
	s_waitcnt vmcnt(0)
	s_barrier
	s_and_saveexec_b64 s[8:9], vcc
	s_cbranch_execz .LBB127_348
; %bb.338:
	v_mov_b32_e32 v4, s78
	buffer_load_dword v1, v4, s[0:3], 0 offen
	buffer_load_dword v2, v4, s[0:3], 0 offen offset:4
	buffer_load_dword v3, v4, s[0:3], 0 offen offset:8
	s_nop 0
	buffer_load_dword v4, v4, s[0:3], 0 offen offset:12
	s_mov_b32 s10, 0
	s_waitcnt vmcnt(0)
	ds_write2_b64 v11, v[1:2], v[3:4] offset1:1
	s_branch .LBB127_340
.LBB127_339:                            ;   in Loop: Header=BB127_340 Depth=1
	s_andn2_b64 vcc, exec, s[6:7]
	s_cbranch_vccz .LBB127_342
.LBB127_340:                            ; =>This Inner Loop Header: Depth=1
	s_add_i32 s11, s76, s10
	v_mov_b32_e32 v10, s11
	buffer_load_dword v2, v10, s[0:3], 0 offen
	buffer_load_dword v3, v10, s[0:3], 0 offen offset:4
	buffer_load_dword v4, v10, s[0:3], 0 offen offset:8
	;; [unrolled: 1-line block ×15, first 2 shown]
	v_add_u32_e32 v1, 0x1b0, v12
	v_add_u32_e32 v1, s10, v1
	s_mov_b64 s[6:7], -1
	s_cmpk_eq_i32 s10, 0x200
	s_waitcnt vmcnt(12)
	ds_write2_b64 v1, v[2:3], v[4:5] offset1:1
	s_waitcnt vmcnt(8)
	ds_write2_b64 v1, v[6:7], v[8:9] offset0:2 offset1:3
	s_waitcnt vmcnt(4)
	ds_write2_b64 v1, v[18:19], v[20:21] offset0:4 offset1:5
	;; [unrolled: 2-line block ×3, first 2 shown]
	buffer_load_dword v3, v10, s[0:3], 0 offen offset:76
	buffer_load_dword v2, v10, s[0:3], 0 offen offset:72
	;; [unrolled: 1-line block ×4, first 2 shown]
	s_waitcnt vmcnt(0)
	ds_write2_b64 v1, v[4:5], v[2:3] offset0:8 offset1:9
	s_cbranch_scc1 .LBB127_339
; %bb.341:                              ;   in Loop: Header=BB127_340 Depth=1
	v_mov_b32_e32 v10, s11
	buffer_load_dword v2, v10, s[0:3], 0 offen offset:80
	buffer_load_dword v3, v10, s[0:3], 0 offen offset:84
	;; [unrolled: 1-line block ×12, first 2 shown]
	s_addk_i32 s10, 0x80
	s_mov_b64 s[6:7], 0
	s_waitcnt vmcnt(8)
	ds_write2_b64 v1, v[2:3], v[4:5] offset0:10 offset1:11
	s_waitcnt vmcnt(4)
	ds_write2_b64 v1, v[6:7], v[8:9] offset0:12 offset1:13
	s_waitcnt vmcnt(0)
	ds_write2_b64 v1, v[18:19], v[20:21] offset0:14 offset1:15
	s_branch .LBB127_339
.LBB127_342:
	ds_read2_b64 v[1:4], v11 offset1:1
	s_waitcnt lgkmcnt(0)
	v_cmp_neq_f64_e32 vcc, 0, v[1:2]
	v_cmp_neq_f64_e64 s[6:7], 0, v[3:4]
	s_or_b64 s[6:7], vcc, s[6:7]
	s_and_b64 exec, exec, s[6:7]
	s_cbranch_execz .LBB127_348
; %bb.343:
	v_cmp_ngt_f64_e64 s[6:7], |v[1:2]|, |v[3:4]|
                                        ; implicit-def: $vgpr5_vgpr6
	s_and_saveexec_b64 s[10:11], s[6:7]
	s_xor_b64 s[6:7], exec, s[10:11]
                                        ; implicit-def: $vgpr7_vgpr8
	s_cbranch_execz .LBB127_345
; %bb.344:
	v_div_scale_f64 v[5:6], s[10:11], v[3:4], v[3:4], v[1:2]
	v_rcp_f64_e32 v[7:8], v[5:6]
	v_fma_f64 v[9:10], -v[5:6], v[7:8], 1.0
	v_fma_f64 v[7:8], v[7:8], v[9:10], v[7:8]
	v_div_scale_f64 v[9:10], vcc, v[1:2], v[3:4], v[1:2]
	v_fma_f64 v[18:19], -v[5:6], v[7:8], 1.0
	v_fma_f64 v[7:8], v[7:8], v[18:19], v[7:8]
	v_mul_f64 v[18:19], v[9:10], v[7:8]
	v_fma_f64 v[5:6], -v[5:6], v[18:19], v[9:10]
	v_div_fmas_f64 v[5:6], v[5:6], v[7:8], v[18:19]
	v_div_fixup_f64 v[5:6], v[5:6], v[3:4], v[1:2]
	v_fma_f64 v[1:2], v[1:2], v[5:6], v[3:4]
	v_div_scale_f64 v[3:4], s[10:11], v[1:2], v[1:2], 1.0
	v_div_scale_f64 v[18:19], vcc, 1.0, v[1:2], 1.0
	v_rcp_f64_e32 v[7:8], v[3:4]
	v_fma_f64 v[9:10], -v[3:4], v[7:8], 1.0
	v_fma_f64 v[7:8], v[7:8], v[9:10], v[7:8]
	v_fma_f64 v[9:10], -v[3:4], v[7:8], 1.0
	v_fma_f64 v[7:8], v[7:8], v[9:10], v[7:8]
	v_mul_f64 v[9:10], v[18:19], v[7:8]
	v_fma_f64 v[3:4], -v[3:4], v[9:10], v[18:19]
	v_div_fmas_f64 v[3:4], v[3:4], v[7:8], v[9:10]
	v_div_fixup_f64 v[7:8], v[3:4], v[1:2], 1.0
                                        ; implicit-def: $vgpr1_vgpr2
	v_mul_f64 v[5:6], v[5:6], v[7:8]
	v_xor_b32_e32 v8, 0x80000000, v8
.LBB127_345:
	s_andn2_saveexec_b64 s[6:7], s[6:7]
	s_cbranch_execz .LBB127_347
; %bb.346:
	v_div_scale_f64 v[5:6], s[10:11], v[1:2], v[1:2], v[3:4]
	v_rcp_f64_e32 v[7:8], v[5:6]
	v_fma_f64 v[9:10], -v[5:6], v[7:8], 1.0
	v_fma_f64 v[7:8], v[7:8], v[9:10], v[7:8]
	v_div_scale_f64 v[9:10], vcc, v[3:4], v[1:2], v[3:4]
	v_fma_f64 v[18:19], -v[5:6], v[7:8], 1.0
	v_fma_f64 v[7:8], v[7:8], v[18:19], v[7:8]
	v_mul_f64 v[18:19], v[9:10], v[7:8]
	v_fma_f64 v[5:6], -v[5:6], v[18:19], v[9:10]
	v_div_fmas_f64 v[5:6], v[5:6], v[7:8], v[18:19]
	v_div_fixup_f64 v[7:8], v[5:6], v[1:2], v[3:4]
	v_fma_f64 v[1:2], v[3:4], v[7:8], v[1:2]
	v_div_scale_f64 v[3:4], s[10:11], v[1:2], v[1:2], 1.0
	v_div_scale_f64 v[18:19], vcc, 1.0, v[1:2], 1.0
	v_rcp_f64_e32 v[5:6], v[3:4]
	v_fma_f64 v[9:10], -v[3:4], v[5:6], 1.0
	v_fma_f64 v[5:6], v[5:6], v[9:10], v[5:6]
	v_fma_f64 v[9:10], -v[3:4], v[5:6], 1.0
	v_fma_f64 v[5:6], v[5:6], v[9:10], v[5:6]
	v_mul_f64 v[9:10], v[18:19], v[5:6]
	v_fma_f64 v[3:4], -v[3:4], v[9:10], v[18:19]
	v_div_fmas_f64 v[3:4], v[3:4], v[5:6], v[9:10]
	v_div_fixup_f64 v[5:6], v[3:4], v[1:2], 1.0
	v_mul_f64 v[7:8], v[7:8], -v[5:6]
.LBB127_347:
	s_or_b64 exec, exec, s[6:7]
	ds_write2_b64 v11, v[5:6], v[7:8] offset1:1
.LBB127_348:
	s_or_b64 exec, exec, s[8:9]
	s_waitcnt lgkmcnt(0)
	s_barrier
	ds_read2_b64 v[1:4], v11 offset1:1
	v_cmp_lt_u32_e32 vcc, 26, v0
	s_waitcnt lgkmcnt(0)
	buffer_store_dword v1, off, s[0:3], 0 offset:1824 ; 4-byte Folded Spill
	s_nop 0
	buffer_store_dword v2, off, s[0:3], 0 offset:1828 ; 4-byte Folded Spill
	buffer_store_dword v3, off, s[0:3], 0 offset:1832 ; 4-byte Folded Spill
	;; [unrolled: 1-line block ×3, first 2 shown]
	s_and_saveexec_b64 s[6:7], vcc
	s_cbranch_execz .LBB127_353
; %bb.349:
	buffer_load_dword v1, off, s[0:3], 0 offset:424
	buffer_load_dword v2, off, s[0:3], 0 offset:428
	;; [unrolled: 1-line block ×4, first 2 shown]
	buffer_load_dword v18, off, s[0:3], 0 offset:1824 ; 4-byte Folded Reload
	buffer_load_dword v19, off, s[0:3], 0 offset:1828 ; 4-byte Folded Reload
	buffer_load_dword v20, off, s[0:3], 0 offset:1832 ; 4-byte Folded Reload
	buffer_load_dword v21, off, s[0:3], 0 offset:1836 ; 4-byte Folded Reload
	s_movk_i32 s10, 0x1b0
	s_waitcnt vmcnt(2)
	v_mul_f64 v[7:8], v[18:19], v[1:2]
	s_waitcnt vmcnt(0)
	v_mul_f64 v[5:6], v[20:21], v[1:2]
	v_fma_f64 v[1:2], v[18:19], v[3:4], -v[5:6]
	v_fma_f64 v[3:4], v[20:21], v[3:4], v[7:8]
	buffer_store_dword v1, off, s[0:3], 0 offset:416
	buffer_store_dword v2, off, s[0:3], 0 offset:420
	;; [unrolled: 1-line block ×4, first 2 shown]
	s_branch .LBB127_351
.LBB127_350:                            ;   in Loop: Header=BB127_351 Depth=1
	s_andn2_b64 vcc, exec, s[8:9]
	s_cbranch_vccz .LBB127_353
.LBB127_351:                            ; =>This Inner Loop Header: Depth=1
	v_add_u32_e32 v5, s10, v12
	ds_read2_b64 v[6:9], v5 offset1:1
	s_mov_b32 s11, s10
	s_mov_b64 s[8:9], -1
	s_cmpk_eq_i32 s10, 0x3f0
	s_waitcnt vmcnt(0) lgkmcnt(0)
	v_mul_f64 v[18:19], v[8:9], v[3:4]
	v_mul_f64 v[3:4], v[6:7], v[3:4]
	v_fma_f64 v[18:19], v[6:7], v[1:2], -v[18:19]
	v_fma_f64 v[1:2], v[8:9], v[1:2], v[3:4]
	v_mov_b32_e32 v8, s10
	buffer_load_dword v3, v8, s[0:3], 0 offen
	buffer_load_dword v4, v8, s[0:3], 0 offen offset:4
	buffer_load_dword v6, v8, s[0:3], 0 offen offset:8
	;; [unrolled: 1-line block ×3, first 2 shown]
	s_waitcnt vmcnt(2)
	v_add_f64 v[3:4], v[3:4], -v[18:19]
	s_waitcnt vmcnt(0)
	v_add_f64 v[1:2], v[6:7], -v[1:2]
	buffer_store_dword v3, v8, s[0:3], 0 offen
	buffer_store_dword v4, v8, s[0:3], 0 offen offset:4
	buffer_store_dword v1, v8, s[0:3], 0 offen offset:8
	;; [unrolled: 1-line block ×3, first 2 shown]
                                        ; implicit-def: $vgpr1_vgpr2
                                        ; implicit-def: $vgpr3_vgpr4
	s_cbranch_scc1 .LBB127_350
; %bb.352:                              ;   in Loop: Header=BB127_351 Depth=1
	buffer_load_dword v6, off, s[0:3], 0 offset:424
	buffer_load_dword v7, off, s[0:3], 0 offset:428
	;; [unrolled: 1-line block ×4, first 2 shown]
	v_mov_b32_e32 v10, s11
	buffer_load_dword v18, v10, s[0:3], 0 offen offset:16
	buffer_load_dword v19, v10, s[0:3], 0 offen offset:20
	;; [unrolled: 1-line block ×4, first 2 shown]
	ds_read2_b64 v[1:4], v5 offset0:2 offset1:3
	s_add_i32 s10, s10, 64
	s_mov_b64 s[8:9], 0
	s_waitcnt vmcnt(6) lgkmcnt(0)
	v_mul_f64 v[22:23], v[3:4], v[6:7]
	v_mul_f64 v[6:7], v[1:2], v[6:7]
	s_waitcnt vmcnt(4)
	v_fma_f64 v[1:2], v[1:2], v[8:9], -v[22:23]
	v_fma_f64 v[3:4], v[3:4], v[8:9], v[6:7]
	s_waitcnt vmcnt(2)
	v_add_f64 v[1:2], v[18:19], -v[1:2]
	s_waitcnt vmcnt(0)
	v_add_f64 v[3:4], v[20:21], -v[3:4]
	buffer_store_dword v2, v10, s[0:3], 0 offen offset:20
	buffer_store_dword v1, v10, s[0:3], 0 offen offset:16
	;; [unrolled: 1-line block ×4, first 2 shown]
	buffer_load_dword v7, off, s[0:3], 0 offset:428
	buffer_load_dword v6, off, s[0:3], 0 offset:424
	;; [unrolled: 1-line block ×4, first 2 shown]
	buffer_load_dword v19, v10, s[0:3], 0 offen offset:36
	buffer_load_dword v18, v10, s[0:3], 0 offen offset:32
	;; [unrolled: 1-line block ×4, first 2 shown]
	ds_read2_b64 v[1:4], v5 offset0:4 offset1:5
	s_waitcnt vmcnt(6) lgkmcnt(0)
	v_mul_f64 v[22:23], v[3:4], v[6:7]
	v_mul_f64 v[6:7], v[1:2], v[6:7]
	s_waitcnt vmcnt(4)
	v_fma_f64 v[1:2], v[1:2], v[8:9], -v[22:23]
	v_fma_f64 v[3:4], v[3:4], v[8:9], v[6:7]
	s_waitcnt vmcnt(2)
	v_add_f64 v[1:2], v[18:19], -v[1:2]
	s_waitcnt vmcnt(0)
	v_add_f64 v[3:4], v[20:21], -v[3:4]
	buffer_store_dword v2, v10, s[0:3], 0 offen offset:36
	buffer_store_dword v1, v10, s[0:3], 0 offen offset:32
	;; [unrolled: 1-line block ×4, first 2 shown]
	buffer_load_dword v6, off, s[0:3], 0 offset:424
	buffer_load_dword v7, off, s[0:3], 0 offset:428
	;; [unrolled: 1-line block ×4, first 2 shown]
	buffer_load_dword v19, v10, s[0:3], 0 offen offset:52
	buffer_load_dword v18, v10, s[0:3], 0 offen offset:48
	;; [unrolled: 1-line block ×4, first 2 shown]
	ds_read2_b64 v[1:4], v5 offset0:6 offset1:7
	s_waitcnt vmcnt(6) lgkmcnt(0)
	v_mul_f64 v[22:23], v[3:4], v[6:7]
	v_mul_f64 v[5:6], v[1:2], v[6:7]
	s_waitcnt vmcnt(4)
	v_fma_f64 v[1:2], v[1:2], v[8:9], -v[22:23]
	v_fma_f64 v[3:4], v[3:4], v[8:9], v[5:6]
	s_waitcnt vmcnt(2)
	v_add_f64 v[1:2], v[18:19], -v[1:2]
	s_waitcnt vmcnt(0)
	v_add_f64 v[3:4], v[20:21], -v[3:4]
	buffer_store_dword v2, v10, s[0:3], 0 offen offset:52
	buffer_store_dword v1, v10, s[0:3], 0 offen offset:48
	buffer_store_dword v4, v10, s[0:3], 0 offen offset:60
	buffer_store_dword v3, v10, s[0:3], 0 offen offset:56
	buffer_load_dword v1, off, s[0:3], 0 offset:416
	s_nop 0
	buffer_load_dword v2, off, s[0:3], 0 offset:420
	buffer_load_dword v3, off, s[0:3], 0 offset:424
	;; [unrolled: 1-line block ×3, first 2 shown]
	s_branch .LBB127_350
.LBB127_353:
	s_or_b64 exec, exec, s[6:7]
	v_cmp_eq_u32_e32 vcc, 27, v0
	s_waitcnt vmcnt(0)
	s_barrier
	s_and_saveexec_b64 s[8:9], vcc
	s_cbranch_execz .LBB127_360
; %bb.354:
	v_mov_b32_e32 v4, s76
	buffer_load_dword v1, v4, s[0:3], 0 offen
	buffer_load_dword v2, v4, s[0:3], 0 offen offset:4
	buffer_load_dword v3, v4, s[0:3], 0 offen offset:8
	s_nop 0
	buffer_load_dword v4, v4, s[0:3], 0 offen offset:12
	s_waitcnt vmcnt(0)
	ds_write2_b64 v11, v[1:2], v[3:4] offset1:1
	v_mov_b32_e32 v4, s75
	buffer_load_dword v1, v4, s[0:3], 0 offen
	buffer_load_dword v2, v4, s[0:3], 0 offen offset:4
	buffer_load_dword v3, v4, s[0:3], 0 offen offset:8
	s_nop 0
	buffer_load_dword v4, v4, s[0:3], 0 offen offset:12
	s_waitcnt vmcnt(0)
	ds_write2_b64 v12, v[1:2], v[3:4] offset0:56 offset1:57
	v_mov_b32_e32 v4, s74
	buffer_load_dword v1, v4, s[0:3], 0 offen
	buffer_load_dword v2, v4, s[0:3], 0 offen offset:4
	buffer_load_dword v3, v4, s[0:3], 0 offen offset:8
	s_nop 0
	buffer_load_dword v4, v4, s[0:3], 0 offen offset:12
	s_waitcnt vmcnt(0)
	ds_write2_b64 v12, v[1:2], v[3:4] offset0:58 offset1:59
	;; [unrolled: 8-line block ×36, first 2 shown]
	ds_read2_b64 v[1:4], v11 offset1:1
	s_waitcnt lgkmcnt(0)
	v_cmp_neq_f64_e32 vcc, 0, v[1:2]
	v_cmp_neq_f64_e64 s[6:7], 0, v[3:4]
	s_or_b64 s[6:7], vcc, s[6:7]
	s_and_b64 exec, exec, s[6:7]
	s_cbranch_execz .LBB127_360
; %bb.355:
	v_cmp_ngt_f64_e64 s[6:7], |v[1:2]|, |v[3:4]|
                                        ; implicit-def: $vgpr5_vgpr6
	s_and_saveexec_b64 s[10:11], s[6:7]
	s_xor_b64 s[6:7], exec, s[10:11]
                                        ; implicit-def: $vgpr7_vgpr8
	s_cbranch_execz .LBB127_357
; %bb.356:
	v_div_scale_f64 v[5:6], s[10:11], v[3:4], v[3:4], v[1:2]
	v_rcp_f64_e32 v[7:8], v[5:6]
	v_fma_f64 v[9:10], -v[5:6], v[7:8], 1.0
	v_fma_f64 v[7:8], v[7:8], v[9:10], v[7:8]
	v_div_scale_f64 v[9:10], vcc, v[1:2], v[3:4], v[1:2]
	v_fma_f64 v[18:19], -v[5:6], v[7:8], 1.0
	v_fma_f64 v[7:8], v[7:8], v[18:19], v[7:8]
	v_mul_f64 v[18:19], v[9:10], v[7:8]
	v_fma_f64 v[5:6], -v[5:6], v[18:19], v[9:10]
	v_div_fmas_f64 v[5:6], v[5:6], v[7:8], v[18:19]
	v_div_fixup_f64 v[5:6], v[5:6], v[3:4], v[1:2]
	v_fma_f64 v[1:2], v[1:2], v[5:6], v[3:4]
	v_div_scale_f64 v[3:4], s[10:11], v[1:2], v[1:2], 1.0
	v_div_scale_f64 v[18:19], vcc, 1.0, v[1:2], 1.0
	v_rcp_f64_e32 v[7:8], v[3:4]
	v_fma_f64 v[9:10], -v[3:4], v[7:8], 1.0
	v_fma_f64 v[7:8], v[7:8], v[9:10], v[7:8]
	v_fma_f64 v[9:10], -v[3:4], v[7:8], 1.0
	v_fma_f64 v[7:8], v[7:8], v[9:10], v[7:8]
	v_mul_f64 v[9:10], v[18:19], v[7:8]
	v_fma_f64 v[3:4], -v[3:4], v[9:10], v[18:19]
	v_div_fmas_f64 v[3:4], v[3:4], v[7:8], v[9:10]
	v_div_fixup_f64 v[7:8], v[3:4], v[1:2], 1.0
                                        ; implicit-def: $vgpr1_vgpr2
	v_mul_f64 v[5:6], v[5:6], v[7:8]
	v_xor_b32_e32 v8, 0x80000000, v8
.LBB127_357:
	s_andn2_saveexec_b64 s[6:7], s[6:7]
	s_cbranch_execz .LBB127_359
; %bb.358:
	v_div_scale_f64 v[5:6], s[10:11], v[1:2], v[1:2], v[3:4]
	v_rcp_f64_e32 v[7:8], v[5:6]
	v_fma_f64 v[9:10], -v[5:6], v[7:8], 1.0
	v_fma_f64 v[7:8], v[7:8], v[9:10], v[7:8]
	v_div_scale_f64 v[9:10], vcc, v[3:4], v[1:2], v[3:4]
	v_fma_f64 v[18:19], -v[5:6], v[7:8], 1.0
	v_fma_f64 v[7:8], v[7:8], v[18:19], v[7:8]
	v_mul_f64 v[18:19], v[9:10], v[7:8]
	v_fma_f64 v[5:6], -v[5:6], v[18:19], v[9:10]
	v_div_fmas_f64 v[5:6], v[5:6], v[7:8], v[18:19]
	v_div_fixup_f64 v[7:8], v[5:6], v[1:2], v[3:4]
	v_fma_f64 v[1:2], v[3:4], v[7:8], v[1:2]
	v_div_scale_f64 v[3:4], s[10:11], v[1:2], v[1:2], 1.0
	v_div_scale_f64 v[18:19], vcc, 1.0, v[1:2], 1.0
	v_rcp_f64_e32 v[5:6], v[3:4]
	v_fma_f64 v[9:10], -v[3:4], v[5:6], 1.0
	v_fma_f64 v[5:6], v[5:6], v[9:10], v[5:6]
	v_fma_f64 v[9:10], -v[3:4], v[5:6], 1.0
	v_fma_f64 v[5:6], v[5:6], v[9:10], v[5:6]
	v_mul_f64 v[9:10], v[18:19], v[5:6]
	v_fma_f64 v[3:4], -v[3:4], v[9:10], v[18:19]
	v_div_fmas_f64 v[3:4], v[3:4], v[5:6], v[9:10]
	v_div_fixup_f64 v[5:6], v[3:4], v[1:2], 1.0
	v_mul_f64 v[7:8], v[7:8], -v[5:6]
.LBB127_359:
	s_or_b64 exec, exec, s[6:7]
	ds_write2_b64 v11, v[5:6], v[7:8] offset1:1
.LBB127_360:
	s_or_b64 exec, exec, s[8:9]
	buffer_store_dword v26, off, s[0:3], 0 offset:2064 ; 4-byte Folded Spill
	s_nop 0
	buffer_store_dword v27, off, s[0:3], 0 offset:2068 ; 4-byte Folded Spill
	buffer_store_dword v28, off, s[0:3], 0 offset:2072 ; 4-byte Folded Spill
	;; [unrolled: 1-line block ×3, first 2 shown]
	s_waitcnt vmcnt(0) lgkmcnt(0)
	s_barrier
	ds_read2_b64 v[1:4], v11 offset1:1
	v_cmp_lt_u32_e32 vcc, 27, v0
	s_waitcnt lgkmcnt(0)
	buffer_store_dword v1, off, s[0:3], 0 offset:1840 ; 4-byte Folded Spill
	s_nop 0
	buffer_store_dword v2, off, s[0:3], 0 offset:1844 ; 4-byte Folded Spill
	buffer_store_dword v3, off, s[0:3], 0 offset:1848 ; 4-byte Folded Spill
	;; [unrolled: 1-line block ×3, first 2 shown]
	s_and_saveexec_b64 s[6:7], vcc
	s_cbranch_execz .LBB127_363
; %bb.361:
	buffer_load_dword v1, off, s[0:3], 0 offset:440
	buffer_load_dword v2, off, s[0:3], 0 offset:444
	buffer_load_dword v3, off, s[0:3], 0 offset:432
	buffer_load_dword v4, off, s[0:3], 0 offset:436
	buffer_load_dword v7, off, s[0:3], 0 offset:1840 ; 4-byte Folded Reload
	buffer_load_dword v8, off, s[0:3], 0 offset:1844 ; 4-byte Folded Reload
	buffer_load_dword v9, off, s[0:3], 0 offset:1848 ; 4-byte Folded Reload
	buffer_load_dword v10, off, s[0:3], 0 offset:1852 ; 4-byte Folded Reload
	s_movk_i32 s8, 0x1c0
	s_waitcnt vmcnt(0)
	v_mul_f64 v[5:6], v[9:10], v[1:2]
	v_mul_f64 v[1:2], v[7:8], v[1:2]
	v_fma_f64 v[5:6], v[7:8], v[3:4], -v[5:6]
	v_fma_f64 v[1:2], v[9:10], v[3:4], v[1:2]
	buffer_store_dword v5, off, s[0:3], 0 offset:432
	buffer_store_dword v6, off, s[0:3], 0 offset:436
	;; [unrolled: 1-line block ×4, first 2 shown]
.LBB127_362:                            ; =>This Inner Loop Header: Depth=1
	buffer_load_dword v7, off, s[0:3], 0 offset:440
	buffer_load_dword v8, off, s[0:3], 0 offset:444
	;; [unrolled: 1-line block ×4, first 2 shown]
	v_mov_b32_e32 v1, s8
	buffer_load_dword v18, v1, s[0:3], 0 offen
	buffer_load_dword v19, v1, s[0:3], 0 offen offset:4
	buffer_load_dword v20, v1, s[0:3], 0 offen offset:8
	;; [unrolled: 1-line block ×3, first 2 shown]
	v_add_u32_e32 v2, s8, v12
	ds_read2_b64 v[3:6], v2 offset1:1
	buffer_load_dword v22, v1, s[0:3], 0 offen offset:16
	buffer_load_dword v23, v1, s[0:3], 0 offen offset:20
	;; [unrolled: 1-line block ×3, first 2 shown]
	s_addk_i32 s8, 0x60
	s_cmpk_lg_i32 s8, 0x400
	s_waitcnt vmcnt(9) lgkmcnt(0)
	v_mul_f64 v[25:26], v[5:6], v[7:8]
	v_mul_f64 v[7:8], v[3:4], v[7:8]
	s_waitcnt vmcnt(7)
	v_fma_f64 v[3:4], v[3:4], v[9:10], -v[25:26]
	v_fma_f64 v[5:6], v[5:6], v[9:10], v[7:8]
	s_waitcnt vmcnt(5)
	v_add_f64 v[3:4], v[18:19], -v[3:4]
	s_waitcnt vmcnt(3)
	v_add_f64 v[5:6], v[20:21], -v[5:6]
	buffer_store_dword v4, v1, s[0:3], 0 offen offset:4
	buffer_store_dword v3, v1, s[0:3], 0 offen
	buffer_store_dword v6, v1, s[0:3], 0 offen offset:12
	buffer_store_dword v5, v1, s[0:3], 0 offen offset:8
	buffer_load_dword v8, off, s[0:3], 0 offset:444
	buffer_load_dword v7, off, s[0:3], 0 offset:440
	;; [unrolled: 1-line block ×4, first 2 shown]
	buffer_load_dword v25, v1, s[0:3], 0 offen offset:28
	ds_read2_b64 v[3:6], v2 offset0:2 offset1:3
	buffer_load_dword v18, v1, s[0:3], 0 offen offset:32
	buffer_load_dword v19, v1, s[0:3], 0 offen offset:36
	buffer_load_dword v20, v1, s[0:3], 0 offen offset:40
	s_waitcnt vmcnt(6) lgkmcnt(0)
	v_mul_f64 v[26:27], v[5:6], v[7:8]
	v_mul_f64 v[7:8], v[3:4], v[7:8]
	s_waitcnt vmcnt(4)
	v_fma_f64 v[3:4], v[3:4], v[9:10], -v[26:27]
	v_fma_f64 v[5:6], v[5:6], v[9:10], v[7:8]
	v_add_f64 v[3:4], v[22:23], -v[3:4]
	s_waitcnt vmcnt(3)
	v_add_f64 v[5:6], v[24:25], -v[5:6]
	buffer_store_dword v4, v1, s[0:3], 0 offen offset:20
	buffer_store_dword v3, v1, s[0:3], 0 offen offset:16
	;; [unrolled: 1-line block ×4, first 2 shown]
	buffer_load_dword v7, off, s[0:3], 0 offset:440
	buffer_load_dword v8, off, s[0:3], 0 offset:444
	buffer_load_dword v9, off, s[0:3], 0 offset:432
	buffer_load_dword v10, off, s[0:3], 0 offset:436
	buffer_load_dword v21, v1, s[0:3], 0 offen offset:44
	ds_read2_b64 v[3:6], v2 offset0:4 offset1:5
	buffer_load_dword v22, v1, s[0:3], 0 offen offset:48
	buffer_load_dword v23, v1, s[0:3], 0 offen offset:52
	;; [unrolled: 1-line block ×3, first 2 shown]
	s_waitcnt vmcnt(6) lgkmcnt(0)
	v_mul_f64 v[25:26], v[5:6], v[7:8]
	v_mul_f64 v[7:8], v[3:4], v[7:8]
	s_waitcnt vmcnt(4)
	v_fma_f64 v[3:4], v[3:4], v[9:10], -v[25:26]
	v_fma_f64 v[5:6], v[5:6], v[9:10], v[7:8]
	v_add_f64 v[3:4], v[18:19], -v[3:4]
	s_waitcnt vmcnt(3)
	v_add_f64 v[5:6], v[20:21], -v[5:6]
	buffer_store_dword v4, v1, s[0:3], 0 offen offset:36
	buffer_store_dword v3, v1, s[0:3], 0 offen offset:32
	;; [unrolled: 1-line block ×4, first 2 shown]
	buffer_load_dword v7, off, s[0:3], 0 offset:440
	buffer_load_dword v8, off, s[0:3], 0 offset:444
	;; [unrolled: 1-line block ×4, first 2 shown]
	buffer_load_dword v25, v1, s[0:3], 0 offen offset:60
	ds_read2_b64 v[3:6], v2 offset0:6 offset1:7
	buffer_load_dword v18, v1, s[0:3], 0 offen offset:64
	s_waitcnt vmcnt(4) lgkmcnt(0)
	v_mul_f64 v[19:20], v[5:6], v[7:8]
	v_mul_f64 v[7:8], v[3:4], v[7:8]
	s_waitcnt vmcnt(2)
	v_fma_f64 v[3:4], v[3:4], v[9:10], -v[19:20]
	v_fma_f64 v[5:6], v[5:6], v[9:10], v[7:8]
	v_add_f64 v[3:4], v[22:23], -v[3:4]
	s_waitcnt vmcnt(1)
	v_add_f64 v[5:6], v[24:25], -v[5:6]
	buffer_store_dword v4, v1, s[0:3], 0 offen offset:52
	buffer_store_dword v3, v1, s[0:3], 0 offen offset:48
	;; [unrolled: 1-line block ×4, first 2 shown]
	buffer_load_dword v7, off, s[0:3], 0 offset:440
	buffer_load_dword v8, off, s[0:3], 0 offset:444
	;; [unrolled: 1-line block ×4, first 2 shown]
	buffer_load_dword v19, v1, s[0:3], 0 offen offset:68
	buffer_load_dword v20, v1, s[0:3], 0 offen offset:72
	;; [unrolled: 1-line block ×3, first 2 shown]
	ds_read2_b64 v[3:6], v2 offset0:8 offset1:9
	s_waitcnt vmcnt(5) lgkmcnt(0)
	v_mul_f64 v[22:23], v[5:6], v[7:8]
	v_mul_f64 v[7:8], v[3:4], v[7:8]
	s_waitcnt vmcnt(3)
	v_fma_f64 v[3:4], v[3:4], v[9:10], -v[22:23]
	v_fma_f64 v[5:6], v[5:6], v[9:10], v[7:8]
	s_waitcnt vmcnt(2)
	v_add_f64 v[3:4], v[18:19], -v[3:4]
	s_waitcnt vmcnt(0)
	v_add_f64 v[5:6], v[20:21], -v[5:6]
	buffer_store_dword v4, v1, s[0:3], 0 offen offset:68
	buffer_store_dword v3, v1, s[0:3], 0 offen offset:64
	;; [unrolled: 1-line block ×4, first 2 shown]
	buffer_load_dword v6, off, s[0:3], 0 offset:440
	s_nop 0
	buffer_load_dword v7, off, s[0:3], 0 offset:444
	buffer_load_dword v8, off, s[0:3], 0 offset:432
	;; [unrolled: 1-line block ×3, first 2 shown]
	buffer_load_dword v18, v1, s[0:3], 0 offen offset:80
	buffer_load_dword v19, v1, s[0:3], 0 offen offset:84
	;; [unrolled: 1-line block ×4, first 2 shown]
	ds_read2_b64 v[2:5], v2 offset0:10 offset1:11
	s_waitcnt vmcnt(6) lgkmcnt(0)
	v_mul_f64 v[22:23], v[4:5], v[6:7]
	v_mul_f64 v[6:7], v[2:3], v[6:7]
	s_waitcnt vmcnt(4)
	v_fma_f64 v[2:3], v[2:3], v[8:9], -v[22:23]
	v_fma_f64 v[4:5], v[4:5], v[8:9], v[6:7]
	s_waitcnt vmcnt(2)
	v_add_f64 v[2:3], v[18:19], -v[2:3]
	s_waitcnt vmcnt(0)
	v_add_f64 v[4:5], v[20:21], -v[4:5]
	buffer_store_dword v3, v1, s[0:3], 0 offen offset:84
	buffer_store_dword v2, v1, s[0:3], 0 offen offset:80
	;; [unrolled: 1-line block ×4, first 2 shown]
	s_cbranch_scc1 .LBB127_362
.LBB127_363:
	s_or_b64 exec, exec, s[6:7]
	v_cmp_eq_u32_e32 vcc, 28, v0
	s_waitcnt vmcnt(0)
	s_barrier
	s_and_saveexec_b64 s[8:9], vcc
	s_cbranch_execz .LBB127_370
; %bb.364:
	v_mov_b32_e32 v4, s75
	buffer_load_dword v1, v4, s[0:3], 0 offen
	buffer_load_dword v2, v4, s[0:3], 0 offen offset:4
	buffer_load_dword v3, v4, s[0:3], 0 offen offset:8
	s_nop 0
	buffer_load_dword v4, v4, s[0:3], 0 offen offset:12
	s_waitcnt vmcnt(0)
	ds_write2_b64 v11, v[1:2], v[3:4] offset1:1
	v_mov_b32_e32 v4, s74
	buffer_load_dword v1, v4, s[0:3], 0 offen
	buffer_load_dword v2, v4, s[0:3], 0 offen offset:4
	buffer_load_dword v3, v4, s[0:3], 0 offen offset:8
	s_nop 0
	buffer_load_dword v4, v4, s[0:3], 0 offen offset:12
	s_waitcnt vmcnt(0)
	ds_write2_b64 v12, v[1:2], v[3:4] offset0:58 offset1:59
	v_mov_b32_e32 v4, s73
	buffer_load_dword v1, v4, s[0:3], 0 offen
	buffer_load_dword v2, v4, s[0:3], 0 offen offset:4
	buffer_load_dword v3, v4, s[0:3], 0 offen offset:8
	s_nop 0
	buffer_load_dword v4, v4, s[0:3], 0 offen offset:12
	s_waitcnt vmcnt(0)
	ds_write2_b64 v12, v[1:2], v[3:4] offset0:60 offset1:61
	;; [unrolled: 8-line block ×35, first 2 shown]
	ds_read2_b64 v[1:4], v11 offset1:1
	s_waitcnt lgkmcnt(0)
	v_cmp_neq_f64_e32 vcc, 0, v[1:2]
	v_cmp_neq_f64_e64 s[6:7], 0, v[3:4]
	s_or_b64 s[6:7], vcc, s[6:7]
	s_and_b64 exec, exec, s[6:7]
	s_cbranch_execz .LBB127_370
; %bb.365:
	v_cmp_ngt_f64_e64 s[6:7], |v[1:2]|, |v[3:4]|
                                        ; implicit-def: $vgpr5_vgpr6
	s_and_saveexec_b64 s[10:11], s[6:7]
	s_xor_b64 s[6:7], exec, s[10:11]
                                        ; implicit-def: $vgpr7_vgpr8
	s_cbranch_execz .LBB127_367
; %bb.366:
	v_div_scale_f64 v[5:6], s[10:11], v[3:4], v[3:4], v[1:2]
	v_rcp_f64_e32 v[7:8], v[5:6]
	v_fma_f64 v[9:10], -v[5:6], v[7:8], 1.0
	v_fma_f64 v[7:8], v[7:8], v[9:10], v[7:8]
	v_div_scale_f64 v[9:10], vcc, v[1:2], v[3:4], v[1:2]
	v_fma_f64 v[18:19], -v[5:6], v[7:8], 1.0
	v_fma_f64 v[7:8], v[7:8], v[18:19], v[7:8]
	v_mul_f64 v[18:19], v[9:10], v[7:8]
	v_fma_f64 v[5:6], -v[5:6], v[18:19], v[9:10]
	v_div_fmas_f64 v[5:6], v[5:6], v[7:8], v[18:19]
	v_div_fixup_f64 v[5:6], v[5:6], v[3:4], v[1:2]
	v_fma_f64 v[1:2], v[1:2], v[5:6], v[3:4]
	v_div_scale_f64 v[3:4], s[10:11], v[1:2], v[1:2], 1.0
	v_div_scale_f64 v[18:19], vcc, 1.0, v[1:2], 1.0
	v_rcp_f64_e32 v[7:8], v[3:4]
	v_fma_f64 v[9:10], -v[3:4], v[7:8], 1.0
	v_fma_f64 v[7:8], v[7:8], v[9:10], v[7:8]
	v_fma_f64 v[9:10], -v[3:4], v[7:8], 1.0
	v_fma_f64 v[7:8], v[7:8], v[9:10], v[7:8]
	v_mul_f64 v[9:10], v[18:19], v[7:8]
	v_fma_f64 v[3:4], -v[3:4], v[9:10], v[18:19]
	v_div_fmas_f64 v[3:4], v[3:4], v[7:8], v[9:10]
	v_div_fixup_f64 v[7:8], v[3:4], v[1:2], 1.0
                                        ; implicit-def: $vgpr1_vgpr2
	v_mul_f64 v[5:6], v[5:6], v[7:8]
	v_xor_b32_e32 v8, 0x80000000, v8
.LBB127_367:
	s_andn2_saveexec_b64 s[6:7], s[6:7]
	s_cbranch_execz .LBB127_369
; %bb.368:
	v_div_scale_f64 v[5:6], s[10:11], v[1:2], v[1:2], v[3:4]
	v_rcp_f64_e32 v[7:8], v[5:6]
	v_fma_f64 v[9:10], -v[5:6], v[7:8], 1.0
	v_fma_f64 v[7:8], v[7:8], v[9:10], v[7:8]
	v_div_scale_f64 v[9:10], vcc, v[3:4], v[1:2], v[3:4]
	v_fma_f64 v[18:19], -v[5:6], v[7:8], 1.0
	v_fma_f64 v[7:8], v[7:8], v[18:19], v[7:8]
	v_mul_f64 v[18:19], v[9:10], v[7:8]
	v_fma_f64 v[5:6], -v[5:6], v[18:19], v[9:10]
	v_div_fmas_f64 v[5:6], v[5:6], v[7:8], v[18:19]
	v_div_fixup_f64 v[7:8], v[5:6], v[1:2], v[3:4]
	v_fma_f64 v[1:2], v[3:4], v[7:8], v[1:2]
	v_div_scale_f64 v[3:4], s[10:11], v[1:2], v[1:2], 1.0
	v_div_scale_f64 v[18:19], vcc, 1.0, v[1:2], 1.0
	v_rcp_f64_e32 v[5:6], v[3:4]
	v_fma_f64 v[9:10], -v[3:4], v[5:6], 1.0
	v_fma_f64 v[5:6], v[5:6], v[9:10], v[5:6]
	v_fma_f64 v[9:10], -v[3:4], v[5:6], 1.0
	v_fma_f64 v[5:6], v[5:6], v[9:10], v[5:6]
	v_mul_f64 v[9:10], v[18:19], v[5:6]
	v_fma_f64 v[3:4], -v[3:4], v[9:10], v[18:19]
	v_div_fmas_f64 v[3:4], v[3:4], v[5:6], v[9:10]
	v_div_fixup_f64 v[5:6], v[3:4], v[1:2], 1.0
	v_mul_f64 v[7:8], v[7:8], -v[5:6]
.LBB127_369:
	s_or_b64 exec, exec, s[6:7]
	ds_write2_b64 v11, v[5:6], v[7:8] offset1:1
.LBB127_370:
	s_or_b64 exec, exec, s[8:9]
	s_waitcnt lgkmcnt(0)
	s_barrier
	ds_read2_b64 v[1:4], v11 offset1:1
	v_cmp_lt_u32_e32 vcc, 28, v0
	s_waitcnt lgkmcnt(0)
	buffer_store_dword v1, off, s[0:3], 0 offset:1856 ; 4-byte Folded Spill
	s_nop 0
	buffer_store_dword v2, off, s[0:3], 0 offset:1860 ; 4-byte Folded Spill
	buffer_store_dword v3, off, s[0:3], 0 offset:1864 ; 4-byte Folded Spill
	;; [unrolled: 1-line block ×3, first 2 shown]
	s_and_saveexec_b64 s[6:7], vcc
	s_cbranch_execz .LBB127_373
; %bb.371:
	buffer_load_dword v1, off, s[0:3], 0 offset:456
	buffer_load_dword v2, off, s[0:3], 0 offset:460
	;; [unrolled: 1-line block ×4, first 2 shown]
	buffer_load_dword v7, off, s[0:3], 0 offset:1856 ; 4-byte Folded Reload
	buffer_load_dword v8, off, s[0:3], 0 offset:1860 ; 4-byte Folded Reload
	;; [unrolled: 1-line block ×4, first 2 shown]
	s_movk_i32 s8, 0x1d0
	s_waitcnt vmcnt(0)
	v_mul_f64 v[5:6], v[9:10], v[1:2]
	v_mul_f64 v[1:2], v[7:8], v[1:2]
	v_fma_f64 v[5:6], v[7:8], v[3:4], -v[5:6]
	v_fma_f64 v[1:2], v[9:10], v[3:4], v[1:2]
	buffer_store_dword v5, off, s[0:3], 0 offset:448
	buffer_store_dword v6, off, s[0:3], 0 offset:452
	;; [unrolled: 1-line block ×4, first 2 shown]
.LBB127_372:                            ; =>This Inner Loop Header: Depth=1
	buffer_load_dword v7, off, s[0:3], 0 offset:456
	buffer_load_dword v8, off, s[0:3], 0 offset:460
	buffer_load_dword v9, off, s[0:3], 0 offset:448
	buffer_load_dword v10, off, s[0:3], 0 offset:452
	v_mov_b32_e32 v1, s8
	buffer_load_dword v18, v1, s[0:3], 0 offen
	buffer_load_dword v19, v1, s[0:3], 0 offen offset:4
	buffer_load_dword v20, v1, s[0:3], 0 offen offset:8
	;; [unrolled: 1-line block ×3, first 2 shown]
	v_add_u32_e32 v2, s8, v12
	ds_read2_b64 v[3:6], v2 offset1:1
	buffer_load_dword v22, v1, s[0:3], 0 offen offset:16
	buffer_load_dword v23, v1, s[0:3], 0 offen offset:20
	;; [unrolled: 1-line block ×3, first 2 shown]
	s_addk_i32 s8, 0x70
	s_cmpk_lg_i32 s8, 0x400
	s_waitcnt vmcnt(9) lgkmcnt(0)
	v_mul_f64 v[25:26], v[5:6], v[7:8]
	v_mul_f64 v[7:8], v[3:4], v[7:8]
	s_waitcnt vmcnt(7)
	v_fma_f64 v[3:4], v[3:4], v[9:10], -v[25:26]
	v_fma_f64 v[5:6], v[5:6], v[9:10], v[7:8]
	s_waitcnt vmcnt(5)
	v_add_f64 v[3:4], v[18:19], -v[3:4]
	s_waitcnt vmcnt(3)
	v_add_f64 v[5:6], v[20:21], -v[5:6]
	buffer_store_dword v4, v1, s[0:3], 0 offen offset:4
	buffer_store_dword v3, v1, s[0:3], 0 offen
	buffer_store_dword v6, v1, s[0:3], 0 offen offset:12
	buffer_store_dword v5, v1, s[0:3], 0 offen offset:8
	buffer_load_dword v8, off, s[0:3], 0 offset:460
	buffer_load_dword v7, off, s[0:3], 0 offset:456
	buffer_load_dword v10, off, s[0:3], 0 offset:452
	buffer_load_dword v9, off, s[0:3], 0 offset:448
	buffer_load_dword v25, v1, s[0:3], 0 offen offset:28
	ds_read2_b64 v[3:6], v2 offset0:2 offset1:3
	buffer_load_dword v18, v1, s[0:3], 0 offen offset:32
	buffer_load_dword v19, v1, s[0:3], 0 offen offset:36
	buffer_load_dword v20, v1, s[0:3], 0 offen offset:40
	s_waitcnt vmcnt(6) lgkmcnt(0)
	v_mul_f64 v[26:27], v[5:6], v[7:8]
	v_mul_f64 v[7:8], v[3:4], v[7:8]
	s_waitcnt vmcnt(4)
	v_fma_f64 v[3:4], v[3:4], v[9:10], -v[26:27]
	v_fma_f64 v[5:6], v[5:6], v[9:10], v[7:8]
	v_add_f64 v[3:4], v[22:23], -v[3:4]
	s_waitcnt vmcnt(3)
	v_add_f64 v[5:6], v[24:25], -v[5:6]
	buffer_store_dword v4, v1, s[0:3], 0 offen offset:20
	buffer_store_dword v3, v1, s[0:3], 0 offen offset:16
	buffer_store_dword v6, v1, s[0:3], 0 offen offset:28
	buffer_store_dword v5, v1, s[0:3], 0 offen offset:24
	buffer_load_dword v7, off, s[0:3], 0 offset:456
	buffer_load_dword v8, off, s[0:3], 0 offset:460
	buffer_load_dword v9, off, s[0:3], 0 offset:448
	buffer_load_dword v10, off, s[0:3], 0 offset:452
	buffer_load_dword v21, v1, s[0:3], 0 offen offset:44
	ds_read2_b64 v[3:6], v2 offset0:4 offset1:5
	buffer_load_dword v22, v1, s[0:3], 0 offen offset:48
	buffer_load_dword v23, v1, s[0:3], 0 offen offset:52
	buffer_load_dword v24, v1, s[0:3], 0 offen offset:56
	s_waitcnt vmcnt(6) lgkmcnt(0)
	v_mul_f64 v[25:26], v[5:6], v[7:8]
	v_mul_f64 v[7:8], v[3:4], v[7:8]
	s_waitcnt vmcnt(4)
	v_fma_f64 v[3:4], v[3:4], v[9:10], -v[25:26]
	v_fma_f64 v[5:6], v[5:6], v[9:10], v[7:8]
	v_add_f64 v[3:4], v[18:19], -v[3:4]
	s_waitcnt vmcnt(3)
	v_add_f64 v[5:6], v[20:21], -v[5:6]
	buffer_store_dword v4, v1, s[0:3], 0 offen offset:36
	buffer_store_dword v3, v1, s[0:3], 0 offen offset:32
	;; [unrolled: 22-line block ×3, first 2 shown]
	buffer_store_dword v6, v1, s[0:3], 0 offen offset:60
	buffer_store_dword v5, v1, s[0:3], 0 offen offset:56
	buffer_load_dword v7, off, s[0:3], 0 offset:456
	buffer_load_dword v8, off, s[0:3], 0 offset:460
	;; [unrolled: 1-line block ×4, first 2 shown]
	buffer_load_dword v21, v1, s[0:3], 0 offen offset:76
	ds_read2_b64 v[3:6], v2 offset0:8 offset1:9
	buffer_load_dword v22, v1, s[0:3], 0 offen offset:80
	s_waitcnt vmcnt(4) lgkmcnt(0)
	v_mul_f64 v[23:24], v[5:6], v[7:8]
	v_mul_f64 v[7:8], v[3:4], v[7:8]
	s_waitcnt vmcnt(2)
	v_fma_f64 v[3:4], v[3:4], v[9:10], -v[23:24]
	v_fma_f64 v[5:6], v[5:6], v[9:10], v[7:8]
	v_add_f64 v[3:4], v[18:19], -v[3:4]
	s_waitcnt vmcnt(1)
	v_add_f64 v[5:6], v[20:21], -v[5:6]
	buffer_store_dword v4, v1, s[0:3], 0 offen offset:68
	buffer_store_dword v3, v1, s[0:3], 0 offen offset:64
	;; [unrolled: 1-line block ×4, first 2 shown]
	buffer_load_dword v7, off, s[0:3], 0 offset:456
	buffer_load_dword v8, off, s[0:3], 0 offset:460
	;; [unrolled: 1-line block ×4, first 2 shown]
	buffer_load_dword v23, v1, s[0:3], 0 offen offset:84
	buffer_load_dword v18, v1, s[0:3], 0 offen offset:88
	buffer_load_dword v19, v1, s[0:3], 0 offen offset:92
	ds_read2_b64 v[3:6], v2 offset0:10 offset1:11
	s_waitcnt vmcnt(5) lgkmcnt(0)
	v_mul_f64 v[20:21], v[5:6], v[7:8]
	v_mul_f64 v[7:8], v[3:4], v[7:8]
	s_waitcnt vmcnt(3)
	v_fma_f64 v[3:4], v[3:4], v[9:10], -v[20:21]
	v_fma_f64 v[5:6], v[5:6], v[9:10], v[7:8]
	s_waitcnt vmcnt(2)
	v_add_f64 v[3:4], v[22:23], -v[3:4]
	s_waitcnt vmcnt(0)
	v_add_f64 v[5:6], v[18:19], -v[5:6]
	buffer_store_dword v4, v1, s[0:3], 0 offen offset:84
	buffer_store_dword v3, v1, s[0:3], 0 offen offset:80
	;; [unrolled: 1-line block ×4, first 2 shown]
	buffer_load_dword v6, off, s[0:3], 0 offset:456
	s_nop 0
	buffer_load_dword v7, off, s[0:3], 0 offset:460
	buffer_load_dword v8, off, s[0:3], 0 offset:448
	;; [unrolled: 1-line block ×3, first 2 shown]
	buffer_load_dword v18, v1, s[0:3], 0 offen offset:96
	buffer_load_dword v19, v1, s[0:3], 0 offen offset:100
	;; [unrolled: 1-line block ×4, first 2 shown]
	ds_read2_b64 v[2:5], v2 offset0:12 offset1:13
	s_waitcnt vmcnt(6) lgkmcnt(0)
	v_mul_f64 v[22:23], v[4:5], v[6:7]
	v_mul_f64 v[6:7], v[2:3], v[6:7]
	s_waitcnt vmcnt(4)
	v_fma_f64 v[2:3], v[2:3], v[8:9], -v[22:23]
	v_fma_f64 v[4:5], v[4:5], v[8:9], v[6:7]
	s_waitcnt vmcnt(2)
	v_add_f64 v[2:3], v[18:19], -v[2:3]
	s_waitcnt vmcnt(0)
	v_add_f64 v[4:5], v[20:21], -v[4:5]
	buffer_store_dword v3, v1, s[0:3], 0 offen offset:100
	buffer_store_dword v2, v1, s[0:3], 0 offen offset:96
	buffer_store_dword v5, v1, s[0:3], 0 offen offset:108
	buffer_store_dword v4, v1, s[0:3], 0 offen offset:104
	s_cbranch_scc1 .LBB127_372
.LBB127_373:
	s_or_b64 exec, exec, s[6:7]
	v_cmp_eq_u32_e32 vcc, 29, v0
	s_waitcnt vmcnt(0)
	s_barrier
	s_and_saveexec_b64 s[8:9], vcc
	s_cbranch_execz .LBB127_380
; %bb.374:
	v_mov_b32_e32 v4, s74
	buffer_load_dword v1, v4, s[0:3], 0 offen
	buffer_load_dword v2, v4, s[0:3], 0 offen offset:4
	buffer_load_dword v3, v4, s[0:3], 0 offen offset:8
	s_nop 0
	buffer_load_dword v4, v4, s[0:3], 0 offen offset:12
	s_waitcnt vmcnt(0)
	ds_write2_b64 v11, v[1:2], v[3:4] offset1:1
	v_mov_b32_e32 v4, s73
	buffer_load_dword v1, v4, s[0:3], 0 offen
	buffer_load_dword v2, v4, s[0:3], 0 offen offset:4
	buffer_load_dword v3, v4, s[0:3], 0 offen offset:8
	s_nop 0
	buffer_load_dword v4, v4, s[0:3], 0 offen offset:12
	s_waitcnt vmcnt(0)
	ds_write2_b64 v12, v[1:2], v[3:4] offset0:60 offset1:61
	v_mov_b32_e32 v4, s72
	buffer_load_dword v1, v4, s[0:3], 0 offen
	buffer_load_dword v2, v4, s[0:3], 0 offen offset:4
	buffer_load_dword v3, v4, s[0:3], 0 offen offset:8
	s_nop 0
	buffer_load_dword v4, v4, s[0:3], 0 offen offset:12
	s_waitcnt vmcnt(0)
	ds_write2_b64 v12, v[1:2], v[3:4] offset0:62 offset1:63
	;; [unrolled: 8-line block ×34, first 2 shown]
	ds_read2_b64 v[1:4], v11 offset1:1
	s_waitcnt lgkmcnt(0)
	v_cmp_neq_f64_e32 vcc, 0, v[1:2]
	v_cmp_neq_f64_e64 s[6:7], 0, v[3:4]
	s_or_b64 s[6:7], vcc, s[6:7]
	s_and_b64 exec, exec, s[6:7]
	s_cbranch_execz .LBB127_380
; %bb.375:
	v_cmp_ngt_f64_e64 s[6:7], |v[1:2]|, |v[3:4]|
                                        ; implicit-def: $vgpr5_vgpr6
	s_and_saveexec_b64 s[10:11], s[6:7]
	s_xor_b64 s[6:7], exec, s[10:11]
                                        ; implicit-def: $vgpr7_vgpr8
	s_cbranch_execz .LBB127_377
; %bb.376:
	v_div_scale_f64 v[5:6], s[10:11], v[3:4], v[3:4], v[1:2]
	v_rcp_f64_e32 v[7:8], v[5:6]
	v_fma_f64 v[9:10], -v[5:6], v[7:8], 1.0
	v_fma_f64 v[7:8], v[7:8], v[9:10], v[7:8]
	v_div_scale_f64 v[9:10], vcc, v[1:2], v[3:4], v[1:2]
	v_fma_f64 v[18:19], -v[5:6], v[7:8], 1.0
	v_fma_f64 v[7:8], v[7:8], v[18:19], v[7:8]
	v_mul_f64 v[18:19], v[9:10], v[7:8]
	v_fma_f64 v[5:6], -v[5:6], v[18:19], v[9:10]
	v_div_fmas_f64 v[5:6], v[5:6], v[7:8], v[18:19]
	v_div_fixup_f64 v[5:6], v[5:6], v[3:4], v[1:2]
	v_fma_f64 v[1:2], v[1:2], v[5:6], v[3:4]
	v_div_scale_f64 v[3:4], s[10:11], v[1:2], v[1:2], 1.0
	v_div_scale_f64 v[18:19], vcc, 1.0, v[1:2], 1.0
	v_rcp_f64_e32 v[7:8], v[3:4]
	v_fma_f64 v[9:10], -v[3:4], v[7:8], 1.0
	v_fma_f64 v[7:8], v[7:8], v[9:10], v[7:8]
	v_fma_f64 v[9:10], -v[3:4], v[7:8], 1.0
	v_fma_f64 v[7:8], v[7:8], v[9:10], v[7:8]
	v_mul_f64 v[9:10], v[18:19], v[7:8]
	v_fma_f64 v[3:4], -v[3:4], v[9:10], v[18:19]
	v_div_fmas_f64 v[3:4], v[3:4], v[7:8], v[9:10]
	v_div_fixup_f64 v[7:8], v[3:4], v[1:2], 1.0
                                        ; implicit-def: $vgpr1_vgpr2
	v_mul_f64 v[5:6], v[5:6], v[7:8]
	v_xor_b32_e32 v8, 0x80000000, v8
.LBB127_377:
	s_andn2_saveexec_b64 s[6:7], s[6:7]
	s_cbranch_execz .LBB127_379
; %bb.378:
	v_div_scale_f64 v[5:6], s[10:11], v[1:2], v[1:2], v[3:4]
	v_rcp_f64_e32 v[7:8], v[5:6]
	v_fma_f64 v[9:10], -v[5:6], v[7:8], 1.0
	v_fma_f64 v[7:8], v[7:8], v[9:10], v[7:8]
	v_div_scale_f64 v[9:10], vcc, v[3:4], v[1:2], v[3:4]
	v_fma_f64 v[18:19], -v[5:6], v[7:8], 1.0
	v_fma_f64 v[7:8], v[7:8], v[18:19], v[7:8]
	v_mul_f64 v[18:19], v[9:10], v[7:8]
	v_fma_f64 v[5:6], -v[5:6], v[18:19], v[9:10]
	v_div_fmas_f64 v[5:6], v[5:6], v[7:8], v[18:19]
	v_div_fixup_f64 v[7:8], v[5:6], v[1:2], v[3:4]
	v_fma_f64 v[1:2], v[3:4], v[7:8], v[1:2]
	v_div_scale_f64 v[3:4], s[10:11], v[1:2], v[1:2], 1.0
	v_div_scale_f64 v[18:19], vcc, 1.0, v[1:2], 1.0
	v_rcp_f64_e32 v[5:6], v[3:4]
	v_fma_f64 v[9:10], -v[3:4], v[5:6], 1.0
	v_fma_f64 v[5:6], v[5:6], v[9:10], v[5:6]
	v_fma_f64 v[9:10], -v[3:4], v[5:6], 1.0
	v_fma_f64 v[5:6], v[5:6], v[9:10], v[5:6]
	v_mul_f64 v[9:10], v[18:19], v[5:6]
	v_fma_f64 v[3:4], -v[3:4], v[9:10], v[18:19]
	v_div_fmas_f64 v[3:4], v[3:4], v[5:6], v[9:10]
	v_div_fixup_f64 v[5:6], v[3:4], v[1:2], 1.0
	v_mul_f64 v[7:8], v[7:8], -v[5:6]
.LBB127_379:
	s_or_b64 exec, exec, s[6:7]
	ds_write2_b64 v11, v[5:6], v[7:8] offset1:1
.LBB127_380:
	s_or_b64 exec, exec, s[8:9]
	s_waitcnt lgkmcnt(0)
	s_barrier
	ds_read2_b64 v[22:25], v11 offset1:1
	v_cmp_lt_u32_e32 vcc, 29, v0
	s_and_saveexec_b64 s[6:7], vcc
	s_cbranch_execz .LBB127_383
; %bb.381:
	buffer_load_dword v1, off, s[0:3], 0 offset:472
	buffer_load_dword v2, off, s[0:3], 0 offset:476
	buffer_load_dword v3, off, s[0:3], 0 offset:464
	buffer_load_dword v4, off, s[0:3], 0 offset:468
	s_movk_i32 s8, 0x1e0
	s_waitcnt vmcnt(2) lgkmcnt(0)
	v_mul_f64 v[5:6], v[24:25], v[1:2]
	v_mul_f64 v[1:2], v[22:23], v[1:2]
	s_waitcnt vmcnt(0)
	v_fma_f64 v[5:6], v[22:23], v[3:4], -v[5:6]
	v_fma_f64 v[1:2], v[24:25], v[3:4], v[1:2]
	buffer_store_dword v5, off, s[0:3], 0 offset:464
	buffer_store_dword v6, off, s[0:3], 0 offset:468
	;; [unrolled: 1-line block ×4, first 2 shown]
.LBB127_382:                            ; =>This Inner Loop Header: Depth=1
	v_add_u32_e32 v13, s8, v12
	ds_read2_b64 v[1:4], v13 offset1:1
	buffer_load_dword v5, off, s[0:3], 0 offset:464
	buffer_load_dword v6, off, s[0:3], 0 offset:468
	;; [unrolled: 1-line block ×4, first 2 shown]
	v_mov_b32_e32 v14, s8
	s_add_i32 s8, s8, 32
	s_cmpk_lg_i32 s8, 0x400
	s_waitcnt vmcnt(0) lgkmcnt(0)
	v_mul_f64 v[9:10], v[3:4], v[7:8]
	v_fma_f64 v[9:10], v[1:2], v[5:6], -v[9:10]
	v_mul_f64 v[1:2], v[1:2], v[7:8]
	v_fma_f64 v[1:2], v[3:4], v[5:6], v[1:2]
	buffer_load_dword v3, v14, s[0:3], 0 offen
	buffer_load_dword v4, v14, s[0:3], 0 offen offset:4
	buffer_load_dword v5, v14, s[0:3], 0 offen offset:8
	buffer_load_dword v6, v14, s[0:3], 0 offen offset:12
	buffer_load_dword v7, v14, s[0:3], 0 offen offset:16
	buffer_load_dword v8, v14, s[0:3], 0 offen offset:20
	buffer_load_dword v18, v14, s[0:3], 0 offen offset:24
	buffer_load_dword v19, v14, s[0:3], 0 offen offset:28
	s_waitcnt vmcnt(6)
	v_add_f64 v[3:4], v[3:4], -v[9:10]
	s_waitcnt vmcnt(4)
	v_add_f64 v[1:2], v[5:6], -v[1:2]
	buffer_store_dword v4, v14, s[0:3], 0 offen offset:4
	buffer_store_dword v3, v14, s[0:3], 0 offen
	buffer_store_dword v2, v14, s[0:3], 0 offen offset:12
	buffer_store_dword v1, v14, s[0:3], 0 offen offset:8
	ds_read2_b64 v[1:4], v13 offset0:2 offset1:3
	buffer_load_dword v6, off, s[0:3], 0 offset:468
	buffer_load_dword v5, off, s[0:3], 0 offset:464
	;; [unrolled: 1-line block ×4, first 2 shown]
	s_waitcnt vmcnt(0) lgkmcnt(0)
	v_mul_f64 v[20:21], v[3:4], v[9:10]
	v_fma_f64 v[20:21], v[1:2], v[5:6], -v[20:21]
	v_mul_f64 v[1:2], v[1:2], v[9:10]
	v_fma_f64 v[1:2], v[3:4], v[5:6], v[1:2]
	v_add_f64 v[3:4], v[7:8], -v[20:21]
	v_add_f64 v[1:2], v[18:19], -v[1:2]
	buffer_store_dword v4, v14, s[0:3], 0 offen offset:20
	buffer_store_dword v3, v14, s[0:3], 0 offen offset:16
	buffer_store_dword v2, v14, s[0:3], 0 offen offset:28
	buffer_store_dword v1, v14, s[0:3], 0 offen offset:24
	s_cbranch_scc1 .LBB127_382
.LBB127_383:
	s_or_b64 exec, exec, s[6:7]
	v_cmp_eq_u32_e32 vcc, 30, v0
	s_waitcnt vmcnt(0) lgkmcnt(0)
	s_barrier
	s_and_saveexec_b64 s[8:9], vcc
	s_cbranch_execz .LBB127_390
; %bb.384:
	v_mov_b32_e32 v4, s73
	buffer_load_dword v1, v4, s[0:3], 0 offen
	buffer_load_dword v2, v4, s[0:3], 0 offen offset:4
	buffer_load_dword v3, v4, s[0:3], 0 offen offset:8
	s_nop 0
	buffer_load_dword v4, v4, s[0:3], 0 offen offset:12
	s_waitcnt vmcnt(0)
	ds_write2_b64 v11, v[1:2], v[3:4] offset1:1
	v_mov_b32_e32 v4, s72
	buffer_load_dword v1, v4, s[0:3], 0 offen
	buffer_load_dword v2, v4, s[0:3], 0 offen offset:4
	buffer_load_dword v3, v4, s[0:3], 0 offen offset:8
	s_nop 0
	buffer_load_dword v4, v4, s[0:3], 0 offen offset:12
	s_waitcnt vmcnt(0)
	ds_write2_b64 v12, v[1:2], v[3:4] offset0:62 offset1:63
	v_mov_b32_e32 v4, s71
	buffer_load_dword v1, v4, s[0:3], 0 offen
	buffer_load_dword v2, v4, s[0:3], 0 offen offset:4
	buffer_load_dword v3, v4, s[0:3], 0 offen offset:8
	s_nop 0
	buffer_load_dword v4, v4, s[0:3], 0 offen offset:12
	s_waitcnt vmcnt(0)
	ds_write2_b64 v12, v[1:2], v[3:4] offset0:64 offset1:65
	;; [unrolled: 8-line block ×33, first 2 shown]
	ds_read2_b64 v[1:4], v11 offset1:1
	s_waitcnt lgkmcnt(0)
	v_cmp_neq_f64_e32 vcc, 0, v[1:2]
	v_cmp_neq_f64_e64 s[6:7], 0, v[3:4]
	s_or_b64 s[6:7], vcc, s[6:7]
	s_and_b64 exec, exec, s[6:7]
	s_cbranch_execz .LBB127_390
; %bb.385:
	v_cmp_ngt_f64_e64 s[6:7], |v[1:2]|, |v[3:4]|
                                        ; implicit-def: $vgpr5_vgpr6
	s_and_saveexec_b64 s[10:11], s[6:7]
	s_xor_b64 s[6:7], exec, s[10:11]
                                        ; implicit-def: $vgpr7_vgpr8
	s_cbranch_execz .LBB127_387
; %bb.386:
	v_div_scale_f64 v[5:6], s[10:11], v[3:4], v[3:4], v[1:2]
	v_rcp_f64_e32 v[7:8], v[5:6]
	v_fma_f64 v[9:10], -v[5:6], v[7:8], 1.0
	v_fma_f64 v[7:8], v[7:8], v[9:10], v[7:8]
	v_div_scale_f64 v[9:10], vcc, v[1:2], v[3:4], v[1:2]
	v_fma_f64 v[18:19], -v[5:6], v[7:8], 1.0
	v_fma_f64 v[7:8], v[7:8], v[18:19], v[7:8]
	v_mul_f64 v[18:19], v[9:10], v[7:8]
	v_fma_f64 v[5:6], -v[5:6], v[18:19], v[9:10]
	v_div_fmas_f64 v[5:6], v[5:6], v[7:8], v[18:19]
	v_div_fixup_f64 v[5:6], v[5:6], v[3:4], v[1:2]
	v_fma_f64 v[1:2], v[1:2], v[5:6], v[3:4]
	v_div_scale_f64 v[3:4], s[10:11], v[1:2], v[1:2], 1.0
	v_div_scale_f64 v[18:19], vcc, 1.0, v[1:2], 1.0
	v_rcp_f64_e32 v[7:8], v[3:4]
	v_fma_f64 v[9:10], -v[3:4], v[7:8], 1.0
	v_fma_f64 v[7:8], v[7:8], v[9:10], v[7:8]
	v_fma_f64 v[9:10], -v[3:4], v[7:8], 1.0
	v_fma_f64 v[7:8], v[7:8], v[9:10], v[7:8]
	v_mul_f64 v[9:10], v[18:19], v[7:8]
	v_fma_f64 v[3:4], -v[3:4], v[9:10], v[18:19]
	v_div_fmas_f64 v[3:4], v[3:4], v[7:8], v[9:10]
	v_div_fixup_f64 v[7:8], v[3:4], v[1:2], 1.0
                                        ; implicit-def: $vgpr1_vgpr2
	v_mul_f64 v[5:6], v[5:6], v[7:8]
	v_xor_b32_e32 v8, 0x80000000, v8
.LBB127_387:
	s_andn2_saveexec_b64 s[6:7], s[6:7]
	s_cbranch_execz .LBB127_389
; %bb.388:
	v_div_scale_f64 v[5:6], s[10:11], v[1:2], v[1:2], v[3:4]
	v_rcp_f64_e32 v[7:8], v[5:6]
	v_fma_f64 v[9:10], -v[5:6], v[7:8], 1.0
	v_fma_f64 v[7:8], v[7:8], v[9:10], v[7:8]
	v_div_scale_f64 v[9:10], vcc, v[3:4], v[1:2], v[3:4]
	v_fma_f64 v[18:19], -v[5:6], v[7:8], 1.0
	v_fma_f64 v[7:8], v[7:8], v[18:19], v[7:8]
	v_mul_f64 v[18:19], v[9:10], v[7:8]
	v_fma_f64 v[5:6], -v[5:6], v[18:19], v[9:10]
	v_div_fmas_f64 v[5:6], v[5:6], v[7:8], v[18:19]
	v_div_fixup_f64 v[7:8], v[5:6], v[1:2], v[3:4]
	v_fma_f64 v[1:2], v[3:4], v[7:8], v[1:2]
	v_div_scale_f64 v[3:4], s[10:11], v[1:2], v[1:2], 1.0
	v_div_scale_f64 v[18:19], vcc, 1.0, v[1:2], 1.0
	v_rcp_f64_e32 v[5:6], v[3:4]
	v_fma_f64 v[9:10], -v[3:4], v[5:6], 1.0
	v_fma_f64 v[5:6], v[5:6], v[9:10], v[5:6]
	v_fma_f64 v[9:10], -v[3:4], v[5:6], 1.0
	v_fma_f64 v[5:6], v[5:6], v[9:10], v[5:6]
	v_mul_f64 v[9:10], v[18:19], v[5:6]
	v_fma_f64 v[3:4], -v[3:4], v[9:10], v[18:19]
	v_div_fmas_f64 v[3:4], v[3:4], v[5:6], v[9:10]
	v_div_fixup_f64 v[5:6], v[3:4], v[1:2], 1.0
	v_mul_f64 v[7:8], v[7:8], -v[5:6]
.LBB127_389:
	s_or_b64 exec, exec, s[6:7]
	ds_write2_b64 v11, v[5:6], v[7:8] offset1:1
.LBB127_390:
	s_or_b64 exec, exec, s[8:9]
	buffer_store_dword v22, off, s[0:3], 0 offset:2080 ; 4-byte Folded Spill
	s_nop 0
	buffer_store_dword v23, off, s[0:3], 0 offset:2084 ; 4-byte Folded Spill
	buffer_store_dword v24, off, s[0:3], 0 offset:2088 ; 4-byte Folded Spill
	;; [unrolled: 1-line block ×3, first 2 shown]
	s_waitcnt vmcnt(0) lgkmcnt(0)
	s_barrier
	ds_read2_b64 v[23:26], v11 offset1:1
	v_cmp_lt_u32_e32 vcc, 30, v0
	s_and_saveexec_b64 s[6:7], vcc
	s_cbranch_execz .LBB127_393
; %bb.391:
	buffer_load_dword v1, off, s[0:3], 0 offset:488
	buffer_load_dword v2, off, s[0:3], 0 offset:492
	;; [unrolled: 1-line block ×4, first 2 shown]
	s_movk_i32 s8, 0x1f0
	s_waitcnt vmcnt(2) lgkmcnt(0)
	v_mul_f64 v[5:6], v[25:26], v[1:2]
	v_mul_f64 v[1:2], v[23:24], v[1:2]
	s_waitcnt vmcnt(0)
	v_fma_f64 v[5:6], v[23:24], v[3:4], -v[5:6]
	v_fma_f64 v[1:2], v[25:26], v[3:4], v[1:2]
	buffer_store_dword v5, off, s[0:3], 0 offset:480
	buffer_store_dword v6, off, s[0:3], 0 offset:484
	;; [unrolled: 1-line block ×4, first 2 shown]
.LBB127_392:                            ; =>This Inner Loop Header: Depth=1
	buffer_load_dword v5, off, s[0:3], 0 offset:488
	s_nop 0
	buffer_load_dword v6, off, s[0:3], 0 offset:492
	buffer_load_dword v7, off, s[0:3], 0 offset:480
	;; [unrolled: 1-line block ×3, first 2 shown]
	v_mov_b32_e32 v13, s8
	buffer_load_dword v9, v13, s[0:3], 0 offen
	buffer_load_dword v10, v13, s[0:3], 0 offen offset:4
	buffer_load_dword v18, v13, s[0:3], 0 offen offset:8
	;; [unrolled: 1-line block ×3, first 2 shown]
	v_add_u32_e32 v14, s8, v12
	ds_read2_b64 v[1:4], v14 offset1:1
	buffer_load_dword v20, v13, s[0:3], 0 offen offset:16
	s_add_i32 s8, s8, 48
	s_cmpk_lg_i32 s8, 0x400
	s_waitcnt vmcnt(7) lgkmcnt(0)
	v_mul_f64 v[21:22], v[3:4], v[5:6]
	v_mul_f64 v[5:6], v[1:2], v[5:6]
	s_waitcnt vmcnt(5)
	v_fma_f64 v[1:2], v[1:2], v[7:8], -v[21:22]
	v_fma_f64 v[3:4], v[3:4], v[7:8], v[5:6]
	s_waitcnt vmcnt(3)
	v_add_f64 v[1:2], v[9:10], -v[1:2]
	s_waitcnt vmcnt(1)
	v_add_f64 v[3:4], v[18:19], -v[3:4]
	buffer_store_dword v2, v13, s[0:3], 0 offen offset:4
	buffer_store_dword v1, v13, s[0:3], 0 offen
	buffer_store_dword v4, v13, s[0:3], 0 offen offset:12
	buffer_store_dword v3, v13, s[0:3], 0 offen offset:8
	buffer_load_dword v6, off, s[0:3], 0 offset:492
	buffer_load_dword v5, off, s[0:3], 0 offset:488
	;; [unrolled: 1-line block ×4, first 2 shown]
	buffer_load_dword v21, v13, s[0:3], 0 offen offset:20
	buffer_load_dword v9, v13, s[0:3], 0 offen offset:24
	;; [unrolled: 1-line block ×3, first 2 shown]
	ds_read2_b64 v[1:4], v14 offset0:2 offset1:3
	s_waitcnt vmcnt(5) lgkmcnt(0)
	v_mul_f64 v[18:19], v[3:4], v[5:6]
	v_mul_f64 v[5:6], v[1:2], v[5:6]
	s_waitcnt vmcnt(3)
	v_fma_f64 v[1:2], v[1:2], v[7:8], -v[18:19]
	v_fma_f64 v[3:4], v[3:4], v[7:8], v[5:6]
	s_waitcnt vmcnt(2)
	v_add_f64 v[1:2], v[20:21], -v[1:2]
	s_waitcnt vmcnt(0)
	v_add_f64 v[3:4], v[9:10], -v[3:4]
	buffer_store_dword v2, v13, s[0:3], 0 offen offset:20
	buffer_store_dword v1, v13, s[0:3], 0 offen offset:16
	buffer_store_dword v4, v13, s[0:3], 0 offen offset:28
	buffer_store_dword v3, v13, s[0:3], 0 offen offset:24
	buffer_load_dword v5, off, s[0:3], 0 offset:488
	buffer_load_dword v6, off, s[0:3], 0 offset:492
	;; [unrolled: 1-line block ×4, first 2 shown]
	buffer_load_dword v9, v13, s[0:3], 0 offen offset:32
	buffer_load_dword v10, v13, s[0:3], 0 offen offset:36
	buffer_load_dword v18, v13, s[0:3], 0 offen offset:40
	buffer_load_dword v19, v13, s[0:3], 0 offen offset:44
	ds_read2_b64 v[1:4], v14 offset0:4 offset1:5
	s_waitcnt vmcnt(6) lgkmcnt(0)
	v_mul_f64 v[20:21], v[3:4], v[5:6]
	v_mul_f64 v[5:6], v[1:2], v[5:6]
	s_waitcnt vmcnt(4)
	v_fma_f64 v[1:2], v[1:2], v[7:8], -v[20:21]
	v_fma_f64 v[3:4], v[3:4], v[7:8], v[5:6]
	s_waitcnt vmcnt(2)
	v_add_f64 v[1:2], v[9:10], -v[1:2]
	s_waitcnt vmcnt(0)
	v_add_f64 v[3:4], v[18:19], -v[3:4]
	buffer_store_dword v2, v13, s[0:3], 0 offen offset:36
	buffer_store_dword v1, v13, s[0:3], 0 offen offset:32
	;; [unrolled: 1-line block ×4, first 2 shown]
	s_cbranch_scc1 .LBB127_392
.LBB127_393:
	s_or_b64 exec, exec, s[6:7]
	v_cmp_eq_u32_e32 vcc, 31, v0
	s_waitcnt vmcnt(0) lgkmcnt(0)
	s_barrier
	s_and_saveexec_b64 s[8:9], vcc
	s_cbranch_execz .LBB127_400
; %bb.394:
	v_mov_b32_e32 v4, s72
	buffer_load_dword v1, v4, s[0:3], 0 offen
	buffer_load_dword v2, v4, s[0:3], 0 offen offset:4
	buffer_load_dword v3, v4, s[0:3], 0 offen offset:8
	s_nop 0
	buffer_load_dword v4, v4, s[0:3], 0 offen offset:12
	s_waitcnt vmcnt(0)
	ds_write2_b64 v11, v[1:2], v[3:4] offset1:1
	v_mov_b32_e32 v4, s71
	buffer_load_dword v1, v4, s[0:3], 0 offen
	buffer_load_dword v2, v4, s[0:3], 0 offen offset:4
	buffer_load_dword v3, v4, s[0:3], 0 offen offset:8
	s_nop 0
	buffer_load_dword v4, v4, s[0:3], 0 offen offset:12
	s_waitcnt vmcnt(0)
	ds_write2_b64 v12, v[1:2], v[3:4] offset0:64 offset1:65
	v_mov_b32_e32 v4, s70
	buffer_load_dword v1, v4, s[0:3], 0 offen
	buffer_load_dword v2, v4, s[0:3], 0 offen offset:4
	buffer_load_dword v3, v4, s[0:3], 0 offen offset:8
	s_nop 0
	buffer_load_dword v4, v4, s[0:3], 0 offen offset:12
	s_waitcnt vmcnt(0)
	ds_write2_b64 v12, v[1:2], v[3:4] offset0:66 offset1:67
	v_mov_b32_e32 v4, s69
	buffer_load_dword v1, v4, s[0:3], 0 offen
	buffer_load_dword v2, v4, s[0:3], 0 offen offset:4
	buffer_load_dword v3, v4, s[0:3], 0 offen offset:8
	s_nop 0
	buffer_load_dword v4, v4, s[0:3], 0 offen offset:12
	s_waitcnt vmcnt(0)
	ds_write2_b64 v12, v[1:2], v[3:4] offset0:68 offset1:69
	v_mov_b32_e32 v4, s68
	buffer_load_dword v1, v4, s[0:3], 0 offen
	buffer_load_dword v2, v4, s[0:3], 0 offen offset:4
	buffer_load_dword v3, v4, s[0:3], 0 offen offset:8
	s_nop 0
	buffer_load_dword v4, v4, s[0:3], 0 offen offset:12
	s_waitcnt vmcnt(0)
	ds_write2_b64 v12, v[1:2], v[3:4] offset0:70 offset1:71
	v_mov_b32_e32 v4, s67
	buffer_load_dword v1, v4, s[0:3], 0 offen
	buffer_load_dword v2, v4, s[0:3], 0 offen offset:4
	buffer_load_dword v3, v4, s[0:3], 0 offen offset:8
	s_nop 0
	buffer_load_dword v4, v4, s[0:3], 0 offen offset:12
	s_waitcnt vmcnt(0)
	ds_write2_b64 v12, v[1:2], v[3:4] offset0:72 offset1:73
	v_mov_b32_e32 v4, s66
	buffer_load_dword v1, v4, s[0:3], 0 offen
	buffer_load_dword v2, v4, s[0:3], 0 offen offset:4
	buffer_load_dword v3, v4, s[0:3], 0 offen offset:8
	s_nop 0
	buffer_load_dword v4, v4, s[0:3], 0 offen offset:12
	s_waitcnt vmcnt(0)
	ds_write2_b64 v12, v[1:2], v[3:4] offset0:74 offset1:75
	v_mov_b32_e32 v4, s65
	buffer_load_dword v1, v4, s[0:3], 0 offen
	buffer_load_dword v2, v4, s[0:3], 0 offen offset:4
	buffer_load_dword v3, v4, s[0:3], 0 offen offset:8
	s_nop 0
	buffer_load_dword v4, v4, s[0:3], 0 offen offset:12
	s_waitcnt vmcnt(0)
	ds_write2_b64 v12, v[1:2], v[3:4] offset0:76 offset1:77
	v_mov_b32_e32 v4, s40
	buffer_load_dword v1, v4, s[0:3], 0 offen
	buffer_load_dword v2, v4, s[0:3], 0 offen offset:4
	buffer_load_dword v3, v4, s[0:3], 0 offen offset:8
	s_nop 0
	buffer_load_dword v4, v4, s[0:3], 0 offen offset:12
	s_waitcnt vmcnt(0)
	ds_write2_b64 v12, v[1:2], v[3:4] offset0:78 offset1:79
	v_mov_b32_e32 v4, s39
	buffer_load_dword v1, v4, s[0:3], 0 offen
	buffer_load_dword v2, v4, s[0:3], 0 offen offset:4
	buffer_load_dword v3, v4, s[0:3], 0 offen offset:8
	s_nop 0
	buffer_load_dword v4, v4, s[0:3], 0 offen offset:12
	s_waitcnt vmcnt(0)
	ds_write2_b64 v12, v[1:2], v[3:4] offset0:80 offset1:81
	v_mov_b32_e32 v4, s38
	buffer_load_dword v1, v4, s[0:3], 0 offen
	buffer_load_dword v2, v4, s[0:3], 0 offen offset:4
	buffer_load_dword v3, v4, s[0:3], 0 offen offset:8
	s_nop 0
	buffer_load_dword v4, v4, s[0:3], 0 offen offset:12
	s_waitcnt vmcnt(0)
	ds_write2_b64 v12, v[1:2], v[3:4] offset0:82 offset1:83
	v_mov_b32_e32 v4, s37
	buffer_load_dword v1, v4, s[0:3], 0 offen
	buffer_load_dword v2, v4, s[0:3], 0 offen offset:4
	buffer_load_dword v3, v4, s[0:3], 0 offen offset:8
	s_nop 0
	buffer_load_dword v4, v4, s[0:3], 0 offen offset:12
	s_waitcnt vmcnt(0)
	ds_write2_b64 v12, v[1:2], v[3:4] offset0:84 offset1:85
	v_mov_b32_e32 v4, s36
	buffer_load_dword v1, v4, s[0:3], 0 offen
	buffer_load_dword v2, v4, s[0:3], 0 offen offset:4
	buffer_load_dword v3, v4, s[0:3], 0 offen offset:8
	s_nop 0
	buffer_load_dword v4, v4, s[0:3], 0 offen offset:12
	s_waitcnt vmcnt(0)
	ds_write2_b64 v12, v[1:2], v[3:4] offset0:86 offset1:87
	v_mov_b32_e32 v4, s35
	buffer_load_dword v1, v4, s[0:3], 0 offen
	buffer_load_dword v2, v4, s[0:3], 0 offen offset:4
	buffer_load_dword v3, v4, s[0:3], 0 offen offset:8
	s_nop 0
	buffer_load_dword v4, v4, s[0:3], 0 offen offset:12
	s_waitcnt vmcnt(0)
	ds_write2_b64 v12, v[1:2], v[3:4] offset0:88 offset1:89
	v_mov_b32_e32 v4, s34
	buffer_load_dword v1, v4, s[0:3], 0 offen
	buffer_load_dword v2, v4, s[0:3], 0 offen offset:4
	buffer_load_dword v3, v4, s[0:3], 0 offen offset:8
	s_nop 0
	buffer_load_dword v4, v4, s[0:3], 0 offen offset:12
	s_waitcnt vmcnt(0)
	ds_write2_b64 v12, v[1:2], v[3:4] offset0:90 offset1:91
	v_mov_b32_e32 v4, s31
	buffer_load_dword v1, v4, s[0:3], 0 offen
	buffer_load_dword v2, v4, s[0:3], 0 offen offset:4
	buffer_load_dword v3, v4, s[0:3], 0 offen offset:8
	s_nop 0
	buffer_load_dword v4, v4, s[0:3], 0 offen offset:12
	s_waitcnt vmcnt(0)
	ds_write2_b64 v12, v[1:2], v[3:4] offset0:92 offset1:93
	v_mov_b32_e32 v4, s30
	buffer_load_dword v1, v4, s[0:3], 0 offen
	buffer_load_dword v2, v4, s[0:3], 0 offen offset:4
	buffer_load_dword v3, v4, s[0:3], 0 offen offset:8
	s_nop 0
	buffer_load_dword v4, v4, s[0:3], 0 offen offset:12
	s_waitcnt vmcnt(0)
	ds_write2_b64 v12, v[1:2], v[3:4] offset0:94 offset1:95
	v_mov_b32_e32 v4, s29
	buffer_load_dword v1, v4, s[0:3], 0 offen
	buffer_load_dword v2, v4, s[0:3], 0 offen offset:4
	buffer_load_dword v3, v4, s[0:3], 0 offen offset:8
	s_nop 0
	buffer_load_dword v4, v4, s[0:3], 0 offen offset:12
	s_waitcnt vmcnt(0)
	ds_write2_b64 v12, v[1:2], v[3:4] offset0:96 offset1:97
	v_mov_b32_e32 v4, s28
	buffer_load_dword v1, v4, s[0:3], 0 offen
	buffer_load_dword v2, v4, s[0:3], 0 offen offset:4
	buffer_load_dword v3, v4, s[0:3], 0 offen offset:8
	s_nop 0
	buffer_load_dword v4, v4, s[0:3], 0 offen offset:12
	s_waitcnt vmcnt(0)
	ds_write2_b64 v12, v[1:2], v[3:4] offset0:98 offset1:99
	v_mov_b32_e32 v4, s27
	buffer_load_dword v1, v4, s[0:3], 0 offen
	buffer_load_dword v2, v4, s[0:3], 0 offen offset:4
	buffer_load_dword v3, v4, s[0:3], 0 offen offset:8
	s_nop 0
	buffer_load_dword v4, v4, s[0:3], 0 offen offset:12
	s_waitcnt vmcnt(0)
	ds_write2_b64 v12, v[1:2], v[3:4] offset0:100 offset1:101
	v_mov_b32_e32 v4, s26
	buffer_load_dword v1, v4, s[0:3], 0 offen
	buffer_load_dword v2, v4, s[0:3], 0 offen offset:4
	buffer_load_dword v3, v4, s[0:3], 0 offen offset:8
	s_nop 0
	buffer_load_dword v4, v4, s[0:3], 0 offen offset:12
	s_waitcnt vmcnt(0)
	ds_write2_b64 v12, v[1:2], v[3:4] offset0:102 offset1:103
	v_mov_b32_e32 v4, s25
	buffer_load_dword v1, v4, s[0:3], 0 offen
	buffer_load_dword v2, v4, s[0:3], 0 offen offset:4
	buffer_load_dword v3, v4, s[0:3], 0 offen offset:8
	s_nop 0
	buffer_load_dword v4, v4, s[0:3], 0 offen offset:12
	s_waitcnt vmcnt(0)
	ds_write2_b64 v12, v[1:2], v[3:4] offset0:104 offset1:105
	v_mov_b32_e32 v4, s24
	buffer_load_dword v1, v4, s[0:3], 0 offen
	buffer_load_dword v2, v4, s[0:3], 0 offen offset:4
	buffer_load_dword v3, v4, s[0:3], 0 offen offset:8
	s_nop 0
	buffer_load_dword v4, v4, s[0:3], 0 offen offset:12
	s_waitcnt vmcnt(0)
	ds_write2_b64 v12, v[1:2], v[3:4] offset0:106 offset1:107
	v_mov_b32_e32 v4, s23
	buffer_load_dword v1, v4, s[0:3], 0 offen
	buffer_load_dword v2, v4, s[0:3], 0 offen offset:4
	buffer_load_dword v3, v4, s[0:3], 0 offen offset:8
	s_nop 0
	buffer_load_dword v4, v4, s[0:3], 0 offen offset:12
	s_waitcnt vmcnt(0)
	ds_write2_b64 v12, v[1:2], v[3:4] offset0:108 offset1:109
	v_mov_b32_e32 v4, s22
	buffer_load_dword v1, v4, s[0:3], 0 offen
	buffer_load_dword v2, v4, s[0:3], 0 offen offset:4
	buffer_load_dword v3, v4, s[0:3], 0 offen offset:8
	s_nop 0
	buffer_load_dword v4, v4, s[0:3], 0 offen offset:12
	s_waitcnt vmcnt(0)
	ds_write2_b64 v12, v[1:2], v[3:4] offset0:110 offset1:111
	v_mov_b32_e32 v4, s21
	buffer_load_dword v1, v4, s[0:3], 0 offen
	buffer_load_dword v2, v4, s[0:3], 0 offen offset:4
	buffer_load_dword v3, v4, s[0:3], 0 offen offset:8
	s_nop 0
	buffer_load_dword v4, v4, s[0:3], 0 offen offset:12
	s_waitcnt vmcnt(0)
	ds_write2_b64 v12, v[1:2], v[3:4] offset0:112 offset1:113
	v_mov_b32_e32 v4, s20
	buffer_load_dword v1, v4, s[0:3], 0 offen
	buffer_load_dword v2, v4, s[0:3], 0 offen offset:4
	buffer_load_dword v3, v4, s[0:3], 0 offen offset:8
	s_nop 0
	buffer_load_dword v4, v4, s[0:3], 0 offen offset:12
	s_waitcnt vmcnt(0)
	ds_write2_b64 v12, v[1:2], v[3:4] offset0:114 offset1:115
	v_mov_b32_e32 v4, s19
	buffer_load_dword v1, v4, s[0:3], 0 offen
	buffer_load_dword v2, v4, s[0:3], 0 offen offset:4
	buffer_load_dword v3, v4, s[0:3], 0 offen offset:8
	s_nop 0
	buffer_load_dword v4, v4, s[0:3], 0 offen offset:12
	s_waitcnt vmcnt(0)
	ds_write2_b64 v12, v[1:2], v[3:4] offset0:116 offset1:117
	v_mov_b32_e32 v4, s18
	buffer_load_dword v1, v4, s[0:3], 0 offen
	buffer_load_dword v2, v4, s[0:3], 0 offen offset:4
	buffer_load_dword v3, v4, s[0:3], 0 offen offset:8
	s_nop 0
	buffer_load_dword v4, v4, s[0:3], 0 offen offset:12
	s_waitcnt vmcnt(0)
	ds_write2_b64 v12, v[1:2], v[3:4] offset0:118 offset1:119
	v_mov_b32_e32 v4, s17
	buffer_load_dword v1, v4, s[0:3], 0 offen
	buffer_load_dword v2, v4, s[0:3], 0 offen offset:4
	buffer_load_dword v3, v4, s[0:3], 0 offen offset:8
	s_nop 0
	buffer_load_dword v4, v4, s[0:3], 0 offen offset:12
	s_waitcnt vmcnt(0)
	ds_write2_b64 v12, v[1:2], v[3:4] offset0:120 offset1:121
	v_mov_b32_e32 v4, s14
	buffer_load_dword v1, v4, s[0:3], 0 offen
	buffer_load_dword v2, v4, s[0:3], 0 offen offset:4
	buffer_load_dword v3, v4, s[0:3], 0 offen offset:8
	s_nop 0
	buffer_load_dword v4, v4, s[0:3], 0 offen offset:12
	s_waitcnt vmcnt(0)
	ds_write2_b64 v12, v[1:2], v[3:4] offset0:122 offset1:123
	v_mov_b32_e32 v4, s16
	buffer_load_dword v1, v4, s[0:3], 0 offen
	buffer_load_dword v2, v4, s[0:3], 0 offen offset:4
	buffer_load_dword v3, v4, s[0:3], 0 offen offset:8
	s_nop 0
	buffer_load_dword v4, v4, s[0:3], 0 offen offset:12
	s_waitcnt vmcnt(0)
	ds_write2_b64 v12, v[1:2], v[3:4] offset0:124 offset1:125
	v_mov_b32_e32 v4, s33
	buffer_load_dword v1, v4, s[0:3], 0 offen
	buffer_load_dword v2, v4, s[0:3], 0 offen offset:4
	buffer_load_dword v3, v4, s[0:3], 0 offen offset:8
	s_nop 0
	buffer_load_dword v4, v4, s[0:3], 0 offen offset:12
	s_waitcnt vmcnt(0)
	ds_write2_b64 v12, v[1:2], v[3:4] offset0:126 offset1:127
	ds_read2_b64 v[1:4], v11 offset1:1
	s_waitcnt lgkmcnt(0)
	v_cmp_neq_f64_e32 vcc, 0, v[1:2]
	v_cmp_neq_f64_e64 s[6:7], 0, v[3:4]
	s_or_b64 s[6:7], vcc, s[6:7]
	s_and_b64 exec, exec, s[6:7]
	s_cbranch_execz .LBB127_400
; %bb.395:
	v_cmp_ngt_f64_e64 s[6:7], |v[1:2]|, |v[3:4]|
                                        ; implicit-def: $vgpr5_vgpr6
	s_and_saveexec_b64 s[10:11], s[6:7]
	s_xor_b64 s[6:7], exec, s[10:11]
                                        ; implicit-def: $vgpr7_vgpr8
	s_cbranch_execz .LBB127_397
; %bb.396:
	v_div_scale_f64 v[5:6], s[10:11], v[3:4], v[3:4], v[1:2]
	v_rcp_f64_e32 v[7:8], v[5:6]
	v_fma_f64 v[9:10], -v[5:6], v[7:8], 1.0
	v_fma_f64 v[7:8], v[7:8], v[9:10], v[7:8]
	v_div_scale_f64 v[9:10], vcc, v[1:2], v[3:4], v[1:2]
	v_fma_f64 v[18:19], -v[5:6], v[7:8], 1.0
	v_fma_f64 v[7:8], v[7:8], v[18:19], v[7:8]
	v_mul_f64 v[18:19], v[9:10], v[7:8]
	v_fma_f64 v[5:6], -v[5:6], v[18:19], v[9:10]
	v_div_fmas_f64 v[5:6], v[5:6], v[7:8], v[18:19]
	v_div_fixup_f64 v[5:6], v[5:6], v[3:4], v[1:2]
	v_fma_f64 v[1:2], v[1:2], v[5:6], v[3:4]
	v_div_scale_f64 v[3:4], s[10:11], v[1:2], v[1:2], 1.0
	v_div_scale_f64 v[18:19], vcc, 1.0, v[1:2], 1.0
	v_rcp_f64_e32 v[7:8], v[3:4]
	v_fma_f64 v[9:10], -v[3:4], v[7:8], 1.0
	v_fma_f64 v[7:8], v[7:8], v[9:10], v[7:8]
	v_fma_f64 v[9:10], -v[3:4], v[7:8], 1.0
	v_fma_f64 v[7:8], v[7:8], v[9:10], v[7:8]
	v_mul_f64 v[9:10], v[18:19], v[7:8]
	v_fma_f64 v[3:4], -v[3:4], v[9:10], v[18:19]
	v_div_fmas_f64 v[3:4], v[3:4], v[7:8], v[9:10]
	v_div_fixup_f64 v[7:8], v[3:4], v[1:2], 1.0
                                        ; implicit-def: $vgpr1_vgpr2
	v_mul_f64 v[5:6], v[5:6], v[7:8]
	v_xor_b32_e32 v8, 0x80000000, v8
.LBB127_397:
	s_andn2_saveexec_b64 s[6:7], s[6:7]
	s_cbranch_execz .LBB127_399
; %bb.398:
	v_div_scale_f64 v[5:6], s[10:11], v[1:2], v[1:2], v[3:4]
	v_rcp_f64_e32 v[7:8], v[5:6]
	v_fma_f64 v[9:10], -v[5:6], v[7:8], 1.0
	v_fma_f64 v[7:8], v[7:8], v[9:10], v[7:8]
	v_div_scale_f64 v[9:10], vcc, v[3:4], v[1:2], v[3:4]
	v_fma_f64 v[18:19], -v[5:6], v[7:8], 1.0
	v_fma_f64 v[7:8], v[7:8], v[18:19], v[7:8]
	v_mul_f64 v[18:19], v[9:10], v[7:8]
	v_fma_f64 v[5:6], -v[5:6], v[18:19], v[9:10]
	v_div_fmas_f64 v[5:6], v[5:6], v[7:8], v[18:19]
	v_div_fixup_f64 v[7:8], v[5:6], v[1:2], v[3:4]
	v_fma_f64 v[1:2], v[3:4], v[7:8], v[1:2]
	v_div_scale_f64 v[3:4], s[10:11], v[1:2], v[1:2], 1.0
	v_div_scale_f64 v[18:19], vcc, 1.0, v[1:2], 1.0
	v_rcp_f64_e32 v[5:6], v[3:4]
	v_fma_f64 v[9:10], -v[3:4], v[5:6], 1.0
	v_fma_f64 v[5:6], v[5:6], v[9:10], v[5:6]
	v_fma_f64 v[9:10], -v[3:4], v[5:6], 1.0
	v_fma_f64 v[5:6], v[5:6], v[9:10], v[5:6]
	v_mul_f64 v[9:10], v[18:19], v[5:6]
	v_fma_f64 v[3:4], -v[3:4], v[9:10], v[18:19]
	v_div_fmas_f64 v[3:4], v[3:4], v[5:6], v[9:10]
	v_div_fixup_f64 v[5:6], v[3:4], v[1:2], 1.0
	v_mul_f64 v[7:8], v[7:8], -v[5:6]
.LBB127_399:
	s_or_b64 exec, exec, s[6:7]
	ds_write2_b64 v11, v[5:6], v[7:8] offset1:1
.LBB127_400:
	s_or_b64 exec, exec, s[8:9]
	buffer_store_dword v23, off, s[0:3], 0 offset:2096 ; 4-byte Folded Spill
	s_nop 0
	buffer_store_dword v24, off, s[0:3], 0 offset:2100 ; 4-byte Folded Spill
	buffer_store_dword v25, off, s[0:3], 0 offset:2104 ; 4-byte Folded Spill
	;; [unrolled: 1-line block ×4, first 2 shown]
	s_nop 0
	buffer_store_dword v31, off, s[0:3], 0 offset:1956 ; 4-byte Folded Spill
	buffer_store_dword v32, off, s[0:3], 0 offset:1960 ; 4-byte Folded Spill
	;; [unrolled: 1-line block ×3, first 2 shown]
	s_waitcnt vmcnt(0) lgkmcnt(0)
	s_barrier
	ds_read2_b64 v[32:35], v11 offset1:1
	v_cmp_lt_u32_e32 vcc, 31, v0
	s_and_saveexec_b64 s[6:7], vcc
	s_cbranch_execz .LBB127_403
; %bb.401:
	buffer_load_dword v1, off, s[0:3], 0 offset:504
	buffer_load_dword v2, off, s[0:3], 0 offset:508
	buffer_load_dword v3, off, s[0:3], 0 offset:496
	buffer_load_dword v4, off, s[0:3], 0 offset:500
	s_mov_b32 s8, 0
	s_waitcnt vmcnt(2) lgkmcnt(0)
	v_mul_f64 v[5:6], v[34:35], v[1:2]
	v_mul_f64 v[7:8], v[32:33], v[1:2]
	s_waitcnt vmcnt(0)
	v_fma_f64 v[1:2], v[32:33], v[3:4], -v[5:6]
	v_fma_f64 v[3:4], v[34:35], v[3:4], v[7:8]
	buffer_store_dword v1, off, s[0:3], 0 offset:496
	buffer_store_dword v2, off, s[0:3], 0 offset:500
	;; [unrolled: 1-line block ×4, first 2 shown]
.LBB127_402:                            ; =>This Inner Loop Header: Depth=1
	v_add_u32_e32 v5, 0x200, v12
	v_add_u32_e32 v13, s8, v5
	ds_read2_b64 v[5:8], v13 offset1:1
	v_mov_b32_e32 v14, s8
	s_add_i32 s8, s8, 64
	s_cmpk_lg_i32 s8, 0x200
	s_waitcnt lgkmcnt(0)
	v_mul_f64 v[9:10], v[7:8], v[3:4]
	v_fma_f64 v[9:10], v[5:6], v[1:2], -v[9:10]
	v_mul_f64 v[5:6], v[5:6], v[3:4]
	v_fma_f64 v[5:6], v[7:8], v[1:2], v[5:6]
	buffer_load_dword v7, v14, s[0:3], 0 offen offset:512
	buffer_load_dword v8, v14, s[0:3], 0 offen offset:516
	;; [unrolled: 1-line block ×16, first 2 shown]
	s_waitcnt vmcnt(14)
	v_add_f64 v[7:8], v[7:8], -v[9:10]
	s_waitcnt vmcnt(12)
	v_add_f64 v[5:6], v[18:19], -v[5:6]
	buffer_store_dword v7, v14, s[0:3], 0 offen offset:512
	buffer_store_dword v8, v14, s[0:3], 0 offen offset:516
	buffer_store_dword v5, v14, s[0:3], 0 offen offset:520
	buffer_store_dword v6, v14, s[0:3], 0 offen offset:524
	ds_read2_b64 v[5:8], v13 offset0:2 offset1:3
	s_waitcnt lgkmcnt(0)
	v_mul_f64 v[9:10], v[7:8], v[3:4]
	v_fma_f64 v[9:10], v[5:6], v[1:2], -v[9:10]
	v_mul_f64 v[5:6], v[5:6], v[3:4]
	v_fma_f64 v[5:6], v[7:8], v[1:2], v[5:6]
	s_waitcnt vmcnt(14)
	v_add_f64 v[7:8], v[20:21], -v[9:10]
	s_waitcnt vmcnt(12)
	v_add_f64 v[5:6], v[22:23], -v[5:6]
	buffer_store_dword v7, v14, s[0:3], 0 offen offset:528
	buffer_store_dword v8, v14, s[0:3], 0 offen offset:532
	buffer_store_dword v5, v14, s[0:3], 0 offen offset:536
	buffer_store_dword v6, v14, s[0:3], 0 offen offset:540
	ds_read2_b64 v[5:8], v13 offset0:4 offset1:5
	s_waitcnt lgkmcnt(0)
	v_mul_f64 v[9:10], v[7:8], v[3:4]
	v_fma_f64 v[9:10], v[5:6], v[1:2], -v[9:10]
	v_mul_f64 v[5:6], v[5:6], v[3:4]
	v_fma_f64 v[5:6], v[7:8], v[1:2], v[5:6]
	;; [unrolled: 14-line block ×3, first 2 shown]
	s_waitcnt vmcnt(14)
	v_add_f64 v[7:8], v[28:29], -v[9:10]
	s_waitcnt vmcnt(12)
	v_add_f64 v[5:6], v[30:31], -v[5:6]
	buffer_store_dword v8, v14, s[0:3], 0 offen offset:564
	buffer_store_dword v7, v14, s[0:3], 0 offen offset:560
	;; [unrolled: 1-line block ×4, first 2 shown]
	s_cbranch_scc1 .LBB127_402
.LBB127_403:
	s_or_b64 exec, exec, s[6:7]
	v_cmp_eq_u32_e32 vcc, 32, v0
	s_waitcnt vmcnt(0) lgkmcnt(0)
	s_barrier
	s_and_saveexec_b64 s[8:9], vcc
	s_cbranch_execz .LBB127_410
; %bb.404:
	v_mov_b32_e32 v4, s71
	buffer_load_dword v1, v4, s[0:3], 0 offen
	buffer_load_dword v2, v4, s[0:3], 0 offen offset:4
	buffer_load_dword v3, v4, s[0:3], 0 offen offset:8
	s_nop 0
	buffer_load_dword v4, v4, s[0:3], 0 offen offset:12
	s_waitcnt vmcnt(0)
	ds_write2_b64 v11, v[1:2], v[3:4] offset1:1
	v_mov_b32_e32 v4, s70
	buffer_load_dword v1, v4, s[0:3], 0 offen
	buffer_load_dword v2, v4, s[0:3], 0 offen offset:4
	buffer_load_dword v3, v4, s[0:3], 0 offen offset:8
	s_nop 0
	buffer_load_dword v4, v4, s[0:3], 0 offen offset:12
	s_waitcnt vmcnt(0)
	ds_write2_b64 v12, v[1:2], v[3:4] offset0:66 offset1:67
	v_mov_b32_e32 v4, s69
	buffer_load_dword v1, v4, s[0:3], 0 offen
	buffer_load_dword v2, v4, s[0:3], 0 offen offset:4
	buffer_load_dword v3, v4, s[0:3], 0 offen offset:8
	s_nop 0
	buffer_load_dword v4, v4, s[0:3], 0 offen offset:12
	s_waitcnt vmcnt(0)
	ds_write2_b64 v12, v[1:2], v[3:4] offset0:68 offset1:69
	;; [unrolled: 8-line block ×31, first 2 shown]
	ds_read2_b64 v[1:4], v11 offset1:1
	s_waitcnt lgkmcnt(0)
	v_cmp_neq_f64_e32 vcc, 0, v[1:2]
	v_cmp_neq_f64_e64 s[6:7], 0, v[3:4]
	s_or_b64 s[6:7], vcc, s[6:7]
	s_and_b64 exec, exec, s[6:7]
	s_cbranch_execz .LBB127_410
; %bb.405:
	v_cmp_ngt_f64_e64 s[6:7], |v[1:2]|, |v[3:4]|
                                        ; implicit-def: $vgpr5_vgpr6
	s_and_saveexec_b64 s[10:11], s[6:7]
	s_xor_b64 s[6:7], exec, s[10:11]
                                        ; implicit-def: $vgpr7_vgpr8
	s_cbranch_execz .LBB127_407
; %bb.406:
	v_div_scale_f64 v[5:6], s[10:11], v[3:4], v[3:4], v[1:2]
	v_rcp_f64_e32 v[7:8], v[5:6]
	v_fma_f64 v[9:10], -v[5:6], v[7:8], 1.0
	v_fma_f64 v[7:8], v[7:8], v[9:10], v[7:8]
	v_div_scale_f64 v[9:10], vcc, v[1:2], v[3:4], v[1:2]
	v_fma_f64 v[18:19], -v[5:6], v[7:8], 1.0
	v_fma_f64 v[7:8], v[7:8], v[18:19], v[7:8]
	v_mul_f64 v[18:19], v[9:10], v[7:8]
	v_fma_f64 v[5:6], -v[5:6], v[18:19], v[9:10]
	v_div_fmas_f64 v[5:6], v[5:6], v[7:8], v[18:19]
	v_div_fixup_f64 v[5:6], v[5:6], v[3:4], v[1:2]
	v_fma_f64 v[1:2], v[1:2], v[5:6], v[3:4]
	v_div_scale_f64 v[3:4], s[10:11], v[1:2], v[1:2], 1.0
	v_div_scale_f64 v[18:19], vcc, 1.0, v[1:2], 1.0
	v_rcp_f64_e32 v[7:8], v[3:4]
	v_fma_f64 v[9:10], -v[3:4], v[7:8], 1.0
	v_fma_f64 v[7:8], v[7:8], v[9:10], v[7:8]
	v_fma_f64 v[9:10], -v[3:4], v[7:8], 1.0
	v_fma_f64 v[7:8], v[7:8], v[9:10], v[7:8]
	v_mul_f64 v[9:10], v[18:19], v[7:8]
	v_fma_f64 v[3:4], -v[3:4], v[9:10], v[18:19]
	v_div_fmas_f64 v[3:4], v[3:4], v[7:8], v[9:10]
	v_div_fixup_f64 v[7:8], v[3:4], v[1:2], 1.0
                                        ; implicit-def: $vgpr1_vgpr2
	v_mul_f64 v[5:6], v[5:6], v[7:8]
	v_xor_b32_e32 v8, 0x80000000, v8
.LBB127_407:
	s_andn2_saveexec_b64 s[6:7], s[6:7]
	s_cbranch_execz .LBB127_409
; %bb.408:
	v_div_scale_f64 v[5:6], s[10:11], v[1:2], v[1:2], v[3:4]
	v_rcp_f64_e32 v[7:8], v[5:6]
	v_fma_f64 v[9:10], -v[5:6], v[7:8], 1.0
	v_fma_f64 v[7:8], v[7:8], v[9:10], v[7:8]
	v_div_scale_f64 v[9:10], vcc, v[3:4], v[1:2], v[3:4]
	v_fma_f64 v[18:19], -v[5:6], v[7:8], 1.0
	v_fma_f64 v[7:8], v[7:8], v[18:19], v[7:8]
	v_mul_f64 v[18:19], v[9:10], v[7:8]
	v_fma_f64 v[5:6], -v[5:6], v[18:19], v[9:10]
	v_div_fmas_f64 v[5:6], v[5:6], v[7:8], v[18:19]
	v_div_fixup_f64 v[7:8], v[5:6], v[1:2], v[3:4]
	v_fma_f64 v[1:2], v[3:4], v[7:8], v[1:2]
	v_div_scale_f64 v[3:4], s[10:11], v[1:2], v[1:2], 1.0
	v_div_scale_f64 v[18:19], vcc, 1.0, v[1:2], 1.0
	v_rcp_f64_e32 v[5:6], v[3:4]
	v_fma_f64 v[9:10], -v[3:4], v[5:6], 1.0
	v_fma_f64 v[5:6], v[5:6], v[9:10], v[5:6]
	v_fma_f64 v[9:10], -v[3:4], v[5:6], 1.0
	v_fma_f64 v[5:6], v[5:6], v[9:10], v[5:6]
	v_mul_f64 v[9:10], v[18:19], v[5:6]
	v_fma_f64 v[3:4], -v[3:4], v[9:10], v[18:19]
	v_div_fmas_f64 v[3:4], v[3:4], v[5:6], v[9:10]
	v_div_fixup_f64 v[5:6], v[3:4], v[1:2], 1.0
	v_mul_f64 v[7:8], v[7:8], -v[5:6]
.LBB127_409:
	s_or_b64 exec, exec, s[6:7]
	ds_write2_b64 v11, v[5:6], v[7:8] offset1:1
.LBB127_410:
	s_or_b64 exec, exec, s[8:9]
	s_waitcnt lgkmcnt(0)
	s_barrier
	ds_read2_b64 v[1:4], v11 offset1:1
	v_cmp_lt_u32_e32 vcc, 32, v0
	s_waitcnt lgkmcnt(0)
	buffer_store_dword v1, off, s[0:3], 0 offset:1872 ; 4-byte Folded Spill
	s_nop 0
	buffer_store_dword v2, off, s[0:3], 0 offset:1876 ; 4-byte Folded Spill
	buffer_store_dword v3, off, s[0:3], 0 offset:1880 ; 4-byte Folded Spill
	buffer_store_dword v4, off, s[0:3], 0 offset:1884 ; 4-byte Folded Spill
	s_and_saveexec_b64 s[6:7], vcc
	s_cbranch_execz .LBB127_415
; %bb.411:
	buffer_load_dword v1, off, s[0:3], 0 offset:520
	buffer_load_dword v2, off, s[0:3], 0 offset:524
	;; [unrolled: 1-line block ×4, first 2 shown]
	buffer_load_dword v18, off, s[0:3], 0 offset:1872 ; 4-byte Folded Reload
	buffer_load_dword v19, off, s[0:3], 0 offset:1876 ; 4-byte Folded Reload
	;; [unrolled: 1-line block ×4, first 2 shown]
	s_mov_b32 s10, 0
	s_waitcnt vmcnt(2)
	v_mul_f64 v[7:8], v[18:19], v[1:2]
	s_waitcnt vmcnt(0)
	v_mul_f64 v[5:6], v[20:21], v[1:2]
	v_fma_f64 v[1:2], v[18:19], v[3:4], -v[5:6]
	v_fma_f64 v[3:4], v[20:21], v[3:4], v[7:8]
	buffer_store_dword v1, off, s[0:3], 0 offset:512
	buffer_store_dword v2, off, s[0:3], 0 offset:516
	;; [unrolled: 1-line block ×4, first 2 shown]
	s_branch .LBB127_413
.LBB127_412:                            ;   in Loop: Header=BB127_413 Depth=1
	s_andn2_b64 vcc, exec, s[8:9]
	s_cbranch_vccz .LBB127_415
.LBB127_413:                            ; =>This Inner Loop Header: Depth=1
	v_add_u32_e32 v5, 0x210, v12
	v_add_u32_e32 v5, s10, v5
	ds_read2_b64 v[6:9], v5 offset1:1
	v_mov_b32_e32 v10, s10
	s_mov_b32 s11, s10
	s_mov_b64 s[8:9], -1
	s_cmpk_eq_i32 s10, 0x1c0
	s_waitcnt lgkmcnt(0)
	v_mul_f64 v[18:19], v[8:9], v[3:4]
	v_fma_f64 v[18:19], v[6:7], v[1:2], -v[18:19]
	v_mul_f64 v[6:7], v[6:7], v[3:4]
	v_fma_f64 v[6:7], v[8:9], v[1:2], v[6:7]
	buffer_load_dword v8, v10, s[0:3], 0 offen offset:528
	buffer_load_dword v9, v10, s[0:3], 0 offen offset:532
	;; [unrolled: 1-line block ×12, first 2 shown]
	s_waitcnt vmcnt(10)
	v_add_f64 v[8:9], v[8:9], -v[18:19]
	s_waitcnt vmcnt(8)
	v_add_f64 v[6:7], v[20:21], -v[6:7]
	buffer_store_dword v8, v10, s[0:3], 0 offen offset:528
	buffer_store_dword v9, v10, s[0:3], 0 offen offset:532
	buffer_store_dword v6, v10, s[0:3], 0 offen offset:536
	buffer_store_dword v7, v10, s[0:3], 0 offen offset:540
	ds_read2_b64 v[6:9], v5 offset0:2 offset1:3
	s_waitcnt lgkmcnt(0)
	v_mul_f64 v[18:19], v[8:9], v[3:4]
	v_fma_f64 v[18:19], v[6:7], v[1:2], -v[18:19]
	v_mul_f64 v[6:7], v[6:7], v[3:4]
	v_fma_f64 v[6:7], v[8:9], v[1:2], v[6:7]
	s_waitcnt vmcnt(10)
	v_add_f64 v[8:9], v[22:23], -v[18:19]
	s_waitcnt vmcnt(8)
	v_add_f64 v[6:7], v[24:25], -v[6:7]
	buffer_store_dword v8, v10, s[0:3], 0 offen offset:544
	buffer_store_dword v9, v10, s[0:3], 0 offen offset:548
	;; [unrolled: 1-line block ×4, first 2 shown]
	ds_read2_b64 v[6:9], v5 offset0:4 offset1:5
	s_waitcnt lgkmcnt(0)
	v_mul_f64 v[18:19], v[8:9], v[3:4]
	v_fma_f64 v[18:19], v[6:7], v[1:2], -v[18:19]
	v_mul_f64 v[6:7], v[6:7], v[3:4]
	v_fma_f64 v[6:7], v[8:9], v[1:2], v[6:7]
	s_waitcnt vmcnt(10)
	v_add_f64 v[8:9], v[26:27], -v[18:19]
	s_waitcnt vmcnt(8)
	v_add_f64 v[6:7], v[28:29], -v[6:7]
	buffer_store_dword v8, v10, s[0:3], 0 offen offset:560
	buffer_store_dword v9, v10, s[0:3], 0 offen offset:564
	;; [unrolled: 1-line block ×4, first 2 shown]
	s_cbranch_scc1 .LBB127_412
; %bb.414:                              ;   in Loop: Header=BB127_413 Depth=1
	ds_read2_b64 v[5:8], v5 offset0:6 offset1:7
	v_mov_b32_e32 v13, s11
	s_add_i32 s10, s10, 64
	s_mov_b64 s[8:9], 0
	s_waitcnt lgkmcnt(0)
	v_mul_f64 v[9:10], v[7:8], v[3:4]
	v_fma_f64 v[9:10], v[5:6], v[1:2], -v[9:10]
	v_mul_f64 v[5:6], v[5:6], v[3:4]
	v_fma_f64 v[5:6], v[7:8], v[1:2], v[5:6]
	buffer_load_dword v7, v13, s[0:3], 0 offen offset:576
	buffer_load_dword v8, v13, s[0:3], 0 offen offset:580
	;; [unrolled: 1-line block ×4, first 2 shown]
	s_waitcnt vmcnt(2)
	v_add_f64 v[7:8], v[7:8], -v[9:10]
	s_waitcnt vmcnt(0)
	v_add_f64 v[5:6], v[18:19], -v[5:6]
	buffer_store_dword v7, v13, s[0:3], 0 offen offset:576
	buffer_store_dword v8, v13, s[0:3], 0 offen offset:580
	;; [unrolled: 1-line block ×4, first 2 shown]
	s_branch .LBB127_412
.LBB127_415:
	s_or_b64 exec, exec, s[6:7]
	v_cmp_eq_u32_e32 vcc, 33, v0
	s_waitcnt vmcnt(0)
	s_barrier
	s_and_saveexec_b64 s[8:9], vcc
	s_cbranch_execz .LBB127_422
; %bb.416:
	v_mov_b32_e32 v4, s70
	buffer_load_dword v1, v4, s[0:3], 0 offen
	buffer_load_dword v2, v4, s[0:3], 0 offen offset:4
	buffer_load_dword v3, v4, s[0:3], 0 offen offset:8
	s_nop 0
	buffer_load_dword v4, v4, s[0:3], 0 offen offset:12
	s_waitcnt vmcnt(0)
	ds_write2_b64 v11, v[1:2], v[3:4] offset1:1
	v_mov_b32_e32 v4, s69
	buffer_load_dword v1, v4, s[0:3], 0 offen
	buffer_load_dword v2, v4, s[0:3], 0 offen offset:4
	buffer_load_dword v3, v4, s[0:3], 0 offen offset:8
	s_nop 0
	buffer_load_dword v4, v4, s[0:3], 0 offen offset:12
	s_waitcnt vmcnt(0)
	ds_write2_b64 v12, v[1:2], v[3:4] offset0:68 offset1:69
	v_mov_b32_e32 v4, s68
	buffer_load_dword v1, v4, s[0:3], 0 offen
	buffer_load_dword v2, v4, s[0:3], 0 offen offset:4
	buffer_load_dword v3, v4, s[0:3], 0 offen offset:8
	s_nop 0
	buffer_load_dword v4, v4, s[0:3], 0 offen offset:12
	s_waitcnt vmcnt(0)
	ds_write2_b64 v12, v[1:2], v[3:4] offset0:70 offset1:71
	;; [unrolled: 8-line block ×30, first 2 shown]
	ds_read2_b64 v[1:4], v11 offset1:1
	s_waitcnt lgkmcnt(0)
	v_cmp_neq_f64_e32 vcc, 0, v[1:2]
	v_cmp_neq_f64_e64 s[6:7], 0, v[3:4]
	s_or_b64 s[6:7], vcc, s[6:7]
	s_and_b64 exec, exec, s[6:7]
	s_cbranch_execz .LBB127_422
; %bb.417:
	v_cmp_ngt_f64_e64 s[6:7], |v[1:2]|, |v[3:4]|
                                        ; implicit-def: $vgpr5_vgpr6
	s_and_saveexec_b64 s[10:11], s[6:7]
	s_xor_b64 s[6:7], exec, s[10:11]
                                        ; implicit-def: $vgpr7_vgpr8
	s_cbranch_execz .LBB127_419
; %bb.418:
	v_div_scale_f64 v[5:6], s[10:11], v[3:4], v[3:4], v[1:2]
	v_rcp_f64_e32 v[7:8], v[5:6]
	v_fma_f64 v[9:10], -v[5:6], v[7:8], 1.0
	v_fma_f64 v[7:8], v[7:8], v[9:10], v[7:8]
	v_div_scale_f64 v[9:10], vcc, v[1:2], v[3:4], v[1:2]
	v_fma_f64 v[18:19], -v[5:6], v[7:8], 1.0
	v_fma_f64 v[7:8], v[7:8], v[18:19], v[7:8]
	v_mul_f64 v[18:19], v[9:10], v[7:8]
	v_fma_f64 v[5:6], -v[5:6], v[18:19], v[9:10]
	v_div_fmas_f64 v[5:6], v[5:6], v[7:8], v[18:19]
	v_div_fixup_f64 v[5:6], v[5:6], v[3:4], v[1:2]
	v_fma_f64 v[1:2], v[1:2], v[5:6], v[3:4]
	v_div_scale_f64 v[3:4], s[10:11], v[1:2], v[1:2], 1.0
	v_div_scale_f64 v[18:19], vcc, 1.0, v[1:2], 1.0
	v_rcp_f64_e32 v[7:8], v[3:4]
	v_fma_f64 v[9:10], -v[3:4], v[7:8], 1.0
	v_fma_f64 v[7:8], v[7:8], v[9:10], v[7:8]
	v_fma_f64 v[9:10], -v[3:4], v[7:8], 1.0
	v_fma_f64 v[7:8], v[7:8], v[9:10], v[7:8]
	v_mul_f64 v[9:10], v[18:19], v[7:8]
	v_fma_f64 v[3:4], -v[3:4], v[9:10], v[18:19]
	v_div_fmas_f64 v[3:4], v[3:4], v[7:8], v[9:10]
	v_div_fixup_f64 v[7:8], v[3:4], v[1:2], 1.0
                                        ; implicit-def: $vgpr1_vgpr2
	v_mul_f64 v[5:6], v[5:6], v[7:8]
	v_xor_b32_e32 v8, 0x80000000, v8
.LBB127_419:
	s_andn2_saveexec_b64 s[6:7], s[6:7]
	s_cbranch_execz .LBB127_421
; %bb.420:
	v_div_scale_f64 v[5:6], s[10:11], v[1:2], v[1:2], v[3:4]
	v_rcp_f64_e32 v[7:8], v[5:6]
	v_fma_f64 v[9:10], -v[5:6], v[7:8], 1.0
	v_fma_f64 v[7:8], v[7:8], v[9:10], v[7:8]
	v_div_scale_f64 v[9:10], vcc, v[3:4], v[1:2], v[3:4]
	v_fma_f64 v[18:19], -v[5:6], v[7:8], 1.0
	v_fma_f64 v[7:8], v[7:8], v[18:19], v[7:8]
	v_mul_f64 v[18:19], v[9:10], v[7:8]
	v_fma_f64 v[5:6], -v[5:6], v[18:19], v[9:10]
	v_div_fmas_f64 v[5:6], v[5:6], v[7:8], v[18:19]
	v_div_fixup_f64 v[7:8], v[5:6], v[1:2], v[3:4]
	v_fma_f64 v[1:2], v[3:4], v[7:8], v[1:2]
	v_div_scale_f64 v[3:4], s[10:11], v[1:2], v[1:2], 1.0
	v_div_scale_f64 v[18:19], vcc, 1.0, v[1:2], 1.0
	v_rcp_f64_e32 v[5:6], v[3:4]
	v_fma_f64 v[9:10], -v[3:4], v[5:6], 1.0
	v_fma_f64 v[5:6], v[5:6], v[9:10], v[5:6]
	v_fma_f64 v[9:10], -v[3:4], v[5:6], 1.0
	v_fma_f64 v[5:6], v[5:6], v[9:10], v[5:6]
	v_mul_f64 v[9:10], v[18:19], v[5:6]
	v_fma_f64 v[3:4], -v[3:4], v[9:10], v[18:19]
	v_div_fmas_f64 v[3:4], v[3:4], v[5:6], v[9:10]
	v_div_fixup_f64 v[5:6], v[3:4], v[1:2], 1.0
	v_mul_f64 v[7:8], v[7:8], -v[5:6]
.LBB127_421:
	s_or_b64 exec, exec, s[6:7]
	ds_write2_b64 v11, v[5:6], v[7:8] offset1:1
.LBB127_422:
	s_or_b64 exec, exec, s[8:9]
	buffer_store_dword v32, off, s[0:3], 0 offset:2112 ; 4-byte Folded Spill
	s_nop 0
	buffer_store_dword v33, off, s[0:3], 0 offset:2116 ; 4-byte Folded Spill
	buffer_store_dword v34, off, s[0:3], 0 offset:2120 ; 4-byte Folded Spill
	;; [unrolled: 1-line block ×3, first 2 shown]
	s_waitcnt vmcnt(0) lgkmcnt(0)
	s_barrier
	ds_read2_b64 v[1:4], v11 offset1:1
	v_cmp_lt_u32_e32 vcc, 33, v0
	s_waitcnt lgkmcnt(0)
	buffer_store_dword v1, off, s[0:3], 0 offset:1888 ; 4-byte Folded Spill
	s_nop 0
	buffer_store_dword v2, off, s[0:3], 0 offset:1892 ; 4-byte Folded Spill
	buffer_store_dword v3, off, s[0:3], 0 offset:1896 ; 4-byte Folded Spill
	;; [unrolled: 1-line block ×3, first 2 shown]
	s_and_saveexec_b64 s[6:7], vcc
	s_cbranch_execz .LBB127_425
; %bb.423:
	buffer_load_dword v1, off, s[0:3], 0 offset:536
	buffer_load_dword v2, off, s[0:3], 0 offset:540
	;; [unrolled: 1-line block ×4, first 2 shown]
	buffer_load_dword v18, off, s[0:3], 0 offset:1888 ; 4-byte Folded Reload
	buffer_load_dword v19, off, s[0:3], 0 offset:1892 ; 4-byte Folded Reload
	;; [unrolled: 1-line block ×4, first 2 shown]
	s_mov_b32 s8, 0
	s_waitcnt vmcnt(2)
	v_mul_f64 v[7:8], v[18:19], v[1:2]
	s_waitcnt vmcnt(0)
	v_mul_f64 v[5:6], v[20:21], v[1:2]
	v_fma_f64 v[1:2], v[18:19], v[3:4], -v[5:6]
	v_fma_f64 v[3:4], v[20:21], v[3:4], v[7:8]
	buffer_store_dword v1, off, s[0:3], 0 offset:528
	buffer_store_dword v2, off, s[0:3], 0 offset:532
	buffer_store_dword v3, off, s[0:3], 0 offset:536
	buffer_store_dword v4, off, s[0:3], 0 offset:540
.LBB127_424:                            ; =>This Inner Loop Header: Depth=1
	v_add_u32_e32 v5, 0x220, v12
	v_add_u32_e32 v6, s8, v5
	ds_read2_b64 v[7:10], v6 offset1:1
	v_mov_b32_e32 v5, s8
	s_addk_i32 s8, 0x60
	s_cmpk_lg_i32 s8, 0x1e0
	s_waitcnt lgkmcnt(0)
	v_mul_f64 v[18:19], v[9:10], v[3:4]
	v_fma_f64 v[18:19], v[7:8], v[1:2], -v[18:19]
	v_mul_f64 v[7:8], v[7:8], v[3:4]
	v_fma_f64 v[7:8], v[9:10], v[1:2], v[7:8]
	buffer_load_dword v9, v5, s[0:3], 0 offen offset:544
	buffer_load_dword v10, v5, s[0:3], 0 offen offset:548
	;; [unrolled: 1-line block ×16, first 2 shown]
	s_waitcnt vmcnt(14)
	v_add_f64 v[9:10], v[9:10], -v[18:19]
	s_waitcnt vmcnt(12)
	v_add_f64 v[7:8], v[20:21], -v[7:8]
	buffer_store_dword v9, v5, s[0:3], 0 offen offset:544
	buffer_store_dword v10, v5, s[0:3], 0 offen offset:548
	buffer_store_dword v7, v5, s[0:3], 0 offen offset:552
	buffer_store_dword v8, v5, s[0:3], 0 offen offset:556
	ds_read2_b64 v[7:10], v6 offset0:2 offset1:3
	s_waitcnt lgkmcnt(0)
	v_mul_f64 v[18:19], v[9:10], v[3:4]
	v_fma_f64 v[18:19], v[7:8], v[1:2], -v[18:19]
	v_mul_f64 v[7:8], v[7:8], v[3:4]
	v_fma_f64 v[7:8], v[9:10], v[1:2], v[7:8]
	s_waitcnt vmcnt(14)
	v_add_f64 v[9:10], v[22:23], -v[18:19]
	s_waitcnt vmcnt(12)
	v_add_f64 v[7:8], v[24:25], -v[7:8]
	buffer_store_dword v9, v5, s[0:3], 0 offen offset:560
	buffer_store_dword v10, v5, s[0:3], 0 offen offset:564
	buffer_store_dword v7, v5, s[0:3], 0 offen offset:568
	buffer_store_dword v8, v5, s[0:3], 0 offen offset:572
	ds_read2_b64 v[7:10], v6 offset0:4 offset1:5
	s_waitcnt lgkmcnt(0)
	v_mul_f64 v[18:19], v[9:10], v[3:4]
	v_fma_f64 v[18:19], v[7:8], v[1:2], -v[18:19]
	v_mul_f64 v[7:8], v[7:8], v[3:4]
	v_fma_f64 v[7:8], v[9:10], v[1:2], v[7:8]
	;; [unrolled: 14-line block ×4, first 2 shown]
	buffer_load_dword v9, v5, s[0:3], 0 offen offset:608
	buffer_load_dword v10, v5, s[0:3], 0 offen offset:612
	;; [unrolled: 1-line block ×4, first 2 shown]
	s_waitcnt vmcnt(2)
	v_add_f64 v[9:10], v[9:10], -v[18:19]
	s_waitcnt vmcnt(0)
	v_add_f64 v[7:8], v[20:21], -v[7:8]
	buffer_store_dword v10, v5, s[0:3], 0 offen offset:612
	buffer_store_dword v9, v5, s[0:3], 0 offen offset:608
	;; [unrolled: 1-line block ×4, first 2 shown]
	ds_read2_b64 v[6:9], v6 offset0:10 offset1:11
	s_waitcnt lgkmcnt(0)
	v_mul_f64 v[18:19], v[8:9], v[3:4]
	v_fma_f64 v[18:19], v[6:7], v[1:2], -v[18:19]
	v_mul_f64 v[6:7], v[6:7], v[3:4]
	v_fma_f64 v[6:7], v[8:9], v[1:2], v[6:7]
	buffer_load_dword v8, v5, s[0:3], 0 offen offset:624
	buffer_load_dword v9, v5, s[0:3], 0 offen offset:628
	;; [unrolled: 1-line block ×4, first 2 shown]
	s_waitcnt vmcnt(2)
	v_add_f64 v[8:9], v[8:9], -v[18:19]
	s_waitcnt vmcnt(0)
	v_add_f64 v[6:7], v[20:21], -v[6:7]
	buffer_store_dword v9, v5, s[0:3], 0 offen offset:628
	buffer_store_dword v8, v5, s[0:3], 0 offen offset:624
	;; [unrolled: 1-line block ×4, first 2 shown]
	s_cbranch_scc1 .LBB127_424
.LBB127_425:
	s_or_b64 exec, exec, s[6:7]
	v_cmp_eq_u32_e32 vcc, 34, v0
	s_waitcnt vmcnt(0)
	s_barrier
	s_and_saveexec_b64 s[8:9], vcc
	s_cbranch_execz .LBB127_432
; %bb.426:
	v_mov_b32_e32 v4, s69
	buffer_load_dword v1, v4, s[0:3], 0 offen
	buffer_load_dword v2, v4, s[0:3], 0 offen offset:4
	buffer_load_dword v3, v4, s[0:3], 0 offen offset:8
	s_nop 0
	buffer_load_dword v4, v4, s[0:3], 0 offen offset:12
	s_waitcnt vmcnt(0)
	ds_write2_b64 v11, v[1:2], v[3:4] offset1:1
	v_mov_b32_e32 v4, s68
	buffer_load_dword v1, v4, s[0:3], 0 offen
	buffer_load_dword v2, v4, s[0:3], 0 offen offset:4
	buffer_load_dword v3, v4, s[0:3], 0 offen offset:8
	s_nop 0
	buffer_load_dword v4, v4, s[0:3], 0 offen offset:12
	s_waitcnt vmcnt(0)
	ds_write2_b64 v12, v[1:2], v[3:4] offset0:70 offset1:71
	v_mov_b32_e32 v4, s67
	buffer_load_dword v1, v4, s[0:3], 0 offen
	buffer_load_dword v2, v4, s[0:3], 0 offen offset:4
	buffer_load_dword v3, v4, s[0:3], 0 offen offset:8
	s_nop 0
	buffer_load_dword v4, v4, s[0:3], 0 offen offset:12
	s_waitcnt vmcnt(0)
	ds_write2_b64 v12, v[1:2], v[3:4] offset0:72 offset1:73
	;; [unrolled: 8-line block ×29, first 2 shown]
	ds_read2_b64 v[1:4], v11 offset1:1
	s_waitcnt lgkmcnt(0)
	v_cmp_neq_f64_e32 vcc, 0, v[1:2]
	v_cmp_neq_f64_e64 s[6:7], 0, v[3:4]
	s_or_b64 s[6:7], vcc, s[6:7]
	s_and_b64 exec, exec, s[6:7]
	s_cbranch_execz .LBB127_432
; %bb.427:
	v_cmp_ngt_f64_e64 s[6:7], |v[1:2]|, |v[3:4]|
                                        ; implicit-def: $vgpr5_vgpr6
	s_and_saveexec_b64 s[10:11], s[6:7]
	s_xor_b64 s[6:7], exec, s[10:11]
                                        ; implicit-def: $vgpr7_vgpr8
	s_cbranch_execz .LBB127_429
; %bb.428:
	v_div_scale_f64 v[5:6], s[10:11], v[3:4], v[3:4], v[1:2]
	v_rcp_f64_e32 v[7:8], v[5:6]
	v_fma_f64 v[9:10], -v[5:6], v[7:8], 1.0
	v_fma_f64 v[7:8], v[7:8], v[9:10], v[7:8]
	v_div_scale_f64 v[9:10], vcc, v[1:2], v[3:4], v[1:2]
	v_fma_f64 v[18:19], -v[5:6], v[7:8], 1.0
	v_fma_f64 v[7:8], v[7:8], v[18:19], v[7:8]
	v_mul_f64 v[18:19], v[9:10], v[7:8]
	v_fma_f64 v[5:6], -v[5:6], v[18:19], v[9:10]
	v_div_fmas_f64 v[5:6], v[5:6], v[7:8], v[18:19]
	v_div_fixup_f64 v[5:6], v[5:6], v[3:4], v[1:2]
	v_fma_f64 v[1:2], v[1:2], v[5:6], v[3:4]
	v_div_scale_f64 v[3:4], s[10:11], v[1:2], v[1:2], 1.0
	v_div_scale_f64 v[18:19], vcc, 1.0, v[1:2], 1.0
	v_rcp_f64_e32 v[7:8], v[3:4]
	v_fma_f64 v[9:10], -v[3:4], v[7:8], 1.0
	v_fma_f64 v[7:8], v[7:8], v[9:10], v[7:8]
	v_fma_f64 v[9:10], -v[3:4], v[7:8], 1.0
	v_fma_f64 v[7:8], v[7:8], v[9:10], v[7:8]
	v_mul_f64 v[9:10], v[18:19], v[7:8]
	v_fma_f64 v[3:4], -v[3:4], v[9:10], v[18:19]
	v_div_fmas_f64 v[3:4], v[3:4], v[7:8], v[9:10]
	v_div_fixup_f64 v[7:8], v[3:4], v[1:2], 1.0
                                        ; implicit-def: $vgpr1_vgpr2
	v_mul_f64 v[5:6], v[5:6], v[7:8]
	v_xor_b32_e32 v8, 0x80000000, v8
.LBB127_429:
	s_andn2_saveexec_b64 s[6:7], s[6:7]
	s_cbranch_execz .LBB127_431
; %bb.430:
	v_div_scale_f64 v[5:6], s[10:11], v[1:2], v[1:2], v[3:4]
	v_rcp_f64_e32 v[7:8], v[5:6]
	v_fma_f64 v[9:10], -v[5:6], v[7:8], 1.0
	v_fma_f64 v[7:8], v[7:8], v[9:10], v[7:8]
	v_div_scale_f64 v[9:10], vcc, v[3:4], v[1:2], v[3:4]
	v_fma_f64 v[18:19], -v[5:6], v[7:8], 1.0
	v_fma_f64 v[7:8], v[7:8], v[18:19], v[7:8]
	v_mul_f64 v[18:19], v[9:10], v[7:8]
	v_fma_f64 v[5:6], -v[5:6], v[18:19], v[9:10]
	v_div_fmas_f64 v[5:6], v[5:6], v[7:8], v[18:19]
	v_div_fixup_f64 v[7:8], v[5:6], v[1:2], v[3:4]
	v_fma_f64 v[1:2], v[3:4], v[7:8], v[1:2]
	v_div_scale_f64 v[3:4], s[10:11], v[1:2], v[1:2], 1.0
	v_div_scale_f64 v[18:19], vcc, 1.0, v[1:2], 1.0
	v_rcp_f64_e32 v[5:6], v[3:4]
	v_fma_f64 v[9:10], -v[3:4], v[5:6], 1.0
	v_fma_f64 v[5:6], v[5:6], v[9:10], v[5:6]
	v_fma_f64 v[9:10], -v[3:4], v[5:6], 1.0
	v_fma_f64 v[5:6], v[5:6], v[9:10], v[5:6]
	v_mul_f64 v[9:10], v[18:19], v[5:6]
	v_fma_f64 v[3:4], -v[3:4], v[9:10], v[18:19]
	v_div_fmas_f64 v[3:4], v[3:4], v[5:6], v[9:10]
	v_div_fixup_f64 v[5:6], v[3:4], v[1:2], 1.0
	v_mul_f64 v[7:8], v[7:8], -v[5:6]
.LBB127_431:
	s_or_b64 exec, exec, s[6:7]
	ds_write2_b64 v11, v[5:6], v[7:8] offset1:1
.LBB127_432:
	s_or_b64 exec, exec, s[8:9]
	s_waitcnt lgkmcnt(0)
	s_barrier
	ds_read2_b64 v[1:4], v11 offset1:1
	v_cmp_lt_u32_e32 vcc, 34, v0
	s_waitcnt lgkmcnt(0)
	buffer_store_dword v1, off, s[0:3], 0 offset:1904 ; 4-byte Folded Spill
	s_nop 0
	buffer_store_dword v2, off, s[0:3], 0 offset:1908 ; 4-byte Folded Spill
	buffer_store_dword v3, off, s[0:3], 0 offset:1912 ; 4-byte Folded Spill
	;; [unrolled: 1-line block ×3, first 2 shown]
	s_and_saveexec_b64 s[6:7], vcc
	s_cbranch_execz .LBB127_434
; %bb.433:
	buffer_load_dword v3, off, s[0:3], 0 offset:544
	buffer_load_dword v4, off, s[0:3], 0 offset:548
	;; [unrolled: 1-line block ×16, first 2 shown]
	buffer_load_dword v28, off, s[0:3], 0 offset:1904 ; 4-byte Folded Reload
	buffer_load_dword v29, off, s[0:3], 0 offset:1908 ; 4-byte Folded Reload
	;; [unrolled: 1-line block ×4, first 2 shown]
	s_waitcnt vmcnt(0)
	v_mul_f64 v[1:2], v[30:31], v[5:6]
	v_mul_f64 v[5:6], v[28:29], v[5:6]
	v_fma_f64 v[1:2], v[28:29], v[3:4], -v[1:2]
	v_fma_f64 v[3:4], v[30:31], v[3:4], v[5:6]
	buffer_store_dword v1, off, s[0:3], 0 offset:544
	buffer_store_dword v2, off, s[0:3], 0 offset:548
	buffer_store_dword v3, off, s[0:3], 0 offset:552
	buffer_store_dword v4, off, s[0:3], 0 offset:556
	ds_read2_b64 v[5:8], v12 offset0:70 offset1:71
	s_waitcnt lgkmcnt(0)
	v_mul_f64 v[28:29], v[7:8], v[3:4]
	v_fma_f64 v[28:29], v[5:6], v[1:2], -v[28:29]
	v_mul_f64 v[5:6], v[5:6], v[3:4]
	v_fma_f64 v[5:6], v[7:8], v[1:2], v[5:6]
	v_add_f64 v[7:8], v[9:10], -v[28:29]
	v_add_f64 v[5:6], v[18:19], -v[5:6]
	buffer_store_dword v7, off, s[0:3], 0 offset:560
	buffer_store_dword v8, off, s[0:3], 0 offset:564
	buffer_store_dword v5, off, s[0:3], 0 offset:568
	buffer_store_dword v6, off, s[0:3], 0 offset:572
	ds_read2_b64 v[5:8], v12 offset0:72 offset1:73
	s_waitcnt lgkmcnt(0)
	v_mul_f64 v[9:10], v[7:8], v[3:4]
	v_fma_f64 v[9:10], v[5:6], v[1:2], -v[9:10]
	v_mul_f64 v[5:6], v[5:6], v[3:4]
	v_fma_f64 v[5:6], v[7:8], v[1:2], v[5:6]
	v_add_f64 v[7:8], v[20:21], -v[9:10]
	v_add_f64 v[5:6], v[22:23], -v[5:6]
	;; [unrolled: 12-line block ×3, first 2 shown]
	buffer_store_dword v8, off, s[0:3], 0 offset:596
	buffer_store_dword v7, off, s[0:3], 0 offset:592
	;; [unrolled: 1-line block ×4, first 2 shown]
	ds_read2_b64 v[5:8], v12 offset0:76 offset1:77
	s_waitcnt lgkmcnt(0)
	v_mul_f64 v[9:10], v[7:8], v[3:4]
	v_fma_f64 v[9:10], v[5:6], v[1:2], -v[9:10]
	v_mul_f64 v[5:6], v[5:6], v[3:4]
	v_fma_f64 v[5:6], v[7:8], v[1:2], v[5:6]
	buffer_load_dword v7, off, s[0:3], 0 offset:608
	buffer_load_dword v8, off, s[0:3], 0 offset:612
	;; [unrolled: 1-line block ×4, first 2 shown]
	s_waitcnt vmcnt(2)
	v_add_f64 v[7:8], v[7:8], -v[9:10]
	s_waitcnt vmcnt(0)
	v_add_f64 v[5:6], v[18:19], -v[5:6]
	buffer_store_dword v8, off, s[0:3], 0 offset:612
	buffer_store_dword v7, off, s[0:3], 0 offset:608
	;; [unrolled: 1-line block ×4, first 2 shown]
	ds_read2_b64 v[5:8], v12 offset0:78 offset1:79
	s_waitcnt lgkmcnt(0)
	v_mul_f64 v[9:10], v[7:8], v[3:4]
	v_fma_f64 v[9:10], v[5:6], v[1:2], -v[9:10]
	v_mul_f64 v[5:6], v[5:6], v[3:4]
	v_fma_f64 v[5:6], v[7:8], v[1:2], v[5:6]
	buffer_load_dword v7, off, s[0:3], 0 offset:624
	buffer_load_dword v8, off, s[0:3], 0 offset:628
	;; [unrolled: 1-line block ×4, first 2 shown]
	s_waitcnt vmcnt(2)
	v_add_f64 v[7:8], v[7:8], -v[9:10]
	s_waitcnt vmcnt(0)
	v_add_f64 v[5:6], v[18:19], -v[5:6]
	buffer_store_dword v8, off, s[0:3], 0 offset:628
	buffer_store_dword v7, off, s[0:3], 0 offset:624
	;; [unrolled: 1-line block ×4, first 2 shown]
	ds_read2_b64 v[5:8], v12 offset0:80 offset1:81
	s_waitcnt lgkmcnt(0)
	v_mul_f64 v[9:10], v[7:8], v[3:4]
	v_mul_f64 v[3:4], v[5:6], v[3:4]
	v_fma_f64 v[9:10], v[5:6], v[1:2], -v[9:10]
	v_fma_f64 v[1:2], v[7:8], v[1:2], v[3:4]
	buffer_load_dword v3, off, s[0:3], 0 offset:640
	buffer_load_dword v4, off, s[0:3], 0 offset:644
	;; [unrolled: 1-line block ×4, first 2 shown]
	s_waitcnt vmcnt(2)
	v_add_f64 v[3:4], v[3:4], -v[9:10]
	s_waitcnt vmcnt(0)
	v_add_f64 v[1:2], v[5:6], -v[1:2]
	buffer_store_dword v4, off, s[0:3], 0 offset:644
	buffer_store_dword v3, off, s[0:3], 0 offset:640
	;; [unrolled: 1-line block ×4, first 2 shown]
	ds_read2_b64 v[5:8], v12 offset0:82 offset1:83
	buffer_load_dword v1, off, s[0:3], 0 offset:544
	buffer_load_dword v2, off, s[0:3], 0 offset:548
	;; [unrolled: 1-line block ×4, first 2 shown]
	s_waitcnt vmcnt(0) lgkmcnt(0)
	v_mul_f64 v[9:10], v[7:8], v[3:4]
	v_fma_f64 v[9:10], v[5:6], v[1:2], -v[9:10]
	v_mul_f64 v[5:6], v[5:6], v[3:4]
	v_fma_f64 v[5:6], v[7:8], v[1:2], v[5:6]
	buffer_load_dword v8, off, s[0:3], 0 offset:660
	buffer_load_dword v7, off, s[0:3], 0 offset:656
	s_waitcnt vmcnt(0)
	v_add_f64 v[7:8], v[7:8], -v[9:10]
	buffer_load_dword v10, off, s[0:3], 0 offset:668
	buffer_load_dword v9, off, s[0:3], 0 offset:664
	s_waitcnt vmcnt(0)
	v_add_f64 v[5:6], v[9:10], -v[5:6]
	buffer_store_dword v8, off, s[0:3], 0 offset:660
	buffer_store_dword v7, off, s[0:3], 0 offset:656
	buffer_store_dword v6, off, s[0:3], 0 offset:668
	buffer_store_dword v5, off, s[0:3], 0 offset:664
	ds_read2_b64 v[5:8], v12 offset0:84 offset1:85
	s_waitcnt lgkmcnt(0)
	v_mul_f64 v[9:10], v[7:8], v[3:4]
	v_fma_f64 v[9:10], v[5:6], v[1:2], -v[9:10]
	v_mul_f64 v[5:6], v[5:6], v[3:4]
	v_fma_f64 v[5:6], v[7:8], v[1:2], v[5:6]
	buffer_load_dword v7, off, s[0:3], 0 offset:672
	buffer_load_dword v8, off, s[0:3], 0 offset:676
	buffer_load_dword v18, off, s[0:3], 0 offset:680
	buffer_load_dword v19, off, s[0:3], 0 offset:684
	s_waitcnt vmcnt(2)
	v_add_f64 v[7:8], v[7:8], -v[9:10]
	s_waitcnt vmcnt(0)
	v_add_f64 v[5:6], v[18:19], -v[5:6]
	buffer_store_dword v8, off, s[0:3], 0 offset:676
	buffer_store_dword v7, off, s[0:3], 0 offset:672
	buffer_store_dword v6, off, s[0:3], 0 offset:684
	buffer_store_dword v5, off, s[0:3], 0 offset:680
	ds_read2_b64 v[5:8], v12 offset0:86 offset1:87
	s_waitcnt lgkmcnt(0)
	v_mul_f64 v[9:10], v[7:8], v[3:4]
	v_fma_f64 v[9:10], v[5:6], v[1:2], -v[9:10]
	v_mul_f64 v[5:6], v[5:6], v[3:4]
	v_fma_f64 v[5:6], v[7:8], v[1:2], v[5:6]
	buffer_load_dword v7, off, s[0:3], 0 offset:688
	buffer_load_dword v8, off, s[0:3], 0 offset:692
	buffer_load_dword v18, off, s[0:3], 0 offset:696
	buffer_load_dword v19, off, s[0:3], 0 offset:700
	s_waitcnt vmcnt(2)
	v_add_f64 v[7:8], v[7:8], -v[9:10]
	;; [unrolled: 18-line block ×4, first 2 shown]
	s_waitcnt vmcnt(0)
	v_add_f64 v[5:6], v[18:19], -v[5:6]
	buffer_store_dword v8, off, s[0:3], 0 offset:724
	buffer_store_dword v7, off, s[0:3], 0 offset:720
	;; [unrolled: 1-line block ×4, first 2 shown]
	ds_read2_b64 v[5:8], v12 offset0:92 offset1:93
	s_waitcnt lgkmcnt(0)
	v_mul_f64 v[9:10], v[7:8], v[3:4]
	v_mul_f64 v[3:4], v[5:6], v[3:4]
	v_fma_f64 v[9:10], v[5:6], v[1:2], -v[9:10]
	v_fma_f64 v[1:2], v[7:8], v[1:2], v[3:4]
	buffer_load_dword v3, off, s[0:3], 0 offset:736
	buffer_load_dword v4, off, s[0:3], 0 offset:740
	;; [unrolled: 1-line block ×4, first 2 shown]
	s_waitcnt vmcnt(2)
	v_add_f64 v[3:4], v[3:4], -v[9:10]
	s_waitcnt vmcnt(0)
	v_add_f64 v[1:2], v[5:6], -v[1:2]
	buffer_store_dword v4, off, s[0:3], 0 offset:740
	buffer_store_dword v3, off, s[0:3], 0 offset:736
	;; [unrolled: 1-line block ×4, first 2 shown]
	ds_read2_b64 v[5:8], v12 offset0:94 offset1:95
	buffer_load_dword v1, off, s[0:3], 0 offset:544
	buffer_load_dword v2, off, s[0:3], 0 offset:548
	buffer_load_dword v3, off, s[0:3], 0 offset:552
	buffer_load_dword v4, off, s[0:3], 0 offset:556
	s_waitcnt vmcnt(0) lgkmcnt(0)
	v_mul_f64 v[9:10], v[7:8], v[3:4]
	v_fma_f64 v[9:10], v[5:6], v[1:2], -v[9:10]
	v_mul_f64 v[5:6], v[5:6], v[3:4]
	v_fma_f64 v[5:6], v[7:8], v[1:2], v[5:6]
	buffer_load_dword v8, off, s[0:3], 0 offset:756
	buffer_load_dword v7, off, s[0:3], 0 offset:752
	s_waitcnt vmcnt(0)
	v_add_f64 v[7:8], v[7:8], -v[9:10]
	buffer_load_dword v10, off, s[0:3], 0 offset:764
	buffer_load_dword v9, off, s[0:3], 0 offset:760
	s_waitcnt vmcnt(0)
	v_add_f64 v[5:6], v[9:10], -v[5:6]
	buffer_store_dword v8, off, s[0:3], 0 offset:756
	buffer_store_dword v7, off, s[0:3], 0 offset:752
	buffer_store_dword v6, off, s[0:3], 0 offset:764
	buffer_store_dword v5, off, s[0:3], 0 offset:760
	ds_read2_b64 v[5:8], v12 offset0:96 offset1:97
	s_waitcnt lgkmcnt(0)
	v_mul_f64 v[9:10], v[7:8], v[3:4]
	v_fma_f64 v[9:10], v[5:6], v[1:2], -v[9:10]
	v_mul_f64 v[5:6], v[5:6], v[3:4]
	v_fma_f64 v[5:6], v[7:8], v[1:2], v[5:6]
	buffer_load_dword v7, off, s[0:3], 0 offset:768
	buffer_load_dword v8, off, s[0:3], 0 offset:772
	buffer_load_dword v18, off, s[0:3], 0 offset:776
	buffer_load_dword v19, off, s[0:3], 0 offset:780
	s_waitcnt vmcnt(2)
	v_add_f64 v[7:8], v[7:8], -v[9:10]
	s_waitcnt vmcnt(0)
	v_add_f64 v[5:6], v[18:19], -v[5:6]
	buffer_store_dword v8, off, s[0:3], 0 offset:772
	buffer_store_dword v7, off, s[0:3], 0 offset:768
	buffer_store_dword v6, off, s[0:3], 0 offset:780
	buffer_store_dword v5, off, s[0:3], 0 offset:776
	ds_read2_b64 v[5:8], v12 offset0:98 offset1:99
	s_waitcnt lgkmcnt(0)
	v_mul_f64 v[9:10], v[7:8], v[3:4]
	v_fma_f64 v[9:10], v[5:6], v[1:2], -v[9:10]
	v_mul_f64 v[5:6], v[5:6], v[3:4]
	v_fma_f64 v[5:6], v[7:8], v[1:2], v[5:6]
	buffer_load_dword v7, off, s[0:3], 0 offset:784
	buffer_load_dword v8, off, s[0:3], 0 offset:788
	buffer_load_dword v18, off, s[0:3], 0 offset:792
	buffer_load_dword v19, off, s[0:3], 0 offset:796
	s_waitcnt vmcnt(2)
	v_add_f64 v[7:8], v[7:8], -v[9:10]
	s_waitcnt vmcnt(0)
	v_add_f64 v[5:6], v[18:19], -v[5:6]
	buffer_store_dword v8, off, s[0:3], 0 offset:788
	buffer_store_dword v7, off, s[0:3], 0 offset:784
	buffer_store_dword v6, off, s[0:3], 0 offset:796
	buffer_store_dword v5, off, s[0:3], 0 offset:792
	ds_read2_b64 v[5:8], v12 offset0:100 offset1:101
	s_waitcnt lgkmcnt(0)
	v_mul_f64 v[9:10], v[7:8], v[3:4]
	v_fma_f64 v[9:10], v[5:6], v[1:2], -v[9:10]
	v_mul_f64 v[5:6], v[5:6], v[3:4]
	v_fma_f64 v[5:6], v[7:8], v[1:2], v[5:6]
	buffer_load_dword v7, off, s[0:3], 0 offset:800
	buffer_load_dword v8, off, s[0:3], 0 offset:804
	buffer_load_dword v18, off, s[0:3], 0 offset:808
	buffer_load_dword v19, off, s[0:3], 0 offset:812
	s_waitcnt vmcnt(2)
	v_add_f64 v[7:8], v[7:8], -v[9:10]
	s_waitcnt vmcnt(0)
	v_add_f64 v[5:6], v[18:19], -v[5:6]
	buffer_store_dword v8, off, s[0:3], 0 offset:804
	buffer_store_dword v7, off, s[0:3], 0 offset:800
	buffer_store_dword v6, off, s[0:3], 0 offset:812
	buffer_store_dword v5, off, s[0:3], 0 offset:808
	ds_read2_b64 v[5:8], v12 offset0:102 offset1:103
	s_waitcnt lgkmcnt(0)
	v_mul_f64 v[9:10], v[7:8], v[3:4]
	v_fma_f64 v[9:10], v[5:6], v[1:2], -v[9:10]
	v_mul_f64 v[5:6], v[5:6], v[3:4]
	v_fma_f64 v[5:6], v[7:8], v[1:2], v[5:6]
	buffer_load_dword v7, off, s[0:3], 0 offset:816
	buffer_load_dword v8, off, s[0:3], 0 offset:820
	buffer_load_dword v18, off, s[0:3], 0 offset:824
	buffer_load_dword v19, off, s[0:3], 0 offset:828
	s_waitcnt vmcnt(2)
	v_add_f64 v[7:8], v[7:8], -v[9:10]
	s_waitcnt vmcnt(0)
	v_add_f64 v[5:6], v[18:19], -v[5:6]
	buffer_store_dword v8, off, s[0:3], 0 offset:820
	buffer_store_dword v7, off, s[0:3], 0 offset:816
	;; [unrolled: 1-line block ×4, first 2 shown]
	ds_read2_b64 v[5:8], v12 offset0:104 offset1:105
	s_waitcnt lgkmcnt(0)
	v_mul_f64 v[9:10], v[7:8], v[3:4]
	v_mul_f64 v[3:4], v[5:6], v[3:4]
	v_fma_f64 v[9:10], v[5:6], v[1:2], -v[9:10]
	v_fma_f64 v[1:2], v[7:8], v[1:2], v[3:4]
	buffer_load_dword v3, off, s[0:3], 0 offset:832
	buffer_load_dword v4, off, s[0:3], 0 offset:836
	;; [unrolled: 1-line block ×4, first 2 shown]
	s_waitcnt vmcnt(2)
	v_add_f64 v[3:4], v[3:4], -v[9:10]
	s_waitcnt vmcnt(0)
	v_add_f64 v[1:2], v[5:6], -v[1:2]
	buffer_store_dword v4, off, s[0:3], 0 offset:836
	buffer_store_dword v3, off, s[0:3], 0 offset:832
	buffer_store_dword v2, off, s[0:3], 0 offset:844
	buffer_store_dword v1, off, s[0:3], 0 offset:840
	ds_read2_b64 v[1:4], v12 offset0:106 offset1:107
	buffer_load_dword v5, off, s[0:3], 0 offset:544
	buffer_load_dword v6, off, s[0:3], 0 offset:548
	;; [unrolled: 1-line block ×4, first 2 shown]
	s_waitcnt vmcnt(0) lgkmcnt(0)
	v_mul_f64 v[9:10], v[3:4], v[7:8]
	v_fma_f64 v[9:10], v[1:2], v[5:6], -v[9:10]
	v_mul_f64 v[1:2], v[1:2], v[7:8]
	v_fma_f64 v[1:2], v[3:4], v[5:6], v[1:2]
	buffer_load_dword v4, off, s[0:3], 0 offset:852
	buffer_load_dword v3, off, s[0:3], 0 offset:848
	s_waitcnt vmcnt(0)
	v_add_f64 v[3:4], v[3:4], -v[9:10]
	buffer_load_dword v10, off, s[0:3], 0 offset:860
	buffer_load_dword v9, off, s[0:3], 0 offset:856
	s_waitcnt vmcnt(0)
	v_add_f64 v[1:2], v[9:10], -v[1:2]
	buffer_store_dword v4, off, s[0:3], 0 offset:852
	buffer_store_dword v3, off, s[0:3], 0 offset:848
	buffer_store_dword v2, off, s[0:3], 0 offset:860
	buffer_store_dword v1, off, s[0:3], 0 offset:856
	ds_read2_b64 v[1:4], v12 offset0:108 offset1:109
	s_waitcnt lgkmcnt(0)
	v_mul_f64 v[9:10], v[3:4], v[7:8]
	v_fma_f64 v[9:10], v[1:2], v[5:6], -v[9:10]
	v_mul_f64 v[1:2], v[1:2], v[7:8]
	v_fma_f64 v[1:2], v[3:4], v[5:6], v[1:2]
	buffer_load_dword v3, off, s[0:3], 0 offset:864
	buffer_load_dword v4, off, s[0:3], 0 offset:868
	buffer_load_dword v18, off, s[0:3], 0 offset:872
	buffer_load_dword v19, off, s[0:3], 0 offset:876
	s_waitcnt vmcnt(2)
	v_add_f64 v[3:4], v[3:4], -v[9:10]
	s_waitcnt vmcnt(0)
	v_add_f64 v[1:2], v[18:19], -v[1:2]
	buffer_store_dword v4, off, s[0:3], 0 offset:868
	buffer_store_dword v3, off, s[0:3], 0 offset:864
	buffer_store_dword v2, off, s[0:3], 0 offset:876
	buffer_store_dword v1, off, s[0:3], 0 offset:872
	ds_read2_b64 v[1:4], v12 offset0:110 offset1:111
	s_waitcnt lgkmcnt(0)
	v_mul_f64 v[9:10], v[3:4], v[7:8]
	v_fma_f64 v[9:10], v[1:2], v[5:6], -v[9:10]
	v_mul_f64 v[1:2], v[1:2], v[7:8]
	v_fma_f64 v[1:2], v[3:4], v[5:6], v[1:2]
	buffer_load_dword v3, off, s[0:3], 0 offset:880
	buffer_load_dword v4, off, s[0:3], 0 offset:884
	buffer_load_dword v18, off, s[0:3], 0 offset:888
	buffer_load_dword v19, off, s[0:3], 0 offset:892
	s_waitcnt vmcnt(2)
	v_add_f64 v[3:4], v[3:4], -v[9:10]
	;; [unrolled: 18-line block ×5, first 2 shown]
	s_waitcnt vmcnt(0)
	v_add_f64 v[1:2], v[5:6], -v[1:2]
	buffer_store_dword v4, off, s[0:3], 0 offset:932
	buffer_store_dword v3, off, s[0:3], 0 offset:928
	;; [unrolled: 1-line block ×4, first 2 shown]
	ds_read2_b64 v[1:4], v12 offset0:118 offset1:119
	buffer_load_dword v5, off, s[0:3], 0 offset:544
	buffer_load_dword v6, off, s[0:3], 0 offset:548
	;; [unrolled: 1-line block ×4, first 2 shown]
	s_waitcnt vmcnt(0) lgkmcnt(0)
	v_mul_f64 v[9:10], v[3:4], v[7:8]
	v_fma_f64 v[9:10], v[1:2], v[5:6], -v[9:10]
	v_mul_f64 v[1:2], v[1:2], v[7:8]
	v_fma_f64 v[1:2], v[3:4], v[5:6], v[1:2]
	buffer_load_dword v4, off, s[0:3], 0 offset:948
	buffer_load_dword v3, off, s[0:3], 0 offset:944
	s_waitcnt vmcnt(0)
	v_add_f64 v[3:4], v[3:4], -v[9:10]
	buffer_load_dword v10, off, s[0:3], 0 offset:956
	buffer_load_dword v9, off, s[0:3], 0 offset:952
	s_waitcnt vmcnt(0)
	v_add_f64 v[1:2], v[9:10], -v[1:2]
	buffer_store_dword v4, off, s[0:3], 0 offset:948
	buffer_store_dword v3, off, s[0:3], 0 offset:944
	buffer_store_dword v2, off, s[0:3], 0 offset:956
	buffer_store_dword v1, off, s[0:3], 0 offset:952
	ds_read2_b64 v[1:4], v12 offset0:120 offset1:121
	s_waitcnt lgkmcnt(0)
	v_mul_f64 v[9:10], v[3:4], v[7:8]
	v_fma_f64 v[9:10], v[1:2], v[5:6], -v[9:10]
	v_mul_f64 v[1:2], v[1:2], v[7:8]
	v_fma_f64 v[1:2], v[3:4], v[5:6], v[1:2]
	buffer_load_dword v3, off, s[0:3], 0 offset:960
	buffer_load_dword v4, off, s[0:3], 0 offset:964
	buffer_load_dword v18, off, s[0:3], 0 offset:968
	buffer_load_dword v19, off, s[0:3], 0 offset:972
	s_waitcnt vmcnt(2)
	v_add_f64 v[3:4], v[3:4], -v[9:10]
	s_waitcnt vmcnt(0)
	v_add_f64 v[1:2], v[18:19], -v[1:2]
	buffer_store_dword v4, off, s[0:3], 0 offset:964
	buffer_store_dword v3, off, s[0:3], 0 offset:960
	buffer_store_dword v2, off, s[0:3], 0 offset:972
	buffer_store_dword v1, off, s[0:3], 0 offset:968
	ds_read2_b64 v[1:4], v12 offset0:122 offset1:123
	s_waitcnt lgkmcnt(0)
	v_mul_f64 v[9:10], v[3:4], v[7:8]
	v_fma_f64 v[9:10], v[1:2], v[5:6], -v[9:10]
	v_mul_f64 v[1:2], v[1:2], v[7:8]
	v_fma_f64 v[1:2], v[3:4], v[5:6], v[1:2]
	buffer_load_dword v3, off, s[0:3], 0 offset:976
	buffer_load_dword v4, off, s[0:3], 0 offset:980
	buffer_load_dword v18, off, s[0:3], 0 offset:984
	buffer_load_dword v19, off, s[0:3], 0 offset:988
	s_waitcnt vmcnt(2)
	v_add_f64 v[3:4], v[3:4], -v[9:10]
	;; [unrolled: 18-line block ×4, first 2 shown]
	s_waitcnt vmcnt(0)
	v_add_f64 v[1:2], v[7:8], -v[1:2]
	buffer_store_dword v4, off, s[0:3], 0 offset:1012
	buffer_store_dword v3, off, s[0:3], 0 offset:1008
	buffer_store_dword v2, off, s[0:3], 0 offset:1020
	buffer_store_dword v1, off, s[0:3], 0 offset:1016
.LBB127_434:
	s_or_b64 exec, exec, s[6:7]
	v_cmp_eq_u32_e32 vcc, 35, v0
	s_waitcnt vmcnt(0)
	s_barrier
	s_and_saveexec_b64 s[8:9], vcc
	s_cbranch_execz .LBB127_441
; %bb.435:
	v_mov_b32_e32 v4, s68
	buffer_load_dword v1, v4, s[0:3], 0 offen
	buffer_load_dword v2, v4, s[0:3], 0 offen offset:4
	buffer_load_dword v3, v4, s[0:3], 0 offen offset:8
	s_nop 0
	buffer_load_dword v4, v4, s[0:3], 0 offen offset:12
	s_waitcnt vmcnt(0)
	ds_write2_b64 v11, v[1:2], v[3:4] offset1:1
	v_mov_b32_e32 v4, s67
	buffer_load_dword v1, v4, s[0:3], 0 offen
	buffer_load_dword v2, v4, s[0:3], 0 offen offset:4
	buffer_load_dword v3, v4, s[0:3], 0 offen offset:8
	s_nop 0
	buffer_load_dword v4, v4, s[0:3], 0 offen offset:12
	s_waitcnt vmcnt(0)
	ds_write2_b64 v12, v[1:2], v[3:4] offset0:72 offset1:73
	v_mov_b32_e32 v4, s66
	buffer_load_dword v1, v4, s[0:3], 0 offen
	buffer_load_dword v2, v4, s[0:3], 0 offen offset:4
	buffer_load_dword v3, v4, s[0:3], 0 offen offset:8
	s_nop 0
	buffer_load_dword v4, v4, s[0:3], 0 offen offset:12
	s_waitcnt vmcnt(0)
	ds_write2_b64 v12, v[1:2], v[3:4] offset0:74 offset1:75
	;; [unrolled: 8-line block ×28, first 2 shown]
	ds_read2_b64 v[1:4], v11 offset1:1
	s_waitcnt lgkmcnt(0)
	v_cmp_neq_f64_e32 vcc, 0, v[1:2]
	v_cmp_neq_f64_e64 s[6:7], 0, v[3:4]
	s_or_b64 s[6:7], vcc, s[6:7]
	s_and_b64 exec, exec, s[6:7]
	s_cbranch_execz .LBB127_441
; %bb.436:
	v_cmp_ngt_f64_e64 s[6:7], |v[1:2]|, |v[3:4]|
                                        ; implicit-def: $vgpr5_vgpr6
	s_and_saveexec_b64 s[10:11], s[6:7]
	s_xor_b64 s[6:7], exec, s[10:11]
                                        ; implicit-def: $vgpr7_vgpr8
	s_cbranch_execz .LBB127_438
; %bb.437:
	v_div_scale_f64 v[5:6], s[10:11], v[3:4], v[3:4], v[1:2]
	v_rcp_f64_e32 v[7:8], v[5:6]
	v_fma_f64 v[9:10], -v[5:6], v[7:8], 1.0
	v_fma_f64 v[7:8], v[7:8], v[9:10], v[7:8]
	v_div_scale_f64 v[9:10], vcc, v[1:2], v[3:4], v[1:2]
	v_fma_f64 v[18:19], -v[5:6], v[7:8], 1.0
	v_fma_f64 v[7:8], v[7:8], v[18:19], v[7:8]
	v_mul_f64 v[18:19], v[9:10], v[7:8]
	v_fma_f64 v[5:6], -v[5:6], v[18:19], v[9:10]
	v_div_fmas_f64 v[5:6], v[5:6], v[7:8], v[18:19]
	v_div_fixup_f64 v[5:6], v[5:6], v[3:4], v[1:2]
	v_fma_f64 v[1:2], v[1:2], v[5:6], v[3:4]
	v_div_scale_f64 v[3:4], s[10:11], v[1:2], v[1:2], 1.0
	v_div_scale_f64 v[18:19], vcc, 1.0, v[1:2], 1.0
	v_rcp_f64_e32 v[7:8], v[3:4]
	v_fma_f64 v[9:10], -v[3:4], v[7:8], 1.0
	v_fma_f64 v[7:8], v[7:8], v[9:10], v[7:8]
	v_fma_f64 v[9:10], -v[3:4], v[7:8], 1.0
	v_fma_f64 v[7:8], v[7:8], v[9:10], v[7:8]
	v_mul_f64 v[9:10], v[18:19], v[7:8]
	v_fma_f64 v[3:4], -v[3:4], v[9:10], v[18:19]
	v_div_fmas_f64 v[3:4], v[3:4], v[7:8], v[9:10]
	v_div_fixup_f64 v[7:8], v[3:4], v[1:2], 1.0
                                        ; implicit-def: $vgpr1_vgpr2
	v_mul_f64 v[5:6], v[5:6], v[7:8]
	v_xor_b32_e32 v8, 0x80000000, v8
.LBB127_438:
	s_andn2_saveexec_b64 s[6:7], s[6:7]
	s_cbranch_execz .LBB127_440
; %bb.439:
	v_div_scale_f64 v[5:6], s[10:11], v[1:2], v[1:2], v[3:4]
	v_rcp_f64_e32 v[7:8], v[5:6]
	v_fma_f64 v[9:10], -v[5:6], v[7:8], 1.0
	v_fma_f64 v[7:8], v[7:8], v[9:10], v[7:8]
	v_div_scale_f64 v[9:10], vcc, v[3:4], v[1:2], v[3:4]
	v_fma_f64 v[18:19], -v[5:6], v[7:8], 1.0
	v_fma_f64 v[7:8], v[7:8], v[18:19], v[7:8]
	v_mul_f64 v[18:19], v[9:10], v[7:8]
	v_fma_f64 v[5:6], -v[5:6], v[18:19], v[9:10]
	v_div_fmas_f64 v[5:6], v[5:6], v[7:8], v[18:19]
	v_div_fixup_f64 v[7:8], v[5:6], v[1:2], v[3:4]
	v_fma_f64 v[1:2], v[3:4], v[7:8], v[1:2]
	v_div_scale_f64 v[3:4], s[10:11], v[1:2], v[1:2], 1.0
	v_div_scale_f64 v[18:19], vcc, 1.0, v[1:2], 1.0
	v_rcp_f64_e32 v[5:6], v[3:4]
	v_fma_f64 v[9:10], -v[3:4], v[5:6], 1.0
	v_fma_f64 v[5:6], v[5:6], v[9:10], v[5:6]
	v_fma_f64 v[9:10], -v[3:4], v[5:6], 1.0
	v_fma_f64 v[5:6], v[5:6], v[9:10], v[5:6]
	v_mul_f64 v[9:10], v[18:19], v[5:6]
	v_fma_f64 v[3:4], -v[3:4], v[9:10], v[18:19]
	v_div_fmas_f64 v[3:4], v[3:4], v[5:6], v[9:10]
	v_div_fixup_f64 v[5:6], v[3:4], v[1:2], 1.0
	v_mul_f64 v[7:8], v[7:8], -v[5:6]
.LBB127_440:
	s_or_b64 exec, exec, s[6:7]
	ds_write2_b64 v11, v[5:6], v[7:8] offset1:1
.LBB127_441:
	s_or_b64 exec, exec, s[8:9]
	s_waitcnt lgkmcnt(0)
	s_barrier
	ds_read2_b64 v[1:4], v11 offset1:1
	v_cmp_lt_u32_e32 vcc, 35, v0
	s_waitcnt lgkmcnt(0)
	buffer_store_dword v1, off, s[0:3], 0 offset:1920 ; 4-byte Folded Spill
	s_nop 0
	buffer_store_dword v2, off, s[0:3], 0 offset:1924 ; 4-byte Folded Spill
	buffer_store_dword v3, off, s[0:3], 0 offset:1928 ; 4-byte Folded Spill
	;; [unrolled: 1-line block ×3, first 2 shown]
	s_and_saveexec_b64 s[6:7], vcc
	s_cbranch_execz .LBB127_443
; %bb.442:
	buffer_load_dword v3, off, s[0:3], 0 offset:560
	buffer_load_dword v4, off, s[0:3], 0 offset:564
	;; [unrolled: 1-line block ×16, first 2 shown]
	buffer_load_dword v28, off, s[0:3], 0 offset:1920 ; 4-byte Folded Reload
	buffer_load_dword v29, off, s[0:3], 0 offset:1924 ; 4-byte Folded Reload
	;; [unrolled: 1-line block ×4, first 2 shown]
	s_waitcnt vmcnt(0)
	v_mul_f64 v[1:2], v[30:31], v[5:6]
	v_mul_f64 v[5:6], v[28:29], v[5:6]
	v_fma_f64 v[1:2], v[28:29], v[3:4], -v[1:2]
	v_fma_f64 v[3:4], v[30:31], v[3:4], v[5:6]
	buffer_store_dword v1, off, s[0:3], 0 offset:560
	buffer_store_dword v2, off, s[0:3], 0 offset:564
	buffer_store_dword v3, off, s[0:3], 0 offset:568
	buffer_store_dword v4, off, s[0:3], 0 offset:572
	ds_read2_b64 v[5:8], v12 offset0:72 offset1:73
	s_waitcnt lgkmcnt(0)
	v_mul_f64 v[28:29], v[7:8], v[3:4]
	v_fma_f64 v[28:29], v[5:6], v[1:2], -v[28:29]
	v_mul_f64 v[5:6], v[5:6], v[3:4]
	v_fma_f64 v[5:6], v[7:8], v[1:2], v[5:6]
	v_add_f64 v[7:8], v[9:10], -v[28:29]
	v_add_f64 v[5:6], v[18:19], -v[5:6]
	buffer_store_dword v7, off, s[0:3], 0 offset:576
	buffer_store_dword v8, off, s[0:3], 0 offset:580
	buffer_store_dword v5, off, s[0:3], 0 offset:584
	buffer_store_dword v6, off, s[0:3], 0 offset:588
	ds_read2_b64 v[5:8], v12 offset0:74 offset1:75
	s_waitcnt lgkmcnt(0)
	v_mul_f64 v[9:10], v[7:8], v[3:4]
	v_fma_f64 v[9:10], v[5:6], v[1:2], -v[9:10]
	v_mul_f64 v[5:6], v[5:6], v[3:4]
	v_fma_f64 v[5:6], v[7:8], v[1:2], v[5:6]
	v_add_f64 v[7:8], v[20:21], -v[9:10]
	v_add_f64 v[5:6], v[22:23], -v[5:6]
	;; [unrolled: 12-line block ×3, first 2 shown]
	buffer_store_dword v8, off, s[0:3], 0 offset:612
	buffer_store_dword v7, off, s[0:3], 0 offset:608
	;; [unrolled: 1-line block ×4, first 2 shown]
	ds_read2_b64 v[5:8], v12 offset0:78 offset1:79
	s_waitcnt lgkmcnt(0)
	v_mul_f64 v[9:10], v[7:8], v[3:4]
	v_fma_f64 v[9:10], v[5:6], v[1:2], -v[9:10]
	v_mul_f64 v[5:6], v[5:6], v[3:4]
	v_fma_f64 v[5:6], v[7:8], v[1:2], v[5:6]
	buffer_load_dword v7, off, s[0:3], 0 offset:624
	buffer_load_dword v8, off, s[0:3], 0 offset:628
	;; [unrolled: 1-line block ×4, first 2 shown]
	s_waitcnt vmcnt(2)
	v_add_f64 v[7:8], v[7:8], -v[9:10]
	s_waitcnt vmcnt(0)
	v_add_f64 v[5:6], v[18:19], -v[5:6]
	buffer_store_dword v8, off, s[0:3], 0 offset:628
	buffer_store_dword v7, off, s[0:3], 0 offset:624
	;; [unrolled: 1-line block ×4, first 2 shown]
	ds_read2_b64 v[5:8], v12 offset0:80 offset1:81
	s_waitcnt lgkmcnt(0)
	v_mul_f64 v[9:10], v[7:8], v[3:4]
	v_fma_f64 v[9:10], v[5:6], v[1:2], -v[9:10]
	v_mul_f64 v[5:6], v[5:6], v[3:4]
	v_fma_f64 v[5:6], v[7:8], v[1:2], v[5:6]
	buffer_load_dword v7, off, s[0:3], 0 offset:640
	buffer_load_dword v8, off, s[0:3], 0 offset:644
	;; [unrolled: 1-line block ×4, first 2 shown]
	s_waitcnt vmcnt(2)
	v_add_f64 v[7:8], v[7:8], -v[9:10]
	s_waitcnt vmcnt(0)
	v_add_f64 v[5:6], v[18:19], -v[5:6]
	buffer_store_dword v8, off, s[0:3], 0 offset:644
	buffer_store_dword v7, off, s[0:3], 0 offset:640
	;; [unrolled: 1-line block ×4, first 2 shown]
	ds_read2_b64 v[5:8], v12 offset0:82 offset1:83
	s_waitcnt lgkmcnt(0)
	v_mul_f64 v[9:10], v[7:8], v[3:4]
	v_mul_f64 v[3:4], v[5:6], v[3:4]
	v_fma_f64 v[9:10], v[5:6], v[1:2], -v[9:10]
	v_fma_f64 v[1:2], v[7:8], v[1:2], v[3:4]
	buffer_load_dword v3, off, s[0:3], 0 offset:656
	buffer_load_dword v4, off, s[0:3], 0 offset:660
	buffer_load_dword v5, off, s[0:3], 0 offset:664
	buffer_load_dword v6, off, s[0:3], 0 offset:668
	s_waitcnt vmcnt(2)
	v_add_f64 v[3:4], v[3:4], -v[9:10]
	s_waitcnt vmcnt(0)
	v_add_f64 v[1:2], v[5:6], -v[1:2]
	buffer_store_dword v4, off, s[0:3], 0 offset:660
	buffer_store_dword v3, off, s[0:3], 0 offset:656
	;; [unrolled: 1-line block ×4, first 2 shown]
	ds_read2_b64 v[5:8], v12 offset0:84 offset1:85
	buffer_load_dword v1, off, s[0:3], 0 offset:560
	buffer_load_dword v2, off, s[0:3], 0 offset:564
	;; [unrolled: 1-line block ×4, first 2 shown]
	s_waitcnt vmcnt(0) lgkmcnt(0)
	v_mul_f64 v[9:10], v[7:8], v[3:4]
	v_fma_f64 v[9:10], v[5:6], v[1:2], -v[9:10]
	v_mul_f64 v[5:6], v[5:6], v[3:4]
	v_fma_f64 v[5:6], v[7:8], v[1:2], v[5:6]
	buffer_load_dword v8, off, s[0:3], 0 offset:676
	buffer_load_dword v7, off, s[0:3], 0 offset:672
	s_waitcnt vmcnt(0)
	v_add_f64 v[7:8], v[7:8], -v[9:10]
	buffer_load_dword v10, off, s[0:3], 0 offset:684
	buffer_load_dword v9, off, s[0:3], 0 offset:680
	s_waitcnt vmcnt(0)
	v_add_f64 v[5:6], v[9:10], -v[5:6]
	buffer_store_dword v8, off, s[0:3], 0 offset:676
	buffer_store_dword v7, off, s[0:3], 0 offset:672
	buffer_store_dword v6, off, s[0:3], 0 offset:684
	buffer_store_dword v5, off, s[0:3], 0 offset:680
	ds_read2_b64 v[5:8], v12 offset0:86 offset1:87
	s_waitcnt lgkmcnt(0)
	v_mul_f64 v[9:10], v[7:8], v[3:4]
	v_fma_f64 v[9:10], v[5:6], v[1:2], -v[9:10]
	v_mul_f64 v[5:6], v[5:6], v[3:4]
	v_fma_f64 v[5:6], v[7:8], v[1:2], v[5:6]
	buffer_load_dword v7, off, s[0:3], 0 offset:688
	buffer_load_dword v8, off, s[0:3], 0 offset:692
	buffer_load_dword v18, off, s[0:3], 0 offset:696
	buffer_load_dword v19, off, s[0:3], 0 offset:700
	s_waitcnt vmcnt(2)
	v_add_f64 v[7:8], v[7:8], -v[9:10]
	s_waitcnt vmcnt(0)
	v_add_f64 v[5:6], v[18:19], -v[5:6]
	buffer_store_dword v8, off, s[0:3], 0 offset:692
	buffer_store_dword v7, off, s[0:3], 0 offset:688
	buffer_store_dword v6, off, s[0:3], 0 offset:700
	buffer_store_dword v5, off, s[0:3], 0 offset:696
	ds_read2_b64 v[5:8], v12 offset0:88 offset1:89
	s_waitcnt lgkmcnt(0)
	v_mul_f64 v[9:10], v[7:8], v[3:4]
	v_fma_f64 v[9:10], v[5:6], v[1:2], -v[9:10]
	v_mul_f64 v[5:6], v[5:6], v[3:4]
	v_fma_f64 v[5:6], v[7:8], v[1:2], v[5:6]
	buffer_load_dword v7, off, s[0:3], 0 offset:704
	buffer_load_dword v8, off, s[0:3], 0 offset:708
	buffer_load_dword v18, off, s[0:3], 0 offset:712
	buffer_load_dword v19, off, s[0:3], 0 offset:716
	s_waitcnt vmcnt(2)
	v_add_f64 v[7:8], v[7:8], -v[9:10]
	;; [unrolled: 18-line block ×4, first 2 shown]
	s_waitcnt vmcnt(0)
	v_add_f64 v[5:6], v[18:19], -v[5:6]
	buffer_store_dword v8, off, s[0:3], 0 offset:740
	buffer_store_dword v7, off, s[0:3], 0 offset:736
	;; [unrolled: 1-line block ×4, first 2 shown]
	ds_read2_b64 v[5:8], v12 offset0:94 offset1:95
	s_waitcnt lgkmcnt(0)
	v_mul_f64 v[9:10], v[7:8], v[3:4]
	v_mul_f64 v[3:4], v[5:6], v[3:4]
	v_fma_f64 v[9:10], v[5:6], v[1:2], -v[9:10]
	v_fma_f64 v[1:2], v[7:8], v[1:2], v[3:4]
	buffer_load_dword v3, off, s[0:3], 0 offset:752
	buffer_load_dword v4, off, s[0:3], 0 offset:756
	;; [unrolled: 1-line block ×4, first 2 shown]
	s_waitcnt vmcnt(2)
	v_add_f64 v[3:4], v[3:4], -v[9:10]
	s_waitcnt vmcnt(0)
	v_add_f64 v[1:2], v[5:6], -v[1:2]
	buffer_store_dword v4, off, s[0:3], 0 offset:756
	buffer_store_dword v3, off, s[0:3], 0 offset:752
	;; [unrolled: 1-line block ×4, first 2 shown]
	ds_read2_b64 v[5:8], v12 offset0:96 offset1:97
	buffer_load_dword v1, off, s[0:3], 0 offset:560
	buffer_load_dword v2, off, s[0:3], 0 offset:564
	;; [unrolled: 1-line block ×4, first 2 shown]
	s_waitcnt vmcnt(0) lgkmcnt(0)
	v_mul_f64 v[9:10], v[7:8], v[3:4]
	v_fma_f64 v[9:10], v[5:6], v[1:2], -v[9:10]
	v_mul_f64 v[5:6], v[5:6], v[3:4]
	v_fma_f64 v[5:6], v[7:8], v[1:2], v[5:6]
	buffer_load_dword v8, off, s[0:3], 0 offset:772
	buffer_load_dword v7, off, s[0:3], 0 offset:768
	s_waitcnt vmcnt(0)
	v_add_f64 v[7:8], v[7:8], -v[9:10]
	buffer_load_dword v10, off, s[0:3], 0 offset:780
	buffer_load_dword v9, off, s[0:3], 0 offset:776
	s_waitcnt vmcnt(0)
	v_add_f64 v[5:6], v[9:10], -v[5:6]
	buffer_store_dword v8, off, s[0:3], 0 offset:772
	buffer_store_dword v7, off, s[0:3], 0 offset:768
	buffer_store_dword v6, off, s[0:3], 0 offset:780
	buffer_store_dword v5, off, s[0:3], 0 offset:776
	ds_read2_b64 v[5:8], v12 offset0:98 offset1:99
	s_waitcnt lgkmcnt(0)
	v_mul_f64 v[9:10], v[7:8], v[3:4]
	v_fma_f64 v[9:10], v[5:6], v[1:2], -v[9:10]
	v_mul_f64 v[5:6], v[5:6], v[3:4]
	v_fma_f64 v[5:6], v[7:8], v[1:2], v[5:6]
	buffer_load_dword v7, off, s[0:3], 0 offset:784
	buffer_load_dword v8, off, s[0:3], 0 offset:788
	buffer_load_dword v18, off, s[0:3], 0 offset:792
	buffer_load_dword v19, off, s[0:3], 0 offset:796
	s_waitcnt vmcnt(2)
	v_add_f64 v[7:8], v[7:8], -v[9:10]
	s_waitcnt vmcnt(0)
	v_add_f64 v[5:6], v[18:19], -v[5:6]
	buffer_store_dword v8, off, s[0:3], 0 offset:788
	buffer_store_dword v7, off, s[0:3], 0 offset:784
	buffer_store_dword v6, off, s[0:3], 0 offset:796
	buffer_store_dword v5, off, s[0:3], 0 offset:792
	ds_read2_b64 v[5:8], v12 offset0:100 offset1:101
	s_waitcnt lgkmcnt(0)
	v_mul_f64 v[9:10], v[7:8], v[3:4]
	v_fma_f64 v[9:10], v[5:6], v[1:2], -v[9:10]
	v_mul_f64 v[5:6], v[5:6], v[3:4]
	v_fma_f64 v[5:6], v[7:8], v[1:2], v[5:6]
	buffer_load_dword v7, off, s[0:3], 0 offset:800
	buffer_load_dword v8, off, s[0:3], 0 offset:804
	buffer_load_dword v18, off, s[0:3], 0 offset:808
	buffer_load_dword v19, off, s[0:3], 0 offset:812
	s_waitcnt vmcnt(2)
	v_add_f64 v[7:8], v[7:8], -v[9:10]
	;; [unrolled: 18-line block ×4, first 2 shown]
	s_waitcnt vmcnt(0)
	v_add_f64 v[5:6], v[18:19], -v[5:6]
	buffer_store_dword v8, off, s[0:3], 0 offset:836
	buffer_store_dword v7, off, s[0:3], 0 offset:832
	;; [unrolled: 1-line block ×4, first 2 shown]
	ds_read2_b64 v[5:8], v12 offset0:106 offset1:107
	s_waitcnt lgkmcnt(0)
	v_mul_f64 v[9:10], v[7:8], v[3:4]
	v_mul_f64 v[3:4], v[5:6], v[3:4]
	v_fma_f64 v[9:10], v[5:6], v[1:2], -v[9:10]
	v_fma_f64 v[1:2], v[7:8], v[1:2], v[3:4]
	buffer_load_dword v3, off, s[0:3], 0 offset:848
	buffer_load_dword v4, off, s[0:3], 0 offset:852
	buffer_load_dword v5, off, s[0:3], 0 offset:856
	buffer_load_dword v6, off, s[0:3], 0 offset:860
	s_waitcnt vmcnt(2)
	v_add_f64 v[3:4], v[3:4], -v[9:10]
	s_waitcnt vmcnt(0)
	v_add_f64 v[1:2], v[5:6], -v[1:2]
	buffer_store_dword v4, off, s[0:3], 0 offset:852
	buffer_store_dword v3, off, s[0:3], 0 offset:848
	;; [unrolled: 1-line block ×4, first 2 shown]
	ds_read2_b64 v[1:4], v12 offset0:108 offset1:109
	buffer_load_dword v5, off, s[0:3], 0 offset:560
	buffer_load_dword v6, off, s[0:3], 0 offset:564
	;; [unrolled: 1-line block ×4, first 2 shown]
	s_waitcnt vmcnt(0) lgkmcnt(0)
	v_mul_f64 v[9:10], v[3:4], v[7:8]
	v_fma_f64 v[9:10], v[1:2], v[5:6], -v[9:10]
	v_mul_f64 v[1:2], v[1:2], v[7:8]
	v_fma_f64 v[1:2], v[3:4], v[5:6], v[1:2]
	buffer_load_dword v4, off, s[0:3], 0 offset:868
	buffer_load_dword v3, off, s[0:3], 0 offset:864
	s_waitcnt vmcnt(0)
	v_add_f64 v[3:4], v[3:4], -v[9:10]
	buffer_load_dword v10, off, s[0:3], 0 offset:876
	buffer_load_dword v9, off, s[0:3], 0 offset:872
	s_waitcnt vmcnt(0)
	v_add_f64 v[1:2], v[9:10], -v[1:2]
	buffer_store_dword v4, off, s[0:3], 0 offset:868
	buffer_store_dword v3, off, s[0:3], 0 offset:864
	buffer_store_dword v2, off, s[0:3], 0 offset:876
	buffer_store_dword v1, off, s[0:3], 0 offset:872
	ds_read2_b64 v[1:4], v12 offset0:110 offset1:111
	s_waitcnt lgkmcnt(0)
	v_mul_f64 v[9:10], v[3:4], v[7:8]
	v_fma_f64 v[9:10], v[1:2], v[5:6], -v[9:10]
	v_mul_f64 v[1:2], v[1:2], v[7:8]
	v_fma_f64 v[1:2], v[3:4], v[5:6], v[1:2]
	buffer_load_dword v3, off, s[0:3], 0 offset:880
	buffer_load_dword v4, off, s[0:3], 0 offset:884
	buffer_load_dword v18, off, s[0:3], 0 offset:888
	buffer_load_dword v19, off, s[0:3], 0 offset:892
	s_waitcnt vmcnt(2)
	v_add_f64 v[3:4], v[3:4], -v[9:10]
	s_waitcnt vmcnt(0)
	v_add_f64 v[1:2], v[18:19], -v[1:2]
	buffer_store_dword v4, off, s[0:3], 0 offset:884
	buffer_store_dword v3, off, s[0:3], 0 offset:880
	buffer_store_dword v2, off, s[0:3], 0 offset:892
	buffer_store_dword v1, off, s[0:3], 0 offset:888
	ds_read2_b64 v[1:4], v12 offset0:112 offset1:113
	s_waitcnt lgkmcnt(0)
	v_mul_f64 v[9:10], v[3:4], v[7:8]
	v_fma_f64 v[9:10], v[1:2], v[5:6], -v[9:10]
	v_mul_f64 v[1:2], v[1:2], v[7:8]
	v_fma_f64 v[1:2], v[3:4], v[5:6], v[1:2]
	buffer_load_dword v3, off, s[0:3], 0 offset:896
	buffer_load_dword v4, off, s[0:3], 0 offset:900
	buffer_load_dword v18, off, s[0:3], 0 offset:904
	buffer_load_dword v19, off, s[0:3], 0 offset:908
	s_waitcnt vmcnt(2)
	v_add_f64 v[3:4], v[3:4], -v[9:10]
	s_waitcnt vmcnt(0)
	v_add_f64 v[1:2], v[18:19], -v[1:2]
	buffer_store_dword v4, off, s[0:3], 0 offset:900
	buffer_store_dword v3, off, s[0:3], 0 offset:896
	buffer_store_dword v2, off, s[0:3], 0 offset:908
	buffer_store_dword v1, off, s[0:3], 0 offset:904
	ds_read2_b64 v[1:4], v12 offset0:114 offset1:115
	s_waitcnt lgkmcnt(0)
	v_mul_f64 v[9:10], v[3:4], v[7:8]
	v_fma_f64 v[9:10], v[1:2], v[5:6], -v[9:10]
	v_mul_f64 v[1:2], v[1:2], v[7:8]
	v_fma_f64 v[1:2], v[3:4], v[5:6], v[1:2]
	buffer_load_dword v3, off, s[0:3], 0 offset:912
	buffer_load_dword v4, off, s[0:3], 0 offset:916
	buffer_load_dword v18, off, s[0:3], 0 offset:920
	buffer_load_dword v19, off, s[0:3], 0 offset:924
	s_waitcnt vmcnt(2)
	v_add_f64 v[3:4], v[3:4], -v[9:10]
	s_waitcnt vmcnt(0)
	v_add_f64 v[1:2], v[18:19], -v[1:2]
	buffer_store_dword v4, off, s[0:3], 0 offset:916
	buffer_store_dword v3, off, s[0:3], 0 offset:912
	buffer_store_dword v2, off, s[0:3], 0 offset:924
	buffer_store_dword v1, off, s[0:3], 0 offset:920
	ds_read2_b64 v[1:4], v12 offset0:116 offset1:117
	s_waitcnt lgkmcnt(0)
	v_mul_f64 v[9:10], v[3:4], v[7:8]
	v_fma_f64 v[9:10], v[1:2], v[5:6], -v[9:10]
	v_mul_f64 v[1:2], v[1:2], v[7:8]
	v_fma_f64 v[1:2], v[3:4], v[5:6], v[1:2]
	buffer_load_dword v3, off, s[0:3], 0 offset:928
	buffer_load_dword v4, off, s[0:3], 0 offset:932
	buffer_load_dword v18, off, s[0:3], 0 offset:936
	buffer_load_dword v19, off, s[0:3], 0 offset:940
	s_waitcnt vmcnt(2)
	v_add_f64 v[3:4], v[3:4], -v[9:10]
	s_waitcnt vmcnt(0)
	v_add_f64 v[1:2], v[18:19], -v[1:2]
	buffer_store_dword v4, off, s[0:3], 0 offset:932
	buffer_store_dword v3, off, s[0:3], 0 offset:928
	buffer_store_dword v2, off, s[0:3], 0 offset:940
	buffer_store_dword v1, off, s[0:3], 0 offset:936
	ds_read2_b64 v[1:4], v12 offset0:118 offset1:119
	s_waitcnt lgkmcnt(0)
	v_mul_f64 v[9:10], v[3:4], v[7:8]
	v_fma_f64 v[9:10], v[1:2], v[5:6], -v[9:10]
	v_mul_f64 v[1:2], v[1:2], v[7:8]
	v_fma_f64 v[1:2], v[3:4], v[5:6], v[1:2]
	buffer_load_dword v3, off, s[0:3], 0 offset:944
	buffer_load_dword v4, off, s[0:3], 0 offset:948
	buffer_load_dword v5, off, s[0:3], 0 offset:952
	buffer_load_dword v6, off, s[0:3], 0 offset:956
	s_waitcnt vmcnt(2)
	v_add_f64 v[3:4], v[3:4], -v[9:10]
	s_waitcnt vmcnt(0)
	v_add_f64 v[1:2], v[5:6], -v[1:2]
	buffer_store_dword v4, off, s[0:3], 0 offset:948
	buffer_store_dword v3, off, s[0:3], 0 offset:944
	;; [unrolled: 1-line block ×4, first 2 shown]
	ds_read2_b64 v[1:4], v12 offset0:120 offset1:121
	buffer_load_dword v5, off, s[0:3], 0 offset:560
	buffer_load_dword v6, off, s[0:3], 0 offset:564
	;; [unrolled: 1-line block ×4, first 2 shown]
	s_waitcnt vmcnt(0) lgkmcnt(0)
	v_mul_f64 v[9:10], v[3:4], v[7:8]
	v_fma_f64 v[18:19], v[1:2], v[5:6], -v[9:10]
	v_mul_f64 v[1:2], v[1:2], v[7:8]
	v_fma_f64 v[1:2], v[3:4], v[5:6], v[1:2]
	buffer_load_dword v4, off, s[0:3], 0 offset:964
	buffer_load_dword v3, off, s[0:3], 0 offset:960
	buffer_load_dword v10, off, s[0:3], 0 offset:972
	buffer_load_dword v9, off, s[0:3], 0 offset:968
	s_waitcnt vmcnt(2)
	v_add_f64 v[3:4], v[3:4], -v[18:19]
	s_waitcnt vmcnt(0)
	v_add_f64 v[1:2], v[9:10], -v[1:2]
	buffer_store_dword v4, off, s[0:3], 0 offset:964
	buffer_store_dword v3, off, s[0:3], 0 offset:960
	buffer_store_dword v2, off, s[0:3], 0 offset:972
	buffer_store_dword v1, off, s[0:3], 0 offset:968
	ds_read2_b64 v[1:4], v12 offset0:122 offset1:123
	s_waitcnt lgkmcnt(0)
	v_mul_f64 v[9:10], v[3:4], v[7:8]
	v_fma_f64 v[9:10], v[1:2], v[5:6], -v[9:10]
	v_mul_f64 v[1:2], v[1:2], v[7:8]
	v_fma_f64 v[1:2], v[3:4], v[5:6], v[1:2]
	buffer_load_dword v3, off, s[0:3], 0 offset:976
	buffer_load_dword v4, off, s[0:3], 0 offset:980
	buffer_load_dword v18, off, s[0:3], 0 offset:984
	buffer_load_dword v19, off, s[0:3], 0 offset:988
	s_waitcnt vmcnt(2)
	v_add_f64 v[3:4], v[3:4], -v[9:10]
	s_waitcnt vmcnt(0)
	v_add_f64 v[1:2], v[18:19], -v[1:2]
	buffer_store_dword v4, off, s[0:3], 0 offset:980
	buffer_store_dword v3, off, s[0:3], 0 offset:976
	buffer_store_dword v2, off, s[0:3], 0 offset:988
	buffer_store_dword v1, off, s[0:3], 0 offset:984
	ds_read2_b64 v[1:4], v12 offset0:124 offset1:125
	s_waitcnt lgkmcnt(0)
	;; [unrolled: 18-line block ×3, first 2 shown]
	v_mul_f64 v[1:2], v[20:21], v[7:8]
	v_fma_f64 v[3:4], v[18:19], v[5:6], -v[1:2]
	v_mul_f64 v[1:2], v[18:19], v[7:8]
	v_fma_f64 v[1:2], v[20:21], v[5:6], v[1:2]
	buffer_load_dword v5, off, s[0:3], 0 offset:1008
	buffer_load_dword v6, off, s[0:3], 0 offset:1012
	;; [unrolled: 1-line block ×4, first 2 shown]
	s_waitcnt vmcnt(2)
	v_add_f64 v[3:4], v[5:6], -v[3:4]
	s_waitcnt vmcnt(0)
	v_add_f64 v[1:2], v[7:8], -v[1:2]
	buffer_store_dword v4, off, s[0:3], 0 offset:1012
	buffer_store_dword v3, off, s[0:3], 0 offset:1008
	buffer_store_dword v2, off, s[0:3], 0 offset:1020
	buffer_store_dword v1, off, s[0:3], 0 offset:1016
.LBB127_443:
	s_or_b64 exec, exec, s[6:7]
	v_cmp_eq_u32_e32 vcc, 36, v0
	s_waitcnt vmcnt(0)
	s_barrier
	s_and_saveexec_b64 s[8:9], vcc
	s_cbranch_execz .LBB127_450
; %bb.444:
	v_mov_b32_e32 v4, s67
	buffer_load_dword v1, v4, s[0:3], 0 offen
	buffer_load_dword v2, v4, s[0:3], 0 offen offset:4
	buffer_load_dword v3, v4, s[0:3], 0 offen offset:8
	s_nop 0
	buffer_load_dword v4, v4, s[0:3], 0 offen offset:12
	s_waitcnt vmcnt(0)
	ds_write2_b64 v11, v[1:2], v[3:4] offset1:1
	v_mov_b32_e32 v4, s66
	buffer_load_dword v1, v4, s[0:3], 0 offen
	buffer_load_dword v2, v4, s[0:3], 0 offen offset:4
	buffer_load_dword v3, v4, s[0:3], 0 offen offset:8
	s_nop 0
	buffer_load_dword v4, v4, s[0:3], 0 offen offset:12
	s_waitcnt vmcnt(0)
	ds_write2_b64 v12, v[1:2], v[3:4] offset0:74 offset1:75
	v_mov_b32_e32 v4, s65
	buffer_load_dword v1, v4, s[0:3], 0 offen
	buffer_load_dword v2, v4, s[0:3], 0 offen offset:4
	buffer_load_dword v3, v4, s[0:3], 0 offen offset:8
	s_nop 0
	buffer_load_dword v4, v4, s[0:3], 0 offen offset:12
	s_waitcnt vmcnt(0)
	ds_write2_b64 v12, v[1:2], v[3:4] offset0:76 offset1:77
	;; [unrolled: 8-line block ×27, first 2 shown]
	ds_read2_b64 v[1:4], v11 offset1:1
	s_waitcnt lgkmcnt(0)
	v_cmp_neq_f64_e32 vcc, 0, v[1:2]
	v_cmp_neq_f64_e64 s[6:7], 0, v[3:4]
	s_or_b64 s[6:7], vcc, s[6:7]
	s_and_b64 exec, exec, s[6:7]
	s_cbranch_execz .LBB127_450
; %bb.445:
	v_cmp_ngt_f64_e64 s[6:7], |v[1:2]|, |v[3:4]|
                                        ; implicit-def: $vgpr5_vgpr6
	s_and_saveexec_b64 s[10:11], s[6:7]
	s_xor_b64 s[6:7], exec, s[10:11]
                                        ; implicit-def: $vgpr7_vgpr8
	s_cbranch_execz .LBB127_447
; %bb.446:
	v_div_scale_f64 v[5:6], s[10:11], v[3:4], v[3:4], v[1:2]
	v_rcp_f64_e32 v[7:8], v[5:6]
	v_fma_f64 v[9:10], -v[5:6], v[7:8], 1.0
	v_fma_f64 v[7:8], v[7:8], v[9:10], v[7:8]
	v_div_scale_f64 v[9:10], vcc, v[1:2], v[3:4], v[1:2]
	v_fma_f64 v[18:19], -v[5:6], v[7:8], 1.0
	v_fma_f64 v[7:8], v[7:8], v[18:19], v[7:8]
	v_mul_f64 v[18:19], v[9:10], v[7:8]
	v_fma_f64 v[5:6], -v[5:6], v[18:19], v[9:10]
	v_div_fmas_f64 v[5:6], v[5:6], v[7:8], v[18:19]
	v_div_fixup_f64 v[5:6], v[5:6], v[3:4], v[1:2]
	v_fma_f64 v[1:2], v[1:2], v[5:6], v[3:4]
	v_div_scale_f64 v[3:4], s[10:11], v[1:2], v[1:2], 1.0
	v_div_scale_f64 v[18:19], vcc, 1.0, v[1:2], 1.0
	v_rcp_f64_e32 v[7:8], v[3:4]
	v_fma_f64 v[9:10], -v[3:4], v[7:8], 1.0
	v_fma_f64 v[7:8], v[7:8], v[9:10], v[7:8]
	v_fma_f64 v[9:10], -v[3:4], v[7:8], 1.0
	v_fma_f64 v[7:8], v[7:8], v[9:10], v[7:8]
	v_mul_f64 v[9:10], v[18:19], v[7:8]
	v_fma_f64 v[3:4], -v[3:4], v[9:10], v[18:19]
	v_div_fmas_f64 v[3:4], v[3:4], v[7:8], v[9:10]
	v_div_fixup_f64 v[7:8], v[3:4], v[1:2], 1.0
                                        ; implicit-def: $vgpr1_vgpr2
	v_mul_f64 v[5:6], v[5:6], v[7:8]
	v_xor_b32_e32 v8, 0x80000000, v8
.LBB127_447:
	s_andn2_saveexec_b64 s[6:7], s[6:7]
	s_cbranch_execz .LBB127_449
; %bb.448:
	v_div_scale_f64 v[5:6], s[10:11], v[1:2], v[1:2], v[3:4]
	v_rcp_f64_e32 v[7:8], v[5:6]
	v_fma_f64 v[9:10], -v[5:6], v[7:8], 1.0
	v_fma_f64 v[7:8], v[7:8], v[9:10], v[7:8]
	v_div_scale_f64 v[9:10], vcc, v[3:4], v[1:2], v[3:4]
	v_fma_f64 v[18:19], -v[5:6], v[7:8], 1.0
	v_fma_f64 v[7:8], v[7:8], v[18:19], v[7:8]
	v_mul_f64 v[18:19], v[9:10], v[7:8]
	v_fma_f64 v[5:6], -v[5:6], v[18:19], v[9:10]
	v_div_fmas_f64 v[5:6], v[5:6], v[7:8], v[18:19]
	v_div_fixup_f64 v[7:8], v[5:6], v[1:2], v[3:4]
	v_fma_f64 v[1:2], v[3:4], v[7:8], v[1:2]
	v_div_scale_f64 v[3:4], s[10:11], v[1:2], v[1:2], 1.0
	v_div_scale_f64 v[18:19], vcc, 1.0, v[1:2], 1.0
	v_rcp_f64_e32 v[5:6], v[3:4]
	v_fma_f64 v[9:10], -v[3:4], v[5:6], 1.0
	v_fma_f64 v[5:6], v[5:6], v[9:10], v[5:6]
	v_fma_f64 v[9:10], -v[3:4], v[5:6], 1.0
	v_fma_f64 v[5:6], v[5:6], v[9:10], v[5:6]
	v_mul_f64 v[9:10], v[18:19], v[5:6]
	v_fma_f64 v[3:4], -v[3:4], v[9:10], v[18:19]
	v_div_fmas_f64 v[3:4], v[3:4], v[5:6], v[9:10]
	v_div_fixup_f64 v[5:6], v[3:4], v[1:2], 1.0
	v_mul_f64 v[7:8], v[7:8], -v[5:6]
.LBB127_449:
	s_or_b64 exec, exec, s[6:7]
	ds_write2_b64 v11, v[5:6], v[7:8] offset1:1
.LBB127_450:
	s_or_b64 exec, exec, s[8:9]
	s_waitcnt lgkmcnt(0)
	s_barrier
	ds_read2_b64 v[1:4], v11 offset1:1
	v_cmp_lt_u32_e32 vcc, 36, v0
	s_waitcnt lgkmcnt(0)
	buffer_store_dword v1, off, s[0:3], 0 offset:1936 ; 4-byte Folded Spill
	s_nop 0
	buffer_store_dword v2, off, s[0:3], 0 offset:1940 ; 4-byte Folded Spill
	buffer_store_dword v3, off, s[0:3], 0 offset:1944 ; 4-byte Folded Spill
	;; [unrolled: 1-line block ×3, first 2 shown]
	s_and_saveexec_b64 s[6:7], vcc
	s_cbranch_execz .LBB127_452
; %bb.451:
	buffer_load_dword v3, off, s[0:3], 0 offset:576
	buffer_load_dword v4, off, s[0:3], 0 offset:580
	;; [unrolled: 1-line block ×16, first 2 shown]
	buffer_load_dword v20, off, s[0:3], 0 offset:1936 ; 4-byte Folded Reload
	buffer_load_dword v21, off, s[0:3], 0 offset:1940 ; 4-byte Folded Reload
	;; [unrolled: 1-line block ×4, first 2 shown]
	s_waitcnt vmcnt(0)
	v_mul_f64 v[1:2], v[22:23], v[5:6]
	v_mul_f64 v[5:6], v[20:21], v[5:6]
	v_fma_f64 v[1:2], v[20:21], v[3:4], -v[1:2]
	v_fma_f64 v[3:4], v[22:23], v[3:4], v[5:6]
	buffer_store_dword v1, off, s[0:3], 0 offset:576
	buffer_store_dword v2, off, s[0:3], 0 offset:580
	buffer_store_dword v3, off, s[0:3], 0 offset:584
	buffer_store_dword v4, off, s[0:3], 0 offset:588
	ds_read2_b64 v[5:8], v12 offset0:74 offset1:75
	s_waitcnt lgkmcnt(0)
	v_mul_f64 v[33:34], v[7:8], v[3:4]
	v_fma_f64 v[33:34], v[5:6], v[1:2], -v[33:34]
	v_mul_f64 v[5:6], v[5:6], v[3:4]
	v_fma_f64 v[5:6], v[7:8], v[1:2], v[5:6]
	v_add_f64 v[7:8], v[9:10], -v[33:34]
	v_add_f64 v[5:6], v[18:19], -v[5:6]
	buffer_store_dword v7, off, s[0:3], 0 offset:592
	buffer_store_dword v8, off, s[0:3], 0 offset:596
	buffer_store_dword v5, off, s[0:3], 0 offset:600
	buffer_store_dword v6, off, s[0:3], 0 offset:604
	ds_read2_b64 v[5:8], v12 offset0:76 offset1:77
	s_waitcnt lgkmcnt(0)
	v_mul_f64 v[9:10], v[7:8], v[3:4]
	v_fma_f64 v[9:10], v[5:6], v[1:2], -v[9:10]
	v_mul_f64 v[5:6], v[5:6], v[3:4]
	v_fma_f64 v[5:6], v[7:8], v[1:2], v[5:6]
	v_add_f64 v[7:8], v[25:26], -v[9:10]
	v_add_f64 v[5:6], v[27:28], -v[5:6]
	;; [unrolled: 12-line block ×3, first 2 shown]
	buffer_store_dword v8, off, s[0:3], 0 offset:628
	buffer_store_dword v7, off, s[0:3], 0 offset:624
	;; [unrolled: 1-line block ×4, first 2 shown]
	ds_read2_b64 v[5:8], v12 offset0:80 offset1:81
	s_waitcnt lgkmcnt(0)
	v_mul_f64 v[9:10], v[7:8], v[3:4]
	v_fma_f64 v[9:10], v[5:6], v[1:2], -v[9:10]
	v_mul_f64 v[5:6], v[5:6], v[3:4]
	v_fma_f64 v[5:6], v[7:8], v[1:2], v[5:6]
	buffer_load_dword v7, off, s[0:3], 0 offset:640
	buffer_load_dword v8, off, s[0:3], 0 offset:644
	;; [unrolled: 1-line block ×4, first 2 shown]
	s_waitcnt vmcnt(2)
	v_add_f64 v[7:8], v[7:8], -v[9:10]
	s_waitcnt vmcnt(0)
	v_add_f64 v[5:6], v[18:19], -v[5:6]
	buffer_store_dword v8, off, s[0:3], 0 offset:644
	buffer_store_dword v7, off, s[0:3], 0 offset:640
	;; [unrolled: 1-line block ×4, first 2 shown]
	ds_read2_b64 v[5:8], v12 offset0:82 offset1:83
	s_waitcnt lgkmcnt(0)
	v_mul_f64 v[9:10], v[7:8], v[3:4]
	v_fma_f64 v[9:10], v[5:6], v[1:2], -v[9:10]
	v_mul_f64 v[5:6], v[5:6], v[3:4]
	v_fma_f64 v[5:6], v[7:8], v[1:2], v[5:6]
	buffer_load_dword v7, off, s[0:3], 0 offset:656
	buffer_load_dword v8, off, s[0:3], 0 offset:660
	;; [unrolled: 1-line block ×4, first 2 shown]
	s_waitcnt vmcnt(2)
	v_add_f64 v[7:8], v[7:8], -v[9:10]
	s_waitcnt vmcnt(0)
	v_add_f64 v[5:6], v[18:19], -v[5:6]
	buffer_store_dword v8, off, s[0:3], 0 offset:660
	buffer_store_dword v7, off, s[0:3], 0 offset:656
	;; [unrolled: 1-line block ×4, first 2 shown]
	ds_read2_b64 v[5:8], v12 offset0:84 offset1:85
	s_waitcnt lgkmcnt(0)
	v_mul_f64 v[9:10], v[7:8], v[3:4]
	v_mul_f64 v[3:4], v[5:6], v[3:4]
	v_fma_f64 v[9:10], v[5:6], v[1:2], -v[9:10]
	v_fma_f64 v[1:2], v[7:8], v[1:2], v[3:4]
	buffer_load_dword v3, off, s[0:3], 0 offset:672
	buffer_load_dword v4, off, s[0:3], 0 offset:676
	;; [unrolled: 1-line block ×4, first 2 shown]
	s_waitcnt vmcnt(2)
	v_add_f64 v[3:4], v[3:4], -v[9:10]
	s_waitcnt vmcnt(0)
	v_add_f64 v[1:2], v[5:6], -v[1:2]
	buffer_store_dword v4, off, s[0:3], 0 offset:676
	buffer_store_dword v3, off, s[0:3], 0 offset:672
	;; [unrolled: 1-line block ×4, first 2 shown]
	ds_read2_b64 v[5:8], v12 offset0:86 offset1:87
	buffer_load_dword v1, off, s[0:3], 0 offset:576
	buffer_load_dword v2, off, s[0:3], 0 offset:580
	;; [unrolled: 1-line block ×4, first 2 shown]
	s_waitcnt vmcnt(0) lgkmcnt(0)
	v_mul_f64 v[9:10], v[7:8], v[3:4]
	v_fma_f64 v[9:10], v[5:6], v[1:2], -v[9:10]
	v_mul_f64 v[5:6], v[5:6], v[3:4]
	v_fma_f64 v[5:6], v[7:8], v[1:2], v[5:6]
	buffer_load_dword v8, off, s[0:3], 0 offset:692
	buffer_load_dword v7, off, s[0:3], 0 offset:688
	s_waitcnt vmcnt(0)
	v_add_f64 v[7:8], v[7:8], -v[9:10]
	buffer_load_dword v10, off, s[0:3], 0 offset:700
	buffer_load_dword v9, off, s[0:3], 0 offset:696
	s_waitcnt vmcnt(0)
	v_add_f64 v[5:6], v[9:10], -v[5:6]
	buffer_store_dword v8, off, s[0:3], 0 offset:692
	buffer_store_dword v7, off, s[0:3], 0 offset:688
	buffer_store_dword v6, off, s[0:3], 0 offset:700
	buffer_store_dword v5, off, s[0:3], 0 offset:696
	ds_read2_b64 v[5:8], v12 offset0:88 offset1:89
	s_waitcnt lgkmcnt(0)
	v_mul_f64 v[9:10], v[7:8], v[3:4]
	v_fma_f64 v[9:10], v[5:6], v[1:2], -v[9:10]
	v_mul_f64 v[5:6], v[5:6], v[3:4]
	v_fma_f64 v[5:6], v[7:8], v[1:2], v[5:6]
	buffer_load_dword v7, off, s[0:3], 0 offset:704
	buffer_load_dword v8, off, s[0:3], 0 offset:708
	buffer_load_dword v18, off, s[0:3], 0 offset:712
	buffer_load_dword v19, off, s[0:3], 0 offset:716
	s_waitcnt vmcnt(2)
	v_add_f64 v[7:8], v[7:8], -v[9:10]
	s_waitcnt vmcnt(0)
	v_add_f64 v[5:6], v[18:19], -v[5:6]
	buffer_store_dword v8, off, s[0:3], 0 offset:708
	buffer_store_dword v7, off, s[0:3], 0 offset:704
	buffer_store_dword v6, off, s[0:3], 0 offset:716
	buffer_store_dword v5, off, s[0:3], 0 offset:712
	ds_read2_b64 v[5:8], v12 offset0:90 offset1:91
	s_waitcnt lgkmcnt(0)
	v_mul_f64 v[9:10], v[7:8], v[3:4]
	v_fma_f64 v[9:10], v[5:6], v[1:2], -v[9:10]
	v_mul_f64 v[5:6], v[5:6], v[3:4]
	v_fma_f64 v[5:6], v[7:8], v[1:2], v[5:6]
	buffer_load_dword v7, off, s[0:3], 0 offset:720
	buffer_load_dword v8, off, s[0:3], 0 offset:724
	buffer_load_dword v18, off, s[0:3], 0 offset:728
	buffer_load_dword v19, off, s[0:3], 0 offset:732
	s_waitcnt vmcnt(2)
	v_add_f64 v[7:8], v[7:8], -v[9:10]
	s_waitcnt vmcnt(0)
	v_add_f64 v[5:6], v[18:19], -v[5:6]
	buffer_store_dword v8, off, s[0:3], 0 offset:724
	buffer_store_dword v7, off, s[0:3], 0 offset:720
	buffer_store_dword v6, off, s[0:3], 0 offset:732
	buffer_store_dword v5, off, s[0:3], 0 offset:728
	ds_read2_b64 v[5:8], v12 offset0:92 offset1:93
	s_waitcnt lgkmcnt(0)
	v_mul_f64 v[9:10], v[7:8], v[3:4]
	v_fma_f64 v[9:10], v[5:6], v[1:2], -v[9:10]
	v_mul_f64 v[5:6], v[5:6], v[3:4]
	v_fma_f64 v[5:6], v[7:8], v[1:2], v[5:6]
	buffer_load_dword v7, off, s[0:3], 0 offset:736
	buffer_load_dword v8, off, s[0:3], 0 offset:740
	buffer_load_dword v18, off, s[0:3], 0 offset:744
	buffer_load_dword v19, off, s[0:3], 0 offset:748
	s_waitcnt vmcnt(2)
	v_add_f64 v[7:8], v[7:8], -v[9:10]
	s_waitcnt vmcnt(0)
	v_add_f64 v[5:6], v[18:19], -v[5:6]
	buffer_store_dword v8, off, s[0:3], 0 offset:740
	buffer_store_dword v7, off, s[0:3], 0 offset:736
	buffer_store_dword v6, off, s[0:3], 0 offset:748
	buffer_store_dword v5, off, s[0:3], 0 offset:744
	ds_read2_b64 v[5:8], v12 offset0:94 offset1:95
	s_waitcnt lgkmcnt(0)
	v_mul_f64 v[9:10], v[7:8], v[3:4]
	v_fma_f64 v[9:10], v[5:6], v[1:2], -v[9:10]
	v_mul_f64 v[5:6], v[5:6], v[3:4]
	v_fma_f64 v[5:6], v[7:8], v[1:2], v[5:6]
	buffer_load_dword v7, off, s[0:3], 0 offset:752
	buffer_load_dword v8, off, s[0:3], 0 offset:756
	buffer_load_dword v18, off, s[0:3], 0 offset:760
	buffer_load_dword v19, off, s[0:3], 0 offset:764
	s_waitcnt vmcnt(2)
	v_add_f64 v[7:8], v[7:8], -v[9:10]
	s_waitcnt vmcnt(0)
	v_add_f64 v[5:6], v[18:19], -v[5:6]
	buffer_store_dword v8, off, s[0:3], 0 offset:756
	buffer_store_dword v7, off, s[0:3], 0 offset:752
	;; [unrolled: 1-line block ×4, first 2 shown]
	ds_read2_b64 v[5:8], v12 offset0:96 offset1:97
	s_waitcnt lgkmcnt(0)
	v_mul_f64 v[9:10], v[7:8], v[3:4]
	v_mul_f64 v[3:4], v[5:6], v[3:4]
	v_fma_f64 v[9:10], v[5:6], v[1:2], -v[9:10]
	v_fma_f64 v[1:2], v[7:8], v[1:2], v[3:4]
	buffer_load_dword v3, off, s[0:3], 0 offset:768
	buffer_load_dword v4, off, s[0:3], 0 offset:772
	;; [unrolled: 1-line block ×4, first 2 shown]
	s_waitcnt vmcnt(2)
	v_add_f64 v[3:4], v[3:4], -v[9:10]
	s_waitcnt vmcnt(0)
	v_add_f64 v[1:2], v[5:6], -v[1:2]
	buffer_store_dword v4, off, s[0:3], 0 offset:772
	buffer_store_dword v3, off, s[0:3], 0 offset:768
	;; [unrolled: 1-line block ×4, first 2 shown]
	ds_read2_b64 v[5:8], v12 offset0:98 offset1:99
	buffer_load_dword v1, off, s[0:3], 0 offset:576
	buffer_load_dword v2, off, s[0:3], 0 offset:580
	;; [unrolled: 1-line block ×4, first 2 shown]
	s_waitcnt vmcnt(0) lgkmcnt(0)
	v_mul_f64 v[9:10], v[7:8], v[3:4]
	v_fma_f64 v[9:10], v[5:6], v[1:2], -v[9:10]
	v_mul_f64 v[5:6], v[5:6], v[3:4]
	v_fma_f64 v[5:6], v[7:8], v[1:2], v[5:6]
	buffer_load_dword v8, off, s[0:3], 0 offset:788
	buffer_load_dword v7, off, s[0:3], 0 offset:784
	s_waitcnt vmcnt(0)
	v_add_f64 v[7:8], v[7:8], -v[9:10]
	buffer_load_dword v10, off, s[0:3], 0 offset:796
	buffer_load_dword v9, off, s[0:3], 0 offset:792
	s_waitcnt vmcnt(0)
	v_add_f64 v[5:6], v[9:10], -v[5:6]
	buffer_store_dword v8, off, s[0:3], 0 offset:788
	buffer_store_dword v7, off, s[0:3], 0 offset:784
	buffer_store_dword v6, off, s[0:3], 0 offset:796
	buffer_store_dword v5, off, s[0:3], 0 offset:792
	ds_read2_b64 v[5:8], v12 offset0:100 offset1:101
	s_waitcnt lgkmcnt(0)
	v_mul_f64 v[9:10], v[7:8], v[3:4]
	v_fma_f64 v[9:10], v[5:6], v[1:2], -v[9:10]
	v_mul_f64 v[5:6], v[5:6], v[3:4]
	v_fma_f64 v[5:6], v[7:8], v[1:2], v[5:6]
	buffer_load_dword v7, off, s[0:3], 0 offset:800
	buffer_load_dword v8, off, s[0:3], 0 offset:804
	buffer_load_dword v18, off, s[0:3], 0 offset:808
	buffer_load_dword v19, off, s[0:3], 0 offset:812
	s_waitcnt vmcnt(2)
	v_add_f64 v[7:8], v[7:8], -v[9:10]
	s_waitcnt vmcnt(0)
	v_add_f64 v[5:6], v[18:19], -v[5:6]
	buffer_store_dword v8, off, s[0:3], 0 offset:804
	buffer_store_dword v7, off, s[0:3], 0 offset:800
	buffer_store_dword v6, off, s[0:3], 0 offset:812
	buffer_store_dword v5, off, s[0:3], 0 offset:808
	ds_read2_b64 v[5:8], v12 offset0:102 offset1:103
	s_waitcnt lgkmcnt(0)
	v_mul_f64 v[9:10], v[7:8], v[3:4]
	v_fma_f64 v[9:10], v[5:6], v[1:2], -v[9:10]
	v_mul_f64 v[5:6], v[5:6], v[3:4]
	v_fma_f64 v[5:6], v[7:8], v[1:2], v[5:6]
	buffer_load_dword v7, off, s[0:3], 0 offset:816
	buffer_load_dword v8, off, s[0:3], 0 offset:820
	buffer_load_dword v18, off, s[0:3], 0 offset:824
	buffer_load_dword v19, off, s[0:3], 0 offset:828
	s_waitcnt vmcnt(2)
	v_add_f64 v[7:8], v[7:8], -v[9:10]
	s_waitcnt vmcnt(0)
	v_add_f64 v[5:6], v[18:19], -v[5:6]
	buffer_store_dword v8, off, s[0:3], 0 offset:820
	buffer_store_dword v7, off, s[0:3], 0 offset:816
	buffer_store_dword v6, off, s[0:3], 0 offset:828
	buffer_store_dword v5, off, s[0:3], 0 offset:824
	ds_read2_b64 v[5:8], v12 offset0:104 offset1:105
	s_waitcnt lgkmcnt(0)
	v_mul_f64 v[9:10], v[7:8], v[3:4]
	v_fma_f64 v[9:10], v[5:6], v[1:2], -v[9:10]
	v_mul_f64 v[5:6], v[5:6], v[3:4]
	v_fma_f64 v[5:6], v[7:8], v[1:2], v[5:6]
	buffer_load_dword v7, off, s[0:3], 0 offset:832
	buffer_load_dword v8, off, s[0:3], 0 offset:836
	buffer_load_dword v18, off, s[0:3], 0 offset:840
	buffer_load_dword v19, off, s[0:3], 0 offset:844
	s_waitcnt vmcnt(2)
	v_add_f64 v[7:8], v[7:8], -v[9:10]
	s_waitcnt vmcnt(0)
	v_add_f64 v[5:6], v[18:19], -v[5:6]
	buffer_store_dword v8, off, s[0:3], 0 offset:836
	buffer_store_dword v7, off, s[0:3], 0 offset:832
	buffer_store_dword v6, off, s[0:3], 0 offset:844
	buffer_store_dword v5, off, s[0:3], 0 offset:840
	ds_read2_b64 v[5:8], v12 offset0:106 offset1:107
	s_waitcnt lgkmcnt(0)
	v_mul_f64 v[9:10], v[7:8], v[3:4]
	v_fma_f64 v[9:10], v[5:6], v[1:2], -v[9:10]
	v_mul_f64 v[5:6], v[5:6], v[3:4]
	v_fma_f64 v[5:6], v[7:8], v[1:2], v[5:6]
	buffer_load_dword v7, off, s[0:3], 0 offset:848
	buffer_load_dword v8, off, s[0:3], 0 offset:852
	buffer_load_dword v18, off, s[0:3], 0 offset:856
	buffer_load_dword v19, off, s[0:3], 0 offset:860
	s_waitcnt vmcnt(2)
	v_add_f64 v[7:8], v[7:8], -v[9:10]
	s_waitcnt vmcnt(0)
	v_add_f64 v[5:6], v[18:19], -v[5:6]
	buffer_store_dword v8, off, s[0:3], 0 offset:852
	buffer_store_dword v7, off, s[0:3], 0 offset:848
	;; [unrolled: 1-line block ×4, first 2 shown]
	ds_read2_b64 v[5:8], v12 offset0:108 offset1:109
	s_waitcnt lgkmcnt(0)
	v_mul_f64 v[9:10], v[7:8], v[3:4]
	v_mul_f64 v[3:4], v[5:6], v[3:4]
	v_fma_f64 v[9:10], v[5:6], v[1:2], -v[9:10]
	v_fma_f64 v[1:2], v[7:8], v[1:2], v[3:4]
	buffer_load_dword v3, off, s[0:3], 0 offset:864
	buffer_load_dword v4, off, s[0:3], 0 offset:868
	;; [unrolled: 1-line block ×4, first 2 shown]
	s_waitcnt vmcnt(2)
	v_add_f64 v[3:4], v[3:4], -v[9:10]
	s_waitcnt vmcnt(0)
	v_add_f64 v[1:2], v[5:6], -v[1:2]
	buffer_store_dword v4, off, s[0:3], 0 offset:868
	buffer_store_dword v3, off, s[0:3], 0 offset:864
	;; [unrolled: 1-line block ×4, first 2 shown]
	ds_read2_b64 v[1:4], v12 offset0:110 offset1:111
	buffer_load_dword v5, off, s[0:3], 0 offset:576
	buffer_load_dword v6, off, s[0:3], 0 offset:580
	;; [unrolled: 1-line block ×4, first 2 shown]
	s_waitcnt vmcnt(0) lgkmcnt(0)
	v_mul_f64 v[9:10], v[3:4], v[7:8]
	v_fma_f64 v[9:10], v[1:2], v[5:6], -v[9:10]
	v_mul_f64 v[1:2], v[1:2], v[7:8]
	v_fma_f64 v[1:2], v[3:4], v[5:6], v[1:2]
	buffer_load_dword v4, off, s[0:3], 0 offset:884
	buffer_load_dword v3, off, s[0:3], 0 offset:880
	s_waitcnt vmcnt(0)
	v_add_f64 v[3:4], v[3:4], -v[9:10]
	buffer_load_dword v10, off, s[0:3], 0 offset:892
	buffer_load_dword v9, off, s[0:3], 0 offset:888
	s_waitcnt vmcnt(0)
	v_add_f64 v[1:2], v[9:10], -v[1:2]
	buffer_store_dword v4, off, s[0:3], 0 offset:884
	buffer_store_dword v3, off, s[0:3], 0 offset:880
	buffer_store_dword v2, off, s[0:3], 0 offset:892
	buffer_store_dword v1, off, s[0:3], 0 offset:888
	ds_read2_b64 v[1:4], v12 offset0:112 offset1:113
	s_waitcnt lgkmcnt(0)
	v_mul_f64 v[9:10], v[3:4], v[7:8]
	v_fma_f64 v[9:10], v[1:2], v[5:6], -v[9:10]
	v_mul_f64 v[1:2], v[1:2], v[7:8]
	v_fma_f64 v[1:2], v[3:4], v[5:6], v[1:2]
	buffer_load_dword v3, off, s[0:3], 0 offset:896
	buffer_load_dword v4, off, s[0:3], 0 offset:900
	buffer_load_dword v18, off, s[0:3], 0 offset:904
	buffer_load_dword v19, off, s[0:3], 0 offset:908
	s_waitcnt vmcnt(2)
	v_add_f64 v[3:4], v[3:4], -v[9:10]
	s_waitcnt vmcnt(0)
	v_add_f64 v[1:2], v[18:19], -v[1:2]
	buffer_store_dword v4, off, s[0:3], 0 offset:900
	buffer_store_dword v3, off, s[0:3], 0 offset:896
	buffer_store_dword v2, off, s[0:3], 0 offset:908
	buffer_store_dword v1, off, s[0:3], 0 offset:904
	ds_read2_b64 v[1:4], v12 offset0:114 offset1:115
	s_waitcnt lgkmcnt(0)
	v_mul_f64 v[9:10], v[3:4], v[7:8]
	v_fma_f64 v[9:10], v[1:2], v[5:6], -v[9:10]
	v_mul_f64 v[1:2], v[1:2], v[7:8]
	v_fma_f64 v[1:2], v[3:4], v[5:6], v[1:2]
	buffer_load_dword v3, off, s[0:3], 0 offset:912
	buffer_load_dword v4, off, s[0:3], 0 offset:916
	buffer_load_dword v18, off, s[0:3], 0 offset:920
	buffer_load_dword v19, off, s[0:3], 0 offset:924
	s_waitcnt vmcnt(2)
	v_add_f64 v[3:4], v[3:4], -v[9:10]
	;; [unrolled: 18-line block ×5, first 2 shown]
	s_waitcnt vmcnt(0)
	v_add_f64 v[1:2], v[5:6], -v[1:2]
	buffer_store_dword v4, off, s[0:3], 0 offset:964
	buffer_store_dword v3, off, s[0:3], 0 offset:960
	buffer_store_dword v2, off, s[0:3], 0 offset:972
	buffer_store_dword v1, off, s[0:3], 0 offset:968
	ds_read2_b64 v[1:4], v12 offset0:122 offset1:123
	buffer_load_dword v5, off, s[0:3], 0 offset:576
	buffer_load_dword v6, off, s[0:3], 0 offset:580
	;; [unrolled: 1-line block ×4, first 2 shown]
	s_waitcnt vmcnt(0) lgkmcnt(0)
	v_mul_f64 v[9:10], v[3:4], v[7:8]
	v_fma_f64 v[18:19], v[1:2], v[5:6], -v[9:10]
	v_mul_f64 v[1:2], v[1:2], v[7:8]
	v_fma_f64 v[1:2], v[3:4], v[5:6], v[1:2]
	buffer_load_dword v4, off, s[0:3], 0 offset:980
	buffer_load_dword v3, off, s[0:3], 0 offset:976
	buffer_load_dword v10, off, s[0:3], 0 offset:988
	buffer_load_dword v9, off, s[0:3], 0 offset:984
	s_waitcnt vmcnt(2)
	v_add_f64 v[3:4], v[3:4], -v[18:19]
	s_waitcnt vmcnt(0)
	v_add_f64 v[1:2], v[9:10], -v[1:2]
	buffer_store_dword v4, off, s[0:3], 0 offset:980
	buffer_store_dword v3, off, s[0:3], 0 offset:976
	;; [unrolled: 1-line block ×4, first 2 shown]
	ds_read2_b64 v[1:4], v12 offset0:124 offset1:125
	s_waitcnt lgkmcnt(0)
	v_mul_f64 v[9:10], v[3:4], v[7:8]
	v_fma_f64 v[9:10], v[1:2], v[5:6], -v[9:10]
	v_mul_f64 v[1:2], v[1:2], v[7:8]
	v_fma_f64 v[1:2], v[3:4], v[5:6], v[1:2]
	buffer_load_dword v3, off, s[0:3], 0 offset:992
	buffer_load_dword v4, off, s[0:3], 0 offset:996
	;; [unrolled: 1-line block ×4, first 2 shown]
	s_waitcnt vmcnt(2)
	v_add_f64 v[3:4], v[3:4], -v[9:10]
	s_waitcnt vmcnt(0)
	v_add_f64 v[1:2], v[18:19], -v[1:2]
	buffer_store_dword v4, off, s[0:3], 0 offset:996
	buffer_store_dword v3, off, s[0:3], 0 offset:992
	;; [unrolled: 1-line block ×4, first 2 shown]
	ds_read2_b64 v[25:28], v12 offset0:126 offset1:127
	s_waitcnt lgkmcnt(0)
	v_mul_f64 v[1:2], v[27:28], v[7:8]
	v_fma_f64 v[3:4], v[25:26], v[5:6], -v[1:2]
	v_mul_f64 v[1:2], v[25:26], v[7:8]
	v_fma_f64 v[1:2], v[27:28], v[5:6], v[1:2]
	buffer_load_dword v5, off, s[0:3], 0 offset:1008
	buffer_load_dword v6, off, s[0:3], 0 offset:1012
	;; [unrolled: 1-line block ×4, first 2 shown]
	s_waitcnt vmcnt(2)
	v_add_f64 v[3:4], v[5:6], -v[3:4]
	s_waitcnt vmcnt(0)
	v_add_f64 v[1:2], v[7:8], -v[1:2]
	buffer_store_dword v4, off, s[0:3], 0 offset:1012
	buffer_store_dword v3, off, s[0:3], 0 offset:1008
	;; [unrolled: 1-line block ×4, first 2 shown]
.LBB127_452:
	s_or_b64 exec, exec, s[6:7]
	v_cmp_eq_u32_e32 vcc, 37, v0
	s_waitcnt vmcnt(0)
	s_barrier
	s_and_saveexec_b64 s[8:9], vcc
	s_cbranch_execz .LBB127_459
; %bb.453:
	v_mov_b32_e32 v4, s66
	buffer_load_dword v1, v4, s[0:3], 0 offen
	buffer_load_dword v2, v4, s[0:3], 0 offen offset:4
	buffer_load_dword v3, v4, s[0:3], 0 offen offset:8
	s_nop 0
	buffer_load_dword v4, v4, s[0:3], 0 offen offset:12
	s_waitcnt vmcnt(0)
	ds_write2_b64 v11, v[1:2], v[3:4] offset1:1
	v_mov_b32_e32 v4, s65
	buffer_load_dword v1, v4, s[0:3], 0 offen
	buffer_load_dword v2, v4, s[0:3], 0 offen offset:4
	buffer_load_dword v3, v4, s[0:3], 0 offen offset:8
	s_nop 0
	buffer_load_dword v4, v4, s[0:3], 0 offen offset:12
	s_waitcnt vmcnt(0)
	ds_write2_b64 v12, v[1:2], v[3:4] offset0:76 offset1:77
	v_mov_b32_e32 v4, s40
	buffer_load_dword v1, v4, s[0:3], 0 offen
	buffer_load_dword v2, v4, s[0:3], 0 offen offset:4
	buffer_load_dword v3, v4, s[0:3], 0 offen offset:8
	s_nop 0
	buffer_load_dword v4, v4, s[0:3], 0 offen offset:12
	s_waitcnt vmcnt(0)
	ds_write2_b64 v12, v[1:2], v[3:4] offset0:78 offset1:79
	;; [unrolled: 8-line block ×26, first 2 shown]
	ds_read2_b64 v[1:4], v11 offset1:1
	s_waitcnt lgkmcnt(0)
	v_cmp_neq_f64_e32 vcc, 0, v[1:2]
	v_cmp_neq_f64_e64 s[6:7], 0, v[3:4]
	s_or_b64 s[6:7], vcc, s[6:7]
	s_and_b64 exec, exec, s[6:7]
	s_cbranch_execz .LBB127_459
; %bb.454:
	v_cmp_ngt_f64_e64 s[6:7], |v[1:2]|, |v[3:4]|
                                        ; implicit-def: $vgpr5_vgpr6
	s_and_saveexec_b64 s[10:11], s[6:7]
	s_xor_b64 s[6:7], exec, s[10:11]
                                        ; implicit-def: $vgpr7_vgpr8
	s_cbranch_execz .LBB127_456
; %bb.455:
	v_div_scale_f64 v[5:6], s[10:11], v[3:4], v[3:4], v[1:2]
	v_rcp_f64_e32 v[7:8], v[5:6]
	v_fma_f64 v[9:10], -v[5:6], v[7:8], 1.0
	v_fma_f64 v[7:8], v[7:8], v[9:10], v[7:8]
	v_div_scale_f64 v[9:10], vcc, v[1:2], v[3:4], v[1:2]
	v_fma_f64 v[18:19], -v[5:6], v[7:8], 1.0
	v_fma_f64 v[7:8], v[7:8], v[18:19], v[7:8]
	v_mul_f64 v[18:19], v[9:10], v[7:8]
	v_fma_f64 v[5:6], -v[5:6], v[18:19], v[9:10]
	v_div_fmas_f64 v[5:6], v[5:6], v[7:8], v[18:19]
	v_div_fixup_f64 v[5:6], v[5:6], v[3:4], v[1:2]
	v_fma_f64 v[1:2], v[1:2], v[5:6], v[3:4]
	v_div_scale_f64 v[3:4], s[10:11], v[1:2], v[1:2], 1.0
	v_div_scale_f64 v[18:19], vcc, 1.0, v[1:2], 1.0
	v_rcp_f64_e32 v[7:8], v[3:4]
	v_fma_f64 v[9:10], -v[3:4], v[7:8], 1.0
	v_fma_f64 v[7:8], v[7:8], v[9:10], v[7:8]
	v_fma_f64 v[9:10], -v[3:4], v[7:8], 1.0
	v_fma_f64 v[7:8], v[7:8], v[9:10], v[7:8]
	v_mul_f64 v[9:10], v[18:19], v[7:8]
	v_fma_f64 v[3:4], -v[3:4], v[9:10], v[18:19]
	v_div_fmas_f64 v[3:4], v[3:4], v[7:8], v[9:10]
	v_div_fixup_f64 v[7:8], v[3:4], v[1:2], 1.0
                                        ; implicit-def: $vgpr1_vgpr2
	v_mul_f64 v[5:6], v[5:6], v[7:8]
	v_xor_b32_e32 v8, 0x80000000, v8
.LBB127_456:
	s_andn2_saveexec_b64 s[6:7], s[6:7]
	s_cbranch_execz .LBB127_458
; %bb.457:
	v_div_scale_f64 v[5:6], s[10:11], v[1:2], v[1:2], v[3:4]
	v_rcp_f64_e32 v[7:8], v[5:6]
	v_fma_f64 v[9:10], -v[5:6], v[7:8], 1.0
	v_fma_f64 v[7:8], v[7:8], v[9:10], v[7:8]
	v_div_scale_f64 v[9:10], vcc, v[3:4], v[1:2], v[3:4]
	v_fma_f64 v[18:19], -v[5:6], v[7:8], 1.0
	v_fma_f64 v[7:8], v[7:8], v[18:19], v[7:8]
	v_mul_f64 v[18:19], v[9:10], v[7:8]
	v_fma_f64 v[5:6], -v[5:6], v[18:19], v[9:10]
	v_div_fmas_f64 v[5:6], v[5:6], v[7:8], v[18:19]
	v_div_fixup_f64 v[7:8], v[5:6], v[1:2], v[3:4]
	v_fma_f64 v[1:2], v[3:4], v[7:8], v[1:2]
	v_div_scale_f64 v[3:4], s[10:11], v[1:2], v[1:2], 1.0
	v_div_scale_f64 v[18:19], vcc, 1.0, v[1:2], 1.0
	v_rcp_f64_e32 v[5:6], v[3:4]
	v_fma_f64 v[9:10], -v[3:4], v[5:6], 1.0
	v_fma_f64 v[5:6], v[5:6], v[9:10], v[5:6]
	v_fma_f64 v[9:10], -v[3:4], v[5:6], 1.0
	v_fma_f64 v[5:6], v[5:6], v[9:10], v[5:6]
	v_mul_f64 v[9:10], v[18:19], v[5:6]
	v_fma_f64 v[3:4], -v[3:4], v[9:10], v[18:19]
	v_div_fmas_f64 v[3:4], v[3:4], v[5:6], v[9:10]
	v_div_fixup_f64 v[5:6], v[3:4], v[1:2], 1.0
	v_mul_f64 v[7:8], v[7:8], -v[5:6]
.LBB127_458:
	s_or_b64 exec, exec, s[6:7]
	ds_write2_b64 v11, v[5:6], v[7:8] offset1:1
.LBB127_459:
	s_or_b64 exec, exec, s[8:9]
	s_waitcnt lgkmcnt(0)
	s_barrier
	ds_read2_b64 v[25:28], v11 offset1:1
	v_cmp_lt_u32_e32 vcc, 37, v0
	s_and_saveexec_b64 s[6:7], vcc
	s_cbranch_execz .LBB127_461
; %bb.460:
	buffer_load_dword v3, off, s[0:3], 0 offset:592
	buffer_load_dword v4, off, s[0:3], 0 offset:596
	;; [unrolled: 1-line block ×16, first 2 shown]
	s_waitcnt vmcnt(12) lgkmcnt(0)
	v_mul_f64 v[1:2], v[27:28], v[5:6]
	v_mul_f64 v[5:6], v[25:26], v[5:6]
	v_fma_f64 v[1:2], v[25:26], v[3:4], -v[1:2]
	v_fma_f64 v[3:4], v[27:28], v[3:4], v[5:6]
	buffer_store_dword v1, off, s[0:3], 0 offset:592
	buffer_store_dword v2, off, s[0:3], 0 offset:596
	buffer_store_dword v3, off, s[0:3], 0 offset:600
	buffer_store_dword v4, off, s[0:3], 0 offset:604
	ds_read2_b64 v[5:8], v12 offset0:76 offset1:77
	s_waitcnt lgkmcnt(0)
	v_mul_f64 v[37:38], v[7:8], v[3:4]
	v_fma_f64 v[37:38], v[5:6], v[1:2], -v[37:38]
	v_mul_f64 v[5:6], v[5:6], v[3:4]
	v_fma_f64 v[5:6], v[7:8], v[1:2], v[5:6]
	s_waitcnt vmcnt(14)
	v_add_f64 v[7:8], v[9:10], -v[37:38]
	s_waitcnt vmcnt(12)
	v_add_f64 v[5:6], v[18:19], -v[5:6]
	buffer_store_dword v7, off, s[0:3], 0 offset:608
	buffer_store_dword v8, off, s[0:3], 0 offset:612
	buffer_store_dword v5, off, s[0:3], 0 offset:616
	buffer_store_dword v6, off, s[0:3], 0 offset:620
	ds_read2_b64 v[5:8], v12 offset0:78 offset1:79
	s_waitcnt lgkmcnt(0)
	v_mul_f64 v[9:10], v[7:8], v[3:4]
	v_fma_f64 v[9:10], v[5:6], v[1:2], -v[9:10]
	v_mul_f64 v[5:6], v[5:6], v[3:4]
	v_fma_f64 v[5:6], v[7:8], v[1:2], v[5:6]
	s_waitcnt vmcnt(14)
	v_add_f64 v[7:8], v[29:30], -v[9:10]
	s_waitcnt vmcnt(12)
	v_add_f64 v[5:6], v[31:32], -v[5:6]
	;; [unrolled: 14-line block ×3, first 2 shown]
	buffer_store_dword v8, off, s[0:3], 0 offset:644
	buffer_store_dword v7, off, s[0:3], 0 offset:640
	;; [unrolled: 1-line block ×4, first 2 shown]
	ds_read2_b64 v[5:8], v12 offset0:82 offset1:83
	s_waitcnt lgkmcnt(0)
	v_mul_f64 v[9:10], v[7:8], v[3:4]
	v_fma_f64 v[9:10], v[5:6], v[1:2], -v[9:10]
	v_mul_f64 v[5:6], v[5:6], v[3:4]
	v_fma_f64 v[5:6], v[7:8], v[1:2], v[5:6]
	buffer_load_dword v7, off, s[0:3], 0 offset:656
	buffer_load_dword v8, off, s[0:3], 0 offset:660
	;; [unrolled: 1-line block ×4, first 2 shown]
	s_waitcnt vmcnt(2)
	v_add_f64 v[7:8], v[7:8], -v[9:10]
	s_waitcnt vmcnt(0)
	v_add_f64 v[5:6], v[18:19], -v[5:6]
	buffer_store_dword v8, off, s[0:3], 0 offset:660
	buffer_store_dword v7, off, s[0:3], 0 offset:656
	;; [unrolled: 1-line block ×4, first 2 shown]
	ds_read2_b64 v[5:8], v12 offset0:84 offset1:85
	s_waitcnt lgkmcnt(0)
	v_mul_f64 v[9:10], v[7:8], v[3:4]
	v_fma_f64 v[9:10], v[5:6], v[1:2], -v[9:10]
	v_mul_f64 v[5:6], v[5:6], v[3:4]
	v_fma_f64 v[5:6], v[7:8], v[1:2], v[5:6]
	buffer_load_dword v7, off, s[0:3], 0 offset:672
	buffer_load_dword v8, off, s[0:3], 0 offset:676
	;; [unrolled: 1-line block ×4, first 2 shown]
	s_waitcnt vmcnt(2)
	v_add_f64 v[7:8], v[7:8], -v[9:10]
	s_waitcnt vmcnt(0)
	v_add_f64 v[5:6], v[18:19], -v[5:6]
	buffer_store_dword v8, off, s[0:3], 0 offset:676
	buffer_store_dword v7, off, s[0:3], 0 offset:672
	;; [unrolled: 1-line block ×4, first 2 shown]
	ds_read2_b64 v[5:8], v12 offset0:86 offset1:87
	s_waitcnt lgkmcnt(0)
	v_mul_f64 v[9:10], v[7:8], v[3:4]
	v_mul_f64 v[3:4], v[5:6], v[3:4]
	v_fma_f64 v[9:10], v[5:6], v[1:2], -v[9:10]
	v_fma_f64 v[1:2], v[7:8], v[1:2], v[3:4]
	buffer_load_dword v3, off, s[0:3], 0 offset:688
	buffer_load_dword v4, off, s[0:3], 0 offset:692
	;; [unrolled: 1-line block ×4, first 2 shown]
	s_waitcnt vmcnt(2)
	v_add_f64 v[3:4], v[3:4], -v[9:10]
	s_waitcnt vmcnt(0)
	v_add_f64 v[1:2], v[5:6], -v[1:2]
	buffer_store_dword v4, off, s[0:3], 0 offset:692
	buffer_store_dword v3, off, s[0:3], 0 offset:688
	;; [unrolled: 1-line block ×4, first 2 shown]
	ds_read2_b64 v[5:8], v12 offset0:88 offset1:89
	buffer_load_dword v1, off, s[0:3], 0 offset:592
	buffer_load_dword v2, off, s[0:3], 0 offset:596
	;; [unrolled: 1-line block ×4, first 2 shown]
	s_waitcnt vmcnt(0) lgkmcnt(0)
	v_mul_f64 v[9:10], v[7:8], v[3:4]
	v_fma_f64 v[9:10], v[5:6], v[1:2], -v[9:10]
	v_mul_f64 v[5:6], v[5:6], v[3:4]
	v_fma_f64 v[5:6], v[7:8], v[1:2], v[5:6]
	buffer_load_dword v8, off, s[0:3], 0 offset:708
	buffer_load_dword v7, off, s[0:3], 0 offset:704
	s_waitcnt vmcnt(0)
	v_add_f64 v[7:8], v[7:8], -v[9:10]
	buffer_load_dword v10, off, s[0:3], 0 offset:716
	buffer_load_dword v9, off, s[0:3], 0 offset:712
	s_waitcnt vmcnt(0)
	v_add_f64 v[5:6], v[9:10], -v[5:6]
	buffer_store_dword v8, off, s[0:3], 0 offset:708
	buffer_store_dword v7, off, s[0:3], 0 offset:704
	buffer_store_dword v6, off, s[0:3], 0 offset:716
	buffer_store_dword v5, off, s[0:3], 0 offset:712
	ds_read2_b64 v[5:8], v12 offset0:90 offset1:91
	s_waitcnt lgkmcnt(0)
	v_mul_f64 v[9:10], v[7:8], v[3:4]
	v_fma_f64 v[9:10], v[5:6], v[1:2], -v[9:10]
	v_mul_f64 v[5:6], v[5:6], v[3:4]
	v_fma_f64 v[5:6], v[7:8], v[1:2], v[5:6]
	buffer_load_dword v7, off, s[0:3], 0 offset:720
	buffer_load_dword v8, off, s[0:3], 0 offset:724
	buffer_load_dword v18, off, s[0:3], 0 offset:728
	buffer_load_dword v19, off, s[0:3], 0 offset:732
	s_waitcnt vmcnt(2)
	v_add_f64 v[7:8], v[7:8], -v[9:10]
	s_waitcnt vmcnt(0)
	v_add_f64 v[5:6], v[18:19], -v[5:6]
	buffer_store_dword v8, off, s[0:3], 0 offset:724
	buffer_store_dword v7, off, s[0:3], 0 offset:720
	buffer_store_dword v6, off, s[0:3], 0 offset:732
	buffer_store_dword v5, off, s[0:3], 0 offset:728
	ds_read2_b64 v[5:8], v12 offset0:92 offset1:93
	s_waitcnt lgkmcnt(0)
	v_mul_f64 v[9:10], v[7:8], v[3:4]
	v_fma_f64 v[9:10], v[5:6], v[1:2], -v[9:10]
	v_mul_f64 v[5:6], v[5:6], v[3:4]
	v_fma_f64 v[5:6], v[7:8], v[1:2], v[5:6]
	buffer_load_dword v7, off, s[0:3], 0 offset:736
	buffer_load_dword v8, off, s[0:3], 0 offset:740
	buffer_load_dword v18, off, s[0:3], 0 offset:744
	buffer_load_dword v19, off, s[0:3], 0 offset:748
	s_waitcnt vmcnt(2)
	v_add_f64 v[7:8], v[7:8], -v[9:10]
	;; [unrolled: 18-line block ×4, first 2 shown]
	s_waitcnt vmcnt(0)
	v_add_f64 v[5:6], v[18:19], -v[5:6]
	buffer_store_dword v8, off, s[0:3], 0 offset:772
	buffer_store_dword v7, off, s[0:3], 0 offset:768
	;; [unrolled: 1-line block ×4, first 2 shown]
	ds_read2_b64 v[5:8], v12 offset0:98 offset1:99
	s_waitcnt lgkmcnt(0)
	v_mul_f64 v[9:10], v[7:8], v[3:4]
	v_mul_f64 v[3:4], v[5:6], v[3:4]
	v_fma_f64 v[9:10], v[5:6], v[1:2], -v[9:10]
	v_fma_f64 v[1:2], v[7:8], v[1:2], v[3:4]
	buffer_load_dword v3, off, s[0:3], 0 offset:784
	buffer_load_dword v4, off, s[0:3], 0 offset:788
	;; [unrolled: 1-line block ×4, first 2 shown]
	s_waitcnt vmcnt(2)
	v_add_f64 v[3:4], v[3:4], -v[9:10]
	s_waitcnt vmcnt(0)
	v_add_f64 v[1:2], v[5:6], -v[1:2]
	buffer_store_dword v4, off, s[0:3], 0 offset:788
	buffer_store_dword v3, off, s[0:3], 0 offset:784
	buffer_store_dword v2, off, s[0:3], 0 offset:796
	buffer_store_dword v1, off, s[0:3], 0 offset:792
	ds_read2_b64 v[5:8], v12 offset0:100 offset1:101
	buffer_load_dword v1, off, s[0:3], 0 offset:592
	buffer_load_dword v2, off, s[0:3], 0 offset:596
	;; [unrolled: 1-line block ×4, first 2 shown]
	s_waitcnt vmcnt(0) lgkmcnt(0)
	v_mul_f64 v[9:10], v[7:8], v[3:4]
	v_fma_f64 v[9:10], v[5:6], v[1:2], -v[9:10]
	v_mul_f64 v[5:6], v[5:6], v[3:4]
	v_fma_f64 v[5:6], v[7:8], v[1:2], v[5:6]
	buffer_load_dword v8, off, s[0:3], 0 offset:804
	buffer_load_dword v7, off, s[0:3], 0 offset:800
	s_waitcnt vmcnt(0)
	v_add_f64 v[7:8], v[7:8], -v[9:10]
	buffer_load_dword v10, off, s[0:3], 0 offset:812
	buffer_load_dword v9, off, s[0:3], 0 offset:808
	s_waitcnt vmcnt(0)
	v_add_f64 v[5:6], v[9:10], -v[5:6]
	buffer_store_dword v8, off, s[0:3], 0 offset:804
	buffer_store_dword v7, off, s[0:3], 0 offset:800
	buffer_store_dword v6, off, s[0:3], 0 offset:812
	buffer_store_dword v5, off, s[0:3], 0 offset:808
	ds_read2_b64 v[5:8], v12 offset0:102 offset1:103
	s_waitcnt lgkmcnt(0)
	v_mul_f64 v[9:10], v[7:8], v[3:4]
	v_fma_f64 v[9:10], v[5:6], v[1:2], -v[9:10]
	v_mul_f64 v[5:6], v[5:6], v[3:4]
	v_fma_f64 v[5:6], v[7:8], v[1:2], v[5:6]
	buffer_load_dword v7, off, s[0:3], 0 offset:816
	buffer_load_dword v8, off, s[0:3], 0 offset:820
	buffer_load_dword v18, off, s[0:3], 0 offset:824
	buffer_load_dword v19, off, s[0:3], 0 offset:828
	s_waitcnt vmcnt(2)
	v_add_f64 v[7:8], v[7:8], -v[9:10]
	s_waitcnt vmcnt(0)
	v_add_f64 v[5:6], v[18:19], -v[5:6]
	buffer_store_dword v8, off, s[0:3], 0 offset:820
	buffer_store_dword v7, off, s[0:3], 0 offset:816
	buffer_store_dword v6, off, s[0:3], 0 offset:828
	buffer_store_dword v5, off, s[0:3], 0 offset:824
	ds_read2_b64 v[5:8], v12 offset0:104 offset1:105
	s_waitcnt lgkmcnt(0)
	v_mul_f64 v[9:10], v[7:8], v[3:4]
	v_fma_f64 v[9:10], v[5:6], v[1:2], -v[9:10]
	v_mul_f64 v[5:6], v[5:6], v[3:4]
	v_fma_f64 v[5:6], v[7:8], v[1:2], v[5:6]
	buffer_load_dword v7, off, s[0:3], 0 offset:832
	buffer_load_dword v8, off, s[0:3], 0 offset:836
	buffer_load_dword v18, off, s[0:3], 0 offset:840
	buffer_load_dword v19, off, s[0:3], 0 offset:844
	s_waitcnt vmcnt(2)
	v_add_f64 v[7:8], v[7:8], -v[9:10]
	;; [unrolled: 18-line block ×4, first 2 shown]
	s_waitcnt vmcnt(0)
	v_add_f64 v[5:6], v[18:19], -v[5:6]
	buffer_store_dword v8, off, s[0:3], 0 offset:868
	buffer_store_dword v7, off, s[0:3], 0 offset:864
	;; [unrolled: 1-line block ×4, first 2 shown]
	ds_read2_b64 v[5:8], v12 offset0:110 offset1:111
	s_waitcnt lgkmcnt(0)
	v_mul_f64 v[9:10], v[7:8], v[3:4]
	v_mul_f64 v[3:4], v[5:6], v[3:4]
	v_fma_f64 v[9:10], v[5:6], v[1:2], -v[9:10]
	v_fma_f64 v[1:2], v[7:8], v[1:2], v[3:4]
	buffer_load_dword v3, off, s[0:3], 0 offset:880
	buffer_load_dword v4, off, s[0:3], 0 offset:884
	;; [unrolled: 1-line block ×4, first 2 shown]
	s_waitcnt vmcnt(2)
	v_add_f64 v[3:4], v[3:4], -v[9:10]
	s_waitcnt vmcnt(0)
	v_add_f64 v[1:2], v[5:6], -v[1:2]
	buffer_store_dword v4, off, s[0:3], 0 offset:884
	buffer_store_dword v3, off, s[0:3], 0 offset:880
	;; [unrolled: 1-line block ×4, first 2 shown]
	ds_read2_b64 v[1:4], v12 offset0:112 offset1:113
	buffer_load_dword v5, off, s[0:3], 0 offset:592
	buffer_load_dword v6, off, s[0:3], 0 offset:596
	buffer_load_dword v7, off, s[0:3], 0 offset:600
	buffer_load_dword v8, off, s[0:3], 0 offset:604
	s_waitcnt vmcnt(0) lgkmcnt(0)
	v_mul_f64 v[9:10], v[3:4], v[7:8]
	v_fma_f64 v[9:10], v[1:2], v[5:6], -v[9:10]
	v_mul_f64 v[1:2], v[1:2], v[7:8]
	v_fma_f64 v[1:2], v[3:4], v[5:6], v[1:2]
	buffer_load_dword v4, off, s[0:3], 0 offset:900
	buffer_load_dword v3, off, s[0:3], 0 offset:896
	s_waitcnt vmcnt(0)
	v_add_f64 v[3:4], v[3:4], -v[9:10]
	buffer_load_dword v10, off, s[0:3], 0 offset:908
	buffer_load_dword v9, off, s[0:3], 0 offset:904
	s_waitcnt vmcnt(0)
	v_add_f64 v[1:2], v[9:10], -v[1:2]
	buffer_store_dword v4, off, s[0:3], 0 offset:900
	buffer_store_dword v3, off, s[0:3], 0 offset:896
	buffer_store_dword v2, off, s[0:3], 0 offset:908
	buffer_store_dword v1, off, s[0:3], 0 offset:904
	ds_read2_b64 v[1:4], v12 offset0:114 offset1:115
	s_waitcnt lgkmcnt(0)
	v_mul_f64 v[9:10], v[3:4], v[7:8]
	v_fma_f64 v[9:10], v[1:2], v[5:6], -v[9:10]
	v_mul_f64 v[1:2], v[1:2], v[7:8]
	v_fma_f64 v[1:2], v[3:4], v[5:6], v[1:2]
	buffer_load_dword v3, off, s[0:3], 0 offset:912
	buffer_load_dword v4, off, s[0:3], 0 offset:916
	buffer_load_dword v18, off, s[0:3], 0 offset:920
	buffer_load_dword v19, off, s[0:3], 0 offset:924
	s_waitcnt vmcnt(2)
	v_add_f64 v[3:4], v[3:4], -v[9:10]
	s_waitcnt vmcnt(0)
	v_add_f64 v[1:2], v[18:19], -v[1:2]
	buffer_store_dword v4, off, s[0:3], 0 offset:916
	buffer_store_dword v3, off, s[0:3], 0 offset:912
	buffer_store_dword v2, off, s[0:3], 0 offset:924
	buffer_store_dword v1, off, s[0:3], 0 offset:920
	ds_read2_b64 v[1:4], v12 offset0:116 offset1:117
	s_waitcnt lgkmcnt(0)
	v_mul_f64 v[9:10], v[3:4], v[7:8]
	v_fma_f64 v[9:10], v[1:2], v[5:6], -v[9:10]
	v_mul_f64 v[1:2], v[1:2], v[7:8]
	v_fma_f64 v[1:2], v[3:4], v[5:6], v[1:2]
	buffer_load_dword v3, off, s[0:3], 0 offset:928
	buffer_load_dword v4, off, s[0:3], 0 offset:932
	buffer_load_dword v18, off, s[0:3], 0 offset:936
	buffer_load_dword v19, off, s[0:3], 0 offset:940
	s_waitcnt vmcnt(2)
	v_add_f64 v[3:4], v[3:4], -v[9:10]
	;; [unrolled: 18-line block ×5, first 2 shown]
	s_waitcnt vmcnt(0)
	v_add_f64 v[1:2], v[5:6], -v[1:2]
	buffer_store_dword v4, off, s[0:3], 0 offset:980
	buffer_store_dword v3, off, s[0:3], 0 offset:976
	;; [unrolled: 1-line block ×4, first 2 shown]
	ds_read2_b64 v[1:4], v12 offset0:124 offset1:125
	buffer_load_dword v5, off, s[0:3], 0 offset:592
	buffer_load_dword v6, off, s[0:3], 0 offset:596
	;; [unrolled: 1-line block ×4, first 2 shown]
	s_waitcnt vmcnt(0) lgkmcnt(0)
	v_mul_f64 v[9:10], v[3:4], v[7:8]
	v_fma_f64 v[18:19], v[1:2], v[5:6], -v[9:10]
	v_mul_f64 v[1:2], v[1:2], v[7:8]
	v_fma_f64 v[1:2], v[3:4], v[5:6], v[1:2]
	buffer_load_dword v4, off, s[0:3], 0 offset:996
	buffer_load_dword v3, off, s[0:3], 0 offset:992
	buffer_load_dword v10, off, s[0:3], 0 offset:1004
	buffer_load_dword v9, off, s[0:3], 0 offset:1000
	s_waitcnt vmcnt(2)
	v_add_f64 v[3:4], v[3:4], -v[18:19]
	s_waitcnt vmcnt(0)
	v_add_f64 v[1:2], v[9:10], -v[1:2]
	buffer_store_dword v4, off, s[0:3], 0 offset:996
	buffer_store_dword v3, off, s[0:3], 0 offset:992
	;; [unrolled: 1-line block ×4, first 2 shown]
	ds_read2_b64 v[29:32], v12 offset0:126 offset1:127
	s_waitcnt lgkmcnt(0)
	v_mul_f64 v[1:2], v[31:32], v[7:8]
	v_fma_f64 v[3:4], v[29:30], v[5:6], -v[1:2]
	v_mul_f64 v[1:2], v[29:30], v[7:8]
	v_fma_f64 v[1:2], v[31:32], v[5:6], v[1:2]
	buffer_load_dword v5, off, s[0:3], 0 offset:1008
	buffer_load_dword v6, off, s[0:3], 0 offset:1012
	;; [unrolled: 1-line block ×4, first 2 shown]
	s_waitcnt vmcnt(2)
	v_add_f64 v[3:4], v[5:6], -v[3:4]
	s_waitcnt vmcnt(0)
	v_add_f64 v[1:2], v[7:8], -v[1:2]
	buffer_store_dword v4, off, s[0:3], 0 offset:1012
	buffer_store_dword v3, off, s[0:3], 0 offset:1008
	buffer_store_dword v2, off, s[0:3], 0 offset:1020
	buffer_store_dword v1, off, s[0:3], 0 offset:1016
.LBB127_461:
	s_or_b64 exec, exec, s[6:7]
	v_cmp_eq_u32_e32 vcc, 38, v0
	s_waitcnt vmcnt(0) lgkmcnt(0)
	s_barrier
	s_and_saveexec_b64 s[8:9], vcc
	s_cbranch_execz .LBB127_468
; %bb.462:
	v_mov_b32_e32 v4, s65
	buffer_load_dword v1, v4, s[0:3], 0 offen
	buffer_load_dword v2, v4, s[0:3], 0 offen offset:4
	buffer_load_dword v3, v4, s[0:3], 0 offen offset:8
	s_nop 0
	buffer_load_dword v4, v4, s[0:3], 0 offen offset:12
	s_waitcnt vmcnt(0)
	ds_write2_b64 v11, v[1:2], v[3:4] offset1:1
	v_mov_b32_e32 v4, s40
	buffer_load_dword v1, v4, s[0:3], 0 offen
	buffer_load_dword v2, v4, s[0:3], 0 offen offset:4
	buffer_load_dword v3, v4, s[0:3], 0 offen offset:8
	s_nop 0
	buffer_load_dword v4, v4, s[0:3], 0 offen offset:12
	s_waitcnt vmcnt(0)
	ds_write2_b64 v12, v[1:2], v[3:4] offset0:78 offset1:79
	v_mov_b32_e32 v4, s39
	buffer_load_dword v1, v4, s[0:3], 0 offen
	buffer_load_dword v2, v4, s[0:3], 0 offen offset:4
	buffer_load_dword v3, v4, s[0:3], 0 offen offset:8
	s_nop 0
	buffer_load_dword v4, v4, s[0:3], 0 offen offset:12
	s_waitcnt vmcnt(0)
	ds_write2_b64 v12, v[1:2], v[3:4] offset0:80 offset1:81
	;; [unrolled: 8-line block ×25, first 2 shown]
	ds_read2_b64 v[1:4], v11 offset1:1
	s_waitcnt lgkmcnt(0)
	v_cmp_neq_f64_e32 vcc, 0, v[1:2]
	v_cmp_neq_f64_e64 s[6:7], 0, v[3:4]
	s_or_b64 s[6:7], vcc, s[6:7]
	s_and_b64 exec, exec, s[6:7]
	s_cbranch_execz .LBB127_468
; %bb.463:
	v_cmp_ngt_f64_e64 s[6:7], |v[1:2]|, |v[3:4]|
                                        ; implicit-def: $vgpr5_vgpr6
	s_and_saveexec_b64 s[10:11], s[6:7]
	s_xor_b64 s[6:7], exec, s[10:11]
                                        ; implicit-def: $vgpr7_vgpr8
	s_cbranch_execz .LBB127_465
; %bb.464:
	v_div_scale_f64 v[5:6], s[10:11], v[3:4], v[3:4], v[1:2]
	v_rcp_f64_e32 v[7:8], v[5:6]
	v_fma_f64 v[9:10], -v[5:6], v[7:8], 1.0
	v_fma_f64 v[7:8], v[7:8], v[9:10], v[7:8]
	v_div_scale_f64 v[9:10], vcc, v[1:2], v[3:4], v[1:2]
	v_fma_f64 v[18:19], -v[5:6], v[7:8], 1.0
	v_fma_f64 v[7:8], v[7:8], v[18:19], v[7:8]
	v_mul_f64 v[18:19], v[9:10], v[7:8]
	v_fma_f64 v[5:6], -v[5:6], v[18:19], v[9:10]
	v_div_fmas_f64 v[5:6], v[5:6], v[7:8], v[18:19]
	v_div_fixup_f64 v[5:6], v[5:6], v[3:4], v[1:2]
	v_fma_f64 v[1:2], v[1:2], v[5:6], v[3:4]
	v_div_scale_f64 v[3:4], s[10:11], v[1:2], v[1:2], 1.0
	v_div_scale_f64 v[18:19], vcc, 1.0, v[1:2], 1.0
	v_rcp_f64_e32 v[7:8], v[3:4]
	v_fma_f64 v[9:10], -v[3:4], v[7:8], 1.0
	v_fma_f64 v[7:8], v[7:8], v[9:10], v[7:8]
	v_fma_f64 v[9:10], -v[3:4], v[7:8], 1.0
	v_fma_f64 v[7:8], v[7:8], v[9:10], v[7:8]
	v_mul_f64 v[9:10], v[18:19], v[7:8]
	v_fma_f64 v[3:4], -v[3:4], v[9:10], v[18:19]
	v_div_fmas_f64 v[3:4], v[3:4], v[7:8], v[9:10]
	v_div_fixup_f64 v[7:8], v[3:4], v[1:2], 1.0
                                        ; implicit-def: $vgpr1_vgpr2
	v_mul_f64 v[5:6], v[5:6], v[7:8]
	v_xor_b32_e32 v8, 0x80000000, v8
.LBB127_465:
	s_andn2_saveexec_b64 s[6:7], s[6:7]
	s_cbranch_execz .LBB127_467
; %bb.466:
	v_div_scale_f64 v[5:6], s[10:11], v[1:2], v[1:2], v[3:4]
	v_rcp_f64_e32 v[7:8], v[5:6]
	v_fma_f64 v[9:10], -v[5:6], v[7:8], 1.0
	v_fma_f64 v[7:8], v[7:8], v[9:10], v[7:8]
	v_div_scale_f64 v[9:10], vcc, v[3:4], v[1:2], v[3:4]
	v_fma_f64 v[18:19], -v[5:6], v[7:8], 1.0
	v_fma_f64 v[7:8], v[7:8], v[18:19], v[7:8]
	v_mul_f64 v[18:19], v[9:10], v[7:8]
	v_fma_f64 v[5:6], -v[5:6], v[18:19], v[9:10]
	v_div_fmas_f64 v[5:6], v[5:6], v[7:8], v[18:19]
	v_div_fixup_f64 v[7:8], v[5:6], v[1:2], v[3:4]
	v_fma_f64 v[1:2], v[3:4], v[7:8], v[1:2]
	v_div_scale_f64 v[3:4], s[10:11], v[1:2], v[1:2], 1.0
	v_div_scale_f64 v[18:19], vcc, 1.0, v[1:2], 1.0
	v_rcp_f64_e32 v[5:6], v[3:4]
	v_fma_f64 v[9:10], -v[3:4], v[5:6], 1.0
	v_fma_f64 v[5:6], v[5:6], v[9:10], v[5:6]
	v_fma_f64 v[9:10], -v[3:4], v[5:6], 1.0
	v_fma_f64 v[5:6], v[5:6], v[9:10], v[5:6]
	v_mul_f64 v[9:10], v[18:19], v[5:6]
	v_fma_f64 v[3:4], -v[3:4], v[9:10], v[18:19]
	v_div_fmas_f64 v[3:4], v[3:4], v[5:6], v[9:10]
	v_div_fixup_f64 v[5:6], v[3:4], v[1:2], 1.0
	v_mul_f64 v[7:8], v[7:8], -v[5:6]
.LBB127_467:
	s_or_b64 exec, exec, s[6:7]
	ds_write2_b64 v11, v[5:6], v[7:8] offset1:1
.LBB127_468:
	s_or_b64 exec, exec, s[8:9]
	s_waitcnt lgkmcnt(0)
	s_barrier
	ds_read2_b64 v[29:32], v11 offset1:1
	v_cmp_lt_u32_e32 vcc, 38, v0
	s_and_saveexec_b64 s[6:7], vcc
	s_cbranch_execz .LBB127_470
; %bb.469:
	buffer_load_dword v3, off, s[0:3], 0 offset:608
	buffer_load_dword v4, off, s[0:3], 0 offset:612
	;; [unrolled: 1-line block ×16, first 2 shown]
	s_waitcnt vmcnt(12) lgkmcnt(0)
	v_mul_f64 v[1:2], v[31:32], v[5:6]
	v_mul_f64 v[5:6], v[29:30], v[5:6]
	v_fma_f64 v[1:2], v[29:30], v[3:4], -v[1:2]
	v_fma_f64 v[3:4], v[31:32], v[3:4], v[5:6]
	buffer_store_dword v1, off, s[0:3], 0 offset:608
	buffer_store_dword v2, off, s[0:3], 0 offset:612
	buffer_store_dword v3, off, s[0:3], 0 offset:616
	buffer_store_dword v4, off, s[0:3], 0 offset:620
	ds_read2_b64 v[5:8], v12 offset0:78 offset1:79
	s_waitcnt lgkmcnt(0)
	v_mul_f64 v[41:42], v[7:8], v[3:4]
	v_fma_f64 v[41:42], v[5:6], v[1:2], -v[41:42]
	v_mul_f64 v[5:6], v[5:6], v[3:4]
	v_fma_f64 v[5:6], v[7:8], v[1:2], v[5:6]
	s_waitcnt vmcnt(14)
	v_add_f64 v[7:8], v[9:10], -v[41:42]
	s_waitcnt vmcnt(12)
	v_add_f64 v[5:6], v[18:19], -v[5:6]
	buffer_store_dword v7, off, s[0:3], 0 offset:624
	buffer_store_dword v8, off, s[0:3], 0 offset:628
	buffer_store_dword v5, off, s[0:3], 0 offset:632
	buffer_store_dword v6, off, s[0:3], 0 offset:636
	ds_read2_b64 v[5:8], v12 offset0:80 offset1:81
	s_waitcnt lgkmcnt(0)
	v_mul_f64 v[9:10], v[7:8], v[3:4]
	v_fma_f64 v[9:10], v[5:6], v[1:2], -v[9:10]
	v_mul_f64 v[5:6], v[5:6], v[3:4]
	v_fma_f64 v[5:6], v[7:8], v[1:2], v[5:6]
	s_waitcnt vmcnt(14)
	v_add_f64 v[7:8], v[33:34], -v[9:10]
	s_waitcnt vmcnt(12)
	v_add_f64 v[5:6], v[35:36], -v[5:6]
	;; [unrolled: 14-line block ×3, first 2 shown]
	buffer_store_dword v8, off, s[0:3], 0 offset:660
	buffer_store_dword v7, off, s[0:3], 0 offset:656
	;; [unrolled: 1-line block ×4, first 2 shown]
	ds_read2_b64 v[5:8], v12 offset0:84 offset1:85
	s_waitcnt lgkmcnt(0)
	v_mul_f64 v[9:10], v[7:8], v[3:4]
	v_fma_f64 v[9:10], v[5:6], v[1:2], -v[9:10]
	v_mul_f64 v[5:6], v[5:6], v[3:4]
	v_fma_f64 v[5:6], v[7:8], v[1:2], v[5:6]
	buffer_load_dword v7, off, s[0:3], 0 offset:672
	buffer_load_dword v8, off, s[0:3], 0 offset:676
	;; [unrolled: 1-line block ×4, first 2 shown]
	s_waitcnt vmcnt(2)
	v_add_f64 v[7:8], v[7:8], -v[9:10]
	s_waitcnt vmcnt(0)
	v_add_f64 v[5:6], v[18:19], -v[5:6]
	buffer_store_dword v8, off, s[0:3], 0 offset:676
	buffer_store_dword v7, off, s[0:3], 0 offset:672
	;; [unrolled: 1-line block ×4, first 2 shown]
	ds_read2_b64 v[5:8], v12 offset0:86 offset1:87
	s_waitcnt lgkmcnt(0)
	v_mul_f64 v[9:10], v[7:8], v[3:4]
	v_fma_f64 v[9:10], v[5:6], v[1:2], -v[9:10]
	v_mul_f64 v[5:6], v[5:6], v[3:4]
	v_fma_f64 v[5:6], v[7:8], v[1:2], v[5:6]
	buffer_load_dword v7, off, s[0:3], 0 offset:688
	buffer_load_dword v8, off, s[0:3], 0 offset:692
	;; [unrolled: 1-line block ×4, first 2 shown]
	s_waitcnt vmcnt(2)
	v_add_f64 v[7:8], v[7:8], -v[9:10]
	s_waitcnt vmcnt(0)
	v_add_f64 v[5:6], v[18:19], -v[5:6]
	buffer_store_dword v8, off, s[0:3], 0 offset:692
	buffer_store_dword v7, off, s[0:3], 0 offset:688
	;; [unrolled: 1-line block ×4, first 2 shown]
	ds_read2_b64 v[5:8], v12 offset0:88 offset1:89
	s_waitcnt lgkmcnt(0)
	v_mul_f64 v[9:10], v[7:8], v[3:4]
	v_mul_f64 v[3:4], v[5:6], v[3:4]
	v_fma_f64 v[9:10], v[5:6], v[1:2], -v[9:10]
	v_fma_f64 v[1:2], v[7:8], v[1:2], v[3:4]
	buffer_load_dword v3, off, s[0:3], 0 offset:704
	buffer_load_dword v4, off, s[0:3], 0 offset:708
	;; [unrolled: 1-line block ×4, first 2 shown]
	s_waitcnt vmcnt(2)
	v_add_f64 v[3:4], v[3:4], -v[9:10]
	s_waitcnt vmcnt(0)
	v_add_f64 v[1:2], v[5:6], -v[1:2]
	buffer_store_dword v4, off, s[0:3], 0 offset:708
	buffer_store_dword v3, off, s[0:3], 0 offset:704
	;; [unrolled: 1-line block ×4, first 2 shown]
	ds_read2_b64 v[5:8], v12 offset0:90 offset1:91
	buffer_load_dword v1, off, s[0:3], 0 offset:608
	buffer_load_dword v2, off, s[0:3], 0 offset:612
	;; [unrolled: 1-line block ×4, first 2 shown]
	s_waitcnt vmcnt(0) lgkmcnt(0)
	v_mul_f64 v[9:10], v[7:8], v[3:4]
	v_fma_f64 v[9:10], v[5:6], v[1:2], -v[9:10]
	v_mul_f64 v[5:6], v[5:6], v[3:4]
	v_fma_f64 v[5:6], v[7:8], v[1:2], v[5:6]
	buffer_load_dword v8, off, s[0:3], 0 offset:724
	buffer_load_dword v7, off, s[0:3], 0 offset:720
	s_waitcnt vmcnt(0)
	v_add_f64 v[7:8], v[7:8], -v[9:10]
	buffer_load_dword v10, off, s[0:3], 0 offset:732
	buffer_load_dword v9, off, s[0:3], 0 offset:728
	s_waitcnt vmcnt(0)
	v_add_f64 v[5:6], v[9:10], -v[5:6]
	buffer_store_dword v8, off, s[0:3], 0 offset:724
	buffer_store_dword v7, off, s[0:3], 0 offset:720
	buffer_store_dword v6, off, s[0:3], 0 offset:732
	buffer_store_dword v5, off, s[0:3], 0 offset:728
	ds_read2_b64 v[5:8], v12 offset0:92 offset1:93
	s_waitcnt lgkmcnt(0)
	v_mul_f64 v[9:10], v[7:8], v[3:4]
	v_fma_f64 v[9:10], v[5:6], v[1:2], -v[9:10]
	v_mul_f64 v[5:6], v[5:6], v[3:4]
	v_fma_f64 v[5:6], v[7:8], v[1:2], v[5:6]
	buffer_load_dword v7, off, s[0:3], 0 offset:736
	buffer_load_dword v8, off, s[0:3], 0 offset:740
	buffer_load_dword v18, off, s[0:3], 0 offset:744
	buffer_load_dword v19, off, s[0:3], 0 offset:748
	s_waitcnt vmcnt(2)
	v_add_f64 v[7:8], v[7:8], -v[9:10]
	s_waitcnt vmcnt(0)
	v_add_f64 v[5:6], v[18:19], -v[5:6]
	buffer_store_dword v8, off, s[0:3], 0 offset:740
	buffer_store_dword v7, off, s[0:3], 0 offset:736
	buffer_store_dword v6, off, s[0:3], 0 offset:748
	buffer_store_dword v5, off, s[0:3], 0 offset:744
	ds_read2_b64 v[5:8], v12 offset0:94 offset1:95
	s_waitcnt lgkmcnt(0)
	v_mul_f64 v[9:10], v[7:8], v[3:4]
	v_fma_f64 v[9:10], v[5:6], v[1:2], -v[9:10]
	v_mul_f64 v[5:6], v[5:6], v[3:4]
	v_fma_f64 v[5:6], v[7:8], v[1:2], v[5:6]
	buffer_load_dword v7, off, s[0:3], 0 offset:752
	buffer_load_dword v8, off, s[0:3], 0 offset:756
	buffer_load_dword v18, off, s[0:3], 0 offset:760
	buffer_load_dword v19, off, s[0:3], 0 offset:764
	s_waitcnt vmcnt(2)
	v_add_f64 v[7:8], v[7:8], -v[9:10]
	;; [unrolled: 18-line block ×4, first 2 shown]
	s_waitcnt vmcnt(0)
	v_add_f64 v[5:6], v[18:19], -v[5:6]
	buffer_store_dword v8, off, s[0:3], 0 offset:788
	buffer_store_dword v7, off, s[0:3], 0 offset:784
	;; [unrolled: 1-line block ×4, first 2 shown]
	ds_read2_b64 v[5:8], v12 offset0:100 offset1:101
	s_waitcnt lgkmcnt(0)
	v_mul_f64 v[9:10], v[7:8], v[3:4]
	v_mul_f64 v[3:4], v[5:6], v[3:4]
	v_fma_f64 v[9:10], v[5:6], v[1:2], -v[9:10]
	v_fma_f64 v[1:2], v[7:8], v[1:2], v[3:4]
	buffer_load_dword v3, off, s[0:3], 0 offset:800
	buffer_load_dword v4, off, s[0:3], 0 offset:804
	;; [unrolled: 1-line block ×4, first 2 shown]
	s_waitcnt vmcnt(2)
	v_add_f64 v[3:4], v[3:4], -v[9:10]
	s_waitcnt vmcnt(0)
	v_add_f64 v[1:2], v[5:6], -v[1:2]
	buffer_store_dword v4, off, s[0:3], 0 offset:804
	buffer_store_dword v3, off, s[0:3], 0 offset:800
	;; [unrolled: 1-line block ×4, first 2 shown]
	ds_read2_b64 v[1:4], v12 offset0:102 offset1:103
	buffer_load_dword v5, off, s[0:3], 0 offset:608
	buffer_load_dword v6, off, s[0:3], 0 offset:612
	;; [unrolled: 1-line block ×4, first 2 shown]
	s_waitcnt vmcnt(0) lgkmcnt(0)
	v_mul_f64 v[9:10], v[3:4], v[7:8]
	v_fma_f64 v[9:10], v[1:2], v[5:6], -v[9:10]
	v_mul_f64 v[1:2], v[1:2], v[7:8]
	v_fma_f64 v[1:2], v[3:4], v[5:6], v[1:2]
	buffer_load_dword v4, off, s[0:3], 0 offset:820
	buffer_load_dword v3, off, s[0:3], 0 offset:816
	s_waitcnt vmcnt(0)
	v_add_f64 v[3:4], v[3:4], -v[9:10]
	buffer_load_dword v10, off, s[0:3], 0 offset:828
	buffer_load_dword v9, off, s[0:3], 0 offset:824
	s_waitcnt vmcnt(0)
	v_add_f64 v[1:2], v[9:10], -v[1:2]
	buffer_store_dword v4, off, s[0:3], 0 offset:820
	buffer_store_dword v3, off, s[0:3], 0 offset:816
	buffer_store_dword v2, off, s[0:3], 0 offset:828
	buffer_store_dword v1, off, s[0:3], 0 offset:824
	ds_read2_b64 v[1:4], v12 offset0:104 offset1:105
	s_waitcnt lgkmcnt(0)
	v_mul_f64 v[9:10], v[3:4], v[7:8]
	v_fma_f64 v[9:10], v[1:2], v[5:6], -v[9:10]
	v_mul_f64 v[1:2], v[1:2], v[7:8]
	v_fma_f64 v[1:2], v[3:4], v[5:6], v[1:2]
	buffer_load_dword v3, off, s[0:3], 0 offset:832
	buffer_load_dword v4, off, s[0:3], 0 offset:836
	buffer_load_dword v18, off, s[0:3], 0 offset:840
	buffer_load_dword v19, off, s[0:3], 0 offset:844
	s_waitcnt vmcnt(2)
	v_add_f64 v[3:4], v[3:4], -v[9:10]
	s_waitcnt vmcnt(0)
	v_add_f64 v[1:2], v[18:19], -v[1:2]
	buffer_store_dword v4, off, s[0:3], 0 offset:836
	buffer_store_dword v3, off, s[0:3], 0 offset:832
	buffer_store_dword v2, off, s[0:3], 0 offset:844
	buffer_store_dword v1, off, s[0:3], 0 offset:840
	ds_read2_b64 v[1:4], v12 offset0:106 offset1:107
	s_waitcnt lgkmcnt(0)
	v_mul_f64 v[9:10], v[3:4], v[7:8]
	v_fma_f64 v[9:10], v[1:2], v[5:6], -v[9:10]
	v_mul_f64 v[1:2], v[1:2], v[7:8]
	v_fma_f64 v[1:2], v[3:4], v[5:6], v[1:2]
	buffer_load_dword v3, off, s[0:3], 0 offset:848
	buffer_load_dword v4, off, s[0:3], 0 offset:852
	buffer_load_dword v18, off, s[0:3], 0 offset:856
	buffer_load_dword v19, off, s[0:3], 0 offset:860
	s_waitcnt vmcnt(2)
	v_add_f64 v[3:4], v[3:4], -v[9:10]
	;; [unrolled: 18-line block ×5, first 2 shown]
	s_waitcnt vmcnt(0)
	v_add_f64 v[1:2], v[5:6], -v[1:2]
	buffer_store_dword v4, off, s[0:3], 0 offset:900
	buffer_store_dword v3, off, s[0:3], 0 offset:896
	;; [unrolled: 1-line block ×4, first 2 shown]
	ds_read2_b64 v[1:4], v12 offset0:114 offset1:115
	buffer_load_dword v5, off, s[0:3], 0 offset:608
	buffer_load_dword v6, off, s[0:3], 0 offset:612
	buffer_load_dword v7, off, s[0:3], 0 offset:616
	buffer_load_dword v8, off, s[0:3], 0 offset:620
	s_waitcnt vmcnt(0) lgkmcnt(0)
	v_mul_f64 v[9:10], v[3:4], v[7:8]
	v_fma_f64 v[9:10], v[1:2], v[5:6], -v[9:10]
	v_mul_f64 v[1:2], v[1:2], v[7:8]
	v_fma_f64 v[1:2], v[3:4], v[5:6], v[1:2]
	buffer_load_dword v4, off, s[0:3], 0 offset:916
	buffer_load_dword v3, off, s[0:3], 0 offset:912
	s_waitcnt vmcnt(0)
	v_add_f64 v[3:4], v[3:4], -v[9:10]
	buffer_load_dword v10, off, s[0:3], 0 offset:924
	buffer_load_dword v9, off, s[0:3], 0 offset:920
	s_waitcnt vmcnt(0)
	v_add_f64 v[1:2], v[9:10], -v[1:2]
	buffer_store_dword v4, off, s[0:3], 0 offset:916
	buffer_store_dword v3, off, s[0:3], 0 offset:912
	buffer_store_dword v2, off, s[0:3], 0 offset:924
	buffer_store_dword v1, off, s[0:3], 0 offset:920
	ds_read2_b64 v[1:4], v12 offset0:116 offset1:117
	s_waitcnt lgkmcnt(0)
	v_mul_f64 v[9:10], v[3:4], v[7:8]
	v_fma_f64 v[9:10], v[1:2], v[5:6], -v[9:10]
	v_mul_f64 v[1:2], v[1:2], v[7:8]
	v_fma_f64 v[1:2], v[3:4], v[5:6], v[1:2]
	buffer_load_dword v3, off, s[0:3], 0 offset:928
	buffer_load_dword v4, off, s[0:3], 0 offset:932
	buffer_load_dword v18, off, s[0:3], 0 offset:936
	buffer_load_dword v19, off, s[0:3], 0 offset:940
	s_waitcnt vmcnt(2)
	v_add_f64 v[3:4], v[3:4], -v[9:10]
	s_waitcnt vmcnt(0)
	v_add_f64 v[1:2], v[18:19], -v[1:2]
	buffer_store_dword v4, off, s[0:3], 0 offset:932
	buffer_store_dword v3, off, s[0:3], 0 offset:928
	buffer_store_dword v2, off, s[0:3], 0 offset:940
	buffer_store_dword v1, off, s[0:3], 0 offset:936
	ds_read2_b64 v[1:4], v12 offset0:118 offset1:119
	s_waitcnt lgkmcnt(0)
	v_mul_f64 v[9:10], v[3:4], v[7:8]
	v_fma_f64 v[9:10], v[1:2], v[5:6], -v[9:10]
	v_mul_f64 v[1:2], v[1:2], v[7:8]
	v_fma_f64 v[1:2], v[3:4], v[5:6], v[1:2]
	buffer_load_dword v3, off, s[0:3], 0 offset:944
	buffer_load_dword v4, off, s[0:3], 0 offset:948
	buffer_load_dword v18, off, s[0:3], 0 offset:952
	buffer_load_dword v19, off, s[0:3], 0 offset:956
	s_waitcnt vmcnt(2)
	v_add_f64 v[3:4], v[3:4], -v[9:10]
	;; [unrolled: 18-line block ×5, first 2 shown]
	s_waitcnt vmcnt(0)
	v_add_f64 v[1:2], v[5:6], -v[1:2]
	buffer_store_dword v4, off, s[0:3], 0 offset:996
	buffer_store_dword v3, off, s[0:3], 0 offset:992
	;; [unrolled: 1-line block ×4, first 2 shown]
	ds_read2_b64 v[1:4], v12 offset0:126 offset1:127
	buffer_load_dword v5, off, s[0:3], 0 offset:608
	buffer_load_dword v6, off, s[0:3], 0 offset:612
	;; [unrolled: 1-line block ×4, first 2 shown]
	s_waitcnt vmcnt(0) lgkmcnt(0)
	v_mul_f64 v[7:8], v[3:4], v[9:10]
	v_fma_f64 v[7:8], v[1:2], v[5:6], -v[7:8]
	v_mul_f64 v[1:2], v[1:2], v[9:10]
	v_fma_f64 v[1:2], v[3:4], v[5:6], v[1:2]
	buffer_load_dword v4, off, s[0:3], 0 offset:1012
	buffer_load_dword v3, off, s[0:3], 0 offset:1008
	;; [unrolled: 1-line block ×4, first 2 shown]
	s_waitcnt vmcnt(2)
	v_add_f64 v[3:4], v[3:4], -v[7:8]
	s_waitcnt vmcnt(0)
	v_add_f64 v[1:2], v[5:6], -v[1:2]
	buffer_store_dword v4, off, s[0:3], 0 offset:1012
	buffer_store_dword v3, off, s[0:3], 0 offset:1008
	;; [unrolled: 1-line block ×4, first 2 shown]
.LBB127_470:
	s_or_b64 exec, exec, s[6:7]
	v_cmp_eq_u32_e32 vcc, 39, v0
	s_waitcnt vmcnt(0) lgkmcnt(0)
	s_barrier
	s_and_saveexec_b64 s[8:9], vcc
	s_cbranch_execz .LBB127_477
; %bb.471:
	v_mov_b32_e32 v4, s40
	buffer_load_dword v1, v4, s[0:3], 0 offen
	buffer_load_dword v2, v4, s[0:3], 0 offen offset:4
	buffer_load_dword v3, v4, s[0:3], 0 offen offset:8
	s_nop 0
	buffer_load_dword v4, v4, s[0:3], 0 offen offset:12
	s_waitcnt vmcnt(0)
	ds_write2_b64 v11, v[1:2], v[3:4] offset1:1
	v_mov_b32_e32 v4, s39
	buffer_load_dword v1, v4, s[0:3], 0 offen
	buffer_load_dword v2, v4, s[0:3], 0 offen offset:4
	buffer_load_dword v3, v4, s[0:3], 0 offen offset:8
	s_nop 0
	buffer_load_dword v4, v4, s[0:3], 0 offen offset:12
	s_waitcnt vmcnt(0)
	ds_write2_b64 v12, v[1:2], v[3:4] offset0:80 offset1:81
	v_mov_b32_e32 v4, s38
	buffer_load_dword v1, v4, s[0:3], 0 offen
	buffer_load_dword v2, v4, s[0:3], 0 offen offset:4
	buffer_load_dword v3, v4, s[0:3], 0 offen offset:8
	s_nop 0
	buffer_load_dword v4, v4, s[0:3], 0 offen offset:12
	s_waitcnt vmcnt(0)
	ds_write2_b64 v12, v[1:2], v[3:4] offset0:82 offset1:83
	;; [unrolled: 8-line block ×24, first 2 shown]
	ds_read2_b64 v[1:4], v11 offset1:1
	s_waitcnt lgkmcnt(0)
	v_cmp_neq_f64_e32 vcc, 0, v[1:2]
	v_cmp_neq_f64_e64 s[6:7], 0, v[3:4]
	s_or_b64 s[6:7], vcc, s[6:7]
	s_and_b64 exec, exec, s[6:7]
	s_cbranch_execz .LBB127_477
; %bb.472:
	v_cmp_ngt_f64_e64 s[6:7], |v[1:2]|, |v[3:4]|
                                        ; implicit-def: $vgpr5_vgpr6
	s_and_saveexec_b64 s[10:11], s[6:7]
	s_xor_b64 s[6:7], exec, s[10:11]
                                        ; implicit-def: $vgpr7_vgpr8
	s_cbranch_execz .LBB127_474
; %bb.473:
	v_div_scale_f64 v[5:6], s[10:11], v[3:4], v[3:4], v[1:2]
	v_rcp_f64_e32 v[7:8], v[5:6]
	v_fma_f64 v[9:10], -v[5:6], v[7:8], 1.0
	v_fma_f64 v[7:8], v[7:8], v[9:10], v[7:8]
	v_div_scale_f64 v[9:10], vcc, v[1:2], v[3:4], v[1:2]
	v_fma_f64 v[18:19], -v[5:6], v[7:8], 1.0
	v_fma_f64 v[7:8], v[7:8], v[18:19], v[7:8]
	v_mul_f64 v[18:19], v[9:10], v[7:8]
	v_fma_f64 v[5:6], -v[5:6], v[18:19], v[9:10]
	v_div_fmas_f64 v[5:6], v[5:6], v[7:8], v[18:19]
	v_div_fixup_f64 v[5:6], v[5:6], v[3:4], v[1:2]
	v_fma_f64 v[1:2], v[1:2], v[5:6], v[3:4]
	v_div_scale_f64 v[3:4], s[10:11], v[1:2], v[1:2], 1.0
	v_div_scale_f64 v[18:19], vcc, 1.0, v[1:2], 1.0
	v_rcp_f64_e32 v[7:8], v[3:4]
	v_fma_f64 v[9:10], -v[3:4], v[7:8], 1.0
	v_fma_f64 v[7:8], v[7:8], v[9:10], v[7:8]
	v_fma_f64 v[9:10], -v[3:4], v[7:8], 1.0
	v_fma_f64 v[7:8], v[7:8], v[9:10], v[7:8]
	v_mul_f64 v[9:10], v[18:19], v[7:8]
	v_fma_f64 v[3:4], -v[3:4], v[9:10], v[18:19]
	v_div_fmas_f64 v[3:4], v[3:4], v[7:8], v[9:10]
	v_div_fixup_f64 v[7:8], v[3:4], v[1:2], 1.0
                                        ; implicit-def: $vgpr1_vgpr2
	v_mul_f64 v[5:6], v[5:6], v[7:8]
	v_xor_b32_e32 v8, 0x80000000, v8
.LBB127_474:
	s_andn2_saveexec_b64 s[6:7], s[6:7]
	s_cbranch_execz .LBB127_476
; %bb.475:
	v_div_scale_f64 v[5:6], s[10:11], v[1:2], v[1:2], v[3:4]
	v_rcp_f64_e32 v[7:8], v[5:6]
	v_fma_f64 v[9:10], -v[5:6], v[7:8], 1.0
	v_fma_f64 v[7:8], v[7:8], v[9:10], v[7:8]
	v_div_scale_f64 v[9:10], vcc, v[3:4], v[1:2], v[3:4]
	v_fma_f64 v[18:19], -v[5:6], v[7:8], 1.0
	v_fma_f64 v[7:8], v[7:8], v[18:19], v[7:8]
	v_mul_f64 v[18:19], v[9:10], v[7:8]
	v_fma_f64 v[5:6], -v[5:6], v[18:19], v[9:10]
	v_div_fmas_f64 v[5:6], v[5:6], v[7:8], v[18:19]
	v_div_fixup_f64 v[7:8], v[5:6], v[1:2], v[3:4]
	v_fma_f64 v[1:2], v[3:4], v[7:8], v[1:2]
	v_div_scale_f64 v[3:4], s[10:11], v[1:2], v[1:2], 1.0
	v_div_scale_f64 v[18:19], vcc, 1.0, v[1:2], 1.0
	v_rcp_f64_e32 v[5:6], v[3:4]
	v_fma_f64 v[9:10], -v[3:4], v[5:6], 1.0
	v_fma_f64 v[5:6], v[5:6], v[9:10], v[5:6]
	v_fma_f64 v[9:10], -v[3:4], v[5:6], 1.0
	v_fma_f64 v[5:6], v[5:6], v[9:10], v[5:6]
	v_mul_f64 v[9:10], v[18:19], v[5:6]
	v_fma_f64 v[3:4], -v[3:4], v[9:10], v[18:19]
	v_div_fmas_f64 v[3:4], v[3:4], v[5:6], v[9:10]
	v_div_fixup_f64 v[5:6], v[3:4], v[1:2], 1.0
	v_mul_f64 v[7:8], v[7:8], -v[5:6]
.LBB127_476:
	s_or_b64 exec, exec, s[6:7]
	ds_write2_b64 v11, v[5:6], v[7:8] offset1:1
.LBB127_477:
	s_or_b64 exec, exec, s[8:9]
	s_waitcnt lgkmcnt(0)
	s_barrier
	ds_read2_b64 v[33:36], v11 offset1:1
	v_cmp_lt_u32_e32 vcc, 39, v0
	s_and_saveexec_b64 s[6:7], vcc
	s_cbranch_execz .LBB127_479
; %bb.478:
	buffer_load_dword v3, off, s[0:3], 0 offset:624
	buffer_load_dword v4, off, s[0:3], 0 offset:628
	;; [unrolled: 1-line block ×16, first 2 shown]
	s_waitcnt vmcnt(12) lgkmcnt(0)
	v_mul_f64 v[1:2], v[35:36], v[5:6]
	v_mul_f64 v[5:6], v[33:34], v[5:6]
	v_fma_f64 v[1:2], v[33:34], v[3:4], -v[1:2]
	v_fma_f64 v[3:4], v[35:36], v[3:4], v[5:6]
	buffer_store_dword v1, off, s[0:3], 0 offset:624
	buffer_store_dword v2, off, s[0:3], 0 offset:628
	buffer_store_dword v3, off, s[0:3], 0 offset:632
	buffer_store_dword v4, off, s[0:3], 0 offset:636
	ds_read2_b64 v[5:8], v12 offset0:80 offset1:81
	s_waitcnt lgkmcnt(0)
	v_mul_f64 v[45:46], v[7:8], v[3:4]
	v_fma_f64 v[45:46], v[5:6], v[1:2], -v[45:46]
	v_mul_f64 v[5:6], v[5:6], v[3:4]
	v_fma_f64 v[5:6], v[7:8], v[1:2], v[5:6]
	s_waitcnt vmcnt(14)
	v_add_f64 v[7:8], v[9:10], -v[45:46]
	s_waitcnt vmcnt(12)
	v_add_f64 v[5:6], v[18:19], -v[5:6]
	buffer_store_dword v7, off, s[0:3], 0 offset:640
	buffer_store_dword v8, off, s[0:3], 0 offset:644
	buffer_store_dword v5, off, s[0:3], 0 offset:648
	buffer_store_dword v6, off, s[0:3], 0 offset:652
	ds_read2_b64 v[5:8], v12 offset0:82 offset1:83
	s_waitcnt lgkmcnt(0)
	v_mul_f64 v[9:10], v[7:8], v[3:4]
	v_fma_f64 v[9:10], v[5:6], v[1:2], -v[9:10]
	v_mul_f64 v[5:6], v[5:6], v[3:4]
	v_fma_f64 v[5:6], v[7:8], v[1:2], v[5:6]
	s_waitcnt vmcnt(14)
	v_add_f64 v[7:8], v[37:38], -v[9:10]
	s_waitcnt vmcnt(12)
	v_add_f64 v[5:6], v[39:40], -v[5:6]
	;; [unrolled: 14-line block ×3, first 2 shown]
	buffer_store_dword v8, off, s[0:3], 0 offset:676
	buffer_store_dword v7, off, s[0:3], 0 offset:672
	;; [unrolled: 1-line block ×4, first 2 shown]
	ds_read2_b64 v[5:8], v12 offset0:86 offset1:87
	s_waitcnt lgkmcnt(0)
	v_mul_f64 v[9:10], v[7:8], v[3:4]
	v_fma_f64 v[9:10], v[5:6], v[1:2], -v[9:10]
	v_mul_f64 v[5:6], v[5:6], v[3:4]
	v_fma_f64 v[5:6], v[7:8], v[1:2], v[5:6]
	buffer_load_dword v7, off, s[0:3], 0 offset:688
	buffer_load_dword v8, off, s[0:3], 0 offset:692
	;; [unrolled: 1-line block ×4, first 2 shown]
	s_waitcnt vmcnt(2)
	v_add_f64 v[7:8], v[7:8], -v[9:10]
	s_waitcnt vmcnt(0)
	v_add_f64 v[5:6], v[18:19], -v[5:6]
	buffer_store_dword v8, off, s[0:3], 0 offset:692
	buffer_store_dword v7, off, s[0:3], 0 offset:688
	;; [unrolled: 1-line block ×4, first 2 shown]
	ds_read2_b64 v[5:8], v12 offset0:88 offset1:89
	s_waitcnt lgkmcnt(0)
	v_mul_f64 v[9:10], v[7:8], v[3:4]
	v_fma_f64 v[9:10], v[5:6], v[1:2], -v[9:10]
	v_mul_f64 v[5:6], v[5:6], v[3:4]
	v_fma_f64 v[5:6], v[7:8], v[1:2], v[5:6]
	buffer_load_dword v7, off, s[0:3], 0 offset:704
	buffer_load_dword v8, off, s[0:3], 0 offset:708
	;; [unrolled: 1-line block ×4, first 2 shown]
	s_waitcnt vmcnt(2)
	v_add_f64 v[7:8], v[7:8], -v[9:10]
	s_waitcnt vmcnt(0)
	v_add_f64 v[5:6], v[18:19], -v[5:6]
	buffer_store_dword v8, off, s[0:3], 0 offset:708
	buffer_store_dword v7, off, s[0:3], 0 offset:704
	;; [unrolled: 1-line block ×4, first 2 shown]
	ds_read2_b64 v[5:8], v12 offset0:90 offset1:91
	s_waitcnt lgkmcnt(0)
	v_mul_f64 v[9:10], v[7:8], v[3:4]
	v_mul_f64 v[3:4], v[5:6], v[3:4]
	v_fma_f64 v[9:10], v[5:6], v[1:2], -v[9:10]
	v_fma_f64 v[1:2], v[7:8], v[1:2], v[3:4]
	buffer_load_dword v3, off, s[0:3], 0 offset:720
	buffer_load_dword v4, off, s[0:3], 0 offset:724
	;; [unrolled: 1-line block ×4, first 2 shown]
	s_waitcnt vmcnt(2)
	v_add_f64 v[3:4], v[3:4], -v[9:10]
	s_waitcnt vmcnt(0)
	v_add_f64 v[1:2], v[5:6], -v[1:2]
	buffer_store_dword v4, off, s[0:3], 0 offset:724
	buffer_store_dword v3, off, s[0:3], 0 offset:720
	;; [unrolled: 1-line block ×4, first 2 shown]
	ds_read2_b64 v[5:8], v12 offset0:92 offset1:93
	buffer_load_dword v1, off, s[0:3], 0 offset:624
	buffer_load_dword v2, off, s[0:3], 0 offset:628
	;; [unrolled: 1-line block ×4, first 2 shown]
	s_waitcnt vmcnt(0) lgkmcnt(0)
	v_mul_f64 v[9:10], v[7:8], v[3:4]
	v_fma_f64 v[9:10], v[5:6], v[1:2], -v[9:10]
	v_mul_f64 v[5:6], v[5:6], v[3:4]
	v_fma_f64 v[5:6], v[7:8], v[1:2], v[5:6]
	buffer_load_dword v8, off, s[0:3], 0 offset:740
	buffer_load_dword v7, off, s[0:3], 0 offset:736
	s_waitcnt vmcnt(0)
	v_add_f64 v[7:8], v[7:8], -v[9:10]
	buffer_load_dword v10, off, s[0:3], 0 offset:748
	buffer_load_dword v9, off, s[0:3], 0 offset:744
	s_waitcnt vmcnt(0)
	v_add_f64 v[5:6], v[9:10], -v[5:6]
	buffer_store_dword v8, off, s[0:3], 0 offset:740
	buffer_store_dword v7, off, s[0:3], 0 offset:736
	buffer_store_dword v6, off, s[0:3], 0 offset:748
	buffer_store_dword v5, off, s[0:3], 0 offset:744
	ds_read2_b64 v[5:8], v12 offset0:94 offset1:95
	s_waitcnt lgkmcnt(0)
	v_mul_f64 v[9:10], v[7:8], v[3:4]
	v_fma_f64 v[9:10], v[5:6], v[1:2], -v[9:10]
	v_mul_f64 v[5:6], v[5:6], v[3:4]
	v_fma_f64 v[5:6], v[7:8], v[1:2], v[5:6]
	buffer_load_dword v7, off, s[0:3], 0 offset:752
	buffer_load_dword v8, off, s[0:3], 0 offset:756
	buffer_load_dword v18, off, s[0:3], 0 offset:760
	buffer_load_dword v19, off, s[0:3], 0 offset:764
	s_waitcnt vmcnt(2)
	v_add_f64 v[7:8], v[7:8], -v[9:10]
	s_waitcnt vmcnt(0)
	v_add_f64 v[5:6], v[18:19], -v[5:6]
	buffer_store_dword v8, off, s[0:3], 0 offset:756
	buffer_store_dword v7, off, s[0:3], 0 offset:752
	buffer_store_dword v6, off, s[0:3], 0 offset:764
	buffer_store_dword v5, off, s[0:3], 0 offset:760
	ds_read2_b64 v[5:8], v12 offset0:96 offset1:97
	s_waitcnt lgkmcnt(0)
	v_mul_f64 v[9:10], v[7:8], v[3:4]
	v_fma_f64 v[9:10], v[5:6], v[1:2], -v[9:10]
	v_mul_f64 v[5:6], v[5:6], v[3:4]
	v_fma_f64 v[5:6], v[7:8], v[1:2], v[5:6]
	buffer_load_dword v7, off, s[0:3], 0 offset:768
	buffer_load_dword v8, off, s[0:3], 0 offset:772
	buffer_load_dword v18, off, s[0:3], 0 offset:776
	buffer_load_dword v19, off, s[0:3], 0 offset:780
	s_waitcnt vmcnt(2)
	v_add_f64 v[7:8], v[7:8], -v[9:10]
	;; [unrolled: 18-line block ×4, first 2 shown]
	s_waitcnt vmcnt(0)
	v_add_f64 v[5:6], v[18:19], -v[5:6]
	buffer_store_dword v8, off, s[0:3], 0 offset:804
	buffer_store_dword v7, off, s[0:3], 0 offset:800
	;; [unrolled: 1-line block ×4, first 2 shown]
	ds_read2_b64 v[5:8], v12 offset0:102 offset1:103
	s_waitcnt lgkmcnt(0)
	v_mul_f64 v[9:10], v[7:8], v[3:4]
	v_mul_f64 v[3:4], v[5:6], v[3:4]
	v_fma_f64 v[9:10], v[5:6], v[1:2], -v[9:10]
	v_fma_f64 v[1:2], v[7:8], v[1:2], v[3:4]
	buffer_load_dword v3, off, s[0:3], 0 offset:816
	buffer_load_dword v4, off, s[0:3], 0 offset:820
	;; [unrolled: 1-line block ×4, first 2 shown]
	s_waitcnt vmcnt(2)
	v_add_f64 v[3:4], v[3:4], -v[9:10]
	s_waitcnt vmcnt(0)
	v_add_f64 v[1:2], v[5:6], -v[1:2]
	buffer_store_dword v4, off, s[0:3], 0 offset:820
	buffer_store_dword v3, off, s[0:3], 0 offset:816
	;; [unrolled: 1-line block ×4, first 2 shown]
	ds_read2_b64 v[5:8], v12 offset0:104 offset1:105
	buffer_load_dword v1, off, s[0:3], 0 offset:624
	buffer_load_dword v2, off, s[0:3], 0 offset:628
	;; [unrolled: 1-line block ×4, first 2 shown]
	s_waitcnt vmcnt(0) lgkmcnt(0)
	v_mul_f64 v[9:10], v[7:8], v[3:4]
	v_fma_f64 v[9:10], v[5:6], v[1:2], -v[9:10]
	v_mul_f64 v[5:6], v[5:6], v[3:4]
	v_fma_f64 v[5:6], v[7:8], v[1:2], v[5:6]
	buffer_load_dword v8, off, s[0:3], 0 offset:836
	buffer_load_dword v7, off, s[0:3], 0 offset:832
	s_waitcnt vmcnt(0)
	v_add_f64 v[7:8], v[7:8], -v[9:10]
	buffer_load_dword v10, off, s[0:3], 0 offset:844
	buffer_load_dword v9, off, s[0:3], 0 offset:840
	s_waitcnt vmcnt(0)
	v_add_f64 v[5:6], v[9:10], -v[5:6]
	buffer_store_dword v8, off, s[0:3], 0 offset:836
	buffer_store_dword v7, off, s[0:3], 0 offset:832
	buffer_store_dword v6, off, s[0:3], 0 offset:844
	buffer_store_dword v5, off, s[0:3], 0 offset:840
	ds_read2_b64 v[5:8], v12 offset0:106 offset1:107
	s_waitcnt lgkmcnt(0)
	v_mul_f64 v[9:10], v[7:8], v[3:4]
	v_fma_f64 v[9:10], v[5:6], v[1:2], -v[9:10]
	v_mul_f64 v[5:6], v[5:6], v[3:4]
	v_fma_f64 v[5:6], v[7:8], v[1:2], v[5:6]
	buffer_load_dword v7, off, s[0:3], 0 offset:848
	buffer_load_dword v8, off, s[0:3], 0 offset:852
	buffer_load_dword v18, off, s[0:3], 0 offset:856
	buffer_load_dword v19, off, s[0:3], 0 offset:860
	s_waitcnt vmcnt(2)
	v_add_f64 v[7:8], v[7:8], -v[9:10]
	s_waitcnt vmcnt(0)
	v_add_f64 v[5:6], v[18:19], -v[5:6]
	buffer_store_dword v8, off, s[0:3], 0 offset:852
	buffer_store_dword v7, off, s[0:3], 0 offset:848
	buffer_store_dword v6, off, s[0:3], 0 offset:860
	buffer_store_dword v5, off, s[0:3], 0 offset:856
	ds_read2_b64 v[5:8], v12 offset0:108 offset1:109
	s_waitcnt lgkmcnt(0)
	v_mul_f64 v[9:10], v[7:8], v[3:4]
	v_fma_f64 v[9:10], v[5:6], v[1:2], -v[9:10]
	v_mul_f64 v[5:6], v[5:6], v[3:4]
	v_fma_f64 v[5:6], v[7:8], v[1:2], v[5:6]
	buffer_load_dword v7, off, s[0:3], 0 offset:864
	buffer_load_dword v8, off, s[0:3], 0 offset:868
	buffer_load_dword v18, off, s[0:3], 0 offset:872
	buffer_load_dword v19, off, s[0:3], 0 offset:876
	s_waitcnt vmcnt(2)
	v_add_f64 v[7:8], v[7:8], -v[9:10]
	;; [unrolled: 18-line block ×4, first 2 shown]
	s_waitcnt vmcnt(0)
	v_add_f64 v[5:6], v[18:19], -v[5:6]
	buffer_store_dword v8, off, s[0:3], 0 offset:900
	buffer_store_dword v7, off, s[0:3], 0 offset:896
	buffer_store_dword v6, off, s[0:3], 0 offset:908
	buffer_store_dword v5, off, s[0:3], 0 offset:904
	ds_read2_b64 v[5:8], v12 offset0:114 offset1:115
	s_waitcnt lgkmcnt(0)
	v_mul_f64 v[9:10], v[7:8], v[3:4]
	v_mul_f64 v[3:4], v[5:6], v[3:4]
	v_fma_f64 v[9:10], v[5:6], v[1:2], -v[9:10]
	v_fma_f64 v[1:2], v[7:8], v[1:2], v[3:4]
	buffer_load_dword v3, off, s[0:3], 0 offset:912
	buffer_load_dword v4, off, s[0:3], 0 offset:916
	;; [unrolled: 1-line block ×4, first 2 shown]
	s_waitcnt vmcnt(2)
	v_add_f64 v[3:4], v[3:4], -v[9:10]
	s_waitcnt vmcnt(0)
	v_add_f64 v[1:2], v[5:6], -v[1:2]
	buffer_store_dword v4, off, s[0:3], 0 offset:916
	buffer_store_dword v3, off, s[0:3], 0 offset:912
	;; [unrolled: 1-line block ×4, first 2 shown]
	ds_read2_b64 v[1:4], v12 offset0:116 offset1:117
	buffer_load_dword v5, off, s[0:3], 0 offset:624
	buffer_load_dword v6, off, s[0:3], 0 offset:628
	;; [unrolled: 1-line block ×4, first 2 shown]
	s_waitcnt vmcnt(0) lgkmcnt(0)
	v_mul_f64 v[9:10], v[3:4], v[7:8]
	v_fma_f64 v[18:19], v[1:2], v[5:6], -v[9:10]
	v_mul_f64 v[1:2], v[1:2], v[7:8]
	v_fma_f64 v[1:2], v[3:4], v[5:6], v[1:2]
	buffer_load_dword v4, off, s[0:3], 0 offset:932
	buffer_load_dword v3, off, s[0:3], 0 offset:928
	buffer_load_dword v10, off, s[0:3], 0 offset:940
	buffer_load_dword v9, off, s[0:3], 0 offset:936
	s_waitcnt vmcnt(2)
	v_add_f64 v[3:4], v[3:4], -v[18:19]
	s_waitcnt vmcnt(0)
	v_add_f64 v[1:2], v[9:10], -v[1:2]
	buffer_store_dword v4, off, s[0:3], 0 offset:932
	buffer_store_dword v3, off, s[0:3], 0 offset:928
	buffer_store_dword v2, off, s[0:3], 0 offset:940
	buffer_store_dword v1, off, s[0:3], 0 offset:936
	ds_read2_b64 v[1:4], v12 offset0:118 offset1:119
	s_waitcnt lgkmcnt(0)
	v_mul_f64 v[9:10], v[3:4], v[7:8]
	v_fma_f64 v[9:10], v[1:2], v[5:6], -v[9:10]
	v_mul_f64 v[1:2], v[1:2], v[7:8]
	v_fma_f64 v[1:2], v[3:4], v[5:6], v[1:2]
	buffer_load_dword v3, off, s[0:3], 0 offset:944
	buffer_load_dword v4, off, s[0:3], 0 offset:948
	buffer_load_dword v18, off, s[0:3], 0 offset:952
	buffer_load_dword v19, off, s[0:3], 0 offset:956
	s_waitcnt vmcnt(2)
	v_add_f64 v[3:4], v[3:4], -v[9:10]
	s_waitcnt vmcnt(0)
	v_add_f64 v[1:2], v[18:19], -v[1:2]
	buffer_store_dword v4, off, s[0:3], 0 offset:948
	buffer_store_dword v3, off, s[0:3], 0 offset:944
	buffer_store_dword v2, off, s[0:3], 0 offset:956
	buffer_store_dword v1, off, s[0:3], 0 offset:952
	ds_read2_b64 v[1:4], v12 offset0:120 offset1:121
	s_waitcnt lgkmcnt(0)
	;; [unrolled: 18-line block ×5, first 2 shown]
	v_mul_f64 v[1:2], v[39:40], v[7:8]
	v_fma_f64 v[3:4], v[37:38], v[5:6], -v[1:2]
	v_mul_f64 v[1:2], v[37:38], v[7:8]
	v_fma_f64 v[1:2], v[39:40], v[5:6], v[1:2]
	buffer_load_dword v5, off, s[0:3], 0 offset:1008
	buffer_load_dword v6, off, s[0:3], 0 offset:1012
	;; [unrolled: 1-line block ×4, first 2 shown]
	s_waitcnt vmcnt(2)
	v_add_f64 v[3:4], v[5:6], -v[3:4]
	s_waitcnt vmcnt(0)
	v_add_f64 v[1:2], v[7:8], -v[1:2]
	buffer_store_dword v4, off, s[0:3], 0 offset:1012
	buffer_store_dword v3, off, s[0:3], 0 offset:1008
	;; [unrolled: 1-line block ×4, first 2 shown]
.LBB127_479:
	s_or_b64 exec, exec, s[6:7]
	v_cmp_eq_u32_e32 vcc, 40, v0
	s_waitcnt vmcnt(0) lgkmcnt(0)
	s_barrier
	s_and_saveexec_b64 s[8:9], vcc
	s_cbranch_execz .LBB127_486
; %bb.480:
	v_mov_b32_e32 v4, s39
	buffer_load_dword v1, v4, s[0:3], 0 offen
	buffer_load_dword v2, v4, s[0:3], 0 offen offset:4
	buffer_load_dword v3, v4, s[0:3], 0 offen offset:8
	s_nop 0
	buffer_load_dword v4, v4, s[0:3], 0 offen offset:12
	s_waitcnt vmcnt(0)
	ds_write2_b64 v11, v[1:2], v[3:4] offset1:1
	v_mov_b32_e32 v4, s38
	buffer_load_dword v1, v4, s[0:3], 0 offen
	buffer_load_dword v2, v4, s[0:3], 0 offen offset:4
	buffer_load_dword v3, v4, s[0:3], 0 offen offset:8
	s_nop 0
	buffer_load_dword v4, v4, s[0:3], 0 offen offset:12
	s_waitcnt vmcnt(0)
	ds_write2_b64 v12, v[1:2], v[3:4] offset0:82 offset1:83
	v_mov_b32_e32 v4, s37
	buffer_load_dword v1, v4, s[0:3], 0 offen
	buffer_load_dword v2, v4, s[0:3], 0 offen offset:4
	buffer_load_dword v3, v4, s[0:3], 0 offen offset:8
	s_nop 0
	buffer_load_dword v4, v4, s[0:3], 0 offen offset:12
	s_waitcnt vmcnt(0)
	ds_write2_b64 v12, v[1:2], v[3:4] offset0:84 offset1:85
	;; [unrolled: 8-line block ×23, first 2 shown]
	ds_read2_b64 v[1:4], v11 offset1:1
	s_waitcnt lgkmcnt(0)
	v_cmp_neq_f64_e32 vcc, 0, v[1:2]
	v_cmp_neq_f64_e64 s[6:7], 0, v[3:4]
	s_or_b64 s[6:7], vcc, s[6:7]
	s_and_b64 exec, exec, s[6:7]
	s_cbranch_execz .LBB127_486
; %bb.481:
	v_cmp_ngt_f64_e64 s[6:7], |v[1:2]|, |v[3:4]|
                                        ; implicit-def: $vgpr5_vgpr6
	s_and_saveexec_b64 s[10:11], s[6:7]
	s_xor_b64 s[6:7], exec, s[10:11]
                                        ; implicit-def: $vgpr7_vgpr8
	s_cbranch_execz .LBB127_483
; %bb.482:
	v_div_scale_f64 v[5:6], s[10:11], v[3:4], v[3:4], v[1:2]
	v_rcp_f64_e32 v[7:8], v[5:6]
	v_fma_f64 v[9:10], -v[5:6], v[7:8], 1.0
	v_fma_f64 v[7:8], v[7:8], v[9:10], v[7:8]
	v_div_scale_f64 v[9:10], vcc, v[1:2], v[3:4], v[1:2]
	v_fma_f64 v[18:19], -v[5:6], v[7:8], 1.0
	v_fma_f64 v[7:8], v[7:8], v[18:19], v[7:8]
	v_mul_f64 v[18:19], v[9:10], v[7:8]
	v_fma_f64 v[5:6], -v[5:6], v[18:19], v[9:10]
	v_div_fmas_f64 v[5:6], v[5:6], v[7:8], v[18:19]
	v_div_fixup_f64 v[5:6], v[5:6], v[3:4], v[1:2]
	v_fma_f64 v[1:2], v[1:2], v[5:6], v[3:4]
	v_div_scale_f64 v[3:4], s[10:11], v[1:2], v[1:2], 1.0
	v_div_scale_f64 v[18:19], vcc, 1.0, v[1:2], 1.0
	v_rcp_f64_e32 v[7:8], v[3:4]
	v_fma_f64 v[9:10], -v[3:4], v[7:8], 1.0
	v_fma_f64 v[7:8], v[7:8], v[9:10], v[7:8]
	v_fma_f64 v[9:10], -v[3:4], v[7:8], 1.0
	v_fma_f64 v[7:8], v[7:8], v[9:10], v[7:8]
	v_mul_f64 v[9:10], v[18:19], v[7:8]
	v_fma_f64 v[3:4], -v[3:4], v[9:10], v[18:19]
	v_div_fmas_f64 v[3:4], v[3:4], v[7:8], v[9:10]
	v_div_fixup_f64 v[7:8], v[3:4], v[1:2], 1.0
                                        ; implicit-def: $vgpr1_vgpr2
	v_mul_f64 v[5:6], v[5:6], v[7:8]
	v_xor_b32_e32 v8, 0x80000000, v8
.LBB127_483:
	s_andn2_saveexec_b64 s[6:7], s[6:7]
	s_cbranch_execz .LBB127_485
; %bb.484:
	v_div_scale_f64 v[5:6], s[10:11], v[1:2], v[1:2], v[3:4]
	v_rcp_f64_e32 v[7:8], v[5:6]
	v_fma_f64 v[9:10], -v[5:6], v[7:8], 1.0
	v_fma_f64 v[7:8], v[7:8], v[9:10], v[7:8]
	v_div_scale_f64 v[9:10], vcc, v[3:4], v[1:2], v[3:4]
	v_fma_f64 v[18:19], -v[5:6], v[7:8], 1.0
	v_fma_f64 v[7:8], v[7:8], v[18:19], v[7:8]
	v_mul_f64 v[18:19], v[9:10], v[7:8]
	v_fma_f64 v[5:6], -v[5:6], v[18:19], v[9:10]
	v_div_fmas_f64 v[5:6], v[5:6], v[7:8], v[18:19]
	v_div_fixup_f64 v[7:8], v[5:6], v[1:2], v[3:4]
	v_fma_f64 v[1:2], v[3:4], v[7:8], v[1:2]
	v_div_scale_f64 v[3:4], s[10:11], v[1:2], v[1:2], 1.0
	v_div_scale_f64 v[18:19], vcc, 1.0, v[1:2], 1.0
	v_rcp_f64_e32 v[5:6], v[3:4]
	v_fma_f64 v[9:10], -v[3:4], v[5:6], 1.0
	v_fma_f64 v[5:6], v[5:6], v[9:10], v[5:6]
	v_fma_f64 v[9:10], -v[3:4], v[5:6], 1.0
	v_fma_f64 v[5:6], v[5:6], v[9:10], v[5:6]
	v_mul_f64 v[9:10], v[18:19], v[5:6]
	v_fma_f64 v[3:4], -v[3:4], v[9:10], v[18:19]
	v_div_fmas_f64 v[3:4], v[3:4], v[5:6], v[9:10]
	v_div_fixup_f64 v[5:6], v[3:4], v[1:2], 1.0
	v_mul_f64 v[7:8], v[7:8], -v[5:6]
.LBB127_485:
	s_or_b64 exec, exec, s[6:7]
	ds_write2_b64 v11, v[5:6], v[7:8] offset1:1
.LBB127_486:
	s_or_b64 exec, exec, s[8:9]
	s_waitcnt lgkmcnt(0)
	s_barrier
	ds_read2_b64 v[37:40], v11 offset1:1
	v_cmp_lt_u32_e32 vcc, 40, v0
	s_and_saveexec_b64 s[6:7], vcc
	s_cbranch_execz .LBB127_488
; %bb.487:
	buffer_load_dword v3, off, s[0:3], 0 offset:640
	buffer_load_dword v4, off, s[0:3], 0 offset:644
	buffer_load_dword v5, off, s[0:3], 0 offset:648
	buffer_load_dword v6, off, s[0:3], 0 offset:652
	buffer_load_dword v9, off, s[0:3], 0 offset:656
	buffer_load_dword v10, off, s[0:3], 0 offset:660
	buffer_load_dword v18, off, s[0:3], 0 offset:664
	buffer_load_dword v19, off, s[0:3], 0 offset:668
	buffer_load_dword v41, off, s[0:3], 0 offset:672
	buffer_load_dword v42, off, s[0:3], 0 offset:676
	buffer_load_dword v43, off, s[0:3], 0 offset:680
	buffer_load_dword v44, off, s[0:3], 0 offset:684
	buffer_load_dword v45, off, s[0:3], 0 offset:688
	buffer_load_dword v46, off, s[0:3], 0 offset:692
	buffer_load_dword v47, off, s[0:3], 0 offset:696
	buffer_load_dword v48, off, s[0:3], 0 offset:700
	s_waitcnt vmcnt(12) lgkmcnt(0)
	v_mul_f64 v[1:2], v[39:40], v[5:6]
	v_mul_f64 v[5:6], v[37:38], v[5:6]
	v_fma_f64 v[1:2], v[37:38], v[3:4], -v[1:2]
	v_fma_f64 v[3:4], v[39:40], v[3:4], v[5:6]
	buffer_store_dword v1, off, s[0:3], 0 offset:640
	buffer_store_dword v2, off, s[0:3], 0 offset:644
	buffer_store_dword v3, off, s[0:3], 0 offset:648
	buffer_store_dword v4, off, s[0:3], 0 offset:652
	ds_read2_b64 v[5:8], v12 offset0:82 offset1:83
	s_waitcnt lgkmcnt(0)
	v_mul_f64 v[49:50], v[7:8], v[3:4]
	v_fma_f64 v[49:50], v[5:6], v[1:2], -v[49:50]
	v_mul_f64 v[5:6], v[5:6], v[3:4]
	v_fma_f64 v[5:6], v[7:8], v[1:2], v[5:6]
	s_waitcnt vmcnt(14)
	v_add_f64 v[7:8], v[9:10], -v[49:50]
	s_waitcnt vmcnt(12)
	v_add_f64 v[5:6], v[18:19], -v[5:6]
	buffer_store_dword v7, off, s[0:3], 0 offset:656
	buffer_store_dword v8, off, s[0:3], 0 offset:660
	buffer_store_dword v5, off, s[0:3], 0 offset:664
	buffer_store_dword v6, off, s[0:3], 0 offset:668
	ds_read2_b64 v[5:8], v12 offset0:84 offset1:85
	s_waitcnt lgkmcnt(0)
	v_mul_f64 v[9:10], v[7:8], v[3:4]
	v_fma_f64 v[9:10], v[5:6], v[1:2], -v[9:10]
	v_mul_f64 v[5:6], v[5:6], v[3:4]
	v_fma_f64 v[5:6], v[7:8], v[1:2], v[5:6]
	s_waitcnt vmcnt(14)
	v_add_f64 v[7:8], v[41:42], -v[9:10]
	s_waitcnt vmcnt(12)
	v_add_f64 v[5:6], v[43:44], -v[5:6]
	;; [unrolled: 14-line block ×3, first 2 shown]
	buffer_store_dword v8, off, s[0:3], 0 offset:692
	buffer_store_dword v7, off, s[0:3], 0 offset:688
	;; [unrolled: 1-line block ×4, first 2 shown]
	ds_read2_b64 v[5:8], v12 offset0:88 offset1:89
	s_waitcnt lgkmcnt(0)
	v_mul_f64 v[9:10], v[7:8], v[3:4]
	v_fma_f64 v[9:10], v[5:6], v[1:2], -v[9:10]
	v_mul_f64 v[5:6], v[5:6], v[3:4]
	v_fma_f64 v[5:6], v[7:8], v[1:2], v[5:6]
	buffer_load_dword v7, off, s[0:3], 0 offset:704
	buffer_load_dword v8, off, s[0:3], 0 offset:708
	;; [unrolled: 1-line block ×4, first 2 shown]
	s_waitcnt vmcnt(2)
	v_add_f64 v[7:8], v[7:8], -v[9:10]
	s_waitcnt vmcnt(0)
	v_add_f64 v[5:6], v[18:19], -v[5:6]
	buffer_store_dword v8, off, s[0:3], 0 offset:708
	buffer_store_dword v7, off, s[0:3], 0 offset:704
	;; [unrolled: 1-line block ×4, first 2 shown]
	ds_read2_b64 v[5:8], v12 offset0:90 offset1:91
	s_waitcnt lgkmcnt(0)
	v_mul_f64 v[9:10], v[7:8], v[3:4]
	v_fma_f64 v[9:10], v[5:6], v[1:2], -v[9:10]
	v_mul_f64 v[5:6], v[5:6], v[3:4]
	v_fma_f64 v[5:6], v[7:8], v[1:2], v[5:6]
	buffer_load_dword v7, off, s[0:3], 0 offset:720
	buffer_load_dword v8, off, s[0:3], 0 offset:724
	;; [unrolled: 1-line block ×4, first 2 shown]
	s_waitcnt vmcnt(2)
	v_add_f64 v[7:8], v[7:8], -v[9:10]
	s_waitcnt vmcnt(0)
	v_add_f64 v[5:6], v[18:19], -v[5:6]
	buffer_store_dword v8, off, s[0:3], 0 offset:724
	buffer_store_dword v7, off, s[0:3], 0 offset:720
	;; [unrolled: 1-line block ×4, first 2 shown]
	ds_read2_b64 v[5:8], v12 offset0:92 offset1:93
	s_waitcnt lgkmcnt(0)
	v_mul_f64 v[9:10], v[7:8], v[3:4]
	v_mul_f64 v[3:4], v[5:6], v[3:4]
	v_fma_f64 v[9:10], v[5:6], v[1:2], -v[9:10]
	v_fma_f64 v[1:2], v[7:8], v[1:2], v[3:4]
	buffer_load_dword v3, off, s[0:3], 0 offset:736
	buffer_load_dword v4, off, s[0:3], 0 offset:740
	;; [unrolled: 1-line block ×4, first 2 shown]
	s_waitcnt vmcnt(2)
	v_add_f64 v[3:4], v[3:4], -v[9:10]
	s_waitcnt vmcnt(0)
	v_add_f64 v[1:2], v[5:6], -v[1:2]
	buffer_store_dword v4, off, s[0:3], 0 offset:740
	buffer_store_dword v3, off, s[0:3], 0 offset:736
	;; [unrolled: 1-line block ×4, first 2 shown]
	ds_read2_b64 v[5:8], v12 offset0:94 offset1:95
	buffer_load_dword v1, off, s[0:3], 0 offset:640
	buffer_load_dword v2, off, s[0:3], 0 offset:644
	;; [unrolled: 1-line block ×4, first 2 shown]
	s_waitcnt vmcnt(0) lgkmcnt(0)
	v_mul_f64 v[9:10], v[7:8], v[3:4]
	v_fma_f64 v[9:10], v[5:6], v[1:2], -v[9:10]
	v_mul_f64 v[5:6], v[5:6], v[3:4]
	v_fma_f64 v[5:6], v[7:8], v[1:2], v[5:6]
	buffer_load_dword v8, off, s[0:3], 0 offset:756
	buffer_load_dword v7, off, s[0:3], 0 offset:752
	s_waitcnt vmcnt(0)
	v_add_f64 v[7:8], v[7:8], -v[9:10]
	buffer_load_dword v10, off, s[0:3], 0 offset:764
	buffer_load_dword v9, off, s[0:3], 0 offset:760
	s_waitcnt vmcnt(0)
	v_add_f64 v[5:6], v[9:10], -v[5:6]
	buffer_store_dword v8, off, s[0:3], 0 offset:756
	buffer_store_dword v7, off, s[0:3], 0 offset:752
	buffer_store_dword v6, off, s[0:3], 0 offset:764
	buffer_store_dword v5, off, s[0:3], 0 offset:760
	ds_read2_b64 v[5:8], v12 offset0:96 offset1:97
	s_waitcnt lgkmcnt(0)
	v_mul_f64 v[9:10], v[7:8], v[3:4]
	v_fma_f64 v[9:10], v[5:6], v[1:2], -v[9:10]
	v_mul_f64 v[5:6], v[5:6], v[3:4]
	v_fma_f64 v[5:6], v[7:8], v[1:2], v[5:6]
	buffer_load_dword v7, off, s[0:3], 0 offset:768
	buffer_load_dword v8, off, s[0:3], 0 offset:772
	buffer_load_dword v18, off, s[0:3], 0 offset:776
	buffer_load_dword v19, off, s[0:3], 0 offset:780
	s_waitcnt vmcnt(2)
	v_add_f64 v[7:8], v[7:8], -v[9:10]
	s_waitcnt vmcnt(0)
	v_add_f64 v[5:6], v[18:19], -v[5:6]
	buffer_store_dword v8, off, s[0:3], 0 offset:772
	buffer_store_dword v7, off, s[0:3], 0 offset:768
	buffer_store_dword v6, off, s[0:3], 0 offset:780
	buffer_store_dword v5, off, s[0:3], 0 offset:776
	ds_read2_b64 v[5:8], v12 offset0:98 offset1:99
	s_waitcnt lgkmcnt(0)
	v_mul_f64 v[9:10], v[7:8], v[3:4]
	v_fma_f64 v[9:10], v[5:6], v[1:2], -v[9:10]
	v_mul_f64 v[5:6], v[5:6], v[3:4]
	v_fma_f64 v[5:6], v[7:8], v[1:2], v[5:6]
	buffer_load_dword v7, off, s[0:3], 0 offset:784
	buffer_load_dword v8, off, s[0:3], 0 offset:788
	buffer_load_dword v18, off, s[0:3], 0 offset:792
	buffer_load_dword v19, off, s[0:3], 0 offset:796
	s_waitcnt vmcnt(2)
	v_add_f64 v[7:8], v[7:8], -v[9:10]
	;; [unrolled: 18-line block ×4, first 2 shown]
	s_waitcnt vmcnt(0)
	v_add_f64 v[5:6], v[18:19], -v[5:6]
	buffer_store_dword v8, off, s[0:3], 0 offset:820
	buffer_store_dword v7, off, s[0:3], 0 offset:816
	;; [unrolled: 1-line block ×4, first 2 shown]
	ds_read2_b64 v[5:8], v12 offset0:104 offset1:105
	s_waitcnt lgkmcnt(0)
	v_mul_f64 v[9:10], v[7:8], v[3:4]
	v_mul_f64 v[3:4], v[5:6], v[3:4]
	v_fma_f64 v[9:10], v[5:6], v[1:2], -v[9:10]
	v_fma_f64 v[1:2], v[7:8], v[1:2], v[3:4]
	buffer_load_dword v3, off, s[0:3], 0 offset:832
	buffer_load_dword v4, off, s[0:3], 0 offset:836
	buffer_load_dword v5, off, s[0:3], 0 offset:840
	buffer_load_dword v6, off, s[0:3], 0 offset:844
	s_waitcnt vmcnt(2)
	v_add_f64 v[3:4], v[3:4], -v[9:10]
	s_waitcnt vmcnt(0)
	v_add_f64 v[1:2], v[5:6], -v[1:2]
	buffer_store_dword v4, off, s[0:3], 0 offset:836
	buffer_store_dword v3, off, s[0:3], 0 offset:832
	;; [unrolled: 1-line block ×4, first 2 shown]
	ds_read2_b64 v[5:8], v12 offset0:106 offset1:107
	buffer_load_dword v1, off, s[0:3], 0 offset:640
	buffer_load_dword v2, off, s[0:3], 0 offset:644
	;; [unrolled: 1-line block ×4, first 2 shown]
	s_waitcnt vmcnt(0) lgkmcnt(0)
	v_mul_f64 v[9:10], v[7:8], v[3:4]
	v_fma_f64 v[9:10], v[5:6], v[1:2], -v[9:10]
	v_mul_f64 v[5:6], v[5:6], v[3:4]
	v_fma_f64 v[5:6], v[7:8], v[1:2], v[5:6]
	buffer_load_dword v8, off, s[0:3], 0 offset:852
	buffer_load_dword v7, off, s[0:3], 0 offset:848
	s_waitcnt vmcnt(0)
	v_add_f64 v[7:8], v[7:8], -v[9:10]
	buffer_load_dword v10, off, s[0:3], 0 offset:860
	buffer_load_dword v9, off, s[0:3], 0 offset:856
	s_waitcnt vmcnt(0)
	v_add_f64 v[5:6], v[9:10], -v[5:6]
	buffer_store_dword v8, off, s[0:3], 0 offset:852
	buffer_store_dword v7, off, s[0:3], 0 offset:848
	buffer_store_dword v6, off, s[0:3], 0 offset:860
	buffer_store_dword v5, off, s[0:3], 0 offset:856
	ds_read2_b64 v[5:8], v12 offset0:108 offset1:109
	s_waitcnt lgkmcnt(0)
	v_mul_f64 v[9:10], v[7:8], v[3:4]
	v_fma_f64 v[9:10], v[5:6], v[1:2], -v[9:10]
	v_mul_f64 v[5:6], v[5:6], v[3:4]
	v_fma_f64 v[5:6], v[7:8], v[1:2], v[5:6]
	buffer_load_dword v7, off, s[0:3], 0 offset:864
	buffer_load_dword v8, off, s[0:3], 0 offset:868
	buffer_load_dword v18, off, s[0:3], 0 offset:872
	buffer_load_dword v19, off, s[0:3], 0 offset:876
	s_waitcnt vmcnt(2)
	v_add_f64 v[7:8], v[7:8], -v[9:10]
	s_waitcnt vmcnt(0)
	v_add_f64 v[5:6], v[18:19], -v[5:6]
	buffer_store_dword v8, off, s[0:3], 0 offset:868
	buffer_store_dword v7, off, s[0:3], 0 offset:864
	buffer_store_dword v6, off, s[0:3], 0 offset:876
	buffer_store_dword v5, off, s[0:3], 0 offset:872
	ds_read2_b64 v[5:8], v12 offset0:110 offset1:111
	s_waitcnt lgkmcnt(0)
	v_mul_f64 v[9:10], v[7:8], v[3:4]
	v_fma_f64 v[9:10], v[5:6], v[1:2], -v[9:10]
	v_mul_f64 v[5:6], v[5:6], v[3:4]
	v_fma_f64 v[5:6], v[7:8], v[1:2], v[5:6]
	buffer_load_dword v7, off, s[0:3], 0 offset:880
	buffer_load_dword v8, off, s[0:3], 0 offset:884
	buffer_load_dword v18, off, s[0:3], 0 offset:888
	buffer_load_dword v19, off, s[0:3], 0 offset:892
	s_waitcnt vmcnt(2)
	v_add_f64 v[7:8], v[7:8], -v[9:10]
	;; [unrolled: 18-line block ×4, first 2 shown]
	s_waitcnt vmcnt(0)
	v_add_f64 v[5:6], v[18:19], -v[5:6]
	buffer_store_dword v8, off, s[0:3], 0 offset:916
	buffer_store_dword v7, off, s[0:3], 0 offset:912
	;; [unrolled: 1-line block ×4, first 2 shown]
	ds_read2_b64 v[5:8], v12 offset0:116 offset1:117
	s_waitcnt lgkmcnt(0)
	v_mul_f64 v[9:10], v[7:8], v[3:4]
	v_mul_f64 v[3:4], v[5:6], v[3:4]
	v_fma_f64 v[9:10], v[5:6], v[1:2], -v[9:10]
	v_fma_f64 v[1:2], v[7:8], v[1:2], v[3:4]
	buffer_load_dword v3, off, s[0:3], 0 offset:928
	buffer_load_dword v4, off, s[0:3], 0 offset:932
	;; [unrolled: 1-line block ×4, first 2 shown]
	s_waitcnt vmcnt(2)
	v_add_f64 v[3:4], v[3:4], -v[9:10]
	s_waitcnt vmcnt(0)
	v_add_f64 v[1:2], v[5:6], -v[1:2]
	buffer_store_dword v4, off, s[0:3], 0 offset:932
	buffer_store_dword v3, off, s[0:3], 0 offset:928
	;; [unrolled: 1-line block ×4, first 2 shown]
	ds_read2_b64 v[1:4], v12 offset0:118 offset1:119
	buffer_load_dword v5, off, s[0:3], 0 offset:640
	buffer_load_dword v6, off, s[0:3], 0 offset:644
	;; [unrolled: 1-line block ×4, first 2 shown]
	s_waitcnt vmcnt(0) lgkmcnt(0)
	v_mul_f64 v[9:10], v[3:4], v[7:8]
	v_fma_f64 v[18:19], v[1:2], v[5:6], -v[9:10]
	v_mul_f64 v[1:2], v[1:2], v[7:8]
	v_fma_f64 v[1:2], v[3:4], v[5:6], v[1:2]
	buffer_load_dword v4, off, s[0:3], 0 offset:948
	buffer_load_dword v3, off, s[0:3], 0 offset:944
	buffer_load_dword v10, off, s[0:3], 0 offset:956
	buffer_load_dword v9, off, s[0:3], 0 offset:952
	s_waitcnt vmcnt(2)
	v_add_f64 v[3:4], v[3:4], -v[18:19]
	s_waitcnt vmcnt(0)
	v_add_f64 v[1:2], v[9:10], -v[1:2]
	buffer_store_dword v4, off, s[0:3], 0 offset:948
	buffer_store_dword v3, off, s[0:3], 0 offset:944
	buffer_store_dword v2, off, s[0:3], 0 offset:956
	buffer_store_dword v1, off, s[0:3], 0 offset:952
	ds_read2_b64 v[1:4], v12 offset0:120 offset1:121
	s_waitcnt lgkmcnt(0)
	v_mul_f64 v[9:10], v[3:4], v[7:8]
	v_fma_f64 v[9:10], v[1:2], v[5:6], -v[9:10]
	v_mul_f64 v[1:2], v[1:2], v[7:8]
	v_fma_f64 v[1:2], v[3:4], v[5:6], v[1:2]
	buffer_load_dword v3, off, s[0:3], 0 offset:960
	buffer_load_dword v4, off, s[0:3], 0 offset:964
	buffer_load_dword v18, off, s[0:3], 0 offset:968
	buffer_load_dword v19, off, s[0:3], 0 offset:972
	s_waitcnt vmcnt(2)
	v_add_f64 v[3:4], v[3:4], -v[9:10]
	s_waitcnt vmcnt(0)
	v_add_f64 v[1:2], v[18:19], -v[1:2]
	buffer_store_dword v4, off, s[0:3], 0 offset:964
	buffer_store_dword v3, off, s[0:3], 0 offset:960
	buffer_store_dword v2, off, s[0:3], 0 offset:972
	buffer_store_dword v1, off, s[0:3], 0 offset:968
	ds_read2_b64 v[1:4], v12 offset0:122 offset1:123
	s_waitcnt lgkmcnt(0)
	;; [unrolled: 18-line block ×4, first 2 shown]
	v_mul_f64 v[1:2], v[43:44], v[7:8]
	v_fma_f64 v[3:4], v[41:42], v[5:6], -v[1:2]
	v_mul_f64 v[1:2], v[41:42], v[7:8]
	v_fma_f64 v[1:2], v[43:44], v[5:6], v[1:2]
	buffer_load_dword v5, off, s[0:3], 0 offset:1008
	buffer_load_dword v6, off, s[0:3], 0 offset:1012
	;; [unrolled: 1-line block ×4, first 2 shown]
	s_waitcnt vmcnt(2)
	v_add_f64 v[3:4], v[5:6], -v[3:4]
	s_waitcnt vmcnt(0)
	v_add_f64 v[1:2], v[7:8], -v[1:2]
	buffer_store_dword v4, off, s[0:3], 0 offset:1012
	buffer_store_dword v3, off, s[0:3], 0 offset:1008
	;; [unrolled: 1-line block ×4, first 2 shown]
.LBB127_488:
	s_or_b64 exec, exec, s[6:7]
	v_cmp_eq_u32_e32 vcc, 41, v0
	s_waitcnt vmcnt(0) lgkmcnt(0)
	s_barrier
	s_and_saveexec_b64 s[8:9], vcc
	s_cbranch_execz .LBB127_495
; %bb.489:
	v_mov_b32_e32 v4, s38
	buffer_load_dword v1, v4, s[0:3], 0 offen
	buffer_load_dword v2, v4, s[0:3], 0 offen offset:4
	buffer_load_dword v3, v4, s[0:3], 0 offen offset:8
	s_nop 0
	buffer_load_dword v4, v4, s[0:3], 0 offen offset:12
	s_waitcnt vmcnt(0)
	ds_write2_b64 v11, v[1:2], v[3:4] offset1:1
	v_mov_b32_e32 v4, s37
	buffer_load_dword v1, v4, s[0:3], 0 offen
	buffer_load_dword v2, v4, s[0:3], 0 offen offset:4
	buffer_load_dword v3, v4, s[0:3], 0 offen offset:8
	s_nop 0
	buffer_load_dword v4, v4, s[0:3], 0 offen offset:12
	s_waitcnt vmcnt(0)
	ds_write2_b64 v12, v[1:2], v[3:4] offset0:84 offset1:85
	v_mov_b32_e32 v4, s36
	buffer_load_dword v1, v4, s[0:3], 0 offen
	buffer_load_dword v2, v4, s[0:3], 0 offen offset:4
	buffer_load_dword v3, v4, s[0:3], 0 offen offset:8
	s_nop 0
	buffer_load_dword v4, v4, s[0:3], 0 offen offset:12
	s_waitcnt vmcnt(0)
	ds_write2_b64 v12, v[1:2], v[3:4] offset0:86 offset1:87
	v_mov_b32_e32 v4, s35
	buffer_load_dword v1, v4, s[0:3], 0 offen
	buffer_load_dword v2, v4, s[0:3], 0 offen offset:4
	buffer_load_dword v3, v4, s[0:3], 0 offen offset:8
	s_nop 0
	buffer_load_dword v4, v4, s[0:3], 0 offen offset:12
	s_waitcnt vmcnt(0)
	ds_write2_b64 v12, v[1:2], v[3:4] offset0:88 offset1:89
	v_mov_b32_e32 v4, s34
	buffer_load_dword v1, v4, s[0:3], 0 offen
	buffer_load_dword v2, v4, s[0:3], 0 offen offset:4
	buffer_load_dword v3, v4, s[0:3], 0 offen offset:8
	s_nop 0
	buffer_load_dword v4, v4, s[0:3], 0 offen offset:12
	s_waitcnt vmcnt(0)
	ds_write2_b64 v12, v[1:2], v[3:4] offset0:90 offset1:91
	v_mov_b32_e32 v4, s31
	buffer_load_dword v1, v4, s[0:3], 0 offen
	buffer_load_dword v2, v4, s[0:3], 0 offen offset:4
	buffer_load_dword v3, v4, s[0:3], 0 offen offset:8
	s_nop 0
	buffer_load_dword v4, v4, s[0:3], 0 offen offset:12
	s_waitcnt vmcnt(0)
	ds_write2_b64 v12, v[1:2], v[3:4] offset0:92 offset1:93
	v_mov_b32_e32 v4, s30
	buffer_load_dword v1, v4, s[0:3], 0 offen
	buffer_load_dword v2, v4, s[0:3], 0 offen offset:4
	buffer_load_dword v3, v4, s[0:3], 0 offen offset:8
	s_nop 0
	buffer_load_dword v4, v4, s[0:3], 0 offen offset:12
	s_waitcnt vmcnt(0)
	ds_write2_b64 v12, v[1:2], v[3:4] offset0:94 offset1:95
	v_mov_b32_e32 v4, s29
	buffer_load_dword v1, v4, s[0:3], 0 offen
	buffer_load_dword v2, v4, s[0:3], 0 offen offset:4
	buffer_load_dword v3, v4, s[0:3], 0 offen offset:8
	s_nop 0
	buffer_load_dword v4, v4, s[0:3], 0 offen offset:12
	s_waitcnt vmcnt(0)
	ds_write2_b64 v12, v[1:2], v[3:4] offset0:96 offset1:97
	v_mov_b32_e32 v4, s28
	buffer_load_dword v1, v4, s[0:3], 0 offen
	buffer_load_dword v2, v4, s[0:3], 0 offen offset:4
	buffer_load_dword v3, v4, s[0:3], 0 offen offset:8
	s_nop 0
	buffer_load_dword v4, v4, s[0:3], 0 offen offset:12
	s_waitcnt vmcnt(0)
	ds_write2_b64 v12, v[1:2], v[3:4] offset0:98 offset1:99
	v_mov_b32_e32 v4, s27
	buffer_load_dword v1, v4, s[0:3], 0 offen
	buffer_load_dword v2, v4, s[0:3], 0 offen offset:4
	buffer_load_dword v3, v4, s[0:3], 0 offen offset:8
	s_nop 0
	buffer_load_dword v4, v4, s[0:3], 0 offen offset:12
	s_waitcnt vmcnt(0)
	ds_write2_b64 v12, v[1:2], v[3:4] offset0:100 offset1:101
	v_mov_b32_e32 v4, s26
	buffer_load_dword v1, v4, s[0:3], 0 offen
	buffer_load_dword v2, v4, s[0:3], 0 offen offset:4
	buffer_load_dword v3, v4, s[0:3], 0 offen offset:8
	s_nop 0
	buffer_load_dword v4, v4, s[0:3], 0 offen offset:12
	s_waitcnt vmcnt(0)
	ds_write2_b64 v12, v[1:2], v[3:4] offset0:102 offset1:103
	v_mov_b32_e32 v4, s25
	buffer_load_dword v1, v4, s[0:3], 0 offen
	buffer_load_dword v2, v4, s[0:3], 0 offen offset:4
	buffer_load_dword v3, v4, s[0:3], 0 offen offset:8
	s_nop 0
	buffer_load_dword v4, v4, s[0:3], 0 offen offset:12
	s_waitcnt vmcnt(0)
	ds_write2_b64 v12, v[1:2], v[3:4] offset0:104 offset1:105
	v_mov_b32_e32 v4, s24
	buffer_load_dword v1, v4, s[0:3], 0 offen
	buffer_load_dword v2, v4, s[0:3], 0 offen offset:4
	buffer_load_dword v3, v4, s[0:3], 0 offen offset:8
	s_nop 0
	buffer_load_dword v4, v4, s[0:3], 0 offen offset:12
	s_waitcnt vmcnt(0)
	ds_write2_b64 v12, v[1:2], v[3:4] offset0:106 offset1:107
	v_mov_b32_e32 v4, s23
	buffer_load_dword v1, v4, s[0:3], 0 offen
	buffer_load_dword v2, v4, s[0:3], 0 offen offset:4
	buffer_load_dword v3, v4, s[0:3], 0 offen offset:8
	s_nop 0
	buffer_load_dword v4, v4, s[0:3], 0 offen offset:12
	s_waitcnt vmcnt(0)
	ds_write2_b64 v12, v[1:2], v[3:4] offset0:108 offset1:109
	v_mov_b32_e32 v4, s22
	buffer_load_dword v1, v4, s[0:3], 0 offen
	buffer_load_dword v2, v4, s[0:3], 0 offen offset:4
	buffer_load_dword v3, v4, s[0:3], 0 offen offset:8
	s_nop 0
	buffer_load_dword v4, v4, s[0:3], 0 offen offset:12
	s_waitcnt vmcnt(0)
	ds_write2_b64 v12, v[1:2], v[3:4] offset0:110 offset1:111
	v_mov_b32_e32 v4, s21
	buffer_load_dword v1, v4, s[0:3], 0 offen
	buffer_load_dword v2, v4, s[0:3], 0 offen offset:4
	buffer_load_dword v3, v4, s[0:3], 0 offen offset:8
	s_nop 0
	buffer_load_dword v4, v4, s[0:3], 0 offen offset:12
	s_waitcnt vmcnt(0)
	ds_write2_b64 v12, v[1:2], v[3:4] offset0:112 offset1:113
	v_mov_b32_e32 v4, s20
	buffer_load_dword v1, v4, s[0:3], 0 offen
	buffer_load_dword v2, v4, s[0:3], 0 offen offset:4
	buffer_load_dword v3, v4, s[0:3], 0 offen offset:8
	s_nop 0
	buffer_load_dword v4, v4, s[0:3], 0 offen offset:12
	s_waitcnt vmcnt(0)
	ds_write2_b64 v12, v[1:2], v[3:4] offset0:114 offset1:115
	v_mov_b32_e32 v4, s19
	buffer_load_dword v1, v4, s[0:3], 0 offen
	buffer_load_dword v2, v4, s[0:3], 0 offen offset:4
	buffer_load_dword v3, v4, s[0:3], 0 offen offset:8
	s_nop 0
	buffer_load_dword v4, v4, s[0:3], 0 offen offset:12
	s_waitcnt vmcnt(0)
	ds_write2_b64 v12, v[1:2], v[3:4] offset0:116 offset1:117
	v_mov_b32_e32 v4, s18
	buffer_load_dword v1, v4, s[0:3], 0 offen
	buffer_load_dword v2, v4, s[0:3], 0 offen offset:4
	buffer_load_dword v3, v4, s[0:3], 0 offen offset:8
	s_nop 0
	buffer_load_dword v4, v4, s[0:3], 0 offen offset:12
	s_waitcnt vmcnt(0)
	ds_write2_b64 v12, v[1:2], v[3:4] offset0:118 offset1:119
	v_mov_b32_e32 v4, s17
	buffer_load_dword v1, v4, s[0:3], 0 offen
	buffer_load_dword v2, v4, s[0:3], 0 offen offset:4
	buffer_load_dword v3, v4, s[0:3], 0 offen offset:8
	s_nop 0
	buffer_load_dword v4, v4, s[0:3], 0 offen offset:12
	s_waitcnt vmcnt(0)
	ds_write2_b64 v12, v[1:2], v[3:4] offset0:120 offset1:121
	v_mov_b32_e32 v4, s14
	buffer_load_dword v1, v4, s[0:3], 0 offen
	buffer_load_dword v2, v4, s[0:3], 0 offen offset:4
	buffer_load_dword v3, v4, s[0:3], 0 offen offset:8
	s_nop 0
	buffer_load_dword v4, v4, s[0:3], 0 offen offset:12
	s_waitcnt vmcnt(0)
	ds_write2_b64 v12, v[1:2], v[3:4] offset0:122 offset1:123
	v_mov_b32_e32 v4, s16
	buffer_load_dword v1, v4, s[0:3], 0 offen
	buffer_load_dword v2, v4, s[0:3], 0 offen offset:4
	buffer_load_dword v3, v4, s[0:3], 0 offen offset:8
	s_nop 0
	buffer_load_dword v4, v4, s[0:3], 0 offen offset:12
	s_waitcnt vmcnt(0)
	ds_write2_b64 v12, v[1:2], v[3:4] offset0:124 offset1:125
	v_mov_b32_e32 v4, s33
	buffer_load_dword v1, v4, s[0:3], 0 offen
	buffer_load_dword v2, v4, s[0:3], 0 offen offset:4
	buffer_load_dword v3, v4, s[0:3], 0 offen offset:8
	s_nop 0
	buffer_load_dword v4, v4, s[0:3], 0 offen offset:12
	s_waitcnt vmcnt(0)
	ds_write2_b64 v12, v[1:2], v[3:4] offset0:126 offset1:127
	ds_read2_b64 v[1:4], v11 offset1:1
	s_waitcnt lgkmcnt(0)
	v_cmp_neq_f64_e32 vcc, 0, v[1:2]
	v_cmp_neq_f64_e64 s[6:7], 0, v[3:4]
	s_or_b64 s[6:7], vcc, s[6:7]
	s_and_b64 exec, exec, s[6:7]
	s_cbranch_execz .LBB127_495
; %bb.490:
	v_cmp_ngt_f64_e64 s[6:7], |v[1:2]|, |v[3:4]|
                                        ; implicit-def: $vgpr5_vgpr6
	s_and_saveexec_b64 s[10:11], s[6:7]
	s_xor_b64 s[6:7], exec, s[10:11]
                                        ; implicit-def: $vgpr7_vgpr8
	s_cbranch_execz .LBB127_492
; %bb.491:
	v_div_scale_f64 v[5:6], s[10:11], v[3:4], v[3:4], v[1:2]
	v_rcp_f64_e32 v[7:8], v[5:6]
	v_fma_f64 v[9:10], -v[5:6], v[7:8], 1.0
	v_fma_f64 v[7:8], v[7:8], v[9:10], v[7:8]
	v_div_scale_f64 v[9:10], vcc, v[1:2], v[3:4], v[1:2]
	v_fma_f64 v[18:19], -v[5:6], v[7:8], 1.0
	v_fma_f64 v[7:8], v[7:8], v[18:19], v[7:8]
	v_mul_f64 v[18:19], v[9:10], v[7:8]
	v_fma_f64 v[5:6], -v[5:6], v[18:19], v[9:10]
	v_div_fmas_f64 v[5:6], v[5:6], v[7:8], v[18:19]
	v_div_fixup_f64 v[5:6], v[5:6], v[3:4], v[1:2]
	v_fma_f64 v[1:2], v[1:2], v[5:6], v[3:4]
	v_div_scale_f64 v[3:4], s[10:11], v[1:2], v[1:2], 1.0
	v_div_scale_f64 v[18:19], vcc, 1.0, v[1:2], 1.0
	v_rcp_f64_e32 v[7:8], v[3:4]
	v_fma_f64 v[9:10], -v[3:4], v[7:8], 1.0
	v_fma_f64 v[7:8], v[7:8], v[9:10], v[7:8]
	v_fma_f64 v[9:10], -v[3:4], v[7:8], 1.0
	v_fma_f64 v[7:8], v[7:8], v[9:10], v[7:8]
	v_mul_f64 v[9:10], v[18:19], v[7:8]
	v_fma_f64 v[3:4], -v[3:4], v[9:10], v[18:19]
	v_div_fmas_f64 v[3:4], v[3:4], v[7:8], v[9:10]
	v_div_fixup_f64 v[7:8], v[3:4], v[1:2], 1.0
                                        ; implicit-def: $vgpr1_vgpr2
	v_mul_f64 v[5:6], v[5:6], v[7:8]
	v_xor_b32_e32 v8, 0x80000000, v8
.LBB127_492:
	s_andn2_saveexec_b64 s[6:7], s[6:7]
	s_cbranch_execz .LBB127_494
; %bb.493:
	v_div_scale_f64 v[5:6], s[10:11], v[1:2], v[1:2], v[3:4]
	v_rcp_f64_e32 v[7:8], v[5:6]
	v_fma_f64 v[9:10], -v[5:6], v[7:8], 1.0
	v_fma_f64 v[7:8], v[7:8], v[9:10], v[7:8]
	v_div_scale_f64 v[9:10], vcc, v[3:4], v[1:2], v[3:4]
	v_fma_f64 v[18:19], -v[5:6], v[7:8], 1.0
	v_fma_f64 v[7:8], v[7:8], v[18:19], v[7:8]
	v_mul_f64 v[18:19], v[9:10], v[7:8]
	v_fma_f64 v[5:6], -v[5:6], v[18:19], v[9:10]
	v_div_fmas_f64 v[5:6], v[5:6], v[7:8], v[18:19]
	v_div_fixup_f64 v[7:8], v[5:6], v[1:2], v[3:4]
	v_fma_f64 v[1:2], v[3:4], v[7:8], v[1:2]
	v_div_scale_f64 v[3:4], s[10:11], v[1:2], v[1:2], 1.0
	v_div_scale_f64 v[18:19], vcc, 1.0, v[1:2], 1.0
	v_rcp_f64_e32 v[5:6], v[3:4]
	v_fma_f64 v[9:10], -v[3:4], v[5:6], 1.0
	v_fma_f64 v[5:6], v[5:6], v[9:10], v[5:6]
	v_fma_f64 v[9:10], -v[3:4], v[5:6], 1.0
	v_fma_f64 v[5:6], v[5:6], v[9:10], v[5:6]
	v_mul_f64 v[9:10], v[18:19], v[5:6]
	v_fma_f64 v[3:4], -v[3:4], v[9:10], v[18:19]
	v_div_fmas_f64 v[3:4], v[3:4], v[5:6], v[9:10]
	v_div_fixup_f64 v[5:6], v[3:4], v[1:2], 1.0
	v_mul_f64 v[7:8], v[7:8], -v[5:6]
.LBB127_494:
	s_or_b64 exec, exec, s[6:7]
	ds_write2_b64 v11, v[5:6], v[7:8] offset1:1
.LBB127_495:
	s_or_b64 exec, exec, s[8:9]
	s_waitcnt lgkmcnt(0)
	s_barrier
	ds_read2_b64 v[41:44], v11 offset1:1
	v_cmp_lt_u32_e32 vcc, 41, v0
	s_and_saveexec_b64 s[6:7], vcc
	s_cbranch_execz .LBB127_497
; %bb.496:
	buffer_load_dword v3, off, s[0:3], 0 offset:656
	buffer_load_dword v4, off, s[0:3], 0 offset:660
	;; [unrolled: 1-line block ×16, first 2 shown]
	s_waitcnt vmcnt(12) lgkmcnt(0)
	v_mul_f64 v[1:2], v[43:44], v[5:6]
	v_mul_f64 v[5:6], v[41:42], v[5:6]
	v_fma_f64 v[1:2], v[41:42], v[3:4], -v[1:2]
	v_fma_f64 v[3:4], v[43:44], v[3:4], v[5:6]
	buffer_store_dword v1, off, s[0:3], 0 offset:656
	buffer_store_dword v2, off, s[0:3], 0 offset:660
	buffer_store_dword v3, off, s[0:3], 0 offset:664
	buffer_store_dword v4, off, s[0:3], 0 offset:668
	ds_read2_b64 v[5:8], v12 offset0:84 offset1:85
	s_waitcnt lgkmcnt(0)
	v_mul_f64 v[53:54], v[7:8], v[3:4]
	v_fma_f64 v[53:54], v[5:6], v[1:2], -v[53:54]
	v_mul_f64 v[5:6], v[5:6], v[3:4]
	v_fma_f64 v[5:6], v[7:8], v[1:2], v[5:6]
	s_waitcnt vmcnt(14)
	v_add_f64 v[7:8], v[9:10], -v[53:54]
	s_waitcnt vmcnt(12)
	v_add_f64 v[5:6], v[18:19], -v[5:6]
	buffer_store_dword v7, off, s[0:3], 0 offset:672
	buffer_store_dword v8, off, s[0:3], 0 offset:676
	buffer_store_dword v5, off, s[0:3], 0 offset:680
	buffer_store_dword v6, off, s[0:3], 0 offset:684
	ds_read2_b64 v[5:8], v12 offset0:86 offset1:87
	s_waitcnt lgkmcnt(0)
	v_mul_f64 v[9:10], v[7:8], v[3:4]
	v_fma_f64 v[9:10], v[5:6], v[1:2], -v[9:10]
	v_mul_f64 v[5:6], v[5:6], v[3:4]
	v_fma_f64 v[5:6], v[7:8], v[1:2], v[5:6]
	s_waitcnt vmcnt(14)
	v_add_f64 v[7:8], v[45:46], -v[9:10]
	s_waitcnt vmcnt(12)
	v_add_f64 v[5:6], v[47:48], -v[5:6]
	;; [unrolled: 14-line block ×3, first 2 shown]
	buffer_store_dword v8, off, s[0:3], 0 offset:708
	buffer_store_dword v7, off, s[0:3], 0 offset:704
	;; [unrolled: 1-line block ×4, first 2 shown]
	ds_read2_b64 v[5:8], v12 offset0:90 offset1:91
	s_waitcnt lgkmcnt(0)
	v_mul_f64 v[9:10], v[7:8], v[3:4]
	v_fma_f64 v[9:10], v[5:6], v[1:2], -v[9:10]
	v_mul_f64 v[5:6], v[5:6], v[3:4]
	v_fma_f64 v[5:6], v[7:8], v[1:2], v[5:6]
	buffer_load_dword v7, off, s[0:3], 0 offset:720
	buffer_load_dword v8, off, s[0:3], 0 offset:724
	;; [unrolled: 1-line block ×4, first 2 shown]
	s_waitcnt vmcnt(2)
	v_add_f64 v[7:8], v[7:8], -v[9:10]
	s_waitcnt vmcnt(0)
	v_add_f64 v[5:6], v[18:19], -v[5:6]
	buffer_store_dword v8, off, s[0:3], 0 offset:724
	buffer_store_dword v7, off, s[0:3], 0 offset:720
	;; [unrolled: 1-line block ×4, first 2 shown]
	ds_read2_b64 v[5:8], v12 offset0:92 offset1:93
	s_waitcnt lgkmcnt(0)
	v_mul_f64 v[9:10], v[7:8], v[3:4]
	v_fma_f64 v[9:10], v[5:6], v[1:2], -v[9:10]
	v_mul_f64 v[5:6], v[5:6], v[3:4]
	v_fma_f64 v[5:6], v[7:8], v[1:2], v[5:6]
	buffer_load_dword v7, off, s[0:3], 0 offset:736
	buffer_load_dword v8, off, s[0:3], 0 offset:740
	;; [unrolled: 1-line block ×4, first 2 shown]
	s_waitcnt vmcnt(2)
	v_add_f64 v[7:8], v[7:8], -v[9:10]
	s_waitcnt vmcnt(0)
	v_add_f64 v[5:6], v[18:19], -v[5:6]
	buffer_store_dword v8, off, s[0:3], 0 offset:740
	buffer_store_dword v7, off, s[0:3], 0 offset:736
	;; [unrolled: 1-line block ×4, first 2 shown]
	ds_read2_b64 v[5:8], v12 offset0:94 offset1:95
	s_waitcnt lgkmcnt(0)
	v_mul_f64 v[9:10], v[7:8], v[3:4]
	v_mul_f64 v[3:4], v[5:6], v[3:4]
	v_fma_f64 v[9:10], v[5:6], v[1:2], -v[9:10]
	v_fma_f64 v[1:2], v[7:8], v[1:2], v[3:4]
	buffer_load_dword v3, off, s[0:3], 0 offset:752
	buffer_load_dword v4, off, s[0:3], 0 offset:756
	;; [unrolled: 1-line block ×4, first 2 shown]
	s_waitcnt vmcnt(2)
	v_add_f64 v[3:4], v[3:4], -v[9:10]
	s_waitcnt vmcnt(0)
	v_add_f64 v[1:2], v[5:6], -v[1:2]
	buffer_store_dword v4, off, s[0:3], 0 offset:756
	buffer_store_dword v3, off, s[0:3], 0 offset:752
	;; [unrolled: 1-line block ×4, first 2 shown]
	ds_read2_b64 v[5:8], v12 offset0:96 offset1:97
	buffer_load_dword v1, off, s[0:3], 0 offset:656
	buffer_load_dword v2, off, s[0:3], 0 offset:660
	;; [unrolled: 1-line block ×4, first 2 shown]
	s_waitcnt vmcnt(0) lgkmcnt(0)
	v_mul_f64 v[9:10], v[7:8], v[3:4]
	v_fma_f64 v[9:10], v[5:6], v[1:2], -v[9:10]
	v_mul_f64 v[5:6], v[5:6], v[3:4]
	v_fma_f64 v[5:6], v[7:8], v[1:2], v[5:6]
	buffer_load_dword v8, off, s[0:3], 0 offset:772
	buffer_load_dword v7, off, s[0:3], 0 offset:768
	s_waitcnt vmcnt(0)
	v_add_f64 v[7:8], v[7:8], -v[9:10]
	buffer_load_dword v10, off, s[0:3], 0 offset:780
	buffer_load_dword v9, off, s[0:3], 0 offset:776
	s_waitcnt vmcnt(0)
	v_add_f64 v[5:6], v[9:10], -v[5:6]
	buffer_store_dword v8, off, s[0:3], 0 offset:772
	buffer_store_dword v7, off, s[0:3], 0 offset:768
	buffer_store_dword v6, off, s[0:3], 0 offset:780
	buffer_store_dword v5, off, s[0:3], 0 offset:776
	ds_read2_b64 v[5:8], v12 offset0:98 offset1:99
	s_waitcnt lgkmcnt(0)
	v_mul_f64 v[9:10], v[7:8], v[3:4]
	v_fma_f64 v[9:10], v[5:6], v[1:2], -v[9:10]
	v_mul_f64 v[5:6], v[5:6], v[3:4]
	v_fma_f64 v[5:6], v[7:8], v[1:2], v[5:6]
	buffer_load_dword v7, off, s[0:3], 0 offset:784
	buffer_load_dword v8, off, s[0:3], 0 offset:788
	buffer_load_dword v18, off, s[0:3], 0 offset:792
	buffer_load_dword v19, off, s[0:3], 0 offset:796
	s_waitcnt vmcnt(2)
	v_add_f64 v[7:8], v[7:8], -v[9:10]
	s_waitcnt vmcnt(0)
	v_add_f64 v[5:6], v[18:19], -v[5:6]
	buffer_store_dword v8, off, s[0:3], 0 offset:788
	buffer_store_dword v7, off, s[0:3], 0 offset:784
	buffer_store_dword v6, off, s[0:3], 0 offset:796
	buffer_store_dword v5, off, s[0:3], 0 offset:792
	ds_read2_b64 v[5:8], v12 offset0:100 offset1:101
	s_waitcnt lgkmcnt(0)
	v_mul_f64 v[9:10], v[7:8], v[3:4]
	v_fma_f64 v[9:10], v[5:6], v[1:2], -v[9:10]
	v_mul_f64 v[5:6], v[5:6], v[3:4]
	v_fma_f64 v[5:6], v[7:8], v[1:2], v[5:6]
	buffer_load_dword v7, off, s[0:3], 0 offset:800
	buffer_load_dword v8, off, s[0:3], 0 offset:804
	buffer_load_dword v18, off, s[0:3], 0 offset:808
	buffer_load_dword v19, off, s[0:3], 0 offset:812
	s_waitcnt vmcnt(2)
	v_add_f64 v[7:8], v[7:8], -v[9:10]
	;; [unrolled: 18-line block ×4, first 2 shown]
	s_waitcnt vmcnt(0)
	v_add_f64 v[5:6], v[18:19], -v[5:6]
	buffer_store_dword v8, off, s[0:3], 0 offset:836
	buffer_store_dword v7, off, s[0:3], 0 offset:832
	;; [unrolled: 1-line block ×4, first 2 shown]
	ds_read2_b64 v[5:8], v12 offset0:106 offset1:107
	s_waitcnt lgkmcnt(0)
	v_mul_f64 v[9:10], v[7:8], v[3:4]
	v_mul_f64 v[3:4], v[5:6], v[3:4]
	v_fma_f64 v[9:10], v[5:6], v[1:2], -v[9:10]
	v_fma_f64 v[1:2], v[7:8], v[1:2], v[3:4]
	buffer_load_dword v3, off, s[0:3], 0 offset:848
	buffer_load_dword v4, off, s[0:3], 0 offset:852
	;; [unrolled: 1-line block ×4, first 2 shown]
	s_waitcnt vmcnt(2)
	v_add_f64 v[3:4], v[3:4], -v[9:10]
	s_waitcnt vmcnt(0)
	v_add_f64 v[1:2], v[5:6], -v[1:2]
	buffer_store_dword v4, off, s[0:3], 0 offset:852
	buffer_store_dword v3, off, s[0:3], 0 offset:848
	;; [unrolled: 1-line block ×4, first 2 shown]
	ds_read2_b64 v[5:8], v12 offset0:108 offset1:109
	buffer_load_dword v1, off, s[0:3], 0 offset:656
	buffer_load_dword v2, off, s[0:3], 0 offset:660
	;; [unrolled: 1-line block ×4, first 2 shown]
	s_waitcnt vmcnt(0) lgkmcnt(0)
	v_mul_f64 v[9:10], v[7:8], v[3:4]
	v_fma_f64 v[9:10], v[5:6], v[1:2], -v[9:10]
	v_mul_f64 v[5:6], v[5:6], v[3:4]
	v_fma_f64 v[5:6], v[7:8], v[1:2], v[5:6]
	buffer_load_dword v8, off, s[0:3], 0 offset:868
	buffer_load_dword v7, off, s[0:3], 0 offset:864
	s_waitcnt vmcnt(0)
	v_add_f64 v[7:8], v[7:8], -v[9:10]
	buffer_load_dword v10, off, s[0:3], 0 offset:876
	buffer_load_dword v9, off, s[0:3], 0 offset:872
	s_waitcnt vmcnt(0)
	v_add_f64 v[5:6], v[9:10], -v[5:6]
	buffer_store_dword v8, off, s[0:3], 0 offset:868
	buffer_store_dword v7, off, s[0:3], 0 offset:864
	buffer_store_dword v6, off, s[0:3], 0 offset:876
	buffer_store_dword v5, off, s[0:3], 0 offset:872
	ds_read2_b64 v[5:8], v12 offset0:110 offset1:111
	s_waitcnt lgkmcnt(0)
	v_mul_f64 v[9:10], v[7:8], v[3:4]
	v_fma_f64 v[9:10], v[5:6], v[1:2], -v[9:10]
	v_mul_f64 v[5:6], v[5:6], v[3:4]
	v_fma_f64 v[5:6], v[7:8], v[1:2], v[5:6]
	buffer_load_dword v7, off, s[0:3], 0 offset:880
	buffer_load_dword v8, off, s[0:3], 0 offset:884
	buffer_load_dword v18, off, s[0:3], 0 offset:888
	buffer_load_dword v19, off, s[0:3], 0 offset:892
	s_waitcnt vmcnt(2)
	v_add_f64 v[7:8], v[7:8], -v[9:10]
	s_waitcnt vmcnt(0)
	v_add_f64 v[5:6], v[18:19], -v[5:6]
	buffer_store_dword v8, off, s[0:3], 0 offset:884
	buffer_store_dword v7, off, s[0:3], 0 offset:880
	buffer_store_dword v6, off, s[0:3], 0 offset:892
	buffer_store_dword v5, off, s[0:3], 0 offset:888
	ds_read2_b64 v[5:8], v12 offset0:112 offset1:113
	s_waitcnt lgkmcnt(0)
	v_mul_f64 v[9:10], v[7:8], v[3:4]
	v_fma_f64 v[9:10], v[5:6], v[1:2], -v[9:10]
	v_mul_f64 v[5:6], v[5:6], v[3:4]
	v_fma_f64 v[5:6], v[7:8], v[1:2], v[5:6]
	buffer_load_dword v7, off, s[0:3], 0 offset:896
	buffer_load_dword v8, off, s[0:3], 0 offset:900
	buffer_load_dword v18, off, s[0:3], 0 offset:904
	buffer_load_dword v19, off, s[0:3], 0 offset:908
	s_waitcnt vmcnt(2)
	v_add_f64 v[7:8], v[7:8], -v[9:10]
	;; [unrolled: 18-line block ×4, first 2 shown]
	s_waitcnt vmcnt(0)
	v_add_f64 v[5:6], v[18:19], -v[5:6]
	buffer_store_dword v8, off, s[0:3], 0 offset:932
	buffer_store_dword v7, off, s[0:3], 0 offset:928
	;; [unrolled: 1-line block ×4, first 2 shown]
	ds_read2_b64 v[5:8], v12 offset0:118 offset1:119
	s_waitcnt lgkmcnt(0)
	v_mul_f64 v[9:10], v[7:8], v[3:4]
	v_mul_f64 v[3:4], v[5:6], v[3:4]
	v_fma_f64 v[9:10], v[5:6], v[1:2], -v[9:10]
	v_fma_f64 v[1:2], v[7:8], v[1:2], v[3:4]
	buffer_load_dword v3, off, s[0:3], 0 offset:944
	buffer_load_dword v4, off, s[0:3], 0 offset:948
	;; [unrolled: 1-line block ×4, first 2 shown]
	s_waitcnt vmcnt(2)
	v_add_f64 v[3:4], v[3:4], -v[9:10]
	s_waitcnt vmcnt(0)
	v_add_f64 v[1:2], v[5:6], -v[1:2]
	buffer_store_dword v4, off, s[0:3], 0 offset:948
	buffer_store_dword v3, off, s[0:3], 0 offset:944
	;; [unrolled: 1-line block ×4, first 2 shown]
	ds_read2_b64 v[1:4], v12 offset0:120 offset1:121
	buffer_load_dword v5, off, s[0:3], 0 offset:656
	buffer_load_dword v6, off, s[0:3], 0 offset:660
	;; [unrolled: 1-line block ×4, first 2 shown]
	s_waitcnt vmcnt(0) lgkmcnt(0)
	v_mul_f64 v[9:10], v[3:4], v[7:8]
	v_fma_f64 v[18:19], v[1:2], v[5:6], -v[9:10]
	v_mul_f64 v[1:2], v[1:2], v[7:8]
	v_fma_f64 v[1:2], v[3:4], v[5:6], v[1:2]
	buffer_load_dword v4, off, s[0:3], 0 offset:964
	buffer_load_dword v3, off, s[0:3], 0 offset:960
	buffer_load_dword v10, off, s[0:3], 0 offset:972
	buffer_load_dword v9, off, s[0:3], 0 offset:968
	s_waitcnt vmcnt(2)
	v_add_f64 v[3:4], v[3:4], -v[18:19]
	s_waitcnt vmcnt(0)
	v_add_f64 v[1:2], v[9:10], -v[1:2]
	buffer_store_dword v4, off, s[0:3], 0 offset:964
	buffer_store_dword v3, off, s[0:3], 0 offset:960
	buffer_store_dword v2, off, s[0:3], 0 offset:972
	buffer_store_dword v1, off, s[0:3], 0 offset:968
	ds_read2_b64 v[1:4], v12 offset0:122 offset1:123
	s_waitcnt lgkmcnt(0)
	v_mul_f64 v[9:10], v[3:4], v[7:8]
	v_fma_f64 v[9:10], v[1:2], v[5:6], -v[9:10]
	v_mul_f64 v[1:2], v[1:2], v[7:8]
	v_fma_f64 v[1:2], v[3:4], v[5:6], v[1:2]
	buffer_load_dword v3, off, s[0:3], 0 offset:976
	buffer_load_dword v4, off, s[0:3], 0 offset:980
	buffer_load_dword v18, off, s[0:3], 0 offset:984
	buffer_load_dword v19, off, s[0:3], 0 offset:988
	s_waitcnt vmcnt(2)
	v_add_f64 v[3:4], v[3:4], -v[9:10]
	s_waitcnt vmcnt(0)
	v_add_f64 v[1:2], v[18:19], -v[1:2]
	buffer_store_dword v4, off, s[0:3], 0 offset:980
	buffer_store_dword v3, off, s[0:3], 0 offset:976
	buffer_store_dword v2, off, s[0:3], 0 offset:988
	buffer_store_dword v1, off, s[0:3], 0 offset:984
	ds_read2_b64 v[1:4], v12 offset0:124 offset1:125
	s_waitcnt lgkmcnt(0)
	;; [unrolled: 18-line block ×3, first 2 shown]
	v_mul_f64 v[1:2], v[47:48], v[7:8]
	v_fma_f64 v[3:4], v[45:46], v[5:6], -v[1:2]
	v_mul_f64 v[1:2], v[45:46], v[7:8]
	v_fma_f64 v[1:2], v[47:48], v[5:6], v[1:2]
	buffer_load_dword v5, off, s[0:3], 0 offset:1008
	buffer_load_dword v6, off, s[0:3], 0 offset:1012
	;; [unrolled: 1-line block ×4, first 2 shown]
	s_waitcnt vmcnt(2)
	v_add_f64 v[3:4], v[5:6], -v[3:4]
	s_waitcnt vmcnt(0)
	v_add_f64 v[1:2], v[7:8], -v[1:2]
	buffer_store_dword v4, off, s[0:3], 0 offset:1012
	buffer_store_dword v3, off, s[0:3], 0 offset:1008
	buffer_store_dword v2, off, s[0:3], 0 offset:1020
	buffer_store_dword v1, off, s[0:3], 0 offset:1016
.LBB127_497:
	s_or_b64 exec, exec, s[6:7]
	v_cmp_eq_u32_e32 vcc, 42, v0
	s_waitcnt vmcnt(0) lgkmcnt(0)
	s_barrier
	s_and_saveexec_b64 s[8:9], vcc
	s_cbranch_execz .LBB127_504
; %bb.498:
	v_mov_b32_e32 v4, s37
	buffer_load_dword v1, v4, s[0:3], 0 offen
	buffer_load_dword v2, v4, s[0:3], 0 offen offset:4
	buffer_load_dword v3, v4, s[0:3], 0 offen offset:8
	s_nop 0
	buffer_load_dword v4, v4, s[0:3], 0 offen offset:12
	s_waitcnt vmcnt(0)
	ds_write2_b64 v11, v[1:2], v[3:4] offset1:1
	v_mov_b32_e32 v4, s36
	buffer_load_dword v1, v4, s[0:3], 0 offen
	buffer_load_dword v2, v4, s[0:3], 0 offen offset:4
	buffer_load_dword v3, v4, s[0:3], 0 offen offset:8
	s_nop 0
	buffer_load_dword v4, v4, s[0:3], 0 offen offset:12
	s_waitcnt vmcnt(0)
	ds_write2_b64 v12, v[1:2], v[3:4] offset0:86 offset1:87
	v_mov_b32_e32 v4, s35
	buffer_load_dword v1, v4, s[0:3], 0 offen
	buffer_load_dword v2, v4, s[0:3], 0 offen offset:4
	buffer_load_dword v3, v4, s[0:3], 0 offen offset:8
	s_nop 0
	buffer_load_dword v4, v4, s[0:3], 0 offen offset:12
	s_waitcnt vmcnt(0)
	ds_write2_b64 v12, v[1:2], v[3:4] offset0:88 offset1:89
	;; [unrolled: 8-line block ×21, first 2 shown]
	ds_read2_b64 v[1:4], v11 offset1:1
	s_waitcnt lgkmcnt(0)
	v_cmp_neq_f64_e32 vcc, 0, v[1:2]
	v_cmp_neq_f64_e64 s[6:7], 0, v[3:4]
	s_or_b64 s[6:7], vcc, s[6:7]
	s_and_b64 exec, exec, s[6:7]
	s_cbranch_execz .LBB127_504
; %bb.499:
	v_cmp_ngt_f64_e64 s[6:7], |v[1:2]|, |v[3:4]|
                                        ; implicit-def: $vgpr5_vgpr6
	s_and_saveexec_b64 s[10:11], s[6:7]
	s_xor_b64 s[6:7], exec, s[10:11]
                                        ; implicit-def: $vgpr7_vgpr8
	s_cbranch_execz .LBB127_501
; %bb.500:
	v_div_scale_f64 v[5:6], s[10:11], v[3:4], v[3:4], v[1:2]
	v_rcp_f64_e32 v[7:8], v[5:6]
	v_fma_f64 v[9:10], -v[5:6], v[7:8], 1.0
	v_fma_f64 v[7:8], v[7:8], v[9:10], v[7:8]
	v_div_scale_f64 v[9:10], vcc, v[1:2], v[3:4], v[1:2]
	v_fma_f64 v[18:19], -v[5:6], v[7:8], 1.0
	v_fma_f64 v[7:8], v[7:8], v[18:19], v[7:8]
	v_mul_f64 v[18:19], v[9:10], v[7:8]
	v_fma_f64 v[5:6], -v[5:6], v[18:19], v[9:10]
	v_div_fmas_f64 v[5:6], v[5:6], v[7:8], v[18:19]
	v_div_fixup_f64 v[5:6], v[5:6], v[3:4], v[1:2]
	v_fma_f64 v[1:2], v[1:2], v[5:6], v[3:4]
	v_div_scale_f64 v[3:4], s[10:11], v[1:2], v[1:2], 1.0
	v_div_scale_f64 v[18:19], vcc, 1.0, v[1:2], 1.0
	v_rcp_f64_e32 v[7:8], v[3:4]
	v_fma_f64 v[9:10], -v[3:4], v[7:8], 1.0
	v_fma_f64 v[7:8], v[7:8], v[9:10], v[7:8]
	v_fma_f64 v[9:10], -v[3:4], v[7:8], 1.0
	v_fma_f64 v[7:8], v[7:8], v[9:10], v[7:8]
	v_mul_f64 v[9:10], v[18:19], v[7:8]
	v_fma_f64 v[3:4], -v[3:4], v[9:10], v[18:19]
	v_div_fmas_f64 v[3:4], v[3:4], v[7:8], v[9:10]
	v_div_fixup_f64 v[7:8], v[3:4], v[1:2], 1.0
                                        ; implicit-def: $vgpr1_vgpr2
	v_mul_f64 v[5:6], v[5:6], v[7:8]
	v_xor_b32_e32 v8, 0x80000000, v8
.LBB127_501:
	s_andn2_saveexec_b64 s[6:7], s[6:7]
	s_cbranch_execz .LBB127_503
; %bb.502:
	v_div_scale_f64 v[5:6], s[10:11], v[1:2], v[1:2], v[3:4]
	v_rcp_f64_e32 v[7:8], v[5:6]
	v_fma_f64 v[9:10], -v[5:6], v[7:8], 1.0
	v_fma_f64 v[7:8], v[7:8], v[9:10], v[7:8]
	v_div_scale_f64 v[9:10], vcc, v[3:4], v[1:2], v[3:4]
	v_fma_f64 v[18:19], -v[5:6], v[7:8], 1.0
	v_fma_f64 v[7:8], v[7:8], v[18:19], v[7:8]
	v_mul_f64 v[18:19], v[9:10], v[7:8]
	v_fma_f64 v[5:6], -v[5:6], v[18:19], v[9:10]
	v_div_fmas_f64 v[5:6], v[5:6], v[7:8], v[18:19]
	v_div_fixup_f64 v[7:8], v[5:6], v[1:2], v[3:4]
	v_fma_f64 v[1:2], v[3:4], v[7:8], v[1:2]
	v_div_scale_f64 v[3:4], s[10:11], v[1:2], v[1:2], 1.0
	v_div_scale_f64 v[18:19], vcc, 1.0, v[1:2], 1.0
	v_rcp_f64_e32 v[5:6], v[3:4]
	v_fma_f64 v[9:10], -v[3:4], v[5:6], 1.0
	v_fma_f64 v[5:6], v[5:6], v[9:10], v[5:6]
	v_fma_f64 v[9:10], -v[3:4], v[5:6], 1.0
	v_fma_f64 v[5:6], v[5:6], v[9:10], v[5:6]
	v_mul_f64 v[9:10], v[18:19], v[5:6]
	v_fma_f64 v[3:4], -v[3:4], v[9:10], v[18:19]
	v_div_fmas_f64 v[3:4], v[3:4], v[5:6], v[9:10]
	v_div_fixup_f64 v[5:6], v[3:4], v[1:2], 1.0
	v_mul_f64 v[7:8], v[7:8], -v[5:6]
.LBB127_503:
	s_or_b64 exec, exec, s[6:7]
	ds_write2_b64 v11, v[5:6], v[7:8] offset1:1
.LBB127_504:
	s_or_b64 exec, exec, s[8:9]
	s_waitcnt lgkmcnt(0)
	s_barrier
	ds_read2_b64 v[45:48], v11 offset1:1
	v_cmp_lt_u32_e32 vcc, 42, v0
	s_and_saveexec_b64 s[6:7], vcc
	s_cbranch_execz .LBB127_506
; %bb.505:
	buffer_load_dword v3, off, s[0:3], 0 offset:672
	buffer_load_dword v4, off, s[0:3], 0 offset:676
	;; [unrolled: 1-line block ×16, first 2 shown]
	s_waitcnt vmcnt(12) lgkmcnt(0)
	v_mul_f64 v[1:2], v[47:48], v[5:6]
	v_mul_f64 v[5:6], v[45:46], v[5:6]
	v_fma_f64 v[1:2], v[45:46], v[3:4], -v[1:2]
	v_fma_f64 v[3:4], v[47:48], v[3:4], v[5:6]
	buffer_store_dword v1, off, s[0:3], 0 offset:672
	buffer_store_dword v2, off, s[0:3], 0 offset:676
	buffer_store_dword v3, off, s[0:3], 0 offset:680
	buffer_store_dword v4, off, s[0:3], 0 offset:684
	ds_read2_b64 v[5:8], v12 offset0:86 offset1:87
	s_waitcnt lgkmcnt(0)
	v_mul_f64 v[57:58], v[7:8], v[3:4]
	v_fma_f64 v[57:58], v[5:6], v[1:2], -v[57:58]
	v_mul_f64 v[5:6], v[5:6], v[3:4]
	v_fma_f64 v[5:6], v[7:8], v[1:2], v[5:6]
	s_waitcnt vmcnt(14)
	v_add_f64 v[7:8], v[9:10], -v[57:58]
	s_waitcnt vmcnt(12)
	v_add_f64 v[5:6], v[18:19], -v[5:6]
	buffer_store_dword v7, off, s[0:3], 0 offset:688
	buffer_store_dword v8, off, s[0:3], 0 offset:692
	buffer_store_dword v5, off, s[0:3], 0 offset:696
	buffer_store_dword v6, off, s[0:3], 0 offset:700
	ds_read2_b64 v[5:8], v12 offset0:88 offset1:89
	s_waitcnt lgkmcnt(0)
	v_mul_f64 v[9:10], v[7:8], v[3:4]
	v_fma_f64 v[9:10], v[5:6], v[1:2], -v[9:10]
	v_mul_f64 v[5:6], v[5:6], v[3:4]
	v_fma_f64 v[5:6], v[7:8], v[1:2], v[5:6]
	s_waitcnt vmcnt(14)
	v_add_f64 v[7:8], v[49:50], -v[9:10]
	s_waitcnt vmcnt(12)
	v_add_f64 v[5:6], v[51:52], -v[5:6]
	;; [unrolled: 14-line block ×3, first 2 shown]
	buffer_store_dword v8, off, s[0:3], 0 offset:724
	buffer_store_dword v7, off, s[0:3], 0 offset:720
	;; [unrolled: 1-line block ×4, first 2 shown]
	ds_read2_b64 v[5:8], v12 offset0:92 offset1:93
	s_waitcnt lgkmcnt(0)
	v_mul_f64 v[9:10], v[7:8], v[3:4]
	v_fma_f64 v[9:10], v[5:6], v[1:2], -v[9:10]
	v_mul_f64 v[5:6], v[5:6], v[3:4]
	v_fma_f64 v[5:6], v[7:8], v[1:2], v[5:6]
	buffer_load_dword v7, off, s[0:3], 0 offset:736
	buffer_load_dword v8, off, s[0:3], 0 offset:740
	;; [unrolled: 1-line block ×4, first 2 shown]
	s_waitcnt vmcnt(2)
	v_add_f64 v[7:8], v[7:8], -v[9:10]
	s_waitcnt vmcnt(0)
	v_add_f64 v[5:6], v[18:19], -v[5:6]
	buffer_store_dword v8, off, s[0:3], 0 offset:740
	buffer_store_dword v7, off, s[0:3], 0 offset:736
	buffer_store_dword v6, off, s[0:3], 0 offset:748
	buffer_store_dword v5, off, s[0:3], 0 offset:744
	ds_read2_b64 v[5:8], v12 offset0:94 offset1:95
	s_waitcnt lgkmcnt(0)
	v_mul_f64 v[9:10], v[7:8], v[3:4]
	v_fma_f64 v[9:10], v[5:6], v[1:2], -v[9:10]
	v_mul_f64 v[5:6], v[5:6], v[3:4]
	v_fma_f64 v[5:6], v[7:8], v[1:2], v[5:6]
	buffer_load_dword v7, off, s[0:3], 0 offset:752
	buffer_load_dword v8, off, s[0:3], 0 offset:756
	;; [unrolled: 1-line block ×4, first 2 shown]
	s_waitcnt vmcnt(2)
	v_add_f64 v[7:8], v[7:8], -v[9:10]
	s_waitcnt vmcnt(0)
	v_add_f64 v[5:6], v[18:19], -v[5:6]
	buffer_store_dword v8, off, s[0:3], 0 offset:756
	buffer_store_dword v7, off, s[0:3], 0 offset:752
	;; [unrolled: 1-line block ×4, first 2 shown]
	ds_read2_b64 v[5:8], v12 offset0:96 offset1:97
	s_waitcnt lgkmcnt(0)
	v_mul_f64 v[9:10], v[7:8], v[3:4]
	v_mul_f64 v[3:4], v[5:6], v[3:4]
	v_fma_f64 v[9:10], v[5:6], v[1:2], -v[9:10]
	v_fma_f64 v[1:2], v[7:8], v[1:2], v[3:4]
	buffer_load_dword v3, off, s[0:3], 0 offset:768
	buffer_load_dword v4, off, s[0:3], 0 offset:772
	;; [unrolled: 1-line block ×4, first 2 shown]
	s_waitcnt vmcnt(2)
	v_add_f64 v[3:4], v[3:4], -v[9:10]
	s_waitcnt vmcnt(0)
	v_add_f64 v[1:2], v[5:6], -v[1:2]
	buffer_store_dword v4, off, s[0:3], 0 offset:772
	buffer_store_dword v3, off, s[0:3], 0 offset:768
	;; [unrolled: 1-line block ×4, first 2 shown]
	ds_read2_b64 v[5:8], v12 offset0:98 offset1:99
	buffer_load_dword v1, off, s[0:3], 0 offset:672
	buffer_load_dword v2, off, s[0:3], 0 offset:676
	;; [unrolled: 1-line block ×4, first 2 shown]
	s_waitcnt vmcnt(0) lgkmcnt(0)
	v_mul_f64 v[9:10], v[7:8], v[3:4]
	v_fma_f64 v[9:10], v[5:6], v[1:2], -v[9:10]
	v_mul_f64 v[5:6], v[5:6], v[3:4]
	v_fma_f64 v[5:6], v[7:8], v[1:2], v[5:6]
	buffer_load_dword v8, off, s[0:3], 0 offset:788
	buffer_load_dword v7, off, s[0:3], 0 offset:784
	s_waitcnt vmcnt(0)
	v_add_f64 v[7:8], v[7:8], -v[9:10]
	buffer_load_dword v10, off, s[0:3], 0 offset:796
	buffer_load_dword v9, off, s[0:3], 0 offset:792
	s_waitcnt vmcnt(0)
	v_add_f64 v[5:6], v[9:10], -v[5:6]
	buffer_store_dword v8, off, s[0:3], 0 offset:788
	buffer_store_dword v7, off, s[0:3], 0 offset:784
	buffer_store_dword v6, off, s[0:3], 0 offset:796
	buffer_store_dword v5, off, s[0:3], 0 offset:792
	ds_read2_b64 v[5:8], v12 offset0:100 offset1:101
	s_waitcnt lgkmcnt(0)
	v_mul_f64 v[9:10], v[7:8], v[3:4]
	v_fma_f64 v[9:10], v[5:6], v[1:2], -v[9:10]
	v_mul_f64 v[5:6], v[5:6], v[3:4]
	v_fma_f64 v[5:6], v[7:8], v[1:2], v[5:6]
	buffer_load_dword v7, off, s[0:3], 0 offset:800
	buffer_load_dword v8, off, s[0:3], 0 offset:804
	buffer_load_dword v18, off, s[0:3], 0 offset:808
	buffer_load_dword v19, off, s[0:3], 0 offset:812
	s_waitcnt vmcnt(2)
	v_add_f64 v[7:8], v[7:8], -v[9:10]
	s_waitcnt vmcnt(0)
	v_add_f64 v[5:6], v[18:19], -v[5:6]
	buffer_store_dword v8, off, s[0:3], 0 offset:804
	buffer_store_dword v7, off, s[0:3], 0 offset:800
	buffer_store_dword v6, off, s[0:3], 0 offset:812
	buffer_store_dword v5, off, s[0:3], 0 offset:808
	ds_read2_b64 v[5:8], v12 offset0:102 offset1:103
	s_waitcnt lgkmcnt(0)
	v_mul_f64 v[9:10], v[7:8], v[3:4]
	v_fma_f64 v[9:10], v[5:6], v[1:2], -v[9:10]
	v_mul_f64 v[5:6], v[5:6], v[3:4]
	v_fma_f64 v[5:6], v[7:8], v[1:2], v[5:6]
	buffer_load_dword v7, off, s[0:3], 0 offset:816
	buffer_load_dword v8, off, s[0:3], 0 offset:820
	buffer_load_dword v18, off, s[0:3], 0 offset:824
	buffer_load_dword v19, off, s[0:3], 0 offset:828
	s_waitcnt vmcnt(2)
	v_add_f64 v[7:8], v[7:8], -v[9:10]
	;; [unrolled: 18-line block ×4, first 2 shown]
	s_waitcnt vmcnt(0)
	v_add_f64 v[5:6], v[18:19], -v[5:6]
	buffer_store_dword v8, off, s[0:3], 0 offset:852
	buffer_store_dword v7, off, s[0:3], 0 offset:848
	;; [unrolled: 1-line block ×4, first 2 shown]
	ds_read2_b64 v[5:8], v12 offset0:108 offset1:109
	s_waitcnt lgkmcnt(0)
	v_mul_f64 v[9:10], v[7:8], v[3:4]
	v_mul_f64 v[3:4], v[5:6], v[3:4]
	v_fma_f64 v[9:10], v[5:6], v[1:2], -v[9:10]
	v_fma_f64 v[1:2], v[7:8], v[1:2], v[3:4]
	buffer_load_dword v3, off, s[0:3], 0 offset:864
	buffer_load_dword v4, off, s[0:3], 0 offset:868
	;; [unrolled: 1-line block ×4, first 2 shown]
	s_waitcnt vmcnt(2)
	v_add_f64 v[3:4], v[3:4], -v[9:10]
	s_waitcnt vmcnt(0)
	v_add_f64 v[1:2], v[5:6], -v[1:2]
	buffer_store_dword v4, off, s[0:3], 0 offset:868
	buffer_store_dword v3, off, s[0:3], 0 offset:864
	;; [unrolled: 1-line block ×4, first 2 shown]
	ds_read2_b64 v[5:8], v12 offset0:110 offset1:111
	buffer_load_dword v1, off, s[0:3], 0 offset:672
	buffer_load_dword v2, off, s[0:3], 0 offset:676
	;; [unrolled: 1-line block ×4, first 2 shown]
	s_waitcnt vmcnt(0) lgkmcnt(0)
	v_mul_f64 v[9:10], v[7:8], v[3:4]
	v_fma_f64 v[9:10], v[5:6], v[1:2], -v[9:10]
	v_mul_f64 v[5:6], v[5:6], v[3:4]
	v_fma_f64 v[5:6], v[7:8], v[1:2], v[5:6]
	buffer_load_dword v8, off, s[0:3], 0 offset:884
	buffer_load_dword v7, off, s[0:3], 0 offset:880
	s_waitcnt vmcnt(0)
	v_add_f64 v[7:8], v[7:8], -v[9:10]
	buffer_load_dword v10, off, s[0:3], 0 offset:892
	buffer_load_dword v9, off, s[0:3], 0 offset:888
	s_waitcnt vmcnt(0)
	v_add_f64 v[5:6], v[9:10], -v[5:6]
	buffer_store_dword v8, off, s[0:3], 0 offset:884
	buffer_store_dword v7, off, s[0:3], 0 offset:880
	buffer_store_dword v6, off, s[0:3], 0 offset:892
	buffer_store_dword v5, off, s[0:3], 0 offset:888
	ds_read2_b64 v[5:8], v12 offset0:112 offset1:113
	s_waitcnt lgkmcnt(0)
	v_mul_f64 v[9:10], v[7:8], v[3:4]
	v_fma_f64 v[9:10], v[5:6], v[1:2], -v[9:10]
	v_mul_f64 v[5:6], v[5:6], v[3:4]
	v_fma_f64 v[5:6], v[7:8], v[1:2], v[5:6]
	buffer_load_dword v7, off, s[0:3], 0 offset:896
	buffer_load_dword v8, off, s[0:3], 0 offset:900
	buffer_load_dword v18, off, s[0:3], 0 offset:904
	buffer_load_dword v19, off, s[0:3], 0 offset:908
	s_waitcnt vmcnt(2)
	v_add_f64 v[7:8], v[7:8], -v[9:10]
	s_waitcnt vmcnt(0)
	v_add_f64 v[5:6], v[18:19], -v[5:6]
	buffer_store_dword v8, off, s[0:3], 0 offset:900
	buffer_store_dword v7, off, s[0:3], 0 offset:896
	buffer_store_dword v6, off, s[0:3], 0 offset:908
	buffer_store_dword v5, off, s[0:3], 0 offset:904
	ds_read2_b64 v[5:8], v12 offset0:114 offset1:115
	s_waitcnt lgkmcnt(0)
	v_mul_f64 v[9:10], v[7:8], v[3:4]
	v_fma_f64 v[9:10], v[5:6], v[1:2], -v[9:10]
	v_mul_f64 v[5:6], v[5:6], v[3:4]
	v_fma_f64 v[5:6], v[7:8], v[1:2], v[5:6]
	buffer_load_dword v7, off, s[0:3], 0 offset:912
	buffer_load_dword v8, off, s[0:3], 0 offset:916
	buffer_load_dword v18, off, s[0:3], 0 offset:920
	buffer_load_dword v19, off, s[0:3], 0 offset:924
	s_waitcnt vmcnt(2)
	v_add_f64 v[7:8], v[7:8], -v[9:10]
	;; [unrolled: 18-line block ×4, first 2 shown]
	s_waitcnt vmcnt(0)
	v_add_f64 v[5:6], v[18:19], -v[5:6]
	buffer_store_dword v8, off, s[0:3], 0 offset:948
	buffer_store_dword v7, off, s[0:3], 0 offset:944
	;; [unrolled: 1-line block ×4, first 2 shown]
	ds_read2_b64 v[5:8], v12 offset0:120 offset1:121
	s_waitcnt lgkmcnt(0)
	v_mul_f64 v[9:10], v[7:8], v[3:4]
	v_mul_f64 v[3:4], v[5:6], v[3:4]
	v_fma_f64 v[9:10], v[5:6], v[1:2], -v[9:10]
	v_fma_f64 v[1:2], v[7:8], v[1:2], v[3:4]
	buffer_load_dword v3, off, s[0:3], 0 offset:960
	buffer_load_dword v4, off, s[0:3], 0 offset:964
	;; [unrolled: 1-line block ×4, first 2 shown]
	s_waitcnt vmcnt(2)
	v_add_f64 v[3:4], v[3:4], -v[9:10]
	s_waitcnt vmcnt(0)
	v_add_f64 v[1:2], v[5:6], -v[1:2]
	buffer_store_dword v4, off, s[0:3], 0 offset:964
	buffer_store_dword v3, off, s[0:3], 0 offset:960
	;; [unrolled: 1-line block ×4, first 2 shown]
	ds_read2_b64 v[1:4], v12 offset0:122 offset1:123
	buffer_load_dword v5, off, s[0:3], 0 offset:672
	buffer_load_dword v6, off, s[0:3], 0 offset:676
	;; [unrolled: 1-line block ×4, first 2 shown]
	s_waitcnt vmcnt(0) lgkmcnt(0)
	v_mul_f64 v[9:10], v[3:4], v[7:8]
	v_fma_f64 v[18:19], v[1:2], v[5:6], -v[9:10]
	v_mul_f64 v[1:2], v[1:2], v[7:8]
	v_fma_f64 v[1:2], v[3:4], v[5:6], v[1:2]
	buffer_load_dword v4, off, s[0:3], 0 offset:980
	buffer_load_dword v3, off, s[0:3], 0 offset:976
	;; [unrolled: 1-line block ×4, first 2 shown]
	s_waitcnt vmcnt(2)
	v_add_f64 v[3:4], v[3:4], -v[18:19]
	s_waitcnt vmcnt(0)
	v_add_f64 v[1:2], v[9:10], -v[1:2]
	buffer_store_dword v4, off, s[0:3], 0 offset:980
	buffer_store_dword v3, off, s[0:3], 0 offset:976
	;; [unrolled: 1-line block ×4, first 2 shown]
	ds_read2_b64 v[1:4], v12 offset0:124 offset1:125
	s_waitcnt lgkmcnt(0)
	v_mul_f64 v[9:10], v[3:4], v[7:8]
	v_fma_f64 v[9:10], v[1:2], v[5:6], -v[9:10]
	v_mul_f64 v[1:2], v[1:2], v[7:8]
	v_fma_f64 v[1:2], v[3:4], v[5:6], v[1:2]
	buffer_load_dword v3, off, s[0:3], 0 offset:992
	buffer_load_dword v4, off, s[0:3], 0 offset:996
	;; [unrolled: 1-line block ×4, first 2 shown]
	s_waitcnt vmcnt(2)
	v_add_f64 v[3:4], v[3:4], -v[9:10]
	s_waitcnt vmcnt(0)
	v_add_f64 v[1:2], v[18:19], -v[1:2]
	buffer_store_dword v4, off, s[0:3], 0 offset:996
	buffer_store_dword v3, off, s[0:3], 0 offset:992
	;; [unrolled: 1-line block ×4, first 2 shown]
	ds_read2_b64 v[49:52], v12 offset0:126 offset1:127
	s_waitcnt lgkmcnt(0)
	v_mul_f64 v[1:2], v[51:52], v[7:8]
	v_fma_f64 v[3:4], v[49:50], v[5:6], -v[1:2]
	v_mul_f64 v[1:2], v[49:50], v[7:8]
	v_fma_f64 v[1:2], v[51:52], v[5:6], v[1:2]
	buffer_load_dword v5, off, s[0:3], 0 offset:1008
	buffer_load_dword v6, off, s[0:3], 0 offset:1012
	;; [unrolled: 1-line block ×4, first 2 shown]
	s_waitcnt vmcnt(2)
	v_add_f64 v[3:4], v[5:6], -v[3:4]
	s_waitcnt vmcnt(0)
	v_add_f64 v[1:2], v[7:8], -v[1:2]
	buffer_store_dword v4, off, s[0:3], 0 offset:1012
	buffer_store_dword v3, off, s[0:3], 0 offset:1008
	;; [unrolled: 1-line block ×4, first 2 shown]
.LBB127_506:
	s_or_b64 exec, exec, s[6:7]
	v_cmp_eq_u32_e32 vcc, 43, v0
	s_waitcnt vmcnt(0) lgkmcnt(0)
	s_barrier
	s_and_saveexec_b64 s[8:9], vcc
	s_cbranch_execz .LBB127_513
; %bb.507:
	v_mov_b32_e32 v4, s36
	buffer_load_dword v1, v4, s[0:3], 0 offen
	buffer_load_dword v2, v4, s[0:3], 0 offen offset:4
	buffer_load_dword v3, v4, s[0:3], 0 offen offset:8
	s_nop 0
	buffer_load_dword v4, v4, s[0:3], 0 offen offset:12
	s_waitcnt vmcnt(0)
	ds_write2_b64 v11, v[1:2], v[3:4] offset1:1
	v_mov_b32_e32 v4, s35
	buffer_load_dword v1, v4, s[0:3], 0 offen
	buffer_load_dword v2, v4, s[0:3], 0 offen offset:4
	buffer_load_dword v3, v4, s[0:3], 0 offen offset:8
	s_nop 0
	buffer_load_dword v4, v4, s[0:3], 0 offen offset:12
	s_waitcnt vmcnt(0)
	ds_write2_b64 v12, v[1:2], v[3:4] offset0:88 offset1:89
	v_mov_b32_e32 v4, s34
	buffer_load_dword v1, v4, s[0:3], 0 offen
	buffer_load_dword v2, v4, s[0:3], 0 offen offset:4
	buffer_load_dword v3, v4, s[0:3], 0 offen offset:8
	s_nop 0
	buffer_load_dword v4, v4, s[0:3], 0 offen offset:12
	s_waitcnt vmcnt(0)
	ds_write2_b64 v12, v[1:2], v[3:4] offset0:90 offset1:91
	;; [unrolled: 8-line block ×20, first 2 shown]
	ds_read2_b64 v[1:4], v11 offset1:1
	s_waitcnt lgkmcnt(0)
	v_cmp_neq_f64_e32 vcc, 0, v[1:2]
	v_cmp_neq_f64_e64 s[6:7], 0, v[3:4]
	s_or_b64 s[6:7], vcc, s[6:7]
	s_and_b64 exec, exec, s[6:7]
	s_cbranch_execz .LBB127_513
; %bb.508:
	v_cmp_ngt_f64_e64 s[6:7], |v[1:2]|, |v[3:4]|
                                        ; implicit-def: $vgpr5_vgpr6
	s_and_saveexec_b64 s[10:11], s[6:7]
	s_xor_b64 s[6:7], exec, s[10:11]
                                        ; implicit-def: $vgpr7_vgpr8
	s_cbranch_execz .LBB127_510
; %bb.509:
	v_div_scale_f64 v[5:6], s[10:11], v[3:4], v[3:4], v[1:2]
	v_rcp_f64_e32 v[7:8], v[5:6]
	v_fma_f64 v[9:10], -v[5:6], v[7:8], 1.0
	v_fma_f64 v[7:8], v[7:8], v[9:10], v[7:8]
	v_div_scale_f64 v[9:10], vcc, v[1:2], v[3:4], v[1:2]
	v_fma_f64 v[18:19], -v[5:6], v[7:8], 1.0
	v_fma_f64 v[7:8], v[7:8], v[18:19], v[7:8]
	v_mul_f64 v[18:19], v[9:10], v[7:8]
	v_fma_f64 v[5:6], -v[5:6], v[18:19], v[9:10]
	v_div_fmas_f64 v[5:6], v[5:6], v[7:8], v[18:19]
	v_div_fixup_f64 v[5:6], v[5:6], v[3:4], v[1:2]
	v_fma_f64 v[1:2], v[1:2], v[5:6], v[3:4]
	v_div_scale_f64 v[3:4], s[10:11], v[1:2], v[1:2], 1.0
	v_div_scale_f64 v[18:19], vcc, 1.0, v[1:2], 1.0
	v_rcp_f64_e32 v[7:8], v[3:4]
	v_fma_f64 v[9:10], -v[3:4], v[7:8], 1.0
	v_fma_f64 v[7:8], v[7:8], v[9:10], v[7:8]
	v_fma_f64 v[9:10], -v[3:4], v[7:8], 1.0
	v_fma_f64 v[7:8], v[7:8], v[9:10], v[7:8]
	v_mul_f64 v[9:10], v[18:19], v[7:8]
	v_fma_f64 v[3:4], -v[3:4], v[9:10], v[18:19]
	v_div_fmas_f64 v[3:4], v[3:4], v[7:8], v[9:10]
	v_div_fixup_f64 v[7:8], v[3:4], v[1:2], 1.0
                                        ; implicit-def: $vgpr1_vgpr2
	v_mul_f64 v[5:6], v[5:6], v[7:8]
	v_xor_b32_e32 v8, 0x80000000, v8
.LBB127_510:
	s_andn2_saveexec_b64 s[6:7], s[6:7]
	s_cbranch_execz .LBB127_512
; %bb.511:
	v_div_scale_f64 v[5:6], s[10:11], v[1:2], v[1:2], v[3:4]
	v_rcp_f64_e32 v[7:8], v[5:6]
	v_fma_f64 v[9:10], -v[5:6], v[7:8], 1.0
	v_fma_f64 v[7:8], v[7:8], v[9:10], v[7:8]
	v_div_scale_f64 v[9:10], vcc, v[3:4], v[1:2], v[3:4]
	v_fma_f64 v[18:19], -v[5:6], v[7:8], 1.0
	v_fma_f64 v[7:8], v[7:8], v[18:19], v[7:8]
	v_mul_f64 v[18:19], v[9:10], v[7:8]
	v_fma_f64 v[5:6], -v[5:6], v[18:19], v[9:10]
	v_div_fmas_f64 v[5:6], v[5:6], v[7:8], v[18:19]
	v_div_fixup_f64 v[7:8], v[5:6], v[1:2], v[3:4]
	v_fma_f64 v[1:2], v[3:4], v[7:8], v[1:2]
	v_div_scale_f64 v[3:4], s[10:11], v[1:2], v[1:2], 1.0
	v_div_scale_f64 v[18:19], vcc, 1.0, v[1:2], 1.0
	v_rcp_f64_e32 v[5:6], v[3:4]
	v_fma_f64 v[9:10], -v[3:4], v[5:6], 1.0
	v_fma_f64 v[5:6], v[5:6], v[9:10], v[5:6]
	v_fma_f64 v[9:10], -v[3:4], v[5:6], 1.0
	v_fma_f64 v[5:6], v[5:6], v[9:10], v[5:6]
	v_mul_f64 v[9:10], v[18:19], v[5:6]
	v_fma_f64 v[3:4], -v[3:4], v[9:10], v[18:19]
	v_div_fmas_f64 v[3:4], v[3:4], v[5:6], v[9:10]
	v_div_fixup_f64 v[5:6], v[3:4], v[1:2], 1.0
	v_mul_f64 v[7:8], v[7:8], -v[5:6]
.LBB127_512:
	s_or_b64 exec, exec, s[6:7]
	ds_write2_b64 v11, v[5:6], v[7:8] offset1:1
.LBB127_513:
	s_or_b64 exec, exec, s[8:9]
	s_waitcnt lgkmcnt(0)
	s_barrier
	ds_read2_b64 v[49:52], v11 offset1:1
	v_cmp_lt_u32_e32 vcc, 43, v0
	s_and_saveexec_b64 s[6:7], vcc
	s_cbranch_execz .LBB127_515
; %bb.514:
	buffer_load_dword v3, off, s[0:3], 0 offset:688
	buffer_load_dword v4, off, s[0:3], 0 offset:692
	;; [unrolled: 1-line block ×16, first 2 shown]
	s_waitcnt vmcnt(12) lgkmcnt(0)
	v_mul_f64 v[1:2], v[51:52], v[5:6]
	v_mul_f64 v[5:6], v[49:50], v[5:6]
	v_fma_f64 v[1:2], v[49:50], v[3:4], -v[1:2]
	v_fma_f64 v[3:4], v[51:52], v[3:4], v[5:6]
	buffer_store_dword v1, off, s[0:3], 0 offset:688
	buffer_store_dword v2, off, s[0:3], 0 offset:692
	buffer_store_dword v3, off, s[0:3], 0 offset:696
	buffer_store_dword v4, off, s[0:3], 0 offset:700
	ds_read2_b64 v[5:8], v12 offset0:88 offset1:89
	s_waitcnt lgkmcnt(0)
	v_mul_f64 v[61:62], v[7:8], v[3:4]
	v_fma_f64 v[61:62], v[5:6], v[1:2], -v[61:62]
	v_mul_f64 v[5:6], v[5:6], v[3:4]
	v_fma_f64 v[5:6], v[7:8], v[1:2], v[5:6]
	s_waitcnt vmcnt(14)
	v_add_f64 v[7:8], v[9:10], -v[61:62]
	s_waitcnt vmcnt(12)
	v_add_f64 v[5:6], v[18:19], -v[5:6]
	buffer_store_dword v7, off, s[0:3], 0 offset:704
	buffer_store_dword v8, off, s[0:3], 0 offset:708
	buffer_store_dword v5, off, s[0:3], 0 offset:712
	buffer_store_dword v6, off, s[0:3], 0 offset:716
	ds_read2_b64 v[5:8], v12 offset0:90 offset1:91
	s_waitcnt lgkmcnt(0)
	v_mul_f64 v[9:10], v[7:8], v[3:4]
	v_fma_f64 v[9:10], v[5:6], v[1:2], -v[9:10]
	v_mul_f64 v[5:6], v[5:6], v[3:4]
	v_fma_f64 v[5:6], v[7:8], v[1:2], v[5:6]
	s_waitcnt vmcnt(14)
	v_add_f64 v[7:8], v[53:54], -v[9:10]
	s_waitcnt vmcnt(12)
	v_add_f64 v[5:6], v[55:56], -v[5:6]
	buffer_store_dword v7, off, s[0:3], 0 offset:720
	buffer_store_dword v8, off, s[0:3], 0 offset:724
	buffer_store_dword v5, off, s[0:3], 0 offset:728
	buffer_store_dword v6, off, s[0:3], 0 offset:732
	ds_read2_b64 v[5:8], v12 offset0:92 offset1:93
	s_waitcnt lgkmcnt(0)
	v_mul_f64 v[9:10], v[7:8], v[3:4]
	v_fma_f64 v[9:10], v[5:6], v[1:2], -v[9:10]
	v_mul_f64 v[5:6], v[5:6], v[3:4]
	v_fma_f64 v[5:6], v[7:8], v[1:2], v[5:6]
	s_waitcnt vmcnt(14)
	v_add_f64 v[7:8], v[57:58], -v[9:10]
	s_waitcnt vmcnt(12)
	v_add_f64 v[5:6], v[59:60], -v[5:6]
	buffer_store_dword v8, off, s[0:3], 0 offset:740
	buffer_store_dword v7, off, s[0:3], 0 offset:736
	;; [unrolled: 1-line block ×4, first 2 shown]
	ds_read2_b64 v[5:8], v12 offset0:94 offset1:95
	s_waitcnt lgkmcnt(0)
	v_mul_f64 v[9:10], v[7:8], v[3:4]
	v_fma_f64 v[9:10], v[5:6], v[1:2], -v[9:10]
	v_mul_f64 v[5:6], v[5:6], v[3:4]
	v_fma_f64 v[5:6], v[7:8], v[1:2], v[5:6]
	buffer_load_dword v7, off, s[0:3], 0 offset:752
	buffer_load_dword v8, off, s[0:3], 0 offset:756
	;; [unrolled: 1-line block ×4, first 2 shown]
	s_waitcnt vmcnt(2)
	v_add_f64 v[7:8], v[7:8], -v[9:10]
	s_waitcnt vmcnt(0)
	v_add_f64 v[5:6], v[18:19], -v[5:6]
	buffer_store_dword v8, off, s[0:3], 0 offset:756
	buffer_store_dword v7, off, s[0:3], 0 offset:752
	;; [unrolled: 1-line block ×4, first 2 shown]
	ds_read2_b64 v[5:8], v12 offset0:96 offset1:97
	s_waitcnt lgkmcnt(0)
	v_mul_f64 v[9:10], v[7:8], v[3:4]
	v_fma_f64 v[9:10], v[5:6], v[1:2], -v[9:10]
	v_mul_f64 v[5:6], v[5:6], v[3:4]
	v_fma_f64 v[5:6], v[7:8], v[1:2], v[5:6]
	buffer_load_dword v7, off, s[0:3], 0 offset:768
	buffer_load_dword v8, off, s[0:3], 0 offset:772
	;; [unrolled: 1-line block ×4, first 2 shown]
	s_waitcnt vmcnt(2)
	v_add_f64 v[7:8], v[7:8], -v[9:10]
	s_waitcnt vmcnt(0)
	v_add_f64 v[5:6], v[18:19], -v[5:6]
	buffer_store_dword v8, off, s[0:3], 0 offset:772
	buffer_store_dword v7, off, s[0:3], 0 offset:768
	buffer_store_dword v6, off, s[0:3], 0 offset:780
	buffer_store_dword v5, off, s[0:3], 0 offset:776
	ds_read2_b64 v[5:8], v12 offset0:98 offset1:99
	s_waitcnt lgkmcnt(0)
	v_mul_f64 v[9:10], v[7:8], v[3:4]
	v_mul_f64 v[3:4], v[5:6], v[3:4]
	v_fma_f64 v[9:10], v[5:6], v[1:2], -v[9:10]
	v_fma_f64 v[1:2], v[7:8], v[1:2], v[3:4]
	buffer_load_dword v3, off, s[0:3], 0 offset:784
	buffer_load_dword v4, off, s[0:3], 0 offset:788
	buffer_load_dword v5, off, s[0:3], 0 offset:792
	buffer_load_dword v6, off, s[0:3], 0 offset:796
	s_waitcnt vmcnt(2)
	v_add_f64 v[3:4], v[3:4], -v[9:10]
	s_waitcnt vmcnt(0)
	v_add_f64 v[1:2], v[5:6], -v[1:2]
	buffer_store_dword v4, off, s[0:3], 0 offset:788
	buffer_store_dword v3, off, s[0:3], 0 offset:784
	;; [unrolled: 1-line block ×4, first 2 shown]
	ds_read2_b64 v[5:8], v12 offset0:100 offset1:101
	buffer_load_dword v1, off, s[0:3], 0 offset:688
	buffer_load_dword v2, off, s[0:3], 0 offset:692
	;; [unrolled: 1-line block ×4, first 2 shown]
	s_waitcnt vmcnt(0) lgkmcnt(0)
	v_mul_f64 v[9:10], v[7:8], v[3:4]
	v_fma_f64 v[9:10], v[5:6], v[1:2], -v[9:10]
	v_mul_f64 v[5:6], v[5:6], v[3:4]
	v_fma_f64 v[5:6], v[7:8], v[1:2], v[5:6]
	buffer_load_dword v8, off, s[0:3], 0 offset:804
	buffer_load_dword v7, off, s[0:3], 0 offset:800
	s_waitcnt vmcnt(0)
	v_add_f64 v[7:8], v[7:8], -v[9:10]
	buffer_load_dword v10, off, s[0:3], 0 offset:812
	buffer_load_dword v9, off, s[0:3], 0 offset:808
	s_waitcnt vmcnt(0)
	v_add_f64 v[5:6], v[9:10], -v[5:6]
	buffer_store_dword v8, off, s[0:3], 0 offset:804
	buffer_store_dword v7, off, s[0:3], 0 offset:800
	buffer_store_dword v6, off, s[0:3], 0 offset:812
	buffer_store_dword v5, off, s[0:3], 0 offset:808
	ds_read2_b64 v[5:8], v12 offset0:102 offset1:103
	s_waitcnt lgkmcnt(0)
	v_mul_f64 v[9:10], v[7:8], v[3:4]
	v_fma_f64 v[9:10], v[5:6], v[1:2], -v[9:10]
	v_mul_f64 v[5:6], v[5:6], v[3:4]
	v_fma_f64 v[5:6], v[7:8], v[1:2], v[5:6]
	buffer_load_dword v7, off, s[0:3], 0 offset:816
	buffer_load_dword v8, off, s[0:3], 0 offset:820
	buffer_load_dword v18, off, s[0:3], 0 offset:824
	buffer_load_dword v19, off, s[0:3], 0 offset:828
	s_waitcnt vmcnt(2)
	v_add_f64 v[7:8], v[7:8], -v[9:10]
	s_waitcnt vmcnt(0)
	v_add_f64 v[5:6], v[18:19], -v[5:6]
	buffer_store_dword v8, off, s[0:3], 0 offset:820
	buffer_store_dword v7, off, s[0:3], 0 offset:816
	buffer_store_dword v6, off, s[0:3], 0 offset:828
	buffer_store_dword v5, off, s[0:3], 0 offset:824
	ds_read2_b64 v[5:8], v12 offset0:104 offset1:105
	s_waitcnt lgkmcnt(0)
	v_mul_f64 v[9:10], v[7:8], v[3:4]
	v_fma_f64 v[9:10], v[5:6], v[1:2], -v[9:10]
	v_mul_f64 v[5:6], v[5:6], v[3:4]
	v_fma_f64 v[5:6], v[7:8], v[1:2], v[5:6]
	buffer_load_dword v7, off, s[0:3], 0 offset:832
	buffer_load_dword v8, off, s[0:3], 0 offset:836
	buffer_load_dword v18, off, s[0:3], 0 offset:840
	buffer_load_dword v19, off, s[0:3], 0 offset:844
	s_waitcnt vmcnt(2)
	v_add_f64 v[7:8], v[7:8], -v[9:10]
	;; [unrolled: 18-line block ×4, first 2 shown]
	s_waitcnt vmcnt(0)
	v_add_f64 v[5:6], v[18:19], -v[5:6]
	buffer_store_dword v8, off, s[0:3], 0 offset:868
	buffer_store_dword v7, off, s[0:3], 0 offset:864
	;; [unrolled: 1-line block ×4, first 2 shown]
	ds_read2_b64 v[5:8], v12 offset0:110 offset1:111
	s_waitcnt lgkmcnt(0)
	v_mul_f64 v[9:10], v[7:8], v[3:4]
	v_mul_f64 v[3:4], v[5:6], v[3:4]
	v_fma_f64 v[9:10], v[5:6], v[1:2], -v[9:10]
	v_fma_f64 v[1:2], v[7:8], v[1:2], v[3:4]
	buffer_load_dword v3, off, s[0:3], 0 offset:880
	buffer_load_dword v4, off, s[0:3], 0 offset:884
	;; [unrolled: 1-line block ×4, first 2 shown]
	s_waitcnt vmcnt(2)
	v_add_f64 v[3:4], v[3:4], -v[9:10]
	s_waitcnt vmcnt(0)
	v_add_f64 v[1:2], v[5:6], -v[1:2]
	buffer_store_dword v4, off, s[0:3], 0 offset:884
	buffer_store_dword v3, off, s[0:3], 0 offset:880
	;; [unrolled: 1-line block ×4, first 2 shown]
	ds_read2_b64 v[5:8], v12 offset0:112 offset1:113
	buffer_load_dword v1, off, s[0:3], 0 offset:688
	buffer_load_dword v2, off, s[0:3], 0 offset:692
	;; [unrolled: 1-line block ×4, first 2 shown]
	s_waitcnt vmcnt(0) lgkmcnt(0)
	v_mul_f64 v[9:10], v[7:8], v[3:4]
	v_fma_f64 v[9:10], v[5:6], v[1:2], -v[9:10]
	v_mul_f64 v[5:6], v[5:6], v[3:4]
	v_fma_f64 v[5:6], v[7:8], v[1:2], v[5:6]
	buffer_load_dword v8, off, s[0:3], 0 offset:900
	buffer_load_dword v7, off, s[0:3], 0 offset:896
	s_waitcnt vmcnt(0)
	v_add_f64 v[7:8], v[7:8], -v[9:10]
	buffer_load_dword v10, off, s[0:3], 0 offset:908
	buffer_load_dword v9, off, s[0:3], 0 offset:904
	s_waitcnt vmcnt(0)
	v_add_f64 v[5:6], v[9:10], -v[5:6]
	buffer_store_dword v8, off, s[0:3], 0 offset:900
	buffer_store_dword v7, off, s[0:3], 0 offset:896
	buffer_store_dword v6, off, s[0:3], 0 offset:908
	buffer_store_dword v5, off, s[0:3], 0 offset:904
	ds_read2_b64 v[5:8], v12 offset0:114 offset1:115
	s_waitcnt lgkmcnt(0)
	v_mul_f64 v[9:10], v[7:8], v[3:4]
	v_fma_f64 v[9:10], v[5:6], v[1:2], -v[9:10]
	v_mul_f64 v[5:6], v[5:6], v[3:4]
	v_fma_f64 v[5:6], v[7:8], v[1:2], v[5:6]
	buffer_load_dword v7, off, s[0:3], 0 offset:912
	buffer_load_dword v8, off, s[0:3], 0 offset:916
	buffer_load_dword v18, off, s[0:3], 0 offset:920
	buffer_load_dword v19, off, s[0:3], 0 offset:924
	s_waitcnt vmcnt(2)
	v_add_f64 v[7:8], v[7:8], -v[9:10]
	s_waitcnt vmcnt(0)
	v_add_f64 v[5:6], v[18:19], -v[5:6]
	buffer_store_dword v8, off, s[0:3], 0 offset:916
	buffer_store_dword v7, off, s[0:3], 0 offset:912
	buffer_store_dword v6, off, s[0:3], 0 offset:924
	buffer_store_dword v5, off, s[0:3], 0 offset:920
	ds_read2_b64 v[5:8], v12 offset0:116 offset1:117
	s_waitcnt lgkmcnt(0)
	v_mul_f64 v[9:10], v[7:8], v[3:4]
	v_fma_f64 v[9:10], v[5:6], v[1:2], -v[9:10]
	v_mul_f64 v[5:6], v[5:6], v[3:4]
	v_fma_f64 v[5:6], v[7:8], v[1:2], v[5:6]
	buffer_load_dword v7, off, s[0:3], 0 offset:928
	buffer_load_dword v8, off, s[0:3], 0 offset:932
	buffer_load_dword v18, off, s[0:3], 0 offset:936
	buffer_load_dword v19, off, s[0:3], 0 offset:940
	s_waitcnt vmcnt(2)
	v_add_f64 v[7:8], v[7:8], -v[9:10]
	;; [unrolled: 18-line block ×4, first 2 shown]
	s_waitcnt vmcnt(0)
	v_add_f64 v[5:6], v[18:19], -v[5:6]
	buffer_store_dword v8, off, s[0:3], 0 offset:964
	buffer_store_dword v7, off, s[0:3], 0 offset:960
	buffer_store_dword v6, off, s[0:3], 0 offset:972
	buffer_store_dword v5, off, s[0:3], 0 offset:968
	ds_read2_b64 v[5:8], v12 offset0:122 offset1:123
	s_waitcnt lgkmcnt(0)
	v_mul_f64 v[9:10], v[7:8], v[3:4]
	v_mul_f64 v[3:4], v[5:6], v[3:4]
	v_fma_f64 v[9:10], v[5:6], v[1:2], -v[9:10]
	v_fma_f64 v[1:2], v[7:8], v[1:2], v[3:4]
	buffer_load_dword v3, off, s[0:3], 0 offset:976
	buffer_load_dword v4, off, s[0:3], 0 offset:980
	buffer_load_dword v5, off, s[0:3], 0 offset:984
	buffer_load_dword v6, off, s[0:3], 0 offset:988
	s_waitcnt vmcnt(2)
	v_add_f64 v[3:4], v[3:4], -v[9:10]
	s_waitcnt vmcnt(0)
	v_add_f64 v[1:2], v[5:6], -v[1:2]
	buffer_store_dword v4, off, s[0:3], 0 offset:980
	buffer_store_dword v3, off, s[0:3], 0 offset:976
	;; [unrolled: 1-line block ×4, first 2 shown]
	ds_read2_b64 v[5:8], v12 offset0:124 offset1:125
	buffer_load_dword v1, off, s[0:3], 0 offset:688
	buffer_load_dword v2, off, s[0:3], 0 offset:692
	;; [unrolled: 1-line block ×4, first 2 shown]
	s_waitcnt vmcnt(0) lgkmcnt(0)
	v_mul_f64 v[9:10], v[7:8], v[3:4]
	v_fma_f64 v[9:10], v[5:6], v[1:2], -v[9:10]
	v_mul_f64 v[5:6], v[5:6], v[3:4]
	v_fma_f64 v[5:6], v[7:8], v[1:2], v[5:6]
	buffer_load_dword v8, off, s[0:3], 0 offset:996
	buffer_load_dword v7, off, s[0:3], 0 offset:992
	s_waitcnt vmcnt(0)
	v_add_f64 v[7:8], v[7:8], -v[9:10]
	buffer_load_dword v10, off, s[0:3], 0 offset:1004
	buffer_load_dword v9, off, s[0:3], 0 offset:1000
	s_waitcnt vmcnt(0)
	v_add_f64 v[5:6], v[9:10], -v[5:6]
	buffer_store_dword v8, off, s[0:3], 0 offset:996
	buffer_store_dword v7, off, s[0:3], 0 offset:992
	;; [unrolled: 1-line block ×4, first 2 shown]
	ds_read2_b64 v[7:10], v12 offset0:126 offset1:127
	s_waitcnt lgkmcnt(0)
	v_mul_f64 v[5:6], v[9:10], v[3:4]
	v_mul_f64 v[3:4], v[7:8], v[3:4]
	v_fma_f64 v[5:6], v[7:8], v[1:2], -v[5:6]
	v_fma_f64 v[1:2], v[9:10], v[1:2], v[3:4]
	buffer_load_dword v7, off, s[0:3], 0 offset:1008
	buffer_load_dword v8, off, s[0:3], 0 offset:1012
	;; [unrolled: 1-line block ×4, first 2 shown]
	s_waitcnt vmcnt(2)
	v_add_f64 v[5:6], v[7:8], -v[5:6]
	s_waitcnt vmcnt(0)
	v_add_f64 v[1:2], v[3:4], -v[1:2]
	buffer_store_dword v6, off, s[0:3], 0 offset:1012
	buffer_store_dword v5, off, s[0:3], 0 offset:1008
	;; [unrolled: 1-line block ×4, first 2 shown]
.LBB127_515:
	s_or_b64 exec, exec, s[6:7]
	v_cmp_eq_u32_e32 vcc, 44, v0
	s_waitcnt vmcnt(0) lgkmcnt(0)
	s_barrier
	s_and_saveexec_b64 s[8:9], vcc
	s_cbranch_execz .LBB127_522
; %bb.516:
	v_mov_b32_e32 v4, s35
	buffer_load_dword v1, v4, s[0:3], 0 offen
	buffer_load_dword v2, v4, s[0:3], 0 offen offset:4
	buffer_load_dword v3, v4, s[0:3], 0 offen offset:8
	s_nop 0
	buffer_load_dword v4, v4, s[0:3], 0 offen offset:12
	s_waitcnt vmcnt(0)
	ds_write2_b64 v11, v[1:2], v[3:4] offset1:1
	v_mov_b32_e32 v4, s34
	buffer_load_dword v1, v4, s[0:3], 0 offen
	buffer_load_dword v2, v4, s[0:3], 0 offen offset:4
	buffer_load_dword v3, v4, s[0:3], 0 offen offset:8
	s_nop 0
	buffer_load_dword v4, v4, s[0:3], 0 offen offset:12
	s_waitcnt vmcnt(0)
	ds_write2_b64 v12, v[1:2], v[3:4] offset0:90 offset1:91
	v_mov_b32_e32 v4, s31
	buffer_load_dword v1, v4, s[0:3], 0 offen
	buffer_load_dword v2, v4, s[0:3], 0 offen offset:4
	buffer_load_dword v3, v4, s[0:3], 0 offen offset:8
	s_nop 0
	buffer_load_dword v4, v4, s[0:3], 0 offen offset:12
	s_waitcnt vmcnt(0)
	ds_write2_b64 v12, v[1:2], v[3:4] offset0:92 offset1:93
	;; [unrolled: 8-line block ×19, first 2 shown]
	ds_read2_b64 v[1:4], v11 offset1:1
	s_waitcnt lgkmcnt(0)
	v_cmp_neq_f64_e32 vcc, 0, v[1:2]
	v_cmp_neq_f64_e64 s[6:7], 0, v[3:4]
	s_or_b64 s[6:7], vcc, s[6:7]
	s_and_b64 exec, exec, s[6:7]
	s_cbranch_execz .LBB127_522
; %bb.517:
	v_cmp_ngt_f64_e64 s[6:7], |v[1:2]|, |v[3:4]|
                                        ; implicit-def: $vgpr5_vgpr6
	s_and_saveexec_b64 s[10:11], s[6:7]
	s_xor_b64 s[6:7], exec, s[10:11]
                                        ; implicit-def: $vgpr7_vgpr8
	s_cbranch_execz .LBB127_519
; %bb.518:
	v_div_scale_f64 v[5:6], s[10:11], v[3:4], v[3:4], v[1:2]
	v_rcp_f64_e32 v[7:8], v[5:6]
	v_fma_f64 v[9:10], -v[5:6], v[7:8], 1.0
	v_fma_f64 v[7:8], v[7:8], v[9:10], v[7:8]
	v_div_scale_f64 v[9:10], vcc, v[1:2], v[3:4], v[1:2]
	v_fma_f64 v[18:19], -v[5:6], v[7:8], 1.0
	v_fma_f64 v[7:8], v[7:8], v[18:19], v[7:8]
	v_mul_f64 v[18:19], v[9:10], v[7:8]
	v_fma_f64 v[5:6], -v[5:6], v[18:19], v[9:10]
	v_div_fmas_f64 v[5:6], v[5:6], v[7:8], v[18:19]
	v_div_fixup_f64 v[5:6], v[5:6], v[3:4], v[1:2]
	v_fma_f64 v[1:2], v[1:2], v[5:6], v[3:4]
	v_div_scale_f64 v[3:4], s[10:11], v[1:2], v[1:2], 1.0
	v_div_scale_f64 v[18:19], vcc, 1.0, v[1:2], 1.0
	v_rcp_f64_e32 v[7:8], v[3:4]
	v_fma_f64 v[9:10], -v[3:4], v[7:8], 1.0
	v_fma_f64 v[7:8], v[7:8], v[9:10], v[7:8]
	v_fma_f64 v[9:10], -v[3:4], v[7:8], 1.0
	v_fma_f64 v[7:8], v[7:8], v[9:10], v[7:8]
	v_mul_f64 v[9:10], v[18:19], v[7:8]
	v_fma_f64 v[3:4], -v[3:4], v[9:10], v[18:19]
	v_div_fmas_f64 v[3:4], v[3:4], v[7:8], v[9:10]
	v_div_fixup_f64 v[7:8], v[3:4], v[1:2], 1.0
                                        ; implicit-def: $vgpr1_vgpr2
	v_mul_f64 v[5:6], v[5:6], v[7:8]
	v_xor_b32_e32 v8, 0x80000000, v8
.LBB127_519:
	s_andn2_saveexec_b64 s[6:7], s[6:7]
	s_cbranch_execz .LBB127_521
; %bb.520:
	v_div_scale_f64 v[5:6], s[10:11], v[1:2], v[1:2], v[3:4]
	v_rcp_f64_e32 v[7:8], v[5:6]
	v_fma_f64 v[9:10], -v[5:6], v[7:8], 1.0
	v_fma_f64 v[7:8], v[7:8], v[9:10], v[7:8]
	v_div_scale_f64 v[9:10], vcc, v[3:4], v[1:2], v[3:4]
	v_fma_f64 v[18:19], -v[5:6], v[7:8], 1.0
	v_fma_f64 v[7:8], v[7:8], v[18:19], v[7:8]
	v_mul_f64 v[18:19], v[9:10], v[7:8]
	v_fma_f64 v[5:6], -v[5:6], v[18:19], v[9:10]
	v_div_fmas_f64 v[5:6], v[5:6], v[7:8], v[18:19]
	v_div_fixup_f64 v[7:8], v[5:6], v[1:2], v[3:4]
	v_fma_f64 v[1:2], v[3:4], v[7:8], v[1:2]
	v_div_scale_f64 v[3:4], s[10:11], v[1:2], v[1:2], 1.0
	v_div_scale_f64 v[18:19], vcc, 1.0, v[1:2], 1.0
	v_rcp_f64_e32 v[5:6], v[3:4]
	v_fma_f64 v[9:10], -v[3:4], v[5:6], 1.0
	v_fma_f64 v[5:6], v[5:6], v[9:10], v[5:6]
	v_fma_f64 v[9:10], -v[3:4], v[5:6], 1.0
	v_fma_f64 v[5:6], v[5:6], v[9:10], v[5:6]
	v_mul_f64 v[9:10], v[18:19], v[5:6]
	v_fma_f64 v[3:4], -v[3:4], v[9:10], v[18:19]
	v_div_fmas_f64 v[3:4], v[3:4], v[5:6], v[9:10]
	v_div_fixup_f64 v[5:6], v[3:4], v[1:2], 1.0
	v_mul_f64 v[7:8], v[7:8], -v[5:6]
.LBB127_521:
	s_or_b64 exec, exec, s[6:7]
	ds_write2_b64 v11, v[5:6], v[7:8] offset1:1
.LBB127_522:
	s_or_b64 exec, exec, s[8:9]
	s_waitcnt lgkmcnt(0)
	s_barrier
	ds_read2_b64 v[53:56], v11 offset1:1
	v_cmp_lt_u32_e32 vcc, 44, v0
	s_and_saveexec_b64 s[6:7], vcc
	s_cbranch_execz .LBB127_524
; %bb.523:
	buffer_load_dword v3, off, s[0:3], 0 offset:704
	buffer_load_dword v4, off, s[0:3], 0 offset:708
	;; [unrolled: 1-line block ×16, first 2 shown]
	s_waitcnt vmcnt(12) lgkmcnt(0)
	v_mul_f64 v[1:2], v[55:56], v[5:6]
	v_mul_f64 v[5:6], v[53:54], v[5:6]
	v_fma_f64 v[1:2], v[53:54], v[3:4], -v[1:2]
	v_fma_f64 v[3:4], v[55:56], v[3:4], v[5:6]
	buffer_store_dword v1, off, s[0:3], 0 offset:704
	buffer_store_dword v2, off, s[0:3], 0 offset:708
	buffer_store_dword v3, off, s[0:3], 0 offset:712
	buffer_store_dword v4, off, s[0:3], 0 offset:716
	ds_read2_b64 v[5:8], v12 offset0:90 offset1:91
	s_waitcnt lgkmcnt(0)
	v_mul_f64 v[65:66], v[7:8], v[3:4]
	v_fma_f64 v[65:66], v[5:6], v[1:2], -v[65:66]
	v_mul_f64 v[5:6], v[5:6], v[3:4]
	v_fma_f64 v[5:6], v[7:8], v[1:2], v[5:6]
	s_waitcnt vmcnt(14)
	v_add_f64 v[7:8], v[9:10], -v[65:66]
	s_waitcnt vmcnt(12)
	v_add_f64 v[5:6], v[18:19], -v[5:6]
	buffer_store_dword v7, off, s[0:3], 0 offset:720
	buffer_store_dword v8, off, s[0:3], 0 offset:724
	buffer_store_dword v5, off, s[0:3], 0 offset:728
	buffer_store_dword v6, off, s[0:3], 0 offset:732
	ds_read2_b64 v[5:8], v12 offset0:92 offset1:93
	s_waitcnt lgkmcnt(0)
	v_mul_f64 v[9:10], v[7:8], v[3:4]
	v_fma_f64 v[9:10], v[5:6], v[1:2], -v[9:10]
	v_mul_f64 v[5:6], v[5:6], v[3:4]
	v_fma_f64 v[5:6], v[7:8], v[1:2], v[5:6]
	s_waitcnt vmcnt(14)
	v_add_f64 v[7:8], v[57:58], -v[9:10]
	s_waitcnt vmcnt(12)
	v_add_f64 v[5:6], v[59:60], -v[5:6]
	;; [unrolled: 14-line block ×3, first 2 shown]
	buffer_store_dword v8, off, s[0:3], 0 offset:756
	buffer_store_dword v7, off, s[0:3], 0 offset:752
	;; [unrolled: 1-line block ×4, first 2 shown]
	ds_read2_b64 v[5:8], v12 offset0:96 offset1:97
	s_waitcnt lgkmcnt(0)
	v_mul_f64 v[9:10], v[7:8], v[3:4]
	v_fma_f64 v[9:10], v[5:6], v[1:2], -v[9:10]
	v_mul_f64 v[5:6], v[5:6], v[3:4]
	v_fma_f64 v[5:6], v[7:8], v[1:2], v[5:6]
	buffer_load_dword v7, off, s[0:3], 0 offset:768
	buffer_load_dword v8, off, s[0:3], 0 offset:772
	;; [unrolled: 1-line block ×4, first 2 shown]
	s_waitcnt vmcnt(2)
	v_add_f64 v[7:8], v[7:8], -v[9:10]
	s_waitcnt vmcnt(0)
	v_add_f64 v[5:6], v[18:19], -v[5:6]
	buffer_store_dword v8, off, s[0:3], 0 offset:772
	buffer_store_dword v7, off, s[0:3], 0 offset:768
	buffer_store_dword v6, off, s[0:3], 0 offset:780
	buffer_store_dword v5, off, s[0:3], 0 offset:776
	ds_read2_b64 v[5:8], v12 offset0:98 offset1:99
	s_waitcnt lgkmcnt(0)
	v_mul_f64 v[9:10], v[7:8], v[3:4]
	v_fma_f64 v[9:10], v[5:6], v[1:2], -v[9:10]
	v_mul_f64 v[5:6], v[5:6], v[3:4]
	v_fma_f64 v[5:6], v[7:8], v[1:2], v[5:6]
	buffer_load_dword v7, off, s[0:3], 0 offset:784
	buffer_load_dword v8, off, s[0:3], 0 offset:788
	;; [unrolled: 1-line block ×4, first 2 shown]
	s_waitcnt vmcnt(2)
	v_add_f64 v[7:8], v[7:8], -v[9:10]
	s_waitcnt vmcnt(0)
	v_add_f64 v[5:6], v[18:19], -v[5:6]
	buffer_store_dword v8, off, s[0:3], 0 offset:788
	buffer_store_dword v7, off, s[0:3], 0 offset:784
	;; [unrolled: 1-line block ×4, first 2 shown]
	ds_read2_b64 v[5:8], v12 offset0:100 offset1:101
	s_waitcnt lgkmcnt(0)
	v_mul_f64 v[9:10], v[7:8], v[3:4]
	v_mul_f64 v[3:4], v[5:6], v[3:4]
	v_fma_f64 v[9:10], v[5:6], v[1:2], -v[9:10]
	v_fma_f64 v[1:2], v[7:8], v[1:2], v[3:4]
	buffer_load_dword v3, off, s[0:3], 0 offset:800
	buffer_load_dword v4, off, s[0:3], 0 offset:804
	;; [unrolled: 1-line block ×4, first 2 shown]
	s_waitcnt vmcnt(2)
	v_add_f64 v[3:4], v[3:4], -v[9:10]
	s_waitcnt vmcnt(0)
	v_add_f64 v[1:2], v[5:6], -v[1:2]
	buffer_store_dword v4, off, s[0:3], 0 offset:804
	buffer_store_dword v3, off, s[0:3], 0 offset:800
	;; [unrolled: 1-line block ×4, first 2 shown]
	ds_read2_b64 v[5:8], v12 offset0:102 offset1:103
	buffer_load_dword v1, off, s[0:3], 0 offset:704
	buffer_load_dword v2, off, s[0:3], 0 offset:708
	;; [unrolled: 1-line block ×4, first 2 shown]
	s_waitcnt vmcnt(0) lgkmcnt(0)
	v_mul_f64 v[9:10], v[7:8], v[3:4]
	v_fma_f64 v[9:10], v[5:6], v[1:2], -v[9:10]
	v_mul_f64 v[5:6], v[5:6], v[3:4]
	v_fma_f64 v[5:6], v[7:8], v[1:2], v[5:6]
	buffer_load_dword v8, off, s[0:3], 0 offset:820
	buffer_load_dword v7, off, s[0:3], 0 offset:816
	s_waitcnt vmcnt(0)
	v_add_f64 v[7:8], v[7:8], -v[9:10]
	buffer_load_dword v10, off, s[0:3], 0 offset:828
	buffer_load_dword v9, off, s[0:3], 0 offset:824
	s_waitcnt vmcnt(0)
	v_add_f64 v[5:6], v[9:10], -v[5:6]
	buffer_store_dword v8, off, s[0:3], 0 offset:820
	buffer_store_dword v7, off, s[0:3], 0 offset:816
	buffer_store_dword v6, off, s[0:3], 0 offset:828
	buffer_store_dword v5, off, s[0:3], 0 offset:824
	ds_read2_b64 v[5:8], v12 offset0:104 offset1:105
	s_waitcnt lgkmcnt(0)
	v_mul_f64 v[9:10], v[7:8], v[3:4]
	v_fma_f64 v[9:10], v[5:6], v[1:2], -v[9:10]
	v_mul_f64 v[5:6], v[5:6], v[3:4]
	v_fma_f64 v[5:6], v[7:8], v[1:2], v[5:6]
	buffer_load_dword v7, off, s[0:3], 0 offset:832
	buffer_load_dword v8, off, s[0:3], 0 offset:836
	buffer_load_dword v18, off, s[0:3], 0 offset:840
	buffer_load_dword v19, off, s[0:3], 0 offset:844
	s_waitcnt vmcnt(2)
	v_add_f64 v[7:8], v[7:8], -v[9:10]
	s_waitcnt vmcnt(0)
	v_add_f64 v[5:6], v[18:19], -v[5:6]
	buffer_store_dword v8, off, s[0:3], 0 offset:836
	buffer_store_dword v7, off, s[0:3], 0 offset:832
	buffer_store_dword v6, off, s[0:3], 0 offset:844
	buffer_store_dword v5, off, s[0:3], 0 offset:840
	ds_read2_b64 v[5:8], v12 offset0:106 offset1:107
	s_waitcnt lgkmcnt(0)
	v_mul_f64 v[9:10], v[7:8], v[3:4]
	v_fma_f64 v[9:10], v[5:6], v[1:2], -v[9:10]
	v_mul_f64 v[5:6], v[5:6], v[3:4]
	v_fma_f64 v[5:6], v[7:8], v[1:2], v[5:6]
	buffer_load_dword v7, off, s[0:3], 0 offset:848
	buffer_load_dword v8, off, s[0:3], 0 offset:852
	buffer_load_dword v18, off, s[0:3], 0 offset:856
	buffer_load_dword v19, off, s[0:3], 0 offset:860
	s_waitcnt vmcnt(2)
	v_add_f64 v[7:8], v[7:8], -v[9:10]
	;; [unrolled: 18-line block ×4, first 2 shown]
	s_waitcnt vmcnt(0)
	v_add_f64 v[5:6], v[18:19], -v[5:6]
	buffer_store_dword v8, off, s[0:3], 0 offset:884
	buffer_store_dword v7, off, s[0:3], 0 offset:880
	;; [unrolled: 1-line block ×4, first 2 shown]
	ds_read2_b64 v[5:8], v12 offset0:112 offset1:113
	s_waitcnt lgkmcnt(0)
	v_mul_f64 v[9:10], v[7:8], v[3:4]
	v_mul_f64 v[3:4], v[5:6], v[3:4]
	v_fma_f64 v[9:10], v[5:6], v[1:2], -v[9:10]
	v_fma_f64 v[1:2], v[7:8], v[1:2], v[3:4]
	buffer_load_dword v3, off, s[0:3], 0 offset:896
	buffer_load_dword v4, off, s[0:3], 0 offset:900
	;; [unrolled: 1-line block ×4, first 2 shown]
	s_waitcnt vmcnt(2)
	v_add_f64 v[3:4], v[3:4], -v[9:10]
	s_waitcnt vmcnt(0)
	v_add_f64 v[1:2], v[5:6], -v[1:2]
	buffer_store_dword v4, off, s[0:3], 0 offset:900
	buffer_store_dword v3, off, s[0:3], 0 offset:896
	;; [unrolled: 1-line block ×4, first 2 shown]
	ds_read2_b64 v[5:8], v12 offset0:114 offset1:115
	buffer_load_dword v1, off, s[0:3], 0 offset:704
	buffer_load_dword v2, off, s[0:3], 0 offset:708
	;; [unrolled: 1-line block ×4, first 2 shown]
	s_waitcnt vmcnt(0) lgkmcnt(0)
	v_mul_f64 v[9:10], v[7:8], v[3:4]
	v_fma_f64 v[9:10], v[5:6], v[1:2], -v[9:10]
	v_mul_f64 v[5:6], v[5:6], v[3:4]
	v_fma_f64 v[5:6], v[7:8], v[1:2], v[5:6]
	buffer_load_dword v8, off, s[0:3], 0 offset:916
	buffer_load_dword v7, off, s[0:3], 0 offset:912
	s_waitcnt vmcnt(0)
	v_add_f64 v[7:8], v[7:8], -v[9:10]
	buffer_load_dword v10, off, s[0:3], 0 offset:924
	buffer_load_dword v9, off, s[0:3], 0 offset:920
	s_waitcnt vmcnt(0)
	v_add_f64 v[5:6], v[9:10], -v[5:6]
	buffer_store_dword v8, off, s[0:3], 0 offset:916
	buffer_store_dword v7, off, s[0:3], 0 offset:912
	buffer_store_dword v6, off, s[0:3], 0 offset:924
	buffer_store_dword v5, off, s[0:3], 0 offset:920
	ds_read2_b64 v[5:8], v12 offset0:116 offset1:117
	s_waitcnt lgkmcnt(0)
	v_mul_f64 v[9:10], v[7:8], v[3:4]
	v_fma_f64 v[9:10], v[5:6], v[1:2], -v[9:10]
	v_mul_f64 v[5:6], v[5:6], v[3:4]
	v_fma_f64 v[5:6], v[7:8], v[1:2], v[5:6]
	buffer_load_dword v7, off, s[0:3], 0 offset:928
	buffer_load_dword v8, off, s[0:3], 0 offset:932
	buffer_load_dword v18, off, s[0:3], 0 offset:936
	buffer_load_dword v19, off, s[0:3], 0 offset:940
	s_waitcnt vmcnt(2)
	v_add_f64 v[7:8], v[7:8], -v[9:10]
	s_waitcnt vmcnt(0)
	v_add_f64 v[5:6], v[18:19], -v[5:6]
	buffer_store_dword v8, off, s[0:3], 0 offset:932
	buffer_store_dword v7, off, s[0:3], 0 offset:928
	buffer_store_dword v6, off, s[0:3], 0 offset:940
	buffer_store_dword v5, off, s[0:3], 0 offset:936
	ds_read2_b64 v[5:8], v12 offset0:118 offset1:119
	s_waitcnt lgkmcnt(0)
	v_mul_f64 v[9:10], v[7:8], v[3:4]
	v_fma_f64 v[9:10], v[5:6], v[1:2], -v[9:10]
	v_mul_f64 v[5:6], v[5:6], v[3:4]
	v_fma_f64 v[5:6], v[7:8], v[1:2], v[5:6]
	buffer_load_dword v7, off, s[0:3], 0 offset:944
	buffer_load_dword v8, off, s[0:3], 0 offset:948
	buffer_load_dword v18, off, s[0:3], 0 offset:952
	buffer_load_dword v19, off, s[0:3], 0 offset:956
	s_waitcnt vmcnt(2)
	v_add_f64 v[7:8], v[7:8], -v[9:10]
	;; [unrolled: 18-line block ×4, first 2 shown]
	s_waitcnt vmcnt(0)
	v_add_f64 v[5:6], v[18:19], -v[5:6]
	buffer_store_dword v8, off, s[0:3], 0 offset:980
	buffer_store_dword v7, off, s[0:3], 0 offset:976
	;; [unrolled: 1-line block ×4, first 2 shown]
	ds_read2_b64 v[5:8], v12 offset0:124 offset1:125
	s_waitcnt lgkmcnt(0)
	v_mul_f64 v[9:10], v[7:8], v[3:4]
	v_mul_f64 v[3:4], v[5:6], v[3:4]
	v_fma_f64 v[9:10], v[5:6], v[1:2], -v[9:10]
	v_fma_f64 v[1:2], v[7:8], v[1:2], v[3:4]
	buffer_load_dword v3, off, s[0:3], 0 offset:992
	buffer_load_dword v4, off, s[0:3], 0 offset:996
	;; [unrolled: 1-line block ×4, first 2 shown]
	s_waitcnt vmcnt(2)
	v_add_f64 v[3:4], v[3:4], -v[9:10]
	s_waitcnt vmcnt(0)
	v_add_f64 v[1:2], v[5:6], -v[1:2]
	buffer_store_dword v4, off, s[0:3], 0 offset:996
	buffer_store_dword v3, off, s[0:3], 0 offset:992
	;; [unrolled: 1-line block ×4, first 2 shown]
	ds_read2_b64 v[5:8], v12 offset0:126 offset1:127
	buffer_load_dword v1, off, s[0:3], 0 offset:704
	buffer_load_dword v2, off, s[0:3], 0 offset:708
	;; [unrolled: 1-line block ×4, first 2 shown]
	s_waitcnt vmcnt(0) lgkmcnt(0)
	v_mul_f64 v[3:4], v[7:8], v[9:10]
	v_fma_f64 v[3:4], v[5:6], v[1:2], -v[3:4]
	v_mul_f64 v[5:6], v[5:6], v[9:10]
	v_fma_f64 v[1:2], v[7:8], v[1:2], v[5:6]
	buffer_load_dword v6, off, s[0:3], 0 offset:1012
	buffer_load_dword v5, off, s[0:3], 0 offset:1008
	s_waitcnt vmcnt(0)
	v_add_f64 v[3:4], v[5:6], -v[3:4]
	buffer_load_dword v6, off, s[0:3], 0 offset:1020
	buffer_load_dword v5, off, s[0:3], 0 offset:1016
	s_waitcnt vmcnt(0)
	v_add_f64 v[1:2], v[5:6], -v[1:2]
	buffer_store_dword v4, off, s[0:3], 0 offset:1012
	buffer_store_dword v3, off, s[0:3], 0 offset:1008
	;; [unrolled: 1-line block ×4, first 2 shown]
.LBB127_524:
	s_or_b64 exec, exec, s[6:7]
	v_cmp_eq_u32_e32 vcc, 45, v0
	s_waitcnt vmcnt(0) lgkmcnt(0)
	s_barrier
	s_and_saveexec_b64 s[8:9], vcc
	s_cbranch_execz .LBB127_531
; %bb.525:
	v_mov_b32_e32 v4, s34
	buffer_load_dword v1, v4, s[0:3], 0 offen
	buffer_load_dword v2, v4, s[0:3], 0 offen offset:4
	buffer_load_dword v3, v4, s[0:3], 0 offen offset:8
	s_nop 0
	buffer_load_dword v4, v4, s[0:3], 0 offen offset:12
	s_waitcnt vmcnt(0)
	ds_write2_b64 v11, v[1:2], v[3:4] offset1:1
	v_mov_b32_e32 v4, s31
	buffer_load_dword v1, v4, s[0:3], 0 offen
	buffer_load_dword v2, v4, s[0:3], 0 offen offset:4
	buffer_load_dword v3, v4, s[0:3], 0 offen offset:8
	s_nop 0
	buffer_load_dword v4, v4, s[0:3], 0 offen offset:12
	s_waitcnt vmcnt(0)
	ds_write2_b64 v12, v[1:2], v[3:4] offset0:92 offset1:93
	v_mov_b32_e32 v4, s30
	buffer_load_dword v1, v4, s[0:3], 0 offen
	buffer_load_dword v2, v4, s[0:3], 0 offen offset:4
	buffer_load_dword v3, v4, s[0:3], 0 offen offset:8
	s_nop 0
	buffer_load_dword v4, v4, s[0:3], 0 offen offset:12
	s_waitcnt vmcnt(0)
	ds_write2_b64 v12, v[1:2], v[3:4] offset0:94 offset1:95
	;; [unrolled: 8-line block ×18, first 2 shown]
	ds_read2_b64 v[1:4], v11 offset1:1
	s_waitcnt lgkmcnt(0)
	v_cmp_neq_f64_e32 vcc, 0, v[1:2]
	v_cmp_neq_f64_e64 s[6:7], 0, v[3:4]
	s_or_b64 s[6:7], vcc, s[6:7]
	s_and_b64 exec, exec, s[6:7]
	s_cbranch_execz .LBB127_531
; %bb.526:
	v_cmp_ngt_f64_e64 s[6:7], |v[1:2]|, |v[3:4]|
                                        ; implicit-def: $vgpr5_vgpr6
	s_and_saveexec_b64 s[10:11], s[6:7]
	s_xor_b64 s[6:7], exec, s[10:11]
                                        ; implicit-def: $vgpr7_vgpr8
	s_cbranch_execz .LBB127_528
; %bb.527:
	v_div_scale_f64 v[5:6], s[10:11], v[3:4], v[3:4], v[1:2]
	v_rcp_f64_e32 v[7:8], v[5:6]
	v_fma_f64 v[9:10], -v[5:6], v[7:8], 1.0
	v_fma_f64 v[7:8], v[7:8], v[9:10], v[7:8]
	v_div_scale_f64 v[9:10], vcc, v[1:2], v[3:4], v[1:2]
	v_fma_f64 v[18:19], -v[5:6], v[7:8], 1.0
	v_fma_f64 v[7:8], v[7:8], v[18:19], v[7:8]
	v_mul_f64 v[18:19], v[9:10], v[7:8]
	v_fma_f64 v[5:6], -v[5:6], v[18:19], v[9:10]
	v_div_fmas_f64 v[5:6], v[5:6], v[7:8], v[18:19]
	v_div_fixup_f64 v[5:6], v[5:6], v[3:4], v[1:2]
	v_fma_f64 v[1:2], v[1:2], v[5:6], v[3:4]
	v_div_scale_f64 v[3:4], s[10:11], v[1:2], v[1:2], 1.0
	v_div_scale_f64 v[18:19], vcc, 1.0, v[1:2], 1.0
	v_rcp_f64_e32 v[7:8], v[3:4]
	v_fma_f64 v[9:10], -v[3:4], v[7:8], 1.0
	v_fma_f64 v[7:8], v[7:8], v[9:10], v[7:8]
	v_fma_f64 v[9:10], -v[3:4], v[7:8], 1.0
	v_fma_f64 v[7:8], v[7:8], v[9:10], v[7:8]
	v_mul_f64 v[9:10], v[18:19], v[7:8]
	v_fma_f64 v[3:4], -v[3:4], v[9:10], v[18:19]
	v_div_fmas_f64 v[3:4], v[3:4], v[7:8], v[9:10]
	v_div_fixup_f64 v[7:8], v[3:4], v[1:2], 1.0
                                        ; implicit-def: $vgpr1_vgpr2
	v_mul_f64 v[5:6], v[5:6], v[7:8]
	v_xor_b32_e32 v8, 0x80000000, v8
.LBB127_528:
	s_andn2_saveexec_b64 s[6:7], s[6:7]
	s_cbranch_execz .LBB127_530
; %bb.529:
	v_div_scale_f64 v[5:6], s[10:11], v[1:2], v[1:2], v[3:4]
	v_rcp_f64_e32 v[7:8], v[5:6]
	v_fma_f64 v[9:10], -v[5:6], v[7:8], 1.0
	v_fma_f64 v[7:8], v[7:8], v[9:10], v[7:8]
	v_div_scale_f64 v[9:10], vcc, v[3:4], v[1:2], v[3:4]
	v_fma_f64 v[18:19], -v[5:6], v[7:8], 1.0
	v_fma_f64 v[7:8], v[7:8], v[18:19], v[7:8]
	v_mul_f64 v[18:19], v[9:10], v[7:8]
	v_fma_f64 v[5:6], -v[5:6], v[18:19], v[9:10]
	v_div_fmas_f64 v[5:6], v[5:6], v[7:8], v[18:19]
	v_div_fixup_f64 v[7:8], v[5:6], v[1:2], v[3:4]
	v_fma_f64 v[1:2], v[3:4], v[7:8], v[1:2]
	v_div_scale_f64 v[3:4], s[10:11], v[1:2], v[1:2], 1.0
	v_div_scale_f64 v[18:19], vcc, 1.0, v[1:2], 1.0
	v_rcp_f64_e32 v[5:6], v[3:4]
	v_fma_f64 v[9:10], -v[3:4], v[5:6], 1.0
	v_fma_f64 v[5:6], v[5:6], v[9:10], v[5:6]
	v_fma_f64 v[9:10], -v[3:4], v[5:6], 1.0
	v_fma_f64 v[5:6], v[5:6], v[9:10], v[5:6]
	v_mul_f64 v[9:10], v[18:19], v[5:6]
	v_fma_f64 v[3:4], -v[3:4], v[9:10], v[18:19]
	v_div_fmas_f64 v[3:4], v[3:4], v[5:6], v[9:10]
	v_div_fixup_f64 v[5:6], v[3:4], v[1:2], 1.0
	v_mul_f64 v[7:8], v[7:8], -v[5:6]
.LBB127_530:
	s_or_b64 exec, exec, s[6:7]
	ds_write2_b64 v11, v[5:6], v[7:8] offset1:1
.LBB127_531:
	s_or_b64 exec, exec, s[8:9]
	s_waitcnt lgkmcnt(0)
	s_barrier
	ds_read2_b64 v[57:60], v11 offset1:1
	v_cmp_lt_u32_e32 vcc, 45, v0
	s_and_saveexec_b64 s[6:7], vcc
	s_cbranch_execz .LBB127_533
; %bb.532:
	buffer_load_dword v3, off, s[0:3], 0 offset:720
	buffer_load_dword v4, off, s[0:3], 0 offset:724
	;; [unrolled: 1-line block ×16, first 2 shown]
	s_waitcnt vmcnt(12) lgkmcnt(0)
	v_mul_f64 v[1:2], v[59:60], v[5:6]
	v_mul_f64 v[5:6], v[57:58], v[5:6]
	v_fma_f64 v[1:2], v[57:58], v[3:4], -v[1:2]
	v_fma_f64 v[3:4], v[59:60], v[3:4], v[5:6]
	buffer_store_dword v1, off, s[0:3], 0 offset:720
	buffer_store_dword v2, off, s[0:3], 0 offset:724
	buffer_store_dword v3, off, s[0:3], 0 offset:728
	buffer_store_dword v4, off, s[0:3], 0 offset:732
	ds_read2_b64 v[5:8], v12 offset0:92 offset1:93
	s_waitcnt lgkmcnt(0)
	v_mul_f64 v[69:70], v[7:8], v[3:4]
	v_fma_f64 v[69:70], v[5:6], v[1:2], -v[69:70]
	v_mul_f64 v[5:6], v[5:6], v[3:4]
	v_fma_f64 v[5:6], v[7:8], v[1:2], v[5:6]
	s_waitcnt vmcnt(14)
	v_add_f64 v[7:8], v[9:10], -v[69:70]
	s_waitcnt vmcnt(12)
	v_add_f64 v[5:6], v[18:19], -v[5:6]
	buffer_store_dword v7, off, s[0:3], 0 offset:736
	buffer_store_dword v8, off, s[0:3], 0 offset:740
	buffer_store_dword v5, off, s[0:3], 0 offset:744
	buffer_store_dword v6, off, s[0:3], 0 offset:748
	ds_read2_b64 v[5:8], v12 offset0:94 offset1:95
	s_waitcnt lgkmcnt(0)
	v_mul_f64 v[9:10], v[7:8], v[3:4]
	v_fma_f64 v[9:10], v[5:6], v[1:2], -v[9:10]
	v_mul_f64 v[5:6], v[5:6], v[3:4]
	v_fma_f64 v[5:6], v[7:8], v[1:2], v[5:6]
	s_waitcnt vmcnt(14)
	v_add_f64 v[7:8], v[61:62], -v[9:10]
	s_waitcnt vmcnt(12)
	v_add_f64 v[5:6], v[63:64], -v[5:6]
	;; [unrolled: 14-line block ×3, first 2 shown]
	buffer_store_dword v8, off, s[0:3], 0 offset:772
	buffer_store_dword v7, off, s[0:3], 0 offset:768
	buffer_store_dword v5, off, s[0:3], 0 offset:776
	buffer_store_dword v6, off, s[0:3], 0 offset:780
	ds_read2_b64 v[5:8], v12 offset0:98 offset1:99
	s_waitcnt lgkmcnt(0)
	v_mul_f64 v[9:10], v[7:8], v[3:4]
	v_fma_f64 v[9:10], v[5:6], v[1:2], -v[9:10]
	v_mul_f64 v[5:6], v[5:6], v[3:4]
	v_fma_f64 v[5:6], v[7:8], v[1:2], v[5:6]
	buffer_load_dword v7, off, s[0:3], 0 offset:784
	buffer_load_dword v8, off, s[0:3], 0 offset:788
	;; [unrolled: 1-line block ×4, first 2 shown]
	s_waitcnt vmcnt(2)
	v_add_f64 v[7:8], v[7:8], -v[9:10]
	s_waitcnt vmcnt(0)
	v_add_f64 v[5:6], v[18:19], -v[5:6]
	buffer_store_dword v8, off, s[0:3], 0 offset:788
	buffer_store_dword v7, off, s[0:3], 0 offset:784
	;; [unrolled: 1-line block ×4, first 2 shown]
	ds_read2_b64 v[5:8], v12 offset0:100 offset1:101
	s_waitcnt lgkmcnt(0)
	v_mul_f64 v[9:10], v[7:8], v[3:4]
	v_fma_f64 v[9:10], v[5:6], v[1:2], -v[9:10]
	v_mul_f64 v[5:6], v[5:6], v[3:4]
	v_fma_f64 v[5:6], v[7:8], v[1:2], v[5:6]
	buffer_load_dword v7, off, s[0:3], 0 offset:800
	buffer_load_dword v8, off, s[0:3], 0 offset:804
	;; [unrolled: 1-line block ×4, first 2 shown]
	s_waitcnt vmcnt(2)
	v_add_f64 v[7:8], v[7:8], -v[9:10]
	s_waitcnt vmcnt(0)
	v_add_f64 v[5:6], v[18:19], -v[5:6]
	buffer_store_dword v8, off, s[0:3], 0 offset:804
	buffer_store_dword v7, off, s[0:3], 0 offset:800
	buffer_store_dword v6, off, s[0:3], 0 offset:812
	buffer_store_dword v5, off, s[0:3], 0 offset:808
	ds_read2_b64 v[5:8], v12 offset0:102 offset1:103
	s_waitcnt lgkmcnt(0)
	v_mul_f64 v[9:10], v[7:8], v[3:4]
	v_mul_f64 v[3:4], v[5:6], v[3:4]
	v_fma_f64 v[9:10], v[5:6], v[1:2], -v[9:10]
	v_fma_f64 v[1:2], v[7:8], v[1:2], v[3:4]
	buffer_load_dword v3, off, s[0:3], 0 offset:816
	buffer_load_dword v4, off, s[0:3], 0 offset:820
	;; [unrolled: 1-line block ×4, first 2 shown]
	s_waitcnt vmcnt(2)
	v_add_f64 v[3:4], v[3:4], -v[9:10]
	s_waitcnt vmcnt(0)
	v_add_f64 v[1:2], v[5:6], -v[1:2]
	buffer_store_dword v4, off, s[0:3], 0 offset:820
	buffer_store_dword v3, off, s[0:3], 0 offset:816
	;; [unrolled: 1-line block ×4, first 2 shown]
	ds_read2_b64 v[5:8], v12 offset0:104 offset1:105
	buffer_load_dword v1, off, s[0:3], 0 offset:720
	buffer_load_dword v2, off, s[0:3], 0 offset:724
	buffer_load_dword v3, off, s[0:3], 0 offset:728
	buffer_load_dword v4, off, s[0:3], 0 offset:732
	s_waitcnt vmcnt(0) lgkmcnt(0)
	v_mul_f64 v[9:10], v[7:8], v[3:4]
	v_fma_f64 v[9:10], v[5:6], v[1:2], -v[9:10]
	v_mul_f64 v[5:6], v[5:6], v[3:4]
	v_fma_f64 v[5:6], v[7:8], v[1:2], v[5:6]
	buffer_load_dword v8, off, s[0:3], 0 offset:836
	buffer_load_dword v7, off, s[0:3], 0 offset:832
	s_waitcnt vmcnt(0)
	v_add_f64 v[7:8], v[7:8], -v[9:10]
	buffer_load_dword v10, off, s[0:3], 0 offset:844
	buffer_load_dword v9, off, s[0:3], 0 offset:840
	s_waitcnt vmcnt(0)
	v_add_f64 v[5:6], v[9:10], -v[5:6]
	buffer_store_dword v8, off, s[0:3], 0 offset:836
	buffer_store_dword v7, off, s[0:3], 0 offset:832
	buffer_store_dword v6, off, s[0:3], 0 offset:844
	buffer_store_dword v5, off, s[0:3], 0 offset:840
	ds_read2_b64 v[5:8], v12 offset0:106 offset1:107
	s_waitcnt lgkmcnt(0)
	v_mul_f64 v[9:10], v[7:8], v[3:4]
	v_fma_f64 v[9:10], v[5:6], v[1:2], -v[9:10]
	v_mul_f64 v[5:6], v[5:6], v[3:4]
	v_fma_f64 v[5:6], v[7:8], v[1:2], v[5:6]
	buffer_load_dword v7, off, s[0:3], 0 offset:848
	buffer_load_dword v8, off, s[0:3], 0 offset:852
	buffer_load_dword v18, off, s[0:3], 0 offset:856
	buffer_load_dword v19, off, s[0:3], 0 offset:860
	s_waitcnt vmcnt(2)
	v_add_f64 v[7:8], v[7:8], -v[9:10]
	s_waitcnt vmcnt(0)
	v_add_f64 v[5:6], v[18:19], -v[5:6]
	buffer_store_dword v8, off, s[0:3], 0 offset:852
	buffer_store_dword v7, off, s[0:3], 0 offset:848
	buffer_store_dword v6, off, s[0:3], 0 offset:860
	buffer_store_dword v5, off, s[0:3], 0 offset:856
	ds_read2_b64 v[5:8], v12 offset0:108 offset1:109
	s_waitcnt lgkmcnt(0)
	v_mul_f64 v[9:10], v[7:8], v[3:4]
	v_fma_f64 v[9:10], v[5:6], v[1:2], -v[9:10]
	v_mul_f64 v[5:6], v[5:6], v[3:4]
	v_fma_f64 v[5:6], v[7:8], v[1:2], v[5:6]
	buffer_load_dword v7, off, s[0:3], 0 offset:864
	buffer_load_dword v8, off, s[0:3], 0 offset:868
	buffer_load_dword v18, off, s[0:3], 0 offset:872
	buffer_load_dword v19, off, s[0:3], 0 offset:876
	s_waitcnt vmcnt(2)
	v_add_f64 v[7:8], v[7:8], -v[9:10]
	;; [unrolled: 18-line block ×4, first 2 shown]
	s_waitcnt vmcnt(0)
	v_add_f64 v[5:6], v[18:19], -v[5:6]
	buffer_store_dword v8, off, s[0:3], 0 offset:900
	buffer_store_dword v7, off, s[0:3], 0 offset:896
	;; [unrolled: 1-line block ×4, first 2 shown]
	ds_read2_b64 v[5:8], v12 offset0:114 offset1:115
	s_waitcnt lgkmcnt(0)
	v_mul_f64 v[9:10], v[7:8], v[3:4]
	v_mul_f64 v[3:4], v[5:6], v[3:4]
	v_fma_f64 v[9:10], v[5:6], v[1:2], -v[9:10]
	v_fma_f64 v[1:2], v[7:8], v[1:2], v[3:4]
	buffer_load_dword v3, off, s[0:3], 0 offset:912
	buffer_load_dword v4, off, s[0:3], 0 offset:916
	;; [unrolled: 1-line block ×4, first 2 shown]
	s_waitcnt vmcnt(2)
	v_add_f64 v[3:4], v[3:4], -v[9:10]
	s_waitcnt vmcnt(0)
	v_add_f64 v[1:2], v[5:6], -v[1:2]
	buffer_store_dword v4, off, s[0:3], 0 offset:916
	buffer_store_dword v3, off, s[0:3], 0 offset:912
	;; [unrolled: 1-line block ×4, first 2 shown]
	ds_read2_b64 v[7:10], v12 offset0:116 offset1:117
	buffer_load_dword v1, off, s[0:3], 0 offset:720
	buffer_load_dword v2, off, s[0:3], 0 offset:724
	;; [unrolled: 1-line block ×4, first 2 shown]
	s_waitcnt vmcnt(0) lgkmcnt(0)
	v_mul_f64 v[3:4], v[9:10], v[5:6]
	v_fma_f64 v[3:4], v[7:8], v[1:2], -v[3:4]
	v_mul_f64 v[7:8], v[7:8], v[5:6]
	v_fma_f64 v[7:8], v[9:10], v[1:2], v[7:8]
	buffer_load_dword v10, off, s[0:3], 0 offset:932
	buffer_load_dword v9, off, s[0:3], 0 offset:928
	s_waitcnt vmcnt(0)
	v_add_f64 v[3:4], v[9:10], -v[3:4]
	buffer_load_dword v10, off, s[0:3], 0 offset:940
	buffer_load_dword v9, off, s[0:3], 0 offset:936
	s_waitcnt vmcnt(0)
	v_add_f64 v[7:8], v[9:10], -v[7:8]
	buffer_store_dword v4, off, s[0:3], 0 offset:932
	buffer_store_dword v3, off, s[0:3], 0 offset:928
	buffer_store_dword v8, off, s[0:3], 0 offset:940
	buffer_store_dword v7, off, s[0:3], 0 offset:936
	ds_read2_b64 v[7:10], v12 offset0:118 offset1:119
	s_waitcnt lgkmcnt(0)
	v_mul_f64 v[3:4], v[9:10], v[5:6]
	v_fma_f64 v[3:4], v[7:8], v[1:2], -v[3:4]
	v_mul_f64 v[7:8], v[7:8], v[5:6]
	v_fma_f64 v[7:8], v[9:10], v[1:2], v[7:8]
	buffer_load_dword v9, off, s[0:3], 0 offset:944
	buffer_load_dword v10, off, s[0:3], 0 offset:948
	buffer_load_dword v18, off, s[0:3], 0 offset:952
	buffer_load_dword v19, off, s[0:3], 0 offset:956
	s_waitcnt vmcnt(2)
	v_add_f64 v[3:4], v[9:10], -v[3:4]
	s_waitcnt vmcnt(0)
	v_add_f64 v[7:8], v[18:19], -v[7:8]
	buffer_store_dword v4, off, s[0:3], 0 offset:948
	buffer_store_dword v3, off, s[0:3], 0 offset:944
	buffer_store_dword v8, off, s[0:3], 0 offset:956
	buffer_store_dword v7, off, s[0:3], 0 offset:952
	ds_read2_b64 v[7:10], v12 offset0:120 offset1:121
	s_waitcnt lgkmcnt(0)
	v_mul_f64 v[3:4], v[9:10], v[5:6]
	v_fma_f64 v[3:4], v[7:8], v[1:2], -v[3:4]
	v_mul_f64 v[7:8], v[7:8], v[5:6]
	v_fma_f64 v[7:8], v[9:10], v[1:2], v[7:8]
	buffer_load_dword v9, off, s[0:3], 0 offset:960
	buffer_load_dword v10, off, s[0:3], 0 offset:964
	buffer_load_dword v18, off, s[0:3], 0 offset:968
	buffer_load_dword v19, off, s[0:3], 0 offset:972
	s_waitcnt vmcnt(2)
	v_add_f64 v[3:4], v[9:10], -v[3:4]
	;; [unrolled: 18-line block ×4, first 2 shown]
	s_waitcnt vmcnt(0)
	v_add_f64 v[7:8], v[18:19], -v[7:8]
	buffer_store_dword v4, off, s[0:3], 0 offset:996
	buffer_store_dword v3, off, s[0:3], 0 offset:992
	;; [unrolled: 1-line block ×4, first 2 shown]
	ds_read2_b64 v[7:10], v12 offset0:126 offset1:127
	s_waitcnt lgkmcnt(0)
	v_mul_f64 v[3:4], v[9:10], v[5:6]
	v_mul_f64 v[5:6], v[7:8], v[5:6]
	v_fma_f64 v[3:4], v[7:8], v[1:2], -v[3:4]
	v_fma_f64 v[1:2], v[9:10], v[1:2], v[5:6]
	buffer_load_dword v7, off, s[0:3], 0 offset:1008
	buffer_load_dword v8, off, s[0:3], 0 offset:1012
	;; [unrolled: 1-line block ×4, first 2 shown]
	s_waitcnt vmcnt(2)
	v_add_f64 v[3:4], v[7:8], -v[3:4]
	s_waitcnt vmcnt(0)
	v_add_f64 v[1:2], v[5:6], -v[1:2]
	buffer_store_dword v4, off, s[0:3], 0 offset:1012
	buffer_store_dword v3, off, s[0:3], 0 offset:1008
	;; [unrolled: 1-line block ×4, first 2 shown]
.LBB127_533:
	s_or_b64 exec, exec, s[6:7]
	v_cmp_eq_u32_e32 vcc, 46, v0
	s_waitcnt vmcnt(0) lgkmcnt(0)
	s_barrier
	s_and_saveexec_b64 s[8:9], vcc
	s_cbranch_execz .LBB127_540
; %bb.534:
	v_mov_b32_e32 v4, s31
	buffer_load_dword v1, v4, s[0:3], 0 offen
	buffer_load_dword v2, v4, s[0:3], 0 offen offset:4
	buffer_load_dword v3, v4, s[0:3], 0 offen offset:8
	s_nop 0
	buffer_load_dword v4, v4, s[0:3], 0 offen offset:12
	s_waitcnt vmcnt(0)
	ds_write2_b64 v11, v[1:2], v[3:4] offset1:1
	v_mov_b32_e32 v4, s30
	buffer_load_dword v1, v4, s[0:3], 0 offen
	buffer_load_dword v2, v4, s[0:3], 0 offen offset:4
	buffer_load_dword v3, v4, s[0:3], 0 offen offset:8
	s_nop 0
	buffer_load_dword v4, v4, s[0:3], 0 offen offset:12
	s_waitcnt vmcnt(0)
	ds_write2_b64 v12, v[1:2], v[3:4] offset0:94 offset1:95
	v_mov_b32_e32 v4, s29
	buffer_load_dword v1, v4, s[0:3], 0 offen
	buffer_load_dword v2, v4, s[0:3], 0 offen offset:4
	buffer_load_dword v3, v4, s[0:3], 0 offen offset:8
	s_nop 0
	buffer_load_dword v4, v4, s[0:3], 0 offen offset:12
	s_waitcnt vmcnt(0)
	ds_write2_b64 v12, v[1:2], v[3:4] offset0:96 offset1:97
	;; [unrolled: 8-line block ×17, first 2 shown]
	ds_read2_b64 v[1:4], v11 offset1:1
	s_waitcnt lgkmcnt(0)
	v_cmp_neq_f64_e32 vcc, 0, v[1:2]
	v_cmp_neq_f64_e64 s[6:7], 0, v[3:4]
	s_or_b64 s[6:7], vcc, s[6:7]
	s_and_b64 exec, exec, s[6:7]
	s_cbranch_execz .LBB127_540
; %bb.535:
	v_cmp_ngt_f64_e64 s[6:7], |v[1:2]|, |v[3:4]|
                                        ; implicit-def: $vgpr5_vgpr6
	s_and_saveexec_b64 s[10:11], s[6:7]
	s_xor_b64 s[6:7], exec, s[10:11]
                                        ; implicit-def: $vgpr7_vgpr8
	s_cbranch_execz .LBB127_537
; %bb.536:
	v_div_scale_f64 v[5:6], s[10:11], v[3:4], v[3:4], v[1:2]
	v_rcp_f64_e32 v[7:8], v[5:6]
	v_fma_f64 v[9:10], -v[5:6], v[7:8], 1.0
	v_fma_f64 v[7:8], v[7:8], v[9:10], v[7:8]
	v_div_scale_f64 v[9:10], vcc, v[1:2], v[3:4], v[1:2]
	v_fma_f64 v[18:19], -v[5:6], v[7:8], 1.0
	v_fma_f64 v[7:8], v[7:8], v[18:19], v[7:8]
	v_mul_f64 v[18:19], v[9:10], v[7:8]
	v_fma_f64 v[5:6], -v[5:6], v[18:19], v[9:10]
	v_div_fmas_f64 v[5:6], v[5:6], v[7:8], v[18:19]
	v_div_fixup_f64 v[5:6], v[5:6], v[3:4], v[1:2]
	v_fma_f64 v[1:2], v[1:2], v[5:6], v[3:4]
	v_div_scale_f64 v[3:4], s[10:11], v[1:2], v[1:2], 1.0
	v_div_scale_f64 v[18:19], vcc, 1.0, v[1:2], 1.0
	v_rcp_f64_e32 v[7:8], v[3:4]
	v_fma_f64 v[9:10], -v[3:4], v[7:8], 1.0
	v_fma_f64 v[7:8], v[7:8], v[9:10], v[7:8]
	v_fma_f64 v[9:10], -v[3:4], v[7:8], 1.0
	v_fma_f64 v[7:8], v[7:8], v[9:10], v[7:8]
	v_mul_f64 v[9:10], v[18:19], v[7:8]
	v_fma_f64 v[3:4], -v[3:4], v[9:10], v[18:19]
	v_div_fmas_f64 v[3:4], v[3:4], v[7:8], v[9:10]
	v_div_fixup_f64 v[7:8], v[3:4], v[1:2], 1.0
                                        ; implicit-def: $vgpr1_vgpr2
	v_mul_f64 v[5:6], v[5:6], v[7:8]
	v_xor_b32_e32 v8, 0x80000000, v8
.LBB127_537:
	s_andn2_saveexec_b64 s[6:7], s[6:7]
	s_cbranch_execz .LBB127_539
; %bb.538:
	v_div_scale_f64 v[5:6], s[10:11], v[1:2], v[1:2], v[3:4]
	v_rcp_f64_e32 v[7:8], v[5:6]
	v_fma_f64 v[9:10], -v[5:6], v[7:8], 1.0
	v_fma_f64 v[7:8], v[7:8], v[9:10], v[7:8]
	v_div_scale_f64 v[9:10], vcc, v[3:4], v[1:2], v[3:4]
	v_fma_f64 v[18:19], -v[5:6], v[7:8], 1.0
	v_fma_f64 v[7:8], v[7:8], v[18:19], v[7:8]
	v_mul_f64 v[18:19], v[9:10], v[7:8]
	v_fma_f64 v[5:6], -v[5:6], v[18:19], v[9:10]
	v_div_fmas_f64 v[5:6], v[5:6], v[7:8], v[18:19]
	v_div_fixup_f64 v[7:8], v[5:6], v[1:2], v[3:4]
	v_fma_f64 v[1:2], v[3:4], v[7:8], v[1:2]
	v_div_scale_f64 v[3:4], s[10:11], v[1:2], v[1:2], 1.0
	v_div_scale_f64 v[18:19], vcc, 1.0, v[1:2], 1.0
	v_rcp_f64_e32 v[5:6], v[3:4]
	v_fma_f64 v[9:10], -v[3:4], v[5:6], 1.0
	v_fma_f64 v[5:6], v[5:6], v[9:10], v[5:6]
	v_fma_f64 v[9:10], -v[3:4], v[5:6], 1.0
	v_fma_f64 v[5:6], v[5:6], v[9:10], v[5:6]
	v_mul_f64 v[9:10], v[18:19], v[5:6]
	v_fma_f64 v[3:4], -v[3:4], v[9:10], v[18:19]
	v_div_fmas_f64 v[3:4], v[3:4], v[5:6], v[9:10]
	v_div_fixup_f64 v[5:6], v[3:4], v[1:2], 1.0
	v_mul_f64 v[7:8], v[7:8], -v[5:6]
.LBB127_539:
	s_or_b64 exec, exec, s[6:7]
	ds_write2_b64 v11, v[5:6], v[7:8] offset1:1
.LBB127_540:
	s_or_b64 exec, exec, s[8:9]
	s_waitcnt lgkmcnt(0)
	s_barrier
	ds_read2_b64 v[61:64], v11 offset1:1
	v_cmp_lt_u32_e32 vcc, 46, v0
	s_and_saveexec_b64 s[6:7], vcc
	s_cbranch_execz .LBB127_542
; %bb.541:
	buffer_load_dword v3, off, s[0:3], 0 offset:736
	buffer_load_dword v4, off, s[0:3], 0 offset:740
	;; [unrolled: 1-line block ×16, first 2 shown]
	s_waitcnt vmcnt(12) lgkmcnt(0)
	v_mul_f64 v[1:2], v[63:64], v[5:6]
	v_mul_f64 v[5:6], v[61:62], v[5:6]
	v_fma_f64 v[1:2], v[61:62], v[3:4], -v[1:2]
	v_fma_f64 v[3:4], v[63:64], v[3:4], v[5:6]
	buffer_store_dword v1, off, s[0:3], 0 offset:736
	buffer_store_dword v2, off, s[0:3], 0 offset:740
	buffer_store_dword v3, off, s[0:3], 0 offset:744
	buffer_store_dword v4, off, s[0:3], 0 offset:748
	ds_read2_b64 v[5:8], v12 offset0:94 offset1:95
	s_waitcnt lgkmcnt(0)
	v_mul_f64 v[73:74], v[7:8], v[3:4]
	v_fma_f64 v[73:74], v[5:6], v[1:2], -v[73:74]
	v_mul_f64 v[5:6], v[5:6], v[3:4]
	v_fma_f64 v[5:6], v[7:8], v[1:2], v[5:6]
	s_waitcnt vmcnt(14)
	v_add_f64 v[7:8], v[9:10], -v[73:74]
	s_waitcnt vmcnt(12)
	v_add_f64 v[5:6], v[18:19], -v[5:6]
	buffer_store_dword v7, off, s[0:3], 0 offset:752
	buffer_store_dword v8, off, s[0:3], 0 offset:756
	buffer_store_dword v5, off, s[0:3], 0 offset:760
	buffer_store_dword v6, off, s[0:3], 0 offset:764
	ds_read2_b64 v[5:8], v12 offset0:96 offset1:97
	s_waitcnt lgkmcnt(0)
	v_mul_f64 v[9:10], v[7:8], v[3:4]
	v_fma_f64 v[9:10], v[5:6], v[1:2], -v[9:10]
	v_mul_f64 v[5:6], v[5:6], v[3:4]
	v_fma_f64 v[5:6], v[7:8], v[1:2], v[5:6]
	s_waitcnt vmcnt(14)
	v_add_f64 v[7:8], v[65:66], -v[9:10]
	s_waitcnt vmcnt(12)
	v_add_f64 v[5:6], v[67:68], -v[5:6]
	;; [unrolled: 14-line block ×3, first 2 shown]
	buffer_store_dword v8, off, s[0:3], 0 offset:788
	buffer_store_dword v7, off, s[0:3], 0 offset:784
	;; [unrolled: 1-line block ×4, first 2 shown]
	ds_read2_b64 v[5:8], v12 offset0:100 offset1:101
	s_waitcnt lgkmcnt(0)
	v_mul_f64 v[9:10], v[7:8], v[3:4]
	v_fma_f64 v[9:10], v[5:6], v[1:2], -v[9:10]
	v_mul_f64 v[5:6], v[5:6], v[3:4]
	v_fma_f64 v[5:6], v[7:8], v[1:2], v[5:6]
	buffer_load_dword v7, off, s[0:3], 0 offset:800
	buffer_load_dword v8, off, s[0:3], 0 offset:804
	;; [unrolled: 1-line block ×4, first 2 shown]
	s_waitcnt vmcnt(2)
	v_add_f64 v[7:8], v[7:8], -v[9:10]
	s_waitcnt vmcnt(0)
	v_add_f64 v[5:6], v[18:19], -v[5:6]
	buffer_store_dword v8, off, s[0:3], 0 offset:804
	buffer_store_dword v7, off, s[0:3], 0 offset:800
	;; [unrolled: 1-line block ×4, first 2 shown]
	ds_read2_b64 v[5:8], v12 offset0:102 offset1:103
	s_waitcnt lgkmcnt(0)
	v_mul_f64 v[9:10], v[7:8], v[3:4]
	v_fma_f64 v[9:10], v[5:6], v[1:2], -v[9:10]
	v_mul_f64 v[5:6], v[5:6], v[3:4]
	v_fma_f64 v[5:6], v[7:8], v[1:2], v[5:6]
	buffer_load_dword v7, off, s[0:3], 0 offset:816
	buffer_load_dword v8, off, s[0:3], 0 offset:820
	;; [unrolled: 1-line block ×4, first 2 shown]
	s_waitcnt vmcnt(2)
	v_add_f64 v[7:8], v[7:8], -v[9:10]
	s_waitcnt vmcnt(0)
	v_add_f64 v[5:6], v[18:19], -v[5:6]
	buffer_store_dword v8, off, s[0:3], 0 offset:820
	buffer_store_dword v7, off, s[0:3], 0 offset:816
	buffer_store_dword v6, off, s[0:3], 0 offset:828
	buffer_store_dword v5, off, s[0:3], 0 offset:824
	ds_read2_b64 v[5:8], v12 offset0:104 offset1:105
	s_waitcnt lgkmcnt(0)
	v_mul_f64 v[9:10], v[7:8], v[3:4]
	v_mul_f64 v[3:4], v[5:6], v[3:4]
	v_fma_f64 v[9:10], v[5:6], v[1:2], -v[9:10]
	v_fma_f64 v[1:2], v[7:8], v[1:2], v[3:4]
	buffer_load_dword v3, off, s[0:3], 0 offset:832
	buffer_load_dword v4, off, s[0:3], 0 offset:836
	buffer_load_dword v5, off, s[0:3], 0 offset:840
	buffer_load_dword v6, off, s[0:3], 0 offset:844
	s_waitcnt vmcnt(2)
	v_add_f64 v[3:4], v[3:4], -v[9:10]
	s_waitcnt vmcnt(0)
	v_add_f64 v[1:2], v[5:6], -v[1:2]
	buffer_store_dword v4, off, s[0:3], 0 offset:836
	buffer_store_dword v3, off, s[0:3], 0 offset:832
	;; [unrolled: 1-line block ×4, first 2 shown]
	ds_read2_b64 v[5:8], v12 offset0:106 offset1:107
	buffer_load_dword v1, off, s[0:3], 0 offset:736
	buffer_load_dword v2, off, s[0:3], 0 offset:740
	;; [unrolled: 1-line block ×4, first 2 shown]
	s_waitcnt vmcnt(0) lgkmcnt(0)
	v_mul_f64 v[9:10], v[7:8], v[3:4]
	v_fma_f64 v[9:10], v[5:6], v[1:2], -v[9:10]
	v_mul_f64 v[5:6], v[5:6], v[3:4]
	v_fma_f64 v[5:6], v[7:8], v[1:2], v[5:6]
	buffer_load_dword v8, off, s[0:3], 0 offset:852
	buffer_load_dword v7, off, s[0:3], 0 offset:848
	s_waitcnt vmcnt(0)
	v_add_f64 v[7:8], v[7:8], -v[9:10]
	buffer_load_dword v10, off, s[0:3], 0 offset:860
	buffer_load_dword v9, off, s[0:3], 0 offset:856
	s_waitcnt vmcnt(0)
	v_add_f64 v[5:6], v[9:10], -v[5:6]
	buffer_store_dword v8, off, s[0:3], 0 offset:852
	buffer_store_dword v7, off, s[0:3], 0 offset:848
	buffer_store_dword v6, off, s[0:3], 0 offset:860
	buffer_store_dword v5, off, s[0:3], 0 offset:856
	ds_read2_b64 v[5:8], v12 offset0:108 offset1:109
	s_waitcnt lgkmcnt(0)
	v_mul_f64 v[9:10], v[7:8], v[3:4]
	v_fma_f64 v[9:10], v[5:6], v[1:2], -v[9:10]
	v_mul_f64 v[5:6], v[5:6], v[3:4]
	v_fma_f64 v[5:6], v[7:8], v[1:2], v[5:6]
	buffer_load_dword v7, off, s[0:3], 0 offset:864
	buffer_load_dword v8, off, s[0:3], 0 offset:868
	buffer_load_dword v18, off, s[0:3], 0 offset:872
	buffer_load_dword v19, off, s[0:3], 0 offset:876
	s_waitcnt vmcnt(2)
	v_add_f64 v[7:8], v[7:8], -v[9:10]
	s_waitcnt vmcnt(0)
	v_add_f64 v[5:6], v[18:19], -v[5:6]
	buffer_store_dword v8, off, s[0:3], 0 offset:868
	buffer_store_dword v7, off, s[0:3], 0 offset:864
	buffer_store_dword v6, off, s[0:3], 0 offset:876
	buffer_store_dword v5, off, s[0:3], 0 offset:872
	ds_read2_b64 v[5:8], v12 offset0:110 offset1:111
	s_waitcnt lgkmcnt(0)
	v_mul_f64 v[9:10], v[7:8], v[3:4]
	v_fma_f64 v[9:10], v[5:6], v[1:2], -v[9:10]
	v_mul_f64 v[5:6], v[5:6], v[3:4]
	v_fma_f64 v[5:6], v[7:8], v[1:2], v[5:6]
	buffer_load_dword v7, off, s[0:3], 0 offset:880
	buffer_load_dword v8, off, s[0:3], 0 offset:884
	buffer_load_dword v18, off, s[0:3], 0 offset:888
	buffer_load_dword v19, off, s[0:3], 0 offset:892
	s_waitcnt vmcnt(2)
	v_add_f64 v[7:8], v[7:8], -v[9:10]
	;; [unrolled: 18-line block ×4, first 2 shown]
	s_waitcnt vmcnt(0)
	v_add_f64 v[5:6], v[18:19], -v[5:6]
	buffer_store_dword v8, off, s[0:3], 0 offset:916
	buffer_store_dword v7, off, s[0:3], 0 offset:912
	;; [unrolled: 1-line block ×4, first 2 shown]
	ds_read2_b64 v[5:8], v12 offset0:116 offset1:117
	s_waitcnt lgkmcnt(0)
	v_mul_f64 v[9:10], v[7:8], v[3:4]
	v_mul_f64 v[3:4], v[5:6], v[3:4]
	v_fma_f64 v[9:10], v[5:6], v[1:2], -v[9:10]
	v_fma_f64 v[1:2], v[7:8], v[1:2], v[3:4]
	buffer_load_dword v3, off, s[0:3], 0 offset:928
	buffer_load_dword v4, off, s[0:3], 0 offset:932
	;; [unrolled: 1-line block ×4, first 2 shown]
	s_waitcnt vmcnt(2)
	v_add_f64 v[3:4], v[3:4], -v[9:10]
	s_waitcnt vmcnt(0)
	v_add_f64 v[1:2], v[5:6], -v[1:2]
	buffer_store_dword v4, off, s[0:3], 0 offset:932
	buffer_store_dword v3, off, s[0:3], 0 offset:928
	;; [unrolled: 1-line block ×4, first 2 shown]
	ds_read2_b64 v[7:10], v12 offset0:118 offset1:119
	buffer_load_dword v1, off, s[0:3], 0 offset:736
	buffer_load_dword v2, off, s[0:3], 0 offset:740
	;; [unrolled: 1-line block ×4, first 2 shown]
	s_waitcnt vmcnt(0) lgkmcnt(0)
	v_mul_f64 v[3:4], v[9:10], v[5:6]
	v_fma_f64 v[3:4], v[7:8], v[1:2], -v[3:4]
	v_mul_f64 v[7:8], v[7:8], v[5:6]
	v_fma_f64 v[7:8], v[9:10], v[1:2], v[7:8]
	buffer_load_dword v10, off, s[0:3], 0 offset:948
	buffer_load_dword v9, off, s[0:3], 0 offset:944
	s_waitcnt vmcnt(0)
	v_add_f64 v[3:4], v[9:10], -v[3:4]
	buffer_load_dword v10, off, s[0:3], 0 offset:956
	buffer_load_dword v9, off, s[0:3], 0 offset:952
	s_waitcnt vmcnt(0)
	v_add_f64 v[7:8], v[9:10], -v[7:8]
	buffer_store_dword v4, off, s[0:3], 0 offset:948
	buffer_store_dword v3, off, s[0:3], 0 offset:944
	buffer_store_dword v8, off, s[0:3], 0 offset:956
	buffer_store_dword v7, off, s[0:3], 0 offset:952
	ds_read2_b64 v[7:10], v12 offset0:120 offset1:121
	s_waitcnt lgkmcnt(0)
	v_mul_f64 v[3:4], v[9:10], v[5:6]
	v_fma_f64 v[3:4], v[7:8], v[1:2], -v[3:4]
	v_mul_f64 v[7:8], v[7:8], v[5:6]
	v_fma_f64 v[7:8], v[9:10], v[1:2], v[7:8]
	buffer_load_dword v9, off, s[0:3], 0 offset:960
	buffer_load_dword v10, off, s[0:3], 0 offset:964
	buffer_load_dword v18, off, s[0:3], 0 offset:968
	buffer_load_dword v19, off, s[0:3], 0 offset:972
	s_waitcnt vmcnt(2)
	v_add_f64 v[3:4], v[9:10], -v[3:4]
	s_waitcnt vmcnt(0)
	v_add_f64 v[7:8], v[18:19], -v[7:8]
	buffer_store_dword v4, off, s[0:3], 0 offset:964
	buffer_store_dword v3, off, s[0:3], 0 offset:960
	buffer_store_dword v8, off, s[0:3], 0 offset:972
	buffer_store_dword v7, off, s[0:3], 0 offset:968
	ds_read2_b64 v[7:10], v12 offset0:122 offset1:123
	s_waitcnt lgkmcnt(0)
	v_mul_f64 v[3:4], v[9:10], v[5:6]
	v_fma_f64 v[3:4], v[7:8], v[1:2], -v[3:4]
	v_mul_f64 v[7:8], v[7:8], v[5:6]
	v_fma_f64 v[7:8], v[9:10], v[1:2], v[7:8]
	buffer_load_dword v9, off, s[0:3], 0 offset:976
	buffer_load_dword v10, off, s[0:3], 0 offset:980
	buffer_load_dword v18, off, s[0:3], 0 offset:984
	buffer_load_dword v19, off, s[0:3], 0 offset:988
	s_waitcnt vmcnt(2)
	v_add_f64 v[3:4], v[9:10], -v[3:4]
	;; [unrolled: 18-line block ×3, first 2 shown]
	s_waitcnt vmcnt(0)
	v_add_f64 v[7:8], v[18:19], -v[7:8]
	buffer_store_dword v4, off, s[0:3], 0 offset:996
	buffer_store_dword v3, off, s[0:3], 0 offset:992
	;; [unrolled: 1-line block ×4, first 2 shown]
	ds_read2_b64 v[7:10], v12 offset0:126 offset1:127
	s_waitcnt lgkmcnt(0)
	v_mul_f64 v[3:4], v[9:10], v[5:6]
	v_mul_f64 v[5:6], v[7:8], v[5:6]
	v_fma_f64 v[3:4], v[7:8], v[1:2], -v[3:4]
	v_fma_f64 v[1:2], v[9:10], v[1:2], v[5:6]
	buffer_load_dword v7, off, s[0:3], 0 offset:1008
	buffer_load_dword v8, off, s[0:3], 0 offset:1012
	;; [unrolled: 1-line block ×4, first 2 shown]
	s_waitcnt vmcnt(2)
	v_add_f64 v[3:4], v[7:8], -v[3:4]
	s_waitcnt vmcnt(0)
	v_add_f64 v[1:2], v[5:6], -v[1:2]
	buffer_store_dword v4, off, s[0:3], 0 offset:1012
	buffer_store_dword v3, off, s[0:3], 0 offset:1008
	buffer_store_dword v2, off, s[0:3], 0 offset:1020
	buffer_store_dword v1, off, s[0:3], 0 offset:1016
.LBB127_542:
	s_or_b64 exec, exec, s[6:7]
	v_cmp_eq_u32_e32 vcc, 47, v0
	s_waitcnt vmcnt(0) lgkmcnt(0)
	s_barrier
	s_and_saveexec_b64 s[8:9], vcc
	s_cbranch_execz .LBB127_549
; %bb.543:
	v_mov_b32_e32 v4, s30
	buffer_load_dword v1, v4, s[0:3], 0 offen
	buffer_load_dword v2, v4, s[0:3], 0 offen offset:4
	buffer_load_dword v3, v4, s[0:3], 0 offen offset:8
	s_nop 0
	buffer_load_dword v4, v4, s[0:3], 0 offen offset:12
	s_waitcnt vmcnt(0)
	ds_write2_b64 v11, v[1:2], v[3:4] offset1:1
	v_mov_b32_e32 v4, s29
	buffer_load_dword v1, v4, s[0:3], 0 offen
	buffer_load_dword v2, v4, s[0:3], 0 offen offset:4
	buffer_load_dword v3, v4, s[0:3], 0 offen offset:8
	s_nop 0
	buffer_load_dword v4, v4, s[0:3], 0 offen offset:12
	s_waitcnt vmcnt(0)
	ds_write2_b64 v12, v[1:2], v[3:4] offset0:96 offset1:97
	v_mov_b32_e32 v4, s28
	buffer_load_dword v1, v4, s[0:3], 0 offen
	buffer_load_dword v2, v4, s[0:3], 0 offen offset:4
	buffer_load_dword v3, v4, s[0:3], 0 offen offset:8
	s_nop 0
	buffer_load_dword v4, v4, s[0:3], 0 offen offset:12
	s_waitcnt vmcnt(0)
	ds_write2_b64 v12, v[1:2], v[3:4] offset0:98 offset1:99
	;; [unrolled: 8-line block ×16, first 2 shown]
	ds_read2_b64 v[1:4], v11 offset1:1
	s_waitcnt lgkmcnt(0)
	v_cmp_neq_f64_e32 vcc, 0, v[1:2]
	v_cmp_neq_f64_e64 s[6:7], 0, v[3:4]
	s_or_b64 s[6:7], vcc, s[6:7]
	s_and_b64 exec, exec, s[6:7]
	s_cbranch_execz .LBB127_549
; %bb.544:
	v_cmp_ngt_f64_e64 s[6:7], |v[1:2]|, |v[3:4]|
                                        ; implicit-def: $vgpr5_vgpr6
	s_and_saveexec_b64 s[10:11], s[6:7]
	s_xor_b64 s[6:7], exec, s[10:11]
                                        ; implicit-def: $vgpr7_vgpr8
	s_cbranch_execz .LBB127_546
; %bb.545:
	v_div_scale_f64 v[5:6], s[10:11], v[3:4], v[3:4], v[1:2]
	v_rcp_f64_e32 v[7:8], v[5:6]
	v_fma_f64 v[9:10], -v[5:6], v[7:8], 1.0
	v_fma_f64 v[7:8], v[7:8], v[9:10], v[7:8]
	v_div_scale_f64 v[9:10], vcc, v[1:2], v[3:4], v[1:2]
	v_fma_f64 v[18:19], -v[5:6], v[7:8], 1.0
	v_fma_f64 v[7:8], v[7:8], v[18:19], v[7:8]
	v_mul_f64 v[18:19], v[9:10], v[7:8]
	v_fma_f64 v[5:6], -v[5:6], v[18:19], v[9:10]
	v_div_fmas_f64 v[5:6], v[5:6], v[7:8], v[18:19]
	v_div_fixup_f64 v[5:6], v[5:6], v[3:4], v[1:2]
	v_fma_f64 v[1:2], v[1:2], v[5:6], v[3:4]
	v_div_scale_f64 v[3:4], s[10:11], v[1:2], v[1:2], 1.0
	v_div_scale_f64 v[18:19], vcc, 1.0, v[1:2], 1.0
	v_rcp_f64_e32 v[7:8], v[3:4]
	v_fma_f64 v[9:10], -v[3:4], v[7:8], 1.0
	v_fma_f64 v[7:8], v[7:8], v[9:10], v[7:8]
	v_fma_f64 v[9:10], -v[3:4], v[7:8], 1.0
	v_fma_f64 v[7:8], v[7:8], v[9:10], v[7:8]
	v_mul_f64 v[9:10], v[18:19], v[7:8]
	v_fma_f64 v[3:4], -v[3:4], v[9:10], v[18:19]
	v_div_fmas_f64 v[3:4], v[3:4], v[7:8], v[9:10]
	v_div_fixup_f64 v[7:8], v[3:4], v[1:2], 1.0
                                        ; implicit-def: $vgpr1_vgpr2
	v_mul_f64 v[5:6], v[5:6], v[7:8]
	v_xor_b32_e32 v8, 0x80000000, v8
.LBB127_546:
	s_andn2_saveexec_b64 s[6:7], s[6:7]
	s_cbranch_execz .LBB127_548
; %bb.547:
	v_div_scale_f64 v[5:6], s[10:11], v[1:2], v[1:2], v[3:4]
	v_rcp_f64_e32 v[7:8], v[5:6]
	v_fma_f64 v[9:10], -v[5:6], v[7:8], 1.0
	v_fma_f64 v[7:8], v[7:8], v[9:10], v[7:8]
	v_div_scale_f64 v[9:10], vcc, v[3:4], v[1:2], v[3:4]
	v_fma_f64 v[18:19], -v[5:6], v[7:8], 1.0
	v_fma_f64 v[7:8], v[7:8], v[18:19], v[7:8]
	v_mul_f64 v[18:19], v[9:10], v[7:8]
	v_fma_f64 v[5:6], -v[5:6], v[18:19], v[9:10]
	v_div_fmas_f64 v[5:6], v[5:6], v[7:8], v[18:19]
	v_div_fixup_f64 v[7:8], v[5:6], v[1:2], v[3:4]
	v_fma_f64 v[1:2], v[3:4], v[7:8], v[1:2]
	v_div_scale_f64 v[3:4], s[10:11], v[1:2], v[1:2], 1.0
	v_div_scale_f64 v[18:19], vcc, 1.0, v[1:2], 1.0
	v_rcp_f64_e32 v[5:6], v[3:4]
	v_fma_f64 v[9:10], -v[3:4], v[5:6], 1.0
	v_fma_f64 v[5:6], v[5:6], v[9:10], v[5:6]
	v_fma_f64 v[9:10], -v[3:4], v[5:6], 1.0
	v_fma_f64 v[5:6], v[5:6], v[9:10], v[5:6]
	v_mul_f64 v[9:10], v[18:19], v[5:6]
	v_fma_f64 v[3:4], -v[3:4], v[9:10], v[18:19]
	v_div_fmas_f64 v[3:4], v[3:4], v[5:6], v[9:10]
	v_div_fixup_f64 v[5:6], v[3:4], v[1:2], 1.0
	v_mul_f64 v[7:8], v[7:8], -v[5:6]
.LBB127_548:
	s_or_b64 exec, exec, s[6:7]
	ds_write2_b64 v11, v[5:6], v[7:8] offset1:1
.LBB127_549:
	s_or_b64 exec, exec, s[8:9]
	s_waitcnt lgkmcnt(0)
	s_barrier
	ds_read2_b64 v[65:68], v11 offset1:1
	v_cmp_lt_u32_e32 vcc, 47, v0
	s_and_saveexec_b64 s[6:7], vcc
	s_cbranch_execz .LBB127_551
; %bb.550:
	buffer_load_dword v3, off, s[0:3], 0 offset:752
	buffer_load_dword v4, off, s[0:3], 0 offset:756
	buffer_load_dword v5, off, s[0:3], 0 offset:760
	buffer_load_dword v6, off, s[0:3], 0 offset:764
	buffer_load_dword v9, off, s[0:3], 0 offset:768
	buffer_load_dword v10, off, s[0:3], 0 offset:772
	buffer_load_dword v18, off, s[0:3], 0 offset:776
	buffer_load_dword v19, off, s[0:3], 0 offset:780
	buffer_load_dword v69, off, s[0:3], 0 offset:784
	buffer_load_dword v70, off, s[0:3], 0 offset:788
	buffer_load_dword v71, off, s[0:3], 0 offset:792
	buffer_load_dword v72, off, s[0:3], 0 offset:796
	buffer_load_dword v73, off, s[0:3], 0 offset:800
	buffer_load_dword v74, off, s[0:3], 0 offset:804
	buffer_load_dword v75, off, s[0:3], 0 offset:808
	buffer_load_dword v76, off, s[0:3], 0 offset:812
	s_waitcnt vmcnt(12) lgkmcnt(0)
	v_mul_f64 v[1:2], v[67:68], v[5:6]
	v_mul_f64 v[5:6], v[65:66], v[5:6]
	v_fma_f64 v[1:2], v[65:66], v[3:4], -v[1:2]
	v_fma_f64 v[3:4], v[67:68], v[3:4], v[5:6]
	buffer_store_dword v1, off, s[0:3], 0 offset:752
	buffer_store_dword v2, off, s[0:3], 0 offset:756
	buffer_store_dword v3, off, s[0:3], 0 offset:760
	buffer_store_dword v4, off, s[0:3], 0 offset:764
	ds_read2_b64 v[5:8], v12 offset0:96 offset1:97
	s_waitcnt lgkmcnt(0)
	v_mul_f64 v[77:78], v[7:8], v[3:4]
	v_fma_f64 v[77:78], v[5:6], v[1:2], -v[77:78]
	v_mul_f64 v[5:6], v[5:6], v[3:4]
	v_fma_f64 v[5:6], v[7:8], v[1:2], v[5:6]
	s_waitcnt vmcnt(14)
	v_add_f64 v[7:8], v[9:10], -v[77:78]
	s_waitcnt vmcnt(12)
	v_add_f64 v[5:6], v[18:19], -v[5:6]
	buffer_store_dword v7, off, s[0:3], 0 offset:768
	buffer_store_dword v8, off, s[0:3], 0 offset:772
	buffer_store_dword v5, off, s[0:3], 0 offset:776
	buffer_store_dword v6, off, s[0:3], 0 offset:780
	ds_read2_b64 v[5:8], v12 offset0:98 offset1:99
	s_waitcnt lgkmcnt(0)
	v_mul_f64 v[9:10], v[7:8], v[3:4]
	v_fma_f64 v[9:10], v[5:6], v[1:2], -v[9:10]
	v_mul_f64 v[5:6], v[5:6], v[3:4]
	v_fma_f64 v[5:6], v[7:8], v[1:2], v[5:6]
	s_waitcnt vmcnt(14)
	v_add_f64 v[7:8], v[69:70], -v[9:10]
	s_waitcnt vmcnt(12)
	v_add_f64 v[5:6], v[71:72], -v[5:6]
	;; [unrolled: 14-line block ×3, first 2 shown]
	buffer_store_dword v8, off, s[0:3], 0 offset:804
	buffer_store_dword v7, off, s[0:3], 0 offset:800
	;; [unrolled: 1-line block ×4, first 2 shown]
	ds_read2_b64 v[5:8], v12 offset0:102 offset1:103
	s_waitcnt lgkmcnt(0)
	v_mul_f64 v[9:10], v[7:8], v[3:4]
	v_fma_f64 v[9:10], v[5:6], v[1:2], -v[9:10]
	v_mul_f64 v[5:6], v[5:6], v[3:4]
	v_fma_f64 v[5:6], v[7:8], v[1:2], v[5:6]
	buffer_load_dword v7, off, s[0:3], 0 offset:816
	buffer_load_dword v8, off, s[0:3], 0 offset:820
	;; [unrolled: 1-line block ×4, first 2 shown]
	s_waitcnt vmcnt(2)
	v_add_f64 v[7:8], v[7:8], -v[9:10]
	s_waitcnt vmcnt(0)
	v_add_f64 v[5:6], v[18:19], -v[5:6]
	buffer_store_dword v8, off, s[0:3], 0 offset:820
	buffer_store_dword v7, off, s[0:3], 0 offset:816
	;; [unrolled: 1-line block ×4, first 2 shown]
	ds_read2_b64 v[5:8], v12 offset0:104 offset1:105
	s_waitcnt lgkmcnt(0)
	v_mul_f64 v[9:10], v[7:8], v[3:4]
	v_fma_f64 v[9:10], v[5:6], v[1:2], -v[9:10]
	v_mul_f64 v[5:6], v[5:6], v[3:4]
	v_fma_f64 v[5:6], v[7:8], v[1:2], v[5:6]
	buffer_load_dword v7, off, s[0:3], 0 offset:832
	buffer_load_dword v8, off, s[0:3], 0 offset:836
	;; [unrolled: 1-line block ×4, first 2 shown]
	s_waitcnt vmcnt(2)
	v_add_f64 v[7:8], v[7:8], -v[9:10]
	s_waitcnt vmcnt(0)
	v_add_f64 v[5:6], v[18:19], -v[5:6]
	buffer_store_dword v8, off, s[0:3], 0 offset:836
	buffer_store_dword v7, off, s[0:3], 0 offset:832
	;; [unrolled: 1-line block ×4, first 2 shown]
	ds_read2_b64 v[5:8], v12 offset0:106 offset1:107
	s_waitcnt lgkmcnt(0)
	v_mul_f64 v[9:10], v[7:8], v[3:4]
	v_mul_f64 v[3:4], v[5:6], v[3:4]
	v_fma_f64 v[9:10], v[5:6], v[1:2], -v[9:10]
	v_fma_f64 v[1:2], v[7:8], v[1:2], v[3:4]
	buffer_load_dword v3, off, s[0:3], 0 offset:848
	buffer_load_dword v4, off, s[0:3], 0 offset:852
	;; [unrolled: 1-line block ×4, first 2 shown]
	s_waitcnt vmcnt(2)
	v_add_f64 v[3:4], v[3:4], -v[9:10]
	s_waitcnt vmcnt(0)
	v_add_f64 v[1:2], v[5:6], -v[1:2]
	buffer_store_dword v4, off, s[0:3], 0 offset:852
	buffer_store_dword v3, off, s[0:3], 0 offset:848
	buffer_store_dword v2, off, s[0:3], 0 offset:860
	buffer_store_dword v1, off, s[0:3], 0 offset:856
	ds_read2_b64 v[5:8], v12 offset0:108 offset1:109
	buffer_load_dword v1, off, s[0:3], 0 offset:752
	buffer_load_dword v2, off, s[0:3], 0 offset:756
	;; [unrolled: 1-line block ×4, first 2 shown]
	s_waitcnt vmcnt(0) lgkmcnt(0)
	v_mul_f64 v[9:10], v[7:8], v[3:4]
	v_fma_f64 v[9:10], v[5:6], v[1:2], -v[9:10]
	v_mul_f64 v[5:6], v[5:6], v[3:4]
	v_fma_f64 v[5:6], v[7:8], v[1:2], v[5:6]
	buffer_load_dword v8, off, s[0:3], 0 offset:868
	buffer_load_dword v7, off, s[0:3], 0 offset:864
	s_waitcnt vmcnt(0)
	v_add_f64 v[7:8], v[7:8], -v[9:10]
	buffer_load_dword v10, off, s[0:3], 0 offset:876
	buffer_load_dword v9, off, s[0:3], 0 offset:872
	s_waitcnt vmcnt(0)
	v_add_f64 v[5:6], v[9:10], -v[5:6]
	buffer_store_dword v8, off, s[0:3], 0 offset:868
	buffer_store_dword v7, off, s[0:3], 0 offset:864
	buffer_store_dword v6, off, s[0:3], 0 offset:876
	buffer_store_dword v5, off, s[0:3], 0 offset:872
	ds_read2_b64 v[5:8], v12 offset0:110 offset1:111
	s_waitcnt lgkmcnt(0)
	v_mul_f64 v[9:10], v[7:8], v[3:4]
	v_fma_f64 v[9:10], v[5:6], v[1:2], -v[9:10]
	v_mul_f64 v[5:6], v[5:6], v[3:4]
	v_fma_f64 v[5:6], v[7:8], v[1:2], v[5:6]
	buffer_load_dword v7, off, s[0:3], 0 offset:880
	buffer_load_dword v8, off, s[0:3], 0 offset:884
	buffer_load_dword v18, off, s[0:3], 0 offset:888
	buffer_load_dword v19, off, s[0:3], 0 offset:892
	s_waitcnt vmcnt(2)
	v_add_f64 v[7:8], v[7:8], -v[9:10]
	s_waitcnt vmcnt(0)
	v_add_f64 v[5:6], v[18:19], -v[5:6]
	buffer_store_dword v8, off, s[0:3], 0 offset:884
	buffer_store_dword v7, off, s[0:3], 0 offset:880
	buffer_store_dword v6, off, s[0:3], 0 offset:892
	buffer_store_dword v5, off, s[0:3], 0 offset:888
	ds_read2_b64 v[5:8], v12 offset0:112 offset1:113
	s_waitcnt lgkmcnt(0)
	v_mul_f64 v[9:10], v[7:8], v[3:4]
	v_fma_f64 v[9:10], v[5:6], v[1:2], -v[9:10]
	v_mul_f64 v[5:6], v[5:6], v[3:4]
	v_fma_f64 v[5:6], v[7:8], v[1:2], v[5:6]
	buffer_load_dword v7, off, s[0:3], 0 offset:896
	buffer_load_dword v8, off, s[0:3], 0 offset:900
	buffer_load_dword v18, off, s[0:3], 0 offset:904
	buffer_load_dword v19, off, s[0:3], 0 offset:908
	s_waitcnt vmcnt(2)
	v_add_f64 v[7:8], v[7:8], -v[9:10]
	;; [unrolled: 18-line block ×4, first 2 shown]
	s_waitcnt vmcnt(0)
	v_add_f64 v[5:6], v[18:19], -v[5:6]
	buffer_store_dword v8, off, s[0:3], 0 offset:932
	buffer_store_dword v7, off, s[0:3], 0 offset:928
	;; [unrolled: 1-line block ×4, first 2 shown]
	ds_read2_b64 v[5:8], v12 offset0:118 offset1:119
	s_waitcnt lgkmcnt(0)
	v_mul_f64 v[9:10], v[7:8], v[3:4]
	v_mul_f64 v[3:4], v[5:6], v[3:4]
	v_fma_f64 v[9:10], v[5:6], v[1:2], -v[9:10]
	v_fma_f64 v[1:2], v[7:8], v[1:2], v[3:4]
	buffer_load_dword v3, off, s[0:3], 0 offset:944
	buffer_load_dword v4, off, s[0:3], 0 offset:948
	;; [unrolled: 1-line block ×4, first 2 shown]
	s_waitcnt vmcnt(2)
	v_add_f64 v[3:4], v[3:4], -v[9:10]
	s_waitcnt vmcnt(0)
	v_add_f64 v[1:2], v[5:6], -v[1:2]
	buffer_store_dword v4, off, s[0:3], 0 offset:948
	buffer_store_dword v3, off, s[0:3], 0 offset:944
	;; [unrolled: 1-line block ×4, first 2 shown]
	ds_read2_b64 v[1:4], v12 offset0:120 offset1:121
	buffer_load_dword v9, off, s[0:3], 0 offset:752
	buffer_load_dword v10, off, s[0:3], 0 offset:756
	;; [unrolled: 1-line block ×4, first 2 shown]
	s_waitcnt vmcnt(0) lgkmcnt(0)
	v_mul_f64 v[5:6], v[3:4], v[18:19]
	v_fma_f64 v[5:6], v[1:2], v[9:10], -v[5:6]
	v_mul_f64 v[1:2], v[1:2], v[18:19]
	v_fma_f64 v[1:2], v[3:4], v[9:10], v[1:2]
	buffer_load_dword v4, off, s[0:3], 0 offset:964
	buffer_load_dword v3, off, s[0:3], 0 offset:960
	s_waitcnt vmcnt(0)
	v_add_f64 v[3:4], v[3:4], -v[5:6]
	buffer_load_dword v6, off, s[0:3], 0 offset:972
	buffer_load_dword v5, off, s[0:3], 0 offset:968
	s_waitcnt vmcnt(0)
	v_add_f64 v[1:2], v[5:6], -v[1:2]
	buffer_store_dword v4, off, s[0:3], 0 offset:964
	buffer_store_dword v3, off, s[0:3], 0 offset:960
	buffer_store_dword v2, off, s[0:3], 0 offset:972
	buffer_store_dword v1, off, s[0:3], 0 offset:968
	ds_read2_b64 v[1:4], v12 offset0:122 offset1:123
	s_waitcnt lgkmcnt(0)
	v_mul_f64 v[5:6], v[3:4], v[18:19]
	v_fma_f64 v[5:6], v[1:2], v[9:10], -v[5:6]
	v_mul_f64 v[1:2], v[1:2], v[18:19]
	v_fma_f64 v[1:2], v[3:4], v[9:10], v[1:2]
	buffer_load_dword v3, off, s[0:3], 0 offset:976
	buffer_load_dword v4, off, s[0:3], 0 offset:980
	buffer_load_dword v7, off, s[0:3], 0 offset:984
	buffer_load_dword v8, off, s[0:3], 0 offset:988
	s_waitcnt vmcnt(2)
	v_add_f64 v[3:4], v[3:4], -v[5:6]
	s_waitcnt vmcnt(0)
	v_add_f64 v[1:2], v[7:8], -v[1:2]
	buffer_store_dword v4, off, s[0:3], 0 offset:980
	buffer_store_dword v3, off, s[0:3], 0 offset:976
	buffer_store_dword v2, off, s[0:3], 0 offset:988
	buffer_store_dword v1, off, s[0:3], 0 offset:984
	ds_read2_b64 v[1:4], v12 offset0:124 offset1:125
	s_waitcnt lgkmcnt(0)
	v_mul_f64 v[5:6], v[3:4], v[18:19]
	v_fma_f64 v[5:6], v[1:2], v[9:10], -v[5:6]
	v_mul_f64 v[1:2], v[1:2], v[18:19]
	v_fma_f64 v[1:2], v[3:4], v[9:10], v[1:2]
	buffer_load_dword v3, off, s[0:3], 0 offset:992
	buffer_load_dword v4, off, s[0:3], 0 offset:996
	buffer_load_dword v7, off, s[0:3], 0 offset:1000
	buffer_load_dword v8, off, s[0:3], 0 offset:1004
	s_waitcnt vmcnt(2)
	v_add_f64 v[3:4], v[3:4], -v[5:6]
	;; [unrolled: 18-line block ×3, first 2 shown]
	s_waitcnt vmcnt(0)
	v_add_f64 v[1:2], v[5:6], -v[1:2]
	buffer_store_dword v4, off, s[0:3], 0 offset:1012
	buffer_store_dword v3, off, s[0:3], 0 offset:1008
	;; [unrolled: 1-line block ×4, first 2 shown]
.LBB127_551:
	s_or_b64 exec, exec, s[6:7]
	v_cmp_eq_u32_e32 vcc, 48, v0
	s_waitcnt vmcnt(0) lgkmcnt(0)
	s_barrier
	s_and_saveexec_b64 s[8:9], vcc
	s_cbranch_execz .LBB127_558
; %bb.552:
	v_mov_b32_e32 v4, s29
	buffer_load_dword v1, v4, s[0:3], 0 offen
	buffer_load_dword v2, v4, s[0:3], 0 offen offset:4
	buffer_load_dword v3, v4, s[0:3], 0 offen offset:8
	s_nop 0
	buffer_load_dword v4, v4, s[0:3], 0 offen offset:12
	s_waitcnt vmcnt(0)
	ds_write2_b64 v11, v[1:2], v[3:4] offset1:1
	v_mov_b32_e32 v4, s28
	buffer_load_dword v1, v4, s[0:3], 0 offen
	buffer_load_dword v2, v4, s[0:3], 0 offen offset:4
	buffer_load_dword v3, v4, s[0:3], 0 offen offset:8
	s_nop 0
	buffer_load_dword v4, v4, s[0:3], 0 offen offset:12
	s_waitcnt vmcnt(0)
	ds_write2_b64 v12, v[1:2], v[3:4] offset0:98 offset1:99
	v_mov_b32_e32 v4, s27
	buffer_load_dword v1, v4, s[0:3], 0 offen
	buffer_load_dword v2, v4, s[0:3], 0 offen offset:4
	buffer_load_dword v3, v4, s[0:3], 0 offen offset:8
	s_nop 0
	buffer_load_dword v4, v4, s[0:3], 0 offen offset:12
	s_waitcnt vmcnt(0)
	ds_write2_b64 v12, v[1:2], v[3:4] offset0:100 offset1:101
	;; [unrolled: 8-line block ×15, first 2 shown]
	ds_read2_b64 v[1:4], v11 offset1:1
	s_waitcnt lgkmcnt(0)
	v_cmp_neq_f64_e32 vcc, 0, v[1:2]
	v_cmp_neq_f64_e64 s[6:7], 0, v[3:4]
	s_or_b64 s[6:7], vcc, s[6:7]
	s_and_b64 exec, exec, s[6:7]
	s_cbranch_execz .LBB127_558
; %bb.553:
	v_cmp_ngt_f64_e64 s[6:7], |v[1:2]|, |v[3:4]|
                                        ; implicit-def: $vgpr5_vgpr6
	s_and_saveexec_b64 s[10:11], s[6:7]
	s_xor_b64 s[6:7], exec, s[10:11]
                                        ; implicit-def: $vgpr7_vgpr8
	s_cbranch_execz .LBB127_555
; %bb.554:
	v_div_scale_f64 v[5:6], s[10:11], v[3:4], v[3:4], v[1:2]
	v_rcp_f64_e32 v[7:8], v[5:6]
	v_fma_f64 v[9:10], -v[5:6], v[7:8], 1.0
	v_fma_f64 v[7:8], v[7:8], v[9:10], v[7:8]
	v_div_scale_f64 v[9:10], vcc, v[1:2], v[3:4], v[1:2]
	v_fma_f64 v[18:19], -v[5:6], v[7:8], 1.0
	v_fma_f64 v[7:8], v[7:8], v[18:19], v[7:8]
	v_mul_f64 v[18:19], v[9:10], v[7:8]
	v_fma_f64 v[5:6], -v[5:6], v[18:19], v[9:10]
	v_div_fmas_f64 v[5:6], v[5:6], v[7:8], v[18:19]
	v_div_fixup_f64 v[5:6], v[5:6], v[3:4], v[1:2]
	v_fma_f64 v[1:2], v[1:2], v[5:6], v[3:4]
	v_div_scale_f64 v[3:4], s[10:11], v[1:2], v[1:2], 1.0
	v_div_scale_f64 v[18:19], vcc, 1.0, v[1:2], 1.0
	v_rcp_f64_e32 v[7:8], v[3:4]
	v_fma_f64 v[9:10], -v[3:4], v[7:8], 1.0
	v_fma_f64 v[7:8], v[7:8], v[9:10], v[7:8]
	v_fma_f64 v[9:10], -v[3:4], v[7:8], 1.0
	v_fma_f64 v[7:8], v[7:8], v[9:10], v[7:8]
	v_mul_f64 v[9:10], v[18:19], v[7:8]
	v_fma_f64 v[3:4], -v[3:4], v[9:10], v[18:19]
	v_div_fmas_f64 v[3:4], v[3:4], v[7:8], v[9:10]
	v_div_fixup_f64 v[7:8], v[3:4], v[1:2], 1.0
                                        ; implicit-def: $vgpr1_vgpr2
	v_mul_f64 v[5:6], v[5:6], v[7:8]
	v_xor_b32_e32 v8, 0x80000000, v8
.LBB127_555:
	s_andn2_saveexec_b64 s[6:7], s[6:7]
	s_cbranch_execz .LBB127_557
; %bb.556:
	v_div_scale_f64 v[5:6], s[10:11], v[1:2], v[1:2], v[3:4]
	v_rcp_f64_e32 v[7:8], v[5:6]
	v_fma_f64 v[9:10], -v[5:6], v[7:8], 1.0
	v_fma_f64 v[7:8], v[7:8], v[9:10], v[7:8]
	v_div_scale_f64 v[9:10], vcc, v[3:4], v[1:2], v[3:4]
	v_fma_f64 v[18:19], -v[5:6], v[7:8], 1.0
	v_fma_f64 v[7:8], v[7:8], v[18:19], v[7:8]
	v_mul_f64 v[18:19], v[9:10], v[7:8]
	v_fma_f64 v[5:6], -v[5:6], v[18:19], v[9:10]
	v_div_fmas_f64 v[5:6], v[5:6], v[7:8], v[18:19]
	v_div_fixup_f64 v[7:8], v[5:6], v[1:2], v[3:4]
	v_fma_f64 v[1:2], v[3:4], v[7:8], v[1:2]
	v_div_scale_f64 v[3:4], s[10:11], v[1:2], v[1:2], 1.0
	v_div_scale_f64 v[18:19], vcc, 1.0, v[1:2], 1.0
	v_rcp_f64_e32 v[5:6], v[3:4]
	v_fma_f64 v[9:10], -v[3:4], v[5:6], 1.0
	v_fma_f64 v[5:6], v[5:6], v[9:10], v[5:6]
	v_fma_f64 v[9:10], -v[3:4], v[5:6], 1.0
	v_fma_f64 v[5:6], v[5:6], v[9:10], v[5:6]
	v_mul_f64 v[9:10], v[18:19], v[5:6]
	v_fma_f64 v[3:4], -v[3:4], v[9:10], v[18:19]
	v_div_fmas_f64 v[3:4], v[3:4], v[5:6], v[9:10]
	v_div_fixup_f64 v[5:6], v[3:4], v[1:2], 1.0
	v_mul_f64 v[7:8], v[7:8], -v[5:6]
.LBB127_557:
	s_or_b64 exec, exec, s[6:7]
	ds_write2_b64 v11, v[5:6], v[7:8] offset1:1
.LBB127_558:
	s_or_b64 exec, exec, s[8:9]
	s_waitcnt lgkmcnt(0)
	s_barrier
	ds_read2_b64 v[69:72], v11 offset1:1
	v_cmp_lt_u32_e32 vcc, 48, v0
	s_and_saveexec_b64 s[6:7], vcc
	s_cbranch_execz .LBB127_560
; %bb.559:
	buffer_load_dword v3, off, s[0:3], 0 offset:768
	buffer_load_dword v4, off, s[0:3], 0 offset:772
	;; [unrolled: 1-line block ×16, first 2 shown]
	s_waitcnt vmcnt(12) lgkmcnt(0)
	v_mul_f64 v[1:2], v[71:72], v[5:6]
	v_mul_f64 v[5:6], v[69:70], v[5:6]
	v_fma_f64 v[1:2], v[69:70], v[3:4], -v[1:2]
	v_fma_f64 v[3:4], v[71:72], v[3:4], v[5:6]
	buffer_store_dword v1, off, s[0:3], 0 offset:768
	buffer_store_dword v2, off, s[0:3], 0 offset:772
	buffer_store_dword v3, off, s[0:3], 0 offset:776
	buffer_store_dword v4, off, s[0:3], 0 offset:780
	ds_read2_b64 v[5:8], v12 offset0:98 offset1:99
	s_waitcnt lgkmcnt(0)
	v_mul_f64 v[81:82], v[7:8], v[3:4]
	v_fma_f64 v[81:82], v[5:6], v[1:2], -v[81:82]
	v_mul_f64 v[5:6], v[5:6], v[3:4]
	v_fma_f64 v[5:6], v[7:8], v[1:2], v[5:6]
	s_waitcnt vmcnt(14)
	v_add_f64 v[7:8], v[9:10], -v[81:82]
	s_waitcnt vmcnt(12)
	v_add_f64 v[5:6], v[18:19], -v[5:6]
	buffer_store_dword v7, off, s[0:3], 0 offset:784
	buffer_store_dword v8, off, s[0:3], 0 offset:788
	buffer_store_dword v5, off, s[0:3], 0 offset:792
	buffer_store_dword v6, off, s[0:3], 0 offset:796
	ds_read2_b64 v[5:8], v12 offset0:100 offset1:101
	s_waitcnt lgkmcnt(0)
	v_mul_f64 v[9:10], v[7:8], v[3:4]
	v_fma_f64 v[9:10], v[5:6], v[1:2], -v[9:10]
	v_mul_f64 v[5:6], v[5:6], v[3:4]
	v_fma_f64 v[5:6], v[7:8], v[1:2], v[5:6]
	s_waitcnt vmcnt(14)
	v_add_f64 v[7:8], v[73:74], -v[9:10]
	s_waitcnt vmcnt(12)
	v_add_f64 v[5:6], v[75:76], -v[5:6]
	;; [unrolled: 14-line block ×3, first 2 shown]
	buffer_store_dword v8, off, s[0:3], 0 offset:820
	buffer_store_dword v7, off, s[0:3], 0 offset:816
	;; [unrolled: 1-line block ×4, first 2 shown]
	ds_read2_b64 v[5:8], v12 offset0:104 offset1:105
	s_waitcnt lgkmcnt(0)
	v_mul_f64 v[9:10], v[7:8], v[3:4]
	v_fma_f64 v[9:10], v[5:6], v[1:2], -v[9:10]
	v_mul_f64 v[5:6], v[5:6], v[3:4]
	v_fma_f64 v[5:6], v[7:8], v[1:2], v[5:6]
	buffer_load_dword v7, off, s[0:3], 0 offset:832
	buffer_load_dword v8, off, s[0:3], 0 offset:836
	;; [unrolled: 1-line block ×4, first 2 shown]
	s_waitcnt vmcnt(2)
	v_add_f64 v[7:8], v[7:8], -v[9:10]
	s_waitcnt vmcnt(0)
	v_add_f64 v[5:6], v[18:19], -v[5:6]
	buffer_store_dword v8, off, s[0:3], 0 offset:836
	buffer_store_dword v7, off, s[0:3], 0 offset:832
	buffer_store_dword v6, off, s[0:3], 0 offset:844
	buffer_store_dword v5, off, s[0:3], 0 offset:840
	ds_read2_b64 v[5:8], v12 offset0:106 offset1:107
	s_waitcnt lgkmcnt(0)
	v_mul_f64 v[9:10], v[7:8], v[3:4]
	v_fma_f64 v[9:10], v[5:6], v[1:2], -v[9:10]
	v_mul_f64 v[5:6], v[5:6], v[3:4]
	v_fma_f64 v[5:6], v[7:8], v[1:2], v[5:6]
	buffer_load_dword v7, off, s[0:3], 0 offset:848
	buffer_load_dword v8, off, s[0:3], 0 offset:852
	;; [unrolled: 1-line block ×4, first 2 shown]
	s_waitcnt vmcnt(2)
	v_add_f64 v[7:8], v[7:8], -v[9:10]
	s_waitcnt vmcnt(0)
	v_add_f64 v[5:6], v[18:19], -v[5:6]
	buffer_store_dword v8, off, s[0:3], 0 offset:852
	buffer_store_dword v7, off, s[0:3], 0 offset:848
	;; [unrolled: 1-line block ×4, first 2 shown]
	ds_read2_b64 v[5:8], v12 offset0:108 offset1:109
	s_waitcnt lgkmcnt(0)
	v_mul_f64 v[9:10], v[7:8], v[3:4]
	v_mul_f64 v[3:4], v[5:6], v[3:4]
	v_fma_f64 v[9:10], v[5:6], v[1:2], -v[9:10]
	v_fma_f64 v[1:2], v[7:8], v[1:2], v[3:4]
	buffer_load_dword v3, off, s[0:3], 0 offset:864
	buffer_load_dword v4, off, s[0:3], 0 offset:868
	;; [unrolled: 1-line block ×4, first 2 shown]
	s_waitcnt vmcnt(2)
	v_add_f64 v[3:4], v[3:4], -v[9:10]
	s_waitcnt vmcnt(0)
	v_add_f64 v[1:2], v[5:6], -v[1:2]
	buffer_store_dword v4, off, s[0:3], 0 offset:868
	buffer_store_dword v3, off, s[0:3], 0 offset:864
	;; [unrolled: 1-line block ×4, first 2 shown]
	ds_read2_b64 v[5:8], v12 offset0:110 offset1:111
	buffer_load_dword v1, off, s[0:3], 0 offset:768
	buffer_load_dword v2, off, s[0:3], 0 offset:772
	;; [unrolled: 1-line block ×4, first 2 shown]
	s_waitcnt vmcnt(0) lgkmcnt(0)
	v_mul_f64 v[9:10], v[7:8], v[3:4]
	v_fma_f64 v[9:10], v[5:6], v[1:2], -v[9:10]
	v_mul_f64 v[5:6], v[5:6], v[3:4]
	v_fma_f64 v[5:6], v[7:8], v[1:2], v[5:6]
	buffer_load_dword v8, off, s[0:3], 0 offset:884
	buffer_load_dword v7, off, s[0:3], 0 offset:880
	s_waitcnt vmcnt(0)
	v_add_f64 v[7:8], v[7:8], -v[9:10]
	buffer_load_dword v10, off, s[0:3], 0 offset:892
	buffer_load_dword v9, off, s[0:3], 0 offset:888
	s_waitcnt vmcnt(0)
	v_add_f64 v[5:6], v[9:10], -v[5:6]
	buffer_store_dword v8, off, s[0:3], 0 offset:884
	buffer_store_dword v7, off, s[0:3], 0 offset:880
	buffer_store_dword v6, off, s[0:3], 0 offset:892
	buffer_store_dword v5, off, s[0:3], 0 offset:888
	ds_read2_b64 v[5:8], v12 offset0:112 offset1:113
	s_waitcnt lgkmcnt(0)
	v_mul_f64 v[9:10], v[7:8], v[3:4]
	v_fma_f64 v[9:10], v[5:6], v[1:2], -v[9:10]
	v_mul_f64 v[5:6], v[5:6], v[3:4]
	v_fma_f64 v[5:6], v[7:8], v[1:2], v[5:6]
	buffer_load_dword v7, off, s[0:3], 0 offset:896
	buffer_load_dword v8, off, s[0:3], 0 offset:900
	buffer_load_dword v18, off, s[0:3], 0 offset:904
	buffer_load_dword v19, off, s[0:3], 0 offset:908
	s_waitcnt vmcnt(2)
	v_add_f64 v[7:8], v[7:8], -v[9:10]
	s_waitcnt vmcnt(0)
	v_add_f64 v[5:6], v[18:19], -v[5:6]
	buffer_store_dword v8, off, s[0:3], 0 offset:900
	buffer_store_dword v7, off, s[0:3], 0 offset:896
	buffer_store_dword v6, off, s[0:3], 0 offset:908
	buffer_store_dword v5, off, s[0:3], 0 offset:904
	ds_read2_b64 v[5:8], v12 offset0:114 offset1:115
	s_waitcnt lgkmcnt(0)
	v_mul_f64 v[9:10], v[7:8], v[3:4]
	v_fma_f64 v[9:10], v[5:6], v[1:2], -v[9:10]
	v_mul_f64 v[5:6], v[5:6], v[3:4]
	v_fma_f64 v[5:6], v[7:8], v[1:2], v[5:6]
	buffer_load_dword v7, off, s[0:3], 0 offset:912
	buffer_load_dword v8, off, s[0:3], 0 offset:916
	buffer_load_dword v18, off, s[0:3], 0 offset:920
	buffer_load_dword v19, off, s[0:3], 0 offset:924
	s_waitcnt vmcnt(2)
	v_add_f64 v[7:8], v[7:8], -v[9:10]
	;; [unrolled: 18-line block ×4, first 2 shown]
	s_waitcnt vmcnt(0)
	v_add_f64 v[5:6], v[18:19], -v[5:6]
	buffer_store_dword v8, off, s[0:3], 0 offset:948
	buffer_store_dword v7, off, s[0:3], 0 offset:944
	;; [unrolled: 1-line block ×4, first 2 shown]
	ds_read2_b64 v[5:8], v12 offset0:120 offset1:121
	s_waitcnt lgkmcnt(0)
	v_mul_f64 v[9:10], v[7:8], v[3:4]
	v_mul_f64 v[3:4], v[5:6], v[3:4]
	v_fma_f64 v[9:10], v[5:6], v[1:2], -v[9:10]
	v_fma_f64 v[1:2], v[7:8], v[1:2], v[3:4]
	buffer_load_dword v3, off, s[0:3], 0 offset:960
	buffer_load_dword v4, off, s[0:3], 0 offset:964
	;; [unrolled: 1-line block ×4, first 2 shown]
	s_waitcnt vmcnt(2)
	v_add_f64 v[3:4], v[3:4], -v[9:10]
	s_waitcnt vmcnt(0)
	v_add_f64 v[1:2], v[5:6], -v[1:2]
	buffer_store_dword v4, off, s[0:3], 0 offset:964
	buffer_store_dword v3, off, s[0:3], 0 offset:960
	buffer_store_dword v2, off, s[0:3], 0 offset:972
	buffer_store_dword v1, off, s[0:3], 0 offset:968
	ds_read2_b64 v[1:4], v12 offset0:122 offset1:123
	buffer_load_dword v9, off, s[0:3], 0 offset:768
	buffer_load_dword v10, off, s[0:3], 0 offset:772
	;; [unrolled: 1-line block ×4, first 2 shown]
	s_waitcnt vmcnt(0) lgkmcnt(0)
	v_mul_f64 v[5:6], v[3:4], v[18:19]
	v_fma_f64 v[5:6], v[1:2], v[9:10], -v[5:6]
	v_mul_f64 v[1:2], v[1:2], v[18:19]
	v_fma_f64 v[1:2], v[3:4], v[9:10], v[1:2]
	buffer_load_dword v4, off, s[0:3], 0 offset:980
	buffer_load_dword v3, off, s[0:3], 0 offset:976
	s_waitcnt vmcnt(0)
	v_add_f64 v[3:4], v[3:4], -v[5:6]
	buffer_load_dword v6, off, s[0:3], 0 offset:988
	buffer_load_dword v5, off, s[0:3], 0 offset:984
	s_waitcnt vmcnt(0)
	v_add_f64 v[1:2], v[5:6], -v[1:2]
	buffer_store_dword v4, off, s[0:3], 0 offset:980
	buffer_store_dword v3, off, s[0:3], 0 offset:976
	;; [unrolled: 1-line block ×4, first 2 shown]
	ds_read2_b64 v[1:4], v12 offset0:124 offset1:125
	s_waitcnt lgkmcnt(0)
	v_mul_f64 v[5:6], v[3:4], v[18:19]
	v_fma_f64 v[5:6], v[1:2], v[9:10], -v[5:6]
	v_mul_f64 v[1:2], v[1:2], v[18:19]
	v_fma_f64 v[1:2], v[3:4], v[9:10], v[1:2]
	buffer_load_dword v3, off, s[0:3], 0 offset:992
	buffer_load_dword v4, off, s[0:3], 0 offset:996
	;; [unrolled: 1-line block ×4, first 2 shown]
	s_waitcnt vmcnt(2)
	v_add_f64 v[3:4], v[3:4], -v[5:6]
	s_waitcnt vmcnt(0)
	v_add_f64 v[1:2], v[7:8], -v[1:2]
	buffer_store_dword v4, off, s[0:3], 0 offset:996
	buffer_store_dword v3, off, s[0:3], 0 offset:992
	;; [unrolled: 1-line block ×4, first 2 shown]
	ds_read2_b64 v[5:8], v12 offset0:126 offset1:127
	s_waitcnt lgkmcnt(0)
	v_mul_f64 v[1:2], v[7:8], v[18:19]
	v_fma_f64 v[3:4], v[5:6], v[9:10], -v[1:2]
	v_mul_f64 v[1:2], v[5:6], v[18:19]
	v_fma_f64 v[1:2], v[7:8], v[9:10], v[1:2]
	buffer_load_dword v7, off, s[0:3], 0 offset:1008
	buffer_load_dword v8, off, s[0:3], 0 offset:1012
	;; [unrolled: 1-line block ×4, first 2 shown]
	s_waitcnt vmcnt(2)
	v_add_f64 v[3:4], v[7:8], -v[3:4]
	s_waitcnt vmcnt(0)
	v_add_f64 v[1:2], v[5:6], -v[1:2]
	buffer_store_dword v4, off, s[0:3], 0 offset:1012
	buffer_store_dword v3, off, s[0:3], 0 offset:1008
	;; [unrolled: 1-line block ×4, first 2 shown]
.LBB127_560:
	s_or_b64 exec, exec, s[6:7]
	v_cmp_eq_u32_e32 vcc, 49, v0
	s_waitcnt vmcnt(0) lgkmcnt(0)
	s_barrier
	s_and_saveexec_b64 s[8:9], vcc
	s_cbranch_execz .LBB127_567
; %bb.561:
	v_mov_b32_e32 v4, s28
	buffer_load_dword v1, v4, s[0:3], 0 offen
	buffer_load_dword v2, v4, s[0:3], 0 offen offset:4
	buffer_load_dword v3, v4, s[0:3], 0 offen offset:8
	s_nop 0
	buffer_load_dword v4, v4, s[0:3], 0 offen offset:12
	s_waitcnt vmcnt(0)
	ds_write2_b64 v11, v[1:2], v[3:4] offset1:1
	v_mov_b32_e32 v4, s27
	buffer_load_dword v1, v4, s[0:3], 0 offen
	buffer_load_dword v2, v4, s[0:3], 0 offen offset:4
	buffer_load_dword v3, v4, s[0:3], 0 offen offset:8
	s_nop 0
	buffer_load_dword v4, v4, s[0:3], 0 offen offset:12
	s_waitcnt vmcnt(0)
	ds_write2_b64 v12, v[1:2], v[3:4] offset0:100 offset1:101
	v_mov_b32_e32 v4, s26
	buffer_load_dword v1, v4, s[0:3], 0 offen
	buffer_load_dword v2, v4, s[0:3], 0 offen offset:4
	buffer_load_dword v3, v4, s[0:3], 0 offen offset:8
	s_nop 0
	buffer_load_dword v4, v4, s[0:3], 0 offen offset:12
	s_waitcnt vmcnt(0)
	ds_write2_b64 v12, v[1:2], v[3:4] offset0:102 offset1:103
	;; [unrolled: 8-line block ×14, first 2 shown]
	ds_read2_b64 v[1:4], v11 offset1:1
	s_waitcnt lgkmcnt(0)
	v_cmp_neq_f64_e32 vcc, 0, v[1:2]
	v_cmp_neq_f64_e64 s[6:7], 0, v[3:4]
	s_or_b64 s[6:7], vcc, s[6:7]
	s_and_b64 exec, exec, s[6:7]
	s_cbranch_execz .LBB127_567
; %bb.562:
	v_cmp_ngt_f64_e64 s[6:7], |v[1:2]|, |v[3:4]|
                                        ; implicit-def: $vgpr5_vgpr6
	s_and_saveexec_b64 s[10:11], s[6:7]
	s_xor_b64 s[6:7], exec, s[10:11]
                                        ; implicit-def: $vgpr7_vgpr8
	s_cbranch_execz .LBB127_564
; %bb.563:
	v_div_scale_f64 v[5:6], s[10:11], v[3:4], v[3:4], v[1:2]
	v_rcp_f64_e32 v[7:8], v[5:6]
	v_fma_f64 v[9:10], -v[5:6], v[7:8], 1.0
	v_fma_f64 v[7:8], v[7:8], v[9:10], v[7:8]
	v_div_scale_f64 v[9:10], vcc, v[1:2], v[3:4], v[1:2]
	v_fma_f64 v[18:19], -v[5:6], v[7:8], 1.0
	v_fma_f64 v[7:8], v[7:8], v[18:19], v[7:8]
	v_mul_f64 v[18:19], v[9:10], v[7:8]
	v_fma_f64 v[5:6], -v[5:6], v[18:19], v[9:10]
	v_div_fmas_f64 v[5:6], v[5:6], v[7:8], v[18:19]
	v_div_fixup_f64 v[5:6], v[5:6], v[3:4], v[1:2]
	v_fma_f64 v[1:2], v[1:2], v[5:6], v[3:4]
	v_div_scale_f64 v[3:4], s[10:11], v[1:2], v[1:2], 1.0
	v_div_scale_f64 v[18:19], vcc, 1.0, v[1:2], 1.0
	v_rcp_f64_e32 v[7:8], v[3:4]
	v_fma_f64 v[9:10], -v[3:4], v[7:8], 1.0
	v_fma_f64 v[7:8], v[7:8], v[9:10], v[7:8]
	v_fma_f64 v[9:10], -v[3:4], v[7:8], 1.0
	v_fma_f64 v[7:8], v[7:8], v[9:10], v[7:8]
	v_mul_f64 v[9:10], v[18:19], v[7:8]
	v_fma_f64 v[3:4], -v[3:4], v[9:10], v[18:19]
	v_div_fmas_f64 v[3:4], v[3:4], v[7:8], v[9:10]
	v_div_fixup_f64 v[7:8], v[3:4], v[1:2], 1.0
                                        ; implicit-def: $vgpr1_vgpr2
	v_mul_f64 v[5:6], v[5:6], v[7:8]
	v_xor_b32_e32 v8, 0x80000000, v8
.LBB127_564:
	s_andn2_saveexec_b64 s[6:7], s[6:7]
	s_cbranch_execz .LBB127_566
; %bb.565:
	v_div_scale_f64 v[5:6], s[10:11], v[1:2], v[1:2], v[3:4]
	v_rcp_f64_e32 v[7:8], v[5:6]
	v_fma_f64 v[9:10], -v[5:6], v[7:8], 1.0
	v_fma_f64 v[7:8], v[7:8], v[9:10], v[7:8]
	v_div_scale_f64 v[9:10], vcc, v[3:4], v[1:2], v[3:4]
	v_fma_f64 v[18:19], -v[5:6], v[7:8], 1.0
	v_fma_f64 v[7:8], v[7:8], v[18:19], v[7:8]
	v_mul_f64 v[18:19], v[9:10], v[7:8]
	v_fma_f64 v[5:6], -v[5:6], v[18:19], v[9:10]
	v_div_fmas_f64 v[5:6], v[5:6], v[7:8], v[18:19]
	v_div_fixup_f64 v[7:8], v[5:6], v[1:2], v[3:4]
	v_fma_f64 v[1:2], v[3:4], v[7:8], v[1:2]
	v_div_scale_f64 v[3:4], s[10:11], v[1:2], v[1:2], 1.0
	v_div_scale_f64 v[18:19], vcc, 1.0, v[1:2], 1.0
	v_rcp_f64_e32 v[5:6], v[3:4]
	v_fma_f64 v[9:10], -v[3:4], v[5:6], 1.0
	v_fma_f64 v[5:6], v[5:6], v[9:10], v[5:6]
	v_fma_f64 v[9:10], -v[3:4], v[5:6], 1.0
	v_fma_f64 v[5:6], v[5:6], v[9:10], v[5:6]
	v_mul_f64 v[9:10], v[18:19], v[5:6]
	v_fma_f64 v[3:4], -v[3:4], v[9:10], v[18:19]
	v_div_fmas_f64 v[3:4], v[3:4], v[5:6], v[9:10]
	v_div_fixup_f64 v[5:6], v[3:4], v[1:2], 1.0
	v_mul_f64 v[7:8], v[7:8], -v[5:6]
.LBB127_566:
	s_or_b64 exec, exec, s[6:7]
	ds_write2_b64 v11, v[5:6], v[7:8] offset1:1
.LBB127_567:
	s_or_b64 exec, exec, s[8:9]
	s_waitcnt lgkmcnt(0)
	s_barrier
	ds_read2_b64 v[73:76], v11 offset1:1
	v_cmp_lt_u32_e32 vcc, 49, v0
	s_and_saveexec_b64 s[6:7], vcc
	s_cbranch_execz .LBB127_569
; %bb.568:
	buffer_load_dword v3, off, s[0:3], 0 offset:784
	buffer_load_dword v4, off, s[0:3], 0 offset:788
	;; [unrolled: 1-line block ×16, first 2 shown]
	s_waitcnt vmcnt(12) lgkmcnt(0)
	v_mul_f64 v[1:2], v[75:76], v[5:6]
	v_mul_f64 v[5:6], v[73:74], v[5:6]
	v_fma_f64 v[1:2], v[73:74], v[3:4], -v[1:2]
	v_fma_f64 v[3:4], v[75:76], v[3:4], v[5:6]
	buffer_store_dword v1, off, s[0:3], 0 offset:784
	buffer_store_dword v2, off, s[0:3], 0 offset:788
	buffer_store_dword v3, off, s[0:3], 0 offset:792
	buffer_store_dword v4, off, s[0:3], 0 offset:796
	ds_read2_b64 v[5:8], v12 offset0:100 offset1:101
	s_waitcnt lgkmcnt(0)
	v_mul_f64 v[85:86], v[7:8], v[3:4]
	v_fma_f64 v[85:86], v[5:6], v[1:2], -v[85:86]
	v_mul_f64 v[5:6], v[5:6], v[3:4]
	v_fma_f64 v[5:6], v[7:8], v[1:2], v[5:6]
	s_waitcnt vmcnt(14)
	v_add_f64 v[7:8], v[9:10], -v[85:86]
	s_waitcnt vmcnt(12)
	v_add_f64 v[5:6], v[18:19], -v[5:6]
	buffer_store_dword v7, off, s[0:3], 0 offset:800
	buffer_store_dword v8, off, s[0:3], 0 offset:804
	buffer_store_dword v5, off, s[0:3], 0 offset:808
	buffer_store_dword v6, off, s[0:3], 0 offset:812
	ds_read2_b64 v[5:8], v12 offset0:102 offset1:103
	s_waitcnt lgkmcnt(0)
	v_mul_f64 v[9:10], v[7:8], v[3:4]
	v_fma_f64 v[9:10], v[5:6], v[1:2], -v[9:10]
	v_mul_f64 v[5:6], v[5:6], v[3:4]
	v_fma_f64 v[5:6], v[7:8], v[1:2], v[5:6]
	s_waitcnt vmcnt(14)
	v_add_f64 v[7:8], v[77:78], -v[9:10]
	s_waitcnt vmcnt(12)
	v_add_f64 v[5:6], v[79:80], -v[5:6]
	buffer_store_dword v7, off, s[0:3], 0 offset:816
	buffer_store_dword v8, off, s[0:3], 0 offset:820
	buffer_store_dword v5, off, s[0:3], 0 offset:824
	buffer_store_dword v6, off, s[0:3], 0 offset:828
	ds_read2_b64 v[5:8], v12 offset0:104 offset1:105
	s_waitcnt lgkmcnt(0)
	v_mul_f64 v[9:10], v[7:8], v[3:4]
	v_fma_f64 v[9:10], v[5:6], v[1:2], -v[9:10]
	v_mul_f64 v[5:6], v[5:6], v[3:4]
	v_fma_f64 v[5:6], v[7:8], v[1:2], v[5:6]
	s_waitcnt vmcnt(14)
	v_add_f64 v[7:8], v[81:82], -v[9:10]
	s_waitcnt vmcnt(12)
	v_add_f64 v[5:6], v[83:84], -v[5:6]
	buffer_store_dword v8, off, s[0:3], 0 offset:836
	buffer_store_dword v7, off, s[0:3], 0 offset:832
	;; [unrolled: 1-line block ×4, first 2 shown]
	ds_read2_b64 v[5:8], v12 offset0:106 offset1:107
	s_waitcnt lgkmcnt(0)
	v_mul_f64 v[9:10], v[7:8], v[3:4]
	v_fma_f64 v[9:10], v[5:6], v[1:2], -v[9:10]
	v_mul_f64 v[5:6], v[5:6], v[3:4]
	v_fma_f64 v[5:6], v[7:8], v[1:2], v[5:6]
	buffer_load_dword v7, off, s[0:3], 0 offset:848
	buffer_load_dword v8, off, s[0:3], 0 offset:852
	;; [unrolled: 1-line block ×4, first 2 shown]
	s_waitcnt vmcnt(2)
	v_add_f64 v[7:8], v[7:8], -v[9:10]
	s_waitcnt vmcnt(0)
	v_add_f64 v[5:6], v[18:19], -v[5:6]
	buffer_store_dword v8, off, s[0:3], 0 offset:852
	buffer_store_dword v7, off, s[0:3], 0 offset:848
	;; [unrolled: 1-line block ×4, first 2 shown]
	ds_read2_b64 v[5:8], v12 offset0:108 offset1:109
	s_waitcnt lgkmcnt(0)
	v_mul_f64 v[9:10], v[7:8], v[3:4]
	v_fma_f64 v[9:10], v[5:6], v[1:2], -v[9:10]
	v_mul_f64 v[5:6], v[5:6], v[3:4]
	v_fma_f64 v[5:6], v[7:8], v[1:2], v[5:6]
	buffer_load_dword v7, off, s[0:3], 0 offset:864
	buffer_load_dword v8, off, s[0:3], 0 offset:868
	buffer_load_dword v18, off, s[0:3], 0 offset:872
	buffer_load_dword v19, off, s[0:3], 0 offset:876
	s_waitcnt vmcnt(2)
	v_add_f64 v[7:8], v[7:8], -v[9:10]
	s_waitcnt vmcnt(0)
	v_add_f64 v[5:6], v[18:19], -v[5:6]
	buffer_store_dword v8, off, s[0:3], 0 offset:868
	buffer_store_dword v7, off, s[0:3], 0 offset:864
	;; [unrolled: 1-line block ×4, first 2 shown]
	ds_read2_b64 v[5:8], v12 offset0:110 offset1:111
	s_waitcnt lgkmcnt(0)
	v_mul_f64 v[9:10], v[7:8], v[3:4]
	v_mul_f64 v[3:4], v[5:6], v[3:4]
	v_fma_f64 v[9:10], v[5:6], v[1:2], -v[9:10]
	v_fma_f64 v[1:2], v[7:8], v[1:2], v[3:4]
	buffer_load_dword v3, off, s[0:3], 0 offset:880
	buffer_load_dword v4, off, s[0:3], 0 offset:884
	;; [unrolled: 1-line block ×4, first 2 shown]
	s_waitcnt vmcnt(2)
	v_add_f64 v[3:4], v[3:4], -v[9:10]
	s_waitcnt vmcnt(0)
	v_add_f64 v[1:2], v[5:6], -v[1:2]
	buffer_store_dword v4, off, s[0:3], 0 offset:884
	buffer_store_dword v3, off, s[0:3], 0 offset:880
	;; [unrolled: 1-line block ×4, first 2 shown]
	ds_read2_b64 v[5:8], v12 offset0:112 offset1:113
	buffer_load_dword v1, off, s[0:3], 0 offset:784
	buffer_load_dword v2, off, s[0:3], 0 offset:788
	;; [unrolled: 1-line block ×4, first 2 shown]
	s_waitcnt vmcnt(0) lgkmcnt(0)
	v_mul_f64 v[9:10], v[7:8], v[3:4]
	v_fma_f64 v[9:10], v[5:6], v[1:2], -v[9:10]
	v_mul_f64 v[5:6], v[5:6], v[3:4]
	v_fma_f64 v[5:6], v[7:8], v[1:2], v[5:6]
	buffer_load_dword v8, off, s[0:3], 0 offset:900
	buffer_load_dword v7, off, s[0:3], 0 offset:896
	s_waitcnt vmcnt(0)
	v_add_f64 v[7:8], v[7:8], -v[9:10]
	buffer_load_dword v10, off, s[0:3], 0 offset:908
	buffer_load_dword v9, off, s[0:3], 0 offset:904
	s_waitcnt vmcnt(0)
	v_add_f64 v[5:6], v[9:10], -v[5:6]
	buffer_store_dword v8, off, s[0:3], 0 offset:900
	buffer_store_dword v7, off, s[0:3], 0 offset:896
	buffer_store_dword v6, off, s[0:3], 0 offset:908
	buffer_store_dword v5, off, s[0:3], 0 offset:904
	ds_read2_b64 v[5:8], v12 offset0:114 offset1:115
	s_waitcnt lgkmcnt(0)
	v_mul_f64 v[9:10], v[7:8], v[3:4]
	v_fma_f64 v[9:10], v[5:6], v[1:2], -v[9:10]
	v_mul_f64 v[5:6], v[5:6], v[3:4]
	v_fma_f64 v[5:6], v[7:8], v[1:2], v[5:6]
	buffer_load_dword v7, off, s[0:3], 0 offset:912
	buffer_load_dword v8, off, s[0:3], 0 offset:916
	buffer_load_dword v18, off, s[0:3], 0 offset:920
	buffer_load_dword v19, off, s[0:3], 0 offset:924
	s_waitcnt vmcnt(2)
	v_add_f64 v[7:8], v[7:8], -v[9:10]
	s_waitcnt vmcnt(0)
	v_add_f64 v[5:6], v[18:19], -v[5:6]
	buffer_store_dword v8, off, s[0:3], 0 offset:916
	buffer_store_dword v7, off, s[0:3], 0 offset:912
	buffer_store_dword v6, off, s[0:3], 0 offset:924
	buffer_store_dword v5, off, s[0:3], 0 offset:920
	ds_read2_b64 v[5:8], v12 offset0:116 offset1:117
	s_waitcnt lgkmcnt(0)
	v_mul_f64 v[9:10], v[7:8], v[3:4]
	v_fma_f64 v[9:10], v[5:6], v[1:2], -v[9:10]
	v_mul_f64 v[5:6], v[5:6], v[3:4]
	v_fma_f64 v[5:6], v[7:8], v[1:2], v[5:6]
	buffer_load_dword v7, off, s[0:3], 0 offset:928
	buffer_load_dword v8, off, s[0:3], 0 offset:932
	buffer_load_dword v18, off, s[0:3], 0 offset:936
	buffer_load_dword v19, off, s[0:3], 0 offset:940
	s_waitcnt vmcnt(2)
	v_add_f64 v[7:8], v[7:8], -v[9:10]
	;; [unrolled: 18-line block ×4, first 2 shown]
	s_waitcnt vmcnt(0)
	v_add_f64 v[5:6], v[18:19], -v[5:6]
	buffer_store_dword v8, off, s[0:3], 0 offset:964
	buffer_store_dword v7, off, s[0:3], 0 offset:960
	;; [unrolled: 1-line block ×4, first 2 shown]
	ds_read2_b64 v[5:8], v12 offset0:122 offset1:123
	s_waitcnt lgkmcnt(0)
	v_mul_f64 v[9:10], v[7:8], v[3:4]
	v_mul_f64 v[3:4], v[5:6], v[3:4]
	v_fma_f64 v[9:10], v[5:6], v[1:2], -v[9:10]
	v_fma_f64 v[1:2], v[7:8], v[1:2], v[3:4]
	buffer_load_dword v3, off, s[0:3], 0 offset:976
	buffer_load_dword v4, off, s[0:3], 0 offset:980
	;; [unrolled: 1-line block ×4, first 2 shown]
	s_waitcnt vmcnt(2)
	v_add_f64 v[3:4], v[3:4], -v[9:10]
	s_waitcnt vmcnt(0)
	v_add_f64 v[1:2], v[5:6], -v[1:2]
	buffer_store_dword v4, off, s[0:3], 0 offset:980
	buffer_store_dword v3, off, s[0:3], 0 offset:976
	;; [unrolled: 1-line block ×4, first 2 shown]
	ds_read2_b64 v[7:10], v12 offset0:124 offset1:125
	buffer_load_dword v1, off, s[0:3], 0 offset:784
	buffer_load_dword v2, off, s[0:3], 0 offset:788
	;; [unrolled: 1-line block ×4, first 2 shown]
	s_waitcnt vmcnt(0) lgkmcnt(0)
	v_mul_f64 v[3:4], v[9:10], v[5:6]
	v_fma_f64 v[3:4], v[7:8], v[1:2], -v[3:4]
	v_mul_f64 v[7:8], v[7:8], v[5:6]
	v_fma_f64 v[7:8], v[9:10], v[1:2], v[7:8]
	buffer_load_dword v10, off, s[0:3], 0 offset:996
	buffer_load_dword v9, off, s[0:3], 0 offset:992
	s_waitcnt vmcnt(0)
	v_add_f64 v[3:4], v[9:10], -v[3:4]
	buffer_load_dword v10, off, s[0:3], 0 offset:1004
	buffer_load_dword v9, off, s[0:3], 0 offset:1000
	s_waitcnt vmcnt(0)
	v_add_f64 v[7:8], v[9:10], -v[7:8]
	buffer_store_dword v4, off, s[0:3], 0 offset:996
	buffer_store_dword v3, off, s[0:3], 0 offset:992
	;; [unrolled: 1-line block ×4, first 2 shown]
	ds_read2_b64 v[7:10], v12 offset0:126 offset1:127
	s_waitcnt lgkmcnt(0)
	v_mul_f64 v[3:4], v[9:10], v[5:6]
	v_mul_f64 v[5:6], v[7:8], v[5:6]
	v_fma_f64 v[3:4], v[7:8], v[1:2], -v[3:4]
	v_fma_f64 v[1:2], v[9:10], v[1:2], v[5:6]
	buffer_load_dword v7, off, s[0:3], 0 offset:1008
	buffer_load_dword v8, off, s[0:3], 0 offset:1012
	;; [unrolled: 1-line block ×4, first 2 shown]
	s_waitcnt vmcnt(2)
	v_add_f64 v[3:4], v[7:8], -v[3:4]
	s_waitcnt vmcnt(0)
	v_add_f64 v[1:2], v[5:6], -v[1:2]
	buffer_store_dword v4, off, s[0:3], 0 offset:1012
	buffer_store_dword v3, off, s[0:3], 0 offset:1008
	;; [unrolled: 1-line block ×4, first 2 shown]
.LBB127_569:
	s_or_b64 exec, exec, s[6:7]
	v_cmp_eq_u32_e32 vcc, 50, v0
	s_waitcnt vmcnt(0) lgkmcnt(0)
	s_barrier
	s_and_saveexec_b64 s[8:9], vcc
	s_cbranch_execz .LBB127_576
; %bb.570:
	v_mov_b32_e32 v4, s27
	buffer_load_dword v1, v4, s[0:3], 0 offen
	buffer_load_dword v2, v4, s[0:3], 0 offen offset:4
	buffer_load_dword v3, v4, s[0:3], 0 offen offset:8
	s_nop 0
	buffer_load_dword v4, v4, s[0:3], 0 offen offset:12
	s_waitcnt vmcnt(0)
	ds_write2_b64 v11, v[1:2], v[3:4] offset1:1
	v_mov_b32_e32 v4, s26
	buffer_load_dword v1, v4, s[0:3], 0 offen
	buffer_load_dword v2, v4, s[0:3], 0 offen offset:4
	buffer_load_dword v3, v4, s[0:3], 0 offen offset:8
	s_nop 0
	buffer_load_dword v4, v4, s[0:3], 0 offen offset:12
	s_waitcnt vmcnt(0)
	ds_write2_b64 v12, v[1:2], v[3:4] offset0:102 offset1:103
	v_mov_b32_e32 v4, s25
	buffer_load_dword v1, v4, s[0:3], 0 offen
	buffer_load_dword v2, v4, s[0:3], 0 offen offset:4
	buffer_load_dword v3, v4, s[0:3], 0 offen offset:8
	s_nop 0
	buffer_load_dword v4, v4, s[0:3], 0 offen offset:12
	s_waitcnt vmcnt(0)
	ds_write2_b64 v12, v[1:2], v[3:4] offset0:104 offset1:105
	v_mov_b32_e32 v4, s24
	buffer_load_dword v1, v4, s[0:3], 0 offen
	buffer_load_dword v2, v4, s[0:3], 0 offen offset:4
	buffer_load_dword v3, v4, s[0:3], 0 offen offset:8
	s_nop 0
	buffer_load_dword v4, v4, s[0:3], 0 offen offset:12
	s_waitcnt vmcnt(0)
	ds_write2_b64 v12, v[1:2], v[3:4] offset0:106 offset1:107
	v_mov_b32_e32 v4, s23
	buffer_load_dword v1, v4, s[0:3], 0 offen
	buffer_load_dword v2, v4, s[0:3], 0 offen offset:4
	buffer_load_dword v3, v4, s[0:3], 0 offen offset:8
	s_nop 0
	buffer_load_dword v4, v4, s[0:3], 0 offen offset:12
	s_waitcnt vmcnt(0)
	ds_write2_b64 v12, v[1:2], v[3:4] offset0:108 offset1:109
	v_mov_b32_e32 v4, s22
	buffer_load_dword v1, v4, s[0:3], 0 offen
	buffer_load_dword v2, v4, s[0:3], 0 offen offset:4
	buffer_load_dword v3, v4, s[0:3], 0 offen offset:8
	s_nop 0
	buffer_load_dword v4, v4, s[0:3], 0 offen offset:12
	s_waitcnt vmcnt(0)
	ds_write2_b64 v12, v[1:2], v[3:4] offset0:110 offset1:111
	v_mov_b32_e32 v4, s21
	buffer_load_dword v1, v4, s[0:3], 0 offen
	buffer_load_dword v2, v4, s[0:3], 0 offen offset:4
	buffer_load_dword v3, v4, s[0:3], 0 offen offset:8
	s_nop 0
	buffer_load_dword v4, v4, s[0:3], 0 offen offset:12
	s_waitcnt vmcnt(0)
	ds_write2_b64 v12, v[1:2], v[3:4] offset0:112 offset1:113
	v_mov_b32_e32 v4, s20
	buffer_load_dword v1, v4, s[0:3], 0 offen
	buffer_load_dword v2, v4, s[0:3], 0 offen offset:4
	buffer_load_dword v3, v4, s[0:3], 0 offen offset:8
	s_nop 0
	buffer_load_dword v4, v4, s[0:3], 0 offen offset:12
	s_waitcnt vmcnt(0)
	ds_write2_b64 v12, v[1:2], v[3:4] offset0:114 offset1:115
	v_mov_b32_e32 v4, s19
	buffer_load_dword v1, v4, s[0:3], 0 offen
	buffer_load_dword v2, v4, s[0:3], 0 offen offset:4
	buffer_load_dword v3, v4, s[0:3], 0 offen offset:8
	s_nop 0
	buffer_load_dword v4, v4, s[0:3], 0 offen offset:12
	s_waitcnt vmcnt(0)
	ds_write2_b64 v12, v[1:2], v[3:4] offset0:116 offset1:117
	v_mov_b32_e32 v4, s18
	buffer_load_dword v1, v4, s[0:3], 0 offen
	buffer_load_dword v2, v4, s[0:3], 0 offen offset:4
	buffer_load_dword v3, v4, s[0:3], 0 offen offset:8
	s_nop 0
	buffer_load_dword v4, v4, s[0:3], 0 offen offset:12
	s_waitcnt vmcnt(0)
	ds_write2_b64 v12, v[1:2], v[3:4] offset0:118 offset1:119
	v_mov_b32_e32 v4, s17
	buffer_load_dword v1, v4, s[0:3], 0 offen
	buffer_load_dword v2, v4, s[0:3], 0 offen offset:4
	buffer_load_dword v3, v4, s[0:3], 0 offen offset:8
	s_nop 0
	buffer_load_dword v4, v4, s[0:3], 0 offen offset:12
	s_waitcnt vmcnt(0)
	ds_write2_b64 v12, v[1:2], v[3:4] offset0:120 offset1:121
	v_mov_b32_e32 v4, s14
	buffer_load_dword v1, v4, s[0:3], 0 offen
	buffer_load_dword v2, v4, s[0:3], 0 offen offset:4
	buffer_load_dword v3, v4, s[0:3], 0 offen offset:8
	s_nop 0
	buffer_load_dword v4, v4, s[0:3], 0 offen offset:12
	s_waitcnt vmcnt(0)
	ds_write2_b64 v12, v[1:2], v[3:4] offset0:122 offset1:123
	v_mov_b32_e32 v4, s16
	buffer_load_dword v1, v4, s[0:3], 0 offen
	buffer_load_dword v2, v4, s[0:3], 0 offen offset:4
	buffer_load_dword v3, v4, s[0:3], 0 offen offset:8
	s_nop 0
	buffer_load_dword v4, v4, s[0:3], 0 offen offset:12
	s_waitcnt vmcnt(0)
	ds_write2_b64 v12, v[1:2], v[3:4] offset0:124 offset1:125
	v_mov_b32_e32 v4, s33
	buffer_load_dword v1, v4, s[0:3], 0 offen
	buffer_load_dword v2, v4, s[0:3], 0 offen offset:4
	buffer_load_dword v3, v4, s[0:3], 0 offen offset:8
	s_nop 0
	buffer_load_dword v4, v4, s[0:3], 0 offen offset:12
	s_waitcnt vmcnt(0)
	ds_write2_b64 v12, v[1:2], v[3:4] offset0:126 offset1:127
	ds_read2_b64 v[1:4], v11 offset1:1
	s_waitcnt lgkmcnt(0)
	v_cmp_neq_f64_e32 vcc, 0, v[1:2]
	v_cmp_neq_f64_e64 s[6:7], 0, v[3:4]
	s_or_b64 s[6:7], vcc, s[6:7]
	s_and_b64 exec, exec, s[6:7]
	s_cbranch_execz .LBB127_576
; %bb.571:
	v_cmp_ngt_f64_e64 s[6:7], |v[1:2]|, |v[3:4]|
                                        ; implicit-def: $vgpr5_vgpr6
	s_and_saveexec_b64 s[10:11], s[6:7]
	s_xor_b64 s[6:7], exec, s[10:11]
                                        ; implicit-def: $vgpr7_vgpr8
	s_cbranch_execz .LBB127_573
; %bb.572:
	v_div_scale_f64 v[5:6], s[10:11], v[3:4], v[3:4], v[1:2]
	v_rcp_f64_e32 v[7:8], v[5:6]
	v_fma_f64 v[9:10], -v[5:6], v[7:8], 1.0
	v_fma_f64 v[7:8], v[7:8], v[9:10], v[7:8]
	v_div_scale_f64 v[9:10], vcc, v[1:2], v[3:4], v[1:2]
	v_fma_f64 v[18:19], -v[5:6], v[7:8], 1.0
	v_fma_f64 v[7:8], v[7:8], v[18:19], v[7:8]
	v_mul_f64 v[18:19], v[9:10], v[7:8]
	v_fma_f64 v[5:6], -v[5:6], v[18:19], v[9:10]
	v_div_fmas_f64 v[5:6], v[5:6], v[7:8], v[18:19]
	v_div_fixup_f64 v[5:6], v[5:6], v[3:4], v[1:2]
	v_fma_f64 v[1:2], v[1:2], v[5:6], v[3:4]
	v_div_scale_f64 v[3:4], s[10:11], v[1:2], v[1:2], 1.0
	v_div_scale_f64 v[18:19], vcc, 1.0, v[1:2], 1.0
	v_rcp_f64_e32 v[7:8], v[3:4]
	v_fma_f64 v[9:10], -v[3:4], v[7:8], 1.0
	v_fma_f64 v[7:8], v[7:8], v[9:10], v[7:8]
	v_fma_f64 v[9:10], -v[3:4], v[7:8], 1.0
	v_fma_f64 v[7:8], v[7:8], v[9:10], v[7:8]
	v_mul_f64 v[9:10], v[18:19], v[7:8]
	v_fma_f64 v[3:4], -v[3:4], v[9:10], v[18:19]
	v_div_fmas_f64 v[3:4], v[3:4], v[7:8], v[9:10]
	v_div_fixup_f64 v[7:8], v[3:4], v[1:2], 1.0
                                        ; implicit-def: $vgpr1_vgpr2
	v_mul_f64 v[5:6], v[5:6], v[7:8]
	v_xor_b32_e32 v8, 0x80000000, v8
.LBB127_573:
	s_andn2_saveexec_b64 s[6:7], s[6:7]
	s_cbranch_execz .LBB127_575
; %bb.574:
	v_div_scale_f64 v[5:6], s[10:11], v[1:2], v[1:2], v[3:4]
	v_rcp_f64_e32 v[7:8], v[5:6]
	v_fma_f64 v[9:10], -v[5:6], v[7:8], 1.0
	v_fma_f64 v[7:8], v[7:8], v[9:10], v[7:8]
	v_div_scale_f64 v[9:10], vcc, v[3:4], v[1:2], v[3:4]
	v_fma_f64 v[18:19], -v[5:6], v[7:8], 1.0
	v_fma_f64 v[7:8], v[7:8], v[18:19], v[7:8]
	v_mul_f64 v[18:19], v[9:10], v[7:8]
	v_fma_f64 v[5:6], -v[5:6], v[18:19], v[9:10]
	v_div_fmas_f64 v[5:6], v[5:6], v[7:8], v[18:19]
	v_div_fixup_f64 v[7:8], v[5:6], v[1:2], v[3:4]
	v_fma_f64 v[1:2], v[3:4], v[7:8], v[1:2]
	v_div_scale_f64 v[3:4], s[10:11], v[1:2], v[1:2], 1.0
	v_div_scale_f64 v[18:19], vcc, 1.0, v[1:2], 1.0
	v_rcp_f64_e32 v[5:6], v[3:4]
	v_fma_f64 v[9:10], -v[3:4], v[5:6], 1.0
	v_fma_f64 v[5:6], v[5:6], v[9:10], v[5:6]
	v_fma_f64 v[9:10], -v[3:4], v[5:6], 1.0
	v_fma_f64 v[5:6], v[5:6], v[9:10], v[5:6]
	v_mul_f64 v[9:10], v[18:19], v[5:6]
	v_fma_f64 v[3:4], -v[3:4], v[9:10], v[18:19]
	v_div_fmas_f64 v[3:4], v[3:4], v[5:6], v[9:10]
	v_div_fixup_f64 v[5:6], v[3:4], v[1:2], 1.0
	v_mul_f64 v[7:8], v[7:8], -v[5:6]
.LBB127_575:
	s_or_b64 exec, exec, s[6:7]
	ds_write2_b64 v11, v[5:6], v[7:8] offset1:1
.LBB127_576:
	s_or_b64 exec, exec, s[8:9]
	s_waitcnt lgkmcnt(0)
	s_barrier
	ds_read2_b64 v[77:80], v11 offset1:1
	v_cmp_lt_u32_e32 vcc, 50, v0
	s_and_saveexec_b64 s[6:7], vcc
	s_cbranch_execz .LBB127_578
; %bb.577:
	buffer_load_dword v3, off, s[0:3], 0 offset:800
	buffer_load_dword v4, off, s[0:3], 0 offset:804
	;; [unrolled: 1-line block ×16, first 2 shown]
	s_waitcnt vmcnt(12) lgkmcnt(0)
	v_mul_f64 v[1:2], v[79:80], v[5:6]
	v_mul_f64 v[5:6], v[77:78], v[5:6]
	v_fma_f64 v[1:2], v[77:78], v[3:4], -v[1:2]
	v_fma_f64 v[3:4], v[79:80], v[3:4], v[5:6]
	buffer_store_dword v1, off, s[0:3], 0 offset:800
	buffer_store_dword v2, off, s[0:3], 0 offset:804
	buffer_store_dword v3, off, s[0:3], 0 offset:808
	buffer_store_dword v4, off, s[0:3], 0 offset:812
	ds_read2_b64 v[5:8], v12 offset0:102 offset1:103
	s_waitcnt lgkmcnt(0)
	v_mul_f64 v[89:90], v[7:8], v[3:4]
	v_fma_f64 v[89:90], v[5:6], v[1:2], -v[89:90]
	v_mul_f64 v[5:6], v[5:6], v[3:4]
	v_fma_f64 v[5:6], v[7:8], v[1:2], v[5:6]
	s_waitcnt vmcnt(14)
	v_add_f64 v[7:8], v[9:10], -v[89:90]
	s_waitcnt vmcnt(12)
	v_add_f64 v[5:6], v[18:19], -v[5:6]
	buffer_store_dword v7, off, s[0:3], 0 offset:816
	buffer_store_dword v8, off, s[0:3], 0 offset:820
	buffer_store_dword v5, off, s[0:3], 0 offset:824
	buffer_store_dword v6, off, s[0:3], 0 offset:828
	ds_read2_b64 v[5:8], v12 offset0:104 offset1:105
	s_waitcnt lgkmcnt(0)
	v_mul_f64 v[9:10], v[7:8], v[3:4]
	v_fma_f64 v[9:10], v[5:6], v[1:2], -v[9:10]
	v_mul_f64 v[5:6], v[5:6], v[3:4]
	v_fma_f64 v[5:6], v[7:8], v[1:2], v[5:6]
	s_waitcnt vmcnt(14)
	v_add_f64 v[7:8], v[81:82], -v[9:10]
	s_waitcnt vmcnt(12)
	v_add_f64 v[5:6], v[83:84], -v[5:6]
	;; [unrolled: 14-line block ×3, first 2 shown]
	buffer_store_dword v8, off, s[0:3], 0 offset:852
	buffer_store_dword v7, off, s[0:3], 0 offset:848
	;; [unrolled: 1-line block ×4, first 2 shown]
	ds_read2_b64 v[5:8], v12 offset0:108 offset1:109
	s_waitcnt lgkmcnt(0)
	v_mul_f64 v[9:10], v[7:8], v[3:4]
	v_fma_f64 v[9:10], v[5:6], v[1:2], -v[9:10]
	v_mul_f64 v[5:6], v[5:6], v[3:4]
	v_fma_f64 v[5:6], v[7:8], v[1:2], v[5:6]
	buffer_load_dword v7, off, s[0:3], 0 offset:864
	buffer_load_dword v8, off, s[0:3], 0 offset:868
	;; [unrolled: 1-line block ×4, first 2 shown]
	s_waitcnt vmcnt(2)
	v_add_f64 v[7:8], v[7:8], -v[9:10]
	s_waitcnt vmcnt(0)
	v_add_f64 v[5:6], v[18:19], -v[5:6]
	buffer_store_dword v8, off, s[0:3], 0 offset:868
	buffer_store_dword v7, off, s[0:3], 0 offset:864
	;; [unrolled: 1-line block ×4, first 2 shown]
	ds_read2_b64 v[5:8], v12 offset0:110 offset1:111
	s_waitcnt lgkmcnt(0)
	v_mul_f64 v[9:10], v[7:8], v[3:4]
	v_fma_f64 v[9:10], v[5:6], v[1:2], -v[9:10]
	v_mul_f64 v[5:6], v[5:6], v[3:4]
	v_fma_f64 v[5:6], v[7:8], v[1:2], v[5:6]
	buffer_load_dword v7, off, s[0:3], 0 offset:880
	buffer_load_dword v8, off, s[0:3], 0 offset:884
	;; [unrolled: 1-line block ×4, first 2 shown]
	s_waitcnt vmcnt(2)
	v_add_f64 v[7:8], v[7:8], -v[9:10]
	s_waitcnt vmcnt(0)
	v_add_f64 v[5:6], v[18:19], -v[5:6]
	buffer_store_dword v8, off, s[0:3], 0 offset:884
	buffer_store_dword v7, off, s[0:3], 0 offset:880
	;; [unrolled: 1-line block ×4, first 2 shown]
	ds_read2_b64 v[5:8], v12 offset0:112 offset1:113
	s_waitcnt lgkmcnt(0)
	v_mul_f64 v[9:10], v[7:8], v[3:4]
	v_mul_f64 v[3:4], v[5:6], v[3:4]
	v_fma_f64 v[9:10], v[5:6], v[1:2], -v[9:10]
	v_fma_f64 v[1:2], v[7:8], v[1:2], v[3:4]
	buffer_load_dword v3, off, s[0:3], 0 offset:896
	buffer_load_dword v4, off, s[0:3], 0 offset:900
	;; [unrolled: 1-line block ×4, first 2 shown]
	s_waitcnt vmcnt(2)
	v_add_f64 v[3:4], v[3:4], -v[9:10]
	s_waitcnt vmcnt(0)
	v_add_f64 v[1:2], v[5:6], -v[1:2]
	buffer_store_dword v4, off, s[0:3], 0 offset:900
	buffer_store_dword v3, off, s[0:3], 0 offset:896
	;; [unrolled: 1-line block ×4, first 2 shown]
	ds_read2_b64 v[5:8], v12 offset0:114 offset1:115
	buffer_load_dword v1, off, s[0:3], 0 offset:800
	buffer_load_dword v2, off, s[0:3], 0 offset:804
	;; [unrolled: 1-line block ×4, first 2 shown]
	s_waitcnt vmcnt(0) lgkmcnt(0)
	v_mul_f64 v[9:10], v[7:8], v[3:4]
	v_fma_f64 v[9:10], v[5:6], v[1:2], -v[9:10]
	v_mul_f64 v[5:6], v[5:6], v[3:4]
	v_fma_f64 v[5:6], v[7:8], v[1:2], v[5:6]
	buffer_load_dword v8, off, s[0:3], 0 offset:916
	buffer_load_dword v7, off, s[0:3], 0 offset:912
	s_waitcnt vmcnt(0)
	v_add_f64 v[7:8], v[7:8], -v[9:10]
	buffer_load_dword v10, off, s[0:3], 0 offset:924
	buffer_load_dword v9, off, s[0:3], 0 offset:920
	s_waitcnt vmcnt(0)
	v_add_f64 v[5:6], v[9:10], -v[5:6]
	buffer_store_dword v8, off, s[0:3], 0 offset:916
	buffer_store_dword v7, off, s[0:3], 0 offset:912
	buffer_store_dword v6, off, s[0:3], 0 offset:924
	buffer_store_dword v5, off, s[0:3], 0 offset:920
	ds_read2_b64 v[5:8], v12 offset0:116 offset1:117
	s_waitcnt lgkmcnt(0)
	v_mul_f64 v[9:10], v[7:8], v[3:4]
	v_fma_f64 v[9:10], v[5:6], v[1:2], -v[9:10]
	v_mul_f64 v[5:6], v[5:6], v[3:4]
	v_fma_f64 v[5:6], v[7:8], v[1:2], v[5:6]
	buffer_load_dword v7, off, s[0:3], 0 offset:928
	buffer_load_dword v8, off, s[0:3], 0 offset:932
	buffer_load_dword v18, off, s[0:3], 0 offset:936
	buffer_load_dword v19, off, s[0:3], 0 offset:940
	s_waitcnt vmcnt(2)
	v_add_f64 v[7:8], v[7:8], -v[9:10]
	s_waitcnt vmcnt(0)
	v_add_f64 v[5:6], v[18:19], -v[5:6]
	buffer_store_dword v8, off, s[0:3], 0 offset:932
	buffer_store_dword v7, off, s[0:3], 0 offset:928
	buffer_store_dword v6, off, s[0:3], 0 offset:940
	buffer_store_dword v5, off, s[0:3], 0 offset:936
	ds_read2_b64 v[5:8], v12 offset0:118 offset1:119
	s_waitcnt lgkmcnt(0)
	v_mul_f64 v[9:10], v[7:8], v[3:4]
	v_fma_f64 v[9:10], v[5:6], v[1:2], -v[9:10]
	v_mul_f64 v[5:6], v[5:6], v[3:4]
	v_fma_f64 v[5:6], v[7:8], v[1:2], v[5:6]
	buffer_load_dword v7, off, s[0:3], 0 offset:944
	buffer_load_dword v8, off, s[0:3], 0 offset:948
	buffer_load_dword v18, off, s[0:3], 0 offset:952
	buffer_load_dword v19, off, s[0:3], 0 offset:956
	s_waitcnt vmcnt(2)
	v_add_f64 v[7:8], v[7:8], -v[9:10]
	;; [unrolled: 18-line block ×4, first 2 shown]
	s_waitcnt vmcnt(0)
	v_add_f64 v[5:6], v[18:19], -v[5:6]
	buffer_store_dword v8, off, s[0:3], 0 offset:980
	buffer_store_dword v7, off, s[0:3], 0 offset:976
	;; [unrolled: 1-line block ×4, first 2 shown]
	ds_read2_b64 v[5:8], v12 offset0:124 offset1:125
	s_waitcnt lgkmcnt(0)
	v_mul_f64 v[9:10], v[7:8], v[3:4]
	v_mul_f64 v[3:4], v[5:6], v[3:4]
	v_fma_f64 v[9:10], v[5:6], v[1:2], -v[9:10]
	v_fma_f64 v[1:2], v[7:8], v[1:2], v[3:4]
	buffer_load_dword v3, off, s[0:3], 0 offset:992
	buffer_load_dword v4, off, s[0:3], 0 offset:996
	;; [unrolled: 1-line block ×4, first 2 shown]
	s_waitcnt vmcnt(2)
	v_add_f64 v[3:4], v[3:4], -v[9:10]
	s_waitcnt vmcnt(0)
	v_add_f64 v[1:2], v[5:6], -v[1:2]
	buffer_store_dword v4, off, s[0:3], 0 offset:996
	buffer_store_dword v3, off, s[0:3], 0 offset:992
	;; [unrolled: 1-line block ×4, first 2 shown]
	ds_read2_b64 v[1:4], v12 offset0:126 offset1:127
	buffer_load_dword v5, off, s[0:3], 0 offset:800
	buffer_load_dword v6, off, s[0:3], 0 offset:804
	;; [unrolled: 1-line block ×4, first 2 shown]
	s_waitcnt vmcnt(0) lgkmcnt(0)
	v_mul_f64 v[9:10], v[3:4], v[7:8]
	v_fma_f64 v[9:10], v[1:2], v[5:6], -v[9:10]
	v_mul_f64 v[1:2], v[1:2], v[7:8]
	v_fma_f64 v[1:2], v[3:4], v[5:6], v[1:2]
	buffer_load_dword v4, off, s[0:3], 0 offset:1012
	buffer_load_dword v3, off, s[0:3], 0 offset:1008
	;; [unrolled: 1-line block ×4, first 2 shown]
	s_waitcnt vmcnt(2)
	v_add_f64 v[3:4], v[3:4], -v[9:10]
	s_waitcnt vmcnt(0)
	v_add_f64 v[1:2], v[5:6], -v[1:2]
	buffer_store_dword v4, off, s[0:3], 0 offset:1012
	buffer_store_dword v3, off, s[0:3], 0 offset:1008
	;; [unrolled: 1-line block ×4, first 2 shown]
.LBB127_578:
	s_or_b64 exec, exec, s[6:7]
	v_cmp_eq_u32_e32 vcc, 51, v0
	s_waitcnt vmcnt(0) lgkmcnt(0)
	s_barrier
	s_and_saveexec_b64 s[8:9], vcc
	s_cbranch_execz .LBB127_585
; %bb.579:
	v_mov_b32_e32 v4, s26
	buffer_load_dword v1, v4, s[0:3], 0 offen
	buffer_load_dword v2, v4, s[0:3], 0 offen offset:4
	buffer_load_dword v3, v4, s[0:3], 0 offen offset:8
	s_nop 0
	buffer_load_dword v4, v4, s[0:3], 0 offen offset:12
	s_waitcnt vmcnt(0)
	ds_write2_b64 v11, v[1:2], v[3:4] offset1:1
	v_mov_b32_e32 v4, s25
	buffer_load_dword v1, v4, s[0:3], 0 offen
	buffer_load_dword v2, v4, s[0:3], 0 offen offset:4
	buffer_load_dword v3, v4, s[0:3], 0 offen offset:8
	s_nop 0
	buffer_load_dword v4, v4, s[0:3], 0 offen offset:12
	s_waitcnt vmcnt(0)
	ds_write2_b64 v12, v[1:2], v[3:4] offset0:104 offset1:105
	v_mov_b32_e32 v4, s24
	buffer_load_dword v1, v4, s[0:3], 0 offen
	buffer_load_dword v2, v4, s[0:3], 0 offen offset:4
	buffer_load_dword v3, v4, s[0:3], 0 offen offset:8
	s_nop 0
	buffer_load_dword v4, v4, s[0:3], 0 offen offset:12
	s_waitcnt vmcnt(0)
	ds_write2_b64 v12, v[1:2], v[3:4] offset0:106 offset1:107
	;; [unrolled: 8-line block ×12, first 2 shown]
	ds_read2_b64 v[1:4], v11 offset1:1
	s_waitcnt lgkmcnt(0)
	v_cmp_neq_f64_e32 vcc, 0, v[1:2]
	v_cmp_neq_f64_e64 s[6:7], 0, v[3:4]
	s_or_b64 s[6:7], vcc, s[6:7]
	s_and_b64 exec, exec, s[6:7]
	s_cbranch_execz .LBB127_585
; %bb.580:
	v_cmp_ngt_f64_e64 s[6:7], |v[1:2]|, |v[3:4]|
                                        ; implicit-def: $vgpr5_vgpr6
	s_and_saveexec_b64 s[10:11], s[6:7]
	s_xor_b64 s[6:7], exec, s[10:11]
                                        ; implicit-def: $vgpr7_vgpr8
	s_cbranch_execz .LBB127_582
; %bb.581:
	v_div_scale_f64 v[5:6], s[10:11], v[3:4], v[3:4], v[1:2]
	v_rcp_f64_e32 v[7:8], v[5:6]
	v_fma_f64 v[9:10], -v[5:6], v[7:8], 1.0
	v_fma_f64 v[7:8], v[7:8], v[9:10], v[7:8]
	v_div_scale_f64 v[9:10], vcc, v[1:2], v[3:4], v[1:2]
	v_fma_f64 v[18:19], -v[5:6], v[7:8], 1.0
	v_fma_f64 v[7:8], v[7:8], v[18:19], v[7:8]
	v_mul_f64 v[18:19], v[9:10], v[7:8]
	v_fma_f64 v[5:6], -v[5:6], v[18:19], v[9:10]
	v_div_fmas_f64 v[5:6], v[5:6], v[7:8], v[18:19]
	v_div_fixup_f64 v[5:6], v[5:6], v[3:4], v[1:2]
	v_fma_f64 v[1:2], v[1:2], v[5:6], v[3:4]
	v_div_scale_f64 v[3:4], s[10:11], v[1:2], v[1:2], 1.0
	v_div_scale_f64 v[18:19], vcc, 1.0, v[1:2], 1.0
	v_rcp_f64_e32 v[7:8], v[3:4]
	v_fma_f64 v[9:10], -v[3:4], v[7:8], 1.0
	v_fma_f64 v[7:8], v[7:8], v[9:10], v[7:8]
	v_fma_f64 v[9:10], -v[3:4], v[7:8], 1.0
	v_fma_f64 v[7:8], v[7:8], v[9:10], v[7:8]
	v_mul_f64 v[9:10], v[18:19], v[7:8]
	v_fma_f64 v[3:4], -v[3:4], v[9:10], v[18:19]
	v_div_fmas_f64 v[3:4], v[3:4], v[7:8], v[9:10]
	v_div_fixup_f64 v[7:8], v[3:4], v[1:2], 1.0
                                        ; implicit-def: $vgpr1_vgpr2
	v_mul_f64 v[5:6], v[5:6], v[7:8]
	v_xor_b32_e32 v8, 0x80000000, v8
.LBB127_582:
	s_andn2_saveexec_b64 s[6:7], s[6:7]
	s_cbranch_execz .LBB127_584
; %bb.583:
	v_div_scale_f64 v[5:6], s[10:11], v[1:2], v[1:2], v[3:4]
	v_rcp_f64_e32 v[7:8], v[5:6]
	v_fma_f64 v[9:10], -v[5:6], v[7:8], 1.0
	v_fma_f64 v[7:8], v[7:8], v[9:10], v[7:8]
	v_div_scale_f64 v[9:10], vcc, v[3:4], v[1:2], v[3:4]
	v_fma_f64 v[18:19], -v[5:6], v[7:8], 1.0
	v_fma_f64 v[7:8], v[7:8], v[18:19], v[7:8]
	v_mul_f64 v[18:19], v[9:10], v[7:8]
	v_fma_f64 v[5:6], -v[5:6], v[18:19], v[9:10]
	v_div_fmas_f64 v[5:6], v[5:6], v[7:8], v[18:19]
	v_div_fixup_f64 v[7:8], v[5:6], v[1:2], v[3:4]
	v_fma_f64 v[1:2], v[3:4], v[7:8], v[1:2]
	v_div_scale_f64 v[3:4], s[10:11], v[1:2], v[1:2], 1.0
	v_div_scale_f64 v[18:19], vcc, 1.0, v[1:2], 1.0
	v_rcp_f64_e32 v[5:6], v[3:4]
	v_fma_f64 v[9:10], -v[3:4], v[5:6], 1.0
	v_fma_f64 v[5:6], v[5:6], v[9:10], v[5:6]
	v_fma_f64 v[9:10], -v[3:4], v[5:6], 1.0
	v_fma_f64 v[5:6], v[5:6], v[9:10], v[5:6]
	v_mul_f64 v[9:10], v[18:19], v[5:6]
	v_fma_f64 v[3:4], -v[3:4], v[9:10], v[18:19]
	v_div_fmas_f64 v[3:4], v[3:4], v[5:6], v[9:10]
	v_div_fixup_f64 v[5:6], v[3:4], v[1:2], 1.0
	v_mul_f64 v[7:8], v[7:8], -v[5:6]
.LBB127_584:
	s_or_b64 exec, exec, s[6:7]
	ds_write2_b64 v11, v[5:6], v[7:8] offset1:1
.LBB127_585:
	s_or_b64 exec, exec, s[8:9]
	s_waitcnt lgkmcnt(0)
	s_barrier
	ds_read2_b64 v[81:84], v11 offset1:1
	v_cmp_lt_u32_e32 vcc, 51, v0
	s_and_saveexec_b64 s[6:7], vcc
	s_cbranch_execz .LBB127_587
; %bb.586:
	buffer_load_dword v3, off, s[0:3], 0 offset:816
	buffer_load_dword v4, off, s[0:3], 0 offset:820
	;; [unrolled: 1-line block ×16, first 2 shown]
	s_waitcnt vmcnt(12) lgkmcnt(0)
	v_mul_f64 v[1:2], v[83:84], v[5:6]
	v_mul_f64 v[5:6], v[81:82], v[5:6]
	v_fma_f64 v[1:2], v[81:82], v[3:4], -v[1:2]
	v_fma_f64 v[3:4], v[83:84], v[3:4], v[5:6]
	buffer_store_dword v1, off, s[0:3], 0 offset:816
	buffer_store_dword v2, off, s[0:3], 0 offset:820
	buffer_store_dword v3, off, s[0:3], 0 offset:824
	buffer_store_dword v4, off, s[0:3], 0 offset:828
	ds_read2_b64 v[5:8], v12 offset0:104 offset1:105
	s_waitcnt lgkmcnt(0)
	v_mul_f64 v[93:94], v[7:8], v[3:4]
	v_fma_f64 v[93:94], v[5:6], v[1:2], -v[93:94]
	v_mul_f64 v[5:6], v[5:6], v[3:4]
	v_fma_f64 v[5:6], v[7:8], v[1:2], v[5:6]
	s_waitcnt vmcnt(14)
	v_add_f64 v[7:8], v[9:10], -v[93:94]
	s_waitcnt vmcnt(12)
	v_add_f64 v[5:6], v[18:19], -v[5:6]
	buffer_store_dword v7, off, s[0:3], 0 offset:832
	buffer_store_dword v8, off, s[0:3], 0 offset:836
	buffer_store_dword v5, off, s[0:3], 0 offset:840
	buffer_store_dword v6, off, s[0:3], 0 offset:844
	ds_read2_b64 v[5:8], v12 offset0:106 offset1:107
	s_waitcnt lgkmcnt(0)
	v_mul_f64 v[9:10], v[7:8], v[3:4]
	v_fma_f64 v[9:10], v[5:6], v[1:2], -v[9:10]
	v_mul_f64 v[5:6], v[5:6], v[3:4]
	v_fma_f64 v[5:6], v[7:8], v[1:2], v[5:6]
	s_waitcnt vmcnt(14)
	v_add_f64 v[7:8], v[85:86], -v[9:10]
	s_waitcnt vmcnt(12)
	v_add_f64 v[5:6], v[87:88], -v[5:6]
	;; [unrolled: 14-line block ×3, first 2 shown]
	buffer_store_dword v8, off, s[0:3], 0 offset:868
	buffer_store_dword v7, off, s[0:3], 0 offset:864
	;; [unrolled: 1-line block ×4, first 2 shown]
	ds_read2_b64 v[5:8], v12 offset0:110 offset1:111
	s_waitcnt lgkmcnt(0)
	v_mul_f64 v[9:10], v[7:8], v[3:4]
	v_fma_f64 v[9:10], v[5:6], v[1:2], -v[9:10]
	v_mul_f64 v[5:6], v[5:6], v[3:4]
	v_fma_f64 v[5:6], v[7:8], v[1:2], v[5:6]
	buffer_load_dword v7, off, s[0:3], 0 offset:880
	buffer_load_dword v8, off, s[0:3], 0 offset:884
	;; [unrolled: 1-line block ×4, first 2 shown]
	s_waitcnt vmcnt(2)
	v_add_f64 v[7:8], v[7:8], -v[9:10]
	s_waitcnt vmcnt(0)
	v_add_f64 v[5:6], v[18:19], -v[5:6]
	buffer_store_dword v8, off, s[0:3], 0 offset:884
	buffer_store_dword v7, off, s[0:3], 0 offset:880
	;; [unrolled: 1-line block ×4, first 2 shown]
	ds_read2_b64 v[5:8], v12 offset0:112 offset1:113
	s_waitcnt lgkmcnt(0)
	v_mul_f64 v[9:10], v[7:8], v[3:4]
	v_fma_f64 v[9:10], v[5:6], v[1:2], -v[9:10]
	v_mul_f64 v[5:6], v[5:6], v[3:4]
	v_fma_f64 v[5:6], v[7:8], v[1:2], v[5:6]
	buffer_load_dword v7, off, s[0:3], 0 offset:896
	buffer_load_dword v8, off, s[0:3], 0 offset:900
	;; [unrolled: 1-line block ×4, first 2 shown]
	s_waitcnt vmcnt(2)
	v_add_f64 v[7:8], v[7:8], -v[9:10]
	s_waitcnt vmcnt(0)
	v_add_f64 v[5:6], v[18:19], -v[5:6]
	buffer_store_dword v8, off, s[0:3], 0 offset:900
	buffer_store_dword v7, off, s[0:3], 0 offset:896
	;; [unrolled: 1-line block ×4, first 2 shown]
	ds_read2_b64 v[5:8], v12 offset0:114 offset1:115
	s_waitcnt lgkmcnt(0)
	v_mul_f64 v[9:10], v[7:8], v[3:4]
	v_mul_f64 v[3:4], v[5:6], v[3:4]
	v_fma_f64 v[9:10], v[5:6], v[1:2], -v[9:10]
	v_fma_f64 v[1:2], v[7:8], v[1:2], v[3:4]
	buffer_load_dword v3, off, s[0:3], 0 offset:912
	buffer_load_dword v4, off, s[0:3], 0 offset:916
	;; [unrolled: 1-line block ×4, first 2 shown]
	s_waitcnt vmcnt(2)
	v_add_f64 v[3:4], v[3:4], -v[9:10]
	s_waitcnt vmcnt(0)
	v_add_f64 v[1:2], v[5:6], -v[1:2]
	buffer_store_dword v4, off, s[0:3], 0 offset:916
	buffer_store_dword v3, off, s[0:3], 0 offset:912
	buffer_store_dword v2, off, s[0:3], 0 offset:924
	buffer_store_dword v1, off, s[0:3], 0 offset:920
	ds_read2_b64 v[5:8], v12 offset0:116 offset1:117
	buffer_load_dword v1, off, s[0:3], 0 offset:816
	buffer_load_dword v2, off, s[0:3], 0 offset:820
	;; [unrolled: 1-line block ×4, first 2 shown]
	s_waitcnt vmcnt(0) lgkmcnt(0)
	v_mul_f64 v[9:10], v[7:8], v[3:4]
	v_fma_f64 v[9:10], v[5:6], v[1:2], -v[9:10]
	v_mul_f64 v[5:6], v[5:6], v[3:4]
	v_fma_f64 v[5:6], v[7:8], v[1:2], v[5:6]
	buffer_load_dword v8, off, s[0:3], 0 offset:932
	buffer_load_dword v7, off, s[0:3], 0 offset:928
	s_waitcnt vmcnt(0)
	v_add_f64 v[7:8], v[7:8], -v[9:10]
	buffer_load_dword v10, off, s[0:3], 0 offset:940
	buffer_load_dword v9, off, s[0:3], 0 offset:936
	s_waitcnt vmcnt(0)
	v_add_f64 v[5:6], v[9:10], -v[5:6]
	buffer_store_dword v8, off, s[0:3], 0 offset:932
	buffer_store_dword v7, off, s[0:3], 0 offset:928
	buffer_store_dword v6, off, s[0:3], 0 offset:940
	buffer_store_dword v5, off, s[0:3], 0 offset:936
	ds_read2_b64 v[5:8], v12 offset0:118 offset1:119
	s_waitcnt lgkmcnt(0)
	v_mul_f64 v[9:10], v[7:8], v[3:4]
	v_fma_f64 v[9:10], v[5:6], v[1:2], -v[9:10]
	v_mul_f64 v[5:6], v[5:6], v[3:4]
	v_fma_f64 v[5:6], v[7:8], v[1:2], v[5:6]
	buffer_load_dword v7, off, s[0:3], 0 offset:944
	buffer_load_dword v8, off, s[0:3], 0 offset:948
	buffer_load_dword v18, off, s[0:3], 0 offset:952
	buffer_load_dword v19, off, s[0:3], 0 offset:956
	s_waitcnt vmcnt(2)
	v_add_f64 v[7:8], v[7:8], -v[9:10]
	s_waitcnt vmcnt(0)
	v_add_f64 v[5:6], v[18:19], -v[5:6]
	buffer_store_dword v8, off, s[0:3], 0 offset:948
	buffer_store_dword v7, off, s[0:3], 0 offset:944
	buffer_store_dword v6, off, s[0:3], 0 offset:956
	buffer_store_dword v5, off, s[0:3], 0 offset:952
	ds_read2_b64 v[5:8], v12 offset0:120 offset1:121
	s_waitcnt lgkmcnt(0)
	v_mul_f64 v[9:10], v[7:8], v[3:4]
	v_fma_f64 v[9:10], v[5:6], v[1:2], -v[9:10]
	v_mul_f64 v[5:6], v[5:6], v[3:4]
	v_fma_f64 v[5:6], v[7:8], v[1:2], v[5:6]
	buffer_load_dword v7, off, s[0:3], 0 offset:960
	buffer_load_dword v8, off, s[0:3], 0 offset:964
	buffer_load_dword v18, off, s[0:3], 0 offset:968
	buffer_load_dword v19, off, s[0:3], 0 offset:972
	s_waitcnt vmcnt(2)
	v_add_f64 v[7:8], v[7:8], -v[9:10]
	s_waitcnt vmcnt(0)
	v_add_f64 v[5:6], v[18:19], -v[5:6]
	buffer_store_dword v8, off, s[0:3], 0 offset:964
	buffer_store_dword v7, off, s[0:3], 0 offset:960
	buffer_store_dword v6, off, s[0:3], 0 offset:972
	buffer_store_dword v5, off, s[0:3], 0 offset:968
	ds_read2_b64 v[5:8], v12 offset0:122 offset1:123
	s_waitcnt lgkmcnt(0)
	v_mul_f64 v[9:10], v[7:8], v[3:4]
	v_fma_f64 v[9:10], v[5:6], v[1:2], -v[9:10]
	v_mul_f64 v[5:6], v[5:6], v[3:4]
	v_fma_f64 v[5:6], v[7:8], v[1:2], v[5:6]
	buffer_load_dword v7, off, s[0:3], 0 offset:976
	buffer_load_dword v8, off, s[0:3], 0 offset:980
	buffer_load_dword v18, off, s[0:3], 0 offset:984
	buffer_load_dword v19, off, s[0:3], 0 offset:988
	s_waitcnt vmcnt(2)
	v_add_f64 v[7:8], v[7:8], -v[9:10]
	s_waitcnt vmcnt(0)
	v_add_f64 v[5:6], v[18:19], -v[5:6]
	buffer_store_dword v8, off, s[0:3], 0 offset:980
	buffer_store_dword v7, off, s[0:3], 0 offset:976
	buffer_store_dword v6, off, s[0:3], 0 offset:988
	buffer_store_dword v5, off, s[0:3], 0 offset:984
	ds_read2_b64 v[5:8], v12 offset0:124 offset1:125
	s_waitcnt lgkmcnt(0)
	v_mul_f64 v[9:10], v[7:8], v[3:4]
	v_fma_f64 v[9:10], v[5:6], v[1:2], -v[9:10]
	v_mul_f64 v[5:6], v[5:6], v[3:4]
	v_fma_f64 v[5:6], v[7:8], v[1:2], v[5:6]
	buffer_load_dword v7, off, s[0:3], 0 offset:992
	buffer_load_dword v8, off, s[0:3], 0 offset:996
	buffer_load_dword v18, off, s[0:3], 0 offset:1000
	buffer_load_dword v19, off, s[0:3], 0 offset:1004
	s_waitcnt vmcnt(2)
	v_add_f64 v[7:8], v[7:8], -v[9:10]
	s_waitcnt vmcnt(0)
	v_add_f64 v[5:6], v[18:19], -v[5:6]
	buffer_store_dword v8, off, s[0:3], 0 offset:996
	buffer_store_dword v7, off, s[0:3], 0 offset:992
	;; [unrolled: 1-line block ×4, first 2 shown]
	ds_read2_b64 v[7:10], v12 offset0:126 offset1:127
	s_waitcnt lgkmcnt(0)
	v_mul_f64 v[5:6], v[9:10], v[3:4]
	v_mul_f64 v[3:4], v[7:8], v[3:4]
	v_fma_f64 v[5:6], v[7:8], v[1:2], -v[5:6]
	v_fma_f64 v[1:2], v[9:10], v[1:2], v[3:4]
	buffer_load_dword v7, off, s[0:3], 0 offset:1008
	buffer_load_dword v8, off, s[0:3], 0 offset:1012
	buffer_load_dword v3, off, s[0:3], 0 offset:1016
	buffer_load_dword v4, off, s[0:3], 0 offset:1020
	s_waitcnt vmcnt(2)
	v_add_f64 v[5:6], v[7:8], -v[5:6]
	s_waitcnt vmcnt(0)
	v_add_f64 v[1:2], v[3:4], -v[1:2]
	buffer_store_dword v6, off, s[0:3], 0 offset:1012
	buffer_store_dword v5, off, s[0:3], 0 offset:1008
	;; [unrolled: 1-line block ×4, first 2 shown]
.LBB127_587:
	s_or_b64 exec, exec, s[6:7]
	v_cmp_eq_u32_e32 vcc, 52, v0
	s_waitcnt vmcnt(0) lgkmcnt(0)
	s_barrier
	s_and_saveexec_b64 s[8:9], vcc
	s_cbranch_execz .LBB127_594
; %bb.588:
	v_mov_b32_e32 v4, s25
	buffer_load_dword v1, v4, s[0:3], 0 offen
	buffer_load_dword v2, v4, s[0:3], 0 offen offset:4
	buffer_load_dword v3, v4, s[0:3], 0 offen offset:8
	s_nop 0
	buffer_load_dword v4, v4, s[0:3], 0 offen offset:12
	s_waitcnt vmcnt(0)
	ds_write2_b64 v11, v[1:2], v[3:4] offset1:1
	v_mov_b32_e32 v4, s24
	buffer_load_dword v1, v4, s[0:3], 0 offen
	buffer_load_dword v2, v4, s[0:3], 0 offen offset:4
	buffer_load_dword v3, v4, s[0:3], 0 offen offset:8
	s_nop 0
	buffer_load_dword v4, v4, s[0:3], 0 offen offset:12
	s_waitcnt vmcnt(0)
	ds_write2_b64 v12, v[1:2], v[3:4] offset0:106 offset1:107
	v_mov_b32_e32 v4, s23
	buffer_load_dword v1, v4, s[0:3], 0 offen
	buffer_load_dword v2, v4, s[0:3], 0 offen offset:4
	buffer_load_dword v3, v4, s[0:3], 0 offen offset:8
	s_nop 0
	buffer_load_dword v4, v4, s[0:3], 0 offen offset:12
	s_waitcnt vmcnt(0)
	ds_write2_b64 v12, v[1:2], v[3:4] offset0:108 offset1:109
	;; [unrolled: 8-line block ×11, first 2 shown]
	ds_read2_b64 v[1:4], v11 offset1:1
	s_waitcnt lgkmcnt(0)
	v_cmp_neq_f64_e32 vcc, 0, v[1:2]
	v_cmp_neq_f64_e64 s[6:7], 0, v[3:4]
	s_or_b64 s[6:7], vcc, s[6:7]
	s_and_b64 exec, exec, s[6:7]
	s_cbranch_execz .LBB127_594
; %bb.589:
	v_cmp_ngt_f64_e64 s[6:7], |v[1:2]|, |v[3:4]|
                                        ; implicit-def: $vgpr5_vgpr6
	s_and_saveexec_b64 s[10:11], s[6:7]
	s_xor_b64 s[6:7], exec, s[10:11]
                                        ; implicit-def: $vgpr7_vgpr8
	s_cbranch_execz .LBB127_591
; %bb.590:
	v_div_scale_f64 v[5:6], s[10:11], v[3:4], v[3:4], v[1:2]
	v_rcp_f64_e32 v[7:8], v[5:6]
	v_fma_f64 v[9:10], -v[5:6], v[7:8], 1.0
	v_fma_f64 v[7:8], v[7:8], v[9:10], v[7:8]
	v_div_scale_f64 v[9:10], vcc, v[1:2], v[3:4], v[1:2]
	v_fma_f64 v[18:19], -v[5:6], v[7:8], 1.0
	v_fma_f64 v[7:8], v[7:8], v[18:19], v[7:8]
	v_mul_f64 v[18:19], v[9:10], v[7:8]
	v_fma_f64 v[5:6], -v[5:6], v[18:19], v[9:10]
	v_div_fmas_f64 v[5:6], v[5:6], v[7:8], v[18:19]
	v_div_fixup_f64 v[5:6], v[5:6], v[3:4], v[1:2]
	v_fma_f64 v[1:2], v[1:2], v[5:6], v[3:4]
	v_div_scale_f64 v[3:4], s[10:11], v[1:2], v[1:2], 1.0
	v_div_scale_f64 v[18:19], vcc, 1.0, v[1:2], 1.0
	v_rcp_f64_e32 v[7:8], v[3:4]
	v_fma_f64 v[9:10], -v[3:4], v[7:8], 1.0
	v_fma_f64 v[7:8], v[7:8], v[9:10], v[7:8]
	v_fma_f64 v[9:10], -v[3:4], v[7:8], 1.0
	v_fma_f64 v[7:8], v[7:8], v[9:10], v[7:8]
	v_mul_f64 v[9:10], v[18:19], v[7:8]
	v_fma_f64 v[3:4], -v[3:4], v[9:10], v[18:19]
	v_div_fmas_f64 v[3:4], v[3:4], v[7:8], v[9:10]
	v_div_fixup_f64 v[7:8], v[3:4], v[1:2], 1.0
                                        ; implicit-def: $vgpr1_vgpr2
	v_mul_f64 v[5:6], v[5:6], v[7:8]
	v_xor_b32_e32 v8, 0x80000000, v8
.LBB127_591:
	s_andn2_saveexec_b64 s[6:7], s[6:7]
	s_cbranch_execz .LBB127_593
; %bb.592:
	v_div_scale_f64 v[5:6], s[10:11], v[1:2], v[1:2], v[3:4]
	v_rcp_f64_e32 v[7:8], v[5:6]
	v_fma_f64 v[9:10], -v[5:6], v[7:8], 1.0
	v_fma_f64 v[7:8], v[7:8], v[9:10], v[7:8]
	v_div_scale_f64 v[9:10], vcc, v[3:4], v[1:2], v[3:4]
	v_fma_f64 v[18:19], -v[5:6], v[7:8], 1.0
	v_fma_f64 v[7:8], v[7:8], v[18:19], v[7:8]
	v_mul_f64 v[18:19], v[9:10], v[7:8]
	v_fma_f64 v[5:6], -v[5:6], v[18:19], v[9:10]
	v_div_fmas_f64 v[5:6], v[5:6], v[7:8], v[18:19]
	v_div_fixup_f64 v[7:8], v[5:6], v[1:2], v[3:4]
	v_fma_f64 v[1:2], v[3:4], v[7:8], v[1:2]
	v_div_scale_f64 v[3:4], s[10:11], v[1:2], v[1:2], 1.0
	v_div_scale_f64 v[18:19], vcc, 1.0, v[1:2], 1.0
	v_rcp_f64_e32 v[5:6], v[3:4]
	v_fma_f64 v[9:10], -v[3:4], v[5:6], 1.0
	v_fma_f64 v[5:6], v[5:6], v[9:10], v[5:6]
	v_fma_f64 v[9:10], -v[3:4], v[5:6], 1.0
	v_fma_f64 v[5:6], v[5:6], v[9:10], v[5:6]
	v_mul_f64 v[9:10], v[18:19], v[5:6]
	v_fma_f64 v[3:4], -v[3:4], v[9:10], v[18:19]
	v_div_fmas_f64 v[3:4], v[3:4], v[5:6], v[9:10]
	v_div_fixup_f64 v[5:6], v[3:4], v[1:2], 1.0
	v_mul_f64 v[7:8], v[7:8], -v[5:6]
.LBB127_593:
	s_or_b64 exec, exec, s[6:7]
	ds_write2_b64 v11, v[5:6], v[7:8] offset1:1
.LBB127_594:
	s_or_b64 exec, exec, s[8:9]
	s_waitcnt lgkmcnt(0)
	s_barrier
	ds_read2_b64 v[85:88], v11 offset1:1
	v_cmp_lt_u32_e32 vcc, 52, v0
	s_and_saveexec_b64 s[6:7], vcc
	s_cbranch_execz .LBB127_596
; %bb.595:
	buffer_load_dword v3, off, s[0:3], 0 offset:832
	buffer_load_dword v4, off, s[0:3], 0 offset:836
	;; [unrolled: 1-line block ×16, first 2 shown]
	s_waitcnt vmcnt(12) lgkmcnt(0)
	v_mul_f64 v[1:2], v[87:88], v[5:6]
	v_mul_f64 v[5:6], v[85:86], v[5:6]
	v_fma_f64 v[1:2], v[85:86], v[3:4], -v[1:2]
	v_fma_f64 v[3:4], v[87:88], v[3:4], v[5:6]
	buffer_store_dword v1, off, s[0:3], 0 offset:832
	buffer_store_dword v2, off, s[0:3], 0 offset:836
	buffer_store_dword v3, off, s[0:3], 0 offset:840
	buffer_store_dword v4, off, s[0:3], 0 offset:844
	ds_read2_b64 v[5:8], v12 offset0:106 offset1:107
	s_waitcnt lgkmcnt(0)
	v_mul_f64 v[97:98], v[7:8], v[3:4]
	v_fma_f64 v[97:98], v[5:6], v[1:2], -v[97:98]
	v_mul_f64 v[5:6], v[5:6], v[3:4]
	v_fma_f64 v[5:6], v[7:8], v[1:2], v[5:6]
	s_waitcnt vmcnt(14)
	v_add_f64 v[7:8], v[9:10], -v[97:98]
	s_waitcnt vmcnt(12)
	v_add_f64 v[5:6], v[18:19], -v[5:6]
	buffer_store_dword v7, off, s[0:3], 0 offset:848
	buffer_store_dword v8, off, s[0:3], 0 offset:852
	buffer_store_dword v5, off, s[0:3], 0 offset:856
	buffer_store_dword v6, off, s[0:3], 0 offset:860
	ds_read2_b64 v[5:8], v12 offset0:108 offset1:109
	s_waitcnt lgkmcnt(0)
	v_mul_f64 v[9:10], v[7:8], v[3:4]
	v_fma_f64 v[9:10], v[5:6], v[1:2], -v[9:10]
	v_mul_f64 v[5:6], v[5:6], v[3:4]
	v_fma_f64 v[5:6], v[7:8], v[1:2], v[5:6]
	s_waitcnt vmcnt(14)
	v_add_f64 v[7:8], v[89:90], -v[9:10]
	s_waitcnt vmcnt(12)
	v_add_f64 v[5:6], v[91:92], -v[5:6]
	;; [unrolled: 14-line block ×3, first 2 shown]
	buffer_store_dword v8, off, s[0:3], 0 offset:884
	buffer_store_dword v7, off, s[0:3], 0 offset:880
	;; [unrolled: 1-line block ×4, first 2 shown]
	ds_read2_b64 v[5:8], v12 offset0:112 offset1:113
	s_waitcnt lgkmcnt(0)
	v_mul_f64 v[9:10], v[7:8], v[3:4]
	v_fma_f64 v[9:10], v[5:6], v[1:2], -v[9:10]
	v_mul_f64 v[5:6], v[5:6], v[3:4]
	v_fma_f64 v[5:6], v[7:8], v[1:2], v[5:6]
	buffer_load_dword v7, off, s[0:3], 0 offset:896
	buffer_load_dword v8, off, s[0:3], 0 offset:900
	;; [unrolled: 1-line block ×4, first 2 shown]
	s_waitcnt vmcnt(2)
	v_add_f64 v[7:8], v[7:8], -v[9:10]
	s_waitcnt vmcnt(0)
	v_add_f64 v[5:6], v[18:19], -v[5:6]
	buffer_store_dword v8, off, s[0:3], 0 offset:900
	buffer_store_dword v7, off, s[0:3], 0 offset:896
	;; [unrolled: 1-line block ×4, first 2 shown]
	ds_read2_b64 v[5:8], v12 offset0:114 offset1:115
	s_waitcnt lgkmcnt(0)
	v_mul_f64 v[9:10], v[7:8], v[3:4]
	v_fma_f64 v[9:10], v[5:6], v[1:2], -v[9:10]
	v_mul_f64 v[5:6], v[5:6], v[3:4]
	v_fma_f64 v[5:6], v[7:8], v[1:2], v[5:6]
	buffer_load_dword v7, off, s[0:3], 0 offset:912
	buffer_load_dword v8, off, s[0:3], 0 offset:916
	;; [unrolled: 1-line block ×4, first 2 shown]
	s_waitcnt vmcnt(2)
	v_add_f64 v[7:8], v[7:8], -v[9:10]
	s_waitcnt vmcnt(0)
	v_add_f64 v[5:6], v[18:19], -v[5:6]
	buffer_store_dword v8, off, s[0:3], 0 offset:916
	buffer_store_dword v7, off, s[0:3], 0 offset:912
	;; [unrolled: 1-line block ×4, first 2 shown]
	ds_read2_b64 v[5:8], v12 offset0:116 offset1:117
	s_waitcnt lgkmcnt(0)
	v_mul_f64 v[9:10], v[7:8], v[3:4]
	v_mul_f64 v[3:4], v[5:6], v[3:4]
	v_fma_f64 v[9:10], v[5:6], v[1:2], -v[9:10]
	v_fma_f64 v[1:2], v[7:8], v[1:2], v[3:4]
	buffer_load_dword v3, off, s[0:3], 0 offset:928
	buffer_load_dword v4, off, s[0:3], 0 offset:932
	;; [unrolled: 1-line block ×4, first 2 shown]
	s_waitcnt vmcnt(2)
	v_add_f64 v[3:4], v[3:4], -v[9:10]
	s_waitcnt vmcnt(0)
	v_add_f64 v[1:2], v[5:6], -v[1:2]
	buffer_store_dword v4, off, s[0:3], 0 offset:932
	buffer_store_dword v3, off, s[0:3], 0 offset:928
	;; [unrolled: 1-line block ×4, first 2 shown]
	ds_read2_b64 v[7:10], v12 offset0:118 offset1:119
	buffer_load_dword v1, off, s[0:3], 0 offset:832
	buffer_load_dword v2, off, s[0:3], 0 offset:836
	;; [unrolled: 1-line block ×4, first 2 shown]
	s_waitcnt vmcnt(0) lgkmcnt(0)
	v_mul_f64 v[3:4], v[9:10], v[5:6]
	v_fma_f64 v[3:4], v[7:8], v[1:2], -v[3:4]
	v_mul_f64 v[7:8], v[7:8], v[5:6]
	v_fma_f64 v[7:8], v[9:10], v[1:2], v[7:8]
	buffer_load_dword v10, off, s[0:3], 0 offset:948
	buffer_load_dword v9, off, s[0:3], 0 offset:944
	s_waitcnt vmcnt(0)
	v_add_f64 v[3:4], v[9:10], -v[3:4]
	buffer_load_dword v10, off, s[0:3], 0 offset:956
	buffer_load_dword v9, off, s[0:3], 0 offset:952
	s_waitcnt vmcnt(0)
	v_add_f64 v[7:8], v[9:10], -v[7:8]
	buffer_store_dword v4, off, s[0:3], 0 offset:948
	buffer_store_dword v3, off, s[0:3], 0 offset:944
	buffer_store_dword v8, off, s[0:3], 0 offset:956
	buffer_store_dword v7, off, s[0:3], 0 offset:952
	ds_read2_b64 v[7:10], v12 offset0:120 offset1:121
	s_waitcnt lgkmcnt(0)
	v_mul_f64 v[3:4], v[9:10], v[5:6]
	v_fma_f64 v[3:4], v[7:8], v[1:2], -v[3:4]
	v_mul_f64 v[7:8], v[7:8], v[5:6]
	v_fma_f64 v[7:8], v[9:10], v[1:2], v[7:8]
	buffer_load_dword v9, off, s[0:3], 0 offset:960
	buffer_load_dword v10, off, s[0:3], 0 offset:964
	buffer_load_dword v18, off, s[0:3], 0 offset:968
	buffer_load_dword v19, off, s[0:3], 0 offset:972
	s_waitcnt vmcnt(2)
	v_add_f64 v[3:4], v[9:10], -v[3:4]
	s_waitcnt vmcnt(0)
	v_add_f64 v[7:8], v[18:19], -v[7:8]
	buffer_store_dword v4, off, s[0:3], 0 offset:964
	buffer_store_dword v3, off, s[0:3], 0 offset:960
	buffer_store_dword v8, off, s[0:3], 0 offset:972
	buffer_store_dword v7, off, s[0:3], 0 offset:968
	ds_read2_b64 v[7:10], v12 offset0:122 offset1:123
	s_waitcnt lgkmcnt(0)
	v_mul_f64 v[3:4], v[9:10], v[5:6]
	v_fma_f64 v[3:4], v[7:8], v[1:2], -v[3:4]
	v_mul_f64 v[7:8], v[7:8], v[5:6]
	v_fma_f64 v[7:8], v[9:10], v[1:2], v[7:8]
	buffer_load_dword v9, off, s[0:3], 0 offset:976
	buffer_load_dword v10, off, s[0:3], 0 offset:980
	buffer_load_dword v18, off, s[0:3], 0 offset:984
	buffer_load_dword v19, off, s[0:3], 0 offset:988
	s_waitcnt vmcnt(2)
	v_add_f64 v[3:4], v[9:10], -v[3:4]
	;; [unrolled: 18-line block ×3, first 2 shown]
	s_waitcnt vmcnt(0)
	v_add_f64 v[7:8], v[18:19], -v[7:8]
	buffer_store_dword v4, off, s[0:3], 0 offset:996
	buffer_store_dword v3, off, s[0:3], 0 offset:992
	;; [unrolled: 1-line block ×4, first 2 shown]
	ds_read2_b64 v[7:10], v12 offset0:126 offset1:127
	s_waitcnt lgkmcnt(0)
	v_mul_f64 v[3:4], v[9:10], v[5:6]
	v_mul_f64 v[5:6], v[7:8], v[5:6]
	v_fma_f64 v[3:4], v[7:8], v[1:2], -v[3:4]
	v_fma_f64 v[1:2], v[9:10], v[1:2], v[5:6]
	buffer_load_dword v7, off, s[0:3], 0 offset:1008
	buffer_load_dword v8, off, s[0:3], 0 offset:1012
	;; [unrolled: 1-line block ×4, first 2 shown]
	s_waitcnt vmcnt(2)
	v_add_f64 v[3:4], v[7:8], -v[3:4]
	s_waitcnt vmcnt(0)
	v_add_f64 v[1:2], v[5:6], -v[1:2]
	buffer_store_dword v4, off, s[0:3], 0 offset:1012
	buffer_store_dword v3, off, s[0:3], 0 offset:1008
	;; [unrolled: 1-line block ×4, first 2 shown]
.LBB127_596:
	s_or_b64 exec, exec, s[6:7]
	v_cmp_eq_u32_e32 vcc, 53, v0
	s_waitcnt vmcnt(0) lgkmcnt(0)
	s_barrier
	s_and_saveexec_b64 s[8:9], vcc
	s_cbranch_execz .LBB127_603
; %bb.597:
	v_mov_b32_e32 v4, s24
	buffer_load_dword v1, v4, s[0:3], 0 offen
	buffer_load_dword v2, v4, s[0:3], 0 offen offset:4
	buffer_load_dword v3, v4, s[0:3], 0 offen offset:8
	s_nop 0
	buffer_load_dword v4, v4, s[0:3], 0 offen offset:12
	s_waitcnt vmcnt(0)
	ds_write2_b64 v11, v[1:2], v[3:4] offset1:1
	v_mov_b32_e32 v4, s23
	buffer_load_dword v1, v4, s[0:3], 0 offen
	buffer_load_dword v2, v4, s[0:3], 0 offen offset:4
	buffer_load_dword v3, v4, s[0:3], 0 offen offset:8
	s_nop 0
	buffer_load_dword v4, v4, s[0:3], 0 offen offset:12
	s_waitcnt vmcnt(0)
	ds_write2_b64 v12, v[1:2], v[3:4] offset0:108 offset1:109
	v_mov_b32_e32 v4, s22
	buffer_load_dword v1, v4, s[0:3], 0 offen
	buffer_load_dword v2, v4, s[0:3], 0 offen offset:4
	buffer_load_dword v3, v4, s[0:3], 0 offen offset:8
	s_nop 0
	buffer_load_dword v4, v4, s[0:3], 0 offen offset:12
	s_waitcnt vmcnt(0)
	ds_write2_b64 v12, v[1:2], v[3:4] offset0:110 offset1:111
	;; [unrolled: 8-line block ×10, first 2 shown]
	ds_read2_b64 v[1:4], v11 offset1:1
	s_waitcnt lgkmcnt(0)
	v_cmp_neq_f64_e32 vcc, 0, v[1:2]
	v_cmp_neq_f64_e64 s[6:7], 0, v[3:4]
	s_or_b64 s[6:7], vcc, s[6:7]
	s_and_b64 exec, exec, s[6:7]
	s_cbranch_execz .LBB127_603
; %bb.598:
	v_cmp_ngt_f64_e64 s[6:7], |v[1:2]|, |v[3:4]|
                                        ; implicit-def: $vgpr5_vgpr6
	s_and_saveexec_b64 s[10:11], s[6:7]
	s_xor_b64 s[6:7], exec, s[10:11]
                                        ; implicit-def: $vgpr7_vgpr8
	s_cbranch_execz .LBB127_600
; %bb.599:
	v_div_scale_f64 v[5:6], s[10:11], v[3:4], v[3:4], v[1:2]
	v_rcp_f64_e32 v[7:8], v[5:6]
	v_fma_f64 v[9:10], -v[5:6], v[7:8], 1.0
	v_fma_f64 v[7:8], v[7:8], v[9:10], v[7:8]
	v_div_scale_f64 v[9:10], vcc, v[1:2], v[3:4], v[1:2]
	v_fma_f64 v[18:19], -v[5:6], v[7:8], 1.0
	v_fma_f64 v[7:8], v[7:8], v[18:19], v[7:8]
	v_mul_f64 v[18:19], v[9:10], v[7:8]
	v_fma_f64 v[5:6], -v[5:6], v[18:19], v[9:10]
	v_div_fmas_f64 v[5:6], v[5:6], v[7:8], v[18:19]
	v_div_fixup_f64 v[5:6], v[5:6], v[3:4], v[1:2]
	v_fma_f64 v[1:2], v[1:2], v[5:6], v[3:4]
	v_div_scale_f64 v[3:4], s[10:11], v[1:2], v[1:2], 1.0
	v_div_scale_f64 v[18:19], vcc, 1.0, v[1:2], 1.0
	v_rcp_f64_e32 v[7:8], v[3:4]
	v_fma_f64 v[9:10], -v[3:4], v[7:8], 1.0
	v_fma_f64 v[7:8], v[7:8], v[9:10], v[7:8]
	v_fma_f64 v[9:10], -v[3:4], v[7:8], 1.0
	v_fma_f64 v[7:8], v[7:8], v[9:10], v[7:8]
	v_mul_f64 v[9:10], v[18:19], v[7:8]
	v_fma_f64 v[3:4], -v[3:4], v[9:10], v[18:19]
	v_div_fmas_f64 v[3:4], v[3:4], v[7:8], v[9:10]
	v_div_fixup_f64 v[7:8], v[3:4], v[1:2], 1.0
                                        ; implicit-def: $vgpr1_vgpr2
	v_mul_f64 v[5:6], v[5:6], v[7:8]
	v_xor_b32_e32 v8, 0x80000000, v8
.LBB127_600:
	s_andn2_saveexec_b64 s[6:7], s[6:7]
	s_cbranch_execz .LBB127_602
; %bb.601:
	v_div_scale_f64 v[5:6], s[10:11], v[1:2], v[1:2], v[3:4]
	v_rcp_f64_e32 v[7:8], v[5:6]
	v_fma_f64 v[9:10], -v[5:6], v[7:8], 1.0
	v_fma_f64 v[7:8], v[7:8], v[9:10], v[7:8]
	v_div_scale_f64 v[9:10], vcc, v[3:4], v[1:2], v[3:4]
	v_fma_f64 v[18:19], -v[5:6], v[7:8], 1.0
	v_fma_f64 v[7:8], v[7:8], v[18:19], v[7:8]
	v_mul_f64 v[18:19], v[9:10], v[7:8]
	v_fma_f64 v[5:6], -v[5:6], v[18:19], v[9:10]
	v_div_fmas_f64 v[5:6], v[5:6], v[7:8], v[18:19]
	v_div_fixup_f64 v[7:8], v[5:6], v[1:2], v[3:4]
	v_fma_f64 v[1:2], v[3:4], v[7:8], v[1:2]
	v_div_scale_f64 v[3:4], s[10:11], v[1:2], v[1:2], 1.0
	v_div_scale_f64 v[18:19], vcc, 1.0, v[1:2], 1.0
	v_rcp_f64_e32 v[5:6], v[3:4]
	v_fma_f64 v[9:10], -v[3:4], v[5:6], 1.0
	v_fma_f64 v[5:6], v[5:6], v[9:10], v[5:6]
	v_fma_f64 v[9:10], -v[3:4], v[5:6], 1.0
	v_fma_f64 v[5:6], v[5:6], v[9:10], v[5:6]
	v_mul_f64 v[9:10], v[18:19], v[5:6]
	v_fma_f64 v[3:4], -v[3:4], v[9:10], v[18:19]
	v_div_fmas_f64 v[3:4], v[3:4], v[5:6], v[9:10]
	v_div_fixup_f64 v[5:6], v[3:4], v[1:2], 1.0
	v_mul_f64 v[7:8], v[7:8], -v[5:6]
.LBB127_602:
	s_or_b64 exec, exec, s[6:7]
	ds_write2_b64 v11, v[5:6], v[7:8] offset1:1
.LBB127_603:
	s_or_b64 exec, exec, s[8:9]
	s_waitcnt lgkmcnt(0)
	s_barrier
	ds_read2_b64 v[89:92], v11 offset1:1
	v_cmp_lt_u32_e32 vcc, 53, v0
	s_and_saveexec_b64 s[6:7], vcc
	s_cbranch_execz .LBB127_605
; %bb.604:
	buffer_load_dword v3, off, s[0:3], 0 offset:848
	buffer_load_dword v4, off, s[0:3], 0 offset:852
	;; [unrolled: 1-line block ×16, first 2 shown]
	s_waitcnt vmcnt(12) lgkmcnt(0)
	v_mul_f64 v[1:2], v[91:92], v[5:6]
	v_mul_f64 v[5:6], v[89:90], v[5:6]
	v_fma_f64 v[1:2], v[89:90], v[3:4], -v[1:2]
	v_fma_f64 v[3:4], v[91:92], v[3:4], v[5:6]
	buffer_store_dword v1, off, s[0:3], 0 offset:848
	buffer_store_dword v2, off, s[0:3], 0 offset:852
	buffer_store_dword v3, off, s[0:3], 0 offset:856
	buffer_store_dword v4, off, s[0:3], 0 offset:860
	ds_read2_b64 v[5:8], v12 offset0:108 offset1:109
	s_waitcnt lgkmcnt(0)
	v_mul_f64 v[101:102], v[7:8], v[3:4]
	v_fma_f64 v[101:102], v[5:6], v[1:2], -v[101:102]
	v_mul_f64 v[5:6], v[5:6], v[3:4]
	v_fma_f64 v[5:6], v[7:8], v[1:2], v[5:6]
	s_waitcnt vmcnt(14)
	v_add_f64 v[7:8], v[9:10], -v[101:102]
	s_waitcnt vmcnt(12)
	v_add_f64 v[5:6], v[18:19], -v[5:6]
	buffer_store_dword v7, off, s[0:3], 0 offset:864
	buffer_store_dword v8, off, s[0:3], 0 offset:868
	buffer_store_dword v5, off, s[0:3], 0 offset:872
	buffer_store_dword v6, off, s[0:3], 0 offset:876
	ds_read2_b64 v[5:8], v12 offset0:110 offset1:111
	s_waitcnt lgkmcnt(0)
	v_mul_f64 v[9:10], v[7:8], v[3:4]
	v_fma_f64 v[9:10], v[5:6], v[1:2], -v[9:10]
	v_mul_f64 v[5:6], v[5:6], v[3:4]
	v_fma_f64 v[5:6], v[7:8], v[1:2], v[5:6]
	s_waitcnt vmcnt(14)
	v_add_f64 v[7:8], v[93:94], -v[9:10]
	s_waitcnt vmcnt(12)
	v_add_f64 v[5:6], v[95:96], -v[5:6]
	;; [unrolled: 14-line block ×3, first 2 shown]
	buffer_store_dword v8, off, s[0:3], 0 offset:900
	buffer_store_dword v7, off, s[0:3], 0 offset:896
	buffer_store_dword v5, off, s[0:3], 0 offset:904
	buffer_store_dword v6, off, s[0:3], 0 offset:908
	ds_read2_b64 v[5:8], v12 offset0:114 offset1:115
	s_waitcnt lgkmcnt(0)
	v_mul_f64 v[9:10], v[7:8], v[3:4]
	v_fma_f64 v[9:10], v[5:6], v[1:2], -v[9:10]
	v_mul_f64 v[5:6], v[5:6], v[3:4]
	v_fma_f64 v[5:6], v[7:8], v[1:2], v[5:6]
	buffer_load_dword v7, off, s[0:3], 0 offset:912
	buffer_load_dword v8, off, s[0:3], 0 offset:916
	buffer_load_dword v18, off, s[0:3], 0 offset:920
	buffer_load_dword v19, off, s[0:3], 0 offset:924
	s_waitcnt vmcnt(2)
	v_add_f64 v[7:8], v[7:8], -v[9:10]
	s_waitcnt vmcnt(0)
	v_add_f64 v[5:6], v[18:19], -v[5:6]
	buffer_store_dword v8, off, s[0:3], 0 offset:916
	buffer_store_dword v7, off, s[0:3], 0 offset:912
	;; [unrolled: 1-line block ×4, first 2 shown]
	ds_read2_b64 v[5:8], v12 offset0:116 offset1:117
	s_waitcnt lgkmcnt(0)
	v_mul_f64 v[9:10], v[7:8], v[3:4]
	v_fma_f64 v[9:10], v[5:6], v[1:2], -v[9:10]
	v_mul_f64 v[5:6], v[5:6], v[3:4]
	v_fma_f64 v[5:6], v[7:8], v[1:2], v[5:6]
	buffer_load_dword v7, off, s[0:3], 0 offset:928
	buffer_load_dword v8, off, s[0:3], 0 offset:932
	;; [unrolled: 1-line block ×4, first 2 shown]
	s_waitcnt vmcnt(2)
	v_add_f64 v[7:8], v[7:8], -v[9:10]
	s_waitcnt vmcnt(0)
	v_add_f64 v[5:6], v[18:19], -v[5:6]
	buffer_store_dword v8, off, s[0:3], 0 offset:932
	buffer_store_dword v7, off, s[0:3], 0 offset:928
	buffer_store_dword v6, off, s[0:3], 0 offset:940
	buffer_store_dword v5, off, s[0:3], 0 offset:936
	ds_read2_b64 v[5:8], v12 offset0:118 offset1:119
	s_waitcnt lgkmcnt(0)
	v_mul_f64 v[9:10], v[7:8], v[3:4]
	v_mul_f64 v[3:4], v[5:6], v[3:4]
	v_fma_f64 v[9:10], v[5:6], v[1:2], -v[9:10]
	v_fma_f64 v[1:2], v[7:8], v[1:2], v[3:4]
	buffer_load_dword v3, off, s[0:3], 0 offset:944
	buffer_load_dword v4, off, s[0:3], 0 offset:948
	;; [unrolled: 1-line block ×4, first 2 shown]
	s_waitcnt vmcnt(2)
	v_add_f64 v[3:4], v[3:4], -v[9:10]
	s_waitcnt vmcnt(0)
	v_add_f64 v[1:2], v[5:6], -v[1:2]
	buffer_store_dword v4, off, s[0:3], 0 offset:948
	buffer_store_dword v3, off, s[0:3], 0 offset:944
	buffer_store_dword v2, off, s[0:3], 0 offset:956
	buffer_store_dword v1, off, s[0:3], 0 offset:952
	ds_read2_b64 v[1:4], v12 offset0:120 offset1:121
	buffer_load_dword v9, off, s[0:3], 0 offset:848
	buffer_load_dword v10, off, s[0:3], 0 offset:852
	;; [unrolled: 1-line block ×4, first 2 shown]
	s_waitcnt vmcnt(0) lgkmcnt(0)
	v_mul_f64 v[5:6], v[3:4], v[18:19]
	v_fma_f64 v[5:6], v[1:2], v[9:10], -v[5:6]
	v_mul_f64 v[1:2], v[1:2], v[18:19]
	v_fma_f64 v[1:2], v[3:4], v[9:10], v[1:2]
	buffer_load_dword v4, off, s[0:3], 0 offset:964
	buffer_load_dword v3, off, s[0:3], 0 offset:960
	s_waitcnt vmcnt(0)
	v_add_f64 v[3:4], v[3:4], -v[5:6]
	buffer_load_dword v6, off, s[0:3], 0 offset:972
	buffer_load_dword v5, off, s[0:3], 0 offset:968
	s_waitcnt vmcnt(0)
	v_add_f64 v[1:2], v[5:6], -v[1:2]
	buffer_store_dword v4, off, s[0:3], 0 offset:964
	buffer_store_dword v3, off, s[0:3], 0 offset:960
	buffer_store_dword v2, off, s[0:3], 0 offset:972
	buffer_store_dword v1, off, s[0:3], 0 offset:968
	ds_read2_b64 v[1:4], v12 offset0:122 offset1:123
	s_waitcnt lgkmcnt(0)
	v_mul_f64 v[5:6], v[3:4], v[18:19]
	v_fma_f64 v[5:6], v[1:2], v[9:10], -v[5:6]
	v_mul_f64 v[1:2], v[1:2], v[18:19]
	v_fma_f64 v[1:2], v[3:4], v[9:10], v[1:2]
	buffer_load_dword v3, off, s[0:3], 0 offset:976
	buffer_load_dword v4, off, s[0:3], 0 offset:980
	buffer_load_dword v7, off, s[0:3], 0 offset:984
	buffer_load_dword v8, off, s[0:3], 0 offset:988
	s_waitcnt vmcnt(2)
	v_add_f64 v[3:4], v[3:4], -v[5:6]
	s_waitcnt vmcnt(0)
	v_add_f64 v[1:2], v[7:8], -v[1:2]
	buffer_store_dword v4, off, s[0:3], 0 offset:980
	buffer_store_dword v3, off, s[0:3], 0 offset:976
	buffer_store_dword v2, off, s[0:3], 0 offset:988
	buffer_store_dword v1, off, s[0:3], 0 offset:984
	ds_read2_b64 v[1:4], v12 offset0:124 offset1:125
	s_waitcnt lgkmcnt(0)
	v_mul_f64 v[5:6], v[3:4], v[18:19]
	v_fma_f64 v[5:6], v[1:2], v[9:10], -v[5:6]
	v_mul_f64 v[1:2], v[1:2], v[18:19]
	v_fma_f64 v[1:2], v[3:4], v[9:10], v[1:2]
	buffer_load_dword v3, off, s[0:3], 0 offset:992
	buffer_load_dword v4, off, s[0:3], 0 offset:996
	buffer_load_dword v7, off, s[0:3], 0 offset:1000
	buffer_load_dword v8, off, s[0:3], 0 offset:1004
	s_waitcnt vmcnt(2)
	v_add_f64 v[3:4], v[3:4], -v[5:6]
	;; [unrolled: 18-line block ×3, first 2 shown]
	s_waitcnt vmcnt(0)
	v_add_f64 v[1:2], v[5:6], -v[1:2]
	buffer_store_dword v4, off, s[0:3], 0 offset:1012
	buffer_store_dword v3, off, s[0:3], 0 offset:1008
	;; [unrolled: 1-line block ×4, first 2 shown]
.LBB127_605:
	s_or_b64 exec, exec, s[6:7]
	v_cmp_eq_u32_e32 vcc, 54, v0
	s_waitcnt vmcnt(0) lgkmcnt(0)
	s_barrier
	s_and_saveexec_b64 s[8:9], vcc
	s_cbranch_execz .LBB127_612
; %bb.606:
	v_mov_b32_e32 v4, s23
	buffer_load_dword v1, v4, s[0:3], 0 offen
	buffer_load_dword v2, v4, s[0:3], 0 offen offset:4
	buffer_load_dword v3, v4, s[0:3], 0 offen offset:8
	s_nop 0
	buffer_load_dword v4, v4, s[0:3], 0 offen offset:12
	s_waitcnt vmcnt(0)
	ds_write2_b64 v11, v[1:2], v[3:4] offset1:1
	v_mov_b32_e32 v4, s22
	buffer_load_dword v1, v4, s[0:3], 0 offen
	buffer_load_dword v2, v4, s[0:3], 0 offen offset:4
	buffer_load_dword v3, v4, s[0:3], 0 offen offset:8
	s_nop 0
	buffer_load_dword v4, v4, s[0:3], 0 offen offset:12
	s_waitcnt vmcnt(0)
	ds_write2_b64 v12, v[1:2], v[3:4] offset0:110 offset1:111
	v_mov_b32_e32 v4, s21
	buffer_load_dword v1, v4, s[0:3], 0 offen
	buffer_load_dword v2, v4, s[0:3], 0 offen offset:4
	buffer_load_dword v3, v4, s[0:3], 0 offen offset:8
	s_nop 0
	buffer_load_dword v4, v4, s[0:3], 0 offen offset:12
	s_waitcnt vmcnt(0)
	ds_write2_b64 v12, v[1:2], v[3:4] offset0:112 offset1:113
	;; [unrolled: 8-line block ×9, first 2 shown]
	ds_read2_b64 v[1:4], v11 offset1:1
	s_waitcnt lgkmcnt(0)
	v_cmp_neq_f64_e32 vcc, 0, v[1:2]
	v_cmp_neq_f64_e64 s[6:7], 0, v[3:4]
	s_or_b64 s[6:7], vcc, s[6:7]
	s_and_b64 exec, exec, s[6:7]
	s_cbranch_execz .LBB127_612
; %bb.607:
	v_cmp_ngt_f64_e64 s[6:7], |v[1:2]|, |v[3:4]|
                                        ; implicit-def: $vgpr5_vgpr6
	s_and_saveexec_b64 s[10:11], s[6:7]
	s_xor_b64 s[6:7], exec, s[10:11]
                                        ; implicit-def: $vgpr7_vgpr8
	s_cbranch_execz .LBB127_609
; %bb.608:
	v_div_scale_f64 v[5:6], s[10:11], v[3:4], v[3:4], v[1:2]
	v_rcp_f64_e32 v[7:8], v[5:6]
	v_fma_f64 v[9:10], -v[5:6], v[7:8], 1.0
	v_fma_f64 v[7:8], v[7:8], v[9:10], v[7:8]
	v_div_scale_f64 v[9:10], vcc, v[1:2], v[3:4], v[1:2]
	v_fma_f64 v[18:19], -v[5:6], v[7:8], 1.0
	v_fma_f64 v[7:8], v[7:8], v[18:19], v[7:8]
	v_mul_f64 v[18:19], v[9:10], v[7:8]
	v_fma_f64 v[5:6], -v[5:6], v[18:19], v[9:10]
	v_div_fmas_f64 v[5:6], v[5:6], v[7:8], v[18:19]
	v_div_fixup_f64 v[5:6], v[5:6], v[3:4], v[1:2]
	v_fma_f64 v[1:2], v[1:2], v[5:6], v[3:4]
	v_div_scale_f64 v[3:4], s[10:11], v[1:2], v[1:2], 1.0
	v_div_scale_f64 v[18:19], vcc, 1.0, v[1:2], 1.0
	v_rcp_f64_e32 v[7:8], v[3:4]
	v_fma_f64 v[9:10], -v[3:4], v[7:8], 1.0
	v_fma_f64 v[7:8], v[7:8], v[9:10], v[7:8]
	v_fma_f64 v[9:10], -v[3:4], v[7:8], 1.0
	v_fma_f64 v[7:8], v[7:8], v[9:10], v[7:8]
	v_mul_f64 v[9:10], v[18:19], v[7:8]
	v_fma_f64 v[3:4], -v[3:4], v[9:10], v[18:19]
	v_div_fmas_f64 v[3:4], v[3:4], v[7:8], v[9:10]
	v_div_fixup_f64 v[7:8], v[3:4], v[1:2], 1.0
                                        ; implicit-def: $vgpr1_vgpr2
	v_mul_f64 v[5:6], v[5:6], v[7:8]
	v_xor_b32_e32 v8, 0x80000000, v8
.LBB127_609:
	s_andn2_saveexec_b64 s[6:7], s[6:7]
	s_cbranch_execz .LBB127_611
; %bb.610:
	v_div_scale_f64 v[5:6], s[10:11], v[1:2], v[1:2], v[3:4]
	v_rcp_f64_e32 v[7:8], v[5:6]
	v_fma_f64 v[9:10], -v[5:6], v[7:8], 1.0
	v_fma_f64 v[7:8], v[7:8], v[9:10], v[7:8]
	v_div_scale_f64 v[9:10], vcc, v[3:4], v[1:2], v[3:4]
	v_fma_f64 v[18:19], -v[5:6], v[7:8], 1.0
	v_fma_f64 v[7:8], v[7:8], v[18:19], v[7:8]
	v_mul_f64 v[18:19], v[9:10], v[7:8]
	v_fma_f64 v[5:6], -v[5:6], v[18:19], v[9:10]
	v_div_fmas_f64 v[5:6], v[5:6], v[7:8], v[18:19]
	v_div_fixup_f64 v[7:8], v[5:6], v[1:2], v[3:4]
	v_fma_f64 v[1:2], v[3:4], v[7:8], v[1:2]
	v_div_scale_f64 v[3:4], s[10:11], v[1:2], v[1:2], 1.0
	v_div_scale_f64 v[18:19], vcc, 1.0, v[1:2], 1.0
	v_rcp_f64_e32 v[5:6], v[3:4]
	v_fma_f64 v[9:10], -v[3:4], v[5:6], 1.0
	v_fma_f64 v[5:6], v[5:6], v[9:10], v[5:6]
	v_fma_f64 v[9:10], -v[3:4], v[5:6], 1.0
	v_fma_f64 v[5:6], v[5:6], v[9:10], v[5:6]
	v_mul_f64 v[9:10], v[18:19], v[5:6]
	v_fma_f64 v[3:4], -v[3:4], v[9:10], v[18:19]
	v_div_fmas_f64 v[3:4], v[3:4], v[5:6], v[9:10]
	v_div_fixup_f64 v[5:6], v[3:4], v[1:2], 1.0
	v_mul_f64 v[7:8], v[7:8], -v[5:6]
.LBB127_611:
	s_or_b64 exec, exec, s[6:7]
	ds_write2_b64 v11, v[5:6], v[7:8] offset1:1
.LBB127_612:
	s_or_b64 exec, exec, s[8:9]
	s_waitcnt lgkmcnt(0)
	s_barrier
	ds_read2_b64 v[93:96], v11 offset1:1
	v_cmp_lt_u32_e32 vcc, 54, v0
	s_and_saveexec_b64 s[6:7], vcc
	s_cbranch_execz .LBB127_614
; %bb.613:
	buffer_load_dword v3, off, s[0:3], 0 offset:864
	buffer_load_dword v4, off, s[0:3], 0 offset:868
	;; [unrolled: 1-line block ×16, first 2 shown]
	s_waitcnt vmcnt(12) lgkmcnt(0)
	v_mul_f64 v[1:2], v[95:96], v[5:6]
	v_mul_f64 v[5:6], v[93:94], v[5:6]
	v_fma_f64 v[1:2], v[93:94], v[3:4], -v[1:2]
	v_fma_f64 v[3:4], v[95:96], v[3:4], v[5:6]
	buffer_store_dword v1, off, s[0:3], 0 offset:864
	buffer_store_dword v2, off, s[0:3], 0 offset:868
	buffer_store_dword v3, off, s[0:3], 0 offset:872
	buffer_store_dword v4, off, s[0:3], 0 offset:876
	ds_read2_b64 v[5:8], v12 offset0:110 offset1:111
	s_waitcnt lgkmcnt(0)
	v_mul_f64 v[105:106], v[7:8], v[3:4]
	v_fma_f64 v[105:106], v[5:6], v[1:2], -v[105:106]
	v_mul_f64 v[5:6], v[5:6], v[3:4]
	v_fma_f64 v[5:6], v[7:8], v[1:2], v[5:6]
	s_waitcnt vmcnt(14)
	v_add_f64 v[7:8], v[9:10], -v[105:106]
	s_waitcnt vmcnt(12)
	v_add_f64 v[5:6], v[18:19], -v[5:6]
	buffer_store_dword v7, off, s[0:3], 0 offset:880
	buffer_store_dword v8, off, s[0:3], 0 offset:884
	buffer_store_dword v5, off, s[0:3], 0 offset:888
	buffer_store_dword v6, off, s[0:3], 0 offset:892
	ds_read2_b64 v[5:8], v12 offset0:112 offset1:113
	s_waitcnt lgkmcnt(0)
	v_mul_f64 v[9:10], v[7:8], v[3:4]
	v_fma_f64 v[9:10], v[5:6], v[1:2], -v[9:10]
	v_mul_f64 v[5:6], v[5:6], v[3:4]
	v_fma_f64 v[5:6], v[7:8], v[1:2], v[5:6]
	s_waitcnt vmcnt(14)
	v_add_f64 v[7:8], v[97:98], -v[9:10]
	s_waitcnt vmcnt(12)
	v_add_f64 v[5:6], v[99:100], -v[5:6]
	;; [unrolled: 14-line block ×3, first 2 shown]
	buffer_store_dword v8, off, s[0:3], 0 offset:916
	buffer_store_dword v7, off, s[0:3], 0 offset:912
	;; [unrolled: 1-line block ×4, first 2 shown]
	ds_read2_b64 v[5:8], v12 offset0:116 offset1:117
	s_waitcnt lgkmcnt(0)
	v_mul_f64 v[9:10], v[7:8], v[3:4]
	v_fma_f64 v[9:10], v[5:6], v[1:2], -v[9:10]
	v_mul_f64 v[5:6], v[5:6], v[3:4]
	v_fma_f64 v[5:6], v[7:8], v[1:2], v[5:6]
	buffer_load_dword v7, off, s[0:3], 0 offset:928
	buffer_load_dword v8, off, s[0:3], 0 offset:932
	buffer_load_dword v18, off, s[0:3], 0 offset:936
	buffer_load_dword v19, off, s[0:3], 0 offset:940
	s_waitcnt vmcnt(2)
	v_add_f64 v[7:8], v[7:8], -v[9:10]
	s_waitcnt vmcnt(0)
	v_add_f64 v[5:6], v[18:19], -v[5:6]
	buffer_store_dword v8, off, s[0:3], 0 offset:932
	buffer_store_dword v7, off, s[0:3], 0 offset:928
	;; [unrolled: 1-line block ×4, first 2 shown]
	ds_read2_b64 v[5:8], v12 offset0:118 offset1:119
	s_waitcnt lgkmcnt(0)
	v_mul_f64 v[9:10], v[7:8], v[3:4]
	v_fma_f64 v[9:10], v[5:6], v[1:2], -v[9:10]
	v_mul_f64 v[5:6], v[5:6], v[3:4]
	v_fma_f64 v[5:6], v[7:8], v[1:2], v[5:6]
	buffer_load_dword v7, off, s[0:3], 0 offset:944
	buffer_load_dword v8, off, s[0:3], 0 offset:948
	buffer_load_dword v18, off, s[0:3], 0 offset:952
	buffer_load_dword v19, off, s[0:3], 0 offset:956
	s_waitcnt vmcnt(2)
	v_add_f64 v[7:8], v[7:8], -v[9:10]
	s_waitcnt vmcnt(0)
	v_add_f64 v[5:6], v[18:19], -v[5:6]
	buffer_store_dword v8, off, s[0:3], 0 offset:948
	buffer_store_dword v7, off, s[0:3], 0 offset:944
	;; [unrolled: 1-line block ×4, first 2 shown]
	ds_read2_b64 v[5:8], v12 offset0:120 offset1:121
	s_waitcnt lgkmcnt(0)
	v_mul_f64 v[9:10], v[7:8], v[3:4]
	v_mul_f64 v[3:4], v[5:6], v[3:4]
	v_fma_f64 v[9:10], v[5:6], v[1:2], -v[9:10]
	v_fma_f64 v[1:2], v[7:8], v[1:2], v[3:4]
	buffer_load_dword v3, off, s[0:3], 0 offset:960
	buffer_load_dword v4, off, s[0:3], 0 offset:964
	;; [unrolled: 1-line block ×4, first 2 shown]
	s_waitcnt vmcnt(2)
	v_add_f64 v[3:4], v[3:4], -v[9:10]
	s_waitcnt vmcnt(0)
	v_add_f64 v[1:2], v[5:6], -v[1:2]
	buffer_store_dword v4, off, s[0:3], 0 offset:964
	buffer_store_dword v3, off, s[0:3], 0 offset:960
	;; [unrolled: 1-line block ×4, first 2 shown]
	ds_read2_b64 v[1:4], v12 offset0:122 offset1:123
	buffer_load_dword v9, off, s[0:3], 0 offset:864
	buffer_load_dword v10, off, s[0:3], 0 offset:868
	;; [unrolled: 1-line block ×4, first 2 shown]
	s_waitcnt vmcnt(0) lgkmcnt(0)
	v_mul_f64 v[5:6], v[3:4], v[18:19]
	v_fma_f64 v[5:6], v[1:2], v[9:10], -v[5:6]
	v_mul_f64 v[1:2], v[1:2], v[18:19]
	v_fma_f64 v[1:2], v[3:4], v[9:10], v[1:2]
	buffer_load_dword v4, off, s[0:3], 0 offset:980
	buffer_load_dword v3, off, s[0:3], 0 offset:976
	s_waitcnt vmcnt(0)
	v_add_f64 v[3:4], v[3:4], -v[5:6]
	buffer_load_dword v6, off, s[0:3], 0 offset:988
	buffer_load_dword v5, off, s[0:3], 0 offset:984
	s_waitcnt vmcnt(0)
	v_add_f64 v[1:2], v[5:6], -v[1:2]
	buffer_store_dword v4, off, s[0:3], 0 offset:980
	buffer_store_dword v3, off, s[0:3], 0 offset:976
	;; [unrolled: 1-line block ×4, first 2 shown]
	ds_read2_b64 v[1:4], v12 offset0:124 offset1:125
	s_waitcnt lgkmcnt(0)
	v_mul_f64 v[5:6], v[3:4], v[18:19]
	v_fma_f64 v[5:6], v[1:2], v[9:10], -v[5:6]
	v_mul_f64 v[1:2], v[1:2], v[18:19]
	v_fma_f64 v[1:2], v[3:4], v[9:10], v[1:2]
	buffer_load_dword v3, off, s[0:3], 0 offset:992
	buffer_load_dword v4, off, s[0:3], 0 offset:996
	;; [unrolled: 1-line block ×4, first 2 shown]
	s_waitcnt vmcnt(2)
	v_add_f64 v[3:4], v[3:4], -v[5:6]
	s_waitcnt vmcnt(0)
	v_add_f64 v[1:2], v[7:8], -v[1:2]
	buffer_store_dword v4, off, s[0:3], 0 offset:996
	buffer_store_dword v3, off, s[0:3], 0 offset:992
	;; [unrolled: 1-line block ×4, first 2 shown]
	ds_read2_b64 v[5:8], v12 offset0:126 offset1:127
	s_waitcnt lgkmcnt(0)
	v_mul_f64 v[1:2], v[7:8], v[18:19]
	v_fma_f64 v[3:4], v[5:6], v[9:10], -v[1:2]
	v_mul_f64 v[1:2], v[5:6], v[18:19]
	v_fma_f64 v[1:2], v[7:8], v[9:10], v[1:2]
	buffer_load_dword v5, off, s[0:3], 0 offset:1008
	buffer_load_dword v6, off, s[0:3], 0 offset:1012
	;; [unrolled: 1-line block ×4, first 2 shown]
	s_waitcnt vmcnt(2)
	v_add_f64 v[3:4], v[5:6], -v[3:4]
	s_waitcnt vmcnt(0)
	v_add_f64 v[1:2], v[7:8], -v[1:2]
	buffer_store_dword v4, off, s[0:3], 0 offset:1012
	buffer_store_dword v3, off, s[0:3], 0 offset:1008
	;; [unrolled: 1-line block ×4, first 2 shown]
.LBB127_614:
	s_or_b64 exec, exec, s[6:7]
	v_cmp_eq_u32_e32 vcc, 55, v0
	s_waitcnt vmcnt(0) lgkmcnt(0)
	s_barrier
	s_and_saveexec_b64 s[8:9], vcc
	s_cbranch_execz .LBB127_621
; %bb.615:
	v_mov_b32_e32 v4, s22
	buffer_load_dword v1, v4, s[0:3], 0 offen
	buffer_load_dword v2, v4, s[0:3], 0 offen offset:4
	buffer_load_dword v3, v4, s[0:3], 0 offen offset:8
	s_nop 0
	buffer_load_dword v4, v4, s[0:3], 0 offen offset:12
	s_waitcnt vmcnt(0)
	ds_write2_b64 v11, v[1:2], v[3:4] offset1:1
	v_mov_b32_e32 v4, s21
	buffer_load_dword v1, v4, s[0:3], 0 offen
	buffer_load_dword v2, v4, s[0:3], 0 offen offset:4
	buffer_load_dword v3, v4, s[0:3], 0 offen offset:8
	s_nop 0
	buffer_load_dword v4, v4, s[0:3], 0 offen offset:12
	s_waitcnt vmcnt(0)
	ds_write2_b64 v12, v[1:2], v[3:4] offset0:112 offset1:113
	v_mov_b32_e32 v4, s20
	buffer_load_dword v1, v4, s[0:3], 0 offen
	buffer_load_dword v2, v4, s[0:3], 0 offen offset:4
	buffer_load_dword v3, v4, s[0:3], 0 offen offset:8
	s_nop 0
	buffer_load_dword v4, v4, s[0:3], 0 offen offset:12
	s_waitcnt vmcnt(0)
	ds_write2_b64 v12, v[1:2], v[3:4] offset0:114 offset1:115
	;; [unrolled: 8-line block ×8, first 2 shown]
	ds_read2_b64 v[1:4], v11 offset1:1
	s_waitcnt lgkmcnt(0)
	v_cmp_neq_f64_e32 vcc, 0, v[1:2]
	v_cmp_neq_f64_e64 s[6:7], 0, v[3:4]
	s_or_b64 s[6:7], vcc, s[6:7]
	s_and_b64 exec, exec, s[6:7]
	s_cbranch_execz .LBB127_621
; %bb.616:
	v_cmp_ngt_f64_e64 s[6:7], |v[1:2]|, |v[3:4]|
                                        ; implicit-def: $vgpr5_vgpr6
	s_and_saveexec_b64 s[10:11], s[6:7]
	s_xor_b64 s[6:7], exec, s[10:11]
                                        ; implicit-def: $vgpr7_vgpr8
	s_cbranch_execz .LBB127_618
; %bb.617:
	v_div_scale_f64 v[5:6], s[10:11], v[3:4], v[3:4], v[1:2]
	v_rcp_f64_e32 v[7:8], v[5:6]
	v_fma_f64 v[9:10], -v[5:6], v[7:8], 1.0
	v_fma_f64 v[7:8], v[7:8], v[9:10], v[7:8]
	v_div_scale_f64 v[9:10], vcc, v[1:2], v[3:4], v[1:2]
	v_fma_f64 v[18:19], -v[5:6], v[7:8], 1.0
	v_fma_f64 v[7:8], v[7:8], v[18:19], v[7:8]
	v_mul_f64 v[18:19], v[9:10], v[7:8]
	v_fma_f64 v[5:6], -v[5:6], v[18:19], v[9:10]
	v_div_fmas_f64 v[5:6], v[5:6], v[7:8], v[18:19]
	v_div_fixup_f64 v[5:6], v[5:6], v[3:4], v[1:2]
	v_fma_f64 v[1:2], v[1:2], v[5:6], v[3:4]
	v_div_scale_f64 v[3:4], s[10:11], v[1:2], v[1:2], 1.0
	v_div_scale_f64 v[18:19], vcc, 1.0, v[1:2], 1.0
	v_rcp_f64_e32 v[7:8], v[3:4]
	v_fma_f64 v[9:10], -v[3:4], v[7:8], 1.0
	v_fma_f64 v[7:8], v[7:8], v[9:10], v[7:8]
	v_fma_f64 v[9:10], -v[3:4], v[7:8], 1.0
	v_fma_f64 v[7:8], v[7:8], v[9:10], v[7:8]
	v_mul_f64 v[9:10], v[18:19], v[7:8]
	v_fma_f64 v[3:4], -v[3:4], v[9:10], v[18:19]
	v_div_fmas_f64 v[3:4], v[3:4], v[7:8], v[9:10]
	v_div_fixup_f64 v[7:8], v[3:4], v[1:2], 1.0
                                        ; implicit-def: $vgpr1_vgpr2
	v_mul_f64 v[5:6], v[5:6], v[7:8]
	v_xor_b32_e32 v8, 0x80000000, v8
.LBB127_618:
	s_andn2_saveexec_b64 s[6:7], s[6:7]
	s_cbranch_execz .LBB127_620
; %bb.619:
	v_div_scale_f64 v[5:6], s[10:11], v[1:2], v[1:2], v[3:4]
	v_rcp_f64_e32 v[7:8], v[5:6]
	v_fma_f64 v[9:10], -v[5:6], v[7:8], 1.0
	v_fma_f64 v[7:8], v[7:8], v[9:10], v[7:8]
	v_div_scale_f64 v[9:10], vcc, v[3:4], v[1:2], v[3:4]
	v_fma_f64 v[18:19], -v[5:6], v[7:8], 1.0
	v_fma_f64 v[7:8], v[7:8], v[18:19], v[7:8]
	v_mul_f64 v[18:19], v[9:10], v[7:8]
	v_fma_f64 v[5:6], -v[5:6], v[18:19], v[9:10]
	v_div_fmas_f64 v[5:6], v[5:6], v[7:8], v[18:19]
	v_div_fixup_f64 v[7:8], v[5:6], v[1:2], v[3:4]
	v_fma_f64 v[1:2], v[3:4], v[7:8], v[1:2]
	v_div_scale_f64 v[3:4], s[10:11], v[1:2], v[1:2], 1.0
	v_div_scale_f64 v[18:19], vcc, 1.0, v[1:2], 1.0
	v_rcp_f64_e32 v[5:6], v[3:4]
	v_fma_f64 v[9:10], -v[3:4], v[5:6], 1.0
	v_fma_f64 v[5:6], v[5:6], v[9:10], v[5:6]
	v_fma_f64 v[9:10], -v[3:4], v[5:6], 1.0
	v_fma_f64 v[5:6], v[5:6], v[9:10], v[5:6]
	v_mul_f64 v[9:10], v[18:19], v[5:6]
	v_fma_f64 v[3:4], -v[3:4], v[9:10], v[18:19]
	v_div_fmas_f64 v[3:4], v[3:4], v[5:6], v[9:10]
	v_div_fixup_f64 v[5:6], v[3:4], v[1:2], 1.0
	v_mul_f64 v[7:8], v[7:8], -v[5:6]
.LBB127_620:
	s_or_b64 exec, exec, s[6:7]
	ds_write2_b64 v11, v[5:6], v[7:8] offset1:1
.LBB127_621:
	s_or_b64 exec, exec, s[8:9]
	s_waitcnt lgkmcnt(0)
	s_barrier
	ds_read2_b64 v[97:100], v11 offset1:1
	v_cmp_lt_u32_e32 vcc, 55, v0
	s_and_saveexec_b64 s[6:7], vcc
	s_cbranch_execz .LBB127_623
; %bb.622:
	buffer_load_dword v3, off, s[0:3], 0 offset:880
	buffer_load_dword v4, off, s[0:3], 0 offset:884
	;; [unrolled: 1-line block ×16, first 2 shown]
	s_waitcnt vmcnt(12) lgkmcnt(0)
	v_mul_f64 v[1:2], v[99:100], v[5:6]
	v_mul_f64 v[5:6], v[97:98], v[5:6]
	v_fma_f64 v[1:2], v[97:98], v[3:4], -v[1:2]
	v_fma_f64 v[3:4], v[99:100], v[3:4], v[5:6]
	buffer_store_dword v1, off, s[0:3], 0 offset:880
	buffer_store_dword v2, off, s[0:3], 0 offset:884
	buffer_store_dword v3, off, s[0:3], 0 offset:888
	buffer_store_dword v4, off, s[0:3], 0 offset:892
	ds_read2_b64 v[5:8], v12 offset0:112 offset1:113
	s_waitcnt lgkmcnt(0)
	v_mul_f64 v[109:110], v[7:8], v[3:4]
	v_fma_f64 v[109:110], v[5:6], v[1:2], -v[109:110]
	v_mul_f64 v[5:6], v[5:6], v[3:4]
	v_fma_f64 v[5:6], v[7:8], v[1:2], v[5:6]
	s_waitcnt vmcnt(14)
	v_add_f64 v[7:8], v[9:10], -v[109:110]
	s_waitcnt vmcnt(12)
	v_add_f64 v[5:6], v[18:19], -v[5:6]
	buffer_store_dword v7, off, s[0:3], 0 offset:896
	buffer_store_dword v8, off, s[0:3], 0 offset:900
	buffer_store_dword v5, off, s[0:3], 0 offset:904
	buffer_store_dword v6, off, s[0:3], 0 offset:908
	ds_read2_b64 v[5:8], v12 offset0:114 offset1:115
	s_waitcnt lgkmcnt(0)
	v_mul_f64 v[9:10], v[7:8], v[3:4]
	v_fma_f64 v[9:10], v[5:6], v[1:2], -v[9:10]
	v_mul_f64 v[5:6], v[5:6], v[3:4]
	v_fma_f64 v[5:6], v[7:8], v[1:2], v[5:6]
	s_waitcnt vmcnt(14)
	v_add_f64 v[7:8], v[101:102], -v[9:10]
	s_waitcnt vmcnt(12)
	v_add_f64 v[5:6], v[103:104], -v[5:6]
	;; [unrolled: 14-line block ×3, first 2 shown]
	buffer_store_dword v8, off, s[0:3], 0 offset:932
	buffer_store_dword v7, off, s[0:3], 0 offset:928
	;; [unrolled: 1-line block ×4, first 2 shown]
	ds_read2_b64 v[5:8], v12 offset0:118 offset1:119
	s_waitcnt lgkmcnt(0)
	v_mul_f64 v[9:10], v[7:8], v[3:4]
	v_fma_f64 v[9:10], v[5:6], v[1:2], -v[9:10]
	v_mul_f64 v[5:6], v[5:6], v[3:4]
	v_fma_f64 v[5:6], v[7:8], v[1:2], v[5:6]
	buffer_load_dword v7, off, s[0:3], 0 offset:944
	buffer_load_dword v8, off, s[0:3], 0 offset:948
	;; [unrolled: 1-line block ×4, first 2 shown]
	s_waitcnt vmcnt(2)
	v_add_f64 v[7:8], v[7:8], -v[9:10]
	s_waitcnt vmcnt(0)
	v_add_f64 v[5:6], v[18:19], -v[5:6]
	buffer_store_dword v8, off, s[0:3], 0 offset:948
	buffer_store_dword v7, off, s[0:3], 0 offset:944
	;; [unrolled: 1-line block ×4, first 2 shown]
	ds_read2_b64 v[5:8], v12 offset0:120 offset1:121
	s_waitcnt lgkmcnt(0)
	v_mul_f64 v[9:10], v[7:8], v[3:4]
	v_fma_f64 v[9:10], v[5:6], v[1:2], -v[9:10]
	v_mul_f64 v[5:6], v[5:6], v[3:4]
	v_fma_f64 v[5:6], v[7:8], v[1:2], v[5:6]
	buffer_load_dword v7, off, s[0:3], 0 offset:960
	buffer_load_dword v8, off, s[0:3], 0 offset:964
	;; [unrolled: 1-line block ×4, first 2 shown]
	s_waitcnt vmcnt(2)
	v_add_f64 v[7:8], v[7:8], -v[9:10]
	s_waitcnt vmcnt(0)
	v_add_f64 v[5:6], v[18:19], -v[5:6]
	buffer_store_dword v8, off, s[0:3], 0 offset:964
	buffer_store_dword v7, off, s[0:3], 0 offset:960
	;; [unrolled: 1-line block ×4, first 2 shown]
	ds_read2_b64 v[5:8], v12 offset0:122 offset1:123
	s_waitcnt lgkmcnt(0)
	v_mul_f64 v[9:10], v[7:8], v[3:4]
	v_mul_f64 v[3:4], v[5:6], v[3:4]
	v_fma_f64 v[9:10], v[5:6], v[1:2], -v[9:10]
	v_fma_f64 v[1:2], v[7:8], v[1:2], v[3:4]
	buffer_load_dword v3, off, s[0:3], 0 offset:976
	buffer_load_dword v4, off, s[0:3], 0 offset:980
	;; [unrolled: 1-line block ×4, first 2 shown]
	s_waitcnt vmcnt(2)
	v_add_f64 v[3:4], v[3:4], -v[9:10]
	s_waitcnt vmcnt(0)
	v_add_f64 v[1:2], v[5:6], -v[1:2]
	buffer_store_dword v4, off, s[0:3], 0 offset:980
	buffer_store_dword v3, off, s[0:3], 0 offset:976
	;; [unrolled: 1-line block ×4, first 2 shown]
	ds_read2_b64 v[1:4], v12 offset0:124 offset1:125
	buffer_load_dword v9, off, s[0:3], 0 offset:880
	buffer_load_dword v10, off, s[0:3], 0 offset:884
	;; [unrolled: 1-line block ×4, first 2 shown]
	s_waitcnt vmcnt(0) lgkmcnt(0)
	v_mul_f64 v[5:6], v[3:4], v[18:19]
	v_fma_f64 v[5:6], v[1:2], v[9:10], -v[5:6]
	v_mul_f64 v[1:2], v[1:2], v[18:19]
	v_fma_f64 v[1:2], v[3:4], v[9:10], v[1:2]
	buffer_load_dword v4, off, s[0:3], 0 offset:996
	buffer_load_dword v3, off, s[0:3], 0 offset:992
	s_waitcnt vmcnt(0)
	v_add_f64 v[3:4], v[3:4], -v[5:6]
	buffer_load_dword v6, off, s[0:3], 0 offset:1004
	buffer_load_dword v5, off, s[0:3], 0 offset:1000
	s_waitcnt vmcnt(0)
	v_add_f64 v[1:2], v[5:6], -v[1:2]
	buffer_store_dword v4, off, s[0:3], 0 offset:996
	buffer_store_dword v3, off, s[0:3], 0 offset:992
	;; [unrolled: 1-line block ×4, first 2 shown]
	ds_read2_b64 v[5:8], v12 offset0:126 offset1:127
	s_waitcnt lgkmcnt(0)
	v_mul_f64 v[1:2], v[7:8], v[18:19]
	v_fma_f64 v[3:4], v[5:6], v[9:10], -v[1:2]
	v_mul_f64 v[1:2], v[5:6], v[18:19]
	v_fma_f64 v[1:2], v[7:8], v[9:10], v[1:2]
	buffer_load_dword v5, off, s[0:3], 0 offset:1008
	buffer_load_dword v6, off, s[0:3], 0 offset:1012
	;; [unrolled: 1-line block ×4, first 2 shown]
	s_waitcnt vmcnt(2)
	v_add_f64 v[3:4], v[5:6], -v[3:4]
	s_waitcnt vmcnt(0)
	v_add_f64 v[1:2], v[7:8], -v[1:2]
	buffer_store_dword v4, off, s[0:3], 0 offset:1012
	buffer_store_dword v3, off, s[0:3], 0 offset:1008
	;; [unrolled: 1-line block ×4, first 2 shown]
.LBB127_623:
	s_or_b64 exec, exec, s[6:7]
	v_cmp_eq_u32_e32 vcc, 56, v0
	s_waitcnt vmcnt(0) lgkmcnt(0)
	s_barrier
	s_and_saveexec_b64 s[8:9], vcc
	s_cbranch_execz .LBB127_630
; %bb.624:
	v_mov_b32_e32 v4, s21
	buffer_load_dword v1, v4, s[0:3], 0 offen
	buffer_load_dword v2, v4, s[0:3], 0 offen offset:4
	buffer_load_dword v3, v4, s[0:3], 0 offen offset:8
	s_nop 0
	buffer_load_dword v4, v4, s[0:3], 0 offen offset:12
	s_waitcnt vmcnt(0)
	ds_write2_b64 v11, v[1:2], v[3:4] offset1:1
	v_mov_b32_e32 v4, s20
	buffer_load_dword v1, v4, s[0:3], 0 offen
	buffer_load_dword v2, v4, s[0:3], 0 offen offset:4
	buffer_load_dword v3, v4, s[0:3], 0 offen offset:8
	s_nop 0
	buffer_load_dword v4, v4, s[0:3], 0 offen offset:12
	s_waitcnt vmcnt(0)
	ds_write2_b64 v12, v[1:2], v[3:4] offset0:114 offset1:115
	v_mov_b32_e32 v4, s19
	buffer_load_dword v1, v4, s[0:3], 0 offen
	buffer_load_dword v2, v4, s[0:3], 0 offen offset:4
	buffer_load_dword v3, v4, s[0:3], 0 offen offset:8
	s_nop 0
	buffer_load_dword v4, v4, s[0:3], 0 offen offset:12
	s_waitcnt vmcnt(0)
	ds_write2_b64 v12, v[1:2], v[3:4] offset0:116 offset1:117
	;; [unrolled: 8-line block ×7, first 2 shown]
	ds_read2_b64 v[1:4], v11 offset1:1
	s_waitcnt lgkmcnt(0)
	v_cmp_neq_f64_e32 vcc, 0, v[1:2]
	v_cmp_neq_f64_e64 s[6:7], 0, v[3:4]
	s_or_b64 s[6:7], vcc, s[6:7]
	s_and_b64 exec, exec, s[6:7]
	s_cbranch_execz .LBB127_630
; %bb.625:
	v_cmp_ngt_f64_e64 s[6:7], |v[1:2]|, |v[3:4]|
                                        ; implicit-def: $vgpr5_vgpr6
	s_and_saveexec_b64 s[10:11], s[6:7]
	s_xor_b64 s[6:7], exec, s[10:11]
                                        ; implicit-def: $vgpr7_vgpr8
	s_cbranch_execz .LBB127_627
; %bb.626:
	v_div_scale_f64 v[5:6], s[10:11], v[3:4], v[3:4], v[1:2]
	v_rcp_f64_e32 v[7:8], v[5:6]
	v_fma_f64 v[9:10], -v[5:6], v[7:8], 1.0
	v_fma_f64 v[7:8], v[7:8], v[9:10], v[7:8]
	v_div_scale_f64 v[9:10], vcc, v[1:2], v[3:4], v[1:2]
	v_fma_f64 v[18:19], -v[5:6], v[7:8], 1.0
	v_fma_f64 v[7:8], v[7:8], v[18:19], v[7:8]
	v_mul_f64 v[18:19], v[9:10], v[7:8]
	v_fma_f64 v[5:6], -v[5:6], v[18:19], v[9:10]
	v_div_fmas_f64 v[5:6], v[5:6], v[7:8], v[18:19]
	v_div_fixup_f64 v[5:6], v[5:6], v[3:4], v[1:2]
	v_fma_f64 v[1:2], v[1:2], v[5:6], v[3:4]
	v_div_scale_f64 v[3:4], s[10:11], v[1:2], v[1:2], 1.0
	v_div_scale_f64 v[18:19], vcc, 1.0, v[1:2], 1.0
	v_rcp_f64_e32 v[7:8], v[3:4]
	v_fma_f64 v[9:10], -v[3:4], v[7:8], 1.0
	v_fma_f64 v[7:8], v[7:8], v[9:10], v[7:8]
	v_fma_f64 v[9:10], -v[3:4], v[7:8], 1.0
	v_fma_f64 v[7:8], v[7:8], v[9:10], v[7:8]
	v_mul_f64 v[9:10], v[18:19], v[7:8]
	v_fma_f64 v[3:4], -v[3:4], v[9:10], v[18:19]
	v_div_fmas_f64 v[3:4], v[3:4], v[7:8], v[9:10]
	v_div_fixup_f64 v[7:8], v[3:4], v[1:2], 1.0
                                        ; implicit-def: $vgpr1_vgpr2
	v_mul_f64 v[5:6], v[5:6], v[7:8]
	v_xor_b32_e32 v8, 0x80000000, v8
.LBB127_627:
	s_andn2_saveexec_b64 s[6:7], s[6:7]
	s_cbranch_execz .LBB127_629
; %bb.628:
	v_div_scale_f64 v[5:6], s[10:11], v[1:2], v[1:2], v[3:4]
	v_rcp_f64_e32 v[7:8], v[5:6]
	v_fma_f64 v[9:10], -v[5:6], v[7:8], 1.0
	v_fma_f64 v[7:8], v[7:8], v[9:10], v[7:8]
	v_div_scale_f64 v[9:10], vcc, v[3:4], v[1:2], v[3:4]
	v_fma_f64 v[18:19], -v[5:6], v[7:8], 1.0
	v_fma_f64 v[7:8], v[7:8], v[18:19], v[7:8]
	v_mul_f64 v[18:19], v[9:10], v[7:8]
	v_fma_f64 v[5:6], -v[5:6], v[18:19], v[9:10]
	v_div_fmas_f64 v[5:6], v[5:6], v[7:8], v[18:19]
	v_div_fixup_f64 v[7:8], v[5:6], v[1:2], v[3:4]
	v_fma_f64 v[1:2], v[3:4], v[7:8], v[1:2]
	v_div_scale_f64 v[3:4], s[10:11], v[1:2], v[1:2], 1.0
	v_div_scale_f64 v[18:19], vcc, 1.0, v[1:2], 1.0
	v_rcp_f64_e32 v[5:6], v[3:4]
	v_fma_f64 v[9:10], -v[3:4], v[5:6], 1.0
	v_fma_f64 v[5:6], v[5:6], v[9:10], v[5:6]
	v_fma_f64 v[9:10], -v[3:4], v[5:6], 1.0
	v_fma_f64 v[5:6], v[5:6], v[9:10], v[5:6]
	v_mul_f64 v[9:10], v[18:19], v[5:6]
	v_fma_f64 v[3:4], -v[3:4], v[9:10], v[18:19]
	v_div_fmas_f64 v[3:4], v[3:4], v[5:6], v[9:10]
	v_div_fixup_f64 v[5:6], v[3:4], v[1:2], 1.0
	v_mul_f64 v[7:8], v[7:8], -v[5:6]
.LBB127_629:
	s_or_b64 exec, exec, s[6:7]
	ds_write2_b64 v11, v[5:6], v[7:8] offset1:1
.LBB127_630:
	s_or_b64 exec, exec, s[8:9]
	s_waitcnt lgkmcnt(0)
	s_barrier
	ds_read2_b64 v[101:104], v11 offset1:1
	v_cmp_lt_u32_e32 vcc, 56, v0
	s_and_saveexec_b64 s[6:7], vcc
	s_cbranch_execz .LBB127_632
; %bb.631:
	buffer_load_dword v3, off, s[0:3], 0 offset:896
	buffer_load_dword v4, off, s[0:3], 0 offset:900
	;; [unrolled: 1-line block ×16, first 2 shown]
	s_waitcnt vmcnt(12) lgkmcnt(0)
	v_mul_f64 v[1:2], v[103:104], v[5:6]
	v_mul_f64 v[5:6], v[101:102], v[5:6]
	v_fma_f64 v[1:2], v[101:102], v[3:4], -v[1:2]
	v_fma_f64 v[3:4], v[103:104], v[3:4], v[5:6]
	buffer_store_dword v1, off, s[0:3], 0 offset:896
	buffer_store_dword v2, off, s[0:3], 0 offset:900
	buffer_store_dword v3, off, s[0:3], 0 offset:904
	buffer_store_dword v4, off, s[0:3], 0 offset:908
	ds_read2_b64 v[5:8], v12 offset0:114 offset1:115
	s_waitcnt lgkmcnt(0)
	v_mul_f64 v[113:114], v[7:8], v[3:4]
	v_fma_f64 v[113:114], v[5:6], v[1:2], -v[113:114]
	v_mul_f64 v[5:6], v[5:6], v[3:4]
	v_fma_f64 v[5:6], v[7:8], v[1:2], v[5:6]
	s_waitcnt vmcnt(14)
	v_add_f64 v[7:8], v[9:10], -v[113:114]
	s_waitcnt vmcnt(12)
	v_add_f64 v[5:6], v[18:19], -v[5:6]
	buffer_store_dword v7, off, s[0:3], 0 offset:912
	buffer_store_dword v8, off, s[0:3], 0 offset:916
	buffer_store_dword v5, off, s[0:3], 0 offset:920
	buffer_store_dword v6, off, s[0:3], 0 offset:924
	ds_read2_b64 v[5:8], v12 offset0:116 offset1:117
	s_waitcnt lgkmcnt(0)
	v_mul_f64 v[9:10], v[7:8], v[3:4]
	v_fma_f64 v[9:10], v[5:6], v[1:2], -v[9:10]
	v_mul_f64 v[5:6], v[5:6], v[3:4]
	v_fma_f64 v[5:6], v[7:8], v[1:2], v[5:6]
	s_waitcnt vmcnt(14)
	v_add_f64 v[7:8], v[105:106], -v[9:10]
	s_waitcnt vmcnt(12)
	v_add_f64 v[5:6], v[107:108], -v[5:6]
	;; [unrolled: 14-line block ×3, first 2 shown]
	buffer_store_dword v8, off, s[0:3], 0 offset:948
	buffer_store_dword v7, off, s[0:3], 0 offset:944
	;; [unrolled: 1-line block ×4, first 2 shown]
	ds_read2_b64 v[5:8], v12 offset0:120 offset1:121
	s_waitcnt lgkmcnt(0)
	v_mul_f64 v[9:10], v[7:8], v[3:4]
	v_fma_f64 v[9:10], v[5:6], v[1:2], -v[9:10]
	v_mul_f64 v[5:6], v[5:6], v[3:4]
	v_fma_f64 v[5:6], v[7:8], v[1:2], v[5:6]
	buffer_load_dword v7, off, s[0:3], 0 offset:960
	buffer_load_dword v8, off, s[0:3], 0 offset:964
	;; [unrolled: 1-line block ×4, first 2 shown]
	s_waitcnt vmcnt(2)
	v_add_f64 v[7:8], v[7:8], -v[9:10]
	s_waitcnt vmcnt(0)
	v_add_f64 v[5:6], v[18:19], -v[5:6]
	buffer_store_dword v8, off, s[0:3], 0 offset:964
	buffer_store_dword v7, off, s[0:3], 0 offset:960
	;; [unrolled: 1-line block ×4, first 2 shown]
	ds_read2_b64 v[5:8], v12 offset0:122 offset1:123
	s_waitcnt lgkmcnt(0)
	v_mul_f64 v[9:10], v[7:8], v[3:4]
	v_fma_f64 v[9:10], v[5:6], v[1:2], -v[9:10]
	v_mul_f64 v[5:6], v[5:6], v[3:4]
	v_fma_f64 v[5:6], v[7:8], v[1:2], v[5:6]
	buffer_load_dword v7, off, s[0:3], 0 offset:976
	buffer_load_dword v8, off, s[0:3], 0 offset:980
	;; [unrolled: 1-line block ×4, first 2 shown]
	s_waitcnt vmcnt(2)
	v_add_f64 v[7:8], v[7:8], -v[9:10]
	s_waitcnt vmcnt(0)
	v_add_f64 v[5:6], v[18:19], -v[5:6]
	buffer_store_dword v8, off, s[0:3], 0 offset:980
	buffer_store_dword v7, off, s[0:3], 0 offset:976
	;; [unrolled: 1-line block ×4, first 2 shown]
	ds_read2_b64 v[5:8], v12 offset0:124 offset1:125
	s_waitcnt lgkmcnt(0)
	v_mul_f64 v[9:10], v[7:8], v[3:4]
	v_mul_f64 v[3:4], v[5:6], v[3:4]
	v_fma_f64 v[9:10], v[5:6], v[1:2], -v[9:10]
	v_fma_f64 v[1:2], v[7:8], v[1:2], v[3:4]
	buffer_load_dword v3, off, s[0:3], 0 offset:992
	buffer_load_dword v4, off, s[0:3], 0 offset:996
	;; [unrolled: 1-line block ×4, first 2 shown]
	s_waitcnt vmcnt(2)
	v_add_f64 v[3:4], v[3:4], -v[9:10]
	s_waitcnt vmcnt(0)
	v_add_f64 v[1:2], v[5:6], -v[1:2]
	buffer_store_dword v4, off, s[0:3], 0 offset:996
	buffer_store_dword v3, off, s[0:3], 0 offset:992
	;; [unrolled: 1-line block ×4, first 2 shown]
	ds_read2_b64 v[1:4], v12 offset0:126 offset1:127
	buffer_load_dword v5, off, s[0:3], 0 offset:896
	buffer_load_dword v6, off, s[0:3], 0 offset:900
	;; [unrolled: 1-line block ×4, first 2 shown]
	s_waitcnt vmcnt(0) lgkmcnt(0)
	v_mul_f64 v[9:10], v[3:4], v[7:8]
	v_fma_f64 v[9:10], v[1:2], v[5:6], -v[9:10]
	v_mul_f64 v[1:2], v[1:2], v[7:8]
	v_fma_f64 v[1:2], v[3:4], v[5:6], v[1:2]
	buffer_load_dword v4, off, s[0:3], 0 offset:1012
	buffer_load_dword v3, off, s[0:3], 0 offset:1008
	;; [unrolled: 1-line block ×4, first 2 shown]
	s_waitcnt vmcnt(2)
	v_add_f64 v[3:4], v[3:4], -v[9:10]
	s_waitcnt vmcnt(0)
	v_add_f64 v[1:2], v[5:6], -v[1:2]
	buffer_store_dword v4, off, s[0:3], 0 offset:1012
	buffer_store_dword v3, off, s[0:3], 0 offset:1008
	;; [unrolled: 1-line block ×4, first 2 shown]
.LBB127_632:
	s_or_b64 exec, exec, s[6:7]
	v_cmp_eq_u32_e32 vcc, 57, v0
	s_waitcnt vmcnt(0) lgkmcnt(0)
	s_barrier
	s_and_saveexec_b64 s[8:9], vcc
	s_cbranch_execz .LBB127_639
; %bb.633:
	v_mov_b32_e32 v4, s20
	buffer_load_dword v1, v4, s[0:3], 0 offen
	buffer_load_dword v2, v4, s[0:3], 0 offen offset:4
	buffer_load_dword v3, v4, s[0:3], 0 offen offset:8
	s_nop 0
	buffer_load_dword v4, v4, s[0:3], 0 offen offset:12
	s_waitcnt vmcnt(0)
	ds_write2_b64 v11, v[1:2], v[3:4] offset1:1
	v_mov_b32_e32 v4, s19
	buffer_load_dword v1, v4, s[0:3], 0 offen
	buffer_load_dword v2, v4, s[0:3], 0 offen offset:4
	buffer_load_dword v3, v4, s[0:3], 0 offen offset:8
	s_nop 0
	buffer_load_dword v4, v4, s[0:3], 0 offen offset:12
	s_waitcnt vmcnt(0)
	ds_write2_b64 v12, v[1:2], v[3:4] offset0:116 offset1:117
	v_mov_b32_e32 v4, s18
	buffer_load_dword v1, v4, s[0:3], 0 offen
	buffer_load_dword v2, v4, s[0:3], 0 offen offset:4
	buffer_load_dword v3, v4, s[0:3], 0 offen offset:8
	s_nop 0
	buffer_load_dword v4, v4, s[0:3], 0 offen offset:12
	s_waitcnt vmcnt(0)
	ds_write2_b64 v12, v[1:2], v[3:4] offset0:118 offset1:119
	;; [unrolled: 8-line block ×6, first 2 shown]
	ds_read2_b64 v[1:4], v11 offset1:1
	s_waitcnt lgkmcnt(0)
	v_cmp_neq_f64_e32 vcc, 0, v[1:2]
	v_cmp_neq_f64_e64 s[6:7], 0, v[3:4]
	s_or_b64 s[6:7], vcc, s[6:7]
	s_and_b64 exec, exec, s[6:7]
	s_cbranch_execz .LBB127_639
; %bb.634:
	v_cmp_ngt_f64_e64 s[6:7], |v[1:2]|, |v[3:4]|
                                        ; implicit-def: $vgpr5_vgpr6
	s_and_saveexec_b64 s[10:11], s[6:7]
	s_xor_b64 s[6:7], exec, s[10:11]
                                        ; implicit-def: $vgpr7_vgpr8
	s_cbranch_execz .LBB127_636
; %bb.635:
	v_div_scale_f64 v[5:6], s[10:11], v[3:4], v[3:4], v[1:2]
	v_rcp_f64_e32 v[7:8], v[5:6]
	v_fma_f64 v[9:10], -v[5:6], v[7:8], 1.0
	v_fma_f64 v[7:8], v[7:8], v[9:10], v[7:8]
	v_div_scale_f64 v[9:10], vcc, v[1:2], v[3:4], v[1:2]
	v_fma_f64 v[18:19], -v[5:6], v[7:8], 1.0
	v_fma_f64 v[7:8], v[7:8], v[18:19], v[7:8]
	v_mul_f64 v[18:19], v[9:10], v[7:8]
	v_fma_f64 v[5:6], -v[5:6], v[18:19], v[9:10]
	v_div_fmas_f64 v[5:6], v[5:6], v[7:8], v[18:19]
	v_div_fixup_f64 v[5:6], v[5:6], v[3:4], v[1:2]
	v_fma_f64 v[1:2], v[1:2], v[5:6], v[3:4]
	v_div_scale_f64 v[3:4], s[10:11], v[1:2], v[1:2], 1.0
	v_div_scale_f64 v[18:19], vcc, 1.0, v[1:2], 1.0
	v_rcp_f64_e32 v[7:8], v[3:4]
	v_fma_f64 v[9:10], -v[3:4], v[7:8], 1.0
	v_fma_f64 v[7:8], v[7:8], v[9:10], v[7:8]
	v_fma_f64 v[9:10], -v[3:4], v[7:8], 1.0
	v_fma_f64 v[7:8], v[7:8], v[9:10], v[7:8]
	v_mul_f64 v[9:10], v[18:19], v[7:8]
	v_fma_f64 v[3:4], -v[3:4], v[9:10], v[18:19]
	v_div_fmas_f64 v[3:4], v[3:4], v[7:8], v[9:10]
	v_div_fixup_f64 v[7:8], v[3:4], v[1:2], 1.0
                                        ; implicit-def: $vgpr1_vgpr2
	v_mul_f64 v[5:6], v[5:6], v[7:8]
	v_xor_b32_e32 v8, 0x80000000, v8
.LBB127_636:
	s_andn2_saveexec_b64 s[6:7], s[6:7]
	s_cbranch_execz .LBB127_638
; %bb.637:
	v_div_scale_f64 v[5:6], s[10:11], v[1:2], v[1:2], v[3:4]
	v_rcp_f64_e32 v[7:8], v[5:6]
	v_fma_f64 v[9:10], -v[5:6], v[7:8], 1.0
	v_fma_f64 v[7:8], v[7:8], v[9:10], v[7:8]
	v_div_scale_f64 v[9:10], vcc, v[3:4], v[1:2], v[3:4]
	v_fma_f64 v[18:19], -v[5:6], v[7:8], 1.0
	v_fma_f64 v[7:8], v[7:8], v[18:19], v[7:8]
	v_mul_f64 v[18:19], v[9:10], v[7:8]
	v_fma_f64 v[5:6], -v[5:6], v[18:19], v[9:10]
	v_div_fmas_f64 v[5:6], v[5:6], v[7:8], v[18:19]
	v_div_fixup_f64 v[7:8], v[5:6], v[1:2], v[3:4]
	v_fma_f64 v[1:2], v[3:4], v[7:8], v[1:2]
	v_div_scale_f64 v[3:4], s[10:11], v[1:2], v[1:2], 1.0
	v_div_scale_f64 v[18:19], vcc, 1.0, v[1:2], 1.0
	v_rcp_f64_e32 v[5:6], v[3:4]
	v_fma_f64 v[9:10], -v[3:4], v[5:6], 1.0
	v_fma_f64 v[5:6], v[5:6], v[9:10], v[5:6]
	v_fma_f64 v[9:10], -v[3:4], v[5:6], 1.0
	v_fma_f64 v[5:6], v[5:6], v[9:10], v[5:6]
	v_mul_f64 v[9:10], v[18:19], v[5:6]
	v_fma_f64 v[3:4], -v[3:4], v[9:10], v[18:19]
	v_div_fmas_f64 v[3:4], v[3:4], v[5:6], v[9:10]
	v_div_fixup_f64 v[5:6], v[3:4], v[1:2], 1.0
	v_mul_f64 v[7:8], v[7:8], -v[5:6]
.LBB127_638:
	s_or_b64 exec, exec, s[6:7]
	ds_write2_b64 v11, v[5:6], v[7:8] offset1:1
.LBB127_639:
	s_or_b64 exec, exec, s[8:9]
	s_waitcnt lgkmcnt(0)
	s_barrier
	ds_read2_b64 v[105:108], v11 offset1:1
	v_cmp_lt_u32_e32 vcc, 57, v0
	s_and_saveexec_b64 s[6:7], vcc
	s_cbranch_execz .LBB127_641
; %bb.640:
	buffer_load_dword v3, off, s[0:3], 0 offset:912
	buffer_load_dword v4, off, s[0:3], 0 offset:916
	;; [unrolled: 1-line block ×16, first 2 shown]
	s_waitcnt vmcnt(12) lgkmcnt(0)
	v_mul_f64 v[1:2], v[107:108], v[5:6]
	v_mul_f64 v[5:6], v[105:106], v[5:6]
	v_fma_f64 v[1:2], v[105:106], v[3:4], -v[1:2]
	v_fma_f64 v[3:4], v[107:108], v[3:4], v[5:6]
	buffer_store_dword v1, off, s[0:3], 0 offset:912
	buffer_store_dword v2, off, s[0:3], 0 offset:916
	buffer_store_dword v3, off, s[0:3], 0 offset:920
	buffer_store_dword v4, off, s[0:3], 0 offset:924
	ds_read2_b64 v[5:8], v12 offset0:116 offset1:117
	s_waitcnt lgkmcnt(0)
	v_mul_f64 v[117:118], v[7:8], v[3:4]
	v_fma_f64 v[117:118], v[5:6], v[1:2], -v[117:118]
	v_mul_f64 v[5:6], v[5:6], v[3:4]
	v_fma_f64 v[5:6], v[7:8], v[1:2], v[5:6]
	s_waitcnt vmcnt(14)
	v_add_f64 v[7:8], v[9:10], -v[117:118]
	s_waitcnt vmcnt(12)
	v_add_f64 v[5:6], v[18:19], -v[5:6]
	buffer_store_dword v7, off, s[0:3], 0 offset:928
	buffer_store_dword v8, off, s[0:3], 0 offset:932
	buffer_store_dword v5, off, s[0:3], 0 offset:936
	buffer_store_dword v6, off, s[0:3], 0 offset:940
	ds_read2_b64 v[5:8], v12 offset0:118 offset1:119
	s_waitcnt lgkmcnt(0)
	v_mul_f64 v[9:10], v[7:8], v[3:4]
	v_fma_f64 v[9:10], v[5:6], v[1:2], -v[9:10]
	v_mul_f64 v[5:6], v[5:6], v[3:4]
	v_fma_f64 v[5:6], v[7:8], v[1:2], v[5:6]
	s_waitcnt vmcnt(14)
	v_add_f64 v[7:8], v[109:110], -v[9:10]
	s_waitcnt vmcnt(12)
	v_add_f64 v[5:6], v[111:112], -v[5:6]
	;; [unrolled: 14-line block ×3, first 2 shown]
	buffer_store_dword v8, off, s[0:3], 0 offset:964
	buffer_store_dword v7, off, s[0:3], 0 offset:960
	;; [unrolled: 1-line block ×4, first 2 shown]
	ds_read2_b64 v[5:8], v12 offset0:122 offset1:123
	s_waitcnt lgkmcnt(0)
	v_mul_f64 v[9:10], v[7:8], v[3:4]
	v_fma_f64 v[9:10], v[5:6], v[1:2], -v[9:10]
	v_mul_f64 v[5:6], v[5:6], v[3:4]
	v_fma_f64 v[5:6], v[7:8], v[1:2], v[5:6]
	buffer_load_dword v7, off, s[0:3], 0 offset:976
	buffer_load_dword v8, off, s[0:3], 0 offset:980
	;; [unrolled: 1-line block ×4, first 2 shown]
	s_waitcnt vmcnt(2)
	v_add_f64 v[7:8], v[7:8], -v[9:10]
	s_waitcnt vmcnt(0)
	v_add_f64 v[5:6], v[18:19], -v[5:6]
	buffer_store_dword v8, off, s[0:3], 0 offset:980
	buffer_store_dword v7, off, s[0:3], 0 offset:976
	;; [unrolled: 1-line block ×4, first 2 shown]
	ds_read2_b64 v[5:8], v12 offset0:124 offset1:125
	s_waitcnt lgkmcnt(0)
	v_mul_f64 v[9:10], v[7:8], v[3:4]
	v_fma_f64 v[9:10], v[5:6], v[1:2], -v[9:10]
	v_mul_f64 v[5:6], v[5:6], v[3:4]
	v_fma_f64 v[5:6], v[7:8], v[1:2], v[5:6]
	buffer_load_dword v7, off, s[0:3], 0 offset:992
	buffer_load_dword v8, off, s[0:3], 0 offset:996
	;; [unrolled: 1-line block ×4, first 2 shown]
	s_waitcnt vmcnt(2)
	v_add_f64 v[7:8], v[7:8], -v[9:10]
	s_waitcnt vmcnt(0)
	v_add_f64 v[5:6], v[18:19], -v[5:6]
	buffer_store_dword v8, off, s[0:3], 0 offset:996
	buffer_store_dword v7, off, s[0:3], 0 offset:992
	;; [unrolled: 1-line block ×4, first 2 shown]
	ds_read2_b64 v[5:8], v12 offset0:126 offset1:127
	s_waitcnt lgkmcnt(0)
	v_mul_f64 v[9:10], v[7:8], v[3:4]
	v_mul_f64 v[3:4], v[5:6], v[3:4]
	v_fma_f64 v[9:10], v[5:6], v[1:2], -v[9:10]
	v_fma_f64 v[1:2], v[7:8], v[1:2], v[3:4]
	buffer_load_dword v3, off, s[0:3], 0 offset:1008
	buffer_load_dword v4, off, s[0:3], 0 offset:1012
	;; [unrolled: 1-line block ×4, first 2 shown]
	s_waitcnt vmcnt(2)
	v_add_f64 v[3:4], v[3:4], -v[9:10]
	s_waitcnt vmcnt(0)
	v_add_f64 v[1:2], v[5:6], -v[1:2]
	buffer_store_dword v4, off, s[0:3], 0 offset:1012
	buffer_store_dword v3, off, s[0:3], 0 offset:1008
	;; [unrolled: 1-line block ×4, first 2 shown]
.LBB127_641:
	s_or_b64 exec, exec, s[6:7]
	v_cmp_eq_u32_e32 vcc, 58, v0
	s_waitcnt vmcnt(0) lgkmcnt(0)
	s_barrier
	s_and_saveexec_b64 s[8:9], vcc
	s_cbranch_execz .LBB127_648
; %bb.642:
	v_mov_b32_e32 v4, s19
	buffer_load_dword v1, v4, s[0:3], 0 offen
	buffer_load_dword v2, v4, s[0:3], 0 offen offset:4
	buffer_load_dword v3, v4, s[0:3], 0 offen offset:8
	s_nop 0
	buffer_load_dword v4, v4, s[0:3], 0 offen offset:12
	s_waitcnt vmcnt(0)
	ds_write2_b64 v11, v[1:2], v[3:4] offset1:1
	v_mov_b32_e32 v4, s18
	buffer_load_dword v1, v4, s[0:3], 0 offen
	buffer_load_dword v2, v4, s[0:3], 0 offen offset:4
	buffer_load_dword v3, v4, s[0:3], 0 offen offset:8
	s_nop 0
	buffer_load_dword v4, v4, s[0:3], 0 offen offset:12
	s_waitcnt vmcnt(0)
	ds_write2_b64 v12, v[1:2], v[3:4] offset0:118 offset1:119
	v_mov_b32_e32 v4, s17
	buffer_load_dword v1, v4, s[0:3], 0 offen
	buffer_load_dword v2, v4, s[0:3], 0 offen offset:4
	buffer_load_dword v3, v4, s[0:3], 0 offen offset:8
	s_nop 0
	buffer_load_dword v4, v4, s[0:3], 0 offen offset:12
	s_waitcnt vmcnt(0)
	ds_write2_b64 v12, v[1:2], v[3:4] offset0:120 offset1:121
	;; [unrolled: 8-line block ×5, first 2 shown]
	ds_read2_b64 v[1:4], v11 offset1:1
	s_waitcnt lgkmcnt(0)
	v_cmp_neq_f64_e32 vcc, 0, v[1:2]
	v_cmp_neq_f64_e64 s[6:7], 0, v[3:4]
	s_or_b64 s[6:7], vcc, s[6:7]
	s_and_b64 exec, exec, s[6:7]
	s_cbranch_execz .LBB127_648
; %bb.643:
	v_cmp_ngt_f64_e64 s[6:7], |v[1:2]|, |v[3:4]|
                                        ; implicit-def: $vgpr5_vgpr6
	s_and_saveexec_b64 s[10:11], s[6:7]
	s_xor_b64 s[6:7], exec, s[10:11]
                                        ; implicit-def: $vgpr7_vgpr8
	s_cbranch_execz .LBB127_645
; %bb.644:
	v_div_scale_f64 v[5:6], s[10:11], v[3:4], v[3:4], v[1:2]
	v_rcp_f64_e32 v[7:8], v[5:6]
	v_fma_f64 v[9:10], -v[5:6], v[7:8], 1.0
	v_fma_f64 v[7:8], v[7:8], v[9:10], v[7:8]
	v_div_scale_f64 v[9:10], vcc, v[1:2], v[3:4], v[1:2]
	v_fma_f64 v[18:19], -v[5:6], v[7:8], 1.0
	v_fma_f64 v[7:8], v[7:8], v[18:19], v[7:8]
	v_mul_f64 v[18:19], v[9:10], v[7:8]
	v_fma_f64 v[5:6], -v[5:6], v[18:19], v[9:10]
	v_div_fmas_f64 v[5:6], v[5:6], v[7:8], v[18:19]
	v_div_fixup_f64 v[5:6], v[5:6], v[3:4], v[1:2]
	v_fma_f64 v[1:2], v[1:2], v[5:6], v[3:4]
	v_div_scale_f64 v[3:4], s[10:11], v[1:2], v[1:2], 1.0
	v_div_scale_f64 v[18:19], vcc, 1.0, v[1:2], 1.0
	v_rcp_f64_e32 v[7:8], v[3:4]
	v_fma_f64 v[9:10], -v[3:4], v[7:8], 1.0
	v_fma_f64 v[7:8], v[7:8], v[9:10], v[7:8]
	v_fma_f64 v[9:10], -v[3:4], v[7:8], 1.0
	v_fma_f64 v[7:8], v[7:8], v[9:10], v[7:8]
	v_mul_f64 v[9:10], v[18:19], v[7:8]
	v_fma_f64 v[3:4], -v[3:4], v[9:10], v[18:19]
	v_div_fmas_f64 v[3:4], v[3:4], v[7:8], v[9:10]
	v_div_fixup_f64 v[7:8], v[3:4], v[1:2], 1.0
                                        ; implicit-def: $vgpr1_vgpr2
	v_mul_f64 v[5:6], v[5:6], v[7:8]
	v_xor_b32_e32 v8, 0x80000000, v8
.LBB127_645:
	s_andn2_saveexec_b64 s[6:7], s[6:7]
	s_cbranch_execz .LBB127_647
; %bb.646:
	v_div_scale_f64 v[5:6], s[10:11], v[1:2], v[1:2], v[3:4]
	v_rcp_f64_e32 v[7:8], v[5:6]
	v_fma_f64 v[9:10], -v[5:6], v[7:8], 1.0
	v_fma_f64 v[7:8], v[7:8], v[9:10], v[7:8]
	v_div_scale_f64 v[9:10], vcc, v[3:4], v[1:2], v[3:4]
	v_fma_f64 v[18:19], -v[5:6], v[7:8], 1.0
	v_fma_f64 v[7:8], v[7:8], v[18:19], v[7:8]
	v_mul_f64 v[18:19], v[9:10], v[7:8]
	v_fma_f64 v[5:6], -v[5:6], v[18:19], v[9:10]
	v_div_fmas_f64 v[5:6], v[5:6], v[7:8], v[18:19]
	v_div_fixup_f64 v[7:8], v[5:6], v[1:2], v[3:4]
	v_fma_f64 v[1:2], v[3:4], v[7:8], v[1:2]
	v_div_scale_f64 v[3:4], s[10:11], v[1:2], v[1:2], 1.0
	v_div_scale_f64 v[18:19], vcc, 1.0, v[1:2], 1.0
	v_rcp_f64_e32 v[5:6], v[3:4]
	v_fma_f64 v[9:10], -v[3:4], v[5:6], 1.0
	v_fma_f64 v[5:6], v[5:6], v[9:10], v[5:6]
	v_fma_f64 v[9:10], -v[3:4], v[5:6], 1.0
	v_fma_f64 v[5:6], v[5:6], v[9:10], v[5:6]
	v_mul_f64 v[9:10], v[18:19], v[5:6]
	v_fma_f64 v[3:4], -v[3:4], v[9:10], v[18:19]
	v_div_fmas_f64 v[3:4], v[3:4], v[5:6], v[9:10]
	v_div_fixup_f64 v[5:6], v[3:4], v[1:2], 1.0
	v_mul_f64 v[7:8], v[7:8], -v[5:6]
.LBB127_647:
	s_or_b64 exec, exec, s[6:7]
	ds_write2_b64 v11, v[5:6], v[7:8] offset1:1
.LBB127_648:
	s_or_b64 exec, exec, s[8:9]
	s_waitcnt lgkmcnt(0)
	s_barrier
	ds_read2_b64 v[109:112], v11 offset1:1
	v_cmp_lt_u32_e32 vcc, 58, v0
	s_and_saveexec_b64 s[6:7], vcc
	s_cbranch_execz .LBB127_650
; %bb.649:
	buffer_load_dword v1, off, s[0:3], 0 offset:928
	buffer_load_dword v2, off, s[0:3], 0 offset:932
	;; [unrolled: 1-line block ×16, first 2 shown]
	s_waitcnt vmcnt(12) lgkmcnt(0)
	v_mul_f64 v[117:118], v[111:112], v[3:4]
	v_mul_f64 v[3:4], v[109:110], v[3:4]
	v_fma_f64 v[117:118], v[109:110], v[1:2], -v[117:118]
	v_fma_f64 v[119:120], v[111:112], v[1:2], v[3:4]
	buffer_store_dword v117, off, s[0:3], 0 offset:928
	buffer_store_dword v118, off, s[0:3], 0 offset:932
	buffer_store_dword v119, off, s[0:3], 0 offset:936
	buffer_store_dword v120, off, s[0:3], 0 offset:940
	ds_read2_b64 v[1:4], v12 offset0:118 offset1:119
	s_waitcnt lgkmcnt(0)
	v_mul_f64 v[121:122], v[3:4], v[119:120]
	v_fma_f64 v[121:122], v[1:2], v[117:118], -v[121:122]
	v_mul_f64 v[1:2], v[1:2], v[119:120]
	v_fma_f64 v[1:2], v[3:4], v[117:118], v[1:2]
	s_waitcnt vmcnt(14)
	v_add_f64 v[3:4], v[5:6], -v[121:122]
	s_waitcnt vmcnt(12)
	v_add_f64 v[1:2], v[7:8], -v[1:2]
	buffer_store_dword v3, off, s[0:3], 0 offset:944
	buffer_store_dword v4, off, s[0:3], 0 offset:948
	buffer_store_dword v1, off, s[0:3], 0 offset:952
	buffer_store_dword v2, off, s[0:3], 0 offset:956
	ds_read2_b64 v[1:4], v12 offset0:120 offset1:121
	s_waitcnt lgkmcnt(0)
	v_mul_f64 v[5:6], v[3:4], v[119:120]
	v_fma_f64 v[5:6], v[1:2], v[117:118], -v[5:6]
	v_mul_f64 v[1:2], v[1:2], v[119:120]
	v_fma_f64 v[1:2], v[3:4], v[117:118], v[1:2]
	s_waitcnt vmcnt(14)
	v_add_f64 v[3:4], v[9:10], -v[5:6]
	s_waitcnt vmcnt(12)
	v_add_f64 v[1:2], v[18:19], -v[1:2]
	;; [unrolled: 14-line block ×3, first 2 shown]
	buffer_store_dword v4, off, s[0:3], 0 offset:980
	buffer_store_dword v3, off, s[0:3], 0 offset:976
	;; [unrolled: 1-line block ×4, first 2 shown]
	ds_read2_b64 v[1:4], v12 offset0:124 offset1:125
	s_waitcnt lgkmcnt(0)
	v_mul_f64 v[5:6], v[3:4], v[119:120]
	v_fma_f64 v[5:6], v[1:2], v[117:118], -v[5:6]
	v_mul_f64 v[1:2], v[1:2], v[119:120]
	v_fma_f64 v[1:2], v[3:4], v[117:118], v[1:2]
	buffer_load_dword v3, off, s[0:3], 0 offset:992
	buffer_load_dword v4, off, s[0:3], 0 offset:996
	;; [unrolled: 1-line block ×4, first 2 shown]
	s_waitcnt vmcnt(2)
	v_add_f64 v[3:4], v[3:4], -v[5:6]
	s_waitcnt vmcnt(0)
	v_add_f64 v[1:2], v[7:8], -v[1:2]
	buffer_store_dword v4, off, s[0:3], 0 offset:996
	buffer_store_dword v3, off, s[0:3], 0 offset:992
	buffer_store_dword v2, off, s[0:3], 0 offset:1004
	buffer_store_dword v1, off, s[0:3], 0 offset:1000
	ds_read2_b64 v[1:4], v12 offset0:126 offset1:127
	s_waitcnt lgkmcnt(0)
	v_mul_f64 v[5:6], v[3:4], v[119:120]
	v_fma_f64 v[5:6], v[1:2], v[117:118], -v[5:6]
	v_mul_f64 v[1:2], v[1:2], v[119:120]
	v_fma_f64 v[1:2], v[3:4], v[117:118], v[1:2]
	buffer_load_dword v3, off, s[0:3], 0 offset:1008
	buffer_load_dword v4, off, s[0:3], 0 offset:1012
	buffer_load_dword v7, off, s[0:3], 0 offset:1016
	buffer_load_dword v8, off, s[0:3], 0 offset:1020
	s_waitcnt vmcnt(2)
	v_add_f64 v[3:4], v[3:4], -v[5:6]
	s_waitcnt vmcnt(0)
	v_add_f64 v[1:2], v[7:8], -v[1:2]
	buffer_store_dword v4, off, s[0:3], 0 offset:1012
	buffer_store_dword v3, off, s[0:3], 0 offset:1008
	buffer_store_dword v2, off, s[0:3], 0 offset:1020
	buffer_store_dword v1, off, s[0:3], 0 offset:1016
.LBB127_650:
	s_or_b64 exec, exec, s[6:7]
	v_cmp_eq_u32_e32 vcc, 59, v0
	s_waitcnt vmcnt(0) lgkmcnt(0)
	s_barrier
	s_and_saveexec_b64 s[8:9], vcc
	s_cbranch_execz .LBB127_657
; %bb.651:
	v_mov_b32_e32 v4, s18
	buffer_load_dword v1, v4, s[0:3], 0 offen
	buffer_load_dword v2, v4, s[0:3], 0 offen offset:4
	buffer_load_dword v3, v4, s[0:3], 0 offen offset:8
	s_nop 0
	buffer_load_dword v4, v4, s[0:3], 0 offen offset:12
	s_waitcnt vmcnt(0)
	ds_write2_b64 v11, v[1:2], v[3:4] offset1:1
	v_mov_b32_e32 v4, s17
	buffer_load_dword v1, v4, s[0:3], 0 offen
	buffer_load_dword v2, v4, s[0:3], 0 offen offset:4
	buffer_load_dword v3, v4, s[0:3], 0 offen offset:8
	s_nop 0
	buffer_load_dword v4, v4, s[0:3], 0 offen offset:12
	s_waitcnt vmcnt(0)
	ds_write2_b64 v12, v[1:2], v[3:4] offset0:120 offset1:121
	v_mov_b32_e32 v4, s14
	buffer_load_dword v1, v4, s[0:3], 0 offen
	buffer_load_dword v2, v4, s[0:3], 0 offen offset:4
	buffer_load_dword v3, v4, s[0:3], 0 offen offset:8
	s_nop 0
	buffer_load_dword v4, v4, s[0:3], 0 offen offset:12
	s_waitcnt vmcnt(0)
	ds_write2_b64 v12, v[1:2], v[3:4] offset0:122 offset1:123
	v_mov_b32_e32 v4, s16
	buffer_load_dword v1, v4, s[0:3], 0 offen
	buffer_load_dword v2, v4, s[0:3], 0 offen offset:4
	buffer_load_dword v3, v4, s[0:3], 0 offen offset:8
	s_nop 0
	buffer_load_dword v4, v4, s[0:3], 0 offen offset:12
	s_waitcnt vmcnt(0)
	ds_write2_b64 v12, v[1:2], v[3:4] offset0:124 offset1:125
	v_mov_b32_e32 v4, s33
	buffer_load_dword v1, v4, s[0:3], 0 offen
	buffer_load_dword v2, v4, s[0:3], 0 offen offset:4
	buffer_load_dword v3, v4, s[0:3], 0 offen offset:8
	s_nop 0
	buffer_load_dword v4, v4, s[0:3], 0 offen offset:12
	s_waitcnt vmcnt(0)
	ds_write2_b64 v12, v[1:2], v[3:4] offset0:126 offset1:127
	ds_read2_b64 v[1:4], v11 offset1:1
	s_waitcnt lgkmcnt(0)
	v_cmp_neq_f64_e32 vcc, 0, v[1:2]
	v_cmp_neq_f64_e64 s[6:7], 0, v[3:4]
	s_or_b64 s[6:7], vcc, s[6:7]
	s_and_b64 exec, exec, s[6:7]
	s_cbranch_execz .LBB127_657
; %bb.652:
	v_cmp_ngt_f64_e64 s[6:7], |v[1:2]|, |v[3:4]|
                                        ; implicit-def: $vgpr5_vgpr6
	s_and_saveexec_b64 s[10:11], s[6:7]
	s_xor_b64 s[6:7], exec, s[10:11]
                                        ; implicit-def: $vgpr7_vgpr8
	s_cbranch_execz .LBB127_654
; %bb.653:
	v_div_scale_f64 v[5:6], s[10:11], v[3:4], v[3:4], v[1:2]
	v_rcp_f64_e32 v[7:8], v[5:6]
	v_fma_f64 v[9:10], -v[5:6], v[7:8], 1.0
	v_fma_f64 v[7:8], v[7:8], v[9:10], v[7:8]
	v_div_scale_f64 v[9:10], vcc, v[1:2], v[3:4], v[1:2]
	v_fma_f64 v[18:19], -v[5:6], v[7:8], 1.0
	v_fma_f64 v[7:8], v[7:8], v[18:19], v[7:8]
	v_mul_f64 v[18:19], v[9:10], v[7:8]
	v_fma_f64 v[5:6], -v[5:6], v[18:19], v[9:10]
	v_div_fmas_f64 v[5:6], v[5:6], v[7:8], v[18:19]
	v_div_fixup_f64 v[5:6], v[5:6], v[3:4], v[1:2]
	v_fma_f64 v[1:2], v[1:2], v[5:6], v[3:4]
	v_div_scale_f64 v[3:4], s[10:11], v[1:2], v[1:2], 1.0
	v_div_scale_f64 v[18:19], vcc, 1.0, v[1:2], 1.0
	v_rcp_f64_e32 v[7:8], v[3:4]
	v_fma_f64 v[9:10], -v[3:4], v[7:8], 1.0
	v_fma_f64 v[7:8], v[7:8], v[9:10], v[7:8]
	v_fma_f64 v[9:10], -v[3:4], v[7:8], 1.0
	v_fma_f64 v[7:8], v[7:8], v[9:10], v[7:8]
	v_mul_f64 v[9:10], v[18:19], v[7:8]
	v_fma_f64 v[3:4], -v[3:4], v[9:10], v[18:19]
	v_div_fmas_f64 v[3:4], v[3:4], v[7:8], v[9:10]
	v_div_fixup_f64 v[7:8], v[3:4], v[1:2], 1.0
                                        ; implicit-def: $vgpr1_vgpr2
	v_mul_f64 v[5:6], v[5:6], v[7:8]
	v_xor_b32_e32 v8, 0x80000000, v8
.LBB127_654:
	s_andn2_saveexec_b64 s[6:7], s[6:7]
	s_cbranch_execz .LBB127_656
; %bb.655:
	v_div_scale_f64 v[5:6], s[10:11], v[1:2], v[1:2], v[3:4]
	v_rcp_f64_e32 v[7:8], v[5:6]
	v_fma_f64 v[9:10], -v[5:6], v[7:8], 1.0
	v_fma_f64 v[7:8], v[7:8], v[9:10], v[7:8]
	v_div_scale_f64 v[9:10], vcc, v[3:4], v[1:2], v[3:4]
	v_fma_f64 v[18:19], -v[5:6], v[7:8], 1.0
	v_fma_f64 v[7:8], v[7:8], v[18:19], v[7:8]
	v_mul_f64 v[18:19], v[9:10], v[7:8]
	v_fma_f64 v[5:6], -v[5:6], v[18:19], v[9:10]
	v_div_fmas_f64 v[5:6], v[5:6], v[7:8], v[18:19]
	v_div_fixup_f64 v[7:8], v[5:6], v[1:2], v[3:4]
	v_fma_f64 v[1:2], v[3:4], v[7:8], v[1:2]
	v_div_scale_f64 v[3:4], s[10:11], v[1:2], v[1:2], 1.0
	v_div_scale_f64 v[18:19], vcc, 1.0, v[1:2], 1.0
	v_rcp_f64_e32 v[5:6], v[3:4]
	v_fma_f64 v[9:10], -v[3:4], v[5:6], 1.0
	v_fma_f64 v[5:6], v[5:6], v[9:10], v[5:6]
	v_fma_f64 v[9:10], -v[3:4], v[5:6], 1.0
	v_fma_f64 v[5:6], v[5:6], v[9:10], v[5:6]
	v_mul_f64 v[9:10], v[18:19], v[5:6]
	v_fma_f64 v[3:4], -v[3:4], v[9:10], v[18:19]
	v_div_fmas_f64 v[3:4], v[3:4], v[5:6], v[9:10]
	v_div_fixup_f64 v[5:6], v[3:4], v[1:2], 1.0
	v_mul_f64 v[7:8], v[7:8], -v[5:6]
.LBB127_656:
	s_or_b64 exec, exec, s[6:7]
	ds_write2_b64 v11, v[5:6], v[7:8] offset1:1
.LBB127_657:
	s_or_b64 exec, exec, s[8:9]
	s_waitcnt lgkmcnt(0)
	s_barrier
	ds_read2_b64 v[113:116], v11 offset1:1
	v_cmp_lt_u32_e32 vcc, 59, v0
	s_and_saveexec_b64 s[6:7], vcc
	s_cbranch_execz .LBB127_659
; %bb.658:
	buffer_load_dword v1, off, s[0:3], 0 offset:944
	buffer_load_dword v2, off, s[0:3], 0 offset:948
	buffer_load_dword v3, off, s[0:3], 0 offset:952
	buffer_load_dword v4, off, s[0:3], 0 offset:956
	buffer_load_dword v5, off, s[0:3], 0 offset:960
	buffer_load_dword v6, off, s[0:3], 0 offset:964
	buffer_load_dword v7, off, s[0:3], 0 offset:968
	buffer_load_dword v8, off, s[0:3], 0 offset:972
	buffer_load_dword v9, off, s[0:3], 0 offset:976
	buffer_load_dword v10, off, s[0:3], 0 offset:980
	buffer_load_dword v18, off, s[0:3], 0 offset:984
	buffer_load_dword v19, off, s[0:3], 0 offset:988
	buffer_load_dword v117, off, s[0:3], 0 offset:992
	buffer_load_dword v118, off, s[0:3], 0 offset:996
	buffer_load_dword v119, off, s[0:3], 0 offset:1000
	buffer_load_dword v120, off, s[0:3], 0 offset:1004
	s_waitcnt vmcnt(12) lgkmcnt(0)
	v_mul_f64 v[121:122], v[115:116], v[3:4]
	v_mul_f64 v[3:4], v[113:114], v[3:4]
	v_fma_f64 v[121:122], v[113:114], v[1:2], -v[121:122]
	v_fma_f64 v[123:124], v[115:116], v[1:2], v[3:4]
	buffer_store_dword v121, off, s[0:3], 0 offset:944
	buffer_store_dword v122, off, s[0:3], 0 offset:948
	buffer_store_dword v123, off, s[0:3], 0 offset:952
	buffer_store_dword v124, off, s[0:3], 0 offset:956
	ds_read2_b64 v[1:4], v12 offset0:120 offset1:121
	s_waitcnt lgkmcnt(0)
	v_mul_f64 v[20:21], v[3:4], v[123:124]
	v_fma_f64 v[20:21], v[1:2], v[121:122], -v[20:21]
	v_mul_f64 v[1:2], v[1:2], v[123:124]
	v_fma_f64 v[1:2], v[3:4], v[121:122], v[1:2]
	s_waitcnt vmcnt(14)
	v_add_f64 v[3:4], v[5:6], -v[20:21]
	s_waitcnt vmcnt(12)
	v_add_f64 v[1:2], v[7:8], -v[1:2]
	buffer_store_dword v3, off, s[0:3], 0 offset:960
	buffer_store_dword v4, off, s[0:3], 0 offset:964
	buffer_store_dword v1, off, s[0:3], 0 offset:968
	buffer_store_dword v2, off, s[0:3], 0 offset:972
	ds_read2_b64 v[1:4], v12 offset0:122 offset1:123
	s_waitcnt lgkmcnt(0)
	v_mul_f64 v[5:6], v[3:4], v[123:124]
	v_fma_f64 v[5:6], v[1:2], v[121:122], -v[5:6]
	v_mul_f64 v[1:2], v[1:2], v[123:124]
	v_fma_f64 v[1:2], v[3:4], v[121:122], v[1:2]
	s_waitcnt vmcnt(14)
	v_add_f64 v[3:4], v[9:10], -v[5:6]
	s_waitcnt vmcnt(12)
	v_add_f64 v[1:2], v[18:19], -v[1:2]
	;; [unrolled: 14-line block ×3, first 2 shown]
	buffer_store_dword v4, off, s[0:3], 0 offset:996
	buffer_store_dword v3, off, s[0:3], 0 offset:992
	;; [unrolled: 1-line block ×4, first 2 shown]
	ds_read2_b64 v[5:8], v12 offset0:126 offset1:127
	s_waitcnt lgkmcnt(0)
	v_mul_f64 v[1:2], v[7:8], v[123:124]
	v_fma_f64 v[3:4], v[5:6], v[121:122], -v[1:2]
	v_mul_f64 v[1:2], v[5:6], v[123:124]
	v_fma_f64 v[1:2], v[7:8], v[121:122], v[1:2]
	buffer_load_dword v5, off, s[0:3], 0 offset:1008
	buffer_load_dword v6, off, s[0:3], 0 offset:1012
	;; [unrolled: 1-line block ×4, first 2 shown]
	s_waitcnt vmcnt(2)
	v_add_f64 v[3:4], v[5:6], -v[3:4]
	s_waitcnt vmcnt(0)
	v_add_f64 v[1:2], v[7:8], -v[1:2]
	buffer_store_dword v4, off, s[0:3], 0 offset:1012
	buffer_store_dword v3, off, s[0:3], 0 offset:1008
	;; [unrolled: 1-line block ×4, first 2 shown]
.LBB127_659:
	s_or_b64 exec, exec, s[6:7]
	v_cmp_eq_u32_e32 vcc, 60, v0
	s_waitcnt vmcnt(0) lgkmcnt(0)
	s_barrier
	s_and_saveexec_b64 s[8:9], vcc
	s_cbranch_execz .LBB127_666
; %bb.660:
	v_mov_b32_e32 v4, s17
	buffer_load_dword v1, v4, s[0:3], 0 offen
	buffer_load_dword v2, v4, s[0:3], 0 offen offset:4
	buffer_load_dword v3, v4, s[0:3], 0 offen offset:8
	s_nop 0
	buffer_load_dword v4, v4, s[0:3], 0 offen offset:12
	s_waitcnt vmcnt(0)
	ds_write2_b64 v11, v[1:2], v[3:4] offset1:1
	v_mov_b32_e32 v4, s14
	buffer_load_dword v1, v4, s[0:3], 0 offen
	buffer_load_dword v2, v4, s[0:3], 0 offen offset:4
	buffer_load_dword v3, v4, s[0:3], 0 offen offset:8
	s_nop 0
	buffer_load_dword v4, v4, s[0:3], 0 offen offset:12
	s_waitcnt vmcnt(0)
	ds_write2_b64 v12, v[1:2], v[3:4] offset0:122 offset1:123
	v_mov_b32_e32 v4, s16
	buffer_load_dword v1, v4, s[0:3], 0 offen
	buffer_load_dword v2, v4, s[0:3], 0 offen offset:4
	buffer_load_dword v3, v4, s[0:3], 0 offen offset:8
	s_nop 0
	buffer_load_dword v4, v4, s[0:3], 0 offen offset:12
	s_waitcnt vmcnt(0)
	ds_write2_b64 v12, v[1:2], v[3:4] offset0:124 offset1:125
	;; [unrolled: 8-line block ×3, first 2 shown]
	ds_read2_b64 v[1:4], v11 offset1:1
	s_waitcnt lgkmcnt(0)
	v_cmp_neq_f64_e32 vcc, 0, v[1:2]
	v_cmp_neq_f64_e64 s[6:7], 0, v[3:4]
	s_or_b64 s[6:7], vcc, s[6:7]
	s_and_b64 exec, exec, s[6:7]
	s_cbranch_execz .LBB127_666
; %bb.661:
	v_cmp_ngt_f64_e64 s[6:7], |v[1:2]|, |v[3:4]|
                                        ; implicit-def: $vgpr5_vgpr6
	s_and_saveexec_b64 s[10:11], s[6:7]
	s_xor_b64 s[6:7], exec, s[10:11]
                                        ; implicit-def: $vgpr7_vgpr8
	s_cbranch_execz .LBB127_663
; %bb.662:
	v_div_scale_f64 v[5:6], s[10:11], v[3:4], v[3:4], v[1:2]
	v_rcp_f64_e32 v[7:8], v[5:6]
	v_fma_f64 v[9:10], -v[5:6], v[7:8], 1.0
	v_fma_f64 v[7:8], v[7:8], v[9:10], v[7:8]
	v_div_scale_f64 v[9:10], vcc, v[1:2], v[3:4], v[1:2]
	v_fma_f64 v[18:19], -v[5:6], v[7:8], 1.0
	v_fma_f64 v[7:8], v[7:8], v[18:19], v[7:8]
	v_mul_f64 v[18:19], v[9:10], v[7:8]
	v_fma_f64 v[5:6], -v[5:6], v[18:19], v[9:10]
	v_div_fmas_f64 v[5:6], v[5:6], v[7:8], v[18:19]
	v_div_fixup_f64 v[5:6], v[5:6], v[3:4], v[1:2]
	v_fma_f64 v[1:2], v[1:2], v[5:6], v[3:4]
	v_div_scale_f64 v[3:4], s[10:11], v[1:2], v[1:2], 1.0
	v_div_scale_f64 v[18:19], vcc, 1.0, v[1:2], 1.0
	v_rcp_f64_e32 v[7:8], v[3:4]
	v_fma_f64 v[9:10], -v[3:4], v[7:8], 1.0
	v_fma_f64 v[7:8], v[7:8], v[9:10], v[7:8]
	v_fma_f64 v[9:10], -v[3:4], v[7:8], 1.0
	v_fma_f64 v[7:8], v[7:8], v[9:10], v[7:8]
	v_mul_f64 v[9:10], v[18:19], v[7:8]
	v_fma_f64 v[3:4], -v[3:4], v[9:10], v[18:19]
	v_div_fmas_f64 v[3:4], v[3:4], v[7:8], v[9:10]
	v_div_fixup_f64 v[7:8], v[3:4], v[1:2], 1.0
                                        ; implicit-def: $vgpr1_vgpr2
	v_mul_f64 v[5:6], v[5:6], v[7:8]
	v_xor_b32_e32 v8, 0x80000000, v8
.LBB127_663:
	s_andn2_saveexec_b64 s[6:7], s[6:7]
	s_cbranch_execz .LBB127_665
; %bb.664:
	v_div_scale_f64 v[5:6], s[10:11], v[1:2], v[1:2], v[3:4]
	v_rcp_f64_e32 v[7:8], v[5:6]
	v_fma_f64 v[9:10], -v[5:6], v[7:8], 1.0
	v_fma_f64 v[7:8], v[7:8], v[9:10], v[7:8]
	v_div_scale_f64 v[9:10], vcc, v[3:4], v[1:2], v[3:4]
	v_fma_f64 v[18:19], -v[5:6], v[7:8], 1.0
	v_fma_f64 v[7:8], v[7:8], v[18:19], v[7:8]
	v_mul_f64 v[18:19], v[9:10], v[7:8]
	v_fma_f64 v[5:6], -v[5:6], v[18:19], v[9:10]
	v_div_fmas_f64 v[5:6], v[5:6], v[7:8], v[18:19]
	v_div_fixup_f64 v[7:8], v[5:6], v[1:2], v[3:4]
	v_fma_f64 v[1:2], v[3:4], v[7:8], v[1:2]
	v_div_scale_f64 v[3:4], s[10:11], v[1:2], v[1:2], 1.0
	v_div_scale_f64 v[18:19], vcc, 1.0, v[1:2], 1.0
	v_rcp_f64_e32 v[5:6], v[3:4]
	v_fma_f64 v[9:10], -v[3:4], v[5:6], 1.0
	v_fma_f64 v[5:6], v[5:6], v[9:10], v[5:6]
	v_fma_f64 v[9:10], -v[3:4], v[5:6], 1.0
	v_fma_f64 v[5:6], v[5:6], v[9:10], v[5:6]
	v_mul_f64 v[9:10], v[18:19], v[5:6]
	v_fma_f64 v[3:4], -v[3:4], v[9:10], v[18:19]
	v_div_fmas_f64 v[3:4], v[3:4], v[5:6], v[9:10]
	v_div_fixup_f64 v[5:6], v[3:4], v[1:2], 1.0
	v_mul_f64 v[7:8], v[7:8], -v[5:6]
.LBB127_665:
	s_or_b64 exec, exec, s[6:7]
	ds_write2_b64 v11, v[5:6], v[7:8] offset1:1
.LBB127_666:
	s_or_b64 exec, exec, s[8:9]
	s_waitcnt lgkmcnt(0)
	s_barrier
	ds_read2_b64 v[117:120], v11 offset1:1
	v_cmp_lt_u32_e32 vcc, 60, v0
	s_and_saveexec_b64 s[6:7], vcc
	s_cbranch_execz .LBB127_668
; %bb.667:
	buffer_load_dword v1, off, s[0:3], 0 offset:960
	buffer_load_dword v2, off, s[0:3], 0 offset:964
	;; [unrolled: 1-line block ×16, first 2 shown]
	s_waitcnt vmcnt(12) lgkmcnt(0)
	v_mul_f64 v[121:122], v[119:120], v[3:4]
	v_mul_f64 v[3:4], v[117:118], v[3:4]
	v_fma_f64 v[121:122], v[117:118], v[1:2], -v[121:122]
	v_fma_f64 v[123:124], v[119:120], v[1:2], v[3:4]
	buffer_store_dword v121, off, s[0:3], 0 offset:960
	buffer_store_dword v122, off, s[0:3], 0 offset:964
	buffer_store_dword v123, off, s[0:3], 0 offset:968
	buffer_store_dword v124, off, s[0:3], 0 offset:972
	ds_read2_b64 v[1:4], v12 offset0:122 offset1:123
	s_waitcnt lgkmcnt(0)
	v_mul_f64 v[13:14], v[3:4], v[123:124]
	v_fma_f64 v[13:14], v[1:2], v[121:122], -v[13:14]
	v_mul_f64 v[1:2], v[1:2], v[123:124]
	v_fma_f64 v[1:2], v[3:4], v[121:122], v[1:2]
	s_waitcnt vmcnt(14)
	v_add_f64 v[3:4], v[5:6], -v[13:14]
	s_waitcnt vmcnt(12)
	v_add_f64 v[1:2], v[7:8], -v[1:2]
	buffer_store_dword v3, off, s[0:3], 0 offset:976
	buffer_store_dword v4, off, s[0:3], 0 offset:980
	buffer_store_dword v1, off, s[0:3], 0 offset:984
	buffer_store_dword v2, off, s[0:3], 0 offset:988
	ds_read2_b64 v[1:4], v12 offset0:124 offset1:125
	s_waitcnt lgkmcnt(0)
	v_mul_f64 v[5:6], v[3:4], v[123:124]
	v_fma_f64 v[5:6], v[1:2], v[121:122], -v[5:6]
	v_mul_f64 v[1:2], v[1:2], v[123:124]
	v_fma_f64 v[1:2], v[3:4], v[121:122], v[1:2]
	s_waitcnt vmcnt(14)
	v_add_f64 v[3:4], v[9:10], -v[5:6]
	s_waitcnt vmcnt(12)
	v_add_f64 v[1:2], v[18:19], -v[1:2]
	;; [unrolled: 14-line block ×3, first 2 shown]
	buffer_store_dword v4, off, s[0:3], 0 offset:1012
	buffer_store_dword v3, off, s[0:3], 0 offset:1008
	;; [unrolled: 1-line block ×4, first 2 shown]
.LBB127_668:
	s_or_b64 exec, exec, s[6:7]
	v_cmp_eq_u32_e32 vcc, 61, v0
	s_waitcnt vmcnt(0) lgkmcnt(0)
	s_barrier
	s_and_saveexec_b64 s[8:9], vcc
	s_cbranch_execz .LBB127_675
; %bb.669:
	v_mov_b32_e32 v4, s14
	buffer_load_dword v1, v4, s[0:3], 0 offen
	buffer_load_dword v2, v4, s[0:3], 0 offen offset:4
	buffer_load_dword v3, v4, s[0:3], 0 offen offset:8
	s_nop 0
	buffer_load_dword v4, v4, s[0:3], 0 offen offset:12
	s_waitcnt vmcnt(0)
	ds_write2_b64 v11, v[1:2], v[3:4] offset1:1
	v_mov_b32_e32 v4, s16
	buffer_load_dword v1, v4, s[0:3], 0 offen
	buffer_load_dword v2, v4, s[0:3], 0 offen offset:4
	buffer_load_dword v3, v4, s[0:3], 0 offen offset:8
	s_nop 0
	buffer_load_dword v4, v4, s[0:3], 0 offen offset:12
	s_waitcnt vmcnt(0)
	ds_write2_b64 v12, v[1:2], v[3:4] offset0:124 offset1:125
	v_mov_b32_e32 v4, s33
	buffer_load_dword v1, v4, s[0:3], 0 offen
	buffer_load_dword v2, v4, s[0:3], 0 offen offset:4
	buffer_load_dword v3, v4, s[0:3], 0 offen offset:8
	s_nop 0
	buffer_load_dword v4, v4, s[0:3], 0 offen offset:12
	s_waitcnt vmcnt(0)
	ds_write2_b64 v12, v[1:2], v[3:4] offset0:126 offset1:127
	ds_read2_b64 v[1:4], v11 offset1:1
	s_waitcnt lgkmcnt(0)
	v_cmp_neq_f64_e32 vcc, 0, v[1:2]
	v_cmp_neq_f64_e64 s[6:7], 0, v[3:4]
	s_or_b64 s[6:7], vcc, s[6:7]
	s_and_b64 exec, exec, s[6:7]
	s_cbranch_execz .LBB127_675
; %bb.670:
	v_cmp_ngt_f64_e64 s[6:7], |v[1:2]|, |v[3:4]|
                                        ; implicit-def: $vgpr5_vgpr6
	s_and_saveexec_b64 s[10:11], s[6:7]
	s_xor_b64 s[6:7], exec, s[10:11]
                                        ; implicit-def: $vgpr7_vgpr8
	s_cbranch_execz .LBB127_672
; %bb.671:
	v_div_scale_f64 v[5:6], s[10:11], v[3:4], v[3:4], v[1:2]
	v_rcp_f64_e32 v[7:8], v[5:6]
	v_fma_f64 v[9:10], -v[5:6], v[7:8], 1.0
	v_fma_f64 v[7:8], v[7:8], v[9:10], v[7:8]
	v_div_scale_f64 v[9:10], vcc, v[1:2], v[3:4], v[1:2]
	v_fma_f64 v[13:14], -v[5:6], v[7:8], 1.0
	v_fma_f64 v[7:8], v[7:8], v[13:14], v[7:8]
	v_mul_f64 v[13:14], v[9:10], v[7:8]
	v_fma_f64 v[5:6], -v[5:6], v[13:14], v[9:10]
	v_div_fmas_f64 v[5:6], v[5:6], v[7:8], v[13:14]
	v_div_fixup_f64 v[5:6], v[5:6], v[3:4], v[1:2]
	v_fma_f64 v[1:2], v[1:2], v[5:6], v[3:4]
	v_div_scale_f64 v[3:4], s[10:11], v[1:2], v[1:2], 1.0
	v_div_scale_f64 v[13:14], vcc, 1.0, v[1:2], 1.0
	v_rcp_f64_e32 v[7:8], v[3:4]
	v_fma_f64 v[9:10], -v[3:4], v[7:8], 1.0
	v_fma_f64 v[7:8], v[7:8], v[9:10], v[7:8]
	v_fma_f64 v[9:10], -v[3:4], v[7:8], 1.0
	v_fma_f64 v[7:8], v[7:8], v[9:10], v[7:8]
	v_mul_f64 v[9:10], v[13:14], v[7:8]
	v_fma_f64 v[3:4], -v[3:4], v[9:10], v[13:14]
	v_div_fmas_f64 v[3:4], v[3:4], v[7:8], v[9:10]
	v_div_fixup_f64 v[7:8], v[3:4], v[1:2], 1.0
                                        ; implicit-def: $vgpr1_vgpr2
	v_mul_f64 v[5:6], v[5:6], v[7:8]
	v_xor_b32_e32 v8, 0x80000000, v8
.LBB127_672:
	s_andn2_saveexec_b64 s[6:7], s[6:7]
	s_cbranch_execz .LBB127_674
; %bb.673:
	v_div_scale_f64 v[5:6], s[10:11], v[1:2], v[1:2], v[3:4]
	v_rcp_f64_e32 v[7:8], v[5:6]
	v_fma_f64 v[9:10], -v[5:6], v[7:8], 1.0
	v_fma_f64 v[7:8], v[7:8], v[9:10], v[7:8]
	v_div_scale_f64 v[9:10], vcc, v[3:4], v[1:2], v[3:4]
	v_fma_f64 v[13:14], -v[5:6], v[7:8], 1.0
	v_fma_f64 v[7:8], v[7:8], v[13:14], v[7:8]
	v_mul_f64 v[13:14], v[9:10], v[7:8]
	v_fma_f64 v[5:6], -v[5:6], v[13:14], v[9:10]
	v_div_fmas_f64 v[5:6], v[5:6], v[7:8], v[13:14]
	v_div_fixup_f64 v[7:8], v[5:6], v[1:2], v[3:4]
	v_fma_f64 v[1:2], v[3:4], v[7:8], v[1:2]
	v_div_scale_f64 v[3:4], s[10:11], v[1:2], v[1:2], 1.0
	v_div_scale_f64 v[13:14], vcc, 1.0, v[1:2], 1.0
	v_rcp_f64_e32 v[5:6], v[3:4]
	v_fma_f64 v[9:10], -v[3:4], v[5:6], 1.0
	v_fma_f64 v[5:6], v[5:6], v[9:10], v[5:6]
	v_fma_f64 v[9:10], -v[3:4], v[5:6], 1.0
	v_fma_f64 v[5:6], v[5:6], v[9:10], v[5:6]
	v_mul_f64 v[9:10], v[13:14], v[5:6]
	v_fma_f64 v[3:4], -v[3:4], v[9:10], v[13:14]
	v_div_fmas_f64 v[3:4], v[3:4], v[5:6], v[9:10]
	v_div_fixup_f64 v[5:6], v[3:4], v[1:2], 1.0
	v_mul_f64 v[7:8], v[7:8], -v[5:6]
.LBB127_674:
	s_or_b64 exec, exec, s[6:7]
	ds_write2_b64 v11, v[5:6], v[7:8] offset1:1
.LBB127_675:
	s_or_b64 exec, exec, s[8:9]
	s_waitcnt lgkmcnt(0)
	s_barrier
	ds_read2_b64 v[121:124], v11 offset1:1
	v_cmp_lt_u32_e32 vcc, 61, v0
	s_and_saveexec_b64 s[6:7], vcc
	s_cbranch_execz .LBB127_677
; %bb.676:
	buffer_load_dword v1, off, s[0:3], 0 offset:976
	buffer_load_dword v2, off, s[0:3], 0 offset:980
	;; [unrolled: 1-line block ×12, first 2 shown]
	s_waitcnt vmcnt(8) lgkmcnt(0)
	v_mul_f64 v[18:19], v[123:124], v[3:4]
	v_mul_f64 v[3:4], v[121:122], v[3:4]
	v_fma_f64 v[18:19], v[121:122], v[1:2], -v[18:19]
	v_fma_f64 v[20:21], v[123:124], v[1:2], v[3:4]
	buffer_store_dword v18, off, s[0:3], 0 offset:976
	buffer_store_dword v19, off, s[0:3], 0 offset:980
	;; [unrolled: 1-line block ×4, first 2 shown]
	ds_read2_b64 v[1:4], v12 offset0:124 offset1:125
	s_waitcnt lgkmcnt(0)
	v_mul_f64 v[22:23], v[3:4], v[20:21]
	v_fma_f64 v[22:23], v[1:2], v[18:19], -v[22:23]
	v_mul_f64 v[1:2], v[1:2], v[20:21]
	v_fma_f64 v[1:2], v[3:4], v[18:19], v[1:2]
	s_waitcnt vmcnt(10)
	v_add_f64 v[3:4], v[5:6], -v[22:23]
	s_waitcnt vmcnt(8)
	v_add_f64 v[1:2], v[7:8], -v[1:2]
	buffer_store_dword v3, off, s[0:3], 0 offset:992
	buffer_store_dword v4, off, s[0:3], 0 offset:996
	;; [unrolled: 1-line block ×4, first 2 shown]
	ds_read2_b64 v[1:4], v12 offset0:126 offset1:127
	s_waitcnt lgkmcnt(0)
	v_mul_f64 v[5:6], v[3:4], v[20:21]
	v_fma_f64 v[5:6], v[1:2], v[18:19], -v[5:6]
	v_mul_f64 v[1:2], v[1:2], v[20:21]
	v_fma_f64 v[1:2], v[3:4], v[18:19], v[1:2]
	s_waitcnt vmcnt(10)
	v_add_f64 v[3:4], v[9:10], -v[5:6]
	s_waitcnt vmcnt(8)
	v_add_f64 v[1:2], v[13:14], -v[1:2]
	buffer_store_dword v3, off, s[0:3], 0 offset:1008
	buffer_store_dword v4, off, s[0:3], 0 offset:1012
	buffer_store_dword v1, off, s[0:3], 0 offset:1016
	buffer_store_dword v2, off, s[0:3], 0 offset:1020
.LBB127_677:
	s_or_b64 exec, exec, s[6:7]
	v_cmp_eq_u32_e32 vcc, 62, v0
	s_waitcnt vmcnt(0) lgkmcnt(0)
	s_barrier
	s_and_saveexec_b64 s[8:9], vcc
	s_cbranch_execz .LBB127_684
; %bb.678:
	v_mov_b32_e32 v4, s16
	buffer_load_dword v1, v4, s[0:3], 0 offen
	buffer_load_dword v2, v4, s[0:3], 0 offen offset:4
	buffer_load_dword v3, v4, s[0:3], 0 offen offset:8
	s_nop 0
	buffer_load_dword v4, v4, s[0:3], 0 offen offset:12
	s_waitcnt vmcnt(0)
	ds_write2_b64 v11, v[1:2], v[3:4] offset1:1
	v_mov_b32_e32 v4, s33
	buffer_load_dword v1, v4, s[0:3], 0 offen
	buffer_load_dword v2, v4, s[0:3], 0 offen offset:4
	buffer_load_dword v3, v4, s[0:3], 0 offen offset:8
	s_nop 0
	buffer_load_dword v4, v4, s[0:3], 0 offen offset:12
	s_waitcnt vmcnt(0)
	ds_write2_b64 v12, v[1:2], v[3:4] offset0:126 offset1:127
	ds_read2_b64 v[1:4], v11 offset1:1
	s_waitcnt lgkmcnt(0)
	v_cmp_neq_f64_e32 vcc, 0, v[1:2]
	v_cmp_neq_f64_e64 s[6:7], 0, v[3:4]
	s_or_b64 s[6:7], vcc, s[6:7]
	s_and_b64 exec, exec, s[6:7]
	s_cbranch_execz .LBB127_684
; %bb.679:
	v_cmp_ngt_f64_e64 s[6:7], |v[1:2]|, |v[3:4]|
                                        ; implicit-def: $vgpr5_vgpr6
	s_and_saveexec_b64 s[10:11], s[6:7]
	s_xor_b64 s[6:7], exec, s[10:11]
                                        ; implicit-def: $vgpr7_vgpr8
	s_cbranch_execz .LBB127_681
; %bb.680:
	v_div_scale_f64 v[5:6], s[10:11], v[3:4], v[3:4], v[1:2]
	v_rcp_f64_e32 v[7:8], v[5:6]
	v_fma_f64 v[9:10], -v[5:6], v[7:8], 1.0
	v_fma_f64 v[7:8], v[7:8], v[9:10], v[7:8]
	v_div_scale_f64 v[9:10], vcc, v[1:2], v[3:4], v[1:2]
	v_fma_f64 v[13:14], -v[5:6], v[7:8], 1.0
	v_fma_f64 v[7:8], v[7:8], v[13:14], v[7:8]
	v_mul_f64 v[13:14], v[9:10], v[7:8]
	v_fma_f64 v[5:6], -v[5:6], v[13:14], v[9:10]
	v_div_fmas_f64 v[5:6], v[5:6], v[7:8], v[13:14]
	v_div_fixup_f64 v[5:6], v[5:6], v[3:4], v[1:2]
	v_fma_f64 v[1:2], v[1:2], v[5:6], v[3:4]
	v_div_scale_f64 v[3:4], s[10:11], v[1:2], v[1:2], 1.0
	v_div_scale_f64 v[13:14], vcc, 1.0, v[1:2], 1.0
	v_rcp_f64_e32 v[7:8], v[3:4]
	v_fma_f64 v[9:10], -v[3:4], v[7:8], 1.0
	v_fma_f64 v[7:8], v[7:8], v[9:10], v[7:8]
	v_fma_f64 v[9:10], -v[3:4], v[7:8], 1.0
	v_fma_f64 v[7:8], v[7:8], v[9:10], v[7:8]
	v_mul_f64 v[9:10], v[13:14], v[7:8]
	v_fma_f64 v[3:4], -v[3:4], v[9:10], v[13:14]
	v_div_fmas_f64 v[3:4], v[3:4], v[7:8], v[9:10]
	v_div_fixup_f64 v[7:8], v[3:4], v[1:2], 1.0
                                        ; implicit-def: $vgpr1_vgpr2
	v_mul_f64 v[5:6], v[5:6], v[7:8]
	v_xor_b32_e32 v8, 0x80000000, v8
.LBB127_681:
	s_andn2_saveexec_b64 s[6:7], s[6:7]
	s_cbranch_execz .LBB127_683
; %bb.682:
	v_div_scale_f64 v[5:6], s[10:11], v[1:2], v[1:2], v[3:4]
	v_rcp_f64_e32 v[7:8], v[5:6]
	v_fma_f64 v[9:10], -v[5:6], v[7:8], 1.0
	v_fma_f64 v[7:8], v[7:8], v[9:10], v[7:8]
	v_div_scale_f64 v[9:10], vcc, v[3:4], v[1:2], v[3:4]
	v_fma_f64 v[13:14], -v[5:6], v[7:8], 1.0
	v_fma_f64 v[7:8], v[7:8], v[13:14], v[7:8]
	v_mul_f64 v[13:14], v[9:10], v[7:8]
	v_fma_f64 v[5:6], -v[5:6], v[13:14], v[9:10]
	v_div_fmas_f64 v[5:6], v[5:6], v[7:8], v[13:14]
	v_div_fixup_f64 v[7:8], v[5:6], v[1:2], v[3:4]
	v_fma_f64 v[1:2], v[3:4], v[7:8], v[1:2]
	v_div_scale_f64 v[3:4], s[10:11], v[1:2], v[1:2], 1.0
	v_div_scale_f64 v[13:14], vcc, 1.0, v[1:2], 1.0
	v_rcp_f64_e32 v[5:6], v[3:4]
	v_fma_f64 v[9:10], -v[3:4], v[5:6], 1.0
	v_fma_f64 v[5:6], v[5:6], v[9:10], v[5:6]
	v_fma_f64 v[9:10], -v[3:4], v[5:6], 1.0
	v_fma_f64 v[5:6], v[5:6], v[9:10], v[5:6]
	v_mul_f64 v[9:10], v[13:14], v[5:6]
	v_fma_f64 v[3:4], -v[3:4], v[9:10], v[13:14]
	v_div_fmas_f64 v[3:4], v[3:4], v[5:6], v[9:10]
	v_div_fixup_f64 v[5:6], v[3:4], v[1:2], 1.0
	v_mul_f64 v[7:8], v[7:8], -v[5:6]
.LBB127_683:
	s_or_b64 exec, exec, s[6:7]
	ds_write2_b64 v11, v[5:6], v[7:8] offset1:1
.LBB127_684:
	s_or_b64 exec, exec, s[8:9]
	s_waitcnt lgkmcnt(0)
	s_barrier
	ds_read2_b64 v[1:4], v11 offset1:1
	v_cmp_lt_u32_e32 vcc, 62, v0
	s_and_saveexec_b64 s[6:7], vcc
	s_cbranch_execz .LBB127_686
; %bb.685:
	buffer_load_dword v5, off, s[0:3], 0 offset:992
	buffer_load_dword v6, off, s[0:3], 0 offset:996
	;; [unrolled: 1-line block ×8, first 2 shown]
	s_waitcnt vmcnt(4) lgkmcnt(0)
	v_mul_f64 v[18:19], v[3:4], v[7:8]
	v_mul_f64 v[7:8], v[1:2], v[7:8]
	v_fma_f64 v[18:19], v[1:2], v[5:6], -v[18:19]
	v_fma_f64 v[20:21], v[3:4], v[5:6], v[7:8]
	buffer_store_dword v18, off, s[0:3], 0 offset:992
	buffer_store_dword v19, off, s[0:3], 0 offset:996
	;; [unrolled: 1-line block ×4, first 2 shown]
	ds_read2_b64 v[5:8], v12 offset0:126 offset1:127
	s_waitcnt lgkmcnt(0)
	v_mul_f64 v[22:23], v[7:8], v[20:21]
	v_fma_f64 v[22:23], v[5:6], v[18:19], -v[22:23]
	v_mul_f64 v[5:6], v[5:6], v[20:21]
	v_fma_f64 v[5:6], v[7:8], v[18:19], v[5:6]
	s_waitcnt vmcnt(6)
	v_add_f64 v[7:8], v[9:10], -v[22:23]
	s_waitcnt vmcnt(4)
	v_add_f64 v[5:6], v[13:14], -v[5:6]
	buffer_store_dword v7, off, s[0:3], 0 offset:1008
	buffer_store_dword v8, off, s[0:3], 0 offset:1012
	;; [unrolled: 1-line block ×4, first 2 shown]
.LBB127_686:
	s_or_b64 exec, exec, s[6:7]
	v_cmp_eq_u32_e32 vcc, 63, v0
	s_waitcnt vmcnt(0) lgkmcnt(0)
	s_barrier
	s_and_saveexec_b64 s[8:9], vcc
	s_cbranch_execz .LBB127_693
; %bb.687:
	v_mov_b32_e32 v8, s33
	buffer_load_dword v5, v8, s[0:3], 0 offen
	buffer_load_dword v6, v8, s[0:3], 0 offen offset:4
	buffer_load_dword v7, v8, s[0:3], 0 offen offset:8
	s_nop 0
	buffer_load_dword v8, v8, s[0:3], 0 offen offset:12
	s_waitcnt vmcnt(2)
	v_cmp_neq_f64_e32 vcc, 0, v[5:6]
	s_waitcnt vmcnt(0)
	v_cmp_neq_f64_e64 s[6:7], 0, v[7:8]
	ds_write2_b64 v11, v[5:6], v[7:8] offset1:1
	s_or_b64 s[6:7], vcc, s[6:7]
	s_and_b64 exec, exec, s[6:7]
	s_cbranch_execz .LBB127_693
; %bb.688:
	v_cmp_ngt_f64_e64 s[6:7], |v[5:6]|, |v[7:8]|
                                        ; implicit-def: $vgpr18_vgpr19
	s_and_saveexec_b64 s[10:11], s[6:7]
	s_xor_b64 s[6:7], exec, s[10:11]
                                        ; implicit-def: $vgpr9_vgpr10
	s_cbranch_execz .LBB127_690
; %bb.689:
	v_div_scale_f64 v[9:10], s[10:11], v[7:8], v[7:8], v[5:6]
	v_rcp_f64_e32 v[12:13], v[9:10]
	v_fma_f64 v[14:15], -v[9:10], v[12:13], 1.0
	v_fma_f64 v[12:13], v[12:13], v[14:15], v[12:13]
	v_div_scale_f64 v[14:15], vcc, v[5:6], v[7:8], v[5:6]
	v_fma_f64 v[18:19], -v[9:10], v[12:13], 1.0
	v_fma_f64 v[12:13], v[12:13], v[18:19], v[12:13]
	v_mul_f64 v[18:19], v[14:15], v[12:13]
	v_fma_f64 v[9:10], -v[9:10], v[18:19], v[14:15]
	v_div_fmas_f64 v[9:10], v[9:10], v[12:13], v[18:19]
	v_div_fixup_f64 v[12:13], v[9:10], v[7:8], v[5:6]
	v_fma_f64 v[5:6], v[5:6], v[12:13], v[7:8]
	v_div_scale_f64 v[7:8], s[10:11], v[5:6], v[5:6], 1.0
	v_div_scale_f64 v[18:19], vcc, 1.0, v[5:6], 1.0
	v_rcp_f64_e32 v[9:10], v[7:8]
	v_fma_f64 v[14:15], -v[7:8], v[9:10], 1.0
	v_fma_f64 v[9:10], v[9:10], v[14:15], v[9:10]
	v_fma_f64 v[14:15], -v[7:8], v[9:10], 1.0
	v_fma_f64 v[9:10], v[9:10], v[14:15], v[9:10]
	v_mul_f64 v[14:15], v[18:19], v[9:10]
	v_fma_f64 v[7:8], -v[7:8], v[14:15], v[18:19]
	v_div_fmas_f64 v[7:8], v[7:8], v[9:10], v[14:15]
	v_div_fixup_f64 v[9:10], v[7:8], v[5:6], 1.0
                                        ; implicit-def: $vgpr5_vgpr6
                                        ; implicit-def: $vgpr7_vgpr8
	v_mul_f64 v[18:19], v[12:13], v[9:10]
	v_xor_b32_e32 v10, 0x80000000, v10
.LBB127_690:
	s_andn2_saveexec_b64 s[6:7], s[6:7]
	s_cbranch_execz .LBB127_692
; %bb.691:
	v_div_scale_f64 v[9:10], s[10:11], v[5:6], v[5:6], v[7:8]
	v_rcp_f64_e32 v[12:13], v[9:10]
	v_fma_f64 v[14:15], -v[9:10], v[12:13], 1.0
	v_fma_f64 v[12:13], v[12:13], v[14:15], v[12:13]
	v_div_scale_f64 v[14:15], vcc, v[7:8], v[5:6], v[7:8]
	v_fma_f64 v[18:19], -v[9:10], v[12:13], 1.0
	v_fma_f64 v[12:13], v[12:13], v[18:19], v[12:13]
	v_mul_f64 v[18:19], v[14:15], v[12:13]
	v_fma_f64 v[9:10], -v[9:10], v[18:19], v[14:15]
	v_div_fmas_f64 v[9:10], v[9:10], v[12:13], v[18:19]
	v_div_fixup_f64 v[9:10], v[9:10], v[5:6], v[7:8]
	v_fma_f64 v[5:6], v[7:8], v[9:10], v[5:6]
	v_div_scale_f64 v[7:8], s[10:11], v[5:6], v[5:6], 1.0
	v_div_scale_f64 v[18:19], vcc, 1.0, v[5:6], 1.0
	v_rcp_f64_e32 v[12:13], v[7:8]
	v_fma_f64 v[14:15], -v[7:8], v[12:13], 1.0
	v_fma_f64 v[12:13], v[12:13], v[14:15], v[12:13]
	v_fma_f64 v[14:15], -v[7:8], v[12:13], 1.0
	v_fma_f64 v[12:13], v[12:13], v[14:15], v[12:13]
	v_mul_f64 v[14:15], v[18:19], v[12:13]
	v_fma_f64 v[7:8], -v[7:8], v[14:15], v[18:19]
	v_div_fmas_f64 v[7:8], v[7:8], v[12:13], v[14:15]
	v_div_fixup_f64 v[18:19], v[7:8], v[5:6], 1.0
	v_mul_f64 v[9:10], v[9:10], -v[18:19]
.LBB127_692:
	s_or_b64 exec, exec, s[6:7]
	ds_write2_b64 v11, v[18:19], v[9:10] offset1:1
.LBB127_693:
	s_or_b64 exec, exec, s[8:9]
	s_waitcnt lgkmcnt(0)
	s_barrier
	ds_read2_b64 v[5:8], v11 offset1:1
	v_cmp_lt_u32_e32 vcc, 63, v0
	s_and_saveexec_b64 s[6:7], vcc
	s_cbranch_execz .LBB127_695
; %bb.694:
	buffer_load_dword v9, off, s[0:3], 0 offset:1016
	buffer_load_dword v10, off, s[0:3], 0 offset:1020
	;; [unrolled: 1-line block ×4, first 2 shown]
	s_waitcnt vmcnt(2) lgkmcnt(0)
	v_mul_f64 v[13:14], v[7:8], v[9:10]
	v_mul_f64 v[9:10], v[5:6], v[9:10]
	s_waitcnt vmcnt(0)
	v_fma_f64 v[13:14], v[5:6], v[11:12], -v[13:14]
	v_fma_f64 v[9:10], v[7:8], v[11:12], v[9:10]
	buffer_store_dword v13, off, s[0:3], 0 offset:1008
	buffer_store_dword v14, off, s[0:3], 0 offset:1012
	;; [unrolled: 1-line block ×4, first 2 shown]
.LBB127_695:
	s_or_b64 exec, exec, s[6:7]
	s_waitcnt vmcnt(0) lgkmcnt(0)
	s_barrier
	s_and_saveexec_b64 s[6:7], s[4:5]
	s_cbranch_execz .LBB127_698
; %bb.696:
	buffer_load_dword v9, off, s[0:3], 0 offset:1536 ; 4-byte Folded Reload
	buffer_load_dword v10, off, s[0:3], 0 offset:1540 ; 4-byte Folded Reload
	;; [unrolled: 1-line block ×4, first 2 shown]
                                        ; implicit-def: $vgpr125 : SGPR spill to VGPR lane
	s_mov_b32 s41, s65
	v_mov_b32_e32 v0, s83
	s_mov_b32 s15, s77
	s_mov_b32 s77, s78
	;; [unrolled: 1-line block ×15, first 2 shown]
	s_waitcnt vmcnt(2)
	v_cmp_eq_f64_e64 s[4:5], 0, v[9:10]
	v_writelane_b32 v126, s4, 8
	v_writelane_b32 v126, s5, 9
	s_waitcnt vmcnt(0)
	v_cmp_eq_f64_e64 s[4:5], 0, v[11:12]
	buffer_load_dword v9, off, s[0:3], 0 offset:1952 ; 4-byte Folded Reload
	buffer_load_dword v10, off, s[0:3], 0 offset:1956 ; 4-byte Folded Reload
	;; [unrolled: 1-line block ×4, first 2 shown]
	v_writelane_b32 v126, s4, 10
	v_writelane_b32 v126, s5, 11
	s_waitcnt vmcnt(2)
	v_cmp_neq_f64_e64 s[4:5], 0, v[9:10]
	v_writelane_b32 v126, s4, 12
	v_writelane_b32 v126, s5, 13
	s_waitcnt vmcnt(0)
	v_cmp_neq_f64_e64 s[4:5], 0, v[11:12]
	buffer_load_dword v9, off, s[0:3], 0 offset:1552 ; 4-byte Folded Reload
	buffer_load_dword v10, off, s[0:3], 0 offset:1556 ; 4-byte Folded Reload
	buffer_load_dword v11, off, s[0:3], 0 offset:1560 ; 4-byte Folded Reload
	buffer_load_dword v12, off, s[0:3], 0 offset:1564 ; 4-byte Folded Reload
	v_writelane_b32 v126, s4, 14
	v_writelane_b32 v126, s5, 15
	s_waitcnt vmcnt(2)
	v_cmp_eq_f64_e64 s[4:5], 0, v[9:10]
	v_writelane_b32 v126, s4, 16
	v_writelane_b32 v126, s5, 17
	s_waitcnt vmcnt(0)
	v_cmp_eq_f64_e64 s[4:5], 0, v[11:12]
	buffer_load_dword v9, off, s[0:3], 0 offset:1568 ; 4-byte Folded Reload
	buffer_load_dword v10, off, s[0:3], 0 offset:1572 ; 4-byte Folded Reload
	buffer_load_dword v11, off, s[0:3], 0 offset:1576 ; 4-byte Folded Reload
	buffer_load_dword v12, off, s[0:3], 0 offset:1580 ; 4-byte Folded Reload
	v_writelane_b32 v126, s4, 18
	v_writelane_b32 v126, s5, 19
	s_waitcnt vmcnt(2)
	v_cmp_eq_f64_e64 s[4:5], 0, v[9:10]
	v_writelane_b32 v126, s4, 20
	v_writelane_b32 v126, s5, 21
	s_waitcnt vmcnt(0)
	v_cmp_eq_f64_e64 s[4:5], 0, v[11:12]
	;; [unrolled: 12-line block ×23, first 2 shown]
	buffer_load_dword v9, off, s[0:3], 0 offset:1808 ; 4-byte Folded Reload
	buffer_load_dword v10, off, s[0:3], 0 offset:1812 ; 4-byte Folded Reload
	;; [unrolled: 1-line block ×4, first 2 shown]
	v_writelane_b32 v125, s4, 42
	v_writelane_b32 v125, s5, 43
	;; [unrolled: 1-line block ×4, first 2 shown]
	s_waitcnt vmcnt(2)
	v_cmp_eq_f64_e64 s[64:65], 0, v[9:10]
	s_waitcnt vmcnt(0)
	v_cmp_eq_f64_e64 s[62:63], 0, v[11:12]
	buffer_load_dword v9, off, s[0:3], 0 offset:1824 ; 4-byte Folded Reload
	buffer_load_dword v10, off, s[0:3], 0 offset:1828 ; 4-byte Folded Reload
	buffer_load_dword v11, off, s[0:3], 0 offset:1832 ; 4-byte Folded Reload
	buffer_load_dword v12, off, s[0:3], 0 offset:1836 ; 4-byte Folded Reload
	s_waitcnt vmcnt(2)
	v_cmp_eq_f64_e64 s[60:61], 0, v[9:10]
	s_waitcnt vmcnt(0)
	v_cmp_eq_f64_e64 s[58:59], 0, v[11:12]
	buffer_load_dword v9, off, s[0:3], 0 offset:1840 ; 4-byte Folded Reload
	buffer_load_dword v10, off, s[0:3], 0 offset:1844 ; 4-byte Folded Reload
	buffer_load_dword v11, off, s[0:3], 0 offset:1848 ; 4-byte Folded Reload
	buffer_load_dword v12, off, s[0:3], 0 offset:1852 ; 4-byte Folded Reload
	;; [unrolled: 8-line block ×8, first 2 shown]
	s_and_b64 s[8:9], s[8:9], s[6:7]
	s_waitcnt vmcnt(2)
	v_cmp_eq_f64_e64 s[4:5], 0, v[9:10]
	v_lshlrev_b64 v[9:10], 2, v[16:17]
	v_add_co_u32_e32 v16, vcc, s82, v9
	v_readlane_b32 s82, v126, 14
	v_addc_co_u32_e32 v17, vcc, v0, v10, vcc
	v_writelane_b32 v125, s4, 46
	v_writelane_b32 v125, s5, 47
	s_waitcnt vmcnt(0)
	v_cmp_eq_f64_e64 s[4:5], 0, v[11:12]
	v_readlane_b32 s83, v126, 15
	buffer_load_dword v9, off, s[0:3], 0 offset:1904 ; 4-byte Folded Reload
	buffer_load_dword v10, off, s[0:3], 0 offset:1908 ; 4-byte Folded Reload
	;; [unrolled: 1-line block ×4, first 2 shown]
	v_writelane_b32 v125, s4, 48
	v_writelane_b32 v125, s5, 49
	v_readlane_b32 s4, v126, 12
	v_readlane_b32 s5, v126, 13
	s_or_b64 vcc, s[4:5], s[82:83]
	v_readlane_b32 s4, v126, 8
	v_readlane_b32 s82, v126, 10
	;; [unrolled: 1-line block ×4, first 2 shown]
	s_and_b64 s[4:5], s[4:5], s[82:83]
	v_cndmask_b32_e64 v0, 0, 1, s[4:5]
	s_or_b64 vcc, vcc, s[4:5]
	v_readlane_b32 s4, v126, 16
	v_readlane_b32 s82, v126, 18
	v_cndmask_b32_e32 v0, 2, v0, vcc
	v_readlane_b32 s5, v126, 17
	v_readlane_b32 s83, v126, 19
	s_and_b64 s[4:5], s[4:5], s[82:83]
	v_cmp_eq_u32_e32 vcc, 0, v0
	s_and_b64 s[4:5], s[4:5], vcc
	v_cndmask_b32_e64 v0, v0, 3, s[4:5]
	v_readlane_b32 s4, v126, 20
	v_readlane_b32 s82, v126, 22
	v_readlane_b32 s5, v126, 21
	v_readlane_b32 s83, v126, 23
	s_and_b64 s[4:5], s[4:5], s[82:83]
	v_cmp_eq_u32_e32 vcc, 0, v0
	s_and_b64 s[4:5], s[4:5], vcc
	v_cndmask_b32_e64 v0, v0, 4, s[4:5]
	v_readlane_b32 s4, v126, 24
	v_readlane_b32 s82, v126, 26
	;; [unrolled: 8-line block ×22, first 2 shown]
	v_readlane_b32 s5, v125, 41
	v_readlane_b32 s83, v125, 43
	s_and_b64 s[4:5], s[4:5], s[82:83]
	v_cmp_eq_u32_e32 vcc, 0, v0
	s_and_b64 s[4:5], s[4:5], vcc
	v_cndmask_b32_e64 v0, v0, 25, s[4:5]
	s_and_b64 s[4:5], s[64:65], s[62:63]
	v_cmp_eq_u32_e32 vcc, 0, v0
	s_and_b64 s[4:5], s[4:5], vcc
	v_cndmask_b32_e64 v0, v0, 26, s[4:5]
	;; [unrolled: 4-line block ×8, first 2 shown]
	s_waitcnt vmcnt(2)
	v_cmp_eq_f64_e32 vcc, 0, v[9:10]
	s_waitcnt vmcnt(0)
	v_cmp_eq_f64_e64 s[4:5], 0, v[11:12]
	buffer_load_dword v9, off, s[0:3], 0 offset:1920 ; 4-byte Folded Reload
	buffer_load_dword v10, off, s[0:3], 0 offset:1924 ; 4-byte Folded Reload
	;; [unrolled: 1-line block ×4, first 2 shown]
	v_cmp_eq_u32_e64 s[6:7], 0, v0
	s_and_b64 s[6:7], s[8:9], s[6:7]
	v_cndmask_b32_e64 v0, v0, 33, s[6:7]
	v_readlane_b32 s6, v125, 46
	v_readlane_b32 s8, v125, 48
	;; [unrolled: 1-line block ×4, first 2 shown]
	s_and_b64 s[12:13], s[6:7], s[8:9]
	v_cmp_eq_u32_e64 s[10:11], 0, v0
	s_and_b64 s[10:11], s[12:13], s[10:11]
	v_cndmask_b32_e64 v0, v0, 34, s[10:11]
	s_and_b64 s[12:13], vcc, s[4:5]
	v_cmp_eq_u32_e32 vcc, 0, v0
	s_and_b64 s[12:13], s[12:13], vcc
	v_cndmask_b32_e64 v0, v0, 35, s[12:13]
	v_cmp_eq_u32_e32 vcc, 0, v0
	s_mov_b32 s65, s41
	s_waitcnt vmcnt(2)
	v_cmp_eq_f64_e64 s[6:7], 0, v[9:10]
	s_waitcnt vmcnt(0)
	v_cmp_eq_f64_e64 s[8:9], 0, v[11:12]
	buffer_load_dword v9, off, s[0:3], 0 offset:1936 ; 4-byte Folded Reload
	buffer_load_dword v10, off, s[0:3], 0 offset:1940 ; 4-byte Folded Reload
	;; [unrolled: 1-line block ×4, first 2 shown]
	s_and_b64 s[12:13], s[6:7], s[8:9]
	v_cmp_eq_f64_e64 s[6:7], 0, v[25:26]
	v_cmp_eq_f64_e64 s[8:9], 0, v[27:28]
	s_and_b64 s[12:13], s[12:13], vcc
	v_cndmask_b32_e64 v0, v0, 36, s[12:13]
	v_cmp_eq_u32_e32 vcc, 0, v0
	s_waitcnt vmcnt(2)
	v_cmp_eq_f64_e64 s[4:5], 0, v[9:10]
	global_load_dword v9, v[16:17], off
	s_waitcnt vmcnt(1)
	v_cmp_eq_f64_e64 s[10:11], 0, v[11:12]
	s_and_b64 s[12:13], s[4:5], s[10:11]
	v_cmp_eq_f64_e64 s[4:5], 0, v[29:30]
	v_cmp_eq_f64_e64 s[10:11], 0, v[31:32]
	s_and_b64 s[12:13], s[12:13], vcc
	v_cndmask_b32_e64 v0, v0, 37, s[12:13]
	s_and_b64 s[12:13], s[6:7], s[8:9]
	v_cmp_eq_f64_e64 s[6:7], 0, v[33:34]
	v_cmp_eq_f64_e64 s[8:9], 0, v[35:36]
	v_cmp_eq_u32_e32 vcc, 0, v0
	s_and_b64 s[12:13], s[12:13], vcc
	v_cndmask_b32_e64 v0, v0, 38, s[12:13]
	s_and_b64 s[12:13], s[4:5], s[10:11]
	v_cmp_eq_f64_e64 s[4:5], 0, v[37:38]
	v_cmp_eq_f64_e64 s[10:11], 0, v[39:40]
	v_cmp_eq_u32_e32 vcc, 0, v0
	;; [unrolled: 6-line block ×11, first 2 shown]
	s_and_b64 s[12:13], s[12:13], vcc
	v_cndmask_b32_e64 v0, v0, 48, s[12:13]
	s_and_b64 s[12:13], s[4:5], s[10:11]
	v_cmp_eq_u32_e32 vcc, 0, v0
	s_and_b64 s[12:13], s[12:13], vcc
	v_cmp_eq_f64_e64 s[4:5], 0, v[77:78]
	v_cmp_eq_f64_e64 s[10:11], 0, v[79:80]
	v_cndmask_b32_e64 v0, v0, 49, s[12:13]
	s_and_b64 s[6:7], s[6:7], s[8:9]
	v_cmp_eq_u32_e32 vcc, 0, v0
	s_and_b64 s[6:7], s[6:7], vcc
	v_cndmask_b32_e64 v0, v0, 50, s[6:7]
	v_cmp_eq_f64_e32 vcc, 0, v[81:82]
	v_cmp_eq_f64_e64 s[6:7], 0, v[83:84]
	s_and_b64 s[12:13], s[4:5], s[10:11]
	v_cmp_eq_f64_e64 s[8:9], 0, v[85:86]
	v_cmp_eq_f64_e64 s[10:11], 0, v[87:88]
	v_cmp_eq_u32_e64 s[4:5], 0, v0
	s_and_b64 s[4:5], s[12:13], s[4:5]
	v_cndmask_b32_e64 v0, v0, 51, s[4:5]
	v_cmp_eq_f64_e64 s[4:5], 0, v[89:90]
	s_and_b64 s[12:13], vcc, s[6:7]
	v_cmp_eq_f64_e64 s[6:7], 0, v[91:92]
	v_cmp_eq_u32_e32 vcc, 0, v0
	s_and_b64 s[12:13], s[12:13], vcc
	v_cndmask_b32_e64 v0, v0, 52, s[12:13]
	s_and_b64 s[12:13], s[8:9], s[10:11]
	v_cmp_eq_f64_e64 s[8:9], 0, v[93:94]
	v_cmp_eq_f64_e64 s[10:11], 0, v[95:96]
	v_cmp_eq_u32_e32 vcc, 0, v0
	s_and_b64 s[12:13], s[12:13], vcc
	v_cndmask_b32_e64 v0, v0, 53, s[12:13]
	s_and_b64 s[12:13], s[4:5], s[6:7]
	v_cmp_eq_f64_e64 s[4:5], 0, v[97:98]
	;; [unrolled: 6-line block ×9, first 2 shown]
	v_cmp_eq_f64_e64 s[10:11], 0, v[3:4]
	v_cmp_eq_u32_e32 vcc, 0, v0
	s_and_b64 s[12:13], s[12:13], vcc
	v_cndmask_b32_e64 v0, v0, 61, s[12:13]
	s_and_b64 s[12:13], s[4:5], s[6:7]
	v_cmp_eq_f64_e32 vcc, 0, v[5:6]
	v_cmp_eq_f64_e64 s[4:5], 0, v[7:8]
	v_cmp_eq_u32_e64 s[6:7], 0, v0
	s_and_b64 s[6:7], s[12:13], s[6:7]
	v_cndmask_b32_e64 v0, v0, 62, s[6:7]
	s_and_b64 s[8:9], s[8:9], s[10:11]
	v_cmp_eq_u32_e64 s[6:7], 0, v0
	s_and_b64 s[6:7], s[8:9], s[6:7]
	v_cndmask_b32_e64 v0, v0, 63, s[6:7]
	s_and_b64 s[4:5], vcc, s[4:5]
	v_cmp_eq_u32_e32 vcc, 0, v0
	s_and_b64 s[4:5], s[4:5], vcc
	v_cndmask_b32_e64 v0, v0, 64, s[4:5]
	v_readlane_b32 s6, v125, 44
	s_waitcnt vmcnt(0)
	v_cmp_eq_u32_e32 vcc, 0, v9
	v_cmp_ne_u32_e64 s[4:5], 0, v0
	v_readlane_b32 s7, v125, 45
	s_and_b64 s[4:5], vcc, s[4:5]
	s_and_b64 exec, exec, s[4:5]
	s_cbranch_execz .LBB127_698
; %bb.697:
	v_add_u32_e32 v0, s15, v0
	global_store_dword v[16:17], v0, off
.LBB127_698:
	s_or_b64 exec, exec, s[6:7]
	buffer_load_dword v0, off, s[0:3], 0
	buffer_load_dword v1, off, s[0:3], 0 offset:4
	buffer_load_dword v2, off, s[0:3], 0 offset:8
	;; [unrolled: 1-line block ×3, first 2 shown]
	buffer_load_dword v4, off, s[0:3], 0 offset:1024 ; 4-byte Folded Reload
	buffer_load_dword v5, off, s[0:3], 0 offset:1028 ; 4-byte Folded Reload
	v_readlane_b32 s4, v126, 0
	s_waitcnt vmcnt(0)
	global_store_dwordx4 v[4:5], v[0:3], off
	s_nop 0
	v_mov_b32_e32 v3, s4
	buffer_load_dword v0, v3, s[0:3], 0 offen
	buffer_load_dword v1, v3, s[0:3], 0 offen offset:4
	buffer_load_dword v2, v3, s[0:3], 0 offen offset:8
	s_nop 0
	buffer_load_dword v3, v3, s[0:3], 0 offen offset:12
	s_nop 0
	buffer_load_dword v4, off, s[0:3], 0 offset:1032 ; 4-byte Folded Reload
	buffer_load_dword v5, off, s[0:3], 0 offset:1036 ; 4-byte Folded Reload
	v_readlane_b32 s4, v126, 1
	s_waitcnt vmcnt(0)
	global_store_dwordx4 v[4:5], v[0:3], off
	s_nop 0
	v_mov_b32_e32 v3, s4
	buffer_load_dword v0, v3, s[0:3], 0 offen
	buffer_load_dword v1, v3, s[0:3], 0 offen offset:4
	buffer_load_dword v2, v3, s[0:3], 0 offen offset:8
	s_nop 0
	buffer_load_dword v3, v3, s[0:3], 0 offen offset:12
	s_nop 0
	;; [unrolled: 13-line block ×8, first 2 shown]
	buffer_load_dword v4, off, s[0:3], 0 offset:1088 ; 4-byte Folded Reload
	buffer_load_dword v5, off, s[0:3], 0 offset:1092 ; 4-byte Folded Reload
	s_waitcnt vmcnt(0)
	global_store_dwordx4 v[4:5], v[0:3], off
	s_nop 0
	v_mov_b32_e32 v3, s97
	buffer_load_dword v0, v3, s[0:3], 0 offen
	buffer_load_dword v1, v3, s[0:3], 0 offen offset:4
	buffer_load_dword v2, v3, s[0:3], 0 offen offset:8
	s_nop 0
	buffer_load_dword v3, v3, s[0:3], 0 offen offset:12
	s_nop 0
	buffer_load_dword v4, off, s[0:3], 0 offset:1096 ; 4-byte Folded Reload
	buffer_load_dword v5, off, s[0:3], 0 offset:1100 ; 4-byte Folded Reload
	s_waitcnt vmcnt(0)
	global_store_dwordx4 v[4:5], v[0:3], off
	s_nop 0
	v_mov_b32_e32 v3, s96
	buffer_load_dword v0, v3, s[0:3], 0 offen
	buffer_load_dword v1, v3, s[0:3], 0 offen offset:4
	buffer_load_dword v2, v3, s[0:3], 0 offen offset:8
	s_nop 0
	buffer_load_dword v3, v3, s[0:3], 0 offen offset:12
	s_nop 0
	;; [unrolled: 12-line block ×26, first 2 shown]
	buffer_load_dword v4, off, s[0:3], 0 offset:1272 ; 4-byte Folded Reload
	buffer_load_dword v5, off, s[0:3], 0 offset:1276 ; 4-byte Folded Reload
	s_waitcnt vmcnt(0)
	global_store_dwordx4 v[4:5], v[0:3], off
	v_mov_b32_e32 v4, s68
	buffer_load_dword v0, v4, s[0:3], 0 offen
	buffer_load_dword v1, v4, s[0:3], 0 offen offset:4
	buffer_load_dword v2, v4, s[0:3], 0 offen offset:8
	buffer_load_dword v3, v4, s[0:3], 0 offen offset:12
                                        ; kill: killed $vgpr4
	s_nop 0
	buffer_load_dword v4, off, s[0:3], 0 offset:1304 ; 4-byte Folded Reload
	buffer_load_dword v5, off, s[0:3], 0 offset:1308 ; 4-byte Folded Reload
	s_waitcnt vmcnt(0)
	global_store_dwordx4 v[4:5], v[0:3], off
	v_mov_b32_e32 v4, s67
	buffer_load_dword v0, v4, s[0:3], 0 offen
	buffer_load_dword v1, v4, s[0:3], 0 offen offset:4
	buffer_load_dword v2, v4, s[0:3], 0 offen offset:8
	buffer_load_dword v3, v4, s[0:3], 0 offen offset:12
                                        ; kill: killed $vgpr4
	s_nop 0
	;; [unrolled: 11-line block ×29, first 2 shown]
	buffer_load_dword v4, off, s[0:3], 0 offset:1416 ; 4-byte Folded Reload
	buffer_load_dword v5, off, s[0:3], 0 offset:1420 ; 4-byte Folded Reload
	s_waitcnt vmcnt(0)
	global_store_dwordx4 v[4:5], v[0:3], off
.LBB127_699:
	s_endpgm
	.section	.rodata,"a",@progbits
	.p2align	6, 0x0
	.amdhsa_kernel _ZN9rocsolver6v33100L23getf2_npvt_small_kernelILi64E19rocblas_complex_numIdEiiPS3_EEvT1_T3_lS5_lPT2_S5_S5_
		.amdhsa_group_segment_fixed_size 0
		.amdhsa_private_segment_fixed_size 2144
		.amdhsa_kernarg_size 312
		.amdhsa_user_sgpr_count 6
		.amdhsa_user_sgpr_private_segment_buffer 1
		.amdhsa_user_sgpr_dispatch_ptr 0
		.amdhsa_user_sgpr_queue_ptr 0
		.amdhsa_user_sgpr_kernarg_segment_ptr 1
		.amdhsa_user_sgpr_dispatch_id 0
		.amdhsa_user_sgpr_flat_scratch_init 0
		.amdhsa_user_sgpr_private_segment_size 0
		.amdhsa_uses_dynamic_stack 0
		.amdhsa_system_sgpr_private_segment_wavefront_offset 1
		.amdhsa_system_sgpr_workgroup_id_x 1
		.amdhsa_system_sgpr_workgroup_id_y 1
		.amdhsa_system_sgpr_workgroup_id_z 0
		.amdhsa_system_sgpr_workgroup_info 0
		.amdhsa_system_vgpr_workitem_id 1
		.amdhsa_next_free_vgpr 127
		.amdhsa_next_free_sgpr 100
		.amdhsa_reserve_vcc 1
		.amdhsa_reserve_flat_scratch 0
		.amdhsa_float_round_mode_32 0
		.amdhsa_float_round_mode_16_64 0
		.amdhsa_float_denorm_mode_32 3
		.amdhsa_float_denorm_mode_16_64 3
		.amdhsa_dx10_clamp 1
		.amdhsa_ieee_mode 1
		.amdhsa_fp16_overflow 0
		.amdhsa_exception_fp_ieee_invalid_op 0
		.amdhsa_exception_fp_denorm_src 0
		.amdhsa_exception_fp_ieee_div_zero 0
		.amdhsa_exception_fp_ieee_overflow 0
		.amdhsa_exception_fp_ieee_underflow 0
		.amdhsa_exception_fp_ieee_inexact 0
		.amdhsa_exception_int_div_zero 0
	.end_amdhsa_kernel
	.section	.text._ZN9rocsolver6v33100L23getf2_npvt_small_kernelILi64E19rocblas_complex_numIdEiiPS3_EEvT1_T3_lS5_lPT2_S5_S5_,"axG",@progbits,_ZN9rocsolver6v33100L23getf2_npvt_small_kernelILi64E19rocblas_complex_numIdEiiPS3_EEvT1_T3_lS5_lPT2_S5_S5_,comdat
.Lfunc_end127:
	.size	_ZN9rocsolver6v33100L23getf2_npvt_small_kernelILi64E19rocblas_complex_numIdEiiPS3_EEvT1_T3_lS5_lPT2_S5_S5_, .Lfunc_end127-_ZN9rocsolver6v33100L23getf2_npvt_small_kernelILi64E19rocblas_complex_numIdEiiPS3_EEvT1_T3_lS5_lPT2_S5_S5_
                                        ; -- End function
	.set _ZN9rocsolver6v33100L23getf2_npvt_small_kernelILi64E19rocblas_complex_numIdEiiPS3_EEvT1_T3_lS5_lPT2_S5_S5_.num_vgpr, 127
	.set _ZN9rocsolver6v33100L23getf2_npvt_small_kernelILi64E19rocblas_complex_numIdEiiPS3_EEvT1_T3_lS5_lPT2_S5_S5_.num_agpr, 0
	.set _ZN9rocsolver6v33100L23getf2_npvt_small_kernelILi64E19rocblas_complex_numIdEiiPS3_EEvT1_T3_lS5_lPT2_S5_S5_.numbered_sgpr, 100
	.set _ZN9rocsolver6v33100L23getf2_npvt_small_kernelILi64E19rocblas_complex_numIdEiiPS3_EEvT1_T3_lS5_lPT2_S5_S5_.num_named_barrier, 0
	.set _ZN9rocsolver6v33100L23getf2_npvt_small_kernelILi64E19rocblas_complex_numIdEiiPS3_EEvT1_T3_lS5_lPT2_S5_S5_.private_seg_size, 2144
	.set _ZN9rocsolver6v33100L23getf2_npvt_small_kernelILi64E19rocblas_complex_numIdEiiPS3_EEvT1_T3_lS5_lPT2_S5_S5_.uses_vcc, 1
	.set _ZN9rocsolver6v33100L23getf2_npvt_small_kernelILi64E19rocblas_complex_numIdEiiPS3_EEvT1_T3_lS5_lPT2_S5_S5_.uses_flat_scratch, 0
	.set _ZN9rocsolver6v33100L23getf2_npvt_small_kernelILi64E19rocblas_complex_numIdEiiPS3_EEvT1_T3_lS5_lPT2_S5_S5_.has_dyn_sized_stack, 0
	.set _ZN9rocsolver6v33100L23getf2_npvt_small_kernelILi64E19rocblas_complex_numIdEiiPS3_EEvT1_T3_lS5_lPT2_S5_S5_.has_recursion, 0
	.set _ZN9rocsolver6v33100L23getf2_npvt_small_kernelILi64E19rocblas_complex_numIdEiiPS3_EEvT1_T3_lS5_lPT2_S5_S5_.has_indirect_call, 0
	.section	.AMDGPU.csdata,"",@progbits
; Kernel info:
; codeLenInByte = 192628
; TotalNumSgprs: 104
; NumVgprs: 127
; ScratchSize: 2144
; MemoryBound: 0
; FloatMode: 240
; IeeeMode: 1
; LDSByteSize: 0 bytes/workgroup (compile time only)
; SGPRBlocks: 12
; VGPRBlocks: 31
; NumSGPRsForWavesPerEU: 104
; NumVGPRsForWavesPerEU: 127
; Occupancy: 2
; WaveLimiterHint : 1
; COMPUTE_PGM_RSRC2:SCRATCH_EN: 1
; COMPUTE_PGM_RSRC2:USER_SGPR: 6
; COMPUTE_PGM_RSRC2:TRAP_HANDLER: 0
; COMPUTE_PGM_RSRC2:TGID_X_EN: 1
; COMPUTE_PGM_RSRC2:TGID_Y_EN: 1
; COMPUTE_PGM_RSRC2:TGID_Z_EN: 0
; COMPUTE_PGM_RSRC2:TIDIG_COMP_CNT: 1
	.section	.AMDGPU.gpr_maximums,"",@progbits
	.set amdgpu.max_num_vgpr, 0
	.set amdgpu.max_num_agpr, 0
	.set amdgpu.max_num_sgpr, 0
	.section	.AMDGPU.csdata,"",@progbits
	.type	__hip_cuid_22e4ab244f512e7d,@object ; @__hip_cuid_22e4ab244f512e7d
	.section	.bss,"aw",@nobits
	.globl	__hip_cuid_22e4ab244f512e7d
__hip_cuid_22e4ab244f512e7d:
	.byte	0                               ; 0x0
	.size	__hip_cuid_22e4ab244f512e7d, 1

	.ident	"AMD clang version 22.0.0git (https://github.com/RadeonOpenCompute/llvm-project roc-7.2.4 26084 f58b06dce1f9c15707c5f808fd002e18c2accf7e)"
	.section	".note.GNU-stack","",@progbits
	.addrsig
	.addrsig_sym __hip_cuid_22e4ab244f512e7d
	.amdgpu_metadata
---
amdhsa.kernels:
  - .args:
      - .offset:         0
        .size:           4
        .value_kind:     by_value
      - .address_space:  global
        .offset:         8
        .size:           8
        .value_kind:     global_buffer
      - .offset:         16
        .size:           8
        .value_kind:     by_value
      - .offset:         24
        .size:           4
        .value_kind:     by_value
      - .offset:         32
        .size:           8
        .value_kind:     by_value
      - .address_space:  global
        .offset:         40
        .size:           8
        .value_kind:     global_buffer
      - .offset:         48
        .size:           8
        .value_kind:     by_value
      - .offset:         56
        .size:           8
        .value_kind:     by_value
      - .address_space:  global
        .offset:         64
        .size:           8
        .value_kind:     global_buffer
      - .offset:         72
        .size:           4
        .value_kind:     by_value
      - .offset:         76
        .size:           4
        .value_kind:     by_value
      - .address_space:  global
        .offset:         80
        .size:           8
        .value_kind:     global_buffer
      - .offset:         88
        .size:           8
        .value_kind:     by_value
      - .offset:         96
        .size:           4
        .value_kind:     hidden_block_count_x
      - .offset:         100
        .size:           4
        .value_kind:     hidden_block_count_y
      - .offset:         104
        .size:           4
        .value_kind:     hidden_block_count_z
      - .offset:         108
        .size:           2
        .value_kind:     hidden_group_size_x
      - .offset:         110
        .size:           2
        .value_kind:     hidden_group_size_y
      - .offset:         112
        .size:           2
        .value_kind:     hidden_group_size_z
      - .offset:         114
        .size:           2
        .value_kind:     hidden_remainder_x
      - .offset:         116
        .size:           2
        .value_kind:     hidden_remainder_y
      - .offset:         118
        .size:           2
        .value_kind:     hidden_remainder_z
      - .offset:         136
        .size:           8
        .value_kind:     hidden_global_offset_x
      - .offset:         144
        .size:           8
        .value_kind:     hidden_global_offset_y
      - .offset:         152
        .size:           8
        .value_kind:     hidden_global_offset_z
      - .offset:         160
        .size:           2
        .value_kind:     hidden_grid_dims
      - .offset:         216
        .size:           4
        .value_kind:     hidden_dynamic_lds_size
    .group_segment_fixed_size: 0
    .kernarg_segment_align: 8
    .kernarg_segment_size: 352
    .language:       OpenCL C
    .language_version:
      - 2
      - 0
    .max_flat_workgroup_size: 512
    .name:           _ZN9rocsolver6v33100L18getf2_small_kernelILi1E19rocblas_complex_numIdEiiPS3_EEvT1_T3_lS5_lPS5_llPT2_S5_S5_S7_l
    .private_segment_fixed_size: 0
    .sgpr_count:     24
    .sgpr_spill_count: 0
    .symbol:         _ZN9rocsolver6v33100L18getf2_small_kernelILi1E19rocblas_complex_numIdEiiPS3_EEvT1_T3_lS5_lPS5_llPT2_S5_S5_S7_l.kd
    .uniform_work_group_size: 1
    .uses_dynamic_stack: false
    .vgpr_count:     27
    .vgpr_spill_count: 0
    .wavefront_size: 64
  - .args:
      - .offset:         0
        .size:           4
        .value_kind:     by_value
      - .address_space:  global
        .offset:         8
        .size:           8
        .value_kind:     global_buffer
      - .offset:         16
        .size:           8
        .value_kind:     by_value
      - .offset:         24
        .size:           4
        .value_kind:     by_value
      - .offset:         32
        .size:           8
        .value_kind:     by_value
      - .address_space:  global
        .offset:         40
        .size:           8
        .value_kind:     global_buffer
      - .offset:         48
        .size:           4
        .value_kind:     by_value
      - .offset:         52
        .size:           4
        .value_kind:     by_value
      - .offset:         56
        .size:           4
        .value_kind:     hidden_block_count_x
      - .offset:         60
        .size:           4
        .value_kind:     hidden_block_count_y
      - .offset:         64
        .size:           4
        .value_kind:     hidden_block_count_z
      - .offset:         68
        .size:           2
        .value_kind:     hidden_group_size_x
      - .offset:         70
        .size:           2
        .value_kind:     hidden_group_size_y
      - .offset:         72
        .size:           2
        .value_kind:     hidden_group_size_z
      - .offset:         74
        .size:           2
        .value_kind:     hidden_remainder_x
      - .offset:         76
        .size:           2
        .value_kind:     hidden_remainder_y
      - .offset:         78
        .size:           2
        .value_kind:     hidden_remainder_z
      - .offset:         96
        .size:           8
        .value_kind:     hidden_global_offset_x
      - .offset:         104
        .size:           8
        .value_kind:     hidden_global_offset_y
      - .offset:         112
        .size:           8
        .value_kind:     hidden_global_offset_z
      - .offset:         120
        .size:           2
        .value_kind:     hidden_grid_dims
      - .offset:         176
        .size:           4
        .value_kind:     hidden_dynamic_lds_size
    .group_segment_fixed_size: 0
    .kernarg_segment_align: 8
    .kernarg_segment_size: 312
    .language:       OpenCL C
    .language_version:
      - 2
      - 0
    .max_flat_workgroup_size: 512
    .name:           _ZN9rocsolver6v33100L23getf2_npvt_small_kernelILi1E19rocblas_complex_numIdEiiPS3_EEvT1_T3_lS5_lPT2_S5_S5_
    .private_segment_fixed_size: 0
    .sgpr_count:     24
    .sgpr_spill_count: 0
    .symbol:         _ZN9rocsolver6v33100L23getf2_npvt_small_kernelILi1E19rocblas_complex_numIdEiiPS3_EEvT1_T3_lS5_lPT2_S5_S5_.kd
    .uniform_work_group_size: 1
    .uses_dynamic_stack: false
    .vgpr_count:     22
    .vgpr_spill_count: 0
    .wavefront_size: 64
  - .args:
      - .offset:         0
        .size:           4
        .value_kind:     by_value
      - .address_space:  global
        .offset:         8
        .size:           8
        .value_kind:     global_buffer
      - .offset:         16
        .size:           8
        .value_kind:     by_value
      - .offset:         24
        .size:           4
        .value_kind:     by_value
      - .offset:         32
        .size:           8
        .value_kind:     by_value
      - .address_space:  global
        .offset:         40
        .size:           8
        .value_kind:     global_buffer
      - .offset:         48
        .size:           8
        .value_kind:     by_value
      - .offset:         56
        .size:           8
        .value_kind:     by_value
      - .address_space:  global
        .offset:         64
        .size:           8
        .value_kind:     global_buffer
      - .offset:         72
        .size:           4
        .value_kind:     by_value
      - .offset:         76
        .size:           4
        .value_kind:     by_value
      - .address_space:  global
        .offset:         80
        .size:           8
        .value_kind:     global_buffer
      - .offset:         88
        .size:           8
        .value_kind:     by_value
      - .offset:         96
        .size:           4
        .value_kind:     hidden_block_count_x
      - .offset:         100
        .size:           4
        .value_kind:     hidden_block_count_y
      - .offset:         104
        .size:           4
        .value_kind:     hidden_block_count_z
      - .offset:         108
        .size:           2
        .value_kind:     hidden_group_size_x
      - .offset:         110
        .size:           2
        .value_kind:     hidden_group_size_y
      - .offset:         112
        .size:           2
        .value_kind:     hidden_group_size_z
      - .offset:         114
        .size:           2
        .value_kind:     hidden_remainder_x
      - .offset:         116
        .size:           2
        .value_kind:     hidden_remainder_y
      - .offset:         118
        .size:           2
        .value_kind:     hidden_remainder_z
      - .offset:         136
        .size:           8
        .value_kind:     hidden_global_offset_x
      - .offset:         144
        .size:           8
        .value_kind:     hidden_global_offset_y
      - .offset:         152
        .size:           8
        .value_kind:     hidden_global_offset_z
      - .offset:         160
        .size:           2
        .value_kind:     hidden_grid_dims
      - .offset:         216
        .size:           4
        .value_kind:     hidden_dynamic_lds_size
    .group_segment_fixed_size: 0
    .kernarg_segment_align: 8
    .kernarg_segment_size: 352
    .language:       OpenCL C
    .language_version:
      - 2
      - 0
    .max_flat_workgroup_size: 512
    .name:           _ZN9rocsolver6v33100L18getf2_small_kernelILi2E19rocblas_complex_numIdEiiPS3_EEvT1_T3_lS5_lPS5_llPT2_S5_S5_S7_l
    .private_segment_fixed_size: 0
    .sgpr_count:     26
    .sgpr_spill_count: 0
    .symbol:         _ZN9rocsolver6v33100L18getf2_small_kernelILi2E19rocblas_complex_numIdEiiPS3_EEvT1_T3_lS5_lPS5_llPT2_S5_S5_S7_l.kd
    .uniform_work_group_size: 1
    .uses_dynamic_stack: false
    .vgpr_count:     34
    .vgpr_spill_count: 0
    .wavefront_size: 64
  - .args:
      - .offset:         0
        .size:           4
        .value_kind:     by_value
      - .address_space:  global
        .offset:         8
        .size:           8
        .value_kind:     global_buffer
      - .offset:         16
        .size:           8
        .value_kind:     by_value
      - .offset:         24
        .size:           4
        .value_kind:     by_value
      - .offset:         32
        .size:           8
        .value_kind:     by_value
      - .address_space:  global
        .offset:         40
        .size:           8
        .value_kind:     global_buffer
      - .offset:         48
        .size:           4
        .value_kind:     by_value
      - .offset:         52
        .size:           4
        .value_kind:     by_value
      - .offset:         56
        .size:           4
        .value_kind:     hidden_block_count_x
      - .offset:         60
        .size:           4
        .value_kind:     hidden_block_count_y
      - .offset:         64
        .size:           4
        .value_kind:     hidden_block_count_z
      - .offset:         68
        .size:           2
        .value_kind:     hidden_group_size_x
      - .offset:         70
        .size:           2
        .value_kind:     hidden_group_size_y
      - .offset:         72
        .size:           2
        .value_kind:     hidden_group_size_z
      - .offset:         74
        .size:           2
        .value_kind:     hidden_remainder_x
      - .offset:         76
        .size:           2
        .value_kind:     hidden_remainder_y
      - .offset:         78
        .size:           2
        .value_kind:     hidden_remainder_z
      - .offset:         96
        .size:           8
        .value_kind:     hidden_global_offset_x
      - .offset:         104
        .size:           8
        .value_kind:     hidden_global_offset_y
      - .offset:         112
        .size:           8
        .value_kind:     hidden_global_offset_z
      - .offset:         120
        .size:           2
        .value_kind:     hidden_grid_dims
      - .offset:         176
        .size:           4
        .value_kind:     hidden_dynamic_lds_size
    .group_segment_fixed_size: 0
    .kernarg_segment_align: 8
    .kernarg_segment_size: 312
    .language:       OpenCL C
    .language_version:
      - 2
      - 0
    .max_flat_workgroup_size: 512
    .name:           _ZN9rocsolver6v33100L23getf2_npvt_small_kernelILi2E19rocblas_complex_numIdEiiPS3_EEvT1_T3_lS5_lPT2_S5_S5_
    .private_segment_fixed_size: 0
    .sgpr_count:     24
    .sgpr_spill_count: 0
    .symbol:         _ZN9rocsolver6v33100L23getf2_npvt_small_kernelILi2E19rocblas_complex_numIdEiiPS3_EEvT1_T3_lS5_lPT2_S5_S5_.kd
    .uniform_work_group_size: 1
    .uses_dynamic_stack: false
    .vgpr_count:     32
    .vgpr_spill_count: 0
    .wavefront_size: 64
  - .args:
      - .offset:         0
        .size:           4
        .value_kind:     by_value
      - .address_space:  global
        .offset:         8
        .size:           8
        .value_kind:     global_buffer
      - .offset:         16
        .size:           8
        .value_kind:     by_value
      - .offset:         24
        .size:           4
        .value_kind:     by_value
      - .offset:         32
        .size:           8
        .value_kind:     by_value
      - .address_space:  global
        .offset:         40
        .size:           8
        .value_kind:     global_buffer
      - .offset:         48
        .size:           8
        .value_kind:     by_value
      - .offset:         56
        .size:           8
        .value_kind:     by_value
      - .address_space:  global
        .offset:         64
        .size:           8
        .value_kind:     global_buffer
      - .offset:         72
        .size:           4
        .value_kind:     by_value
      - .offset:         76
        .size:           4
        .value_kind:     by_value
      - .address_space:  global
        .offset:         80
        .size:           8
        .value_kind:     global_buffer
      - .offset:         88
        .size:           8
        .value_kind:     by_value
      - .offset:         96
        .size:           4
        .value_kind:     hidden_block_count_x
      - .offset:         100
        .size:           4
        .value_kind:     hidden_block_count_y
      - .offset:         104
        .size:           4
        .value_kind:     hidden_block_count_z
      - .offset:         108
        .size:           2
        .value_kind:     hidden_group_size_x
      - .offset:         110
        .size:           2
        .value_kind:     hidden_group_size_y
      - .offset:         112
        .size:           2
        .value_kind:     hidden_group_size_z
      - .offset:         114
        .size:           2
        .value_kind:     hidden_remainder_x
      - .offset:         116
        .size:           2
        .value_kind:     hidden_remainder_y
      - .offset:         118
        .size:           2
        .value_kind:     hidden_remainder_z
      - .offset:         136
        .size:           8
        .value_kind:     hidden_global_offset_x
      - .offset:         144
        .size:           8
        .value_kind:     hidden_global_offset_y
      - .offset:         152
        .size:           8
        .value_kind:     hidden_global_offset_z
      - .offset:         160
        .size:           2
        .value_kind:     hidden_grid_dims
      - .offset:         216
        .size:           4
        .value_kind:     hidden_dynamic_lds_size
    .group_segment_fixed_size: 0
    .kernarg_segment_align: 8
    .kernarg_segment_size: 352
    .language:       OpenCL C
    .language_version:
      - 2
      - 0
    .max_flat_workgroup_size: 512
    .name:           _ZN9rocsolver6v33100L18getf2_small_kernelILi3E19rocblas_complex_numIdEiiPS3_EEvT1_T3_lS5_lPS5_llPT2_S5_S5_S7_l
    .private_segment_fixed_size: 0
    .sgpr_count:     28
    .sgpr_spill_count: 0
    .symbol:         _ZN9rocsolver6v33100L18getf2_small_kernelILi3E19rocblas_complex_numIdEiiPS3_EEvT1_T3_lS5_lPS5_llPT2_S5_S5_S7_l.kd
    .uniform_work_group_size: 1
    .uses_dynamic_stack: false
    .vgpr_count:     42
    .vgpr_spill_count: 0
    .wavefront_size: 64
  - .args:
      - .offset:         0
        .size:           4
        .value_kind:     by_value
      - .address_space:  global
        .offset:         8
        .size:           8
        .value_kind:     global_buffer
      - .offset:         16
        .size:           8
        .value_kind:     by_value
      - .offset:         24
        .size:           4
        .value_kind:     by_value
      - .offset:         32
        .size:           8
        .value_kind:     by_value
      - .address_space:  global
        .offset:         40
        .size:           8
        .value_kind:     global_buffer
      - .offset:         48
        .size:           4
        .value_kind:     by_value
      - .offset:         52
        .size:           4
        .value_kind:     by_value
      - .offset:         56
        .size:           4
        .value_kind:     hidden_block_count_x
      - .offset:         60
        .size:           4
        .value_kind:     hidden_block_count_y
      - .offset:         64
        .size:           4
        .value_kind:     hidden_block_count_z
      - .offset:         68
        .size:           2
        .value_kind:     hidden_group_size_x
      - .offset:         70
        .size:           2
        .value_kind:     hidden_group_size_y
      - .offset:         72
        .size:           2
        .value_kind:     hidden_group_size_z
      - .offset:         74
        .size:           2
        .value_kind:     hidden_remainder_x
      - .offset:         76
        .size:           2
        .value_kind:     hidden_remainder_y
      - .offset:         78
        .size:           2
        .value_kind:     hidden_remainder_z
      - .offset:         96
        .size:           8
        .value_kind:     hidden_global_offset_x
      - .offset:         104
        .size:           8
        .value_kind:     hidden_global_offset_y
      - .offset:         112
        .size:           8
        .value_kind:     hidden_global_offset_z
      - .offset:         120
        .size:           2
        .value_kind:     hidden_grid_dims
      - .offset:         176
        .size:           4
        .value_kind:     hidden_dynamic_lds_size
    .group_segment_fixed_size: 0
    .kernarg_segment_align: 8
    .kernarg_segment_size: 312
    .language:       OpenCL C
    .language_version:
      - 2
      - 0
    .max_flat_workgroup_size: 512
    .name:           _ZN9rocsolver6v33100L23getf2_npvt_small_kernelILi3E19rocblas_complex_numIdEiiPS3_EEvT1_T3_lS5_lPT2_S5_S5_
    .private_segment_fixed_size: 0
    .sgpr_count:     24
    .sgpr_spill_count: 0
    .symbol:         _ZN9rocsolver6v33100L23getf2_npvt_small_kernelILi3E19rocblas_complex_numIdEiiPS3_EEvT1_T3_lS5_lPT2_S5_S5_.kd
    .uniform_work_group_size: 1
    .uses_dynamic_stack: false
    .vgpr_count:     43
    .vgpr_spill_count: 0
    .wavefront_size: 64
  - .args:
      - .offset:         0
        .size:           4
        .value_kind:     by_value
      - .address_space:  global
        .offset:         8
        .size:           8
        .value_kind:     global_buffer
      - .offset:         16
        .size:           8
        .value_kind:     by_value
      - .offset:         24
        .size:           4
        .value_kind:     by_value
      - .offset:         32
        .size:           8
        .value_kind:     by_value
      - .address_space:  global
        .offset:         40
        .size:           8
        .value_kind:     global_buffer
      - .offset:         48
        .size:           8
        .value_kind:     by_value
      - .offset:         56
        .size:           8
        .value_kind:     by_value
      - .address_space:  global
        .offset:         64
        .size:           8
        .value_kind:     global_buffer
      - .offset:         72
        .size:           4
        .value_kind:     by_value
      - .offset:         76
        .size:           4
        .value_kind:     by_value
      - .address_space:  global
        .offset:         80
        .size:           8
        .value_kind:     global_buffer
      - .offset:         88
        .size:           8
        .value_kind:     by_value
      - .offset:         96
        .size:           4
        .value_kind:     hidden_block_count_x
      - .offset:         100
        .size:           4
        .value_kind:     hidden_block_count_y
      - .offset:         104
        .size:           4
        .value_kind:     hidden_block_count_z
      - .offset:         108
        .size:           2
        .value_kind:     hidden_group_size_x
      - .offset:         110
        .size:           2
        .value_kind:     hidden_group_size_y
      - .offset:         112
        .size:           2
        .value_kind:     hidden_group_size_z
      - .offset:         114
        .size:           2
        .value_kind:     hidden_remainder_x
      - .offset:         116
        .size:           2
        .value_kind:     hidden_remainder_y
      - .offset:         118
        .size:           2
        .value_kind:     hidden_remainder_z
      - .offset:         136
        .size:           8
        .value_kind:     hidden_global_offset_x
      - .offset:         144
        .size:           8
        .value_kind:     hidden_global_offset_y
      - .offset:         152
        .size:           8
        .value_kind:     hidden_global_offset_z
      - .offset:         160
        .size:           2
        .value_kind:     hidden_grid_dims
      - .offset:         216
        .size:           4
        .value_kind:     hidden_dynamic_lds_size
    .group_segment_fixed_size: 0
    .kernarg_segment_align: 8
    .kernarg_segment_size: 352
    .language:       OpenCL C
    .language_version:
      - 2
      - 0
    .max_flat_workgroup_size: 512
    .name:           _ZN9rocsolver6v33100L18getf2_small_kernelILi4E19rocblas_complex_numIdEiiPS3_EEvT1_T3_lS5_lPS5_llPT2_S5_S5_S7_l
    .private_segment_fixed_size: 0
    .sgpr_count:     30
    .sgpr_spill_count: 0
    .symbol:         _ZN9rocsolver6v33100L18getf2_small_kernelILi4E19rocblas_complex_numIdEiiPS3_EEvT1_T3_lS5_lPS5_llPT2_S5_S5_S7_l.kd
    .uniform_work_group_size: 1
    .uses_dynamic_stack: false
    .vgpr_count:     44
    .vgpr_spill_count: 0
    .wavefront_size: 64
  - .args:
      - .offset:         0
        .size:           4
        .value_kind:     by_value
      - .address_space:  global
        .offset:         8
        .size:           8
        .value_kind:     global_buffer
      - .offset:         16
        .size:           8
        .value_kind:     by_value
      - .offset:         24
        .size:           4
        .value_kind:     by_value
      - .offset:         32
        .size:           8
        .value_kind:     by_value
      - .address_space:  global
        .offset:         40
        .size:           8
        .value_kind:     global_buffer
      - .offset:         48
        .size:           4
        .value_kind:     by_value
      - .offset:         52
        .size:           4
        .value_kind:     by_value
      - .offset:         56
        .size:           4
        .value_kind:     hidden_block_count_x
      - .offset:         60
        .size:           4
        .value_kind:     hidden_block_count_y
      - .offset:         64
        .size:           4
        .value_kind:     hidden_block_count_z
      - .offset:         68
        .size:           2
        .value_kind:     hidden_group_size_x
      - .offset:         70
        .size:           2
        .value_kind:     hidden_group_size_y
      - .offset:         72
        .size:           2
        .value_kind:     hidden_group_size_z
      - .offset:         74
        .size:           2
        .value_kind:     hidden_remainder_x
      - .offset:         76
        .size:           2
        .value_kind:     hidden_remainder_y
      - .offset:         78
        .size:           2
        .value_kind:     hidden_remainder_z
      - .offset:         96
        .size:           8
        .value_kind:     hidden_global_offset_x
      - .offset:         104
        .size:           8
        .value_kind:     hidden_global_offset_y
      - .offset:         112
        .size:           8
        .value_kind:     hidden_global_offset_z
      - .offset:         120
        .size:           2
        .value_kind:     hidden_grid_dims
      - .offset:         176
        .size:           4
        .value_kind:     hidden_dynamic_lds_size
    .group_segment_fixed_size: 0
    .kernarg_segment_align: 8
    .kernarg_segment_size: 312
    .language:       OpenCL C
    .language_version:
      - 2
      - 0
    .max_flat_workgroup_size: 512
    .name:           _ZN9rocsolver6v33100L23getf2_npvt_small_kernelILi4E19rocblas_complex_numIdEiiPS3_EEvT1_T3_lS5_lPT2_S5_S5_
    .private_segment_fixed_size: 0
    .sgpr_count:     24
    .sgpr_spill_count: 0
    .symbol:         _ZN9rocsolver6v33100L23getf2_npvt_small_kernelILi4E19rocblas_complex_numIdEiiPS3_EEvT1_T3_lS5_lPT2_S5_S5_.kd
    .uniform_work_group_size: 1
    .uses_dynamic_stack: false
    .vgpr_count:     57
    .vgpr_spill_count: 0
    .wavefront_size: 64
  - .args:
      - .offset:         0
        .size:           4
        .value_kind:     by_value
      - .address_space:  global
        .offset:         8
        .size:           8
        .value_kind:     global_buffer
      - .offset:         16
        .size:           8
        .value_kind:     by_value
      - .offset:         24
        .size:           4
        .value_kind:     by_value
      - .offset:         32
        .size:           8
        .value_kind:     by_value
      - .address_space:  global
        .offset:         40
        .size:           8
        .value_kind:     global_buffer
      - .offset:         48
        .size:           8
        .value_kind:     by_value
      - .offset:         56
        .size:           8
        .value_kind:     by_value
      - .address_space:  global
        .offset:         64
        .size:           8
        .value_kind:     global_buffer
      - .offset:         72
        .size:           4
        .value_kind:     by_value
      - .offset:         76
        .size:           4
        .value_kind:     by_value
      - .address_space:  global
        .offset:         80
        .size:           8
        .value_kind:     global_buffer
      - .offset:         88
        .size:           8
        .value_kind:     by_value
      - .offset:         96
        .size:           4
        .value_kind:     hidden_block_count_x
      - .offset:         100
        .size:           4
        .value_kind:     hidden_block_count_y
      - .offset:         104
        .size:           4
        .value_kind:     hidden_block_count_z
      - .offset:         108
        .size:           2
        .value_kind:     hidden_group_size_x
      - .offset:         110
        .size:           2
        .value_kind:     hidden_group_size_y
      - .offset:         112
        .size:           2
        .value_kind:     hidden_group_size_z
      - .offset:         114
        .size:           2
        .value_kind:     hidden_remainder_x
      - .offset:         116
        .size:           2
        .value_kind:     hidden_remainder_y
      - .offset:         118
        .size:           2
        .value_kind:     hidden_remainder_z
      - .offset:         136
        .size:           8
        .value_kind:     hidden_global_offset_x
      - .offset:         144
        .size:           8
        .value_kind:     hidden_global_offset_y
      - .offset:         152
        .size:           8
        .value_kind:     hidden_global_offset_z
      - .offset:         160
        .size:           2
        .value_kind:     hidden_grid_dims
      - .offset:         216
        .size:           4
        .value_kind:     hidden_dynamic_lds_size
    .group_segment_fixed_size: 0
    .kernarg_segment_align: 8
    .kernarg_segment_size: 352
    .language:       OpenCL C
    .language_version:
      - 2
      - 0
    .max_flat_workgroup_size: 512
    .name:           _ZN9rocsolver6v33100L18getf2_small_kernelILi5E19rocblas_complex_numIdEiiPS3_EEvT1_T3_lS5_lPS5_llPT2_S5_S5_S7_l
    .private_segment_fixed_size: 0
    .sgpr_count:     28
    .sgpr_spill_count: 0
    .symbol:         _ZN9rocsolver6v33100L18getf2_small_kernelILi5E19rocblas_complex_numIdEiiPS3_EEvT1_T3_lS5_lPS5_llPT2_S5_S5_S7_l.kd
    .uniform_work_group_size: 1
    .uses_dynamic_stack: false
    .vgpr_count:     55
    .vgpr_spill_count: 0
    .wavefront_size: 64
  - .args:
      - .offset:         0
        .size:           4
        .value_kind:     by_value
      - .address_space:  global
        .offset:         8
        .size:           8
        .value_kind:     global_buffer
      - .offset:         16
        .size:           8
        .value_kind:     by_value
      - .offset:         24
        .size:           4
        .value_kind:     by_value
      - .offset:         32
        .size:           8
        .value_kind:     by_value
      - .address_space:  global
        .offset:         40
        .size:           8
        .value_kind:     global_buffer
      - .offset:         48
        .size:           4
        .value_kind:     by_value
      - .offset:         52
        .size:           4
        .value_kind:     by_value
      - .offset:         56
        .size:           4
        .value_kind:     hidden_block_count_x
      - .offset:         60
        .size:           4
        .value_kind:     hidden_block_count_y
      - .offset:         64
        .size:           4
        .value_kind:     hidden_block_count_z
      - .offset:         68
        .size:           2
        .value_kind:     hidden_group_size_x
      - .offset:         70
        .size:           2
        .value_kind:     hidden_group_size_y
      - .offset:         72
        .size:           2
        .value_kind:     hidden_group_size_z
      - .offset:         74
        .size:           2
        .value_kind:     hidden_remainder_x
      - .offset:         76
        .size:           2
        .value_kind:     hidden_remainder_y
      - .offset:         78
        .size:           2
        .value_kind:     hidden_remainder_z
      - .offset:         96
        .size:           8
        .value_kind:     hidden_global_offset_x
      - .offset:         104
        .size:           8
        .value_kind:     hidden_global_offset_y
      - .offset:         112
        .size:           8
        .value_kind:     hidden_global_offset_z
      - .offset:         120
        .size:           2
        .value_kind:     hidden_grid_dims
      - .offset:         176
        .size:           4
        .value_kind:     hidden_dynamic_lds_size
    .group_segment_fixed_size: 0
    .kernarg_segment_align: 8
    .kernarg_segment_size: 312
    .language:       OpenCL C
    .language_version:
      - 2
      - 0
    .max_flat_workgroup_size: 512
    .name:           _ZN9rocsolver6v33100L23getf2_npvt_small_kernelILi5E19rocblas_complex_numIdEiiPS3_EEvT1_T3_lS5_lPT2_S5_S5_
    .private_segment_fixed_size: 0
    .sgpr_count:     26
    .sgpr_spill_count: 0
    .symbol:         _ZN9rocsolver6v33100L23getf2_npvt_small_kernelILi5E19rocblas_complex_numIdEiiPS3_EEvT1_T3_lS5_lPT2_S5_S5_.kd
    .uniform_work_group_size: 1
    .uses_dynamic_stack: false
    .vgpr_count:     62
    .vgpr_spill_count: 0
    .wavefront_size: 64
  - .args:
      - .offset:         0
        .size:           4
        .value_kind:     by_value
      - .address_space:  global
        .offset:         8
        .size:           8
        .value_kind:     global_buffer
      - .offset:         16
        .size:           8
        .value_kind:     by_value
      - .offset:         24
        .size:           4
        .value_kind:     by_value
      - .offset:         32
        .size:           8
        .value_kind:     by_value
      - .address_space:  global
        .offset:         40
        .size:           8
        .value_kind:     global_buffer
      - .offset:         48
        .size:           8
        .value_kind:     by_value
      - .offset:         56
        .size:           8
        .value_kind:     by_value
      - .address_space:  global
        .offset:         64
        .size:           8
        .value_kind:     global_buffer
      - .offset:         72
        .size:           4
        .value_kind:     by_value
      - .offset:         76
        .size:           4
        .value_kind:     by_value
      - .address_space:  global
        .offset:         80
        .size:           8
        .value_kind:     global_buffer
      - .offset:         88
        .size:           8
        .value_kind:     by_value
      - .offset:         96
        .size:           4
        .value_kind:     hidden_block_count_x
      - .offset:         100
        .size:           4
        .value_kind:     hidden_block_count_y
      - .offset:         104
        .size:           4
        .value_kind:     hidden_block_count_z
      - .offset:         108
        .size:           2
        .value_kind:     hidden_group_size_x
      - .offset:         110
        .size:           2
        .value_kind:     hidden_group_size_y
      - .offset:         112
        .size:           2
        .value_kind:     hidden_group_size_z
      - .offset:         114
        .size:           2
        .value_kind:     hidden_remainder_x
      - .offset:         116
        .size:           2
        .value_kind:     hidden_remainder_y
      - .offset:         118
        .size:           2
        .value_kind:     hidden_remainder_z
      - .offset:         136
        .size:           8
        .value_kind:     hidden_global_offset_x
      - .offset:         144
        .size:           8
        .value_kind:     hidden_global_offset_y
      - .offset:         152
        .size:           8
        .value_kind:     hidden_global_offset_z
      - .offset:         160
        .size:           2
        .value_kind:     hidden_grid_dims
      - .offset:         216
        .size:           4
        .value_kind:     hidden_dynamic_lds_size
    .group_segment_fixed_size: 0
    .kernarg_segment_align: 8
    .kernarg_segment_size: 352
    .language:       OpenCL C
    .language_version:
      - 2
      - 0
    .max_flat_workgroup_size: 512
    .name:           _ZN9rocsolver6v33100L18getf2_small_kernelILi6E19rocblas_complex_numIdEiiPS3_EEvT1_T3_lS5_lPS5_llPT2_S5_S5_S7_l
    .private_segment_fixed_size: 0
    .sgpr_count:     28
    .sgpr_spill_count: 0
    .symbol:         _ZN9rocsolver6v33100L18getf2_small_kernelILi6E19rocblas_complex_numIdEiiPS3_EEvT1_T3_lS5_lPS5_llPT2_S5_S5_S7_l.kd
    .uniform_work_group_size: 1
    .uses_dynamic_stack: false
    .vgpr_count:     59
    .vgpr_spill_count: 0
    .wavefront_size: 64
  - .args:
      - .offset:         0
        .size:           4
        .value_kind:     by_value
      - .address_space:  global
        .offset:         8
        .size:           8
        .value_kind:     global_buffer
      - .offset:         16
        .size:           8
        .value_kind:     by_value
      - .offset:         24
        .size:           4
        .value_kind:     by_value
      - .offset:         32
        .size:           8
        .value_kind:     by_value
      - .address_space:  global
        .offset:         40
        .size:           8
        .value_kind:     global_buffer
      - .offset:         48
        .size:           4
        .value_kind:     by_value
      - .offset:         52
        .size:           4
        .value_kind:     by_value
      - .offset:         56
        .size:           4
        .value_kind:     hidden_block_count_x
      - .offset:         60
        .size:           4
        .value_kind:     hidden_block_count_y
      - .offset:         64
        .size:           4
        .value_kind:     hidden_block_count_z
      - .offset:         68
        .size:           2
        .value_kind:     hidden_group_size_x
      - .offset:         70
        .size:           2
        .value_kind:     hidden_group_size_y
      - .offset:         72
        .size:           2
        .value_kind:     hidden_group_size_z
      - .offset:         74
        .size:           2
        .value_kind:     hidden_remainder_x
      - .offset:         76
        .size:           2
        .value_kind:     hidden_remainder_y
      - .offset:         78
        .size:           2
        .value_kind:     hidden_remainder_z
      - .offset:         96
        .size:           8
        .value_kind:     hidden_global_offset_x
      - .offset:         104
        .size:           8
        .value_kind:     hidden_global_offset_y
      - .offset:         112
        .size:           8
        .value_kind:     hidden_global_offset_z
      - .offset:         120
        .size:           2
        .value_kind:     hidden_grid_dims
      - .offset:         176
        .size:           4
        .value_kind:     hidden_dynamic_lds_size
    .group_segment_fixed_size: 0
    .kernarg_segment_align: 8
    .kernarg_segment_size: 312
    .language:       OpenCL C
    .language_version:
      - 2
      - 0
    .max_flat_workgroup_size: 512
    .name:           _ZN9rocsolver6v33100L23getf2_npvt_small_kernelILi6E19rocblas_complex_numIdEiiPS3_EEvT1_T3_lS5_lPT2_S5_S5_
    .private_segment_fixed_size: 0
    .sgpr_count:     30
    .sgpr_spill_count: 0
    .symbol:         _ZN9rocsolver6v33100L23getf2_npvt_small_kernelILi6E19rocblas_complex_numIdEiiPS3_EEvT1_T3_lS5_lPT2_S5_S5_.kd
    .uniform_work_group_size: 1
    .uses_dynamic_stack: false
    .vgpr_count:     81
    .vgpr_spill_count: 0
    .wavefront_size: 64
  - .args:
      - .offset:         0
        .size:           4
        .value_kind:     by_value
      - .address_space:  global
        .offset:         8
        .size:           8
        .value_kind:     global_buffer
      - .offset:         16
        .size:           8
        .value_kind:     by_value
      - .offset:         24
        .size:           4
        .value_kind:     by_value
      - .offset:         32
        .size:           8
        .value_kind:     by_value
      - .address_space:  global
        .offset:         40
        .size:           8
        .value_kind:     global_buffer
      - .offset:         48
        .size:           8
        .value_kind:     by_value
      - .offset:         56
        .size:           8
        .value_kind:     by_value
      - .address_space:  global
        .offset:         64
        .size:           8
        .value_kind:     global_buffer
      - .offset:         72
        .size:           4
        .value_kind:     by_value
      - .offset:         76
        .size:           4
        .value_kind:     by_value
      - .address_space:  global
        .offset:         80
        .size:           8
        .value_kind:     global_buffer
      - .offset:         88
        .size:           8
        .value_kind:     by_value
      - .offset:         96
        .size:           4
        .value_kind:     hidden_block_count_x
      - .offset:         100
        .size:           4
        .value_kind:     hidden_block_count_y
      - .offset:         104
        .size:           4
        .value_kind:     hidden_block_count_z
      - .offset:         108
        .size:           2
        .value_kind:     hidden_group_size_x
      - .offset:         110
        .size:           2
        .value_kind:     hidden_group_size_y
      - .offset:         112
        .size:           2
        .value_kind:     hidden_group_size_z
      - .offset:         114
        .size:           2
        .value_kind:     hidden_remainder_x
      - .offset:         116
        .size:           2
        .value_kind:     hidden_remainder_y
      - .offset:         118
        .size:           2
        .value_kind:     hidden_remainder_z
      - .offset:         136
        .size:           8
        .value_kind:     hidden_global_offset_x
      - .offset:         144
        .size:           8
        .value_kind:     hidden_global_offset_y
      - .offset:         152
        .size:           8
        .value_kind:     hidden_global_offset_z
      - .offset:         160
        .size:           2
        .value_kind:     hidden_grid_dims
      - .offset:         216
        .size:           4
        .value_kind:     hidden_dynamic_lds_size
    .group_segment_fixed_size: 0
    .kernarg_segment_align: 8
    .kernarg_segment_size: 352
    .language:       OpenCL C
    .language_version:
      - 2
      - 0
    .max_flat_workgroup_size: 512
    .name:           _ZN9rocsolver6v33100L18getf2_small_kernelILi7E19rocblas_complex_numIdEiiPS3_EEvT1_T3_lS5_lPS5_llPT2_S5_S5_S7_l
    .private_segment_fixed_size: 0
    .sgpr_count:     30
    .sgpr_spill_count: 0
    .symbol:         _ZN9rocsolver6v33100L18getf2_small_kernelILi7E19rocblas_complex_numIdEiiPS3_EEvT1_T3_lS5_lPS5_llPT2_S5_S5_S7_l.kd
    .uniform_work_group_size: 1
    .uses_dynamic_stack: false
    .vgpr_count:     62
    .vgpr_spill_count: 0
    .wavefront_size: 64
  - .args:
      - .offset:         0
        .size:           4
        .value_kind:     by_value
      - .address_space:  global
        .offset:         8
        .size:           8
        .value_kind:     global_buffer
      - .offset:         16
        .size:           8
        .value_kind:     by_value
      - .offset:         24
        .size:           4
        .value_kind:     by_value
      - .offset:         32
        .size:           8
        .value_kind:     by_value
      - .address_space:  global
        .offset:         40
        .size:           8
        .value_kind:     global_buffer
      - .offset:         48
        .size:           4
        .value_kind:     by_value
      - .offset:         52
        .size:           4
        .value_kind:     by_value
      - .offset:         56
        .size:           4
        .value_kind:     hidden_block_count_x
      - .offset:         60
        .size:           4
        .value_kind:     hidden_block_count_y
      - .offset:         64
        .size:           4
        .value_kind:     hidden_block_count_z
      - .offset:         68
        .size:           2
        .value_kind:     hidden_group_size_x
      - .offset:         70
        .size:           2
        .value_kind:     hidden_group_size_y
      - .offset:         72
        .size:           2
        .value_kind:     hidden_group_size_z
      - .offset:         74
        .size:           2
        .value_kind:     hidden_remainder_x
      - .offset:         76
        .size:           2
        .value_kind:     hidden_remainder_y
      - .offset:         78
        .size:           2
        .value_kind:     hidden_remainder_z
      - .offset:         96
        .size:           8
        .value_kind:     hidden_global_offset_x
      - .offset:         104
        .size:           8
        .value_kind:     hidden_global_offset_y
      - .offset:         112
        .size:           8
        .value_kind:     hidden_global_offset_z
      - .offset:         120
        .size:           2
        .value_kind:     hidden_grid_dims
      - .offset:         176
        .size:           4
        .value_kind:     hidden_dynamic_lds_size
    .group_segment_fixed_size: 0
    .kernarg_segment_align: 8
    .kernarg_segment_size: 312
    .language:       OpenCL C
    .language_version:
      - 2
      - 0
    .max_flat_workgroup_size: 512
    .name:           _ZN9rocsolver6v33100L23getf2_npvt_small_kernelILi7E19rocblas_complex_numIdEiiPS3_EEvT1_T3_lS5_lPT2_S5_S5_
    .private_segment_fixed_size: 0
    .sgpr_count:     34
    .sgpr_spill_count: 0
    .symbol:         _ZN9rocsolver6v33100L23getf2_npvt_small_kernelILi7E19rocblas_complex_numIdEiiPS3_EEvT1_T3_lS5_lPT2_S5_S5_.kd
    .uniform_work_group_size: 1
    .uses_dynamic_stack: false
    .vgpr_count:     82
    .vgpr_spill_count: 0
    .wavefront_size: 64
  - .args:
      - .offset:         0
        .size:           4
        .value_kind:     by_value
      - .address_space:  global
        .offset:         8
        .size:           8
        .value_kind:     global_buffer
      - .offset:         16
        .size:           8
        .value_kind:     by_value
      - .offset:         24
        .size:           4
        .value_kind:     by_value
      - .offset:         32
        .size:           8
        .value_kind:     by_value
      - .address_space:  global
        .offset:         40
        .size:           8
        .value_kind:     global_buffer
      - .offset:         48
        .size:           8
        .value_kind:     by_value
      - .offset:         56
        .size:           8
        .value_kind:     by_value
      - .address_space:  global
        .offset:         64
        .size:           8
        .value_kind:     global_buffer
      - .offset:         72
        .size:           4
        .value_kind:     by_value
      - .offset:         76
        .size:           4
        .value_kind:     by_value
      - .address_space:  global
        .offset:         80
        .size:           8
        .value_kind:     global_buffer
      - .offset:         88
        .size:           8
        .value_kind:     by_value
      - .offset:         96
        .size:           4
        .value_kind:     hidden_block_count_x
      - .offset:         100
        .size:           4
        .value_kind:     hidden_block_count_y
      - .offset:         104
        .size:           4
        .value_kind:     hidden_block_count_z
      - .offset:         108
        .size:           2
        .value_kind:     hidden_group_size_x
      - .offset:         110
        .size:           2
        .value_kind:     hidden_group_size_y
      - .offset:         112
        .size:           2
        .value_kind:     hidden_group_size_z
      - .offset:         114
        .size:           2
        .value_kind:     hidden_remainder_x
      - .offset:         116
        .size:           2
        .value_kind:     hidden_remainder_y
      - .offset:         118
        .size:           2
        .value_kind:     hidden_remainder_z
      - .offset:         136
        .size:           8
        .value_kind:     hidden_global_offset_x
      - .offset:         144
        .size:           8
        .value_kind:     hidden_global_offset_y
      - .offset:         152
        .size:           8
        .value_kind:     hidden_global_offset_z
      - .offset:         160
        .size:           2
        .value_kind:     hidden_grid_dims
      - .offset:         216
        .size:           4
        .value_kind:     hidden_dynamic_lds_size
    .group_segment_fixed_size: 0
    .kernarg_segment_align: 8
    .kernarg_segment_size: 352
    .language:       OpenCL C
    .language_version:
      - 2
      - 0
    .max_flat_workgroup_size: 512
    .name:           _ZN9rocsolver6v33100L18getf2_small_kernelILi8E19rocblas_complex_numIdEiiPS3_EEvT1_T3_lS5_lPS5_llPT2_S5_S5_S7_l
    .private_segment_fixed_size: 0
    .sgpr_count:     30
    .sgpr_spill_count: 0
    .symbol:         _ZN9rocsolver6v33100L18getf2_small_kernelILi8E19rocblas_complex_numIdEiiPS3_EEvT1_T3_lS5_lPS5_llPT2_S5_S5_S7_l.kd
    .uniform_work_group_size: 1
    .uses_dynamic_stack: false
    .vgpr_count:     61
    .vgpr_spill_count: 0
    .wavefront_size: 64
  - .args:
      - .offset:         0
        .size:           4
        .value_kind:     by_value
      - .address_space:  global
        .offset:         8
        .size:           8
        .value_kind:     global_buffer
      - .offset:         16
        .size:           8
        .value_kind:     by_value
      - .offset:         24
        .size:           4
        .value_kind:     by_value
      - .offset:         32
        .size:           8
        .value_kind:     by_value
      - .address_space:  global
        .offset:         40
        .size:           8
        .value_kind:     global_buffer
      - .offset:         48
        .size:           4
        .value_kind:     by_value
      - .offset:         52
        .size:           4
        .value_kind:     by_value
      - .offset:         56
        .size:           4
        .value_kind:     hidden_block_count_x
      - .offset:         60
        .size:           4
        .value_kind:     hidden_block_count_y
      - .offset:         64
        .size:           4
        .value_kind:     hidden_block_count_z
      - .offset:         68
        .size:           2
        .value_kind:     hidden_group_size_x
      - .offset:         70
        .size:           2
        .value_kind:     hidden_group_size_y
      - .offset:         72
        .size:           2
        .value_kind:     hidden_group_size_z
      - .offset:         74
        .size:           2
        .value_kind:     hidden_remainder_x
      - .offset:         76
        .size:           2
        .value_kind:     hidden_remainder_y
      - .offset:         78
        .size:           2
        .value_kind:     hidden_remainder_z
      - .offset:         96
        .size:           8
        .value_kind:     hidden_global_offset_x
      - .offset:         104
        .size:           8
        .value_kind:     hidden_global_offset_y
      - .offset:         112
        .size:           8
        .value_kind:     hidden_global_offset_z
      - .offset:         120
        .size:           2
        .value_kind:     hidden_grid_dims
      - .offset:         176
        .size:           4
        .value_kind:     hidden_dynamic_lds_size
    .group_segment_fixed_size: 0
    .kernarg_segment_align: 8
    .kernarg_segment_size: 312
    .language:       OpenCL C
    .language_version:
      - 2
      - 0
    .max_flat_workgroup_size: 512
    .name:           _ZN9rocsolver6v33100L23getf2_npvt_small_kernelILi8E19rocblas_complex_numIdEiiPS3_EEvT1_T3_lS5_lPT2_S5_S5_
    .private_segment_fixed_size: 0
    .sgpr_count:     40
    .sgpr_spill_count: 0
    .symbol:         _ZN9rocsolver6v33100L23getf2_npvt_small_kernelILi8E19rocblas_complex_numIdEiiPS3_EEvT1_T3_lS5_lPT2_S5_S5_.kd
    .uniform_work_group_size: 1
    .uses_dynamic_stack: false
    .vgpr_count:     107
    .vgpr_spill_count: 0
    .wavefront_size: 64
  - .args:
      - .offset:         0
        .size:           4
        .value_kind:     by_value
      - .address_space:  global
        .offset:         8
        .size:           8
        .value_kind:     global_buffer
      - .offset:         16
        .size:           8
        .value_kind:     by_value
      - .offset:         24
        .size:           4
        .value_kind:     by_value
      - .offset:         32
        .size:           8
        .value_kind:     by_value
      - .address_space:  global
        .offset:         40
        .size:           8
        .value_kind:     global_buffer
      - .offset:         48
        .size:           8
        .value_kind:     by_value
      - .offset:         56
        .size:           8
        .value_kind:     by_value
      - .address_space:  global
        .offset:         64
        .size:           8
        .value_kind:     global_buffer
      - .offset:         72
        .size:           4
        .value_kind:     by_value
      - .offset:         76
        .size:           4
        .value_kind:     by_value
      - .address_space:  global
        .offset:         80
        .size:           8
        .value_kind:     global_buffer
      - .offset:         88
        .size:           8
        .value_kind:     by_value
      - .offset:         96
        .size:           4
        .value_kind:     hidden_block_count_x
      - .offset:         100
        .size:           4
        .value_kind:     hidden_block_count_y
      - .offset:         104
        .size:           4
        .value_kind:     hidden_block_count_z
      - .offset:         108
        .size:           2
        .value_kind:     hidden_group_size_x
      - .offset:         110
        .size:           2
        .value_kind:     hidden_group_size_y
      - .offset:         112
        .size:           2
        .value_kind:     hidden_group_size_z
      - .offset:         114
        .size:           2
        .value_kind:     hidden_remainder_x
      - .offset:         116
        .size:           2
        .value_kind:     hidden_remainder_y
      - .offset:         118
        .size:           2
        .value_kind:     hidden_remainder_z
      - .offset:         136
        .size:           8
        .value_kind:     hidden_global_offset_x
      - .offset:         144
        .size:           8
        .value_kind:     hidden_global_offset_y
      - .offset:         152
        .size:           8
        .value_kind:     hidden_global_offset_z
      - .offset:         160
        .size:           2
        .value_kind:     hidden_grid_dims
      - .offset:         216
        .size:           4
        .value_kind:     hidden_dynamic_lds_size
    .group_segment_fixed_size: 0
    .kernarg_segment_align: 8
    .kernarg_segment_size: 352
    .language:       OpenCL C
    .language_version:
      - 2
      - 0
    .max_flat_workgroup_size: 512
    .name:           _ZN9rocsolver6v33100L18getf2_small_kernelILi9E19rocblas_complex_numIdEiiPS3_EEvT1_T3_lS5_lPS5_llPT2_S5_S5_S7_l
    .private_segment_fixed_size: 0
    .sgpr_count:     30
    .sgpr_spill_count: 0
    .symbol:         _ZN9rocsolver6v33100L18getf2_small_kernelILi9E19rocblas_complex_numIdEiiPS3_EEvT1_T3_lS5_lPS5_llPT2_S5_S5_S7_l.kd
    .uniform_work_group_size: 1
    .uses_dynamic_stack: false
    .vgpr_count:     78
    .vgpr_spill_count: 0
    .wavefront_size: 64
  - .args:
      - .offset:         0
        .size:           4
        .value_kind:     by_value
      - .address_space:  global
        .offset:         8
        .size:           8
        .value_kind:     global_buffer
      - .offset:         16
        .size:           8
        .value_kind:     by_value
      - .offset:         24
        .size:           4
        .value_kind:     by_value
      - .offset:         32
        .size:           8
        .value_kind:     by_value
      - .address_space:  global
        .offset:         40
        .size:           8
        .value_kind:     global_buffer
      - .offset:         48
        .size:           4
        .value_kind:     by_value
      - .offset:         52
        .size:           4
        .value_kind:     by_value
      - .offset:         56
        .size:           4
        .value_kind:     hidden_block_count_x
      - .offset:         60
        .size:           4
        .value_kind:     hidden_block_count_y
      - .offset:         64
        .size:           4
        .value_kind:     hidden_block_count_z
      - .offset:         68
        .size:           2
        .value_kind:     hidden_group_size_x
      - .offset:         70
        .size:           2
        .value_kind:     hidden_group_size_y
      - .offset:         72
        .size:           2
        .value_kind:     hidden_group_size_z
      - .offset:         74
        .size:           2
        .value_kind:     hidden_remainder_x
      - .offset:         76
        .size:           2
        .value_kind:     hidden_remainder_y
      - .offset:         78
        .size:           2
        .value_kind:     hidden_remainder_z
      - .offset:         96
        .size:           8
        .value_kind:     hidden_global_offset_x
      - .offset:         104
        .size:           8
        .value_kind:     hidden_global_offset_y
      - .offset:         112
        .size:           8
        .value_kind:     hidden_global_offset_z
      - .offset:         120
        .size:           2
        .value_kind:     hidden_grid_dims
      - .offset:         176
        .size:           4
        .value_kind:     hidden_dynamic_lds_size
    .group_segment_fixed_size: 0
    .kernarg_segment_align: 8
    .kernarg_segment_size: 312
    .language:       OpenCL C
    .language_version:
      - 2
      - 0
    .max_flat_workgroup_size: 512
    .name:           _ZN9rocsolver6v33100L23getf2_npvt_small_kernelILi9E19rocblas_complex_numIdEiiPS3_EEvT1_T3_lS5_lPT2_S5_S5_
    .private_segment_fixed_size: 0
    .sgpr_count:     44
    .sgpr_spill_count: 0
    .symbol:         _ZN9rocsolver6v33100L23getf2_npvt_small_kernelILi9E19rocblas_complex_numIdEiiPS3_EEvT1_T3_lS5_lPT2_S5_S5_.kd
    .uniform_work_group_size: 1
    .uses_dynamic_stack: false
    .vgpr_count:     117
    .vgpr_spill_count: 0
    .wavefront_size: 64
  - .args:
      - .offset:         0
        .size:           4
        .value_kind:     by_value
      - .address_space:  global
        .offset:         8
        .size:           8
        .value_kind:     global_buffer
      - .offset:         16
        .size:           8
        .value_kind:     by_value
      - .offset:         24
        .size:           4
        .value_kind:     by_value
      - .offset:         32
        .size:           8
        .value_kind:     by_value
      - .address_space:  global
        .offset:         40
        .size:           8
        .value_kind:     global_buffer
      - .offset:         48
        .size:           8
        .value_kind:     by_value
      - .offset:         56
        .size:           8
        .value_kind:     by_value
      - .address_space:  global
        .offset:         64
        .size:           8
        .value_kind:     global_buffer
      - .offset:         72
        .size:           4
        .value_kind:     by_value
      - .offset:         76
        .size:           4
        .value_kind:     by_value
      - .address_space:  global
        .offset:         80
        .size:           8
        .value_kind:     global_buffer
      - .offset:         88
        .size:           8
        .value_kind:     by_value
      - .offset:         96
        .size:           4
        .value_kind:     hidden_block_count_x
      - .offset:         100
        .size:           4
        .value_kind:     hidden_block_count_y
      - .offset:         104
        .size:           4
        .value_kind:     hidden_block_count_z
      - .offset:         108
        .size:           2
        .value_kind:     hidden_group_size_x
      - .offset:         110
        .size:           2
        .value_kind:     hidden_group_size_y
      - .offset:         112
        .size:           2
        .value_kind:     hidden_group_size_z
      - .offset:         114
        .size:           2
        .value_kind:     hidden_remainder_x
      - .offset:         116
        .size:           2
        .value_kind:     hidden_remainder_y
      - .offset:         118
        .size:           2
        .value_kind:     hidden_remainder_z
      - .offset:         136
        .size:           8
        .value_kind:     hidden_global_offset_x
      - .offset:         144
        .size:           8
        .value_kind:     hidden_global_offset_y
      - .offset:         152
        .size:           8
        .value_kind:     hidden_global_offset_z
      - .offset:         160
        .size:           2
        .value_kind:     hidden_grid_dims
      - .offset:         216
        .size:           4
        .value_kind:     hidden_dynamic_lds_size
    .group_segment_fixed_size: 0
    .kernarg_segment_align: 8
    .kernarg_segment_size: 352
    .language:       OpenCL C
    .language_version:
      - 2
      - 0
    .max_flat_workgroup_size: 512
    .name:           _ZN9rocsolver6v33100L18getf2_small_kernelILi10E19rocblas_complex_numIdEiiPS3_EEvT1_T3_lS5_lPS5_llPT2_S5_S5_S7_l
    .private_segment_fixed_size: 0
    .sgpr_count:     30
    .sgpr_spill_count: 0
    .symbol:         _ZN9rocsolver6v33100L18getf2_small_kernelILi10E19rocblas_complex_numIdEiiPS3_EEvT1_T3_lS5_lPS5_llPT2_S5_S5_S7_l.kd
    .uniform_work_group_size: 1
    .uses_dynamic_stack: false
    .vgpr_count:     82
    .vgpr_spill_count: 0
    .wavefront_size: 64
  - .args:
      - .offset:         0
        .size:           4
        .value_kind:     by_value
      - .address_space:  global
        .offset:         8
        .size:           8
        .value_kind:     global_buffer
      - .offset:         16
        .size:           8
        .value_kind:     by_value
      - .offset:         24
        .size:           4
        .value_kind:     by_value
      - .offset:         32
        .size:           8
        .value_kind:     by_value
      - .address_space:  global
        .offset:         40
        .size:           8
        .value_kind:     global_buffer
      - .offset:         48
        .size:           4
        .value_kind:     by_value
      - .offset:         52
        .size:           4
        .value_kind:     by_value
      - .offset:         56
        .size:           4
        .value_kind:     hidden_block_count_x
      - .offset:         60
        .size:           4
        .value_kind:     hidden_block_count_y
      - .offset:         64
        .size:           4
        .value_kind:     hidden_block_count_z
      - .offset:         68
        .size:           2
        .value_kind:     hidden_group_size_x
      - .offset:         70
        .size:           2
        .value_kind:     hidden_group_size_y
      - .offset:         72
        .size:           2
        .value_kind:     hidden_group_size_z
      - .offset:         74
        .size:           2
        .value_kind:     hidden_remainder_x
      - .offset:         76
        .size:           2
        .value_kind:     hidden_remainder_y
      - .offset:         78
        .size:           2
        .value_kind:     hidden_remainder_z
      - .offset:         96
        .size:           8
        .value_kind:     hidden_global_offset_x
      - .offset:         104
        .size:           8
        .value_kind:     hidden_global_offset_y
      - .offset:         112
        .size:           8
        .value_kind:     hidden_global_offset_z
      - .offset:         120
        .size:           2
        .value_kind:     hidden_grid_dims
      - .offset:         176
        .size:           4
        .value_kind:     hidden_dynamic_lds_size
    .group_segment_fixed_size: 0
    .kernarg_segment_align: 8
    .kernarg_segment_size: 312
    .language:       OpenCL C
    .language_version:
      - 2
      - 0
    .max_flat_workgroup_size: 512
    .name:           _ZN9rocsolver6v33100L23getf2_npvt_small_kernelILi10E19rocblas_complex_numIdEiiPS3_EEvT1_T3_lS5_lPT2_S5_S5_
    .private_segment_fixed_size: 0
    .sgpr_count:     48
    .sgpr_spill_count: 0
    .symbol:         _ZN9rocsolver6v33100L23getf2_npvt_small_kernelILi10E19rocblas_complex_numIdEiiPS3_EEvT1_T3_lS5_lPT2_S5_S5_.kd
    .uniform_work_group_size: 1
    .uses_dynamic_stack: false
    .vgpr_count:     125
    .vgpr_spill_count: 0
    .wavefront_size: 64
  - .args:
      - .offset:         0
        .size:           4
        .value_kind:     by_value
      - .address_space:  global
        .offset:         8
        .size:           8
        .value_kind:     global_buffer
      - .offset:         16
        .size:           8
        .value_kind:     by_value
      - .offset:         24
        .size:           4
        .value_kind:     by_value
      - .offset:         32
        .size:           8
        .value_kind:     by_value
      - .address_space:  global
        .offset:         40
        .size:           8
        .value_kind:     global_buffer
      - .offset:         48
        .size:           8
        .value_kind:     by_value
      - .offset:         56
        .size:           8
        .value_kind:     by_value
      - .address_space:  global
        .offset:         64
        .size:           8
        .value_kind:     global_buffer
      - .offset:         72
        .size:           4
        .value_kind:     by_value
      - .offset:         76
        .size:           4
        .value_kind:     by_value
      - .address_space:  global
        .offset:         80
        .size:           8
        .value_kind:     global_buffer
      - .offset:         88
        .size:           8
        .value_kind:     by_value
      - .offset:         96
        .size:           4
        .value_kind:     hidden_block_count_x
      - .offset:         100
        .size:           4
        .value_kind:     hidden_block_count_y
      - .offset:         104
        .size:           4
        .value_kind:     hidden_block_count_z
      - .offset:         108
        .size:           2
        .value_kind:     hidden_group_size_x
      - .offset:         110
        .size:           2
        .value_kind:     hidden_group_size_y
      - .offset:         112
        .size:           2
        .value_kind:     hidden_group_size_z
      - .offset:         114
        .size:           2
        .value_kind:     hidden_remainder_x
      - .offset:         116
        .size:           2
        .value_kind:     hidden_remainder_y
      - .offset:         118
        .size:           2
        .value_kind:     hidden_remainder_z
      - .offset:         136
        .size:           8
        .value_kind:     hidden_global_offset_x
      - .offset:         144
        .size:           8
        .value_kind:     hidden_global_offset_y
      - .offset:         152
        .size:           8
        .value_kind:     hidden_global_offset_z
      - .offset:         160
        .size:           2
        .value_kind:     hidden_grid_dims
      - .offset:         216
        .size:           4
        .value_kind:     hidden_dynamic_lds_size
    .group_segment_fixed_size: 0
    .kernarg_segment_align: 8
    .kernarg_segment_size: 352
    .language:       OpenCL C
    .language_version:
      - 2
      - 0
    .max_flat_workgroup_size: 512
    .name:           _ZN9rocsolver6v33100L18getf2_small_kernelILi11E19rocblas_complex_numIdEiiPS3_EEvT1_T3_lS5_lPS5_llPT2_S5_S5_S7_l
    .private_segment_fixed_size: 0
    .sgpr_count:     30
    .sgpr_spill_count: 0
    .symbol:         _ZN9rocsolver6v33100L18getf2_small_kernelILi11E19rocblas_complex_numIdEiiPS3_EEvT1_T3_lS5_lPS5_llPT2_S5_S5_S7_l.kd
    .uniform_work_group_size: 1
    .uses_dynamic_stack: false
    .vgpr_count:     78
    .vgpr_spill_count: 0
    .wavefront_size: 64
  - .args:
      - .offset:         0
        .size:           4
        .value_kind:     by_value
      - .address_space:  global
        .offset:         8
        .size:           8
        .value_kind:     global_buffer
      - .offset:         16
        .size:           8
        .value_kind:     by_value
      - .offset:         24
        .size:           4
        .value_kind:     by_value
      - .offset:         32
        .size:           8
        .value_kind:     by_value
      - .address_space:  global
        .offset:         40
        .size:           8
        .value_kind:     global_buffer
      - .offset:         48
        .size:           4
        .value_kind:     by_value
      - .offset:         52
        .size:           4
        .value_kind:     by_value
      - .offset:         56
        .size:           4
        .value_kind:     hidden_block_count_x
      - .offset:         60
        .size:           4
        .value_kind:     hidden_block_count_y
      - .offset:         64
        .size:           4
        .value_kind:     hidden_block_count_z
      - .offset:         68
        .size:           2
        .value_kind:     hidden_group_size_x
      - .offset:         70
        .size:           2
        .value_kind:     hidden_group_size_y
      - .offset:         72
        .size:           2
        .value_kind:     hidden_group_size_z
      - .offset:         74
        .size:           2
        .value_kind:     hidden_remainder_x
      - .offset:         76
        .size:           2
        .value_kind:     hidden_remainder_y
      - .offset:         78
        .size:           2
        .value_kind:     hidden_remainder_z
      - .offset:         96
        .size:           8
        .value_kind:     hidden_global_offset_x
      - .offset:         104
        .size:           8
        .value_kind:     hidden_global_offset_y
      - .offset:         112
        .size:           8
        .value_kind:     hidden_global_offset_z
      - .offset:         120
        .size:           2
        .value_kind:     hidden_grid_dims
      - .offset:         176
        .size:           4
        .value_kind:     hidden_dynamic_lds_size
    .group_segment_fixed_size: 0
    .kernarg_segment_align: 8
    .kernarg_segment_size: 312
    .language:       OpenCL C
    .language_version:
      - 2
      - 0
    .max_flat_workgroup_size: 512
    .name:           _ZN9rocsolver6v33100L23getf2_npvt_small_kernelILi11E19rocblas_complex_numIdEiiPS3_EEvT1_T3_lS5_lPT2_S5_S5_
    .private_segment_fixed_size: 0
    .sgpr_count:     52
    .sgpr_spill_count: 0
    .symbol:         _ZN9rocsolver6v33100L23getf2_npvt_small_kernelILi11E19rocblas_complex_numIdEiiPS3_EEvT1_T3_lS5_lPT2_S5_S5_.kd
    .uniform_work_group_size: 1
    .uses_dynamic_stack: false
    .vgpr_count:     123
    .vgpr_spill_count: 0
    .wavefront_size: 64
  - .args:
      - .offset:         0
        .size:           4
        .value_kind:     by_value
      - .address_space:  global
        .offset:         8
        .size:           8
        .value_kind:     global_buffer
      - .offset:         16
        .size:           8
        .value_kind:     by_value
      - .offset:         24
        .size:           4
        .value_kind:     by_value
      - .offset:         32
        .size:           8
        .value_kind:     by_value
      - .address_space:  global
        .offset:         40
        .size:           8
        .value_kind:     global_buffer
      - .offset:         48
        .size:           8
        .value_kind:     by_value
      - .offset:         56
        .size:           8
        .value_kind:     by_value
      - .address_space:  global
        .offset:         64
        .size:           8
        .value_kind:     global_buffer
      - .offset:         72
        .size:           4
        .value_kind:     by_value
      - .offset:         76
        .size:           4
        .value_kind:     by_value
      - .address_space:  global
        .offset:         80
        .size:           8
        .value_kind:     global_buffer
      - .offset:         88
        .size:           8
        .value_kind:     by_value
      - .offset:         96
        .size:           4
        .value_kind:     hidden_block_count_x
      - .offset:         100
        .size:           4
        .value_kind:     hidden_block_count_y
      - .offset:         104
        .size:           4
        .value_kind:     hidden_block_count_z
      - .offset:         108
        .size:           2
        .value_kind:     hidden_group_size_x
      - .offset:         110
        .size:           2
        .value_kind:     hidden_group_size_y
      - .offset:         112
        .size:           2
        .value_kind:     hidden_group_size_z
      - .offset:         114
        .size:           2
        .value_kind:     hidden_remainder_x
      - .offset:         116
        .size:           2
        .value_kind:     hidden_remainder_y
      - .offset:         118
        .size:           2
        .value_kind:     hidden_remainder_z
      - .offset:         136
        .size:           8
        .value_kind:     hidden_global_offset_x
      - .offset:         144
        .size:           8
        .value_kind:     hidden_global_offset_y
      - .offset:         152
        .size:           8
        .value_kind:     hidden_global_offset_z
      - .offset:         160
        .size:           2
        .value_kind:     hidden_grid_dims
      - .offset:         216
        .size:           4
        .value_kind:     hidden_dynamic_lds_size
    .group_segment_fixed_size: 0
    .kernarg_segment_align: 8
    .kernarg_segment_size: 352
    .language:       OpenCL C
    .language_version:
      - 2
      - 0
    .max_flat_workgroup_size: 512
    .name:           _ZN9rocsolver6v33100L18getf2_small_kernelILi12E19rocblas_complex_numIdEiiPS3_EEvT1_T3_lS5_lPS5_llPT2_S5_S5_S7_l
    .private_segment_fixed_size: 0
    .sgpr_count:     30
    .sgpr_spill_count: 0
    .symbol:         _ZN9rocsolver6v33100L18getf2_small_kernelILi12E19rocblas_complex_numIdEiiPS3_EEvT1_T3_lS5_lPS5_llPT2_S5_S5_S7_l.kd
    .uniform_work_group_size: 1
    .uses_dynamic_stack: false
    .vgpr_count:     82
    .vgpr_spill_count: 0
    .wavefront_size: 64
  - .args:
      - .offset:         0
        .size:           4
        .value_kind:     by_value
      - .address_space:  global
        .offset:         8
        .size:           8
        .value_kind:     global_buffer
      - .offset:         16
        .size:           8
        .value_kind:     by_value
      - .offset:         24
        .size:           4
        .value_kind:     by_value
      - .offset:         32
        .size:           8
        .value_kind:     by_value
      - .address_space:  global
        .offset:         40
        .size:           8
        .value_kind:     global_buffer
      - .offset:         48
        .size:           4
        .value_kind:     by_value
      - .offset:         52
        .size:           4
        .value_kind:     by_value
      - .offset:         56
        .size:           4
        .value_kind:     hidden_block_count_x
      - .offset:         60
        .size:           4
        .value_kind:     hidden_block_count_y
      - .offset:         64
        .size:           4
        .value_kind:     hidden_block_count_z
      - .offset:         68
        .size:           2
        .value_kind:     hidden_group_size_x
      - .offset:         70
        .size:           2
        .value_kind:     hidden_group_size_y
      - .offset:         72
        .size:           2
        .value_kind:     hidden_group_size_z
      - .offset:         74
        .size:           2
        .value_kind:     hidden_remainder_x
      - .offset:         76
        .size:           2
        .value_kind:     hidden_remainder_y
      - .offset:         78
        .size:           2
        .value_kind:     hidden_remainder_z
      - .offset:         96
        .size:           8
        .value_kind:     hidden_global_offset_x
      - .offset:         104
        .size:           8
        .value_kind:     hidden_global_offset_y
      - .offset:         112
        .size:           8
        .value_kind:     hidden_global_offset_z
      - .offset:         120
        .size:           2
        .value_kind:     hidden_grid_dims
      - .offset:         176
        .size:           4
        .value_kind:     hidden_dynamic_lds_size
    .group_segment_fixed_size: 0
    .kernarg_segment_align: 8
    .kernarg_segment_size: 312
    .language:       OpenCL C
    .language_version:
      - 2
      - 0
    .max_flat_workgroup_size: 512
    .name:           _ZN9rocsolver6v33100L23getf2_npvt_small_kernelILi12E19rocblas_complex_numIdEiiPS3_EEvT1_T3_lS5_lPT2_S5_S5_
    .private_segment_fixed_size: 20
    .sgpr_count:     60
    .sgpr_spill_count: 0
    .symbol:         _ZN9rocsolver6v33100L23getf2_npvt_small_kernelILi12E19rocblas_complex_numIdEiiPS3_EEvT1_T3_lS5_lPT2_S5_S5_.kd
    .uniform_work_group_size: 1
    .uses_dynamic_stack: false
    .vgpr_count:     128
    .vgpr_spill_count: 4
    .wavefront_size: 64
  - .args:
      - .offset:         0
        .size:           4
        .value_kind:     by_value
      - .address_space:  global
        .offset:         8
        .size:           8
        .value_kind:     global_buffer
      - .offset:         16
        .size:           8
        .value_kind:     by_value
      - .offset:         24
        .size:           4
        .value_kind:     by_value
      - .offset:         32
        .size:           8
        .value_kind:     by_value
      - .address_space:  global
        .offset:         40
        .size:           8
        .value_kind:     global_buffer
      - .offset:         48
        .size:           8
        .value_kind:     by_value
      - .offset:         56
        .size:           8
        .value_kind:     by_value
      - .address_space:  global
        .offset:         64
        .size:           8
        .value_kind:     global_buffer
      - .offset:         72
        .size:           4
        .value_kind:     by_value
      - .offset:         76
        .size:           4
        .value_kind:     by_value
      - .address_space:  global
        .offset:         80
        .size:           8
        .value_kind:     global_buffer
      - .offset:         88
        .size:           8
        .value_kind:     by_value
      - .offset:         96
        .size:           4
        .value_kind:     hidden_block_count_x
      - .offset:         100
        .size:           4
        .value_kind:     hidden_block_count_y
      - .offset:         104
        .size:           4
        .value_kind:     hidden_block_count_z
      - .offset:         108
        .size:           2
        .value_kind:     hidden_group_size_x
      - .offset:         110
        .size:           2
        .value_kind:     hidden_group_size_y
      - .offset:         112
        .size:           2
        .value_kind:     hidden_group_size_z
      - .offset:         114
        .size:           2
        .value_kind:     hidden_remainder_x
      - .offset:         116
        .size:           2
        .value_kind:     hidden_remainder_y
      - .offset:         118
        .size:           2
        .value_kind:     hidden_remainder_z
      - .offset:         136
        .size:           8
        .value_kind:     hidden_global_offset_x
      - .offset:         144
        .size:           8
        .value_kind:     hidden_global_offset_y
      - .offset:         152
        .size:           8
        .value_kind:     hidden_global_offset_z
      - .offset:         160
        .size:           2
        .value_kind:     hidden_grid_dims
      - .offset:         216
        .size:           4
        .value_kind:     hidden_dynamic_lds_size
    .group_segment_fixed_size: 0
    .kernarg_segment_align: 8
    .kernarg_segment_size: 352
    .language:       OpenCL C
    .language_version:
      - 2
      - 0
    .max_flat_workgroup_size: 512
    .name:           _ZN9rocsolver6v33100L18getf2_small_kernelILi13E19rocblas_complex_numIdEiiPS3_EEvT1_T3_lS5_lPS5_llPT2_S5_S5_S7_l
    .private_segment_fixed_size: 0
    .sgpr_count:     30
    .sgpr_spill_count: 0
    .symbol:         _ZN9rocsolver6v33100L18getf2_small_kernelILi13E19rocblas_complex_numIdEiiPS3_EEvT1_T3_lS5_lPS5_llPT2_S5_S5_S7_l.kd
    .uniform_work_group_size: 1
    .uses_dynamic_stack: false
    .vgpr_count:     80
    .vgpr_spill_count: 0
    .wavefront_size: 64
  - .args:
      - .offset:         0
        .size:           4
        .value_kind:     by_value
      - .address_space:  global
        .offset:         8
        .size:           8
        .value_kind:     global_buffer
      - .offset:         16
        .size:           8
        .value_kind:     by_value
      - .offset:         24
        .size:           4
        .value_kind:     by_value
      - .offset:         32
        .size:           8
        .value_kind:     by_value
      - .address_space:  global
        .offset:         40
        .size:           8
        .value_kind:     global_buffer
      - .offset:         48
        .size:           4
        .value_kind:     by_value
      - .offset:         52
        .size:           4
        .value_kind:     by_value
      - .offset:         56
        .size:           4
        .value_kind:     hidden_block_count_x
      - .offset:         60
        .size:           4
        .value_kind:     hidden_block_count_y
      - .offset:         64
        .size:           4
        .value_kind:     hidden_block_count_z
      - .offset:         68
        .size:           2
        .value_kind:     hidden_group_size_x
      - .offset:         70
        .size:           2
        .value_kind:     hidden_group_size_y
      - .offset:         72
        .size:           2
        .value_kind:     hidden_group_size_z
      - .offset:         74
        .size:           2
        .value_kind:     hidden_remainder_x
      - .offset:         76
        .size:           2
        .value_kind:     hidden_remainder_y
      - .offset:         78
        .size:           2
        .value_kind:     hidden_remainder_z
      - .offset:         96
        .size:           8
        .value_kind:     hidden_global_offset_x
      - .offset:         104
        .size:           8
        .value_kind:     hidden_global_offset_y
      - .offset:         112
        .size:           8
        .value_kind:     hidden_global_offset_z
      - .offset:         120
        .size:           2
        .value_kind:     hidden_grid_dims
      - .offset:         176
        .size:           4
        .value_kind:     hidden_dynamic_lds_size
    .group_segment_fixed_size: 0
    .kernarg_segment_align: 8
    .kernarg_segment_size: 312
    .language:       OpenCL C
    .language_version:
      - 2
      - 0
    .max_flat_workgroup_size: 512
    .name:           _ZN9rocsolver6v33100L23getf2_npvt_small_kernelILi13E19rocblas_complex_numIdEiiPS3_EEvT1_T3_lS5_lPT2_S5_S5_
    .private_segment_fixed_size: 92
    .sgpr_count:     28
    .sgpr_spill_count: 0
    .symbol:         _ZN9rocsolver6v33100L23getf2_npvt_small_kernelILi13E19rocblas_complex_numIdEiiPS3_EEvT1_T3_lS5_lPT2_S5_S5_.kd
    .uniform_work_group_size: 1
    .uses_dynamic_stack: false
    .vgpr_count:     127
    .vgpr_spill_count: 22
    .wavefront_size: 64
  - .args:
      - .offset:         0
        .size:           4
        .value_kind:     by_value
      - .address_space:  global
        .offset:         8
        .size:           8
        .value_kind:     global_buffer
      - .offset:         16
        .size:           8
        .value_kind:     by_value
      - .offset:         24
        .size:           4
        .value_kind:     by_value
      - .offset:         32
        .size:           8
        .value_kind:     by_value
      - .address_space:  global
        .offset:         40
        .size:           8
        .value_kind:     global_buffer
      - .offset:         48
        .size:           8
        .value_kind:     by_value
      - .offset:         56
        .size:           8
        .value_kind:     by_value
      - .address_space:  global
        .offset:         64
        .size:           8
        .value_kind:     global_buffer
      - .offset:         72
        .size:           4
        .value_kind:     by_value
      - .offset:         76
        .size:           4
        .value_kind:     by_value
      - .address_space:  global
        .offset:         80
        .size:           8
        .value_kind:     global_buffer
      - .offset:         88
        .size:           8
        .value_kind:     by_value
      - .offset:         96
        .size:           4
        .value_kind:     hidden_block_count_x
      - .offset:         100
        .size:           4
        .value_kind:     hidden_block_count_y
      - .offset:         104
        .size:           4
        .value_kind:     hidden_block_count_z
      - .offset:         108
        .size:           2
        .value_kind:     hidden_group_size_x
      - .offset:         110
        .size:           2
        .value_kind:     hidden_group_size_y
      - .offset:         112
        .size:           2
        .value_kind:     hidden_group_size_z
      - .offset:         114
        .size:           2
        .value_kind:     hidden_remainder_x
      - .offset:         116
        .size:           2
        .value_kind:     hidden_remainder_y
      - .offset:         118
        .size:           2
        .value_kind:     hidden_remainder_z
      - .offset:         136
        .size:           8
        .value_kind:     hidden_global_offset_x
      - .offset:         144
        .size:           8
        .value_kind:     hidden_global_offset_y
      - .offset:         152
        .size:           8
        .value_kind:     hidden_global_offset_z
      - .offset:         160
        .size:           2
        .value_kind:     hidden_grid_dims
      - .offset:         216
        .size:           4
        .value_kind:     hidden_dynamic_lds_size
    .group_segment_fixed_size: 0
    .kernarg_segment_align: 8
    .kernarg_segment_size: 352
    .language:       OpenCL C
    .language_version:
      - 2
      - 0
    .max_flat_workgroup_size: 512
    .name:           _ZN9rocsolver6v33100L18getf2_small_kernelILi14E19rocblas_complex_numIdEiiPS3_EEvT1_T3_lS5_lPS5_llPT2_S5_S5_S7_l
    .private_segment_fixed_size: 0
    .sgpr_count:     30
    .sgpr_spill_count: 0
    .symbol:         _ZN9rocsolver6v33100L18getf2_small_kernelILi14E19rocblas_complex_numIdEiiPS3_EEvT1_T3_lS5_lPS5_llPT2_S5_S5_S7_l.kd
    .uniform_work_group_size: 1
    .uses_dynamic_stack: false
    .vgpr_count:     112
    .vgpr_spill_count: 0
    .wavefront_size: 64
  - .args:
      - .offset:         0
        .size:           4
        .value_kind:     by_value
      - .address_space:  global
        .offset:         8
        .size:           8
        .value_kind:     global_buffer
      - .offset:         16
        .size:           8
        .value_kind:     by_value
      - .offset:         24
        .size:           4
        .value_kind:     by_value
      - .offset:         32
        .size:           8
        .value_kind:     by_value
      - .address_space:  global
        .offset:         40
        .size:           8
        .value_kind:     global_buffer
      - .offset:         48
        .size:           4
        .value_kind:     by_value
      - .offset:         52
        .size:           4
        .value_kind:     by_value
      - .offset:         56
        .size:           4
        .value_kind:     hidden_block_count_x
      - .offset:         60
        .size:           4
        .value_kind:     hidden_block_count_y
      - .offset:         64
        .size:           4
        .value_kind:     hidden_block_count_z
      - .offset:         68
        .size:           2
        .value_kind:     hidden_group_size_x
      - .offset:         70
        .size:           2
        .value_kind:     hidden_group_size_y
      - .offset:         72
        .size:           2
        .value_kind:     hidden_group_size_z
      - .offset:         74
        .size:           2
        .value_kind:     hidden_remainder_x
      - .offset:         76
        .size:           2
        .value_kind:     hidden_remainder_y
      - .offset:         78
        .size:           2
        .value_kind:     hidden_remainder_z
      - .offset:         96
        .size:           8
        .value_kind:     hidden_global_offset_x
      - .offset:         104
        .size:           8
        .value_kind:     hidden_global_offset_y
      - .offset:         112
        .size:           8
        .value_kind:     hidden_global_offset_z
      - .offset:         120
        .size:           2
        .value_kind:     hidden_grid_dims
      - .offset:         176
        .size:           4
        .value_kind:     hidden_dynamic_lds_size
    .group_segment_fixed_size: 0
    .kernarg_segment_align: 8
    .kernarg_segment_size: 312
    .language:       OpenCL C
    .language_version:
      - 2
      - 0
    .max_flat_workgroup_size: 512
    .name:           _ZN9rocsolver6v33100L23getf2_npvt_small_kernelILi14E19rocblas_complex_numIdEiiPS3_EEvT1_T3_lS5_lPT2_S5_S5_
    .private_segment_fixed_size: 124
    .sgpr_count:     28
    .sgpr_spill_count: 0
    .symbol:         _ZN9rocsolver6v33100L23getf2_npvt_small_kernelILi14E19rocblas_complex_numIdEiiPS3_EEvT1_T3_lS5_lPT2_S5_S5_.kd
    .uniform_work_group_size: 1
    .uses_dynamic_stack: false
    .vgpr_count:     128
    .vgpr_spill_count: 34
    .wavefront_size: 64
  - .args:
      - .offset:         0
        .size:           4
        .value_kind:     by_value
      - .address_space:  global
        .offset:         8
        .size:           8
        .value_kind:     global_buffer
      - .offset:         16
        .size:           8
        .value_kind:     by_value
      - .offset:         24
        .size:           4
        .value_kind:     by_value
      - .offset:         32
        .size:           8
        .value_kind:     by_value
      - .address_space:  global
        .offset:         40
        .size:           8
        .value_kind:     global_buffer
      - .offset:         48
        .size:           8
        .value_kind:     by_value
      - .offset:         56
        .size:           8
        .value_kind:     by_value
      - .address_space:  global
        .offset:         64
        .size:           8
        .value_kind:     global_buffer
      - .offset:         72
        .size:           4
        .value_kind:     by_value
      - .offset:         76
        .size:           4
        .value_kind:     by_value
      - .address_space:  global
        .offset:         80
        .size:           8
        .value_kind:     global_buffer
      - .offset:         88
        .size:           8
        .value_kind:     by_value
      - .offset:         96
        .size:           4
        .value_kind:     hidden_block_count_x
      - .offset:         100
        .size:           4
        .value_kind:     hidden_block_count_y
      - .offset:         104
        .size:           4
        .value_kind:     hidden_block_count_z
      - .offset:         108
        .size:           2
        .value_kind:     hidden_group_size_x
      - .offset:         110
        .size:           2
        .value_kind:     hidden_group_size_y
      - .offset:         112
        .size:           2
        .value_kind:     hidden_group_size_z
      - .offset:         114
        .size:           2
        .value_kind:     hidden_remainder_x
      - .offset:         116
        .size:           2
        .value_kind:     hidden_remainder_y
      - .offset:         118
        .size:           2
        .value_kind:     hidden_remainder_z
      - .offset:         136
        .size:           8
        .value_kind:     hidden_global_offset_x
      - .offset:         144
        .size:           8
        .value_kind:     hidden_global_offset_y
      - .offset:         152
        .size:           8
        .value_kind:     hidden_global_offset_z
      - .offset:         160
        .size:           2
        .value_kind:     hidden_grid_dims
      - .offset:         216
        .size:           4
        .value_kind:     hidden_dynamic_lds_size
    .group_segment_fixed_size: 0
    .kernarg_segment_align: 8
    .kernarg_segment_size: 352
    .language:       OpenCL C
    .language_version:
      - 2
      - 0
    .max_flat_workgroup_size: 512
    .name:           _ZN9rocsolver6v33100L18getf2_small_kernelILi15E19rocblas_complex_numIdEiiPS3_EEvT1_T3_lS5_lPS5_llPT2_S5_S5_S7_l
    .private_segment_fixed_size: 0
    .sgpr_count:     30
    .sgpr_spill_count: 0
    .symbol:         _ZN9rocsolver6v33100L18getf2_small_kernelILi15E19rocblas_complex_numIdEiiPS3_EEvT1_T3_lS5_lPS5_llPT2_S5_S5_S7_l.kd
    .uniform_work_group_size: 1
    .uses_dynamic_stack: false
    .vgpr_count:     118
    .vgpr_spill_count: 0
    .wavefront_size: 64
  - .args:
      - .offset:         0
        .size:           4
        .value_kind:     by_value
      - .address_space:  global
        .offset:         8
        .size:           8
        .value_kind:     global_buffer
      - .offset:         16
        .size:           8
        .value_kind:     by_value
      - .offset:         24
        .size:           4
        .value_kind:     by_value
      - .offset:         32
        .size:           8
        .value_kind:     by_value
      - .address_space:  global
        .offset:         40
        .size:           8
        .value_kind:     global_buffer
      - .offset:         48
        .size:           4
        .value_kind:     by_value
      - .offset:         52
        .size:           4
        .value_kind:     by_value
      - .offset:         56
        .size:           4
        .value_kind:     hidden_block_count_x
      - .offset:         60
        .size:           4
        .value_kind:     hidden_block_count_y
      - .offset:         64
        .size:           4
        .value_kind:     hidden_block_count_z
      - .offset:         68
        .size:           2
        .value_kind:     hidden_group_size_x
      - .offset:         70
        .size:           2
        .value_kind:     hidden_group_size_y
      - .offset:         72
        .size:           2
        .value_kind:     hidden_group_size_z
      - .offset:         74
        .size:           2
        .value_kind:     hidden_remainder_x
      - .offset:         76
        .size:           2
        .value_kind:     hidden_remainder_y
      - .offset:         78
        .size:           2
        .value_kind:     hidden_remainder_z
      - .offset:         96
        .size:           8
        .value_kind:     hidden_global_offset_x
      - .offset:         104
        .size:           8
        .value_kind:     hidden_global_offset_y
      - .offset:         112
        .size:           8
        .value_kind:     hidden_global_offset_z
      - .offset:         120
        .size:           2
        .value_kind:     hidden_grid_dims
      - .offset:         176
        .size:           4
        .value_kind:     hidden_dynamic_lds_size
    .group_segment_fixed_size: 0
    .kernarg_segment_align: 8
    .kernarg_segment_size: 312
    .language:       OpenCL C
    .language_version:
      - 2
      - 0
    .max_flat_workgroup_size: 512
    .name:           _ZN9rocsolver6v33100L23getf2_npvt_small_kernelILi15E19rocblas_complex_numIdEiiPS3_EEvT1_T3_lS5_lPT2_S5_S5_
    .private_segment_fixed_size: 148
    .sgpr_count:     28
    .sgpr_spill_count: 0
    .symbol:         _ZN9rocsolver6v33100L23getf2_npvt_small_kernelILi15E19rocblas_complex_numIdEiiPS3_EEvT1_T3_lS5_lPT2_S5_S5_.kd
    .uniform_work_group_size: 1
    .uses_dynamic_stack: false
    .vgpr_count:     128
    .vgpr_spill_count: 40
    .wavefront_size: 64
  - .args:
      - .offset:         0
        .size:           4
        .value_kind:     by_value
      - .address_space:  global
        .offset:         8
        .size:           8
        .value_kind:     global_buffer
      - .offset:         16
        .size:           8
        .value_kind:     by_value
      - .offset:         24
        .size:           4
        .value_kind:     by_value
      - .offset:         32
        .size:           8
        .value_kind:     by_value
      - .address_space:  global
        .offset:         40
        .size:           8
        .value_kind:     global_buffer
      - .offset:         48
        .size:           8
        .value_kind:     by_value
      - .offset:         56
        .size:           8
        .value_kind:     by_value
      - .address_space:  global
        .offset:         64
        .size:           8
        .value_kind:     global_buffer
      - .offset:         72
        .size:           4
        .value_kind:     by_value
      - .offset:         76
        .size:           4
        .value_kind:     by_value
      - .address_space:  global
        .offset:         80
        .size:           8
        .value_kind:     global_buffer
      - .offset:         88
        .size:           8
        .value_kind:     by_value
      - .offset:         96
        .size:           4
        .value_kind:     hidden_block_count_x
      - .offset:         100
        .size:           4
        .value_kind:     hidden_block_count_y
      - .offset:         104
        .size:           4
        .value_kind:     hidden_block_count_z
      - .offset:         108
        .size:           2
        .value_kind:     hidden_group_size_x
      - .offset:         110
        .size:           2
        .value_kind:     hidden_group_size_y
      - .offset:         112
        .size:           2
        .value_kind:     hidden_group_size_z
      - .offset:         114
        .size:           2
        .value_kind:     hidden_remainder_x
      - .offset:         116
        .size:           2
        .value_kind:     hidden_remainder_y
      - .offset:         118
        .size:           2
        .value_kind:     hidden_remainder_z
      - .offset:         136
        .size:           8
        .value_kind:     hidden_global_offset_x
      - .offset:         144
        .size:           8
        .value_kind:     hidden_global_offset_y
      - .offset:         152
        .size:           8
        .value_kind:     hidden_global_offset_z
      - .offset:         160
        .size:           2
        .value_kind:     hidden_grid_dims
      - .offset:         216
        .size:           4
        .value_kind:     hidden_dynamic_lds_size
    .group_segment_fixed_size: 0
    .kernarg_segment_align: 8
    .kernarg_segment_size: 352
    .language:       OpenCL C
    .language_version:
      - 2
      - 0
    .max_flat_workgroup_size: 512
    .name:           _ZN9rocsolver6v33100L18getf2_small_kernelILi16E19rocblas_complex_numIdEiiPS3_EEvT1_T3_lS5_lPS5_llPT2_S5_S5_S7_l
    .private_segment_fixed_size: 0
    .sgpr_count:     30
    .sgpr_spill_count: 0
    .symbol:         _ZN9rocsolver6v33100L18getf2_small_kernelILi16E19rocblas_complex_numIdEiiPS3_EEvT1_T3_lS5_lPS5_llPT2_S5_S5_S7_l.kd
    .uniform_work_group_size: 1
    .uses_dynamic_stack: false
    .vgpr_count:     121
    .vgpr_spill_count: 0
    .wavefront_size: 64
  - .args:
      - .offset:         0
        .size:           4
        .value_kind:     by_value
      - .address_space:  global
        .offset:         8
        .size:           8
        .value_kind:     global_buffer
      - .offset:         16
        .size:           8
        .value_kind:     by_value
      - .offset:         24
        .size:           4
        .value_kind:     by_value
      - .offset:         32
        .size:           8
        .value_kind:     by_value
      - .address_space:  global
        .offset:         40
        .size:           8
        .value_kind:     global_buffer
      - .offset:         48
        .size:           4
        .value_kind:     by_value
      - .offset:         52
        .size:           4
        .value_kind:     by_value
      - .offset:         56
        .size:           4
        .value_kind:     hidden_block_count_x
      - .offset:         60
        .size:           4
        .value_kind:     hidden_block_count_y
      - .offset:         64
        .size:           4
        .value_kind:     hidden_block_count_z
      - .offset:         68
        .size:           2
        .value_kind:     hidden_group_size_x
      - .offset:         70
        .size:           2
        .value_kind:     hidden_group_size_y
      - .offset:         72
        .size:           2
        .value_kind:     hidden_group_size_z
      - .offset:         74
        .size:           2
        .value_kind:     hidden_remainder_x
      - .offset:         76
        .size:           2
        .value_kind:     hidden_remainder_y
      - .offset:         78
        .size:           2
        .value_kind:     hidden_remainder_z
      - .offset:         96
        .size:           8
        .value_kind:     hidden_global_offset_x
      - .offset:         104
        .size:           8
        .value_kind:     hidden_global_offset_y
      - .offset:         112
        .size:           8
        .value_kind:     hidden_global_offset_z
      - .offset:         120
        .size:           2
        .value_kind:     hidden_grid_dims
      - .offset:         176
        .size:           4
        .value_kind:     hidden_dynamic_lds_size
    .group_segment_fixed_size: 0
    .kernarg_segment_align: 8
    .kernarg_segment_size: 312
    .language:       OpenCL C
    .language_version:
      - 2
      - 0
    .max_flat_workgroup_size: 512
    .name:           _ZN9rocsolver6v33100L23getf2_npvt_small_kernelILi16E19rocblas_complex_numIdEiiPS3_EEvT1_T3_lS5_lPT2_S5_S5_
    .private_segment_fixed_size: 204
    .sgpr_count:     28
    .sgpr_spill_count: 0
    .symbol:         _ZN9rocsolver6v33100L23getf2_npvt_small_kernelILi16E19rocblas_complex_numIdEiiPS3_EEvT1_T3_lS5_lPT2_S5_S5_.kd
    .uniform_work_group_size: 1
    .uses_dynamic_stack: false
    .vgpr_count:     128
    .vgpr_spill_count: 62
    .wavefront_size: 64
  - .args:
      - .offset:         0
        .size:           4
        .value_kind:     by_value
      - .address_space:  global
        .offset:         8
        .size:           8
        .value_kind:     global_buffer
      - .offset:         16
        .size:           8
        .value_kind:     by_value
      - .offset:         24
        .size:           4
        .value_kind:     by_value
      - .offset:         32
        .size:           8
        .value_kind:     by_value
      - .address_space:  global
        .offset:         40
        .size:           8
        .value_kind:     global_buffer
      - .offset:         48
        .size:           8
        .value_kind:     by_value
      - .offset:         56
        .size:           8
        .value_kind:     by_value
      - .address_space:  global
        .offset:         64
        .size:           8
        .value_kind:     global_buffer
      - .offset:         72
        .size:           4
        .value_kind:     by_value
      - .offset:         76
        .size:           4
        .value_kind:     by_value
      - .address_space:  global
        .offset:         80
        .size:           8
        .value_kind:     global_buffer
      - .offset:         88
        .size:           8
        .value_kind:     by_value
      - .offset:         96
        .size:           4
        .value_kind:     hidden_block_count_x
      - .offset:         100
        .size:           4
        .value_kind:     hidden_block_count_y
      - .offset:         104
        .size:           4
        .value_kind:     hidden_block_count_z
      - .offset:         108
        .size:           2
        .value_kind:     hidden_group_size_x
      - .offset:         110
        .size:           2
        .value_kind:     hidden_group_size_y
      - .offset:         112
        .size:           2
        .value_kind:     hidden_group_size_z
      - .offset:         114
        .size:           2
        .value_kind:     hidden_remainder_x
      - .offset:         116
        .size:           2
        .value_kind:     hidden_remainder_y
      - .offset:         118
        .size:           2
        .value_kind:     hidden_remainder_z
      - .offset:         136
        .size:           8
        .value_kind:     hidden_global_offset_x
      - .offset:         144
        .size:           8
        .value_kind:     hidden_global_offset_y
      - .offset:         152
        .size:           8
        .value_kind:     hidden_global_offset_z
      - .offset:         160
        .size:           2
        .value_kind:     hidden_grid_dims
      - .offset:         216
        .size:           4
        .value_kind:     hidden_dynamic_lds_size
    .group_segment_fixed_size: 0
    .kernarg_segment_align: 8
    .kernarg_segment_size: 352
    .language:       OpenCL C
    .language_version:
      - 2
      - 0
    .max_flat_workgroup_size: 512
    .name:           _ZN9rocsolver6v33100L18getf2_small_kernelILi17E19rocblas_complex_numIdEiiPS3_EEvT1_T3_lS5_lPS5_llPT2_S5_S5_S7_l
    .private_segment_fixed_size: 0
    .sgpr_count:     30
    .sgpr_spill_count: 0
    .symbol:         _ZN9rocsolver6v33100L18getf2_small_kernelILi17E19rocblas_complex_numIdEiiPS3_EEvT1_T3_lS5_lPS5_llPT2_S5_S5_S7_l.kd
    .uniform_work_group_size: 1
    .uses_dynamic_stack: false
    .vgpr_count:     125
    .vgpr_spill_count: 0
    .wavefront_size: 64
  - .args:
      - .offset:         0
        .size:           4
        .value_kind:     by_value
      - .address_space:  global
        .offset:         8
        .size:           8
        .value_kind:     global_buffer
      - .offset:         16
        .size:           8
        .value_kind:     by_value
      - .offset:         24
        .size:           4
        .value_kind:     by_value
      - .offset:         32
        .size:           8
        .value_kind:     by_value
      - .address_space:  global
        .offset:         40
        .size:           8
        .value_kind:     global_buffer
      - .offset:         48
        .size:           4
        .value_kind:     by_value
      - .offset:         52
        .size:           4
        .value_kind:     by_value
      - .offset:         56
        .size:           4
        .value_kind:     hidden_block_count_x
      - .offset:         60
        .size:           4
        .value_kind:     hidden_block_count_y
      - .offset:         64
        .size:           4
        .value_kind:     hidden_block_count_z
      - .offset:         68
        .size:           2
        .value_kind:     hidden_group_size_x
      - .offset:         70
        .size:           2
        .value_kind:     hidden_group_size_y
      - .offset:         72
        .size:           2
        .value_kind:     hidden_group_size_z
      - .offset:         74
        .size:           2
        .value_kind:     hidden_remainder_x
      - .offset:         76
        .size:           2
        .value_kind:     hidden_remainder_y
      - .offset:         78
        .size:           2
        .value_kind:     hidden_remainder_z
      - .offset:         96
        .size:           8
        .value_kind:     hidden_global_offset_x
      - .offset:         104
        .size:           8
        .value_kind:     hidden_global_offset_y
      - .offset:         112
        .size:           8
        .value_kind:     hidden_global_offset_z
      - .offset:         120
        .size:           2
        .value_kind:     hidden_grid_dims
      - .offset:         176
        .size:           4
        .value_kind:     hidden_dynamic_lds_size
    .group_segment_fixed_size: 0
    .kernarg_segment_align: 8
    .kernarg_segment_size: 312
    .language:       OpenCL C
    .language_version:
      - 2
      - 0
    .max_flat_workgroup_size: 512
    .name:           _ZN9rocsolver6v33100L23getf2_npvt_small_kernelILi17E19rocblas_complex_numIdEiiPS3_EEvT1_T3_lS5_lPT2_S5_S5_
    .private_segment_fixed_size: 260
    .sgpr_count:     28
    .sgpr_spill_count: 0
    .symbol:         _ZN9rocsolver6v33100L23getf2_npvt_small_kernelILi17E19rocblas_complex_numIdEiiPS3_EEvT1_T3_lS5_lPT2_S5_S5_.kd
    .uniform_work_group_size: 1
    .uses_dynamic_stack: false
    .vgpr_count:     128
    .vgpr_spill_count: 64
    .wavefront_size: 64
  - .args:
      - .offset:         0
        .size:           4
        .value_kind:     by_value
      - .address_space:  global
        .offset:         8
        .size:           8
        .value_kind:     global_buffer
      - .offset:         16
        .size:           8
        .value_kind:     by_value
      - .offset:         24
        .size:           4
        .value_kind:     by_value
      - .offset:         32
        .size:           8
        .value_kind:     by_value
      - .address_space:  global
        .offset:         40
        .size:           8
        .value_kind:     global_buffer
      - .offset:         48
        .size:           8
        .value_kind:     by_value
      - .offset:         56
        .size:           8
        .value_kind:     by_value
      - .address_space:  global
        .offset:         64
        .size:           8
        .value_kind:     global_buffer
      - .offset:         72
        .size:           4
        .value_kind:     by_value
      - .offset:         76
        .size:           4
        .value_kind:     by_value
      - .address_space:  global
        .offset:         80
        .size:           8
        .value_kind:     global_buffer
      - .offset:         88
        .size:           8
        .value_kind:     by_value
      - .offset:         96
        .size:           4
        .value_kind:     hidden_block_count_x
      - .offset:         100
        .size:           4
        .value_kind:     hidden_block_count_y
      - .offset:         104
        .size:           4
        .value_kind:     hidden_block_count_z
      - .offset:         108
        .size:           2
        .value_kind:     hidden_group_size_x
      - .offset:         110
        .size:           2
        .value_kind:     hidden_group_size_y
      - .offset:         112
        .size:           2
        .value_kind:     hidden_group_size_z
      - .offset:         114
        .size:           2
        .value_kind:     hidden_remainder_x
      - .offset:         116
        .size:           2
        .value_kind:     hidden_remainder_y
      - .offset:         118
        .size:           2
        .value_kind:     hidden_remainder_z
      - .offset:         136
        .size:           8
        .value_kind:     hidden_global_offset_x
      - .offset:         144
        .size:           8
        .value_kind:     hidden_global_offset_y
      - .offset:         152
        .size:           8
        .value_kind:     hidden_global_offset_z
      - .offset:         160
        .size:           2
        .value_kind:     hidden_grid_dims
      - .offset:         216
        .size:           4
        .value_kind:     hidden_dynamic_lds_size
    .group_segment_fixed_size: 0
    .kernarg_segment_align: 8
    .kernarg_segment_size: 352
    .language:       OpenCL C
    .language_version:
      - 2
      - 0
    .max_flat_workgroup_size: 512
    .name:           _ZN9rocsolver6v33100L18getf2_small_kernelILi18E19rocblas_complex_numIdEiiPS3_EEvT1_T3_lS5_lPS5_llPT2_S5_S5_S7_l
    .private_segment_fixed_size: 0
    .sgpr_count:     30
    .sgpr_spill_count: 0
    .symbol:         _ZN9rocsolver6v33100L18getf2_small_kernelILi18E19rocblas_complex_numIdEiiPS3_EEvT1_T3_lS5_lPS5_llPT2_S5_S5_S7_l.kd
    .uniform_work_group_size: 1
    .uses_dynamic_stack: false
    .vgpr_count:     126
    .vgpr_spill_count: 0
    .wavefront_size: 64
  - .args:
      - .offset:         0
        .size:           4
        .value_kind:     by_value
      - .address_space:  global
        .offset:         8
        .size:           8
        .value_kind:     global_buffer
      - .offset:         16
        .size:           8
        .value_kind:     by_value
      - .offset:         24
        .size:           4
        .value_kind:     by_value
      - .offset:         32
        .size:           8
        .value_kind:     by_value
      - .address_space:  global
        .offset:         40
        .size:           8
        .value_kind:     global_buffer
      - .offset:         48
        .size:           4
        .value_kind:     by_value
      - .offset:         52
        .size:           4
        .value_kind:     by_value
      - .offset:         56
        .size:           4
        .value_kind:     hidden_block_count_x
      - .offset:         60
        .size:           4
        .value_kind:     hidden_block_count_y
      - .offset:         64
        .size:           4
        .value_kind:     hidden_block_count_z
      - .offset:         68
        .size:           2
        .value_kind:     hidden_group_size_x
      - .offset:         70
        .size:           2
        .value_kind:     hidden_group_size_y
      - .offset:         72
        .size:           2
        .value_kind:     hidden_group_size_z
      - .offset:         74
        .size:           2
        .value_kind:     hidden_remainder_x
      - .offset:         76
        .size:           2
        .value_kind:     hidden_remainder_y
      - .offset:         78
        .size:           2
        .value_kind:     hidden_remainder_z
      - .offset:         96
        .size:           8
        .value_kind:     hidden_global_offset_x
      - .offset:         104
        .size:           8
        .value_kind:     hidden_global_offset_y
      - .offset:         112
        .size:           8
        .value_kind:     hidden_global_offset_z
      - .offset:         120
        .size:           2
        .value_kind:     hidden_grid_dims
      - .offset:         176
        .size:           4
        .value_kind:     hidden_dynamic_lds_size
    .group_segment_fixed_size: 0
    .kernarg_segment_align: 8
    .kernarg_segment_size: 312
    .language:       OpenCL C
    .language_version:
      - 2
      - 0
    .max_flat_workgroup_size: 512
    .name:           _ZN9rocsolver6v33100L23getf2_npvt_small_kernelILi18E19rocblas_complex_numIdEiiPS3_EEvT1_T3_lS5_lPT2_S5_S5_
    .private_segment_fixed_size: 332
    .sgpr_count:     28
    .sgpr_spill_count: 0
    .symbol:         _ZN9rocsolver6v33100L23getf2_npvt_small_kernelILi18E19rocblas_complex_numIdEiiPS3_EEvT1_T3_lS5_lPT2_S5_S5_.kd
    .uniform_work_group_size: 1
    .uses_dynamic_stack: false
    .vgpr_count:     127
    .vgpr_spill_count: 250
    .wavefront_size: 64
  - .args:
      - .offset:         0
        .size:           4
        .value_kind:     by_value
      - .address_space:  global
        .offset:         8
        .size:           8
        .value_kind:     global_buffer
      - .offset:         16
        .size:           8
        .value_kind:     by_value
      - .offset:         24
        .size:           4
        .value_kind:     by_value
      - .offset:         32
        .size:           8
        .value_kind:     by_value
      - .address_space:  global
        .offset:         40
        .size:           8
        .value_kind:     global_buffer
      - .offset:         48
        .size:           8
        .value_kind:     by_value
      - .offset:         56
        .size:           8
        .value_kind:     by_value
      - .address_space:  global
        .offset:         64
        .size:           8
        .value_kind:     global_buffer
      - .offset:         72
        .size:           4
        .value_kind:     by_value
      - .offset:         76
        .size:           4
        .value_kind:     by_value
      - .address_space:  global
        .offset:         80
        .size:           8
        .value_kind:     global_buffer
      - .offset:         88
        .size:           8
        .value_kind:     by_value
      - .offset:         96
        .size:           4
        .value_kind:     hidden_block_count_x
      - .offset:         100
        .size:           4
        .value_kind:     hidden_block_count_y
      - .offset:         104
        .size:           4
        .value_kind:     hidden_block_count_z
      - .offset:         108
        .size:           2
        .value_kind:     hidden_group_size_x
      - .offset:         110
        .size:           2
        .value_kind:     hidden_group_size_y
      - .offset:         112
        .size:           2
        .value_kind:     hidden_group_size_z
      - .offset:         114
        .size:           2
        .value_kind:     hidden_remainder_x
      - .offset:         116
        .size:           2
        .value_kind:     hidden_remainder_y
      - .offset:         118
        .size:           2
        .value_kind:     hidden_remainder_z
      - .offset:         136
        .size:           8
        .value_kind:     hidden_global_offset_x
      - .offset:         144
        .size:           8
        .value_kind:     hidden_global_offset_y
      - .offset:         152
        .size:           8
        .value_kind:     hidden_global_offset_z
      - .offset:         160
        .size:           2
        .value_kind:     hidden_grid_dims
      - .offset:         216
        .size:           4
        .value_kind:     hidden_dynamic_lds_size
    .group_segment_fixed_size: 0
    .kernarg_segment_align: 8
    .kernarg_segment_size: 352
    .language:       OpenCL C
    .language_version:
      - 2
      - 0
    .max_flat_workgroup_size: 512
    .name:           _ZN9rocsolver6v33100L18getf2_small_kernelILi19E19rocblas_complex_numIdEiiPS3_EEvT1_T3_lS5_lPS5_llPT2_S5_S5_S7_l
    .private_segment_fixed_size: 0
    .sgpr_count:     30
    .sgpr_spill_count: 0
    .symbol:         _ZN9rocsolver6v33100L18getf2_small_kernelILi19E19rocblas_complex_numIdEiiPS3_EEvT1_T3_lS5_lPS5_llPT2_S5_S5_S7_l.kd
    .uniform_work_group_size: 1
    .uses_dynamic_stack: false
    .vgpr_count:     126
    .vgpr_spill_count: 0
    .wavefront_size: 64
  - .args:
      - .offset:         0
        .size:           4
        .value_kind:     by_value
      - .address_space:  global
        .offset:         8
        .size:           8
        .value_kind:     global_buffer
      - .offset:         16
        .size:           8
        .value_kind:     by_value
      - .offset:         24
        .size:           4
        .value_kind:     by_value
      - .offset:         32
        .size:           8
        .value_kind:     by_value
      - .address_space:  global
        .offset:         40
        .size:           8
        .value_kind:     global_buffer
      - .offset:         48
        .size:           4
        .value_kind:     by_value
      - .offset:         52
        .size:           4
        .value_kind:     by_value
      - .offset:         56
        .size:           4
        .value_kind:     hidden_block_count_x
      - .offset:         60
        .size:           4
        .value_kind:     hidden_block_count_y
      - .offset:         64
        .size:           4
        .value_kind:     hidden_block_count_z
      - .offset:         68
        .size:           2
        .value_kind:     hidden_group_size_x
      - .offset:         70
        .size:           2
        .value_kind:     hidden_group_size_y
      - .offset:         72
        .size:           2
        .value_kind:     hidden_group_size_z
      - .offset:         74
        .size:           2
        .value_kind:     hidden_remainder_x
      - .offset:         76
        .size:           2
        .value_kind:     hidden_remainder_y
      - .offset:         78
        .size:           2
        .value_kind:     hidden_remainder_z
      - .offset:         96
        .size:           8
        .value_kind:     hidden_global_offset_x
      - .offset:         104
        .size:           8
        .value_kind:     hidden_global_offset_y
      - .offset:         112
        .size:           8
        .value_kind:     hidden_global_offset_z
      - .offset:         120
        .size:           2
        .value_kind:     hidden_grid_dims
      - .offset:         176
        .size:           4
        .value_kind:     hidden_dynamic_lds_size
    .group_segment_fixed_size: 0
    .kernarg_segment_align: 8
    .kernarg_segment_size: 312
    .language:       OpenCL C
    .language_version:
      - 2
      - 0
    .max_flat_workgroup_size: 512
    .name:           _ZN9rocsolver6v33100L23getf2_npvt_small_kernelILi19E19rocblas_complex_numIdEiiPS3_EEvT1_T3_lS5_lPT2_S5_S5_
    .private_segment_fixed_size: 308
    .sgpr_count:     28
    .sgpr_spill_count: 0
    .symbol:         _ZN9rocsolver6v33100L23getf2_npvt_small_kernelILi19E19rocblas_complex_numIdEiiPS3_EEvT1_T3_lS5_lPT2_S5_S5_.kd
    .uniform_work_group_size: 1
    .uses_dynamic_stack: false
    .vgpr_count:     128
    .vgpr_spill_count: 80
    .wavefront_size: 64
  - .args:
      - .offset:         0
        .size:           4
        .value_kind:     by_value
      - .address_space:  global
        .offset:         8
        .size:           8
        .value_kind:     global_buffer
      - .offset:         16
        .size:           8
        .value_kind:     by_value
      - .offset:         24
        .size:           4
        .value_kind:     by_value
      - .offset:         32
        .size:           8
        .value_kind:     by_value
      - .address_space:  global
        .offset:         40
        .size:           8
        .value_kind:     global_buffer
      - .offset:         48
        .size:           8
        .value_kind:     by_value
      - .offset:         56
        .size:           8
        .value_kind:     by_value
      - .address_space:  global
        .offset:         64
        .size:           8
        .value_kind:     global_buffer
      - .offset:         72
        .size:           4
        .value_kind:     by_value
      - .offset:         76
        .size:           4
        .value_kind:     by_value
      - .address_space:  global
        .offset:         80
        .size:           8
        .value_kind:     global_buffer
      - .offset:         88
        .size:           8
        .value_kind:     by_value
      - .offset:         96
        .size:           4
        .value_kind:     hidden_block_count_x
      - .offset:         100
        .size:           4
        .value_kind:     hidden_block_count_y
      - .offset:         104
        .size:           4
        .value_kind:     hidden_block_count_z
      - .offset:         108
        .size:           2
        .value_kind:     hidden_group_size_x
      - .offset:         110
        .size:           2
        .value_kind:     hidden_group_size_y
      - .offset:         112
        .size:           2
        .value_kind:     hidden_group_size_z
      - .offset:         114
        .size:           2
        .value_kind:     hidden_remainder_x
      - .offset:         116
        .size:           2
        .value_kind:     hidden_remainder_y
      - .offset:         118
        .size:           2
        .value_kind:     hidden_remainder_z
      - .offset:         136
        .size:           8
        .value_kind:     hidden_global_offset_x
      - .offset:         144
        .size:           8
        .value_kind:     hidden_global_offset_y
      - .offset:         152
        .size:           8
        .value_kind:     hidden_global_offset_z
      - .offset:         160
        .size:           2
        .value_kind:     hidden_grid_dims
      - .offset:         216
        .size:           4
        .value_kind:     hidden_dynamic_lds_size
    .group_segment_fixed_size: 0
    .kernarg_segment_align: 8
    .kernarg_segment_size: 352
    .language:       OpenCL C
    .language_version:
      - 2
      - 0
    .max_flat_workgroup_size: 512
    .name:           _ZN9rocsolver6v33100L18getf2_small_kernelILi20E19rocblas_complex_numIdEiiPS3_EEvT1_T3_lS5_lPS5_llPT2_S5_S5_S7_l
    .private_segment_fixed_size: 0
    .sgpr_count:     30
    .sgpr_spill_count: 0
    .symbol:         _ZN9rocsolver6v33100L18getf2_small_kernelILi20E19rocblas_complex_numIdEiiPS3_EEvT1_T3_lS5_lPS5_llPT2_S5_S5_S7_l.kd
    .uniform_work_group_size: 1
    .uses_dynamic_stack: false
    .vgpr_count:     126
    .vgpr_spill_count: 0
    .wavefront_size: 64
  - .args:
      - .offset:         0
        .size:           4
        .value_kind:     by_value
      - .address_space:  global
        .offset:         8
        .size:           8
        .value_kind:     global_buffer
      - .offset:         16
        .size:           8
        .value_kind:     by_value
      - .offset:         24
        .size:           4
        .value_kind:     by_value
      - .offset:         32
        .size:           8
        .value_kind:     by_value
      - .address_space:  global
        .offset:         40
        .size:           8
        .value_kind:     global_buffer
      - .offset:         48
        .size:           4
        .value_kind:     by_value
      - .offset:         52
        .size:           4
        .value_kind:     by_value
      - .offset:         56
        .size:           4
        .value_kind:     hidden_block_count_x
      - .offset:         60
        .size:           4
        .value_kind:     hidden_block_count_y
      - .offset:         64
        .size:           4
        .value_kind:     hidden_block_count_z
      - .offset:         68
        .size:           2
        .value_kind:     hidden_group_size_x
      - .offset:         70
        .size:           2
        .value_kind:     hidden_group_size_y
      - .offset:         72
        .size:           2
        .value_kind:     hidden_group_size_z
      - .offset:         74
        .size:           2
        .value_kind:     hidden_remainder_x
      - .offset:         76
        .size:           2
        .value_kind:     hidden_remainder_y
      - .offset:         78
        .size:           2
        .value_kind:     hidden_remainder_z
      - .offset:         96
        .size:           8
        .value_kind:     hidden_global_offset_x
      - .offset:         104
        .size:           8
        .value_kind:     hidden_global_offset_y
      - .offset:         112
        .size:           8
        .value_kind:     hidden_global_offset_z
      - .offset:         120
        .size:           2
        .value_kind:     hidden_grid_dims
      - .offset:         176
        .size:           4
        .value_kind:     hidden_dynamic_lds_size
    .group_segment_fixed_size: 0
    .kernarg_segment_align: 8
    .kernarg_segment_size: 312
    .language:       OpenCL C
    .language_version:
      - 2
      - 0
    .max_flat_workgroup_size: 512
    .name:           _ZN9rocsolver6v33100L23getf2_npvt_small_kernelILi20E19rocblas_complex_numIdEiiPS3_EEvT1_T3_lS5_lPT2_S5_S5_
    .private_segment_fixed_size: 356
    .sgpr_count:     28
    .sgpr_spill_count: 0
    .symbol:         _ZN9rocsolver6v33100L23getf2_npvt_small_kernelILi20E19rocblas_complex_numIdEiiPS3_EEvT1_T3_lS5_lPT2_S5_S5_.kd
    .uniform_work_group_size: 1
    .uses_dynamic_stack: false
    .vgpr_count:     128
    .vgpr_spill_count: 92
    .wavefront_size: 64
  - .args:
      - .offset:         0
        .size:           4
        .value_kind:     by_value
      - .address_space:  global
        .offset:         8
        .size:           8
        .value_kind:     global_buffer
      - .offset:         16
        .size:           8
        .value_kind:     by_value
      - .offset:         24
        .size:           4
        .value_kind:     by_value
      - .offset:         32
        .size:           8
        .value_kind:     by_value
      - .address_space:  global
        .offset:         40
        .size:           8
        .value_kind:     global_buffer
      - .offset:         48
        .size:           8
        .value_kind:     by_value
      - .offset:         56
        .size:           8
        .value_kind:     by_value
      - .address_space:  global
        .offset:         64
        .size:           8
        .value_kind:     global_buffer
      - .offset:         72
        .size:           4
        .value_kind:     by_value
      - .offset:         76
        .size:           4
        .value_kind:     by_value
      - .address_space:  global
        .offset:         80
        .size:           8
        .value_kind:     global_buffer
      - .offset:         88
        .size:           8
        .value_kind:     by_value
      - .offset:         96
        .size:           4
        .value_kind:     hidden_block_count_x
      - .offset:         100
        .size:           4
        .value_kind:     hidden_block_count_y
      - .offset:         104
        .size:           4
        .value_kind:     hidden_block_count_z
      - .offset:         108
        .size:           2
        .value_kind:     hidden_group_size_x
      - .offset:         110
        .size:           2
        .value_kind:     hidden_group_size_y
      - .offset:         112
        .size:           2
        .value_kind:     hidden_group_size_z
      - .offset:         114
        .size:           2
        .value_kind:     hidden_remainder_x
      - .offset:         116
        .size:           2
        .value_kind:     hidden_remainder_y
      - .offset:         118
        .size:           2
        .value_kind:     hidden_remainder_z
      - .offset:         136
        .size:           8
        .value_kind:     hidden_global_offset_x
      - .offset:         144
        .size:           8
        .value_kind:     hidden_global_offset_y
      - .offset:         152
        .size:           8
        .value_kind:     hidden_global_offset_z
      - .offset:         160
        .size:           2
        .value_kind:     hidden_grid_dims
      - .offset:         216
        .size:           4
        .value_kind:     hidden_dynamic_lds_size
    .group_segment_fixed_size: 0
    .kernarg_segment_align: 8
    .kernarg_segment_size: 352
    .language:       OpenCL C
    .language_version:
      - 2
      - 0
    .max_flat_workgroup_size: 512
    .name:           _ZN9rocsolver6v33100L18getf2_small_kernelILi21E19rocblas_complex_numIdEiiPS3_EEvT1_T3_lS5_lPS5_llPT2_S5_S5_S7_l
    .private_segment_fixed_size: 0
    .sgpr_count:     30
    .sgpr_spill_count: 0
    .symbol:         _ZN9rocsolver6v33100L18getf2_small_kernelILi21E19rocblas_complex_numIdEiiPS3_EEvT1_T3_lS5_lPS5_llPT2_S5_S5_S7_l.kd
    .uniform_work_group_size: 1
    .uses_dynamic_stack: false
    .vgpr_count:     126
    .vgpr_spill_count: 0
    .wavefront_size: 64
  - .args:
      - .offset:         0
        .size:           4
        .value_kind:     by_value
      - .address_space:  global
        .offset:         8
        .size:           8
        .value_kind:     global_buffer
      - .offset:         16
        .size:           8
        .value_kind:     by_value
      - .offset:         24
        .size:           4
        .value_kind:     by_value
      - .offset:         32
        .size:           8
        .value_kind:     by_value
      - .address_space:  global
        .offset:         40
        .size:           8
        .value_kind:     global_buffer
      - .offset:         48
        .size:           4
        .value_kind:     by_value
      - .offset:         52
        .size:           4
        .value_kind:     by_value
      - .offset:         56
        .size:           4
        .value_kind:     hidden_block_count_x
      - .offset:         60
        .size:           4
        .value_kind:     hidden_block_count_y
      - .offset:         64
        .size:           4
        .value_kind:     hidden_block_count_z
      - .offset:         68
        .size:           2
        .value_kind:     hidden_group_size_x
      - .offset:         70
        .size:           2
        .value_kind:     hidden_group_size_y
      - .offset:         72
        .size:           2
        .value_kind:     hidden_group_size_z
      - .offset:         74
        .size:           2
        .value_kind:     hidden_remainder_x
      - .offset:         76
        .size:           2
        .value_kind:     hidden_remainder_y
      - .offset:         78
        .size:           2
        .value_kind:     hidden_remainder_z
      - .offset:         96
        .size:           8
        .value_kind:     hidden_global_offset_x
      - .offset:         104
        .size:           8
        .value_kind:     hidden_global_offset_y
      - .offset:         112
        .size:           8
        .value_kind:     hidden_global_offset_z
      - .offset:         120
        .size:           2
        .value_kind:     hidden_grid_dims
      - .offset:         176
        .size:           4
        .value_kind:     hidden_dynamic_lds_size
    .group_segment_fixed_size: 0
    .kernarg_segment_align: 8
    .kernarg_segment_size: 312
    .language:       OpenCL C
    .language_version:
      - 2
      - 0
    .max_flat_workgroup_size: 512
    .name:           _ZN9rocsolver6v33100L23getf2_npvt_small_kernelILi21E19rocblas_complex_numIdEiiPS3_EEvT1_T3_lS5_lPT2_S5_S5_
    .private_segment_fixed_size: 388
    .sgpr_count:     28
    .sgpr_spill_count: 0
    .symbol:         _ZN9rocsolver6v33100L23getf2_npvt_small_kernelILi21E19rocblas_complex_numIdEiiPS3_EEvT1_T3_lS5_lPT2_S5_S5_.kd
    .uniform_work_group_size: 1
    .uses_dynamic_stack: false
    .vgpr_count:     128
    .vgpr_spill_count: 100
    .wavefront_size: 64
  - .args:
      - .offset:         0
        .size:           4
        .value_kind:     by_value
      - .address_space:  global
        .offset:         8
        .size:           8
        .value_kind:     global_buffer
      - .offset:         16
        .size:           8
        .value_kind:     by_value
      - .offset:         24
        .size:           4
        .value_kind:     by_value
      - .offset:         32
        .size:           8
        .value_kind:     by_value
      - .address_space:  global
        .offset:         40
        .size:           8
        .value_kind:     global_buffer
      - .offset:         48
        .size:           8
        .value_kind:     by_value
      - .offset:         56
        .size:           8
        .value_kind:     by_value
      - .address_space:  global
        .offset:         64
        .size:           8
        .value_kind:     global_buffer
      - .offset:         72
        .size:           4
        .value_kind:     by_value
      - .offset:         76
        .size:           4
        .value_kind:     by_value
      - .address_space:  global
        .offset:         80
        .size:           8
        .value_kind:     global_buffer
      - .offset:         88
        .size:           8
        .value_kind:     by_value
      - .offset:         96
        .size:           4
        .value_kind:     hidden_block_count_x
      - .offset:         100
        .size:           4
        .value_kind:     hidden_block_count_y
      - .offset:         104
        .size:           4
        .value_kind:     hidden_block_count_z
      - .offset:         108
        .size:           2
        .value_kind:     hidden_group_size_x
      - .offset:         110
        .size:           2
        .value_kind:     hidden_group_size_y
      - .offset:         112
        .size:           2
        .value_kind:     hidden_group_size_z
      - .offset:         114
        .size:           2
        .value_kind:     hidden_remainder_x
      - .offset:         116
        .size:           2
        .value_kind:     hidden_remainder_y
      - .offset:         118
        .size:           2
        .value_kind:     hidden_remainder_z
      - .offset:         136
        .size:           8
        .value_kind:     hidden_global_offset_x
      - .offset:         144
        .size:           8
        .value_kind:     hidden_global_offset_y
      - .offset:         152
        .size:           8
        .value_kind:     hidden_global_offset_z
      - .offset:         160
        .size:           2
        .value_kind:     hidden_grid_dims
      - .offset:         216
        .size:           4
        .value_kind:     hidden_dynamic_lds_size
    .group_segment_fixed_size: 0
    .kernarg_segment_align: 8
    .kernarg_segment_size: 352
    .language:       OpenCL C
    .language_version:
      - 2
      - 0
    .max_flat_workgroup_size: 512
    .name:           _ZN9rocsolver6v33100L18getf2_small_kernelILi22E19rocblas_complex_numIdEiiPS3_EEvT1_T3_lS5_lPS5_llPT2_S5_S5_S7_l
    .private_segment_fixed_size: 0
    .sgpr_count:     30
    .sgpr_spill_count: 0
    .symbol:         _ZN9rocsolver6v33100L18getf2_small_kernelILi22E19rocblas_complex_numIdEiiPS3_EEvT1_T3_lS5_lPS5_llPT2_S5_S5_S7_l.kd
    .uniform_work_group_size: 1
    .uses_dynamic_stack: false
    .vgpr_count:     122
    .vgpr_spill_count: 0
    .wavefront_size: 64
  - .args:
      - .offset:         0
        .size:           4
        .value_kind:     by_value
      - .address_space:  global
        .offset:         8
        .size:           8
        .value_kind:     global_buffer
      - .offset:         16
        .size:           8
        .value_kind:     by_value
      - .offset:         24
        .size:           4
        .value_kind:     by_value
      - .offset:         32
        .size:           8
        .value_kind:     by_value
      - .address_space:  global
        .offset:         40
        .size:           8
        .value_kind:     global_buffer
      - .offset:         48
        .size:           4
        .value_kind:     by_value
      - .offset:         52
        .size:           4
        .value_kind:     by_value
      - .offset:         56
        .size:           4
        .value_kind:     hidden_block_count_x
      - .offset:         60
        .size:           4
        .value_kind:     hidden_block_count_y
      - .offset:         64
        .size:           4
        .value_kind:     hidden_block_count_z
      - .offset:         68
        .size:           2
        .value_kind:     hidden_group_size_x
      - .offset:         70
        .size:           2
        .value_kind:     hidden_group_size_y
      - .offset:         72
        .size:           2
        .value_kind:     hidden_group_size_z
      - .offset:         74
        .size:           2
        .value_kind:     hidden_remainder_x
      - .offset:         76
        .size:           2
        .value_kind:     hidden_remainder_y
      - .offset:         78
        .size:           2
        .value_kind:     hidden_remainder_z
      - .offset:         96
        .size:           8
        .value_kind:     hidden_global_offset_x
      - .offset:         104
        .size:           8
        .value_kind:     hidden_global_offset_y
      - .offset:         112
        .size:           8
        .value_kind:     hidden_global_offset_z
      - .offset:         120
        .size:           2
        .value_kind:     hidden_grid_dims
      - .offset:         176
        .size:           4
        .value_kind:     hidden_dynamic_lds_size
    .group_segment_fixed_size: 0
    .kernarg_segment_align: 8
    .kernarg_segment_size: 312
    .language:       OpenCL C
    .language_version:
      - 2
      - 0
    .max_flat_workgroup_size: 512
    .name:           _ZN9rocsolver6v33100L23getf2_npvt_small_kernelILi22E19rocblas_complex_numIdEiiPS3_EEvT1_T3_lS5_lPT2_S5_S5_
    .private_segment_fixed_size: 444
    .sgpr_count:     28
    .sgpr_spill_count: 0
    .symbol:         _ZN9rocsolver6v33100L23getf2_npvt_small_kernelILi22E19rocblas_complex_numIdEiiPS3_EEvT1_T3_lS5_lPT2_S5_S5_.kd
    .uniform_work_group_size: 1
    .uses_dynamic_stack: false
    .vgpr_count:     128
    .vgpr_spill_count: 110
    .wavefront_size: 64
  - .args:
      - .offset:         0
        .size:           4
        .value_kind:     by_value
      - .address_space:  global
        .offset:         8
        .size:           8
        .value_kind:     global_buffer
      - .offset:         16
        .size:           8
        .value_kind:     by_value
      - .offset:         24
        .size:           4
        .value_kind:     by_value
      - .offset:         32
        .size:           8
        .value_kind:     by_value
      - .address_space:  global
        .offset:         40
        .size:           8
        .value_kind:     global_buffer
      - .offset:         48
        .size:           8
        .value_kind:     by_value
      - .offset:         56
        .size:           8
        .value_kind:     by_value
      - .address_space:  global
        .offset:         64
        .size:           8
        .value_kind:     global_buffer
      - .offset:         72
        .size:           4
        .value_kind:     by_value
      - .offset:         76
        .size:           4
        .value_kind:     by_value
      - .address_space:  global
        .offset:         80
        .size:           8
        .value_kind:     global_buffer
      - .offset:         88
        .size:           8
        .value_kind:     by_value
      - .offset:         96
        .size:           4
        .value_kind:     hidden_block_count_x
      - .offset:         100
        .size:           4
        .value_kind:     hidden_block_count_y
      - .offset:         104
        .size:           4
        .value_kind:     hidden_block_count_z
      - .offset:         108
        .size:           2
        .value_kind:     hidden_group_size_x
      - .offset:         110
        .size:           2
        .value_kind:     hidden_group_size_y
      - .offset:         112
        .size:           2
        .value_kind:     hidden_group_size_z
      - .offset:         114
        .size:           2
        .value_kind:     hidden_remainder_x
      - .offset:         116
        .size:           2
        .value_kind:     hidden_remainder_y
      - .offset:         118
        .size:           2
        .value_kind:     hidden_remainder_z
      - .offset:         136
        .size:           8
        .value_kind:     hidden_global_offset_x
      - .offset:         144
        .size:           8
        .value_kind:     hidden_global_offset_y
      - .offset:         152
        .size:           8
        .value_kind:     hidden_global_offset_z
      - .offset:         160
        .size:           2
        .value_kind:     hidden_grid_dims
      - .offset:         216
        .size:           4
        .value_kind:     hidden_dynamic_lds_size
    .group_segment_fixed_size: 0
    .kernarg_segment_align: 8
    .kernarg_segment_size: 352
    .language:       OpenCL C
    .language_version:
      - 2
      - 0
    .max_flat_workgroup_size: 512
    .name:           _ZN9rocsolver6v33100L18getf2_small_kernelILi23E19rocblas_complex_numIdEiiPS3_EEvT1_T3_lS5_lPS5_llPT2_S5_S5_S7_l
    .private_segment_fixed_size: 0
    .sgpr_count:     30
    .sgpr_spill_count: 0
    .symbol:         _ZN9rocsolver6v33100L18getf2_small_kernelILi23E19rocblas_complex_numIdEiiPS3_EEvT1_T3_lS5_lPS5_llPT2_S5_S5_S7_l.kd
    .uniform_work_group_size: 1
    .uses_dynamic_stack: false
    .vgpr_count:     126
    .vgpr_spill_count: 0
    .wavefront_size: 64
  - .args:
      - .offset:         0
        .size:           4
        .value_kind:     by_value
      - .address_space:  global
        .offset:         8
        .size:           8
        .value_kind:     global_buffer
      - .offset:         16
        .size:           8
        .value_kind:     by_value
      - .offset:         24
        .size:           4
        .value_kind:     by_value
      - .offset:         32
        .size:           8
        .value_kind:     by_value
      - .address_space:  global
        .offset:         40
        .size:           8
        .value_kind:     global_buffer
      - .offset:         48
        .size:           4
        .value_kind:     by_value
      - .offset:         52
        .size:           4
        .value_kind:     by_value
      - .offset:         56
        .size:           4
        .value_kind:     hidden_block_count_x
      - .offset:         60
        .size:           4
        .value_kind:     hidden_block_count_y
      - .offset:         64
        .size:           4
        .value_kind:     hidden_block_count_z
      - .offset:         68
        .size:           2
        .value_kind:     hidden_group_size_x
      - .offset:         70
        .size:           2
        .value_kind:     hidden_group_size_y
      - .offset:         72
        .size:           2
        .value_kind:     hidden_group_size_z
      - .offset:         74
        .size:           2
        .value_kind:     hidden_remainder_x
      - .offset:         76
        .size:           2
        .value_kind:     hidden_remainder_y
      - .offset:         78
        .size:           2
        .value_kind:     hidden_remainder_z
      - .offset:         96
        .size:           8
        .value_kind:     hidden_global_offset_x
      - .offset:         104
        .size:           8
        .value_kind:     hidden_global_offset_y
      - .offset:         112
        .size:           8
        .value_kind:     hidden_global_offset_z
      - .offset:         120
        .size:           2
        .value_kind:     hidden_grid_dims
      - .offset:         176
        .size:           4
        .value_kind:     hidden_dynamic_lds_size
    .group_segment_fixed_size: 0
    .kernarg_segment_align: 8
    .kernarg_segment_size: 312
    .language:       OpenCL C
    .language_version:
      - 2
      - 0
    .max_flat_workgroup_size: 512
    .name:           _ZN9rocsolver6v33100L23getf2_npvt_small_kernelILi23E19rocblas_complex_numIdEiiPS3_EEvT1_T3_lS5_lPT2_S5_S5_
    .private_segment_fixed_size: 484
    .sgpr_count:     28
    .sgpr_spill_count: 0
    .symbol:         _ZN9rocsolver6v33100L23getf2_npvt_small_kernelILi23E19rocblas_complex_numIdEiiPS3_EEvT1_T3_lS5_lPT2_S5_S5_.kd
    .uniform_work_group_size: 1
    .uses_dynamic_stack: false
    .vgpr_count:     128
    .vgpr_spill_count: 152
    .wavefront_size: 64
  - .args:
      - .offset:         0
        .size:           4
        .value_kind:     by_value
      - .address_space:  global
        .offset:         8
        .size:           8
        .value_kind:     global_buffer
      - .offset:         16
        .size:           8
        .value_kind:     by_value
      - .offset:         24
        .size:           4
        .value_kind:     by_value
      - .offset:         32
        .size:           8
        .value_kind:     by_value
      - .address_space:  global
        .offset:         40
        .size:           8
        .value_kind:     global_buffer
      - .offset:         48
        .size:           8
        .value_kind:     by_value
      - .offset:         56
        .size:           8
        .value_kind:     by_value
      - .address_space:  global
        .offset:         64
        .size:           8
        .value_kind:     global_buffer
      - .offset:         72
        .size:           4
        .value_kind:     by_value
      - .offset:         76
        .size:           4
        .value_kind:     by_value
      - .address_space:  global
        .offset:         80
        .size:           8
        .value_kind:     global_buffer
      - .offset:         88
        .size:           8
        .value_kind:     by_value
      - .offset:         96
        .size:           4
        .value_kind:     hidden_block_count_x
      - .offset:         100
        .size:           4
        .value_kind:     hidden_block_count_y
      - .offset:         104
        .size:           4
        .value_kind:     hidden_block_count_z
      - .offset:         108
        .size:           2
        .value_kind:     hidden_group_size_x
      - .offset:         110
        .size:           2
        .value_kind:     hidden_group_size_y
      - .offset:         112
        .size:           2
        .value_kind:     hidden_group_size_z
      - .offset:         114
        .size:           2
        .value_kind:     hidden_remainder_x
      - .offset:         116
        .size:           2
        .value_kind:     hidden_remainder_y
      - .offset:         118
        .size:           2
        .value_kind:     hidden_remainder_z
      - .offset:         136
        .size:           8
        .value_kind:     hidden_global_offset_x
      - .offset:         144
        .size:           8
        .value_kind:     hidden_global_offset_y
      - .offset:         152
        .size:           8
        .value_kind:     hidden_global_offset_z
      - .offset:         160
        .size:           2
        .value_kind:     hidden_grid_dims
      - .offset:         216
        .size:           4
        .value_kind:     hidden_dynamic_lds_size
    .group_segment_fixed_size: 0
    .kernarg_segment_align: 8
    .kernarg_segment_size: 352
    .language:       OpenCL C
    .language_version:
      - 2
      - 0
    .max_flat_workgroup_size: 512
    .name:           _ZN9rocsolver6v33100L18getf2_small_kernelILi24E19rocblas_complex_numIdEiiPS3_EEvT1_T3_lS5_lPS5_llPT2_S5_S5_S7_l
    .private_segment_fixed_size: 0
    .sgpr_count:     30
    .sgpr_spill_count: 0
    .symbol:         _ZN9rocsolver6v33100L18getf2_small_kernelILi24E19rocblas_complex_numIdEiiPS3_EEvT1_T3_lS5_lPS5_llPT2_S5_S5_S7_l.kd
    .uniform_work_group_size: 1
    .uses_dynamic_stack: false
    .vgpr_count:     124
    .vgpr_spill_count: 0
    .wavefront_size: 64
  - .args:
      - .offset:         0
        .size:           4
        .value_kind:     by_value
      - .address_space:  global
        .offset:         8
        .size:           8
        .value_kind:     global_buffer
      - .offset:         16
        .size:           8
        .value_kind:     by_value
      - .offset:         24
        .size:           4
        .value_kind:     by_value
      - .offset:         32
        .size:           8
        .value_kind:     by_value
      - .address_space:  global
        .offset:         40
        .size:           8
        .value_kind:     global_buffer
      - .offset:         48
        .size:           4
        .value_kind:     by_value
      - .offset:         52
        .size:           4
        .value_kind:     by_value
      - .offset:         56
        .size:           4
        .value_kind:     hidden_block_count_x
      - .offset:         60
        .size:           4
        .value_kind:     hidden_block_count_y
      - .offset:         64
        .size:           4
        .value_kind:     hidden_block_count_z
      - .offset:         68
        .size:           2
        .value_kind:     hidden_group_size_x
      - .offset:         70
        .size:           2
        .value_kind:     hidden_group_size_y
      - .offset:         72
        .size:           2
        .value_kind:     hidden_group_size_z
      - .offset:         74
        .size:           2
        .value_kind:     hidden_remainder_x
      - .offset:         76
        .size:           2
        .value_kind:     hidden_remainder_y
      - .offset:         78
        .size:           2
        .value_kind:     hidden_remainder_z
      - .offset:         96
        .size:           8
        .value_kind:     hidden_global_offset_x
      - .offset:         104
        .size:           8
        .value_kind:     hidden_global_offset_y
      - .offset:         112
        .size:           8
        .value_kind:     hidden_global_offset_z
      - .offset:         120
        .size:           2
        .value_kind:     hidden_grid_dims
      - .offset:         176
        .size:           4
        .value_kind:     hidden_dynamic_lds_size
    .group_segment_fixed_size: 0
    .kernarg_segment_align: 8
    .kernarg_segment_size: 312
    .language:       OpenCL C
    .language_version:
      - 2
      - 0
    .max_flat_workgroup_size: 512
    .name:           _ZN9rocsolver6v33100L23getf2_npvt_small_kernelILi24E19rocblas_complex_numIdEiiPS3_EEvT1_T3_lS5_lPT2_S5_S5_
    .private_segment_fixed_size: 516
    .sgpr_count:     28
    .sgpr_spill_count: 0
    .symbol:         _ZN9rocsolver6v33100L23getf2_npvt_small_kernelILi24E19rocblas_complex_numIdEiiPS3_EEvT1_T3_lS5_lPT2_S5_S5_.kd
    .uniform_work_group_size: 1
    .uses_dynamic_stack: false
    .vgpr_count:     128
    .vgpr_spill_count: 140
    .wavefront_size: 64
  - .args:
      - .offset:         0
        .size:           4
        .value_kind:     by_value
      - .address_space:  global
        .offset:         8
        .size:           8
        .value_kind:     global_buffer
      - .offset:         16
        .size:           8
        .value_kind:     by_value
      - .offset:         24
        .size:           4
        .value_kind:     by_value
      - .offset:         32
        .size:           8
        .value_kind:     by_value
      - .address_space:  global
        .offset:         40
        .size:           8
        .value_kind:     global_buffer
      - .offset:         48
        .size:           8
        .value_kind:     by_value
      - .offset:         56
        .size:           8
        .value_kind:     by_value
      - .address_space:  global
        .offset:         64
        .size:           8
        .value_kind:     global_buffer
      - .offset:         72
        .size:           4
        .value_kind:     by_value
      - .offset:         76
        .size:           4
        .value_kind:     by_value
      - .address_space:  global
        .offset:         80
        .size:           8
        .value_kind:     global_buffer
      - .offset:         88
        .size:           8
        .value_kind:     by_value
      - .offset:         96
        .size:           4
        .value_kind:     hidden_block_count_x
      - .offset:         100
        .size:           4
        .value_kind:     hidden_block_count_y
      - .offset:         104
        .size:           4
        .value_kind:     hidden_block_count_z
      - .offset:         108
        .size:           2
        .value_kind:     hidden_group_size_x
      - .offset:         110
        .size:           2
        .value_kind:     hidden_group_size_y
      - .offset:         112
        .size:           2
        .value_kind:     hidden_group_size_z
      - .offset:         114
        .size:           2
        .value_kind:     hidden_remainder_x
      - .offset:         116
        .size:           2
        .value_kind:     hidden_remainder_y
      - .offset:         118
        .size:           2
        .value_kind:     hidden_remainder_z
      - .offset:         136
        .size:           8
        .value_kind:     hidden_global_offset_x
      - .offset:         144
        .size:           8
        .value_kind:     hidden_global_offset_y
      - .offset:         152
        .size:           8
        .value_kind:     hidden_global_offset_z
      - .offset:         160
        .size:           2
        .value_kind:     hidden_grid_dims
      - .offset:         216
        .size:           4
        .value_kind:     hidden_dynamic_lds_size
    .group_segment_fixed_size: 0
    .kernarg_segment_align: 8
    .kernarg_segment_size: 352
    .language:       OpenCL C
    .language_version:
      - 2
      - 0
    .max_flat_workgroup_size: 512
    .name:           _ZN9rocsolver6v33100L18getf2_small_kernelILi25E19rocblas_complex_numIdEiiPS3_EEvT1_T3_lS5_lPS5_llPT2_S5_S5_S7_l
    .private_segment_fixed_size: 0
    .sgpr_count:     30
    .sgpr_spill_count: 0
    .symbol:         _ZN9rocsolver6v33100L18getf2_small_kernelILi25E19rocblas_complex_numIdEiiPS3_EEvT1_T3_lS5_lPS5_llPT2_S5_S5_S7_l.kd
    .uniform_work_group_size: 1
    .uses_dynamic_stack: false
    .vgpr_count:     128
    .vgpr_spill_count: 0
    .wavefront_size: 64
  - .args:
      - .offset:         0
        .size:           4
        .value_kind:     by_value
      - .address_space:  global
        .offset:         8
        .size:           8
        .value_kind:     global_buffer
      - .offset:         16
        .size:           8
        .value_kind:     by_value
      - .offset:         24
        .size:           4
        .value_kind:     by_value
      - .offset:         32
        .size:           8
        .value_kind:     by_value
      - .address_space:  global
        .offset:         40
        .size:           8
        .value_kind:     global_buffer
      - .offset:         48
        .size:           4
        .value_kind:     by_value
      - .offset:         52
        .size:           4
        .value_kind:     by_value
      - .offset:         56
        .size:           4
        .value_kind:     hidden_block_count_x
      - .offset:         60
        .size:           4
        .value_kind:     hidden_block_count_y
      - .offset:         64
        .size:           4
        .value_kind:     hidden_block_count_z
      - .offset:         68
        .size:           2
        .value_kind:     hidden_group_size_x
      - .offset:         70
        .size:           2
        .value_kind:     hidden_group_size_y
      - .offset:         72
        .size:           2
        .value_kind:     hidden_group_size_z
      - .offset:         74
        .size:           2
        .value_kind:     hidden_remainder_x
      - .offset:         76
        .size:           2
        .value_kind:     hidden_remainder_y
      - .offset:         78
        .size:           2
        .value_kind:     hidden_remainder_z
      - .offset:         96
        .size:           8
        .value_kind:     hidden_global_offset_x
      - .offset:         104
        .size:           8
        .value_kind:     hidden_global_offset_y
      - .offset:         112
        .size:           8
        .value_kind:     hidden_global_offset_z
      - .offset:         120
        .size:           2
        .value_kind:     hidden_grid_dims
      - .offset:         176
        .size:           4
        .value_kind:     hidden_dynamic_lds_size
    .group_segment_fixed_size: 0
    .kernarg_segment_align: 8
    .kernarg_segment_size: 312
    .language:       OpenCL C
    .language_version:
      - 2
      - 0
    .max_flat_workgroup_size: 512
    .name:           _ZN9rocsolver6v33100L23getf2_npvt_small_kernelILi25E19rocblas_complex_numIdEiiPS3_EEvT1_T3_lS5_lPT2_S5_S5_
    .private_segment_fixed_size: 572
    .sgpr_count:     28
    .sgpr_spill_count: 0
    .symbol:         _ZN9rocsolver6v33100L23getf2_npvt_small_kernelILi25E19rocblas_complex_numIdEiiPS3_EEvT1_T3_lS5_lPT2_S5_S5_.kd
    .uniform_work_group_size: 1
    .uses_dynamic_stack: false
    .vgpr_count:     128
    .vgpr_spill_count: 238
    .wavefront_size: 64
  - .args:
      - .offset:         0
        .size:           4
        .value_kind:     by_value
      - .address_space:  global
        .offset:         8
        .size:           8
        .value_kind:     global_buffer
      - .offset:         16
        .size:           8
        .value_kind:     by_value
      - .offset:         24
        .size:           4
        .value_kind:     by_value
      - .offset:         32
        .size:           8
        .value_kind:     by_value
      - .address_space:  global
        .offset:         40
        .size:           8
        .value_kind:     global_buffer
      - .offset:         48
        .size:           8
        .value_kind:     by_value
      - .offset:         56
        .size:           8
        .value_kind:     by_value
      - .address_space:  global
        .offset:         64
        .size:           8
        .value_kind:     global_buffer
      - .offset:         72
        .size:           4
        .value_kind:     by_value
      - .offset:         76
        .size:           4
        .value_kind:     by_value
      - .address_space:  global
        .offset:         80
        .size:           8
        .value_kind:     global_buffer
      - .offset:         88
        .size:           8
        .value_kind:     by_value
      - .offset:         96
        .size:           4
        .value_kind:     hidden_block_count_x
      - .offset:         100
        .size:           4
        .value_kind:     hidden_block_count_y
      - .offset:         104
        .size:           4
        .value_kind:     hidden_block_count_z
      - .offset:         108
        .size:           2
        .value_kind:     hidden_group_size_x
      - .offset:         110
        .size:           2
        .value_kind:     hidden_group_size_y
      - .offset:         112
        .size:           2
        .value_kind:     hidden_group_size_z
      - .offset:         114
        .size:           2
        .value_kind:     hidden_remainder_x
      - .offset:         116
        .size:           2
        .value_kind:     hidden_remainder_y
      - .offset:         118
        .size:           2
        .value_kind:     hidden_remainder_z
      - .offset:         136
        .size:           8
        .value_kind:     hidden_global_offset_x
      - .offset:         144
        .size:           8
        .value_kind:     hidden_global_offset_y
      - .offset:         152
        .size:           8
        .value_kind:     hidden_global_offset_z
      - .offset:         160
        .size:           2
        .value_kind:     hidden_grid_dims
      - .offset:         216
        .size:           4
        .value_kind:     hidden_dynamic_lds_size
    .group_segment_fixed_size: 0
    .kernarg_segment_align: 8
    .kernarg_segment_size: 352
    .language:       OpenCL C
    .language_version:
      - 2
      - 0
    .max_flat_workgroup_size: 512
    .name:           _ZN9rocsolver6v33100L18getf2_small_kernelILi26E19rocblas_complex_numIdEiiPS3_EEvT1_T3_lS5_lPS5_llPT2_S5_S5_S7_l
    .private_segment_fixed_size: 20
    .sgpr_count:     36
    .sgpr_spill_count: 0
    .symbol:         _ZN9rocsolver6v33100L18getf2_small_kernelILi26E19rocblas_complex_numIdEiiPS3_EEvT1_T3_lS5_lPS5_llPT2_S5_S5_S7_l.kd
    .uniform_work_group_size: 1
    .uses_dynamic_stack: false
    .vgpr_count:     128
    .vgpr_spill_count: 4
    .wavefront_size: 64
  - .args:
      - .offset:         0
        .size:           4
        .value_kind:     by_value
      - .address_space:  global
        .offset:         8
        .size:           8
        .value_kind:     global_buffer
      - .offset:         16
        .size:           8
        .value_kind:     by_value
      - .offset:         24
        .size:           4
        .value_kind:     by_value
      - .offset:         32
        .size:           8
        .value_kind:     by_value
      - .address_space:  global
        .offset:         40
        .size:           8
        .value_kind:     global_buffer
      - .offset:         48
        .size:           4
        .value_kind:     by_value
      - .offset:         52
        .size:           4
        .value_kind:     by_value
      - .offset:         56
        .size:           4
        .value_kind:     hidden_block_count_x
      - .offset:         60
        .size:           4
        .value_kind:     hidden_block_count_y
      - .offset:         64
        .size:           4
        .value_kind:     hidden_block_count_z
      - .offset:         68
        .size:           2
        .value_kind:     hidden_group_size_x
      - .offset:         70
        .size:           2
        .value_kind:     hidden_group_size_y
      - .offset:         72
        .size:           2
        .value_kind:     hidden_group_size_z
      - .offset:         74
        .size:           2
        .value_kind:     hidden_remainder_x
      - .offset:         76
        .size:           2
        .value_kind:     hidden_remainder_y
      - .offset:         78
        .size:           2
        .value_kind:     hidden_remainder_z
      - .offset:         96
        .size:           8
        .value_kind:     hidden_global_offset_x
      - .offset:         104
        .size:           8
        .value_kind:     hidden_global_offset_y
      - .offset:         112
        .size:           8
        .value_kind:     hidden_global_offset_z
      - .offset:         120
        .size:           2
        .value_kind:     hidden_grid_dims
      - .offset:         176
        .size:           4
        .value_kind:     hidden_dynamic_lds_size
    .group_segment_fixed_size: 0
    .kernarg_segment_align: 8
    .kernarg_segment_size: 312
    .language:       OpenCL C
    .language_version:
      - 2
      - 0
    .max_flat_workgroup_size: 512
    .name:           _ZN9rocsolver6v33100L23getf2_npvt_small_kernelILi26E19rocblas_complex_numIdEiiPS3_EEvT1_T3_lS5_lPT2_S5_S5_
    .private_segment_fixed_size: 628
    .sgpr_count:     28
    .sgpr_spill_count: 0
    .symbol:         _ZN9rocsolver6v33100L23getf2_npvt_small_kernelILi26E19rocblas_complex_numIdEiiPS3_EEvT1_T3_lS5_lPT2_S5_S5_.kd
    .uniform_work_group_size: 1
    .uses_dynamic_stack: false
    .vgpr_count:     128
    .vgpr_spill_count: 240
    .wavefront_size: 64
  - .args:
      - .offset:         0
        .size:           4
        .value_kind:     by_value
      - .address_space:  global
        .offset:         8
        .size:           8
        .value_kind:     global_buffer
      - .offset:         16
        .size:           8
        .value_kind:     by_value
      - .offset:         24
        .size:           4
        .value_kind:     by_value
      - .offset:         32
        .size:           8
        .value_kind:     by_value
      - .address_space:  global
        .offset:         40
        .size:           8
        .value_kind:     global_buffer
      - .offset:         48
        .size:           8
        .value_kind:     by_value
      - .offset:         56
        .size:           8
        .value_kind:     by_value
      - .address_space:  global
        .offset:         64
        .size:           8
        .value_kind:     global_buffer
      - .offset:         72
        .size:           4
        .value_kind:     by_value
      - .offset:         76
        .size:           4
        .value_kind:     by_value
      - .address_space:  global
        .offset:         80
        .size:           8
        .value_kind:     global_buffer
      - .offset:         88
        .size:           8
        .value_kind:     by_value
      - .offset:         96
        .size:           4
        .value_kind:     hidden_block_count_x
      - .offset:         100
        .size:           4
        .value_kind:     hidden_block_count_y
      - .offset:         104
        .size:           4
        .value_kind:     hidden_block_count_z
      - .offset:         108
        .size:           2
        .value_kind:     hidden_group_size_x
      - .offset:         110
        .size:           2
        .value_kind:     hidden_group_size_y
      - .offset:         112
        .size:           2
        .value_kind:     hidden_group_size_z
      - .offset:         114
        .size:           2
        .value_kind:     hidden_remainder_x
      - .offset:         116
        .size:           2
        .value_kind:     hidden_remainder_y
      - .offset:         118
        .size:           2
        .value_kind:     hidden_remainder_z
      - .offset:         136
        .size:           8
        .value_kind:     hidden_global_offset_x
      - .offset:         144
        .size:           8
        .value_kind:     hidden_global_offset_y
      - .offset:         152
        .size:           8
        .value_kind:     hidden_global_offset_z
      - .offset:         160
        .size:           2
        .value_kind:     hidden_grid_dims
      - .offset:         216
        .size:           4
        .value_kind:     hidden_dynamic_lds_size
    .group_segment_fixed_size: 0
    .kernarg_segment_align: 8
    .kernarg_segment_size: 352
    .language:       OpenCL C
    .language_version:
      - 2
      - 0
    .max_flat_workgroup_size: 512
    .name:           _ZN9rocsolver6v33100L18getf2_small_kernelILi27E19rocblas_complex_numIdEiiPS3_EEvT1_T3_lS5_lPS5_llPT2_S5_S5_S7_l
    .private_segment_fixed_size: 52
    .sgpr_count:     36
    .sgpr_spill_count: 0
    .symbol:         _ZN9rocsolver6v33100L18getf2_small_kernelILi27E19rocblas_complex_numIdEiiPS3_EEvT1_T3_lS5_lPS5_llPT2_S5_S5_S7_l.kd
    .uniform_work_group_size: 1
    .uses_dynamic_stack: false
    .vgpr_count:     128
    .vgpr_spill_count: 16
    .wavefront_size: 64
  - .args:
      - .offset:         0
        .size:           4
        .value_kind:     by_value
      - .address_space:  global
        .offset:         8
        .size:           8
        .value_kind:     global_buffer
      - .offset:         16
        .size:           8
        .value_kind:     by_value
      - .offset:         24
        .size:           4
        .value_kind:     by_value
      - .offset:         32
        .size:           8
        .value_kind:     by_value
      - .address_space:  global
        .offset:         40
        .size:           8
        .value_kind:     global_buffer
      - .offset:         48
        .size:           4
        .value_kind:     by_value
      - .offset:         52
        .size:           4
        .value_kind:     by_value
      - .offset:         56
        .size:           4
        .value_kind:     hidden_block_count_x
      - .offset:         60
        .size:           4
        .value_kind:     hidden_block_count_y
      - .offset:         64
        .size:           4
        .value_kind:     hidden_block_count_z
      - .offset:         68
        .size:           2
        .value_kind:     hidden_group_size_x
      - .offset:         70
        .size:           2
        .value_kind:     hidden_group_size_y
      - .offset:         72
        .size:           2
        .value_kind:     hidden_group_size_z
      - .offset:         74
        .size:           2
        .value_kind:     hidden_remainder_x
      - .offset:         76
        .size:           2
        .value_kind:     hidden_remainder_y
      - .offset:         78
        .size:           2
        .value_kind:     hidden_remainder_z
      - .offset:         96
        .size:           8
        .value_kind:     hidden_global_offset_x
      - .offset:         104
        .size:           8
        .value_kind:     hidden_global_offset_y
      - .offset:         112
        .size:           8
        .value_kind:     hidden_global_offset_z
      - .offset:         120
        .size:           2
        .value_kind:     hidden_grid_dims
      - .offset:         176
        .size:           4
        .value_kind:     hidden_dynamic_lds_size
    .group_segment_fixed_size: 0
    .kernarg_segment_align: 8
    .kernarg_segment_size: 312
    .language:       OpenCL C
    .language_version:
      - 2
      - 0
    .max_flat_workgroup_size: 512
    .name:           _ZN9rocsolver6v33100L23getf2_npvt_small_kernelILi27E19rocblas_complex_numIdEiiPS3_EEvT1_T3_lS5_lPT2_S5_S5_
    .private_segment_fixed_size: 636
    .sgpr_count:     28
    .sgpr_spill_count: 0
    .symbol:         _ZN9rocsolver6v33100L23getf2_npvt_small_kernelILi27E19rocblas_complex_numIdEiiPS3_EEvT1_T3_lS5_lPT2_S5_S5_.kd
    .uniform_work_group_size: 1
    .uses_dynamic_stack: false
    .vgpr_count:     128
    .vgpr_spill_count: 254
    .wavefront_size: 64
  - .args:
      - .offset:         0
        .size:           4
        .value_kind:     by_value
      - .address_space:  global
        .offset:         8
        .size:           8
        .value_kind:     global_buffer
      - .offset:         16
        .size:           8
        .value_kind:     by_value
      - .offset:         24
        .size:           4
        .value_kind:     by_value
      - .offset:         32
        .size:           8
        .value_kind:     by_value
      - .address_space:  global
        .offset:         40
        .size:           8
        .value_kind:     global_buffer
      - .offset:         48
        .size:           8
        .value_kind:     by_value
      - .offset:         56
        .size:           8
        .value_kind:     by_value
      - .address_space:  global
        .offset:         64
        .size:           8
        .value_kind:     global_buffer
      - .offset:         72
        .size:           4
        .value_kind:     by_value
      - .offset:         76
        .size:           4
        .value_kind:     by_value
      - .address_space:  global
        .offset:         80
        .size:           8
        .value_kind:     global_buffer
      - .offset:         88
        .size:           8
        .value_kind:     by_value
      - .offset:         96
        .size:           4
        .value_kind:     hidden_block_count_x
      - .offset:         100
        .size:           4
        .value_kind:     hidden_block_count_y
      - .offset:         104
        .size:           4
        .value_kind:     hidden_block_count_z
      - .offset:         108
        .size:           2
        .value_kind:     hidden_group_size_x
      - .offset:         110
        .size:           2
        .value_kind:     hidden_group_size_y
      - .offset:         112
        .size:           2
        .value_kind:     hidden_group_size_z
      - .offset:         114
        .size:           2
        .value_kind:     hidden_remainder_x
      - .offset:         116
        .size:           2
        .value_kind:     hidden_remainder_y
      - .offset:         118
        .size:           2
        .value_kind:     hidden_remainder_z
      - .offset:         136
        .size:           8
        .value_kind:     hidden_global_offset_x
      - .offset:         144
        .size:           8
        .value_kind:     hidden_global_offset_y
      - .offset:         152
        .size:           8
        .value_kind:     hidden_global_offset_z
      - .offset:         160
        .size:           2
        .value_kind:     hidden_grid_dims
      - .offset:         216
        .size:           4
        .value_kind:     hidden_dynamic_lds_size
    .group_segment_fixed_size: 0
    .kernarg_segment_align: 8
    .kernarg_segment_size: 352
    .language:       OpenCL C
    .language_version:
      - 2
      - 0
    .max_flat_workgroup_size: 512
    .name:           _ZN9rocsolver6v33100L18getf2_small_kernelILi28E19rocblas_complex_numIdEiiPS3_EEvT1_T3_lS5_lPS5_llPT2_S5_S5_S7_l
    .private_segment_fixed_size: 92
    .sgpr_count:     36
    .sgpr_spill_count: 0
    .symbol:         _ZN9rocsolver6v33100L18getf2_small_kernelILi28E19rocblas_complex_numIdEiiPS3_EEvT1_T3_lS5_lPS5_llPT2_S5_S5_S7_l.kd
    .uniform_work_group_size: 1
    .uses_dynamic_stack: false
    .vgpr_count:     128
    .vgpr_spill_count: 64
    .wavefront_size: 64
  - .args:
      - .offset:         0
        .size:           4
        .value_kind:     by_value
      - .address_space:  global
        .offset:         8
        .size:           8
        .value_kind:     global_buffer
      - .offset:         16
        .size:           8
        .value_kind:     by_value
      - .offset:         24
        .size:           4
        .value_kind:     by_value
      - .offset:         32
        .size:           8
        .value_kind:     by_value
      - .address_space:  global
        .offset:         40
        .size:           8
        .value_kind:     global_buffer
      - .offset:         48
        .size:           4
        .value_kind:     by_value
      - .offset:         52
        .size:           4
        .value_kind:     by_value
      - .offset:         56
        .size:           4
        .value_kind:     hidden_block_count_x
      - .offset:         60
        .size:           4
        .value_kind:     hidden_block_count_y
      - .offset:         64
        .size:           4
        .value_kind:     hidden_block_count_z
      - .offset:         68
        .size:           2
        .value_kind:     hidden_group_size_x
      - .offset:         70
        .size:           2
        .value_kind:     hidden_group_size_y
      - .offset:         72
        .size:           2
        .value_kind:     hidden_group_size_z
      - .offset:         74
        .size:           2
        .value_kind:     hidden_remainder_x
      - .offset:         76
        .size:           2
        .value_kind:     hidden_remainder_y
      - .offset:         78
        .size:           2
        .value_kind:     hidden_remainder_z
      - .offset:         96
        .size:           8
        .value_kind:     hidden_global_offset_x
      - .offset:         104
        .size:           8
        .value_kind:     hidden_global_offset_y
      - .offset:         112
        .size:           8
        .value_kind:     hidden_global_offset_z
      - .offset:         120
        .size:           2
        .value_kind:     hidden_grid_dims
      - .offset:         176
        .size:           4
        .value_kind:     hidden_dynamic_lds_size
    .group_segment_fixed_size: 0
    .kernarg_segment_align: 8
    .kernarg_segment_size: 312
    .language:       OpenCL C
    .language_version:
      - 2
      - 0
    .max_flat_workgroup_size: 512
    .name:           _ZN9rocsolver6v33100L23getf2_npvt_small_kernelILi28E19rocblas_complex_numIdEiiPS3_EEvT1_T3_lS5_lPT2_S5_S5_
    .private_segment_fixed_size: 668
    .sgpr_count:     28
    .sgpr_spill_count: 0
    .symbol:         _ZN9rocsolver6v33100L23getf2_npvt_small_kernelILi28E19rocblas_complex_numIdEiiPS3_EEvT1_T3_lS5_lPT2_S5_S5_.kd
    .uniform_work_group_size: 1
    .uses_dynamic_stack: false
    .vgpr_count:     128
    .vgpr_spill_count: 250
    .wavefront_size: 64
  - .args:
      - .offset:         0
        .size:           4
        .value_kind:     by_value
      - .address_space:  global
        .offset:         8
        .size:           8
        .value_kind:     global_buffer
      - .offset:         16
        .size:           8
        .value_kind:     by_value
      - .offset:         24
        .size:           4
        .value_kind:     by_value
      - .offset:         32
        .size:           8
        .value_kind:     by_value
      - .address_space:  global
        .offset:         40
        .size:           8
        .value_kind:     global_buffer
      - .offset:         48
        .size:           8
        .value_kind:     by_value
      - .offset:         56
        .size:           8
        .value_kind:     by_value
      - .address_space:  global
        .offset:         64
        .size:           8
        .value_kind:     global_buffer
      - .offset:         72
        .size:           4
        .value_kind:     by_value
      - .offset:         76
        .size:           4
        .value_kind:     by_value
      - .address_space:  global
        .offset:         80
        .size:           8
        .value_kind:     global_buffer
      - .offset:         88
        .size:           8
        .value_kind:     by_value
      - .offset:         96
        .size:           4
        .value_kind:     hidden_block_count_x
      - .offset:         100
        .size:           4
        .value_kind:     hidden_block_count_y
      - .offset:         104
        .size:           4
        .value_kind:     hidden_block_count_z
      - .offset:         108
        .size:           2
        .value_kind:     hidden_group_size_x
      - .offset:         110
        .size:           2
        .value_kind:     hidden_group_size_y
      - .offset:         112
        .size:           2
        .value_kind:     hidden_group_size_z
      - .offset:         114
        .size:           2
        .value_kind:     hidden_remainder_x
      - .offset:         116
        .size:           2
        .value_kind:     hidden_remainder_y
      - .offset:         118
        .size:           2
        .value_kind:     hidden_remainder_z
      - .offset:         136
        .size:           8
        .value_kind:     hidden_global_offset_x
      - .offset:         144
        .size:           8
        .value_kind:     hidden_global_offset_y
      - .offset:         152
        .size:           8
        .value_kind:     hidden_global_offset_z
      - .offset:         160
        .size:           2
        .value_kind:     hidden_grid_dims
      - .offset:         216
        .size:           4
        .value_kind:     hidden_dynamic_lds_size
    .group_segment_fixed_size: 0
    .kernarg_segment_align: 8
    .kernarg_segment_size: 352
    .language:       OpenCL C
    .language_version:
      - 2
      - 0
    .max_flat_workgroup_size: 512
    .name:           _ZN9rocsolver6v33100L18getf2_small_kernelILi29E19rocblas_complex_numIdEiiPS3_EEvT1_T3_lS5_lPS5_llPT2_S5_S5_S7_l
    .private_segment_fixed_size: 68
    .sgpr_count:     32
    .sgpr_spill_count: 0
    .symbol:         _ZN9rocsolver6v33100L18getf2_small_kernelILi29E19rocblas_complex_numIdEiiPS3_EEvT1_T3_lS5_lPS5_llPT2_S5_S5_S7_l.kd
    .uniform_work_group_size: 1
    .uses_dynamic_stack: false
    .vgpr_count:     128
    .vgpr_spill_count: 42
    .wavefront_size: 64
  - .args:
      - .offset:         0
        .size:           4
        .value_kind:     by_value
      - .address_space:  global
        .offset:         8
        .size:           8
        .value_kind:     global_buffer
      - .offset:         16
        .size:           8
        .value_kind:     by_value
      - .offset:         24
        .size:           4
        .value_kind:     by_value
      - .offset:         32
        .size:           8
        .value_kind:     by_value
      - .address_space:  global
        .offset:         40
        .size:           8
        .value_kind:     global_buffer
      - .offset:         48
        .size:           4
        .value_kind:     by_value
      - .offset:         52
        .size:           4
        .value_kind:     by_value
      - .offset:         56
        .size:           4
        .value_kind:     hidden_block_count_x
      - .offset:         60
        .size:           4
        .value_kind:     hidden_block_count_y
      - .offset:         64
        .size:           4
        .value_kind:     hidden_block_count_z
      - .offset:         68
        .size:           2
        .value_kind:     hidden_group_size_x
      - .offset:         70
        .size:           2
        .value_kind:     hidden_group_size_y
      - .offset:         72
        .size:           2
        .value_kind:     hidden_group_size_z
      - .offset:         74
        .size:           2
        .value_kind:     hidden_remainder_x
      - .offset:         76
        .size:           2
        .value_kind:     hidden_remainder_y
      - .offset:         78
        .size:           2
        .value_kind:     hidden_remainder_z
      - .offset:         96
        .size:           8
        .value_kind:     hidden_global_offset_x
      - .offset:         104
        .size:           8
        .value_kind:     hidden_global_offset_y
      - .offset:         112
        .size:           8
        .value_kind:     hidden_global_offset_z
      - .offset:         120
        .size:           2
        .value_kind:     hidden_grid_dims
      - .offset:         176
        .size:           4
        .value_kind:     hidden_dynamic_lds_size
    .group_segment_fixed_size: 0
    .kernarg_segment_align: 8
    .kernarg_segment_size: 312
    .language:       OpenCL C
    .language_version:
      - 2
      - 0
    .max_flat_workgroup_size: 512
    .name:           _ZN9rocsolver6v33100L23getf2_npvt_small_kernelILi29E19rocblas_complex_numIdEiiPS3_EEvT1_T3_lS5_lPT2_S5_S5_
    .private_segment_fixed_size: 708
    .sgpr_count:     28
    .sgpr_spill_count: 0
    .symbol:         _ZN9rocsolver6v33100L23getf2_npvt_small_kernelILi29E19rocblas_complex_numIdEiiPS3_EEvT1_T3_lS5_lPT2_S5_S5_.kd
    .uniform_work_group_size: 1
    .uses_dynamic_stack: false
    .vgpr_count:     128
    .vgpr_spill_count: 288
    .wavefront_size: 64
  - .args:
      - .offset:         0
        .size:           4
        .value_kind:     by_value
      - .address_space:  global
        .offset:         8
        .size:           8
        .value_kind:     global_buffer
      - .offset:         16
        .size:           8
        .value_kind:     by_value
      - .offset:         24
        .size:           4
        .value_kind:     by_value
      - .offset:         32
        .size:           8
        .value_kind:     by_value
      - .address_space:  global
        .offset:         40
        .size:           8
        .value_kind:     global_buffer
      - .offset:         48
        .size:           8
        .value_kind:     by_value
      - .offset:         56
        .size:           8
        .value_kind:     by_value
      - .address_space:  global
        .offset:         64
        .size:           8
        .value_kind:     global_buffer
      - .offset:         72
        .size:           4
        .value_kind:     by_value
      - .offset:         76
        .size:           4
        .value_kind:     by_value
      - .address_space:  global
        .offset:         80
        .size:           8
        .value_kind:     global_buffer
      - .offset:         88
        .size:           8
        .value_kind:     by_value
      - .offset:         96
        .size:           4
        .value_kind:     hidden_block_count_x
      - .offset:         100
        .size:           4
        .value_kind:     hidden_block_count_y
      - .offset:         104
        .size:           4
        .value_kind:     hidden_block_count_z
      - .offset:         108
        .size:           2
        .value_kind:     hidden_group_size_x
      - .offset:         110
        .size:           2
        .value_kind:     hidden_group_size_y
      - .offset:         112
        .size:           2
        .value_kind:     hidden_group_size_z
      - .offset:         114
        .size:           2
        .value_kind:     hidden_remainder_x
      - .offset:         116
        .size:           2
        .value_kind:     hidden_remainder_y
      - .offset:         118
        .size:           2
        .value_kind:     hidden_remainder_z
      - .offset:         136
        .size:           8
        .value_kind:     hidden_global_offset_x
      - .offset:         144
        .size:           8
        .value_kind:     hidden_global_offset_y
      - .offset:         152
        .size:           8
        .value_kind:     hidden_global_offset_z
      - .offset:         160
        .size:           2
        .value_kind:     hidden_grid_dims
      - .offset:         216
        .size:           4
        .value_kind:     hidden_dynamic_lds_size
    .group_segment_fixed_size: 0
    .kernarg_segment_align: 8
    .kernarg_segment_size: 352
    .language:       OpenCL C
    .language_version:
      - 2
      - 0
    .max_flat_workgroup_size: 512
    .name:           _ZN9rocsolver6v33100L18getf2_small_kernelILi30E19rocblas_complex_numIdEiiPS3_EEvT1_T3_lS5_lPS5_llPT2_S5_S5_S7_l
    .private_segment_fixed_size: 116
    .sgpr_count:     32
    .sgpr_spill_count: 0
    .symbol:         _ZN9rocsolver6v33100L18getf2_small_kernelILi30E19rocblas_complex_numIdEiiPS3_EEvT1_T3_lS5_lPS5_llPT2_S5_S5_S7_l.kd
    .uniform_work_group_size: 1
    .uses_dynamic_stack: false
    .vgpr_count:     128
    .vgpr_spill_count: 114
    .wavefront_size: 64
  - .args:
      - .offset:         0
        .size:           4
        .value_kind:     by_value
      - .address_space:  global
        .offset:         8
        .size:           8
        .value_kind:     global_buffer
      - .offset:         16
        .size:           8
        .value_kind:     by_value
      - .offset:         24
        .size:           4
        .value_kind:     by_value
      - .offset:         32
        .size:           8
        .value_kind:     by_value
      - .address_space:  global
        .offset:         40
        .size:           8
        .value_kind:     global_buffer
      - .offset:         48
        .size:           4
        .value_kind:     by_value
      - .offset:         52
        .size:           4
        .value_kind:     by_value
      - .offset:         56
        .size:           4
        .value_kind:     hidden_block_count_x
      - .offset:         60
        .size:           4
        .value_kind:     hidden_block_count_y
      - .offset:         64
        .size:           4
        .value_kind:     hidden_block_count_z
      - .offset:         68
        .size:           2
        .value_kind:     hidden_group_size_x
      - .offset:         70
        .size:           2
        .value_kind:     hidden_group_size_y
      - .offset:         72
        .size:           2
        .value_kind:     hidden_group_size_z
      - .offset:         74
        .size:           2
        .value_kind:     hidden_remainder_x
      - .offset:         76
        .size:           2
        .value_kind:     hidden_remainder_y
      - .offset:         78
        .size:           2
        .value_kind:     hidden_remainder_z
      - .offset:         96
        .size:           8
        .value_kind:     hidden_global_offset_x
      - .offset:         104
        .size:           8
        .value_kind:     hidden_global_offset_y
      - .offset:         112
        .size:           8
        .value_kind:     hidden_global_offset_z
      - .offset:         120
        .size:           2
        .value_kind:     hidden_grid_dims
      - .offset:         176
        .size:           4
        .value_kind:     hidden_dynamic_lds_size
    .group_segment_fixed_size: 0
    .kernarg_segment_align: 8
    .kernarg_segment_size: 312
    .language:       OpenCL C
    .language_version:
      - 2
      - 0
    .max_flat_workgroup_size: 512
    .name:           _ZN9rocsolver6v33100L23getf2_npvt_small_kernelILi30E19rocblas_complex_numIdEiiPS3_EEvT1_T3_lS5_lPT2_S5_S5_
    .private_segment_fixed_size: 756
    .sgpr_count:     28
    .sgpr_spill_count: 0
    .symbol:         _ZN9rocsolver6v33100L23getf2_npvt_small_kernelILi30E19rocblas_complex_numIdEiiPS3_EEvT1_T3_lS5_lPT2_S5_S5_.kd
    .uniform_work_group_size: 1
    .uses_dynamic_stack: false
    .vgpr_count:     128
    .vgpr_spill_count: 248
    .wavefront_size: 64
  - .args:
      - .offset:         0
        .size:           4
        .value_kind:     by_value
      - .address_space:  global
        .offset:         8
        .size:           8
        .value_kind:     global_buffer
      - .offset:         16
        .size:           8
        .value_kind:     by_value
      - .offset:         24
        .size:           4
        .value_kind:     by_value
      - .offset:         32
        .size:           8
        .value_kind:     by_value
      - .address_space:  global
        .offset:         40
        .size:           8
        .value_kind:     global_buffer
      - .offset:         48
        .size:           8
        .value_kind:     by_value
      - .offset:         56
        .size:           8
        .value_kind:     by_value
      - .address_space:  global
        .offset:         64
        .size:           8
        .value_kind:     global_buffer
      - .offset:         72
        .size:           4
        .value_kind:     by_value
      - .offset:         76
        .size:           4
        .value_kind:     by_value
      - .address_space:  global
        .offset:         80
        .size:           8
        .value_kind:     global_buffer
      - .offset:         88
        .size:           8
        .value_kind:     by_value
      - .offset:         96
        .size:           4
        .value_kind:     hidden_block_count_x
      - .offset:         100
        .size:           4
        .value_kind:     hidden_block_count_y
      - .offset:         104
        .size:           4
        .value_kind:     hidden_block_count_z
      - .offset:         108
        .size:           2
        .value_kind:     hidden_group_size_x
      - .offset:         110
        .size:           2
        .value_kind:     hidden_group_size_y
      - .offset:         112
        .size:           2
        .value_kind:     hidden_group_size_z
      - .offset:         114
        .size:           2
        .value_kind:     hidden_remainder_x
      - .offset:         116
        .size:           2
        .value_kind:     hidden_remainder_y
      - .offset:         118
        .size:           2
        .value_kind:     hidden_remainder_z
      - .offset:         136
        .size:           8
        .value_kind:     hidden_global_offset_x
      - .offset:         144
        .size:           8
        .value_kind:     hidden_global_offset_y
      - .offset:         152
        .size:           8
        .value_kind:     hidden_global_offset_z
      - .offset:         160
        .size:           2
        .value_kind:     hidden_grid_dims
      - .offset:         216
        .size:           4
        .value_kind:     hidden_dynamic_lds_size
    .group_segment_fixed_size: 0
    .kernarg_segment_align: 8
    .kernarg_segment_size: 352
    .language:       OpenCL C
    .language_version:
      - 2
      - 0
    .max_flat_workgroup_size: 512
    .name:           _ZN9rocsolver6v33100L18getf2_small_kernelILi31E19rocblas_complex_numIdEiiPS3_EEvT1_T3_lS5_lPS5_llPT2_S5_S5_S7_l
    .private_segment_fixed_size: 100
    .sgpr_count:     32
    .sgpr_spill_count: 0
    .symbol:         _ZN9rocsolver6v33100L18getf2_small_kernelILi31E19rocblas_complex_numIdEiiPS3_EEvT1_T3_lS5_lPS5_llPT2_S5_S5_S7_l.kd
    .uniform_work_group_size: 1
    .uses_dynamic_stack: false
    .vgpr_count:     128
    .vgpr_spill_count: 86
    .wavefront_size: 64
  - .args:
      - .offset:         0
        .size:           4
        .value_kind:     by_value
      - .address_space:  global
        .offset:         8
        .size:           8
        .value_kind:     global_buffer
      - .offset:         16
        .size:           8
        .value_kind:     by_value
      - .offset:         24
        .size:           4
        .value_kind:     by_value
      - .offset:         32
        .size:           8
        .value_kind:     by_value
      - .address_space:  global
        .offset:         40
        .size:           8
        .value_kind:     global_buffer
      - .offset:         48
        .size:           4
        .value_kind:     by_value
      - .offset:         52
        .size:           4
        .value_kind:     by_value
      - .offset:         56
        .size:           4
        .value_kind:     hidden_block_count_x
      - .offset:         60
        .size:           4
        .value_kind:     hidden_block_count_y
      - .offset:         64
        .size:           4
        .value_kind:     hidden_block_count_z
      - .offset:         68
        .size:           2
        .value_kind:     hidden_group_size_x
      - .offset:         70
        .size:           2
        .value_kind:     hidden_group_size_y
      - .offset:         72
        .size:           2
        .value_kind:     hidden_group_size_z
      - .offset:         74
        .size:           2
        .value_kind:     hidden_remainder_x
      - .offset:         76
        .size:           2
        .value_kind:     hidden_remainder_y
      - .offset:         78
        .size:           2
        .value_kind:     hidden_remainder_z
      - .offset:         96
        .size:           8
        .value_kind:     hidden_global_offset_x
      - .offset:         104
        .size:           8
        .value_kind:     hidden_global_offset_y
      - .offset:         112
        .size:           8
        .value_kind:     hidden_global_offset_z
      - .offset:         120
        .size:           2
        .value_kind:     hidden_grid_dims
      - .offset:         176
        .size:           4
        .value_kind:     hidden_dynamic_lds_size
    .group_segment_fixed_size: 0
    .kernarg_segment_align: 8
    .kernarg_segment_size: 312
    .language:       OpenCL C
    .language_version:
      - 2
      - 0
    .max_flat_workgroup_size: 512
    .name:           _ZN9rocsolver6v33100L23getf2_npvt_small_kernelILi31E19rocblas_complex_numIdEiiPS3_EEvT1_T3_lS5_lPT2_S5_S5_
    .private_segment_fixed_size: 788
    .sgpr_count:     28
    .sgpr_spill_count: 0
    .symbol:         _ZN9rocsolver6v33100L23getf2_npvt_small_kernelILi31E19rocblas_complex_numIdEiiPS3_EEvT1_T3_lS5_lPT2_S5_S5_.kd
    .uniform_work_group_size: 1
    .uses_dynamic_stack: false
    .vgpr_count:     128
    .vgpr_spill_count: 340
    .wavefront_size: 64
  - .args:
      - .offset:         0
        .size:           4
        .value_kind:     by_value
      - .address_space:  global
        .offset:         8
        .size:           8
        .value_kind:     global_buffer
      - .offset:         16
        .size:           8
        .value_kind:     by_value
      - .offset:         24
        .size:           4
        .value_kind:     by_value
      - .offset:         32
        .size:           8
        .value_kind:     by_value
      - .address_space:  global
        .offset:         40
        .size:           8
        .value_kind:     global_buffer
      - .offset:         48
        .size:           8
        .value_kind:     by_value
      - .offset:         56
        .size:           8
        .value_kind:     by_value
      - .address_space:  global
        .offset:         64
        .size:           8
        .value_kind:     global_buffer
      - .offset:         72
        .size:           4
        .value_kind:     by_value
      - .offset:         76
        .size:           4
        .value_kind:     by_value
      - .address_space:  global
        .offset:         80
        .size:           8
        .value_kind:     global_buffer
      - .offset:         88
        .size:           8
        .value_kind:     by_value
      - .offset:         96
        .size:           4
        .value_kind:     hidden_block_count_x
      - .offset:         100
        .size:           4
        .value_kind:     hidden_block_count_y
      - .offset:         104
        .size:           4
        .value_kind:     hidden_block_count_z
      - .offset:         108
        .size:           2
        .value_kind:     hidden_group_size_x
      - .offset:         110
        .size:           2
        .value_kind:     hidden_group_size_y
      - .offset:         112
        .size:           2
        .value_kind:     hidden_group_size_z
      - .offset:         114
        .size:           2
        .value_kind:     hidden_remainder_x
      - .offset:         116
        .size:           2
        .value_kind:     hidden_remainder_y
      - .offset:         118
        .size:           2
        .value_kind:     hidden_remainder_z
      - .offset:         136
        .size:           8
        .value_kind:     hidden_global_offset_x
      - .offset:         144
        .size:           8
        .value_kind:     hidden_global_offset_y
      - .offset:         152
        .size:           8
        .value_kind:     hidden_global_offset_z
      - .offset:         160
        .size:           2
        .value_kind:     hidden_grid_dims
      - .offset:         216
        .size:           4
        .value_kind:     hidden_dynamic_lds_size
    .group_segment_fixed_size: 0
    .kernarg_segment_align: 8
    .kernarg_segment_size: 352
    .language:       OpenCL C
    .language_version:
      - 2
      - 0
    .max_flat_workgroup_size: 512
    .name:           _ZN9rocsolver6v33100L18getf2_small_kernelILi32E19rocblas_complex_numIdEiiPS3_EEvT1_T3_lS5_lPS5_llPT2_S5_S5_S7_l
    .private_segment_fixed_size: 116
    .sgpr_count:     32
    .sgpr_spill_count: 0
    .symbol:         _ZN9rocsolver6v33100L18getf2_small_kernelILi32E19rocblas_complex_numIdEiiPS3_EEvT1_T3_lS5_lPS5_llPT2_S5_S5_S7_l.kd
    .uniform_work_group_size: 1
    .uses_dynamic_stack: false
    .vgpr_count:     128
    .vgpr_spill_count: 114
    .wavefront_size: 64
  - .args:
      - .offset:         0
        .size:           4
        .value_kind:     by_value
      - .address_space:  global
        .offset:         8
        .size:           8
        .value_kind:     global_buffer
      - .offset:         16
        .size:           8
        .value_kind:     by_value
      - .offset:         24
        .size:           4
        .value_kind:     by_value
      - .offset:         32
        .size:           8
        .value_kind:     by_value
      - .address_space:  global
        .offset:         40
        .size:           8
        .value_kind:     global_buffer
      - .offset:         48
        .size:           4
        .value_kind:     by_value
      - .offset:         52
        .size:           4
        .value_kind:     by_value
      - .offset:         56
        .size:           4
        .value_kind:     hidden_block_count_x
      - .offset:         60
        .size:           4
        .value_kind:     hidden_block_count_y
      - .offset:         64
        .size:           4
        .value_kind:     hidden_block_count_z
      - .offset:         68
        .size:           2
        .value_kind:     hidden_group_size_x
      - .offset:         70
        .size:           2
        .value_kind:     hidden_group_size_y
      - .offset:         72
        .size:           2
        .value_kind:     hidden_group_size_z
      - .offset:         74
        .size:           2
        .value_kind:     hidden_remainder_x
      - .offset:         76
        .size:           2
        .value_kind:     hidden_remainder_y
      - .offset:         78
        .size:           2
        .value_kind:     hidden_remainder_z
      - .offset:         96
        .size:           8
        .value_kind:     hidden_global_offset_x
      - .offset:         104
        .size:           8
        .value_kind:     hidden_global_offset_y
      - .offset:         112
        .size:           8
        .value_kind:     hidden_global_offset_z
      - .offset:         120
        .size:           2
        .value_kind:     hidden_grid_dims
      - .offset:         176
        .size:           4
        .value_kind:     hidden_dynamic_lds_size
    .group_segment_fixed_size: 0
    .kernarg_segment_align: 8
    .kernarg_segment_size: 312
    .language:       OpenCL C
    .language_version:
      - 2
      - 0
    .max_flat_workgroup_size: 512
    .name:           _ZN9rocsolver6v33100L23getf2_npvt_small_kernelILi32E19rocblas_complex_numIdEiiPS3_EEvT1_T3_lS5_lPT2_S5_S5_
    .private_segment_fixed_size: 924
    .sgpr_count:     28
    .sgpr_spill_count: 0
    .symbol:         _ZN9rocsolver6v33100L23getf2_npvt_small_kernelILi32E19rocblas_complex_numIdEiiPS3_EEvT1_T3_lS5_lPT2_S5_S5_.kd
    .uniform_work_group_size: 1
    .uses_dynamic_stack: false
    .vgpr_count:     128
    .vgpr_spill_count: 506
    .wavefront_size: 64
  - .args:
      - .offset:         0
        .size:           4
        .value_kind:     by_value
      - .address_space:  global
        .offset:         8
        .size:           8
        .value_kind:     global_buffer
      - .offset:         16
        .size:           8
        .value_kind:     by_value
      - .offset:         24
        .size:           4
        .value_kind:     by_value
      - .offset:         32
        .size:           8
        .value_kind:     by_value
      - .address_space:  global
        .offset:         40
        .size:           8
        .value_kind:     global_buffer
      - .offset:         48
        .size:           8
        .value_kind:     by_value
      - .offset:         56
        .size:           8
        .value_kind:     by_value
      - .address_space:  global
        .offset:         64
        .size:           8
        .value_kind:     global_buffer
      - .offset:         72
        .size:           4
        .value_kind:     by_value
      - .offset:         76
        .size:           4
        .value_kind:     by_value
      - .address_space:  global
        .offset:         80
        .size:           8
        .value_kind:     global_buffer
      - .offset:         88
        .size:           8
        .value_kind:     by_value
      - .offset:         96
        .size:           4
        .value_kind:     hidden_block_count_x
      - .offset:         100
        .size:           4
        .value_kind:     hidden_block_count_y
      - .offset:         104
        .size:           4
        .value_kind:     hidden_block_count_z
      - .offset:         108
        .size:           2
        .value_kind:     hidden_group_size_x
      - .offset:         110
        .size:           2
        .value_kind:     hidden_group_size_y
      - .offset:         112
        .size:           2
        .value_kind:     hidden_group_size_z
      - .offset:         114
        .size:           2
        .value_kind:     hidden_remainder_x
      - .offset:         116
        .size:           2
        .value_kind:     hidden_remainder_y
      - .offset:         118
        .size:           2
        .value_kind:     hidden_remainder_z
      - .offset:         136
        .size:           8
        .value_kind:     hidden_global_offset_x
      - .offset:         144
        .size:           8
        .value_kind:     hidden_global_offset_y
      - .offset:         152
        .size:           8
        .value_kind:     hidden_global_offset_z
      - .offset:         160
        .size:           2
        .value_kind:     hidden_grid_dims
      - .offset:         216
        .size:           4
        .value_kind:     hidden_dynamic_lds_size
    .group_segment_fixed_size: 0
    .kernarg_segment_align: 8
    .kernarg_segment_size: 352
    .language:       OpenCL C
    .language_version:
      - 2
      - 0
    .max_flat_workgroup_size: 512
    .name:           _ZN9rocsolver6v33100L18getf2_small_kernelILi33E19rocblas_complex_numIdEiiPS3_EEvT1_T3_lS5_lPS5_llPT2_S5_S5_S7_l
    .private_segment_fixed_size: 132
    .sgpr_count:     32
    .sgpr_spill_count: 0
    .symbol:         _ZN9rocsolver6v33100L18getf2_small_kernelILi33E19rocblas_complex_numIdEiiPS3_EEvT1_T3_lS5_lPS5_llPT2_S5_S5_S7_l.kd
    .uniform_work_group_size: 1
    .uses_dynamic_stack: false
    .vgpr_count:     128
    .vgpr_spill_count: 146
    .wavefront_size: 64
  - .args:
      - .offset:         0
        .size:           4
        .value_kind:     by_value
      - .address_space:  global
        .offset:         8
        .size:           8
        .value_kind:     global_buffer
      - .offset:         16
        .size:           8
        .value_kind:     by_value
      - .offset:         24
        .size:           4
        .value_kind:     by_value
      - .offset:         32
        .size:           8
        .value_kind:     by_value
      - .address_space:  global
        .offset:         40
        .size:           8
        .value_kind:     global_buffer
      - .offset:         48
        .size:           4
        .value_kind:     by_value
      - .offset:         52
        .size:           4
        .value_kind:     by_value
      - .offset:         56
        .size:           4
        .value_kind:     hidden_block_count_x
      - .offset:         60
        .size:           4
        .value_kind:     hidden_block_count_y
      - .offset:         64
        .size:           4
        .value_kind:     hidden_block_count_z
      - .offset:         68
        .size:           2
        .value_kind:     hidden_group_size_x
      - .offset:         70
        .size:           2
        .value_kind:     hidden_group_size_y
      - .offset:         72
        .size:           2
        .value_kind:     hidden_group_size_z
      - .offset:         74
        .size:           2
        .value_kind:     hidden_remainder_x
      - .offset:         76
        .size:           2
        .value_kind:     hidden_remainder_y
      - .offset:         78
        .size:           2
        .value_kind:     hidden_remainder_z
      - .offset:         96
        .size:           8
        .value_kind:     hidden_global_offset_x
      - .offset:         104
        .size:           8
        .value_kind:     hidden_global_offset_y
      - .offset:         112
        .size:           8
        .value_kind:     hidden_global_offset_z
      - .offset:         120
        .size:           2
        .value_kind:     hidden_grid_dims
      - .offset:         176
        .size:           4
        .value_kind:     hidden_dynamic_lds_size
    .group_segment_fixed_size: 0
    .kernarg_segment_align: 8
    .kernarg_segment_size: 312
    .language:       OpenCL C
    .language_version:
      - 2
      - 0
    .max_flat_workgroup_size: 512
    .name:           _ZN9rocsolver6v33100L23getf2_npvt_small_kernelILi33E19rocblas_complex_numIdEiiPS3_EEvT1_T3_lS5_lPT2_S5_S5_
    .private_segment_fixed_size: 876
    .sgpr_count:     28
    .sgpr_spill_count: 0
    .symbol:         _ZN9rocsolver6v33100L23getf2_npvt_small_kernelILi33E19rocblas_complex_numIdEiiPS3_EEvT1_T3_lS5_lPT2_S5_S5_.kd
    .uniform_work_group_size: 1
    .uses_dynamic_stack: false
    .vgpr_count:     128
    .vgpr_spill_count: 330
    .wavefront_size: 64
  - .args:
      - .offset:         0
        .size:           4
        .value_kind:     by_value
      - .address_space:  global
        .offset:         8
        .size:           8
        .value_kind:     global_buffer
      - .offset:         16
        .size:           8
        .value_kind:     by_value
      - .offset:         24
        .size:           4
        .value_kind:     by_value
      - .offset:         32
        .size:           8
        .value_kind:     by_value
      - .address_space:  global
        .offset:         40
        .size:           8
        .value_kind:     global_buffer
      - .offset:         48
        .size:           8
        .value_kind:     by_value
      - .offset:         56
        .size:           8
        .value_kind:     by_value
      - .address_space:  global
        .offset:         64
        .size:           8
        .value_kind:     global_buffer
      - .offset:         72
        .size:           4
        .value_kind:     by_value
      - .offset:         76
        .size:           4
        .value_kind:     by_value
      - .address_space:  global
        .offset:         80
        .size:           8
        .value_kind:     global_buffer
      - .offset:         88
        .size:           8
        .value_kind:     by_value
      - .offset:         96
        .size:           4
        .value_kind:     hidden_block_count_x
      - .offset:         100
        .size:           4
        .value_kind:     hidden_block_count_y
      - .offset:         104
        .size:           4
        .value_kind:     hidden_block_count_z
      - .offset:         108
        .size:           2
        .value_kind:     hidden_group_size_x
      - .offset:         110
        .size:           2
        .value_kind:     hidden_group_size_y
      - .offset:         112
        .size:           2
        .value_kind:     hidden_group_size_z
      - .offset:         114
        .size:           2
        .value_kind:     hidden_remainder_x
      - .offset:         116
        .size:           2
        .value_kind:     hidden_remainder_y
      - .offset:         118
        .size:           2
        .value_kind:     hidden_remainder_z
      - .offset:         136
        .size:           8
        .value_kind:     hidden_global_offset_x
      - .offset:         144
        .size:           8
        .value_kind:     hidden_global_offset_y
      - .offset:         152
        .size:           8
        .value_kind:     hidden_global_offset_z
      - .offset:         160
        .size:           2
        .value_kind:     hidden_grid_dims
      - .offset:         216
        .size:           4
        .value_kind:     hidden_dynamic_lds_size
    .group_segment_fixed_size: 0
    .kernarg_segment_align: 8
    .kernarg_segment_size: 352
    .language:       OpenCL C
    .language_version:
      - 2
      - 0
    .max_flat_workgroup_size: 512
    .name:           _ZN9rocsolver6v33100L18getf2_small_kernelILi34E19rocblas_complex_numIdEiiPS3_EEvT1_T3_lS5_lPS5_llPT2_S5_S5_S7_l
    .private_segment_fixed_size: 148
    .sgpr_count:     32
    .sgpr_spill_count: 0
    .symbol:         _ZN9rocsolver6v33100L18getf2_small_kernelILi34E19rocblas_complex_numIdEiiPS3_EEvT1_T3_lS5_lPS5_llPT2_S5_S5_S7_l.kd
    .uniform_work_group_size: 1
    .uses_dynamic_stack: false
    .vgpr_count:     128
    .vgpr_spill_count: 182
    .wavefront_size: 64
  - .args:
      - .offset:         0
        .size:           4
        .value_kind:     by_value
      - .address_space:  global
        .offset:         8
        .size:           8
        .value_kind:     global_buffer
      - .offset:         16
        .size:           8
        .value_kind:     by_value
      - .offset:         24
        .size:           4
        .value_kind:     by_value
      - .offset:         32
        .size:           8
        .value_kind:     by_value
      - .address_space:  global
        .offset:         40
        .size:           8
        .value_kind:     global_buffer
      - .offset:         48
        .size:           4
        .value_kind:     by_value
      - .offset:         52
        .size:           4
        .value_kind:     by_value
      - .offset:         56
        .size:           4
        .value_kind:     hidden_block_count_x
      - .offset:         60
        .size:           4
        .value_kind:     hidden_block_count_y
      - .offset:         64
        .size:           4
        .value_kind:     hidden_block_count_z
      - .offset:         68
        .size:           2
        .value_kind:     hidden_group_size_x
      - .offset:         70
        .size:           2
        .value_kind:     hidden_group_size_y
      - .offset:         72
        .size:           2
        .value_kind:     hidden_group_size_z
      - .offset:         74
        .size:           2
        .value_kind:     hidden_remainder_x
      - .offset:         76
        .size:           2
        .value_kind:     hidden_remainder_y
      - .offset:         78
        .size:           2
        .value_kind:     hidden_remainder_z
      - .offset:         96
        .size:           8
        .value_kind:     hidden_global_offset_x
      - .offset:         104
        .size:           8
        .value_kind:     hidden_global_offset_y
      - .offset:         112
        .size:           8
        .value_kind:     hidden_global_offset_z
      - .offset:         120
        .size:           2
        .value_kind:     hidden_grid_dims
      - .offset:         176
        .size:           4
        .value_kind:     hidden_dynamic_lds_size
    .group_segment_fixed_size: 0
    .kernarg_segment_align: 8
    .kernarg_segment_size: 312
    .language:       OpenCL C
    .language_version:
      - 2
      - 0
    .max_flat_workgroup_size: 512
    .name:           _ZN9rocsolver6v33100L23getf2_npvt_small_kernelILi34E19rocblas_complex_numIdEiiPS3_EEvT1_T3_lS5_lPT2_S5_S5_
    .private_segment_fixed_size: 932
    .sgpr_count:     28
    .sgpr_spill_count: 0
    .symbol:         _ZN9rocsolver6v33100L23getf2_npvt_small_kernelILi34E19rocblas_complex_numIdEiiPS3_EEvT1_T3_lS5_lPT2_S5_S5_.kd
    .uniform_work_group_size: 1
    .uses_dynamic_stack: false
    .vgpr_count:     128
    .vgpr_spill_count: 496
    .wavefront_size: 64
  - .args:
      - .offset:         0
        .size:           4
        .value_kind:     by_value
      - .address_space:  global
        .offset:         8
        .size:           8
        .value_kind:     global_buffer
      - .offset:         16
        .size:           8
        .value_kind:     by_value
      - .offset:         24
        .size:           4
        .value_kind:     by_value
      - .offset:         32
        .size:           8
        .value_kind:     by_value
      - .address_space:  global
        .offset:         40
        .size:           8
        .value_kind:     global_buffer
      - .offset:         48
        .size:           8
        .value_kind:     by_value
      - .offset:         56
        .size:           8
        .value_kind:     by_value
      - .address_space:  global
        .offset:         64
        .size:           8
        .value_kind:     global_buffer
      - .offset:         72
        .size:           4
        .value_kind:     by_value
      - .offset:         76
        .size:           4
        .value_kind:     by_value
      - .address_space:  global
        .offset:         80
        .size:           8
        .value_kind:     global_buffer
      - .offset:         88
        .size:           8
        .value_kind:     by_value
      - .offset:         96
        .size:           4
        .value_kind:     hidden_block_count_x
      - .offset:         100
        .size:           4
        .value_kind:     hidden_block_count_y
      - .offset:         104
        .size:           4
        .value_kind:     hidden_block_count_z
      - .offset:         108
        .size:           2
        .value_kind:     hidden_group_size_x
      - .offset:         110
        .size:           2
        .value_kind:     hidden_group_size_y
      - .offset:         112
        .size:           2
        .value_kind:     hidden_group_size_z
      - .offset:         114
        .size:           2
        .value_kind:     hidden_remainder_x
      - .offset:         116
        .size:           2
        .value_kind:     hidden_remainder_y
      - .offset:         118
        .size:           2
        .value_kind:     hidden_remainder_z
      - .offset:         136
        .size:           8
        .value_kind:     hidden_global_offset_x
      - .offset:         144
        .size:           8
        .value_kind:     hidden_global_offset_y
      - .offset:         152
        .size:           8
        .value_kind:     hidden_global_offset_z
      - .offset:         160
        .size:           2
        .value_kind:     hidden_grid_dims
      - .offset:         216
        .size:           4
        .value_kind:     hidden_dynamic_lds_size
    .group_segment_fixed_size: 0
    .kernarg_segment_align: 8
    .kernarg_segment_size: 352
    .language:       OpenCL C
    .language_version:
      - 2
      - 0
    .max_flat_workgroup_size: 512
    .name:           _ZN9rocsolver6v33100L18getf2_small_kernelILi35E19rocblas_complex_numIdEiiPS3_EEvT1_T3_lS5_lPS5_llPT2_S5_S5_S7_l
    .private_segment_fixed_size: 180
    .sgpr_count:     32
    .sgpr_spill_count: 0
    .symbol:         _ZN9rocsolver6v33100L18getf2_small_kernelILi35E19rocblas_complex_numIdEiiPS3_EEvT1_T3_lS5_lPS5_llPT2_S5_S5_S7_l.kd
    .uniform_work_group_size: 1
    .uses_dynamic_stack: false
    .vgpr_count:     128
    .vgpr_spill_count: 264
    .wavefront_size: 64
  - .args:
      - .offset:         0
        .size:           4
        .value_kind:     by_value
      - .address_space:  global
        .offset:         8
        .size:           8
        .value_kind:     global_buffer
      - .offset:         16
        .size:           8
        .value_kind:     by_value
      - .offset:         24
        .size:           4
        .value_kind:     by_value
      - .offset:         32
        .size:           8
        .value_kind:     by_value
      - .address_space:  global
        .offset:         40
        .size:           8
        .value_kind:     global_buffer
      - .offset:         48
        .size:           4
        .value_kind:     by_value
      - .offset:         52
        .size:           4
        .value_kind:     by_value
      - .offset:         56
        .size:           4
        .value_kind:     hidden_block_count_x
      - .offset:         60
        .size:           4
        .value_kind:     hidden_block_count_y
      - .offset:         64
        .size:           4
        .value_kind:     hidden_block_count_z
      - .offset:         68
        .size:           2
        .value_kind:     hidden_group_size_x
      - .offset:         70
        .size:           2
        .value_kind:     hidden_group_size_y
      - .offset:         72
        .size:           2
        .value_kind:     hidden_group_size_z
      - .offset:         74
        .size:           2
        .value_kind:     hidden_remainder_x
      - .offset:         76
        .size:           2
        .value_kind:     hidden_remainder_y
      - .offset:         78
        .size:           2
        .value_kind:     hidden_remainder_z
      - .offset:         96
        .size:           8
        .value_kind:     hidden_global_offset_x
      - .offset:         104
        .size:           8
        .value_kind:     hidden_global_offset_y
      - .offset:         112
        .size:           8
        .value_kind:     hidden_global_offset_z
      - .offset:         120
        .size:           2
        .value_kind:     hidden_grid_dims
      - .offset:         176
        .size:           4
        .value_kind:     hidden_dynamic_lds_size
    .group_segment_fixed_size: 0
    .kernarg_segment_align: 8
    .kernarg_segment_size: 312
    .language:       OpenCL C
    .language_version:
      - 2
      - 0
    .max_flat_workgroup_size: 512
    .name:           _ZN9rocsolver6v33100L23getf2_npvt_small_kernelILi35E19rocblas_complex_numIdEiiPS3_EEvT1_T3_lS5_lPT2_S5_S5_
    .private_segment_fixed_size: 956
    .sgpr_count:     28
    .sgpr_spill_count: 0
    .symbol:         _ZN9rocsolver6v33100L23getf2_npvt_small_kernelILi35E19rocblas_complex_numIdEiiPS3_EEvT1_T3_lS5_lPT2_S5_S5_.kd
    .uniform_work_group_size: 1
    .uses_dynamic_stack: false
    .vgpr_count:     128
    .vgpr_spill_count: 550
    .wavefront_size: 64
  - .args:
      - .offset:         0
        .size:           4
        .value_kind:     by_value
      - .address_space:  global
        .offset:         8
        .size:           8
        .value_kind:     global_buffer
      - .offset:         16
        .size:           8
        .value_kind:     by_value
      - .offset:         24
        .size:           4
        .value_kind:     by_value
      - .offset:         32
        .size:           8
        .value_kind:     by_value
      - .address_space:  global
        .offset:         40
        .size:           8
        .value_kind:     global_buffer
      - .offset:         48
        .size:           8
        .value_kind:     by_value
      - .offset:         56
        .size:           8
        .value_kind:     by_value
      - .address_space:  global
        .offset:         64
        .size:           8
        .value_kind:     global_buffer
      - .offset:         72
        .size:           4
        .value_kind:     by_value
      - .offset:         76
        .size:           4
        .value_kind:     by_value
      - .address_space:  global
        .offset:         80
        .size:           8
        .value_kind:     global_buffer
      - .offset:         88
        .size:           8
        .value_kind:     by_value
      - .offset:         96
        .size:           4
        .value_kind:     hidden_block_count_x
      - .offset:         100
        .size:           4
        .value_kind:     hidden_block_count_y
      - .offset:         104
        .size:           4
        .value_kind:     hidden_block_count_z
      - .offset:         108
        .size:           2
        .value_kind:     hidden_group_size_x
      - .offset:         110
        .size:           2
        .value_kind:     hidden_group_size_y
      - .offset:         112
        .size:           2
        .value_kind:     hidden_group_size_z
      - .offset:         114
        .size:           2
        .value_kind:     hidden_remainder_x
      - .offset:         116
        .size:           2
        .value_kind:     hidden_remainder_y
      - .offset:         118
        .size:           2
        .value_kind:     hidden_remainder_z
      - .offset:         136
        .size:           8
        .value_kind:     hidden_global_offset_x
      - .offset:         144
        .size:           8
        .value_kind:     hidden_global_offset_y
      - .offset:         152
        .size:           8
        .value_kind:     hidden_global_offset_z
      - .offset:         160
        .size:           2
        .value_kind:     hidden_grid_dims
      - .offset:         216
        .size:           4
        .value_kind:     hidden_dynamic_lds_size
    .group_segment_fixed_size: 0
    .kernarg_segment_align: 8
    .kernarg_segment_size: 352
    .language:       OpenCL C
    .language_version:
      - 2
      - 0
    .max_flat_workgroup_size: 512
    .name:           _ZN9rocsolver6v33100L18getf2_small_kernelILi36E19rocblas_complex_numIdEiiPS3_EEvT1_T3_lS5_lPS5_llPT2_S5_S5_S7_l
    .private_segment_fixed_size: 196
    .sgpr_count:     32
    .sgpr_spill_count: 0
    .symbol:         _ZN9rocsolver6v33100L18getf2_small_kernelILi36E19rocblas_complex_numIdEiiPS3_EEvT1_T3_lS5_lPS5_llPT2_S5_S5_S7_l.kd
    .uniform_work_group_size: 1
    .uses_dynamic_stack: false
    .vgpr_count:     128
    .vgpr_spill_count: 312
    .wavefront_size: 64
  - .args:
      - .offset:         0
        .size:           4
        .value_kind:     by_value
      - .address_space:  global
        .offset:         8
        .size:           8
        .value_kind:     global_buffer
      - .offset:         16
        .size:           8
        .value_kind:     by_value
      - .offset:         24
        .size:           4
        .value_kind:     by_value
      - .offset:         32
        .size:           8
        .value_kind:     by_value
      - .address_space:  global
        .offset:         40
        .size:           8
        .value_kind:     global_buffer
      - .offset:         48
        .size:           4
        .value_kind:     by_value
      - .offset:         52
        .size:           4
        .value_kind:     by_value
      - .offset:         56
        .size:           4
        .value_kind:     hidden_block_count_x
      - .offset:         60
        .size:           4
        .value_kind:     hidden_block_count_y
      - .offset:         64
        .size:           4
        .value_kind:     hidden_block_count_z
      - .offset:         68
        .size:           2
        .value_kind:     hidden_group_size_x
      - .offset:         70
        .size:           2
        .value_kind:     hidden_group_size_y
      - .offset:         72
        .size:           2
        .value_kind:     hidden_group_size_z
      - .offset:         74
        .size:           2
        .value_kind:     hidden_remainder_x
      - .offset:         76
        .size:           2
        .value_kind:     hidden_remainder_y
      - .offset:         78
        .size:           2
        .value_kind:     hidden_remainder_z
      - .offset:         96
        .size:           8
        .value_kind:     hidden_global_offset_x
      - .offset:         104
        .size:           8
        .value_kind:     hidden_global_offset_y
      - .offset:         112
        .size:           8
        .value_kind:     hidden_global_offset_z
      - .offset:         120
        .size:           2
        .value_kind:     hidden_grid_dims
      - .offset:         176
        .size:           4
        .value_kind:     hidden_dynamic_lds_size
    .group_segment_fixed_size: 0
    .kernarg_segment_align: 8
    .kernarg_segment_size: 312
    .language:       OpenCL C
    .language_version:
      - 2
      - 0
    .max_flat_workgroup_size: 512
    .name:           _ZN9rocsolver6v33100L23getf2_npvt_small_kernelILi36E19rocblas_complex_numIdEiiPS3_EEvT1_T3_lS5_lPT2_S5_S5_
    .private_segment_fixed_size: 988
    .sgpr_count:     28
    .sgpr_spill_count: 0
    .symbol:         _ZN9rocsolver6v33100L23getf2_npvt_small_kernelILi36E19rocblas_complex_numIdEiiPS3_EEvT1_T3_lS5_lPT2_S5_S5_.kd
    .uniform_work_group_size: 1
    .uses_dynamic_stack: false
    .vgpr_count:     128
    .vgpr_spill_count: 602
    .wavefront_size: 64
  - .args:
      - .offset:         0
        .size:           4
        .value_kind:     by_value
      - .address_space:  global
        .offset:         8
        .size:           8
        .value_kind:     global_buffer
      - .offset:         16
        .size:           8
        .value_kind:     by_value
      - .offset:         24
        .size:           4
        .value_kind:     by_value
      - .offset:         32
        .size:           8
        .value_kind:     by_value
      - .address_space:  global
        .offset:         40
        .size:           8
        .value_kind:     global_buffer
      - .offset:         48
        .size:           8
        .value_kind:     by_value
      - .offset:         56
        .size:           8
        .value_kind:     by_value
      - .address_space:  global
        .offset:         64
        .size:           8
        .value_kind:     global_buffer
      - .offset:         72
        .size:           4
        .value_kind:     by_value
      - .offset:         76
        .size:           4
        .value_kind:     by_value
      - .address_space:  global
        .offset:         80
        .size:           8
        .value_kind:     global_buffer
      - .offset:         88
        .size:           8
        .value_kind:     by_value
      - .offset:         96
        .size:           4
        .value_kind:     hidden_block_count_x
      - .offset:         100
        .size:           4
        .value_kind:     hidden_block_count_y
      - .offset:         104
        .size:           4
        .value_kind:     hidden_block_count_z
      - .offset:         108
        .size:           2
        .value_kind:     hidden_group_size_x
      - .offset:         110
        .size:           2
        .value_kind:     hidden_group_size_y
      - .offset:         112
        .size:           2
        .value_kind:     hidden_group_size_z
      - .offset:         114
        .size:           2
        .value_kind:     hidden_remainder_x
      - .offset:         116
        .size:           2
        .value_kind:     hidden_remainder_y
      - .offset:         118
        .size:           2
        .value_kind:     hidden_remainder_z
      - .offset:         136
        .size:           8
        .value_kind:     hidden_global_offset_x
      - .offset:         144
        .size:           8
        .value_kind:     hidden_global_offset_y
      - .offset:         152
        .size:           8
        .value_kind:     hidden_global_offset_z
      - .offset:         160
        .size:           2
        .value_kind:     hidden_grid_dims
      - .offset:         216
        .size:           4
        .value_kind:     hidden_dynamic_lds_size
    .group_segment_fixed_size: 0
    .kernarg_segment_align: 8
    .kernarg_segment_size: 352
    .language:       OpenCL C
    .language_version:
      - 2
      - 0
    .max_flat_workgroup_size: 512
    .name:           _ZN9rocsolver6v33100L18getf2_small_kernelILi37E19rocblas_complex_numIdEiiPS3_EEvT1_T3_lS5_lPS5_llPT2_S5_S5_S7_l
    .private_segment_fixed_size: 212
    .sgpr_count:     32
    .sgpr_spill_count: 0
    .symbol:         _ZN9rocsolver6v33100L18getf2_small_kernelILi37E19rocblas_complex_numIdEiiPS3_EEvT1_T3_lS5_lPS5_llPT2_S5_S5_S7_l.kd
    .uniform_work_group_size: 1
    .uses_dynamic_stack: false
    .vgpr_count:     128
    .vgpr_spill_count: 366
    .wavefront_size: 64
  - .args:
      - .offset:         0
        .size:           4
        .value_kind:     by_value
      - .address_space:  global
        .offset:         8
        .size:           8
        .value_kind:     global_buffer
      - .offset:         16
        .size:           8
        .value_kind:     by_value
      - .offset:         24
        .size:           4
        .value_kind:     by_value
      - .offset:         32
        .size:           8
        .value_kind:     by_value
      - .address_space:  global
        .offset:         40
        .size:           8
        .value_kind:     global_buffer
      - .offset:         48
        .size:           4
        .value_kind:     by_value
      - .offset:         52
        .size:           4
        .value_kind:     by_value
      - .offset:         56
        .size:           4
        .value_kind:     hidden_block_count_x
      - .offset:         60
        .size:           4
        .value_kind:     hidden_block_count_y
      - .offset:         64
        .size:           4
        .value_kind:     hidden_block_count_z
      - .offset:         68
        .size:           2
        .value_kind:     hidden_group_size_x
      - .offset:         70
        .size:           2
        .value_kind:     hidden_group_size_y
      - .offset:         72
        .size:           2
        .value_kind:     hidden_group_size_z
      - .offset:         74
        .size:           2
        .value_kind:     hidden_remainder_x
      - .offset:         76
        .size:           2
        .value_kind:     hidden_remainder_y
      - .offset:         78
        .size:           2
        .value_kind:     hidden_remainder_z
      - .offset:         96
        .size:           8
        .value_kind:     hidden_global_offset_x
      - .offset:         104
        .size:           8
        .value_kind:     hidden_global_offset_y
      - .offset:         112
        .size:           8
        .value_kind:     hidden_global_offset_z
      - .offset:         120
        .size:           2
        .value_kind:     hidden_grid_dims
      - .offset:         176
        .size:           4
        .value_kind:     hidden_dynamic_lds_size
    .group_segment_fixed_size: 0
    .kernarg_segment_align: 8
    .kernarg_segment_size: 312
    .language:       OpenCL C
    .language_version:
      - 2
      - 0
    .max_flat_workgroup_size: 512
    .name:           _ZN9rocsolver6v33100L23getf2_npvt_small_kernelILi37E19rocblas_complex_numIdEiiPS3_EEvT1_T3_lS5_lPT2_S5_S5_
    .private_segment_fixed_size: 1028
    .sgpr_count:     28
    .sgpr_spill_count: 0
    .symbol:         _ZN9rocsolver6v33100L23getf2_npvt_small_kernelILi37E19rocblas_complex_numIdEiiPS3_EEvT1_T3_lS5_lPT2_S5_S5_.kd
    .uniform_work_group_size: 1
    .uses_dynamic_stack: false
    .vgpr_count:     128
    .vgpr_spill_count: 680
    .wavefront_size: 64
  - .args:
      - .offset:         0
        .size:           4
        .value_kind:     by_value
      - .address_space:  global
        .offset:         8
        .size:           8
        .value_kind:     global_buffer
      - .offset:         16
        .size:           8
        .value_kind:     by_value
      - .offset:         24
        .size:           4
        .value_kind:     by_value
      - .offset:         32
        .size:           8
        .value_kind:     by_value
      - .address_space:  global
        .offset:         40
        .size:           8
        .value_kind:     global_buffer
      - .offset:         48
        .size:           8
        .value_kind:     by_value
      - .offset:         56
        .size:           8
        .value_kind:     by_value
      - .address_space:  global
        .offset:         64
        .size:           8
        .value_kind:     global_buffer
      - .offset:         72
        .size:           4
        .value_kind:     by_value
      - .offset:         76
        .size:           4
        .value_kind:     by_value
      - .address_space:  global
        .offset:         80
        .size:           8
        .value_kind:     global_buffer
      - .offset:         88
        .size:           8
        .value_kind:     by_value
      - .offset:         96
        .size:           4
        .value_kind:     hidden_block_count_x
      - .offset:         100
        .size:           4
        .value_kind:     hidden_block_count_y
      - .offset:         104
        .size:           4
        .value_kind:     hidden_block_count_z
      - .offset:         108
        .size:           2
        .value_kind:     hidden_group_size_x
      - .offset:         110
        .size:           2
        .value_kind:     hidden_group_size_y
      - .offset:         112
        .size:           2
        .value_kind:     hidden_group_size_z
      - .offset:         114
        .size:           2
        .value_kind:     hidden_remainder_x
      - .offset:         116
        .size:           2
        .value_kind:     hidden_remainder_y
      - .offset:         118
        .size:           2
        .value_kind:     hidden_remainder_z
      - .offset:         136
        .size:           8
        .value_kind:     hidden_global_offset_x
      - .offset:         144
        .size:           8
        .value_kind:     hidden_global_offset_y
      - .offset:         152
        .size:           8
        .value_kind:     hidden_global_offset_z
      - .offset:         160
        .size:           2
        .value_kind:     hidden_grid_dims
      - .offset:         216
        .size:           4
        .value_kind:     hidden_dynamic_lds_size
    .group_segment_fixed_size: 0
    .kernarg_segment_align: 8
    .kernarg_segment_size: 352
    .language:       OpenCL C
    .language_version:
      - 2
      - 0
    .max_flat_workgroup_size: 512
    .name:           _ZN9rocsolver6v33100L18getf2_small_kernelILi38E19rocblas_complex_numIdEiiPS3_EEvT1_T3_lS5_lPS5_llPT2_S5_S5_S7_l
    .private_segment_fixed_size: 228
    .sgpr_count:     32
    .sgpr_spill_count: 0
    .symbol:         _ZN9rocsolver6v33100L18getf2_small_kernelILi38E19rocblas_complex_numIdEiiPS3_EEvT1_T3_lS5_lPS5_llPT2_S5_S5_S7_l.kd
    .uniform_work_group_size: 1
    .uses_dynamic_stack: false
    .vgpr_count:     128
    .vgpr_spill_count: 420
    .wavefront_size: 64
  - .args:
      - .offset:         0
        .size:           4
        .value_kind:     by_value
      - .address_space:  global
        .offset:         8
        .size:           8
        .value_kind:     global_buffer
      - .offset:         16
        .size:           8
        .value_kind:     by_value
      - .offset:         24
        .size:           4
        .value_kind:     by_value
      - .offset:         32
        .size:           8
        .value_kind:     by_value
      - .address_space:  global
        .offset:         40
        .size:           8
        .value_kind:     global_buffer
      - .offset:         48
        .size:           4
        .value_kind:     by_value
      - .offset:         52
        .size:           4
        .value_kind:     by_value
      - .offset:         56
        .size:           4
        .value_kind:     hidden_block_count_x
      - .offset:         60
        .size:           4
        .value_kind:     hidden_block_count_y
      - .offset:         64
        .size:           4
        .value_kind:     hidden_block_count_z
      - .offset:         68
        .size:           2
        .value_kind:     hidden_group_size_x
      - .offset:         70
        .size:           2
        .value_kind:     hidden_group_size_y
      - .offset:         72
        .size:           2
        .value_kind:     hidden_group_size_z
      - .offset:         74
        .size:           2
        .value_kind:     hidden_remainder_x
      - .offset:         76
        .size:           2
        .value_kind:     hidden_remainder_y
      - .offset:         78
        .size:           2
        .value_kind:     hidden_remainder_z
      - .offset:         96
        .size:           8
        .value_kind:     hidden_global_offset_x
      - .offset:         104
        .size:           8
        .value_kind:     hidden_global_offset_y
      - .offset:         112
        .size:           8
        .value_kind:     hidden_global_offset_z
      - .offset:         120
        .size:           2
        .value_kind:     hidden_grid_dims
      - .offset:         176
        .size:           4
        .value_kind:     hidden_dynamic_lds_size
    .group_segment_fixed_size: 0
    .kernarg_segment_align: 8
    .kernarg_segment_size: 312
    .language:       OpenCL C
    .language_version:
      - 2
      - 0
    .max_flat_workgroup_size: 512
    .name:           _ZN9rocsolver6v33100L23getf2_npvt_small_kernelILi38E19rocblas_complex_numIdEiiPS3_EEvT1_T3_lS5_lPT2_S5_S5_
    .private_segment_fixed_size: 1068
    .sgpr_count:     28
    .sgpr_spill_count: 0
    .symbol:         _ZN9rocsolver6v33100L23getf2_npvt_small_kernelILi38E19rocblas_complex_numIdEiiPS3_EEvT1_T3_lS5_lPT2_S5_S5_.kd
    .uniform_work_group_size: 1
    .uses_dynamic_stack: false
    .vgpr_count:     128
    .vgpr_spill_count: 718
    .wavefront_size: 64
  - .args:
      - .offset:         0
        .size:           4
        .value_kind:     by_value
      - .address_space:  global
        .offset:         8
        .size:           8
        .value_kind:     global_buffer
      - .offset:         16
        .size:           8
        .value_kind:     by_value
      - .offset:         24
        .size:           4
        .value_kind:     by_value
      - .offset:         32
        .size:           8
        .value_kind:     by_value
      - .address_space:  global
        .offset:         40
        .size:           8
        .value_kind:     global_buffer
      - .offset:         48
        .size:           8
        .value_kind:     by_value
      - .offset:         56
        .size:           8
        .value_kind:     by_value
      - .address_space:  global
        .offset:         64
        .size:           8
        .value_kind:     global_buffer
      - .offset:         72
        .size:           4
        .value_kind:     by_value
      - .offset:         76
        .size:           4
        .value_kind:     by_value
      - .address_space:  global
        .offset:         80
        .size:           8
        .value_kind:     global_buffer
      - .offset:         88
        .size:           8
        .value_kind:     by_value
      - .offset:         96
        .size:           4
        .value_kind:     hidden_block_count_x
      - .offset:         100
        .size:           4
        .value_kind:     hidden_block_count_y
      - .offset:         104
        .size:           4
        .value_kind:     hidden_block_count_z
      - .offset:         108
        .size:           2
        .value_kind:     hidden_group_size_x
      - .offset:         110
        .size:           2
        .value_kind:     hidden_group_size_y
      - .offset:         112
        .size:           2
        .value_kind:     hidden_group_size_z
      - .offset:         114
        .size:           2
        .value_kind:     hidden_remainder_x
      - .offset:         116
        .size:           2
        .value_kind:     hidden_remainder_y
      - .offset:         118
        .size:           2
        .value_kind:     hidden_remainder_z
      - .offset:         136
        .size:           8
        .value_kind:     hidden_global_offset_x
      - .offset:         144
        .size:           8
        .value_kind:     hidden_global_offset_y
      - .offset:         152
        .size:           8
        .value_kind:     hidden_global_offset_z
      - .offset:         160
        .size:           2
        .value_kind:     hidden_grid_dims
      - .offset:         216
        .size:           4
        .value_kind:     hidden_dynamic_lds_size
    .group_segment_fixed_size: 0
    .kernarg_segment_align: 8
    .kernarg_segment_size: 352
    .language:       OpenCL C
    .language_version:
      - 2
      - 0
    .max_flat_workgroup_size: 512
    .name:           _ZN9rocsolver6v33100L18getf2_small_kernelILi39E19rocblas_complex_numIdEiiPS3_EEvT1_T3_lS5_lPS5_llPT2_S5_S5_S7_l
    .private_segment_fixed_size: 244
    .sgpr_count:     32
    .sgpr_spill_count: 0
    .symbol:         _ZN9rocsolver6v33100L18getf2_small_kernelILi39E19rocblas_complex_numIdEiiPS3_EEvT1_T3_lS5_lPS5_llPT2_S5_S5_S7_l.kd
    .uniform_work_group_size: 1
    .uses_dynamic_stack: false
    .vgpr_count:     128
    .vgpr_spill_count: 480
    .wavefront_size: 64
  - .args:
      - .offset:         0
        .size:           4
        .value_kind:     by_value
      - .address_space:  global
        .offset:         8
        .size:           8
        .value_kind:     global_buffer
      - .offset:         16
        .size:           8
        .value_kind:     by_value
      - .offset:         24
        .size:           4
        .value_kind:     by_value
      - .offset:         32
        .size:           8
        .value_kind:     by_value
      - .address_space:  global
        .offset:         40
        .size:           8
        .value_kind:     global_buffer
      - .offset:         48
        .size:           4
        .value_kind:     by_value
      - .offset:         52
        .size:           4
        .value_kind:     by_value
      - .offset:         56
        .size:           4
        .value_kind:     hidden_block_count_x
      - .offset:         60
        .size:           4
        .value_kind:     hidden_block_count_y
      - .offset:         64
        .size:           4
        .value_kind:     hidden_block_count_z
      - .offset:         68
        .size:           2
        .value_kind:     hidden_group_size_x
      - .offset:         70
        .size:           2
        .value_kind:     hidden_group_size_y
      - .offset:         72
        .size:           2
        .value_kind:     hidden_group_size_z
      - .offset:         74
        .size:           2
        .value_kind:     hidden_remainder_x
      - .offset:         76
        .size:           2
        .value_kind:     hidden_remainder_y
      - .offset:         78
        .size:           2
        .value_kind:     hidden_remainder_z
      - .offset:         96
        .size:           8
        .value_kind:     hidden_global_offset_x
      - .offset:         104
        .size:           8
        .value_kind:     hidden_global_offset_y
      - .offset:         112
        .size:           8
        .value_kind:     hidden_global_offset_z
      - .offset:         120
        .size:           2
        .value_kind:     hidden_grid_dims
      - .offset:         176
        .size:           4
        .value_kind:     hidden_dynamic_lds_size
    .group_segment_fixed_size: 0
    .kernarg_segment_align: 8
    .kernarg_segment_size: 312
    .language:       OpenCL C
    .language_version:
      - 2
      - 0
    .max_flat_workgroup_size: 512
    .name:           _ZN9rocsolver6v33100L23getf2_npvt_small_kernelILi39E19rocblas_complex_numIdEiiPS3_EEvT1_T3_lS5_lPT2_S5_S5_
    .private_segment_fixed_size: 1144
    .sgpr_count:     28
    .sgpr_spill_count: 0
    .symbol:         _ZN9rocsolver6v33100L23getf2_npvt_small_kernelILi39E19rocblas_complex_numIdEiiPS3_EEvT1_T3_lS5_lPT2_S5_S5_.kd
    .uniform_work_group_size: 1
    .uses_dynamic_stack: false
    .vgpr_count:     128
    .vgpr_spill_count: 961
    .wavefront_size: 64
  - .args:
      - .offset:         0
        .size:           4
        .value_kind:     by_value
      - .address_space:  global
        .offset:         8
        .size:           8
        .value_kind:     global_buffer
      - .offset:         16
        .size:           8
        .value_kind:     by_value
      - .offset:         24
        .size:           4
        .value_kind:     by_value
      - .offset:         32
        .size:           8
        .value_kind:     by_value
      - .address_space:  global
        .offset:         40
        .size:           8
        .value_kind:     global_buffer
      - .offset:         48
        .size:           8
        .value_kind:     by_value
      - .offset:         56
        .size:           8
        .value_kind:     by_value
      - .address_space:  global
        .offset:         64
        .size:           8
        .value_kind:     global_buffer
      - .offset:         72
        .size:           4
        .value_kind:     by_value
      - .offset:         76
        .size:           4
        .value_kind:     by_value
      - .address_space:  global
        .offset:         80
        .size:           8
        .value_kind:     global_buffer
      - .offset:         88
        .size:           8
        .value_kind:     by_value
      - .offset:         96
        .size:           4
        .value_kind:     hidden_block_count_x
      - .offset:         100
        .size:           4
        .value_kind:     hidden_block_count_y
      - .offset:         104
        .size:           4
        .value_kind:     hidden_block_count_z
      - .offset:         108
        .size:           2
        .value_kind:     hidden_group_size_x
      - .offset:         110
        .size:           2
        .value_kind:     hidden_group_size_y
      - .offset:         112
        .size:           2
        .value_kind:     hidden_group_size_z
      - .offset:         114
        .size:           2
        .value_kind:     hidden_remainder_x
      - .offset:         116
        .size:           2
        .value_kind:     hidden_remainder_y
      - .offset:         118
        .size:           2
        .value_kind:     hidden_remainder_z
      - .offset:         136
        .size:           8
        .value_kind:     hidden_global_offset_x
      - .offset:         144
        .size:           8
        .value_kind:     hidden_global_offset_y
      - .offset:         152
        .size:           8
        .value_kind:     hidden_global_offset_z
      - .offset:         160
        .size:           2
        .value_kind:     hidden_grid_dims
      - .offset:         216
        .size:           4
        .value_kind:     hidden_dynamic_lds_size
    .group_segment_fixed_size: 0
    .kernarg_segment_align: 8
    .kernarg_segment_size: 352
    .language:       OpenCL C
    .language_version:
      - 2
      - 0
    .max_flat_workgroup_size: 512
    .name:           _ZN9rocsolver6v33100L18getf2_small_kernelILi40E19rocblas_complex_numIdEiiPS3_EEvT1_T3_lS5_lPS5_llPT2_S5_S5_S7_l
    .private_segment_fixed_size: 260
    .sgpr_count:     32
    .sgpr_spill_count: 0
    .symbol:         _ZN9rocsolver6v33100L18getf2_small_kernelILi40E19rocblas_complex_numIdEiiPS3_EEvT1_T3_lS5_lPS5_llPT2_S5_S5_S7_l.kd
    .uniform_work_group_size: 1
    .uses_dynamic_stack: false
    .vgpr_count:     128
    .vgpr_spill_count: 544
    .wavefront_size: 64
  - .args:
      - .offset:         0
        .size:           4
        .value_kind:     by_value
      - .address_space:  global
        .offset:         8
        .size:           8
        .value_kind:     global_buffer
      - .offset:         16
        .size:           8
        .value_kind:     by_value
      - .offset:         24
        .size:           4
        .value_kind:     by_value
      - .offset:         32
        .size:           8
        .value_kind:     by_value
      - .address_space:  global
        .offset:         40
        .size:           8
        .value_kind:     global_buffer
      - .offset:         48
        .size:           4
        .value_kind:     by_value
      - .offset:         52
        .size:           4
        .value_kind:     by_value
      - .offset:         56
        .size:           4
        .value_kind:     hidden_block_count_x
      - .offset:         60
        .size:           4
        .value_kind:     hidden_block_count_y
      - .offset:         64
        .size:           4
        .value_kind:     hidden_block_count_z
      - .offset:         68
        .size:           2
        .value_kind:     hidden_group_size_x
      - .offset:         70
        .size:           2
        .value_kind:     hidden_group_size_y
      - .offset:         72
        .size:           2
        .value_kind:     hidden_group_size_z
      - .offset:         74
        .size:           2
        .value_kind:     hidden_remainder_x
      - .offset:         76
        .size:           2
        .value_kind:     hidden_remainder_y
      - .offset:         78
        .size:           2
        .value_kind:     hidden_remainder_z
      - .offset:         96
        .size:           8
        .value_kind:     hidden_global_offset_x
      - .offset:         104
        .size:           8
        .value_kind:     hidden_global_offset_y
      - .offset:         112
        .size:           8
        .value_kind:     hidden_global_offset_z
      - .offset:         120
        .size:           2
        .value_kind:     hidden_grid_dims
      - .offset:         176
        .size:           4
        .value_kind:     hidden_dynamic_lds_size
    .group_segment_fixed_size: 0
    .kernarg_segment_align: 8
    .kernarg_segment_size: 312
    .language:       OpenCL C
    .language_version:
      - 2
      - 0
    .max_flat_workgroup_size: 512
    .name:           _ZN9rocsolver6v33100L23getf2_npvt_small_kernelILi40E19rocblas_complex_numIdEiiPS3_EEvT1_T3_lS5_lPT2_S5_S5_
    .private_segment_fixed_size: 1264
    .sgpr_count:     28
    .sgpr_spill_count: 0
    .symbol:         _ZN9rocsolver6v33100L23getf2_npvt_small_kernelILi40E19rocblas_complex_numIdEiiPS3_EEvT1_T3_lS5_lPT2_S5_S5_.kd
    .uniform_work_group_size: 1
    .uses_dynamic_stack: false
    .vgpr_count:     128
    .vgpr_spill_count: 1687
    .wavefront_size: 64
  - .args:
      - .offset:         0
        .size:           4
        .value_kind:     by_value
      - .address_space:  global
        .offset:         8
        .size:           8
        .value_kind:     global_buffer
      - .offset:         16
        .size:           8
        .value_kind:     by_value
      - .offset:         24
        .size:           4
        .value_kind:     by_value
      - .offset:         32
        .size:           8
        .value_kind:     by_value
      - .address_space:  global
        .offset:         40
        .size:           8
        .value_kind:     global_buffer
      - .offset:         48
        .size:           8
        .value_kind:     by_value
      - .offset:         56
        .size:           8
        .value_kind:     by_value
      - .address_space:  global
        .offset:         64
        .size:           8
        .value_kind:     global_buffer
      - .offset:         72
        .size:           4
        .value_kind:     by_value
      - .offset:         76
        .size:           4
        .value_kind:     by_value
      - .address_space:  global
        .offset:         80
        .size:           8
        .value_kind:     global_buffer
      - .offset:         88
        .size:           8
        .value_kind:     by_value
      - .offset:         96
        .size:           4
        .value_kind:     hidden_block_count_x
      - .offset:         100
        .size:           4
        .value_kind:     hidden_block_count_y
      - .offset:         104
        .size:           4
        .value_kind:     hidden_block_count_z
      - .offset:         108
        .size:           2
        .value_kind:     hidden_group_size_x
      - .offset:         110
        .size:           2
        .value_kind:     hidden_group_size_y
      - .offset:         112
        .size:           2
        .value_kind:     hidden_group_size_z
      - .offset:         114
        .size:           2
        .value_kind:     hidden_remainder_x
      - .offset:         116
        .size:           2
        .value_kind:     hidden_remainder_y
      - .offset:         118
        .size:           2
        .value_kind:     hidden_remainder_z
      - .offset:         136
        .size:           8
        .value_kind:     hidden_global_offset_x
      - .offset:         144
        .size:           8
        .value_kind:     hidden_global_offset_y
      - .offset:         152
        .size:           8
        .value_kind:     hidden_global_offset_z
      - .offset:         160
        .size:           2
        .value_kind:     hidden_grid_dims
      - .offset:         216
        .size:           4
        .value_kind:     hidden_dynamic_lds_size
    .group_segment_fixed_size: 0
    .kernarg_segment_align: 8
    .kernarg_segment_size: 352
    .language:       OpenCL C
    .language_version:
      - 2
      - 0
    .max_flat_workgroup_size: 512
    .name:           _ZN9rocsolver6v33100L18getf2_small_kernelILi41E19rocblas_complex_numIdEiiPS3_EEvT1_T3_lS5_lPS5_llPT2_S5_S5_S7_l
    .private_segment_fixed_size: 292
    .sgpr_count:     32
    .sgpr_spill_count: 0
    .symbol:         _ZN9rocsolver6v33100L18getf2_small_kernelILi41E19rocblas_complex_numIdEiiPS3_EEvT1_T3_lS5_lPS5_llPT2_S5_S5_S7_l.kd
    .uniform_work_group_size: 1
    .uses_dynamic_stack: false
    .vgpr_count:     128
    .vgpr_spill_count: 756
    .wavefront_size: 64
  - .args:
      - .offset:         0
        .size:           4
        .value_kind:     by_value
      - .address_space:  global
        .offset:         8
        .size:           8
        .value_kind:     global_buffer
      - .offset:         16
        .size:           8
        .value_kind:     by_value
      - .offset:         24
        .size:           4
        .value_kind:     by_value
      - .offset:         32
        .size:           8
        .value_kind:     by_value
      - .address_space:  global
        .offset:         40
        .size:           8
        .value_kind:     global_buffer
      - .offset:         48
        .size:           4
        .value_kind:     by_value
      - .offset:         52
        .size:           4
        .value_kind:     by_value
      - .offset:         56
        .size:           4
        .value_kind:     hidden_block_count_x
      - .offset:         60
        .size:           4
        .value_kind:     hidden_block_count_y
      - .offset:         64
        .size:           4
        .value_kind:     hidden_block_count_z
      - .offset:         68
        .size:           2
        .value_kind:     hidden_group_size_x
      - .offset:         70
        .size:           2
        .value_kind:     hidden_group_size_y
      - .offset:         72
        .size:           2
        .value_kind:     hidden_group_size_z
      - .offset:         74
        .size:           2
        .value_kind:     hidden_remainder_x
      - .offset:         76
        .size:           2
        .value_kind:     hidden_remainder_y
      - .offset:         78
        .size:           2
        .value_kind:     hidden_remainder_z
      - .offset:         96
        .size:           8
        .value_kind:     hidden_global_offset_x
      - .offset:         104
        .size:           8
        .value_kind:     hidden_global_offset_y
      - .offset:         112
        .size:           8
        .value_kind:     hidden_global_offset_z
      - .offset:         120
        .size:           2
        .value_kind:     hidden_grid_dims
      - .offset:         176
        .size:           4
        .value_kind:     hidden_dynamic_lds_size
    .group_segment_fixed_size: 0
    .kernarg_segment_align: 8
    .kernarg_segment_size: 312
    .language:       OpenCL C
    .language_version:
      - 2
      - 0
    .max_flat_workgroup_size: 512
    .name:           _ZN9rocsolver6v33100L23getf2_npvt_small_kernelILi41E19rocblas_complex_numIdEiiPS3_EEvT1_T3_lS5_lPT2_S5_S5_
    .private_segment_fixed_size: 1356
    .sgpr_count:     28
    .sgpr_spill_count: 0
    .symbol:         _ZN9rocsolver6v33100L23getf2_npvt_small_kernelILi41E19rocblas_complex_numIdEiiPS3_EEvT1_T3_lS5_lPT2_S5_S5_.kd
    .uniform_work_group_size: 1
    .uses_dynamic_stack: false
    .vgpr_count:     128
    .vgpr_spill_count: 946
    .wavefront_size: 64
  - .args:
      - .offset:         0
        .size:           4
        .value_kind:     by_value
      - .address_space:  global
        .offset:         8
        .size:           8
        .value_kind:     global_buffer
      - .offset:         16
        .size:           8
        .value_kind:     by_value
      - .offset:         24
        .size:           4
        .value_kind:     by_value
      - .offset:         32
        .size:           8
        .value_kind:     by_value
      - .address_space:  global
        .offset:         40
        .size:           8
        .value_kind:     global_buffer
      - .offset:         48
        .size:           8
        .value_kind:     by_value
      - .offset:         56
        .size:           8
        .value_kind:     by_value
      - .address_space:  global
        .offset:         64
        .size:           8
        .value_kind:     global_buffer
      - .offset:         72
        .size:           4
        .value_kind:     by_value
      - .offset:         76
        .size:           4
        .value_kind:     by_value
      - .address_space:  global
        .offset:         80
        .size:           8
        .value_kind:     global_buffer
      - .offset:         88
        .size:           8
        .value_kind:     by_value
      - .offset:         96
        .size:           4
        .value_kind:     hidden_block_count_x
      - .offset:         100
        .size:           4
        .value_kind:     hidden_block_count_y
      - .offset:         104
        .size:           4
        .value_kind:     hidden_block_count_z
      - .offset:         108
        .size:           2
        .value_kind:     hidden_group_size_x
      - .offset:         110
        .size:           2
        .value_kind:     hidden_group_size_y
      - .offset:         112
        .size:           2
        .value_kind:     hidden_group_size_z
      - .offset:         114
        .size:           2
        .value_kind:     hidden_remainder_x
      - .offset:         116
        .size:           2
        .value_kind:     hidden_remainder_y
      - .offset:         118
        .size:           2
        .value_kind:     hidden_remainder_z
      - .offset:         136
        .size:           8
        .value_kind:     hidden_global_offset_x
      - .offset:         144
        .size:           8
        .value_kind:     hidden_global_offset_y
      - .offset:         152
        .size:           8
        .value_kind:     hidden_global_offset_z
      - .offset:         160
        .size:           2
        .value_kind:     hidden_grid_dims
      - .offset:         216
        .size:           4
        .value_kind:     hidden_dynamic_lds_size
    .group_segment_fixed_size: 0
    .kernarg_segment_align: 8
    .kernarg_segment_size: 352
    .language:       OpenCL C
    .language_version:
      - 2
      - 0
    .max_flat_workgroup_size: 512
    .name:           _ZN9rocsolver6v33100L18getf2_small_kernelILi42E19rocblas_complex_numIdEiiPS3_EEvT1_T3_lS5_lPS5_llPT2_S5_S5_S7_l
    .private_segment_fixed_size: 308
    .sgpr_count:     32
    .sgpr_spill_count: 0
    .symbol:         _ZN9rocsolver6v33100L18getf2_small_kernelILi42E19rocblas_complex_numIdEiiPS3_EEvT1_T3_lS5_lPS5_llPT2_S5_S5_S7_l.kd
    .uniform_work_group_size: 1
    .uses_dynamic_stack: false
    .vgpr_count:     128
    .vgpr_spill_count: 836
    .wavefront_size: 64
  - .args:
      - .offset:         0
        .size:           4
        .value_kind:     by_value
      - .address_space:  global
        .offset:         8
        .size:           8
        .value_kind:     global_buffer
      - .offset:         16
        .size:           8
        .value_kind:     by_value
      - .offset:         24
        .size:           4
        .value_kind:     by_value
      - .offset:         32
        .size:           8
        .value_kind:     by_value
      - .address_space:  global
        .offset:         40
        .size:           8
        .value_kind:     global_buffer
      - .offset:         48
        .size:           4
        .value_kind:     by_value
      - .offset:         52
        .size:           4
        .value_kind:     by_value
      - .offset:         56
        .size:           4
        .value_kind:     hidden_block_count_x
      - .offset:         60
        .size:           4
        .value_kind:     hidden_block_count_y
      - .offset:         64
        .size:           4
        .value_kind:     hidden_block_count_z
      - .offset:         68
        .size:           2
        .value_kind:     hidden_group_size_x
      - .offset:         70
        .size:           2
        .value_kind:     hidden_group_size_y
      - .offset:         72
        .size:           2
        .value_kind:     hidden_group_size_z
      - .offset:         74
        .size:           2
        .value_kind:     hidden_remainder_x
      - .offset:         76
        .size:           2
        .value_kind:     hidden_remainder_y
      - .offset:         78
        .size:           2
        .value_kind:     hidden_remainder_z
      - .offset:         96
        .size:           8
        .value_kind:     hidden_global_offset_x
      - .offset:         104
        .size:           8
        .value_kind:     hidden_global_offset_y
      - .offset:         112
        .size:           8
        .value_kind:     hidden_global_offset_z
      - .offset:         120
        .size:           2
        .value_kind:     hidden_grid_dims
      - .offset:         176
        .size:           4
        .value_kind:     hidden_dynamic_lds_size
    .group_segment_fixed_size: 0
    .kernarg_segment_align: 8
    .kernarg_segment_size: 312
    .language:       OpenCL C
    .language_version:
      - 2
      - 0
    .max_flat_workgroup_size: 512
    .name:           _ZN9rocsolver6v33100L23getf2_npvt_small_kernelILi42E19rocblas_complex_numIdEiiPS3_EEvT1_T3_lS5_lPT2_S5_S5_
    .private_segment_fixed_size: 1252
    .sgpr_count:     28
    .sgpr_spill_count: 0
    .symbol:         _ZN9rocsolver6v33100L23getf2_npvt_small_kernelILi42E19rocblas_complex_numIdEiiPS3_EEvT1_T3_lS5_lPT2_S5_S5_.kd
    .uniform_work_group_size: 1
    .uses_dynamic_stack: false
    .vgpr_count:     128
    .vgpr_spill_count: 1208
    .wavefront_size: 64
  - .args:
      - .offset:         0
        .size:           4
        .value_kind:     by_value
      - .address_space:  global
        .offset:         8
        .size:           8
        .value_kind:     global_buffer
      - .offset:         16
        .size:           8
        .value_kind:     by_value
      - .offset:         24
        .size:           4
        .value_kind:     by_value
      - .offset:         32
        .size:           8
        .value_kind:     by_value
      - .address_space:  global
        .offset:         40
        .size:           8
        .value_kind:     global_buffer
      - .offset:         48
        .size:           8
        .value_kind:     by_value
      - .offset:         56
        .size:           8
        .value_kind:     by_value
      - .address_space:  global
        .offset:         64
        .size:           8
        .value_kind:     global_buffer
      - .offset:         72
        .size:           4
        .value_kind:     by_value
      - .offset:         76
        .size:           4
        .value_kind:     by_value
      - .address_space:  global
        .offset:         80
        .size:           8
        .value_kind:     global_buffer
      - .offset:         88
        .size:           8
        .value_kind:     by_value
      - .offset:         96
        .size:           4
        .value_kind:     hidden_block_count_x
      - .offset:         100
        .size:           4
        .value_kind:     hidden_block_count_y
      - .offset:         104
        .size:           4
        .value_kind:     hidden_block_count_z
      - .offset:         108
        .size:           2
        .value_kind:     hidden_group_size_x
      - .offset:         110
        .size:           2
        .value_kind:     hidden_group_size_y
      - .offset:         112
        .size:           2
        .value_kind:     hidden_group_size_z
      - .offset:         114
        .size:           2
        .value_kind:     hidden_remainder_x
      - .offset:         116
        .size:           2
        .value_kind:     hidden_remainder_y
      - .offset:         118
        .size:           2
        .value_kind:     hidden_remainder_z
      - .offset:         136
        .size:           8
        .value_kind:     hidden_global_offset_x
      - .offset:         144
        .size:           8
        .value_kind:     hidden_global_offset_y
      - .offset:         152
        .size:           8
        .value_kind:     hidden_global_offset_z
      - .offset:         160
        .size:           2
        .value_kind:     hidden_grid_dims
      - .offset:         216
        .size:           4
        .value_kind:     hidden_dynamic_lds_size
    .group_segment_fixed_size: 0
    .kernarg_segment_align: 8
    .kernarg_segment_size: 352
    .language:       OpenCL C
    .language_version:
      - 2
      - 0
    .max_flat_workgroup_size: 512
    .name:           _ZN9rocsolver6v33100L18getf2_small_kernelILi43E19rocblas_complex_numIdEiiPS3_EEvT1_T3_lS5_lPS5_llPT2_S5_S5_S7_l
    .private_segment_fixed_size: 332
    .sgpr_count:     32
    .sgpr_spill_count: 0
    .symbol:         _ZN9rocsolver6v33100L18getf2_small_kernelILi43E19rocblas_complex_numIdEiiPS3_EEvT1_T3_lS5_lPS5_llPT2_S5_S5_S7_l.kd
    .uniform_work_group_size: 1
    .uses_dynamic_stack: false
    .vgpr_count:     128
    .vgpr_spill_count: 852
    .wavefront_size: 64
  - .args:
      - .offset:         0
        .size:           4
        .value_kind:     by_value
      - .address_space:  global
        .offset:         8
        .size:           8
        .value_kind:     global_buffer
      - .offset:         16
        .size:           8
        .value_kind:     by_value
      - .offset:         24
        .size:           4
        .value_kind:     by_value
      - .offset:         32
        .size:           8
        .value_kind:     by_value
      - .address_space:  global
        .offset:         40
        .size:           8
        .value_kind:     global_buffer
      - .offset:         48
        .size:           4
        .value_kind:     by_value
      - .offset:         52
        .size:           4
        .value_kind:     by_value
      - .offset:         56
        .size:           4
        .value_kind:     hidden_block_count_x
      - .offset:         60
        .size:           4
        .value_kind:     hidden_block_count_y
      - .offset:         64
        .size:           4
        .value_kind:     hidden_block_count_z
      - .offset:         68
        .size:           2
        .value_kind:     hidden_group_size_x
      - .offset:         70
        .size:           2
        .value_kind:     hidden_group_size_y
      - .offset:         72
        .size:           2
        .value_kind:     hidden_group_size_z
      - .offset:         74
        .size:           2
        .value_kind:     hidden_remainder_x
      - .offset:         76
        .size:           2
        .value_kind:     hidden_remainder_y
      - .offset:         78
        .size:           2
        .value_kind:     hidden_remainder_z
      - .offset:         96
        .size:           8
        .value_kind:     hidden_global_offset_x
      - .offset:         104
        .size:           8
        .value_kind:     hidden_global_offset_y
      - .offset:         112
        .size:           8
        .value_kind:     hidden_global_offset_z
      - .offset:         120
        .size:           2
        .value_kind:     hidden_grid_dims
      - .offset:         176
        .size:           4
        .value_kind:     hidden_dynamic_lds_size
    .group_segment_fixed_size: 0
    .kernarg_segment_align: 8
    .kernarg_segment_size: 312
    .language:       OpenCL C
    .language_version:
      - 2
      - 0
    .max_flat_workgroup_size: 512
    .name:           _ZN9rocsolver6v33100L23getf2_npvt_small_kernelILi43E19rocblas_complex_numIdEiiPS3_EEvT1_T3_lS5_lPT2_S5_S5_
    .private_segment_fixed_size: 1292
    .sgpr_count:     28
    .sgpr_spill_count: 0
    .symbol:         _ZN9rocsolver6v33100L23getf2_npvt_small_kernelILi43E19rocblas_complex_numIdEiiPS3_EEvT1_T3_lS5_lPT2_S5_S5_.kd
    .uniform_work_group_size: 1
    .uses_dynamic_stack: false
    .vgpr_count:     128
    .vgpr_spill_count: 1302
    .wavefront_size: 64
  - .args:
      - .offset:         0
        .size:           4
        .value_kind:     by_value
      - .address_space:  global
        .offset:         8
        .size:           8
        .value_kind:     global_buffer
      - .offset:         16
        .size:           8
        .value_kind:     by_value
      - .offset:         24
        .size:           4
        .value_kind:     by_value
      - .offset:         32
        .size:           8
        .value_kind:     by_value
      - .address_space:  global
        .offset:         40
        .size:           8
        .value_kind:     global_buffer
      - .offset:         48
        .size:           8
        .value_kind:     by_value
      - .offset:         56
        .size:           8
        .value_kind:     by_value
      - .address_space:  global
        .offset:         64
        .size:           8
        .value_kind:     global_buffer
      - .offset:         72
        .size:           4
        .value_kind:     by_value
      - .offset:         76
        .size:           4
        .value_kind:     by_value
      - .address_space:  global
        .offset:         80
        .size:           8
        .value_kind:     global_buffer
      - .offset:         88
        .size:           8
        .value_kind:     by_value
      - .offset:         96
        .size:           4
        .value_kind:     hidden_block_count_x
      - .offset:         100
        .size:           4
        .value_kind:     hidden_block_count_y
      - .offset:         104
        .size:           4
        .value_kind:     hidden_block_count_z
      - .offset:         108
        .size:           2
        .value_kind:     hidden_group_size_x
      - .offset:         110
        .size:           2
        .value_kind:     hidden_group_size_y
      - .offset:         112
        .size:           2
        .value_kind:     hidden_group_size_z
      - .offset:         114
        .size:           2
        .value_kind:     hidden_remainder_x
      - .offset:         116
        .size:           2
        .value_kind:     hidden_remainder_y
      - .offset:         118
        .size:           2
        .value_kind:     hidden_remainder_z
      - .offset:         136
        .size:           8
        .value_kind:     hidden_global_offset_x
      - .offset:         144
        .size:           8
        .value_kind:     hidden_global_offset_y
      - .offset:         152
        .size:           8
        .value_kind:     hidden_global_offset_z
      - .offset:         160
        .size:           2
        .value_kind:     hidden_grid_dims
      - .offset:         216
        .size:           4
        .value_kind:     hidden_dynamic_lds_size
    .group_segment_fixed_size: 0
    .kernarg_segment_align: 8
    .kernarg_segment_size: 352
    .language:       OpenCL C
    .language_version:
      - 2
      - 0
    .max_flat_workgroup_size: 512
    .name:           _ZN9rocsolver6v33100L18getf2_small_kernelILi44E19rocblas_complex_numIdEiiPS3_EEvT1_T3_lS5_lPS5_llPT2_S5_S5_S7_l
    .private_segment_fixed_size: 340
    .sgpr_count:     34
    .sgpr_spill_count: 0
    .symbol:         _ZN9rocsolver6v33100L18getf2_small_kernelILi44E19rocblas_complex_numIdEiiPS3_EEvT1_T3_lS5_lPS5_llPT2_S5_S5_S7_l.kd
    .uniform_work_group_size: 1
    .uses_dynamic_stack: false
    .vgpr_count:     128
    .vgpr_spill_count: 1008
    .wavefront_size: 64
  - .args:
      - .offset:         0
        .size:           4
        .value_kind:     by_value
      - .address_space:  global
        .offset:         8
        .size:           8
        .value_kind:     global_buffer
      - .offset:         16
        .size:           8
        .value_kind:     by_value
      - .offset:         24
        .size:           4
        .value_kind:     by_value
      - .offset:         32
        .size:           8
        .value_kind:     by_value
      - .address_space:  global
        .offset:         40
        .size:           8
        .value_kind:     global_buffer
      - .offset:         48
        .size:           4
        .value_kind:     by_value
      - .offset:         52
        .size:           4
        .value_kind:     by_value
      - .offset:         56
        .size:           4
        .value_kind:     hidden_block_count_x
      - .offset:         60
        .size:           4
        .value_kind:     hidden_block_count_y
      - .offset:         64
        .size:           4
        .value_kind:     hidden_block_count_z
      - .offset:         68
        .size:           2
        .value_kind:     hidden_group_size_x
      - .offset:         70
        .size:           2
        .value_kind:     hidden_group_size_y
      - .offset:         72
        .size:           2
        .value_kind:     hidden_group_size_z
      - .offset:         74
        .size:           2
        .value_kind:     hidden_remainder_x
      - .offset:         76
        .size:           2
        .value_kind:     hidden_remainder_y
      - .offset:         78
        .size:           2
        .value_kind:     hidden_remainder_z
      - .offset:         96
        .size:           8
        .value_kind:     hidden_global_offset_x
      - .offset:         104
        .size:           8
        .value_kind:     hidden_global_offset_y
      - .offset:         112
        .size:           8
        .value_kind:     hidden_global_offset_z
      - .offset:         120
        .size:           2
        .value_kind:     hidden_grid_dims
      - .offset:         176
        .size:           4
        .value_kind:     hidden_dynamic_lds_size
    .group_segment_fixed_size: 0
    .kernarg_segment_align: 8
    .kernarg_segment_size: 312
    .language:       OpenCL C
    .language_version:
      - 2
      - 0
    .max_flat_workgroup_size: 512
    .name:           _ZN9rocsolver6v33100L23getf2_npvt_small_kernelILi44E19rocblas_complex_numIdEiiPS3_EEvT1_T3_lS5_lPT2_S5_S5_
    .private_segment_fixed_size: 1340
    .sgpr_count:     28
    .sgpr_spill_count: 0
    .symbol:         _ZN9rocsolver6v33100L23getf2_npvt_small_kernelILi44E19rocblas_complex_numIdEiiPS3_EEvT1_T3_lS5_lPT2_S5_S5_.kd
    .uniform_work_group_size: 1
    .uses_dynamic_stack: false
    .vgpr_count:     128
    .vgpr_spill_count: 1498
    .wavefront_size: 64
  - .args:
      - .offset:         0
        .size:           4
        .value_kind:     by_value
      - .address_space:  global
        .offset:         8
        .size:           8
        .value_kind:     global_buffer
      - .offset:         16
        .size:           8
        .value_kind:     by_value
      - .offset:         24
        .size:           4
        .value_kind:     by_value
      - .offset:         32
        .size:           8
        .value_kind:     by_value
      - .address_space:  global
        .offset:         40
        .size:           8
        .value_kind:     global_buffer
      - .offset:         48
        .size:           8
        .value_kind:     by_value
      - .offset:         56
        .size:           8
        .value_kind:     by_value
      - .address_space:  global
        .offset:         64
        .size:           8
        .value_kind:     global_buffer
      - .offset:         72
        .size:           4
        .value_kind:     by_value
      - .offset:         76
        .size:           4
        .value_kind:     by_value
      - .address_space:  global
        .offset:         80
        .size:           8
        .value_kind:     global_buffer
      - .offset:         88
        .size:           8
        .value_kind:     by_value
      - .offset:         96
        .size:           4
        .value_kind:     hidden_block_count_x
      - .offset:         100
        .size:           4
        .value_kind:     hidden_block_count_y
      - .offset:         104
        .size:           4
        .value_kind:     hidden_block_count_z
      - .offset:         108
        .size:           2
        .value_kind:     hidden_group_size_x
      - .offset:         110
        .size:           2
        .value_kind:     hidden_group_size_y
      - .offset:         112
        .size:           2
        .value_kind:     hidden_group_size_z
      - .offset:         114
        .size:           2
        .value_kind:     hidden_remainder_x
      - .offset:         116
        .size:           2
        .value_kind:     hidden_remainder_y
      - .offset:         118
        .size:           2
        .value_kind:     hidden_remainder_z
      - .offset:         136
        .size:           8
        .value_kind:     hidden_global_offset_x
      - .offset:         144
        .size:           8
        .value_kind:     hidden_global_offset_y
      - .offset:         152
        .size:           8
        .value_kind:     hidden_global_offset_z
      - .offset:         160
        .size:           2
        .value_kind:     hidden_grid_dims
      - .offset:         216
        .size:           4
        .value_kind:     hidden_dynamic_lds_size
    .group_segment_fixed_size: 0
    .kernarg_segment_align: 8
    .kernarg_segment_size: 352
    .language:       OpenCL C
    .language_version:
      - 2
      - 0
    .max_flat_workgroup_size: 512
    .name:           _ZN9rocsolver6v33100L18getf2_small_kernelILi45E19rocblas_complex_numIdEiiPS3_EEvT1_T3_lS5_lPS5_llPT2_S5_S5_S7_l
    .private_segment_fixed_size: 356
    .sgpr_count:     34
    .sgpr_spill_count: 0
    .symbol:         _ZN9rocsolver6v33100L18getf2_small_kernelILi45E19rocblas_complex_numIdEiiPS3_EEvT1_T3_lS5_lPS5_llPT2_S5_S5_S7_l.kd
    .uniform_work_group_size: 1
    .uses_dynamic_stack: false
    .vgpr_count:     128
    .vgpr_spill_count: 1014
    .wavefront_size: 64
  - .args:
      - .offset:         0
        .size:           4
        .value_kind:     by_value
      - .address_space:  global
        .offset:         8
        .size:           8
        .value_kind:     global_buffer
      - .offset:         16
        .size:           8
        .value_kind:     by_value
      - .offset:         24
        .size:           4
        .value_kind:     by_value
      - .offset:         32
        .size:           8
        .value_kind:     by_value
      - .address_space:  global
        .offset:         40
        .size:           8
        .value_kind:     global_buffer
      - .offset:         48
        .size:           4
        .value_kind:     by_value
      - .offset:         52
        .size:           4
        .value_kind:     by_value
      - .offset:         56
        .size:           4
        .value_kind:     hidden_block_count_x
      - .offset:         60
        .size:           4
        .value_kind:     hidden_block_count_y
      - .offset:         64
        .size:           4
        .value_kind:     hidden_block_count_z
      - .offset:         68
        .size:           2
        .value_kind:     hidden_group_size_x
      - .offset:         70
        .size:           2
        .value_kind:     hidden_group_size_y
      - .offset:         72
        .size:           2
        .value_kind:     hidden_group_size_z
      - .offset:         74
        .size:           2
        .value_kind:     hidden_remainder_x
      - .offset:         76
        .size:           2
        .value_kind:     hidden_remainder_y
      - .offset:         78
        .size:           2
        .value_kind:     hidden_remainder_z
      - .offset:         96
        .size:           8
        .value_kind:     hidden_global_offset_x
      - .offset:         104
        .size:           8
        .value_kind:     hidden_global_offset_y
      - .offset:         112
        .size:           8
        .value_kind:     hidden_global_offset_z
      - .offset:         120
        .size:           2
        .value_kind:     hidden_grid_dims
      - .offset:         176
        .size:           4
        .value_kind:     hidden_dynamic_lds_size
    .group_segment_fixed_size: 0
    .kernarg_segment_align: 8
    .kernarg_segment_size: 312
    .language:       OpenCL C
    .language_version:
      - 2
      - 0
    .max_flat_workgroup_size: 512
    .name:           _ZN9rocsolver6v33100L23getf2_npvt_small_kernelILi45E19rocblas_complex_numIdEiiPS3_EEvT1_T3_lS5_lPT2_S5_S5_
    .private_segment_fixed_size: 1380
    .sgpr_count:     28
    .sgpr_spill_count: 0
    .symbol:         _ZN9rocsolver6v33100L23getf2_npvt_small_kernelILi45E19rocblas_complex_numIdEiiPS3_EEvT1_T3_lS5_lPT2_S5_S5_.kd
    .uniform_work_group_size: 1
    .uses_dynamic_stack: false
    .vgpr_count:     128
    .vgpr_spill_count: 1556
    .wavefront_size: 64
  - .args:
      - .offset:         0
        .size:           4
        .value_kind:     by_value
      - .address_space:  global
        .offset:         8
        .size:           8
        .value_kind:     global_buffer
      - .offset:         16
        .size:           8
        .value_kind:     by_value
      - .offset:         24
        .size:           4
        .value_kind:     by_value
      - .offset:         32
        .size:           8
        .value_kind:     by_value
      - .address_space:  global
        .offset:         40
        .size:           8
        .value_kind:     global_buffer
      - .offset:         48
        .size:           8
        .value_kind:     by_value
      - .offset:         56
        .size:           8
        .value_kind:     by_value
      - .address_space:  global
        .offset:         64
        .size:           8
        .value_kind:     global_buffer
      - .offset:         72
        .size:           4
        .value_kind:     by_value
      - .offset:         76
        .size:           4
        .value_kind:     by_value
      - .address_space:  global
        .offset:         80
        .size:           8
        .value_kind:     global_buffer
      - .offset:         88
        .size:           8
        .value_kind:     by_value
      - .offset:         96
        .size:           4
        .value_kind:     hidden_block_count_x
      - .offset:         100
        .size:           4
        .value_kind:     hidden_block_count_y
      - .offset:         104
        .size:           4
        .value_kind:     hidden_block_count_z
      - .offset:         108
        .size:           2
        .value_kind:     hidden_group_size_x
      - .offset:         110
        .size:           2
        .value_kind:     hidden_group_size_y
      - .offset:         112
        .size:           2
        .value_kind:     hidden_group_size_z
      - .offset:         114
        .size:           2
        .value_kind:     hidden_remainder_x
      - .offset:         116
        .size:           2
        .value_kind:     hidden_remainder_y
      - .offset:         118
        .size:           2
        .value_kind:     hidden_remainder_z
      - .offset:         136
        .size:           8
        .value_kind:     hidden_global_offset_x
      - .offset:         144
        .size:           8
        .value_kind:     hidden_global_offset_y
      - .offset:         152
        .size:           8
        .value_kind:     hidden_global_offset_z
      - .offset:         160
        .size:           2
        .value_kind:     hidden_grid_dims
      - .offset:         216
        .size:           4
        .value_kind:     hidden_dynamic_lds_size
    .group_segment_fixed_size: 0
    .kernarg_segment_align: 8
    .kernarg_segment_size: 352
    .language:       OpenCL C
    .language_version:
      - 2
      - 0
    .max_flat_workgroup_size: 512
    .name:           _ZN9rocsolver6v33100L18getf2_small_kernelILi46E19rocblas_complex_numIdEiiPS3_EEvT1_T3_lS5_lPS5_llPT2_S5_S5_S7_l
    .private_segment_fixed_size: 372
    .sgpr_count:     34
    .sgpr_spill_count: 0
    .symbol:         _ZN9rocsolver6v33100L18getf2_small_kernelILi46E19rocblas_complex_numIdEiiPS3_EEvT1_T3_lS5_lPS5_llPT2_S5_S5_S7_l.kd
    .uniform_work_group_size: 1
    .uses_dynamic_stack: false
    .vgpr_count:     128
    .vgpr_spill_count: 1106
    .wavefront_size: 64
  - .args:
      - .offset:         0
        .size:           4
        .value_kind:     by_value
      - .address_space:  global
        .offset:         8
        .size:           8
        .value_kind:     global_buffer
      - .offset:         16
        .size:           8
        .value_kind:     by_value
      - .offset:         24
        .size:           4
        .value_kind:     by_value
      - .offset:         32
        .size:           8
        .value_kind:     by_value
      - .address_space:  global
        .offset:         40
        .size:           8
        .value_kind:     global_buffer
      - .offset:         48
        .size:           4
        .value_kind:     by_value
      - .offset:         52
        .size:           4
        .value_kind:     by_value
      - .offset:         56
        .size:           4
        .value_kind:     hidden_block_count_x
      - .offset:         60
        .size:           4
        .value_kind:     hidden_block_count_y
      - .offset:         64
        .size:           4
        .value_kind:     hidden_block_count_z
      - .offset:         68
        .size:           2
        .value_kind:     hidden_group_size_x
      - .offset:         70
        .size:           2
        .value_kind:     hidden_group_size_y
      - .offset:         72
        .size:           2
        .value_kind:     hidden_group_size_z
      - .offset:         74
        .size:           2
        .value_kind:     hidden_remainder_x
      - .offset:         76
        .size:           2
        .value_kind:     hidden_remainder_y
      - .offset:         78
        .size:           2
        .value_kind:     hidden_remainder_z
      - .offset:         96
        .size:           8
        .value_kind:     hidden_global_offset_x
      - .offset:         104
        .size:           8
        .value_kind:     hidden_global_offset_y
      - .offset:         112
        .size:           8
        .value_kind:     hidden_global_offset_z
      - .offset:         120
        .size:           2
        .value_kind:     hidden_grid_dims
      - .offset:         176
        .size:           4
        .value_kind:     hidden_dynamic_lds_size
    .group_segment_fixed_size: 0
    .kernarg_segment_align: 8
    .kernarg_segment_size: 312
    .language:       OpenCL C
    .language_version:
      - 2
      - 0
    .max_flat_workgroup_size: 512
    .name:           _ZN9rocsolver6v33100L23getf2_npvt_small_kernelILi46E19rocblas_complex_numIdEiiPS3_EEvT1_T3_lS5_lPT2_S5_S5_
    .private_segment_fixed_size: 1420
    .sgpr_count:     28
    .sgpr_spill_count: 0
    .symbol:         _ZN9rocsolver6v33100L23getf2_npvt_small_kernelILi46E19rocblas_complex_numIdEiiPS3_EEvT1_T3_lS5_lPT2_S5_S5_.kd
    .uniform_work_group_size: 1
    .uses_dynamic_stack: false
    .vgpr_count:     128
    .vgpr_spill_count: 1518
    .wavefront_size: 64
  - .args:
      - .offset:         0
        .size:           4
        .value_kind:     by_value
      - .address_space:  global
        .offset:         8
        .size:           8
        .value_kind:     global_buffer
      - .offset:         16
        .size:           8
        .value_kind:     by_value
      - .offset:         24
        .size:           4
        .value_kind:     by_value
      - .offset:         32
        .size:           8
        .value_kind:     by_value
      - .address_space:  global
        .offset:         40
        .size:           8
        .value_kind:     global_buffer
      - .offset:         48
        .size:           8
        .value_kind:     by_value
      - .offset:         56
        .size:           8
        .value_kind:     by_value
      - .address_space:  global
        .offset:         64
        .size:           8
        .value_kind:     global_buffer
      - .offset:         72
        .size:           4
        .value_kind:     by_value
      - .offset:         76
        .size:           4
        .value_kind:     by_value
      - .address_space:  global
        .offset:         80
        .size:           8
        .value_kind:     global_buffer
      - .offset:         88
        .size:           8
        .value_kind:     by_value
      - .offset:         96
        .size:           4
        .value_kind:     hidden_block_count_x
      - .offset:         100
        .size:           4
        .value_kind:     hidden_block_count_y
      - .offset:         104
        .size:           4
        .value_kind:     hidden_block_count_z
      - .offset:         108
        .size:           2
        .value_kind:     hidden_group_size_x
      - .offset:         110
        .size:           2
        .value_kind:     hidden_group_size_y
      - .offset:         112
        .size:           2
        .value_kind:     hidden_group_size_z
      - .offset:         114
        .size:           2
        .value_kind:     hidden_remainder_x
      - .offset:         116
        .size:           2
        .value_kind:     hidden_remainder_y
      - .offset:         118
        .size:           2
        .value_kind:     hidden_remainder_z
      - .offset:         136
        .size:           8
        .value_kind:     hidden_global_offset_x
      - .offset:         144
        .size:           8
        .value_kind:     hidden_global_offset_y
      - .offset:         152
        .size:           8
        .value_kind:     hidden_global_offset_z
      - .offset:         160
        .size:           2
        .value_kind:     hidden_grid_dims
      - .offset:         216
        .size:           4
        .value_kind:     hidden_dynamic_lds_size
    .group_segment_fixed_size: 0
    .kernarg_segment_align: 8
    .kernarg_segment_size: 352
    .language:       OpenCL C
    .language_version:
      - 2
      - 0
    .max_flat_workgroup_size: 512
    .name:           _ZN9rocsolver6v33100L18getf2_small_kernelILi47E19rocblas_complex_numIdEiiPS3_EEvT1_T3_lS5_lPS5_llPT2_S5_S5_S7_l
    .private_segment_fixed_size: 396
    .sgpr_count:     34
    .sgpr_spill_count: 0
    .symbol:         _ZN9rocsolver6v33100L18getf2_small_kernelILi47E19rocblas_complex_numIdEiiPS3_EEvT1_T3_lS5_lPS5_llPT2_S5_S5_S7_l.kd
    .uniform_work_group_size: 1
    .uses_dynamic_stack: false
    .vgpr_count:     128
    .vgpr_spill_count: 1308
    .wavefront_size: 64
  - .args:
      - .offset:         0
        .size:           4
        .value_kind:     by_value
      - .address_space:  global
        .offset:         8
        .size:           8
        .value_kind:     global_buffer
      - .offset:         16
        .size:           8
        .value_kind:     by_value
      - .offset:         24
        .size:           4
        .value_kind:     by_value
      - .offset:         32
        .size:           8
        .value_kind:     by_value
      - .address_space:  global
        .offset:         40
        .size:           8
        .value_kind:     global_buffer
      - .offset:         48
        .size:           4
        .value_kind:     by_value
      - .offset:         52
        .size:           4
        .value_kind:     by_value
      - .offset:         56
        .size:           4
        .value_kind:     hidden_block_count_x
      - .offset:         60
        .size:           4
        .value_kind:     hidden_block_count_y
      - .offset:         64
        .size:           4
        .value_kind:     hidden_block_count_z
      - .offset:         68
        .size:           2
        .value_kind:     hidden_group_size_x
      - .offset:         70
        .size:           2
        .value_kind:     hidden_group_size_y
      - .offset:         72
        .size:           2
        .value_kind:     hidden_group_size_z
      - .offset:         74
        .size:           2
        .value_kind:     hidden_remainder_x
      - .offset:         76
        .size:           2
        .value_kind:     hidden_remainder_y
      - .offset:         78
        .size:           2
        .value_kind:     hidden_remainder_z
      - .offset:         96
        .size:           8
        .value_kind:     hidden_global_offset_x
      - .offset:         104
        .size:           8
        .value_kind:     hidden_global_offset_y
      - .offset:         112
        .size:           8
        .value_kind:     hidden_global_offset_z
      - .offset:         120
        .size:           2
        .value_kind:     hidden_grid_dims
      - .offset:         176
        .size:           4
        .value_kind:     hidden_dynamic_lds_size
    .group_segment_fixed_size: 0
    .kernarg_segment_align: 8
    .kernarg_segment_size: 312
    .language:       OpenCL C
    .language_version:
      - 2
      - 0
    .max_flat_workgroup_size: 512
    .name:           _ZN9rocsolver6v33100L23getf2_npvt_small_kernelILi47E19rocblas_complex_numIdEiiPS3_EEvT1_T3_lS5_lPT2_S5_S5_
    .private_segment_fixed_size: 1460
    .sgpr_count:     28
    .sgpr_spill_count: 0
    .symbol:         _ZN9rocsolver6v33100L23getf2_npvt_small_kernelILi47E19rocblas_complex_numIdEiiPS3_EEvT1_T3_lS5_lPT2_S5_S5_.kd
    .uniform_work_group_size: 1
    .uses_dynamic_stack: false
    .vgpr_count:     128
    .vgpr_spill_count: 1624
    .wavefront_size: 64
  - .args:
      - .offset:         0
        .size:           4
        .value_kind:     by_value
      - .address_space:  global
        .offset:         8
        .size:           8
        .value_kind:     global_buffer
      - .offset:         16
        .size:           8
        .value_kind:     by_value
      - .offset:         24
        .size:           4
        .value_kind:     by_value
      - .offset:         32
        .size:           8
        .value_kind:     by_value
      - .address_space:  global
        .offset:         40
        .size:           8
        .value_kind:     global_buffer
      - .offset:         48
        .size:           8
        .value_kind:     by_value
      - .offset:         56
        .size:           8
        .value_kind:     by_value
      - .address_space:  global
        .offset:         64
        .size:           8
        .value_kind:     global_buffer
      - .offset:         72
        .size:           4
        .value_kind:     by_value
      - .offset:         76
        .size:           4
        .value_kind:     by_value
      - .address_space:  global
        .offset:         80
        .size:           8
        .value_kind:     global_buffer
      - .offset:         88
        .size:           8
        .value_kind:     by_value
      - .offset:         96
        .size:           4
        .value_kind:     hidden_block_count_x
      - .offset:         100
        .size:           4
        .value_kind:     hidden_block_count_y
      - .offset:         104
        .size:           4
        .value_kind:     hidden_block_count_z
      - .offset:         108
        .size:           2
        .value_kind:     hidden_group_size_x
      - .offset:         110
        .size:           2
        .value_kind:     hidden_group_size_y
      - .offset:         112
        .size:           2
        .value_kind:     hidden_group_size_z
      - .offset:         114
        .size:           2
        .value_kind:     hidden_remainder_x
      - .offset:         116
        .size:           2
        .value_kind:     hidden_remainder_y
      - .offset:         118
        .size:           2
        .value_kind:     hidden_remainder_z
      - .offset:         136
        .size:           8
        .value_kind:     hidden_global_offset_x
      - .offset:         144
        .size:           8
        .value_kind:     hidden_global_offset_y
      - .offset:         152
        .size:           8
        .value_kind:     hidden_global_offset_z
      - .offset:         160
        .size:           2
        .value_kind:     hidden_grid_dims
      - .offset:         216
        .size:           4
        .value_kind:     hidden_dynamic_lds_size
    .group_segment_fixed_size: 0
    .kernarg_segment_align: 8
    .kernarg_segment_size: 352
    .language:       OpenCL C
    .language_version:
      - 2
      - 0
    .max_flat_workgroup_size: 512
    .name:           _ZN9rocsolver6v33100L18getf2_small_kernelILi48E19rocblas_complex_numIdEiiPS3_EEvT1_T3_lS5_lPS5_llPT2_S5_S5_S7_l
    .private_segment_fixed_size: 412
    .sgpr_count:     34
    .sgpr_spill_count: 0
    .symbol:         _ZN9rocsolver6v33100L18getf2_small_kernelILi48E19rocblas_complex_numIdEiiPS3_EEvT1_T3_lS5_lPS5_llPT2_S5_S5_S7_l.kd
    .uniform_work_group_size: 1
    .uses_dynamic_stack: false
    .vgpr_count:     128
    .vgpr_spill_count: 1412
    .wavefront_size: 64
  - .args:
      - .offset:         0
        .size:           4
        .value_kind:     by_value
      - .address_space:  global
        .offset:         8
        .size:           8
        .value_kind:     global_buffer
      - .offset:         16
        .size:           8
        .value_kind:     by_value
      - .offset:         24
        .size:           4
        .value_kind:     by_value
      - .offset:         32
        .size:           8
        .value_kind:     by_value
      - .address_space:  global
        .offset:         40
        .size:           8
        .value_kind:     global_buffer
      - .offset:         48
        .size:           4
        .value_kind:     by_value
      - .offset:         52
        .size:           4
        .value_kind:     by_value
      - .offset:         56
        .size:           4
        .value_kind:     hidden_block_count_x
      - .offset:         60
        .size:           4
        .value_kind:     hidden_block_count_y
      - .offset:         64
        .size:           4
        .value_kind:     hidden_block_count_z
      - .offset:         68
        .size:           2
        .value_kind:     hidden_group_size_x
      - .offset:         70
        .size:           2
        .value_kind:     hidden_group_size_y
      - .offset:         72
        .size:           2
        .value_kind:     hidden_group_size_z
      - .offset:         74
        .size:           2
        .value_kind:     hidden_remainder_x
      - .offset:         76
        .size:           2
        .value_kind:     hidden_remainder_y
      - .offset:         78
        .size:           2
        .value_kind:     hidden_remainder_z
      - .offset:         96
        .size:           8
        .value_kind:     hidden_global_offset_x
      - .offset:         104
        .size:           8
        .value_kind:     hidden_global_offset_y
      - .offset:         112
        .size:           8
        .value_kind:     hidden_global_offset_z
      - .offset:         120
        .size:           2
        .value_kind:     hidden_grid_dims
      - .offset:         176
        .size:           4
        .value_kind:     hidden_dynamic_lds_size
    .group_segment_fixed_size: 0
    .kernarg_segment_align: 8
    .kernarg_segment_size: 312
    .language:       OpenCL C
    .language_version:
      - 2
      - 0
    .max_flat_workgroup_size: 512
    .name:           _ZN9rocsolver6v33100L23getf2_npvt_small_kernelILi48E19rocblas_complex_numIdEiiPS3_EEvT1_T3_lS5_lPT2_S5_S5_
    .private_segment_fixed_size: 1500
    .sgpr_count:     28
    .sgpr_spill_count: 0
    .symbol:         _ZN9rocsolver6v33100L23getf2_npvt_small_kernelILi48E19rocblas_complex_numIdEiiPS3_EEvT1_T3_lS5_lPT2_S5_S5_.kd
    .uniform_work_group_size: 1
    .uses_dynamic_stack: false
    .vgpr_count:     128
    .vgpr_spill_count: 1734
    .wavefront_size: 64
  - .args:
      - .offset:         0
        .size:           4
        .value_kind:     by_value
      - .address_space:  global
        .offset:         8
        .size:           8
        .value_kind:     global_buffer
      - .offset:         16
        .size:           8
        .value_kind:     by_value
      - .offset:         24
        .size:           4
        .value_kind:     by_value
      - .offset:         32
        .size:           8
        .value_kind:     by_value
      - .address_space:  global
        .offset:         40
        .size:           8
        .value_kind:     global_buffer
      - .offset:         48
        .size:           8
        .value_kind:     by_value
      - .offset:         56
        .size:           8
        .value_kind:     by_value
      - .address_space:  global
        .offset:         64
        .size:           8
        .value_kind:     global_buffer
      - .offset:         72
        .size:           4
        .value_kind:     by_value
      - .offset:         76
        .size:           4
        .value_kind:     by_value
      - .address_space:  global
        .offset:         80
        .size:           8
        .value_kind:     global_buffer
      - .offset:         88
        .size:           8
        .value_kind:     by_value
      - .offset:         96
        .size:           4
        .value_kind:     hidden_block_count_x
      - .offset:         100
        .size:           4
        .value_kind:     hidden_block_count_y
      - .offset:         104
        .size:           4
        .value_kind:     hidden_block_count_z
      - .offset:         108
        .size:           2
        .value_kind:     hidden_group_size_x
      - .offset:         110
        .size:           2
        .value_kind:     hidden_group_size_y
      - .offset:         112
        .size:           2
        .value_kind:     hidden_group_size_z
      - .offset:         114
        .size:           2
        .value_kind:     hidden_remainder_x
      - .offset:         116
        .size:           2
        .value_kind:     hidden_remainder_y
      - .offset:         118
        .size:           2
        .value_kind:     hidden_remainder_z
      - .offset:         136
        .size:           8
        .value_kind:     hidden_global_offset_x
      - .offset:         144
        .size:           8
        .value_kind:     hidden_global_offset_y
      - .offset:         152
        .size:           8
        .value_kind:     hidden_global_offset_z
      - .offset:         160
        .size:           2
        .value_kind:     hidden_grid_dims
      - .offset:         216
        .size:           4
        .value_kind:     hidden_dynamic_lds_size
    .group_segment_fixed_size: 0
    .kernarg_segment_align: 8
    .kernarg_segment_size: 352
    .language:       OpenCL C
    .language_version:
      - 2
      - 0
    .max_flat_workgroup_size: 512
    .name:           _ZN9rocsolver6v33100L18getf2_small_kernelILi49E19rocblas_complex_numIdEiiPS3_EEvT1_T3_lS5_lPS5_llPT2_S5_S5_S7_l
    .private_segment_fixed_size: 428
    .sgpr_count:     34
    .sgpr_spill_count: 0
    .symbol:         _ZN9rocsolver6v33100L18getf2_small_kernelILi49E19rocblas_complex_numIdEiiPS3_EEvT1_T3_lS5_lPS5_llPT2_S5_S5_S7_l.kd
    .uniform_work_group_size: 1
    .uses_dynamic_stack: false
    .vgpr_count:     128
    .vgpr_spill_count: 1438
    .wavefront_size: 64
  - .args:
      - .offset:         0
        .size:           4
        .value_kind:     by_value
      - .address_space:  global
        .offset:         8
        .size:           8
        .value_kind:     global_buffer
      - .offset:         16
        .size:           8
        .value_kind:     by_value
      - .offset:         24
        .size:           4
        .value_kind:     by_value
      - .offset:         32
        .size:           8
        .value_kind:     by_value
      - .address_space:  global
        .offset:         40
        .size:           8
        .value_kind:     global_buffer
      - .offset:         48
        .size:           4
        .value_kind:     by_value
      - .offset:         52
        .size:           4
        .value_kind:     by_value
      - .offset:         56
        .size:           4
        .value_kind:     hidden_block_count_x
      - .offset:         60
        .size:           4
        .value_kind:     hidden_block_count_y
      - .offset:         64
        .size:           4
        .value_kind:     hidden_block_count_z
      - .offset:         68
        .size:           2
        .value_kind:     hidden_group_size_x
      - .offset:         70
        .size:           2
        .value_kind:     hidden_group_size_y
      - .offset:         72
        .size:           2
        .value_kind:     hidden_group_size_z
      - .offset:         74
        .size:           2
        .value_kind:     hidden_remainder_x
      - .offset:         76
        .size:           2
        .value_kind:     hidden_remainder_y
      - .offset:         78
        .size:           2
        .value_kind:     hidden_remainder_z
      - .offset:         96
        .size:           8
        .value_kind:     hidden_global_offset_x
      - .offset:         104
        .size:           8
        .value_kind:     hidden_global_offset_y
      - .offset:         112
        .size:           8
        .value_kind:     hidden_global_offset_z
      - .offset:         120
        .size:           2
        .value_kind:     hidden_grid_dims
      - .offset:         176
        .size:           4
        .value_kind:     hidden_dynamic_lds_size
    .group_segment_fixed_size: 0
    .kernarg_segment_align: 8
    .kernarg_segment_size: 312
    .language:       OpenCL C
    .language_version:
      - 2
      - 0
    .max_flat_workgroup_size: 512
    .name:           _ZN9rocsolver6v33100L23getf2_npvt_small_kernelILi49E19rocblas_complex_numIdEiiPS3_EEvT1_T3_lS5_lPT2_S5_S5_
    .private_segment_fixed_size: 1540
    .sgpr_count:     28
    .sgpr_spill_count: 0
    .symbol:         _ZN9rocsolver6v33100L23getf2_npvt_small_kernelILi49E19rocblas_complex_numIdEiiPS3_EEvT1_T3_lS5_lPT2_S5_S5_.kd
    .uniform_work_group_size: 1
    .uses_dynamic_stack: false
    .vgpr_count:     128
    .vgpr_spill_count: 1848
    .wavefront_size: 64
  - .args:
      - .offset:         0
        .size:           4
        .value_kind:     by_value
      - .address_space:  global
        .offset:         8
        .size:           8
        .value_kind:     global_buffer
      - .offset:         16
        .size:           8
        .value_kind:     by_value
      - .offset:         24
        .size:           4
        .value_kind:     by_value
      - .offset:         32
        .size:           8
        .value_kind:     by_value
      - .address_space:  global
        .offset:         40
        .size:           8
        .value_kind:     global_buffer
      - .offset:         48
        .size:           8
        .value_kind:     by_value
      - .offset:         56
        .size:           8
        .value_kind:     by_value
      - .address_space:  global
        .offset:         64
        .size:           8
        .value_kind:     global_buffer
      - .offset:         72
        .size:           4
        .value_kind:     by_value
      - .offset:         76
        .size:           4
        .value_kind:     by_value
      - .address_space:  global
        .offset:         80
        .size:           8
        .value_kind:     global_buffer
      - .offset:         88
        .size:           8
        .value_kind:     by_value
      - .offset:         96
        .size:           4
        .value_kind:     hidden_block_count_x
      - .offset:         100
        .size:           4
        .value_kind:     hidden_block_count_y
      - .offset:         104
        .size:           4
        .value_kind:     hidden_block_count_z
      - .offset:         108
        .size:           2
        .value_kind:     hidden_group_size_x
      - .offset:         110
        .size:           2
        .value_kind:     hidden_group_size_y
      - .offset:         112
        .size:           2
        .value_kind:     hidden_group_size_z
      - .offset:         114
        .size:           2
        .value_kind:     hidden_remainder_x
      - .offset:         116
        .size:           2
        .value_kind:     hidden_remainder_y
      - .offset:         118
        .size:           2
        .value_kind:     hidden_remainder_z
      - .offset:         136
        .size:           8
        .value_kind:     hidden_global_offset_x
      - .offset:         144
        .size:           8
        .value_kind:     hidden_global_offset_y
      - .offset:         152
        .size:           8
        .value_kind:     hidden_global_offset_z
      - .offset:         160
        .size:           2
        .value_kind:     hidden_grid_dims
      - .offset:         216
        .size:           4
        .value_kind:     hidden_dynamic_lds_size
    .group_segment_fixed_size: 0
    .kernarg_segment_align: 8
    .kernarg_segment_size: 352
    .language:       OpenCL C
    .language_version:
      - 2
      - 0
    .max_flat_workgroup_size: 512
    .name:           _ZN9rocsolver6v33100L18getf2_small_kernelILi50E19rocblas_complex_numIdEiiPS3_EEvT1_T3_lS5_lPS5_llPT2_S5_S5_S7_l
    .private_segment_fixed_size: 436
    .sgpr_count:     34
    .sgpr_spill_count: 0
    .symbol:         _ZN9rocsolver6v33100L18getf2_small_kernelILi50E19rocblas_complex_numIdEiiPS3_EEvT1_T3_lS5_lPS5_llPT2_S5_S5_S7_l.kd
    .uniform_work_group_size: 1
    .uses_dynamic_stack: false
    .vgpr_count:     128
    .vgpr_spill_count: 1514
    .wavefront_size: 64
  - .args:
      - .offset:         0
        .size:           4
        .value_kind:     by_value
      - .address_space:  global
        .offset:         8
        .size:           8
        .value_kind:     global_buffer
      - .offset:         16
        .size:           8
        .value_kind:     by_value
      - .offset:         24
        .size:           4
        .value_kind:     by_value
      - .offset:         32
        .size:           8
        .value_kind:     by_value
      - .address_space:  global
        .offset:         40
        .size:           8
        .value_kind:     global_buffer
      - .offset:         48
        .size:           4
        .value_kind:     by_value
      - .offset:         52
        .size:           4
        .value_kind:     by_value
      - .offset:         56
        .size:           4
        .value_kind:     hidden_block_count_x
      - .offset:         60
        .size:           4
        .value_kind:     hidden_block_count_y
      - .offset:         64
        .size:           4
        .value_kind:     hidden_block_count_z
      - .offset:         68
        .size:           2
        .value_kind:     hidden_group_size_x
      - .offset:         70
        .size:           2
        .value_kind:     hidden_group_size_y
      - .offset:         72
        .size:           2
        .value_kind:     hidden_group_size_z
      - .offset:         74
        .size:           2
        .value_kind:     hidden_remainder_x
      - .offset:         76
        .size:           2
        .value_kind:     hidden_remainder_y
      - .offset:         78
        .size:           2
        .value_kind:     hidden_remainder_z
      - .offset:         96
        .size:           8
        .value_kind:     hidden_global_offset_x
      - .offset:         104
        .size:           8
        .value_kind:     hidden_global_offset_y
      - .offset:         112
        .size:           8
        .value_kind:     hidden_global_offset_z
      - .offset:         120
        .size:           2
        .value_kind:     hidden_grid_dims
      - .offset:         176
        .size:           4
        .value_kind:     hidden_dynamic_lds_size
    .group_segment_fixed_size: 0
    .kernarg_segment_align: 8
    .kernarg_segment_size: 312
    .language:       OpenCL C
    .language_version:
      - 2
      - 0
    .max_flat_workgroup_size: 512
    .name:           _ZN9rocsolver6v33100L23getf2_npvt_small_kernelILi50E19rocblas_complex_numIdEiiPS3_EEvT1_T3_lS5_lPT2_S5_S5_
    .private_segment_fixed_size: 1580
    .sgpr_count:     28
    .sgpr_spill_count: 0
    .symbol:         _ZN9rocsolver6v33100L23getf2_npvt_small_kernelILi50E19rocblas_complex_numIdEiiPS3_EEvT1_T3_lS5_lPT2_S5_S5_.kd
    .uniform_work_group_size: 1
    .uses_dynamic_stack: false
    .vgpr_count:     128
    .vgpr_spill_count: 1966
    .wavefront_size: 64
  - .args:
      - .offset:         0
        .size:           4
        .value_kind:     by_value
      - .address_space:  global
        .offset:         8
        .size:           8
        .value_kind:     global_buffer
      - .offset:         16
        .size:           8
        .value_kind:     by_value
      - .offset:         24
        .size:           4
        .value_kind:     by_value
      - .offset:         32
        .size:           8
        .value_kind:     by_value
      - .address_space:  global
        .offset:         40
        .size:           8
        .value_kind:     global_buffer
      - .offset:         48
        .size:           8
        .value_kind:     by_value
      - .offset:         56
        .size:           8
        .value_kind:     by_value
      - .address_space:  global
        .offset:         64
        .size:           8
        .value_kind:     global_buffer
      - .offset:         72
        .size:           4
        .value_kind:     by_value
      - .offset:         76
        .size:           4
        .value_kind:     by_value
      - .address_space:  global
        .offset:         80
        .size:           8
        .value_kind:     global_buffer
      - .offset:         88
        .size:           8
        .value_kind:     by_value
      - .offset:         96
        .size:           4
        .value_kind:     hidden_block_count_x
      - .offset:         100
        .size:           4
        .value_kind:     hidden_block_count_y
      - .offset:         104
        .size:           4
        .value_kind:     hidden_block_count_z
      - .offset:         108
        .size:           2
        .value_kind:     hidden_group_size_x
      - .offset:         110
        .size:           2
        .value_kind:     hidden_group_size_y
      - .offset:         112
        .size:           2
        .value_kind:     hidden_group_size_z
      - .offset:         114
        .size:           2
        .value_kind:     hidden_remainder_x
      - .offset:         116
        .size:           2
        .value_kind:     hidden_remainder_y
      - .offset:         118
        .size:           2
        .value_kind:     hidden_remainder_z
      - .offset:         136
        .size:           8
        .value_kind:     hidden_global_offset_x
      - .offset:         144
        .size:           8
        .value_kind:     hidden_global_offset_y
      - .offset:         152
        .size:           8
        .value_kind:     hidden_global_offset_z
      - .offset:         160
        .size:           2
        .value_kind:     hidden_grid_dims
      - .offset:         216
        .size:           4
        .value_kind:     hidden_dynamic_lds_size
    .group_segment_fixed_size: 0
    .kernarg_segment_align: 8
    .kernarg_segment_size: 352
    .language:       OpenCL C
    .language_version:
      - 2
      - 0
    .max_flat_workgroup_size: 512
    .name:           _ZN9rocsolver6v33100L18getf2_small_kernelILi51E19rocblas_complex_numIdEiiPS3_EEvT1_T3_lS5_lPS5_llPT2_S5_S5_S7_l
    .private_segment_fixed_size: 468
    .sgpr_count:     34
    .sgpr_spill_count: 0
    .symbol:         _ZN9rocsolver6v33100L18getf2_small_kernelILi51E19rocblas_complex_numIdEiiPS3_EEvT1_T3_lS5_lPS5_llPT2_S5_S5_S7_l.kd
    .uniform_work_group_size: 1
    .uses_dynamic_stack: false
    .vgpr_count:     128
    .vgpr_spill_count: 1742
    .wavefront_size: 64
  - .args:
      - .offset:         0
        .size:           4
        .value_kind:     by_value
      - .address_space:  global
        .offset:         8
        .size:           8
        .value_kind:     global_buffer
      - .offset:         16
        .size:           8
        .value_kind:     by_value
      - .offset:         24
        .size:           4
        .value_kind:     by_value
      - .offset:         32
        .size:           8
        .value_kind:     by_value
      - .address_space:  global
        .offset:         40
        .size:           8
        .value_kind:     global_buffer
      - .offset:         48
        .size:           4
        .value_kind:     by_value
      - .offset:         52
        .size:           4
        .value_kind:     by_value
      - .offset:         56
        .size:           4
        .value_kind:     hidden_block_count_x
      - .offset:         60
        .size:           4
        .value_kind:     hidden_block_count_y
      - .offset:         64
        .size:           4
        .value_kind:     hidden_block_count_z
      - .offset:         68
        .size:           2
        .value_kind:     hidden_group_size_x
      - .offset:         70
        .size:           2
        .value_kind:     hidden_group_size_y
      - .offset:         72
        .size:           2
        .value_kind:     hidden_group_size_z
      - .offset:         74
        .size:           2
        .value_kind:     hidden_remainder_x
      - .offset:         76
        .size:           2
        .value_kind:     hidden_remainder_y
      - .offset:         78
        .size:           2
        .value_kind:     hidden_remainder_z
      - .offset:         96
        .size:           8
        .value_kind:     hidden_global_offset_x
      - .offset:         104
        .size:           8
        .value_kind:     hidden_global_offset_y
      - .offset:         112
        .size:           8
        .value_kind:     hidden_global_offset_z
      - .offset:         120
        .size:           2
        .value_kind:     hidden_grid_dims
      - .offset:         176
        .size:           4
        .value_kind:     hidden_dynamic_lds_size
    .group_segment_fixed_size: 0
    .kernarg_segment_align: 8
    .kernarg_segment_size: 312
    .language:       OpenCL C
    .language_version:
      - 2
      - 0
    .max_flat_workgroup_size: 512
    .name:           _ZN9rocsolver6v33100L23getf2_npvt_small_kernelILi51E19rocblas_complex_numIdEiiPS3_EEvT1_T3_lS5_lPT2_S5_S5_
    .private_segment_fixed_size: 1620
    .sgpr_count:     28
    .sgpr_spill_count: 0
    .symbol:         _ZN9rocsolver6v33100L23getf2_npvt_small_kernelILi51E19rocblas_complex_numIdEiiPS3_EEvT1_T3_lS5_lPT2_S5_S5_.kd
    .uniform_work_group_size: 1
    .uses_dynamic_stack: false
    .vgpr_count:     128
    .vgpr_spill_count: 2088
    .wavefront_size: 64
  - .args:
      - .offset:         0
        .size:           4
        .value_kind:     by_value
      - .address_space:  global
        .offset:         8
        .size:           8
        .value_kind:     global_buffer
      - .offset:         16
        .size:           8
        .value_kind:     by_value
      - .offset:         24
        .size:           4
        .value_kind:     by_value
      - .offset:         32
        .size:           8
        .value_kind:     by_value
      - .address_space:  global
        .offset:         40
        .size:           8
        .value_kind:     global_buffer
      - .offset:         48
        .size:           8
        .value_kind:     by_value
      - .offset:         56
        .size:           8
        .value_kind:     by_value
      - .address_space:  global
        .offset:         64
        .size:           8
        .value_kind:     global_buffer
      - .offset:         72
        .size:           4
        .value_kind:     by_value
      - .offset:         76
        .size:           4
        .value_kind:     by_value
      - .address_space:  global
        .offset:         80
        .size:           8
        .value_kind:     global_buffer
      - .offset:         88
        .size:           8
        .value_kind:     by_value
      - .offset:         96
        .size:           4
        .value_kind:     hidden_block_count_x
      - .offset:         100
        .size:           4
        .value_kind:     hidden_block_count_y
      - .offset:         104
        .size:           4
        .value_kind:     hidden_block_count_z
      - .offset:         108
        .size:           2
        .value_kind:     hidden_group_size_x
      - .offset:         110
        .size:           2
        .value_kind:     hidden_group_size_y
      - .offset:         112
        .size:           2
        .value_kind:     hidden_group_size_z
      - .offset:         114
        .size:           2
        .value_kind:     hidden_remainder_x
      - .offset:         116
        .size:           2
        .value_kind:     hidden_remainder_y
      - .offset:         118
        .size:           2
        .value_kind:     hidden_remainder_z
      - .offset:         136
        .size:           8
        .value_kind:     hidden_global_offset_x
      - .offset:         144
        .size:           8
        .value_kind:     hidden_global_offset_y
      - .offset:         152
        .size:           8
        .value_kind:     hidden_global_offset_z
      - .offset:         160
        .size:           2
        .value_kind:     hidden_grid_dims
      - .offset:         216
        .size:           4
        .value_kind:     hidden_dynamic_lds_size
    .group_segment_fixed_size: 0
    .kernarg_segment_align: 8
    .kernarg_segment_size: 352
    .language:       OpenCL C
    .language_version:
      - 2
      - 0
    .max_flat_workgroup_size: 512
    .name:           _ZN9rocsolver6v33100L18getf2_small_kernelILi52E19rocblas_complex_numIdEiiPS3_EEvT1_T3_lS5_lPS5_llPT2_S5_S5_S7_l
    .private_segment_fixed_size: 484
    .sgpr_count:     34
    .sgpr_spill_count: 0
    .symbol:         _ZN9rocsolver6v33100L18getf2_small_kernelILi52E19rocblas_complex_numIdEiiPS3_EEvT1_T3_lS5_lPS5_llPT2_S5_S5_S7_l.kd
    .uniform_work_group_size: 1
    .uses_dynamic_stack: false
    .vgpr_count:     128
    .vgpr_spill_count: 1862
    .wavefront_size: 64
  - .args:
      - .offset:         0
        .size:           4
        .value_kind:     by_value
      - .address_space:  global
        .offset:         8
        .size:           8
        .value_kind:     global_buffer
      - .offset:         16
        .size:           8
        .value_kind:     by_value
      - .offset:         24
        .size:           4
        .value_kind:     by_value
      - .offset:         32
        .size:           8
        .value_kind:     by_value
      - .address_space:  global
        .offset:         40
        .size:           8
        .value_kind:     global_buffer
      - .offset:         48
        .size:           4
        .value_kind:     by_value
      - .offset:         52
        .size:           4
        .value_kind:     by_value
      - .offset:         56
        .size:           4
        .value_kind:     hidden_block_count_x
      - .offset:         60
        .size:           4
        .value_kind:     hidden_block_count_y
      - .offset:         64
        .size:           4
        .value_kind:     hidden_block_count_z
      - .offset:         68
        .size:           2
        .value_kind:     hidden_group_size_x
      - .offset:         70
        .size:           2
        .value_kind:     hidden_group_size_y
      - .offset:         72
        .size:           2
        .value_kind:     hidden_group_size_z
      - .offset:         74
        .size:           2
        .value_kind:     hidden_remainder_x
      - .offset:         76
        .size:           2
        .value_kind:     hidden_remainder_y
      - .offset:         78
        .size:           2
        .value_kind:     hidden_remainder_z
      - .offset:         96
        .size:           8
        .value_kind:     hidden_global_offset_x
      - .offset:         104
        .size:           8
        .value_kind:     hidden_global_offset_y
      - .offset:         112
        .size:           8
        .value_kind:     hidden_global_offset_z
      - .offset:         120
        .size:           2
        .value_kind:     hidden_grid_dims
      - .offset:         176
        .size:           4
        .value_kind:     hidden_dynamic_lds_size
    .group_segment_fixed_size: 0
    .kernarg_segment_align: 8
    .kernarg_segment_size: 312
    .language:       OpenCL C
    .language_version:
      - 2
      - 0
    .max_flat_workgroup_size: 512
    .name:           _ZN9rocsolver6v33100L23getf2_npvt_small_kernelILi52E19rocblas_complex_numIdEiiPS3_EEvT1_T3_lS5_lPT2_S5_S5_
    .private_segment_fixed_size: 1660
    .sgpr_count:     28
    .sgpr_spill_count: 0
    .symbol:         _ZN9rocsolver6v33100L23getf2_npvt_small_kernelILi52E19rocblas_complex_numIdEiiPS3_EEvT1_T3_lS5_lPT2_S5_S5_.kd
    .uniform_work_group_size: 1
    .uses_dynamic_stack: false
    .vgpr_count:     128
    .vgpr_spill_count: 2214
    .wavefront_size: 64
  - .args:
      - .offset:         0
        .size:           4
        .value_kind:     by_value
      - .address_space:  global
        .offset:         8
        .size:           8
        .value_kind:     global_buffer
      - .offset:         16
        .size:           8
        .value_kind:     by_value
      - .offset:         24
        .size:           4
        .value_kind:     by_value
      - .offset:         32
        .size:           8
        .value_kind:     by_value
      - .address_space:  global
        .offset:         40
        .size:           8
        .value_kind:     global_buffer
      - .offset:         48
        .size:           8
        .value_kind:     by_value
      - .offset:         56
        .size:           8
        .value_kind:     by_value
      - .address_space:  global
        .offset:         64
        .size:           8
        .value_kind:     global_buffer
      - .offset:         72
        .size:           4
        .value_kind:     by_value
      - .offset:         76
        .size:           4
        .value_kind:     by_value
      - .address_space:  global
        .offset:         80
        .size:           8
        .value_kind:     global_buffer
      - .offset:         88
        .size:           8
        .value_kind:     by_value
      - .offset:         96
        .size:           4
        .value_kind:     hidden_block_count_x
      - .offset:         100
        .size:           4
        .value_kind:     hidden_block_count_y
      - .offset:         104
        .size:           4
        .value_kind:     hidden_block_count_z
      - .offset:         108
        .size:           2
        .value_kind:     hidden_group_size_x
      - .offset:         110
        .size:           2
        .value_kind:     hidden_group_size_y
      - .offset:         112
        .size:           2
        .value_kind:     hidden_group_size_z
      - .offset:         114
        .size:           2
        .value_kind:     hidden_remainder_x
      - .offset:         116
        .size:           2
        .value_kind:     hidden_remainder_y
      - .offset:         118
        .size:           2
        .value_kind:     hidden_remainder_z
      - .offset:         136
        .size:           8
        .value_kind:     hidden_global_offset_x
      - .offset:         144
        .size:           8
        .value_kind:     hidden_global_offset_y
      - .offset:         152
        .size:           8
        .value_kind:     hidden_global_offset_z
      - .offset:         160
        .size:           2
        .value_kind:     hidden_grid_dims
      - .offset:         216
        .size:           4
        .value_kind:     hidden_dynamic_lds_size
    .group_segment_fixed_size: 0
    .kernarg_segment_align: 8
    .kernarg_segment_size: 352
    .language:       OpenCL C
    .language_version:
      - 2
      - 0
    .max_flat_workgroup_size: 512
    .name:           _ZN9rocsolver6v33100L18getf2_small_kernelILi53E19rocblas_complex_numIdEiiPS3_EEvT1_T3_lS5_lPS5_llPT2_S5_S5_S7_l
    .private_segment_fixed_size: 496
    .sgpr_count:     34
    .sgpr_spill_count: 0
    .symbol:         _ZN9rocsolver6v33100L18getf2_small_kernelILi53E19rocblas_complex_numIdEiiPS3_EEvT1_T3_lS5_lPS5_llPT2_S5_S5_S7_l.kd
    .uniform_work_group_size: 1
    .uses_dynamic_stack: false
    .vgpr_count:     128
    .vgpr_spill_count: 1941
    .wavefront_size: 64
  - .args:
      - .offset:         0
        .size:           4
        .value_kind:     by_value
      - .address_space:  global
        .offset:         8
        .size:           8
        .value_kind:     global_buffer
      - .offset:         16
        .size:           8
        .value_kind:     by_value
      - .offset:         24
        .size:           4
        .value_kind:     by_value
      - .offset:         32
        .size:           8
        .value_kind:     by_value
      - .address_space:  global
        .offset:         40
        .size:           8
        .value_kind:     global_buffer
      - .offset:         48
        .size:           4
        .value_kind:     by_value
      - .offset:         52
        .size:           4
        .value_kind:     by_value
      - .offset:         56
        .size:           4
        .value_kind:     hidden_block_count_x
      - .offset:         60
        .size:           4
        .value_kind:     hidden_block_count_y
      - .offset:         64
        .size:           4
        .value_kind:     hidden_block_count_z
      - .offset:         68
        .size:           2
        .value_kind:     hidden_group_size_x
      - .offset:         70
        .size:           2
        .value_kind:     hidden_group_size_y
      - .offset:         72
        .size:           2
        .value_kind:     hidden_group_size_z
      - .offset:         74
        .size:           2
        .value_kind:     hidden_remainder_x
      - .offset:         76
        .size:           2
        .value_kind:     hidden_remainder_y
      - .offset:         78
        .size:           2
        .value_kind:     hidden_remainder_z
      - .offset:         96
        .size:           8
        .value_kind:     hidden_global_offset_x
      - .offset:         104
        .size:           8
        .value_kind:     hidden_global_offset_y
      - .offset:         112
        .size:           8
        .value_kind:     hidden_global_offset_z
      - .offset:         120
        .size:           2
        .value_kind:     hidden_grid_dims
      - .offset:         176
        .size:           4
        .value_kind:     hidden_dynamic_lds_size
    .group_segment_fixed_size: 0
    .kernarg_segment_align: 8
    .kernarg_segment_size: 312
    .language:       OpenCL C
    .language_version:
      - 2
      - 0
    .max_flat_workgroup_size: 512
    .name:           _ZN9rocsolver6v33100L23getf2_npvt_small_kernelILi53E19rocblas_complex_numIdEiiPS3_EEvT1_T3_lS5_lPT2_S5_S5_
    .private_segment_fixed_size: 1700
    .sgpr_count:     28
    .sgpr_spill_count: 0
    .symbol:         _ZN9rocsolver6v33100L23getf2_npvt_small_kernelILi53E19rocblas_complex_numIdEiiPS3_EEvT1_T3_lS5_lPT2_S5_S5_.kd
    .uniform_work_group_size: 1
    .uses_dynamic_stack: false
    .vgpr_count:     128
    .vgpr_spill_count: 2344
    .wavefront_size: 64
  - .args:
      - .offset:         0
        .size:           4
        .value_kind:     by_value
      - .address_space:  global
        .offset:         8
        .size:           8
        .value_kind:     global_buffer
      - .offset:         16
        .size:           8
        .value_kind:     by_value
      - .offset:         24
        .size:           4
        .value_kind:     by_value
      - .offset:         32
        .size:           8
        .value_kind:     by_value
      - .address_space:  global
        .offset:         40
        .size:           8
        .value_kind:     global_buffer
      - .offset:         48
        .size:           8
        .value_kind:     by_value
      - .offset:         56
        .size:           8
        .value_kind:     by_value
      - .address_space:  global
        .offset:         64
        .size:           8
        .value_kind:     global_buffer
      - .offset:         72
        .size:           4
        .value_kind:     by_value
      - .offset:         76
        .size:           4
        .value_kind:     by_value
      - .address_space:  global
        .offset:         80
        .size:           8
        .value_kind:     global_buffer
      - .offset:         88
        .size:           8
        .value_kind:     by_value
      - .offset:         96
        .size:           4
        .value_kind:     hidden_block_count_x
      - .offset:         100
        .size:           4
        .value_kind:     hidden_block_count_y
      - .offset:         104
        .size:           4
        .value_kind:     hidden_block_count_z
      - .offset:         108
        .size:           2
        .value_kind:     hidden_group_size_x
      - .offset:         110
        .size:           2
        .value_kind:     hidden_group_size_y
      - .offset:         112
        .size:           2
        .value_kind:     hidden_group_size_z
      - .offset:         114
        .size:           2
        .value_kind:     hidden_remainder_x
      - .offset:         116
        .size:           2
        .value_kind:     hidden_remainder_y
      - .offset:         118
        .size:           2
        .value_kind:     hidden_remainder_z
      - .offset:         136
        .size:           8
        .value_kind:     hidden_global_offset_x
      - .offset:         144
        .size:           8
        .value_kind:     hidden_global_offset_y
      - .offset:         152
        .size:           8
        .value_kind:     hidden_global_offset_z
      - .offset:         160
        .size:           2
        .value_kind:     hidden_grid_dims
      - .offset:         216
        .size:           4
        .value_kind:     hidden_dynamic_lds_size
    .group_segment_fixed_size: 0
    .kernarg_segment_align: 8
    .kernarg_segment_size: 352
    .language:       OpenCL C
    .language_version:
      - 2
      - 0
    .max_flat_workgroup_size: 512
    .name:           _ZN9rocsolver6v33100L18getf2_small_kernelILi54E19rocblas_complex_numIdEiiPS3_EEvT1_T3_lS5_lPS5_llPT2_S5_S5_S7_l
    .private_segment_fixed_size: 512
    .sgpr_count:     34
    .sgpr_spill_count: 0
    .symbol:         _ZN9rocsolver6v33100L18getf2_small_kernelILi54E19rocblas_complex_numIdEiiPS3_EEvT1_T3_lS5_lPS5_llPT2_S5_S5_S7_l.kd
    .uniform_work_group_size: 1
    .uses_dynamic_stack: false
    .vgpr_count:     128
    .vgpr_spill_count: 2082
    .wavefront_size: 64
  - .args:
      - .offset:         0
        .size:           4
        .value_kind:     by_value
      - .address_space:  global
        .offset:         8
        .size:           8
        .value_kind:     global_buffer
      - .offset:         16
        .size:           8
        .value_kind:     by_value
      - .offset:         24
        .size:           4
        .value_kind:     by_value
      - .offset:         32
        .size:           8
        .value_kind:     by_value
      - .address_space:  global
        .offset:         40
        .size:           8
        .value_kind:     global_buffer
      - .offset:         48
        .size:           4
        .value_kind:     by_value
      - .offset:         52
        .size:           4
        .value_kind:     by_value
      - .offset:         56
        .size:           4
        .value_kind:     hidden_block_count_x
      - .offset:         60
        .size:           4
        .value_kind:     hidden_block_count_y
      - .offset:         64
        .size:           4
        .value_kind:     hidden_block_count_z
      - .offset:         68
        .size:           2
        .value_kind:     hidden_group_size_x
      - .offset:         70
        .size:           2
        .value_kind:     hidden_group_size_y
      - .offset:         72
        .size:           2
        .value_kind:     hidden_group_size_z
      - .offset:         74
        .size:           2
        .value_kind:     hidden_remainder_x
      - .offset:         76
        .size:           2
        .value_kind:     hidden_remainder_y
      - .offset:         78
        .size:           2
        .value_kind:     hidden_remainder_z
      - .offset:         96
        .size:           8
        .value_kind:     hidden_global_offset_x
      - .offset:         104
        .size:           8
        .value_kind:     hidden_global_offset_y
      - .offset:         112
        .size:           8
        .value_kind:     hidden_global_offset_z
      - .offset:         120
        .size:           2
        .value_kind:     hidden_grid_dims
      - .offset:         176
        .size:           4
        .value_kind:     hidden_dynamic_lds_size
    .group_segment_fixed_size: 0
    .kernarg_segment_align: 8
    .kernarg_segment_size: 312
    .language:       OpenCL C
    .language_version:
      - 2
      - 0
    .max_flat_workgroup_size: 512
    .name:           _ZN9rocsolver6v33100L23getf2_npvt_small_kernelILi54E19rocblas_complex_numIdEiiPS3_EEvT1_T3_lS5_lPT2_S5_S5_
    .private_segment_fixed_size: 1716
    .sgpr_count:     28
    .sgpr_spill_count: 0
    .symbol:         _ZN9rocsolver6v33100L23getf2_npvt_small_kernelILi54E19rocblas_complex_numIdEiiPS3_EEvT1_T3_lS5_lPT2_S5_S5_.kd
    .uniform_work_group_size: 1
    .uses_dynamic_stack: false
    .vgpr_count:     128
    .vgpr_spill_count: 2416
    .wavefront_size: 64
  - .args:
      - .offset:         0
        .size:           4
        .value_kind:     by_value
      - .address_space:  global
        .offset:         8
        .size:           8
        .value_kind:     global_buffer
      - .offset:         16
        .size:           8
        .value_kind:     by_value
      - .offset:         24
        .size:           4
        .value_kind:     by_value
      - .offset:         32
        .size:           8
        .value_kind:     by_value
      - .address_space:  global
        .offset:         40
        .size:           8
        .value_kind:     global_buffer
      - .offset:         48
        .size:           8
        .value_kind:     by_value
      - .offset:         56
        .size:           8
        .value_kind:     by_value
      - .address_space:  global
        .offset:         64
        .size:           8
        .value_kind:     global_buffer
      - .offset:         72
        .size:           4
        .value_kind:     by_value
      - .offset:         76
        .size:           4
        .value_kind:     by_value
      - .address_space:  global
        .offset:         80
        .size:           8
        .value_kind:     global_buffer
      - .offset:         88
        .size:           8
        .value_kind:     by_value
      - .offset:         96
        .size:           4
        .value_kind:     hidden_block_count_x
      - .offset:         100
        .size:           4
        .value_kind:     hidden_block_count_y
      - .offset:         104
        .size:           4
        .value_kind:     hidden_block_count_z
      - .offset:         108
        .size:           2
        .value_kind:     hidden_group_size_x
      - .offset:         110
        .size:           2
        .value_kind:     hidden_group_size_y
      - .offset:         112
        .size:           2
        .value_kind:     hidden_group_size_z
      - .offset:         114
        .size:           2
        .value_kind:     hidden_remainder_x
      - .offset:         116
        .size:           2
        .value_kind:     hidden_remainder_y
      - .offset:         118
        .size:           2
        .value_kind:     hidden_remainder_z
      - .offset:         136
        .size:           8
        .value_kind:     hidden_global_offset_x
      - .offset:         144
        .size:           8
        .value_kind:     hidden_global_offset_y
      - .offset:         152
        .size:           8
        .value_kind:     hidden_global_offset_z
      - .offset:         160
        .size:           2
        .value_kind:     hidden_grid_dims
      - .offset:         216
        .size:           4
        .value_kind:     hidden_dynamic_lds_size
    .group_segment_fixed_size: 0
    .kernarg_segment_align: 8
    .kernarg_segment_size: 352
    .language:       OpenCL C
    .language_version:
      - 2
      - 0
    .max_flat_workgroup_size: 512
    .name:           _ZN9rocsolver6v33100L18getf2_small_kernelILi55E19rocblas_complex_numIdEiiPS3_EEvT1_T3_lS5_lPS5_llPT2_S5_S5_S7_l
    .private_segment_fixed_size: 528
    .sgpr_count:     34
    .sgpr_spill_count: 0
    .symbol:         _ZN9rocsolver6v33100L18getf2_small_kernelILi55E19rocblas_complex_numIdEiiPS3_EEvT1_T3_lS5_lPS5_llPT2_S5_S5_S7_l.kd
    .uniform_work_group_size: 1
    .uses_dynamic_stack: false
    .vgpr_count:     128
    .vgpr_spill_count: 2191
    .wavefront_size: 64
  - .args:
      - .offset:         0
        .size:           4
        .value_kind:     by_value
      - .address_space:  global
        .offset:         8
        .size:           8
        .value_kind:     global_buffer
      - .offset:         16
        .size:           8
        .value_kind:     by_value
      - .offset:         24
        .size:           4
        .value_kind:     by_value
      - .offset:         32
        .size:           8
        .value_kind:     by_value
      - .address_space:  global
        .offset:         40
        .size:           8
        .value_kind:     global_buffer
      - .offset:         48
        .size:           4
        .value_kind:     by_value
      - .offset:         52
        .size:           4
        .value_kind:     by_value
      - .offset:         56
        .size:           4
        .value_kind:     hidden_block_count_x
      - .offset:         60
        .size:           4
        .value_kind:     hidden_block_count_y
      - .offset:         64
        .size:           4
        .value_kind:     hidden_block_count_z
      - .offset:         68
        .size:           2
        .value_kind:     hidden_group_size_x
      - .offset:         70
        .size:           2
        .value_kind:     hidden_group_size_y
      - .offset:         72
        .size:           2
        .value_kind:     hidden_group_size_z
      - .offset:         74
        .size:           2
        .value_kind:     hidden_remainder_x
      - .offset:         76
        .size:           2
        .value_kind:     hidden_remainder_y
      - .offset:         78
        .size:           2
        .value_kind:     hidden_remainder_z
      - .offset:         96
        .size:           8
        .value_kind:     hidden_global_offset_x
      - .offset:         104
        .size:           8
        .value_kind:     hidden_global_offset_y
      - .offset:         112
        .size:           8
        .value_kind:     hidden_global_offset_z
      - .offset:         120
        .size:           2
        .value_kind:     hidden_grid_dims
      - .offset:         176
        .size:           4
        .value_kind:     hidden_dynamic_lds_size
    .group_segment_fixed_size: 0
    .kernarg_segment_align: 8
    .kernarg_segment_size: 312
    .language:       OpenCL C
    .language_version:
      - 2
      - 0
    .max_flat_workgroup_size: 512
    .name:           _ZN9rocsolver6v33100L23getf2_npvt_small_kernelILi55E19rocblas_complex_numIdEiiPS3_EEvT1_T3_lS5_lPT2_S5_S5_
    .private_segment_fixed_size: 1756
    .sgpr_count:     28
    .sgpr_spill_count: 0
    .symbol:         _ZN9rocsolver6v33100L23getf2_npvt_small_kernelILi55E19rocblas_complex_numIdEiiPS3_EEvT1_T3_lS5_lPT2_S5_S5_.kd
    .uniform_work_group_size: 1
    .uses_dynamic_stack: false
    .vgpr_count:     128
    .vgpr_spill_count: 2554
    .wavefront_size: 64
  - .args:
      - .offset:         0
        .size:           4
        .value_kind:     by_value
      - .address_space:  global
        .offset:         8
        .size:           8
        .value_kind:     global_buffer
      - .offset:         16
        .size:           8
        .value_kind:     by_value
      - .offset:         24
        .size:           4
        .value_kind:     by_value
      - .offset:         32
        .size:           8
        .value_kind:     by_value
      - .address_space:  global
        .offset:         40
        .size:           8
        .value_kind:     global_buffer
      - .offset:         48
        .size:           8
        .value_kind:     by_value
      - .offset:         56
        .size:           8
        .value_kind:     by_value
      - .address_space:  global
        .offset:         64
        .size:           8
        .value_kind:     global_buffer
      - .offset:         72
        .size:           4
        .value_kind:     by_value
      - .offset:         76
        .size:           4
        .value_kind:     by_value
      - .address_space:  global
        .offset:         80
        .size:           8
        .value_kind:     global_buffer
      - .offset:         88
        .size:           8
        .value_kind:     by_value
      - .offset:         96
        .size:           4
        .value_kind:     hidden_block_count_x
      - .offset:         100
        .size:           4
        .value_kind:     hidden_block_count_y
      - .offset:         104
        .size:           4
        .value_kind:     hidden_block_count_z
      - .offset:         108
        .size:           2
        .value_kind:     hidden_group_size_x
      - .offset:         110
        .size:           2
        .value_kind:     hidden_group_size_y
      - .offset:         112
        .size:           2
        .value_kind:     hidden_group_size_z
      - .offset:         114
        .size:           2
        .value_kind:     hidden_remainder_x
      - .offset:         116
        .size:           2
        .value_kind:     hidden_remainder_y
      - .offset:         118
        .size:           2
        .value_kind:     hidden_remainder_z
      - .offset:         136
        .size:           8
        .value_kind:     hidden_global_offset_x
      - .offset:         144
        .size:           8
        .value_kind:     hidden_global_offset_y
      - .offset:         152
        .size:           8
        .value_kind:     hidden_global_offset_z
      - .offset:         160
        .size:           2
        .value_kind:     hidden_grid_dims
      - .offset:         216
        .size:           4
        .value_kind:     hidden_dynamic_lds_size
    .group_segment_fixed_size: 0
    .kernarg_segment_align: 8
    .kernarg_segment_size: 352
    .language:       OpenCL C
    .language_version:
      - 2
      - 0
    .max_flat_workgroup_size: 512
    .name:           _ZN9rocsolver6v33100L18getf2_small_kernelILi56E19rocblas_complex_numIdEiiPS3_EEvT1_T3_lS5_lPS5_llPT2_S5_S5_S7_l
    .private_segment_fixed_size: 544
    .sgpr_count:     34
    .sgpr_spill_count: 0
    .symbol:         _ZN9rocsolver6v33100L18getf2_small_kernelILi56E19rocblas_complex_numIdEiiPS3_EEvT1_T3_lS5_lPS5_llPT2_S5_S5_S7_l.kd
    .uniform_work_group_size: 1
    .uses_dynamic_stack: false
    .vgpr_count:     128
    .vgpr_spill_count: 2269
    .wavefront_size: 64
  - .args:
      - .offset:         0
        .size:           4
        .value_kind:     by_value
      - .address_space:  global
        .offset:         8
        .size:           8
        .value_kind:     global_buffer
      - .offset:         16
        .size:           8
        .value_kind:     by_value
      - .offset:         24
        .size:           4
        .value_kind:     by_value
      - .offset:         32
        .size:           8
        .value_kind:     by_value
      - .address_space:  global
        .offset:         40
        .size:           8
        .value_kind:     global_buffer
      - .offset:         48
        .size:           4
        .value_kind:     by_value
      - .offset:         52
        .size:           4
        .value_kind:     by_value
      - .offset:         56
        .size:           4
        .value_kind:     hidden_block_count_x
      - .offset:         60
        .size:           4
        .value_kind:     hidden_block_count_y
      - .offset:         64
        .size:           4
        .value_kind:     hidden_block_count_z
      - .offset:         68
        .size:           2
        .value_kind:     hidden_group_size_x
      - .offset:         70
        .size:           2
        .value_kind:     hidden_group_size_y
      - .offset:         72
        .size:           2
        .value_kind:     hidden_group_size_z
      - .offset:         74
        .size:           2
        .value_kind:     hidden_remainder_x
      - .offset:         76
        .size:           2
        .value_kind:     hidden_remainder_y
      - .offset:         78
        .size:           2
        .value_kind:     hidden_remainder_z
      - .offset:         96
        .size:           8
        .value_kind:     hidden_global_offset_x
      - .offset:         104
        .size:           8
        .value_kind:     hidden_global_offset_y
      - .offset:         112
        .size:           8
        .value_kind:     hidden_global_offset_z
      - .offset:         120
        .size:           2
        .value_kind:     hidden_grid_dims
      - .offset:         176
        .size:           4
        .value_kind:     hidden_dynamic_lds_size
    .group_segment_fixed_size: 0
    .kernarg_segment_align: 8
    .kernarg_segment_size: 312
    .language:       OpenCL C
    .language_version:
      - 2
      - 0
    .max_flat_workgroup_size: 512
    .name:           _ZN9rocsolver6v33100L23getf2_npvt_small_kernelILi56E19rocblas_complex_numIdEiiPS3_EEvT1_T3_lS5_lPT2_S5_S5_
    .private_segment_fixed_size: 1852
    .sgpr_count:     28
    .sgpr_spill_count: 0
    .symbol:         _ZN9rocsolver6v33100L23getf2_npvt_small_kernelILi56E19rocblas_complex_numIdEiiPS3_EEvT1_T3_lS5_lPT2_S5_S5_.kd
    .uniform_work_group_size: 1
    .uses_dynamic_stack: false
    .vgpr_count:     128
    .vgpr_spill_count: 4470
    .wavefront_size: 64
  - .args:
      - .offset:         0
        .size:           4
        .value_kind:     by_value
      - .address_space:  global
        .offset:         8
        .size:           8
        .value_kind:     global_buffer
      - .offset:         16
        .size:           8
        .value_kind:     by_value
      - .offset:         24
        .size:           4
        .value_kind:     by_value
      - .offset:         32
        .size:           8
        .value_kind:     by_value
      - .address_space:  global
        .offset:         40
        .size:           8
        .value_kind:     global_buffer
      - .offset:         48
        .size:           8
        .value_kind:     by_value
      - .offset:         56
        .size:           8
        .value_kind:     by_value
      - .address_space:  global
        .offset:         64
        .size:           8
        .value_kind:     global_buffer
      - .offset:         72
        .size:           4
        .value_kind:     by_value
      - .offset:         76
        .size:           4
        .value_kind:     by_value
      - .address_space:  global
        .offset:         80
        .size:           8
        .value_kind:     global_buffer
      - .offset:         88
        .size:           8
        .value_kind:     by_value
      - .offset:         96
        .size:           4
        .value_kind:     hidden_block_count_x
      - .offset:         100
        .size:           4
        .value_kind:     hidden_block_count_y
      - .offset:         104
        .size:           4
        .value_kind:     hidden_block_count_z
      - .offset:         108
        .size:           2
        .value_kind:     hidden_group_size_x
      - .offset:         110
        .size:           2
        .value_kind:     hidden_group_size_y
      - .offset:         112
        .size:           2
        .value_kind:     hidden_group_size_z
      - .offset:         114
        .size:           2
        .value_kind:     hidden_remainder_x
      - .offset:         116
        .size:           2
        .value_kind:     hidden_remainder_y
      - .offset:         118
        .size:           2
        .value_kind:     hidden_remainder_z
      - .offset:         136
        .size:           8
        .value_kind:     hidden_global_offset_x
      - .offset:         144
        .size:           8
        .value_kind:     hidden_global_offset_y
      - .offset:         152
        .size:           8
        .value_kind:     hidden_global_offset_z
      - .offset:         160
        .size:           2
        .value_kind:     hidden_grid_dims
      - .offset:         216
        .size:           4
        .value_kind:     hidden_dynamic_lds_size
    .group_segment_fixed_size: 0
    .kernarg_segment_align: 8
    .kernarg_segment_size: 352
    .language:       OpenCL C
    .language_version:
      - 2
      - 0
    .max_flat_workgroup_size: 512
    .name:           _ZN9rocsolver6v33100L18getf2_small_kernelILi57E19rocblas_complex_numIdEiiPS3_EEvT1_T3_lS5_lPS5_llPT2_S5_S5_S7_l
    .private_segment_fixed_size: 560
    .sgpr_count:     34
    .sgpr_spill_count: 0
    .symbol:         _ZN9rocsolver6v33100L18getf2_small_kernelILi57E19rocblas_complex_numIdEiiPS3_EEvT1_T3_lS5_lPS5_llPT2_S5_S5_S7_l.kd
    .uniform_work_group_size: 1
    .uses_dynamic_stack: false
    .vgpr_count:     128
    .vgpr_spill_count: 2421
    .wavefront_size: 64
  - .args:
      - .offset:         0
        .size:           4
        .value_kind:     by_value
      - .address_space:  global
        .offset:         8
        .size:           8
        .value_kind:     global_buffer
      - .offset:         16
        .size:           8
        .value_kind:     by_value
      - .offset:         24
        .size:           4
        .value_kind:     by_value
      - .offset:         32
        .size:           8
        .value_kind:     by_value
      - .address_space:  global
        .offset:         40
        .size:           8
        .value_kind:     global_buffer
      - .offset:         48
        .size:           4
        .value_kind:     by_value
      - .offset:         52
        .size:           4
        .value_kind:     by_value
      - .offset:         56
        .size:           4
        .value_kind:     hidden_block_count_x
      - .offset:         60
        .size:           4
        .value_kind:     hidden_block_count_y
      - .offset:         64
        .size:           4
        .value_kind:     hidden_block_count_z
      - .offset:         68
        .size:           2
        .value_kind:     hidden_group_size_x
      - .offset:         70
        .size:           2
        .value_kind:     hidden_group_size_y
      - .offset:         72
        .size:           2
        .value_kind:     hidden_group_size_z
      - .offset:         74
        .size:           2
        .value_kind:     hidden_remainder_x
      - .offset:         76
        .size:           2
        .value_kind:     hidden_remainder_y
      - .offset:         78
        .size:           2
        .value_kind:     hidden_remainder_z
      - .offset:         96
        .size:           8
        .value_kind:     hidden_global_offset_x
      - .offset:         104
        .size:           8
        .value_kind:     hidden_global_offset_y
      - .offset:         112
        .size:           8
        .value_kind:     hidden_global_offset_z
      - .offset:         120
        .size:           2
        .value_kind:     hidden_grid_dims
      - .offset:         176
        .size:           4
        .value_kind:     hidden_dynamic_lds_size
    .group_segment_fixed_size: 0
    .kernarg_segment_align: 8
    .kernarg_segment_size: 312
    .language:       OpenCL C
    .language_version:
      - 2
      - 0
    .max_flat_workgroup_size: 512
    .name:           _ZN9rocsolver6v33100L23getf2_npvt_small_kernelILi57E19rocblas_complex_numIdEiiPS3_EEvT1_T3_lS5_lPT2_S5_S5_
    .private_segment_fixed_size: 1892
    .sgpr_count:     28
    .sgpr_spill_count: 0
    .symbol:         _ZN9rocsolver6v33100L23getf2_npvt_small_kernelILi57E19rocblas_complex_numIdEiiPS3_EEvT1_T3_lS5_lPT2_S5_S5_.kd
    .uniform_work_group_size: 1
    .uses_dynamic_stack: false
    .vgpr_count:     128
    .vgpr_spill_count: 4660
    .wavefront_size: 64
  - .args:
      - .offset:         0
        .size:           4
        .value_kind:     by_value
      - .address_space:  global
        .offset:         8
        .size:           8
        .value_kind:     global_buffer
      - .offset:         16
        .size:           8
        .value_kind:     by_value
      - .offset:         24
        .size:           4
        .value_kind:     by_value
      - .offset:         32
        .size:           8
        .value_kind:     by_value
      - .address_space:  global
        .offset:         40
        .size:           8
        .value_kind:     global_buffer
      - .offset:         48
        .size:           8
        .value_kind:     by_value
      - .offset:         56
        .size:           8
        .value_kind:     by_value
      - .address_space:  global
        .offset:         64
        .size:           8
        .value_kind:     global_buffer
      - .offset:         72
        .size:           4
        .value_kind:     by_value
      - .offset:         76
        .size:           4
        .value_kind:     by_value
      - .address_space:  global
        .offset:         80
        .size:           8
        .value_kind:     global_buffer
      - .offset:         88
        .size:           8
        .value_kind:     by_value
      - .offset:         96
        .size:           4
        .value_kind:     hidden_block_count_x
      - .offset:         100
        .size:           4
        .value_kind:     hidden_block_count_y
      - .offset:         104
        .size:           4
        .value_kind:     hidden_block_count_z
      - .offset:         108
        .size:           2
        .value_kind:     hidden_group_size_x
      - .offset:         110
        .size:           2
        .value_kind:     hidden_group_size_y
      - .offset:         112
        .size:           2
        .value_kind:     hidden_group_size_z
      - .offset:         114
        .size:           2
        .value_kind:     hidden_remainder_x
      - .offset:         116
        .size:           2
        .value_kind:     hidden_remainder_y
      - .offset:         118
        .size:           2
        .value_kind:     hidden_remainder_z
      - .offset:         136
        .size:           8
        .value_kind:     hidden_global_offset_x
      - .offset:         144
        .size:           8
        .value_kind:     hidden_global_offset_y
      - .offset:         152
        .size:           8
        .value_kind:     hidden_global_offset_z
      - .offset:         160
        .size:           2
        .value_kind:     hidden_grid_dims
      - .offset:         216
        .size:           4
        .value_kind:     hidden_dynamic_lds_size
    .group_segment_fixed_size: 0
    .kernarg_segment_align: 8
    .kernarg_segment_size: 352
    .language:       OpenCL C
    .language_version:
      - 2
      - 0
    .max_flat_workgroup_size: 512
    .name:           _ZN9rocsolver6v33100L18getf2_small_kernelILi58E19rocblas_complex_numIdEiiPS3_EEvT1_T3_lS5_lPS5_llPT2_S5_S5_S7_l
    .private_segment_fixed_size: 576
    .sgpr_count:     34
    .sgpr_spill_count: 0
    .symbol:         _ZN9rocsolver6v33100L18getf2_small_kernelILi58E19rocblas_complex_numIdEiiPS3_EEvT1_T3_lS5_lPS5_llPT2_S5_S5_S7_l.kd
    .uniform_work_group_size: 1
    .uses_dynamic_stack: false
    .vgpr_count:     128
    .vgpr_spill_count: 2541
    .wavefront_size: 64
  - .args:
      - .offset:         0
        .size:           4
        .value_kind:     by_value
      - .address_space:  global
        .offset:         8
        .size:           8
        .value_kind:     global_buffer
      - .offset:         16
        .size:           8
        .value_kind:     by_value
      - .offset:         24
        .size:           4
        .value_kind:     by_value
      - .offset:         32
        .size:           8
        .value_kind:     by_value
      - .address_space:  global
        .offset:         40
        .size:           8
        .value_kind:     global_buffer
      - .offset:         48
        .size:           4
        .value_kind:     by_value
      - .offset:         52
        .size:           4
        .value_kind:     by_value
      - .offset:         56
        .size:           4
        .value_kind:     hidden_block_count_x
      - .offset:         60
        .size:           4
        .value_kind:     hidden_block_count_y
      - .offset:         64
        .size:           4
        .value_kind:     hidden_block_count_z
      - .offset:         68
        .size:           2
        .value_kind:     hidden_group_size_x
      - .offset:         70
        .size:           2
        .value_kind:     hidden_group_size_y
      - .offset:         72
        .size:           2
        .value_kind:     hidden_group_size_z
      - .offset:         74
        .size:           2
        .value_kind:     hidden_remainder_x
      - .offset:         76
        .size:           2
        .value_kind:     hidden_remainder_y
      - .offset:         78
        .size:           2
        .value_kind:     hidden_remainder_z
      - .offset:         96
        .size:           8
        .value_kind:     hidden_global_offset_x
      - .offset:         104
        .size:           8
        .value_kind:     hidden_global_offset_y
      - .offset:         112
        .size:           8
        .value_kind:     hidden_global_offset_z
      - .offset:         120
        .size:           2
        .value_kind:     hidden_grid_dims
      - .offset:         176
        .size:           4
        .value_kind:     hidden_dynamic_lds_size
    .group_segment_fixed_size: 0
    .kernarg_segment_align: 8
    .kernarg_segment_size: 312
    .language:       OpenCL C
    .language_version:
      - 2
      - 0
    .max_flat_workgroup_size: 512
    .name:           _ZN9rocsolver6v33100L23getf2_npvt_small_kernelILi58E19rocblas_complex_numIdEiiPS3_EEvT1_T3_lS5_lPT2_S5_S5_
    .private_segment_fixed_size: 1964
    .sgpr_count:     28
    .sgpr_spill_count: 0
    .symbol:         _ZN9rocsolver6v33100L23getf2_npvt_small_kernelILi58E19rocblas_complex_numIdEiiPS3_EEvT1_T3_lS5_lPT2_S5_S5_.kd
    .uniform_work_group_size: 1
    .uses_dynamic_stack: false
    .vgpr_count:     128
    .vgpr_spill_count: 4858
    .wavefront_size: 64
  - .args:
      - .offset:         0
        .size:           4
        .value_kind:     by_value
      - .address_space:  global
        .offset:         8
        .size:           8
        .value_kind:     global_buffer
      - .offset:         16
        .size:           8
        .value_kind:     by_value
      - .offset:         24
        .size:           4
        .value_kind:     by_value
      - .offset:         32
        .size:           8
        .value_kind:     by_value
      - .address_space:  global
        .offset:         40
        .size:           8
        .value_kind:     global_buffer
      - .offset:         48
        .size:           8
        .value_kind:     by_value
      - .offset:         56
        .size:           8
        .value_kind:     by_value
      - .address_space:  global
        .offset:         64
        .size:           8
        .value_kind:     global_buffer
      - .offset:         72
        .size:           4
        .value_kind:     by_value
      - .offset:         76
        .size:           4
        .value_kind:     by_value
      - .address_space:  global
        .offset:         80
        .size:           8
        .value_kind:     global_buffer
      - .offset:         88
        .size:           8
        .value_kind:     by_value
      - .offset:         96
        .size:           4
        .value_kind:     hidden_block_count_x
      - .offset:         100
        .size:           4
        .value_kind:     hidden_block_count_y
      - .offset:         104
        .size:           4
        .value_kind:     hidden_block_count_z
      - .offset:         108
        .size:           2
        .value_kind:     hidden_group_size_x
      - .offset:         110
        .size:           2
        .value_kind:     hidden_group_size_y
      - .offset:         112
        .size:           2
        .value_kind:     hidden_group_size_z
      - .offset:         114
        .size:           2
        .value_kind:     hidden_remainder_x
      - .offset:         116
        .size:           2
        .value_kind:     hidden_remainder_y
      - .offset:         118
        .size:           2
        .value_kind:     hidden_remainder_z
      - .offset:         136
        .size:           8
        .value_kind:     hidden_global_offset_x
      - .offset:         144
        .size:           8
        .value_kind:     hidden_global_offset_y
      - .offset:         152
        .size:           8
        .value_kind:     hidden_global_offset_z
      - .offset:         160
        .size:           2
        .value_kind:     hidden_grid_dims
      - .offset:         216
        .size:           4
        .value_kind:     hidden_dynamic_lds_size
    .group_segment_fixed_size: 0
    .kernarg_segment_align: 8
    .kernarg_segment_size: 352
    .language:       OpenCL C
    .language_version:
      - 2
      - 0
    .max_flat_workgroup_size: 512
    .name:           _ZN9rocsolver6v33100L18getf2_small_kernelILi59E19rocblas_complex_numIdEiiPS3_EEvT1_T3_lS5_lPS5_llPT2_S5_S5_S7_l
    .private_segment_fixed_size: 592
    .sgpr_count:     34
    .sgpr_spill_count: 0
    .symbol:         _ZN9rocsolver6v33100L18getf2_small_kernelILi59E19rocblas_complex_numIdEiiPS3_EEvT1_T3_lS5_lPS5_llPT2_S5_S5_S7_l.kd
    .uniform_work_group_size: 1
    .uses_dynamic_stack: false
    .vgpr_count:     128
    .vgpr_spill_count: 2743
    .wavefront_size: 64
  - .args:
      - .offset:         0
        .size:           4
        .value_kind:     by_value
      - .address_space:  global
        .offset:         8
        .size:           8
        .value_kind:     global_buffer
      - .offset:         16
        .size:           8
        .value_kind:     by_value
      - .offset:         24
        .size:           4
        .value_kind:     by_value
      - .offset:         32
        .size:           8
        .value_kind:     by_value
      - .address_space:  global
        .offset:         40
        .size:           8
        .value_kind:     global_buffer
      - .offset:         48
        .size:           4
        .value_kind:     by_value
      - .offset:         52
        .size:           4
        .value_kind:     by_value
      - .offset:         56
        .size:           4
        .value_kind:     hidden_block_count_x
      - .offset:         60
        .size:           4
        .value_kind:     hidden_block_count_y
      - .offset:         64
        .size:           4
        .value_kind:     hidden_block_count_z
      - .offset:         68
        .size:           2
        .value_kind:     hidden_group_size_x
      - .offset:         70
        .size:           2
        .value_kind:     hidden_group_size_y
      - .offset:         72
        .size:           2
        .value_kind:     hidden_group_size_z
      - .offset:         74
        .size:           2
        .value_kind:     hidden_remainder_x
      - .offset:         76
        .size:           2
        .value_kind:     hidden_remainder_y
      - .offset:         78
        .size:           2
        .value_kind:     hidden_remainder_z
      - .offset:         96
        .size:           8
        .value_kind:     hidden_global_offset_x
      - .offset:         104
        .size:           8
        .value_kind:     hidden_global_offset_y
      - .offset:         112
        .size:           8
        .value_kind:     hidden_global_offset_z
      - .offset:         120
        .size:           2
        .value_kind:     hidden_grid_dims
      - .offset:         176
        .size:           4
        .value_kind:     hidden_dynamic_lds_size
    .group_segment_fixed_size: 0
    .kernarg_segment_align: 8
    .kernarg_segment_size: 312
    .language:       OpenCL C
    .language_version:
      - 2
      - 0
    .max_flat_workgroup_size: 512
    .name:           _ZN9rocsolver6v33100L23getf2_npvt_small_kernelILi59E19rocblas_complex_numIdEiiPS3_EEvT1_T3_lS5_lPT2_S5_S5_
    .private_segment_fixed_size: 1932
    .sgpr_count:     28
    .sgpr_spill_count: 0
    .symbol:         _ZN9rocsolver6v33100L23getf2_npvt_small_kernelILi59E19rocblas_complex_numIdEiiPS3_EEvT1_T3_lS5_lPT2_S5_S5_.kd
    .uniform_work_group_size: 1
    .uses_dynamic_stack: false
    .vgpr_count:     128
    .vgpr_spill_count: 3222
    .wavefront_size: 64
  - .args:
      - .offset:         0
        .size:           4
        .value_kind:     by_value
      - .address_space:  global
        .offset:         8
        .size:           8
        .value_kind:     global_buffer
      - .offset:         16
        .size:           8
        .value_kind:     by_value
      - .offset:         24
        .size:           4
        .value_kind:     by_value
      - .offset:         32
        .size:           8
        .value_kind:     by_value
      - .address_space:  global
        .offset:         40
        .size:           8
        .value_kind:     global_buffer
      - .offset:         48
        .size:           8
        .value_kind:     by_value
      - .offset:         56
        .size:           8
        .value_kind:     by_value
      - .address_space:  global
        .offset:         64
        .size:           8
        .value_kind:     global_buffer
      - .offset:         72
        .size:           4
        .value_kind:     by_value
      - .offset:         76
        .size:           4
        .value_kind:     by_value
      - .address_space:  global
        .offset:         80
        .size:           8
        .value_kind:     global_buffer
      - .offset:         88
        .size:           8
        .value_kind:     by_value
      - .offset:         96
        .size:           4
        .value_kind:     hidden_block_count_x
      - .offset:         100
        .size:           4
        .value_kind:     hidden_block_count_y
      - .offset:         104
        .size:           4
        .value_kind:     hidden_block_count_z
      - .offset:         108
        .size:           2
        .value_kind:     hidden_group_size_x
      - .offset:         110
        .size:           2
        .value_kind:     hidden_group_size_y
      - .offset:         112
        .size:           2
        .value_kind:     hidden_group_size_z
      - .offset:         114
        .size:           2
        .value_kind:     hidden_remainder_x
      - .offset:         116
        .size:           2
        .value_kind:     hidden_remainder_y
      - .offset:         118
        .size:           2
        .value_kind:     hidden_remainder_z
      - .offset:         136
        .size:           8
        .value_kind:     hidden_global_offset_x
      - .offset:         144
        .size:           8
        .value_kind:     hidden_global_offset_y
      - .offset:         152
        .size:           8
        .value_kind:     hidden_global_offset_z
      - .offset:         160
        .size:           2
        .value_kind:     hidden_grid_dims
      - .offset:         216
        .size:           4
        .value_kind:     hidden_dynamic_lds_size
    .group_segment_fixed_size: 0
    .kernarg_segment_align: 8
    .kernarg_segment_size: 352
    .language:       OpenCL C
    .language_version:
      - 2
      - 0
    .max_flat_workgroup_size: 512
    .name:           _ZN9rocsolver6v33100L18getf2_small_kernelILi60E19rocblas_complex_numIdEiiPS3_EEvT1_T3_lS5_lPS5_llPT2_S5_S5_S7_l
    .private_segment_fixed_size: 604
    .sgpr_count:     34
    .sgpr_spill_count: 0
    .symbol:         _ZN9rocsolver6v33100L18getf2_small_kernelILi60E19rocblas_complex_numIdEiiPS3_EEvT1_T3_lS5_lPS5_llPT2_S5_S5_S7_l.kd
    .uniform_work_group_size: 1
    .uses_dynamic_stack: false
    .vgpr_count:     128
    .vgpr_spill_count: 2816
    .wavefront_size: 64
  - .args:
      - .offset:         0
        .size:           4
        .value_kind:     by_value
      - .address_space:  global
        .offset:         8
        .size:           8
        .value_kind:     global_buffer
      - .offset:         16
        .size:           8
        .value_kind:     by_value
      - .offset:         24
        .size:           4
        .value_kind:     by_value
      - .offset:         32
        .size:           8
        .value_kind:     by_value
      - .address_space:  global
        .offset:         40
        .size:           8
        .value_kind:     global_buffer
      - .offset:         48
        .size:           4
        .value_kind:     by_value
      - .offset:         52
        .size:           4
        .value_kind:     by_value
      - .offset:         56
        .size:           4
        .value_kind:     hidden_block_count_x
      - .offset:         60
        .size:           4
        .value_kind:     hidden_block_count_y
      - .offset:         64
        .size:           4
        .value_kind:     hidden_block_count_z
      - .offset:         68
        .size:           2
        .value_kind:     hidden_group_size_x
      - .offset:         70
        .size:           2
        .value_kind:     hidden_group_size_y
      - .offset:         72
        .size:           2
        .value_kind:     hidden_group_size_z
      - .offset:         74
        .size:           2
        .value_kind:     hidden_remainder_x
      - .offset:         76
        .size:           2
        .value_kind:     hidden_remainder_y
      - .offset:         78
        .size:           2
        .value_kind:     hidden_remainder_z
      - .offset:         96
        .size:           8
        .value_kind:     hidden_global_offset_x
      - .offset:         104
        .size:           8
        .value_kind:     hidden_global_offset_y
      - .offset:         112
        .size:           8
        .value_kind:     hidden_global_offset_z
      - .offset:         120
        .size:           2
        .value_kind:     hidden_grid_dims
      - .offset:         176
        .size:           4
        .value_kind:     hidden_dynamic_lds_size
    .group_segment_fixed_size: 0
    .kernarg_segment_align: 8
    .kernarg_segment_size: 312
    .language:       OpenCL C
    .language_version:
      - 2
      - 0
    .max_flat_workgroup_size: 512
    .name:           _ZN9rocsolver6v33100L23getf2_npvt_small_kernelILi60E19rocblas_complex_numIdEiiPS3_EEvT1_T3_lS5_lPT2_S5_S5_
    .private_segment_fixed_size: 1964
    .sgpr_count:     28
    .sgpr_spill_count: 0
    .symbol:         _ZN9rocsolver6v33100L23getf2_npvt_small_kernelILi60E19rocblas_complex_numIdEiiPS3_EEvT1_T3_lS5_lPT2_S5_S5_.kd
    .uniform_work_group_size: 1
    .uses_dynamic_stack: false
    .vgpr_count:     128
    .vgpr_spill_count: 5050
    .wavefront_size: 64
  - .args:
      - .offset:         0
        .size:           4
        .value_kind:     by_value
      - .address_space:  global
        .offset:         8
        .size:           8
        .value_kind:     global_buffer
      - .offset:         16
        .size:           8
        .value_kind:     by_value
      - .offset:         24
        .size:           4
        .value_kind:     by_value
      - .offset:         32
        .size:           8
        .value_kind:     by_value
      - .address_space:  global
        .offset:         40
        .size:           8
        .value_kind:     global_buffer
      - .offset:         48
        .size:           8
        .value_kind:     by_value
      - .offset:         56
        .size:           8
        .value_kind:     by_value
      - .address_space:  global
        .offset:         64
        .size:           8
        .value_kind:     global_buffer
      - .offset:         72
        .size:           4
        .value_kind:     by_value
      - .offset:         76
        .size:           4
        .value_kind:     by_value
      - .address_space:  global
        .offset:         80
        .size:           8
        .value_kind:     global_buffer
      - .offset:         88
        .size:           8
        .value_kind:     by_value
      - .offset:         96
        .size:           4
        .value_kind:     hidden_block_count_x
      - .offset:         100
        .size:           4
        .value_kind:     hidden_block_count_y
      - .offset:         104
        .size:           4
        .value_kind:     hidden_block_count_z
      - .offset:         108
        .size:           2
        .value_kind:     hidden_group_size_x
      - .offset:         110
        .size:           2
        .value_kind:     hidden_group_size_y
      - .offset:         112
        .size:           2
        .value_kind:     hidden_group_size_z
      - .offset:         114
        .size:           2
        .value_kind:     hidden_remainder_x
      - .offset:         116
        .size:           2
        .value_kind:     hidden_remainder_y
      - .offset:         118
        .size:           2
        .value_kind:     hidden_remainder_z
      - .offset:         136
        .size:           8
        .value_kind:     hidden_global_offset_x
      - .offset:         144
        .size:           8
        .value_kind:     hidden_global_offset_y
      - .offset:         152
        .size:           8
        .value_kind:     hidden_global_offset_z
      - .offset:         160
        .size:           2
        .value_kind:     hidden_grid_dims
      - .offset:         216
        .size:           4
        .value_kind:     hidden_dynamic_lds_size
    .group_segment_fixed_size: 0
    .kernarg_segment_align: 8
    .kernarg_segment_size: 352
    .language:       OpenCL C
    .language_version:
      - 2
      - 0
    .max_flat_workgroup_size: 512
    .name:           _ZN9rocsolver6v33100L18getf2_small_kernelILi61E19rocblas_complex_numIdEiiPS3_EEvT1_T3_lS5_lPS5_llPT2_S5_S5_S7_l
    .private_segment_fixed_size: 992
    .sgpr_count:     104
    .sgpr_spill_count: 13
    .symbol:         _ZN9rocsolver6v33100L18getf2_small_kernelILi61E19rocblas_complex_numIdEiiPS3_EEvT1_T3_lS5_lPS5_llPT2_S5_S5_S7_l.kd
    .uniform_work_group_size: 1
    .uses_dynamic_stack: false
    .vgpr_count:     64
    .vgpr_spill_count: 0
    .wavefront_size: 64
  - .args:
      - .offset:         0
        .size:           4
        .value_kind:     by_value
      - .address_space:  global
        .offset:         8
        .size:           8
        .value_kind:     global_buffer
      - .offset:         16
        .size:           8
        .value_kind:     by_value
      - .offset:         24
        .size:           4
        .value_kind:     by_value
      - .offset:         32
        .size:           8
        .value_kind:     by_value
      - .address_space:  global
        .offset:         40
        .size:           8
        .value_kind:     global_buffer
      - .offset:         48
        .size:           4
        .value_kind:     by_value
      - .offset:         52
        .size:           4
        .value_kind:     by_value
      - .offset:         56
        .size:           4
        .value_kind:     hidden_block_count_x
      - .offset:         60
        .size:           4
        .value_kind:     hidden_block_count_y
      - .offset:         64
        .size:           4
        .value_kind:     hidden_block_count_z
      - .offset:         68
        .size:           2
        .value_kind:     hidden_group_size_x
      - .offset:         70
        .size:           2
        .value_kind:     hidden_group_size_y
      - .offset:         72
        .size:           2
        .value_kind:     hidden_group_size_z
      - .offset:         74
        .size:           2
        .value_kind:     hidden_remainder_x
      - .offset:         76
        .size:           2
        .value_kind:     hidden_remainder_y
      - .offset:         78
        .size:           2
        .value_kind:     hidden_remainder_z
      - .offset:         96
        .size:           8
        .value_kind:     hidden_global_offset_x
      - .offset:         104
        .size:           8
        .value_kind:     hidden_global_offset_y
      - .offset:         112
        .size:           8
        .value_kind:     hidden_global_offset_z
      - .offset:         120
        .size:           2
        .value_kind:     hidden_grid_dims
      - .offset:         176
        .size:           4
        .value_kind:     hidden_dynamic_lds_size
    .group_segment_fixed_size: 0
    .kernarg_segment_align: 8
    .kernarg_segment_size: 312
    .language:       OpenCL C
    .language_version:
      - 2
      - 0
    .max_flat_workgroup_size: 512
    .name:           _ZN9rocsolver6v33100L23getf2_npvt_small_kernelILi61E19rocblas_complex_numIdEiiPS3_EEvT1_T3_lS5_lPT2_S5_S5_
    .private_segment_fixed_size: 2016
    .sgpr_count:     104
    .sgpr_spill_count: 98
    .symbol:         _ZN9rocsolver6v33100L23getf2_npvt_small_kernelILi61E19rocblas_complex_numIdEiiPS3_EEvT1_T3_lS5_lPT2_S5_S5_.kd
    .uniform_work_group_size: 1
    .uses_dynamic_stack: false
    .vgpr_count:     128
    .vgpr_spill_count: 256
    .wavefront_size: 64
  - .args:
      - .offset:         0
        .size:           4
        .value_kind:     by_value
      - .address_space:  global
        .offset:         8
        .size:           8
        .value_kind:     global_buffer
      - .offset:         16
        .size:           8
        .value_kind:     by_value
      - .offset:         24
        .size:           4
        .value_kind:     by_value
      - .offset:         32
        .size:           8
        .value_kind:     by_value
      - .address_space:  global
        .offset:         40
        .size:           8
        .value_kind:     global_buffer
      - .offset:         48
        .size:           8
        .value_kind:     by_value
      - .offset:         56
        .size:           8
        .value_kind:     by_value
      - .address_space:  global
        .offset:         64
        .size:           8
        .value_kind:     global_buffer
      - .offset:         72
        .size:           4
        .value_kind:     by_value
      - .offset:         76
        .size:           4
        .value_kind:     by_value
      - .address_space:  global
        .offset:         80
        .size:           8
        .value_kind:     global_buffer
      - .offset:         88
        .size:           8
        .value_kind:     by_value
      - .offset:         96
        .size:           4
        .value_kind:     hidden_block_count_x
      - .offset:         100
        .size:           4
        .value_kind:     hidden_block_count_y
      - .offset:         104
        .size:           4
        .value_kind:     hidden_block_count_z
      - .offset:         108
        .size:           2
        .value_kind:     hidden_group_size_x
      - .offset:         110
        .size:           2
        .value_kind:     hidden_group_size_y
      - .offset:         112
        .size:           2
        .value_kind:     hidden_group_size_z
      - .offset:         114
        .size:           2
        .value_kind:     hidden_remainder_x
      - .offset:         116
        .size:           2
        .value_kind:     hidden_remainder_y
      - .offset:         118
        .size:           2
        .value_kind:     hidden_remainder_z
      - .offset:         136
        .size:           8
        .value_kind:     hidden_global_offset_x
      - .offset:         144
        .size:           8
        .value_kind:     hidden_global_offset_y
      - .offset:         152
        .size:           8
        .value_kind:     hidden_global_offset_z
      - .offset:         160
        .size:           2
        .value_kind:     hidden_grid_dims
      - .offset:         216
        .size:           4
        .value_kind:     hidden_dynamic_lds_size
    .group_segment_fixed_size: 0
    .kernarg_segment_align: 8
    .kernarg_segment_size: 352
    .language:       OpenCL C
    .language_version:
      - 2
      - 0
    .max_flat_workgroup_size: 512
    .name:           _ZN9rocsolver6v33100L18getf2_small_kernelILi62E19rocblas_complex_numIdEiiPS3_EEvT1_T3_lS5_lPS5_llPT2_S5_S5_S7_l
    .private_segment_fixed_size: 1008
    .sgpr_count:     104
    .sgpr_spill_count: 13
    .symbol:         _ZN9rocsolver6v33100L18getf2_small_kernelILi62E19rocblas_complex_numIdEiiPS3_EEvT1_T3_lS5_lPS5_llPT2_S5_S5_S7_l.kd
    .uniform_work_group_size: 1
    .uses_dynamic_stack: false
    .vgpr_count:     62
    .vgpr_spill_count: 0
    .wavefront_size: 64
  - .args:
      - .offset:         0
        .size:           4
        .value_kind:     by_value
      - .address_space:  global
        .offset:         8
        .size:           8
        .value_kind:     global_buffer
      - .offset:         16
        .size:           8
        .value_kind:     by_value
      - .offset:         24
        .size:           4
        .value_kind:     by_value
      - .offset:         32
        .size:           8
        .value_kind:     by_value
      - .address_space:  global
        .offset:         40
        .size:           8
        .value_kind:     global_buffer
      - .offset:         48
        .size:           4
        .value_kind:     by_value
      - .offset:         52
        .size:           4
        .value_kind:     by_value
      - .offset:         56
        .size:           4
        .value_kind:     hidden_block_count_x
      - .offset:         60
        .size:           4
        .value_kind:     hidden_block_count_y
      - .offset:         64
        .size:           4
        .value_kind:     hidden_block_count_z
      - .offset:         68
        .size:           2
        .value_kind:     hidden_group_size_x
      - .offset:         70
        .size:           2
        .value_kind:     hidden_group_size_y
      - .offset:         72
        .size:           2
        .value_kind:     hidden_group_size_z
      - .offset:         74
        .size:           2
        .value_kind:     hidden_remainder_x
      - .offset:         76
        .size:           2
        .value_kind:     hidden_remainder_y
      - .offset:         78
        .size:           2
        .value_kind:     hidden_remainder_z
      - .offset:         96
        .size:           8
        .value_kind:     hidden_global_offset_x
      - .offset:         104
        .size:           8
        .value_kind:     hidden_global_offset_y
      - .offset:         112
        .size:           8
        .value_kind:     hidden_global_offset_z
      - .offset:         120
        .size:           2
        .value_kind:     hidden_grid_dims
      - .offset:         176
        .size:           4
        .value_kind:     hidden_dynamic_lds_size
    .group_segment_fixed_size: 0
    .kernarg_segment_align: 8
    .kernarg_segment_size: 312
    .language:       OpenCL C
    .language_version:
      - 2
      - 0
    .max_flat_workgroup_size: 512
    .name:           _ZN9rocsolver6v33100L23getf2_npvt_small_kernelILi62E19rocblas_complex_numIdEiiPS3_EEvT1_T3_lS5_lPT2_S5_S5_
    .private_segment_fixed_size: 2048
    .sgpr_count:     104
    .sgpr_spill_count: 105
    .symbol:         _ZN9rocsolver6v33100L23getf2_npvt_small_kernelILi62E19rocblas_complex_numIdEiiPS3_EEvT1_T3_lS5_lPT2_S5_S5_.kd
    .uniform_work_group_size: 1
    .uses_dynamic_stack: false
    .vgpr_count:     128
    .vgpr_spill_count: 262
    .wavefront_size: 64
  - .args:
      - .offset:         0
        .size:           4
        .value_kind:     by_value
      - .address_space:  global
        .offset:         8
        .size:           8
        .value_kind:     global_buffer
      - .offset:         16
        .size:           8
        .value_kind:     by_value
      - .offset:         24
        .size:           4
        .value_kind:     by_value
      - .offset:         32
        .size:           8
        .value_kind:     by_value
      - .address_space:  global
        .offset:         40
        .size:           8
        .value_kind:     global_buffer
      - .offset:         48
        .size:           8
        .value_kind:     by_value
      - .offset:         56
        .size:           8
        .value_kind:     by_value
      - .address_space:  global
        .offset:         64
        .size:           8
        .value_kind:     global_buffer
      - .offset:         72
        .size:           4
        .value_kind:     by_value
      - .offset:         76
        .size:           4
        .value_kind:     by_value
      - .address_space:  global
        .offset:         80
        .size:           8
        .value_kind:     global_buffer
      - .offset:         88
        .size:           8
        .value_kind:     by_value
      - .offset:         96
        .size:           4
        .value_kind:     hidden_block_count_x
      - .offset:         100
        .size:           4
        .value_kind:     hidden_block_count_y
      - .offset:         104
        .size:           4
        .value_kind:     hidden_block_count_z
      - .offset:         108
        .size:           2
        .value_kind:     hidden_group_size_x
      - .offset:         110
        .size:           2
        .value_kind:     hidden_group_size_y
      - .offset:         112
        .size:           2
        .value_kind:     hidden_group_size_z
      - .offset:         114
        .size:           2
        .value_kind:     hidden_remainder_x
      - .offset:         116
        .size:           2
        .value_kind:     hidden_remainder_y
      - .offset:         118
        .size:           2
        .value_kind:     hidden_remainder_z
      - .offset:         136
        .size:           8
        .value_kind:     hidden_global_offset_x
      - .offset:         144
        .size:           8
        .value_kind:     hidden_global_offset_y
      - .offset:         152
        .size:           8
        .value_kind:     hidden_global_offset_z
      - .offset:         160
        .size:           2
        .value_kind:     hidden_grid_dims
      - .offset:         216
        .size:           4
        .value_kind:     hidden_dynamic_lds_size
    .group_segment_fixed_size: 0
    .kernarg_segment_align: 8
    .kernarg_segment_size: 352
    .language:       OpenCL C
    .language_version:
      - 2
      - 0
    .max_flat_workgroup_size: 512
    .name:           _ZN9rocsolver6v33100L18getf2_small_kernelILi63E19rocblas_complex_numIdEiiPS3_EEvT1_T3_lS5_lPS5_llPT2_S5_S5_S7_l
    .private_segment_fixed_size: 1024
    .sgpr_count:     104
    .sgpr_spill_count: 15
    .symbol:         _ZN9rocsolver6v33100L18getf2_small_kernelILi63E19rocblas_complex_numIdEiiPS3_EEvT1_T3_lS5_lPS5_llPT2_S5_S5_S7_l.kd
    .uniform_work_group_size: 1
    .uses_dynamic_stack: false
    .vgpr_count:     62
    .vgpr_spill_count: 0
    .wavefront_size: 64
  - .args:
      - .offset:         0
        .size:           4
        .value_kind:     by_value
      - .address_space:  global
        .offset:         8
        .size:           8
        .value_kind:     global_buffer
      - .offset:         16
        .size:           8
        .value_kind:     by_value
      - .offset:         24
        .size:           4
        .value_kind:     by_value
      - .offset:         32
        .size:           8
        .value_kind:     by_value
      - .address_space:  global
        .offset:         40
        .size:           8
        .value_kind:     global_buffer
      - .offset:         48
        .size:           4
        .value_kind:     by_value
      - .offset:         52
        .size:           4
        .value_kind:     by_value
      - .offset:         56
        .size:           4
        .value_kind:     hidden_block_count_x
      - .offset:         60
        .size:           4
        .value_kind:     hidden_block_count_y
      - .offset:         64
        .size:           4
        .value_kind:     hidden_block_count_z
      - .offset:         68
        .size:           2
        .value_kind:     hidden_group_size_x
      - .offset:         70
        .size:           2
        .value_kind:     hidden_group_size_y
      - .offset:         72
        .size:           2
        .value_kind:     hidden_group_size_z
      - .offset:         74
        .size:           2
        .value_kind:     hidden_remainder_x
      - .offset:         76
        .size:           2
        .value_kind:     hidden_remainder_y
      - .offset:         78
        .size:           2
        .value_kind:     hidden_remainder_z
      - .offset:         96
        .size:           8
        .value_kind:     hidden_global_offset_x
      - .offset:         104
        .size:           8
        .value_kind:     hidden_global_offset_y
      - .offset:         112
        .size:           8
        .value_kind:     hidden_global_offset_z
      - .offset:         120
        .size:           2
        .value_kind:     hidden_grid_dims
      - .offset:         176
        .size:           4
        .value_kind:     hidden_dynamic_lds_size
    .group_segment_fixed_size: 0
    .kernarg_segment_align: 8
    .kernarg_segment_size: 312
    .language:       OpenCL C
    .language_version:
      - 2
      - 0
    .max_flat_workgroup_size: 512
    .name:           _ZN9rocsolver6v33100L23getf2_npvt_small_kernelILi63E19rocblas_complex_numIdEiiPS3_EEvT1_T3_lS5_lPT2_S5_S5_
    .private_segment_fixed_size: 2096
    .sgpr_count:     104
    .sgpr_spill_count: 109
    .symbol:         _ZN9rocsolver6v33100L23getf2_npvt_small_kernelILi63E19rocblas_complex_numIdEiiPS3_EEvT1_T3_lS5_lPT2_S5_S5_.kd
    .uniform_work_group_size: 1
    .uses_dynamic_stack: false
    .vgpr_count:     128
    .vgpr_spill_count: 270
    .wavefront_size: 64
  - .args:
      - .offset:         0
        .size:           4
        .value_kind:     by_value
      - .address_space:  global
        .offset:         8
        .size:           8
        .value_kind:     global_buffer
      - .offset:         16
        .size:           8
        .value_kind:     by_value
      - .offset:         24
        .size:           4
        .value_kind:     by_value
      - .offset:         32
        .size:           8
        .value_kind:     by_value
      - .address_space:  global
        .offset:         40
        .size:           8
        .value_kind:     global_buffer
      - .offset:         48
        .size:           8
        .value_kind:     by_value
      - .offset:         56
        .size:           8
        .value_kind:     by_value
      - .address_space:  global
        .offset:         64
        .size:           8
        .value_kind:     global_buffer
      - .offset:         72
        .size:           4
        .value_kind:     by_value
      - .offset:         76
        .size:           4
        .value_kind:     by_value
      - .address_space:  global
        .offset:         80
        .size:           8
        .value_kind:     global_buffer
      - .offset:         88
        .size:           8
        .value_kind:     by_value
      - .offset:         96
        .size:           4
        .value_kind:     hidden_block_count_x
      - .offset:         100
        .size:           4
        .value_kind:     hidden_block_count_y
      - .offset:         104
        .size:           4
        .value_kind:     hidden_block_count_z
      - .offset:         108
        .size:           2
        .value_kind:     hidden_group_size_x
      - .offset:         110
        .size:           2
        .value_kind:     hidden_group_size_y
      - .offset:         112
        .size:           2
        .value_kind:     hidden_group_size_z
      - .offset:         114
        .size:           2
        .value_kind:     hidden_remainder_x
      - .offset:         116
        .size:           2
        .value_kind:     hidden_remainder_y
      - .offset:         118
        .size:           2
        .value_kind:     hidden_remainder_z
      - .offset:         136
        .size:           8
        .value_kind:     hidden_global_offset_x
      - .offset:         144
        .size:           8
        .value_kind:     hidden_global_offset_y
      - .offset:         152
        .size:           8
        .value_kind:     hidden_global_offset_z
      - .offset:         160
        .size:           2
        .value_kind:     hidden_grid_dims
      - .offset:         216
        .size:           4
        .value_kind:     hidden_dynamic_lds_size
    .group_segment_fixed_size: 0
    .kernarg_segment_align: 8
    .kernarg_segment_size: 352
    .language:       OpenCL C
    .language_version:
      - 2
      - 0
    .max_flat_workgroup_size: 512
    .name:           _ZN9rocsolver6v33100L18getf2_small_kernelILi64E19rocblas_complex_numIdEiiPS3_EEvT1_T3_lS5_lPS5_llPT2_S5_S5_S7_l
    .private_segment_fixed_size: 1040
    .sgpr_count:     104
    .sgpr_spill_count: 15
    .symbol:         _ZN9rocsolver6v33100L18getf2_small_kernelILi64E19rocblas_complex_numIdEiiPS3_EEvT1_T3_lS5_lPS5_llPT2_S5_S5_S7_l.kd
    .uniform_work_group_size: 1
    .uses_dynamic_stack: false
    .vgpr_count:     62
    .vgpr_spill_count: 0
    .wavefront_size: 64
  - .args:
      - .offset:         0
        .size:           4
        .value_kind:     by_value
      - .address_space:  global
        .offset:         8
        .size:           8
        .value_kind:     global_buffer
      - .offset:         16
        .size:           8
        .value_kind:     by_value
      - .offset:         24
        .size:           4
        .value_kind:     by_value
      - .offset:         32
        .size:           8
        .value_kind:     by_value
      - .address_space:  global
        .offset:         40
        .size:           8
        .value_kind:     global_buffer
      - .offset:         48
        .size:           4
        .value_kind:     by_value
      - .offset:         52
        .size:           4
        .value_kind:     by_value
      - .offset:         56
        .size:           4
        .value_kind:     hidden_block_count_x
      - .offset:         60
        .size:           4
        .value_kind:     hidden_block_count_y
      - .offset:         64
        .size:           4
        .value_kind:     hidden_block_count_z
      - .offset:         68
        .size:           2
        .value_kind:     hidden_group_size_x
      - .offset:         70
        .size:           2
        .value_kind:     hidden_group_size_y
      - .offset:         72
        .size:           2
        .value_kind:     hidden_group_size_z
      - .offset:         74
        .size:           2
        .value_kind:     hidden_remainder_x
      - .offset:         76
        .size:           2
        .value_kind:     hidden_remainder_y
      - .offset:         78
        .size:           2
        .value_kind:     hidden_remainder_z
      - .offset:         96
        .size:           8
        .value_kind:     hidden_global_offset_x
      - .offset:         104
        .size:           8
        .value_kind:     hidden_global_offset_y
      - .offset:         112
        .size:           8
        .value_kind:     hidden_global_offset_z
      - .offset:         120
        .size:           2
        .value_kind:     hidden_grid_dims
      - .offset:         176
        .size:           4
        .value_kind:     hidden_dynamic_lds_size
    .group_segment_fixed_size: 0
    .kernarg_segment_align: 8
    .kernarg_segment_size: 312
    .language:       OpenCL C
    .language_version:
      - 2
      - 0
    .max_flat_workgroup_size: 512
    .name:           _ZN9rocsolver6v33100L23getf2_npvt_small_kernelILi64E19rocblas_complex_numIdEiiPS3_EEvT1_T3_lS5_lPT2_S5_S5_
    .private_segment_fixed_size: 2144
    .sgpr_count:     104
    .sgpr_spill_count: 114
    .symbol:         _ZN9rocsolver6v33100L23getf2_npvt_small_kernelILi64E19rocblas_complex_numIdEiiPS3_EEvT1_T3_lS5_lPT2_S5_S5_.kd
    .uniform_work_group_size: 1
    .uses_dynamic_stack: false
    .vgpr_count:     127
    .vgpr_spill_count: 276
    .wavefront_size: 64
amdhsa.target:   amdgcn-amd-amdhsa--gfx906
amdhsa.version:
  - 1
  - 2
...

	.end_amdgpu_metadata
